;; amdgpu-corpus repo=pytorch/pytorch kind=compiled arch=gfx90a opt=O3
	.text
	.amdgcn_target "amdgcn-amd-amdhsa--gfx90a"
	.amdhsa_code_object_version 6
	.section	.text._ZN7rocprim17ROCPRIM_400000_NS6detail44device_merge_sort_compile_time_verifier_archINS1_11comp_targetILNS1_3genE0ELNS1_11target_archE4294967295ELNS1_3gpuE0ELNS1_3repE0EEES8_NS0_14default_configES9_NS1_37merge_sort_block_sort_config_selectorIlNS0_10empty_typeEEENS1_38merge_sort_block_merge_config_selectorIlSB_EEEEvv,"axG",@progbits,_ZN7rocprim17ROCPRIM_400000_NS6detail44device_merge_sort_compile_time_verifier_archINS1_11comp_targetILNS1_3genE0ELNS1_11target_archE4294967295ELNS1_3gpuE0ELNS1_3repE0EEES8_NS0_14default_configES9_NS1_37merge_sort_block_sort_config_selectorIlNS0_10empty_typeEEENS1_38merge_sort_block_merge_config_selectorIlSB_EEEEvv,comdat
	.protected	_ZN7rocprim17ROCPRIM_400000_NS6detail44device_merge_sort_compile_time_verifier_archINS1_11comp_targetILNS1_3genE0ELNS1_11target_archE4294967295ELNS1_3gpuE0ELNS1_3repE0EEES8_NS0_14default_configES9_NS1_37merge_sort_block_sort_config_selectorIlNS0_10empty_typeEEENS1_38merge_sort_block_merge_config_selectorIlSB_EEEEvv ; -- Begin function _ZN7rocprim17ROCPRIM_400000_NS6detail44device_merge_sort_compile_time_verifier_archINS1_11comp_targetILNS1_3genE0ELNS1_11target_archE4294967295ELNS1_3gpuE0ELNS1_3repE0EEES8_NS0_14default_configES9_NS1_37merge_sort_block_sort_config_selectorIlNS0_10empty_typeEEENS1_38merge_sort_block_merge_config_selectorIlSB_EEEEvv
	.globl	_ZN7rocprim17ROCPRIM_400000_NS6detail44device_merge_sort_compile_time_verifier_archINS1_11comp_targetILNS1_3genE0ELNS1_11target_archE4294967295ELNS1_3gpuE0ELNS1_3repE0EEES8_NS0_14default_configES9_NS1_37merge_sort_block_sort_config_selectorIlNS0_10empty_typeEEENS1_38merge_sort_block_merge_config_selectorIlSB_EEEEvv
	.p2align	8
	.type	_ZN7rocprim17ROCPRIM_400000_NS6detail44device_merge_sort_compile_time_verifier_archINS1_11comp_targetILNS1_3genE0ELNS1_11target_archE4294967295ELNS1_3gpuE0ELNS1_3repE0EEES8_NS0_14default_configES9_NS1_37merge_sort_block_sort_config_selectorIlNS0_10empty_typeEEENS1_38merge_sort_block_merge_config_selectorIlSB_EEEEvv,@function
_ZN7rocprim17ROCPRIM_400000_NS6detail44device_merge_sort_compile_time_verifier_archINS1_11comp_targetILNS1_3genE0ELNS1_11target_archE4294967295ELNS1_3gpuE0ELNS1_3repE0EEES8_NS0_14default_configES9_NS1_37merge_sort_block_sort_config_selectorIlNS0_10empty_typeEEENS1_38merge_sort_block_merge_config_selectorIlSB_EEEEvv: ; @_ZN7rocprim17ROCPRIM_400000_NS6detail44device_merge_sort_compile_time_verifier_archINS1_11comp_targetILNS1_3genE0ELNS1_11target_archE4294967295ELNS1_3gpuE0ELNS1_3repE0EEES8_NS0_14default_configES9_NS1_37merge_sort_block_sort_config_selectorIlNS0_10empty_typeEEENS1_38merge_sort_block_merge_config_selectorIlSB_EEEEvv
; %bb.0:
	s_endpgm
	.section	.rodata,"a",@progbits
	.p2align	6, 0x0
	.amdhsa_kernel _ZN7rocprim17ROCPRIM_400000_NS6detail44device_merge_sort_compile_time_verifier_archINS1_11comp_targetILNS1_3genE0ELNS1_11target_archE4294967295ELNS1_3gpuE0ELNS1_3repE0EEES8_NS0_14default_configES9_NS1_37merge_sort_block_sort_config_selectorIlNS0_10empty_typeEEENS1_38merge_sort_block_merge_config_selectorIlSB_EEEEvv
		.amdhsa_group_segment_fixed_size 0
		.amdhsa_private_segment_fixed_size 0
		.amdhsa_kernarg_size 0
		.amdhsa_user_sgpr_count 4
		.amdhsa_user_sgpr_private_segment_buffer 1
		.amdhsa_user_sgpr_dispatch_ptr 0
		.amdhsa_user_sgpr_queue_ptr 0
		.amdhsa_user_sgpr_kernarg_segment_ptr 0
		.amdhsa_user_sgpr_dispatch_id 0
		.amdhsa_user_sgpr_flat_scratch_init 0
		.amdhsa_user_sgpr_kernarg_preload_length 0
		.amdhsa_user_sgpr_kernarg_preload_offset 0
		.amdhsa_user_sgpr_private_segment_size 0
		.amdhsa_uses_dynamic_stack 0
		.amdhsa_system_sgpr_private_segment_wavefront_offset 0
		.amdhsa_system_sgpr_workgroup_id_x 1
		.amdhsa_system_sgpr_workgroup_id_y 0
		.amdhsa_system_sgpr_workgroup_id_z 0
		.amdhsa_system_sgpr_workgroup_info 0
		.amdhsa_system_vgpr_workitem_id 0
		.amdhsa_next_free_vgpr 1
		.amdhsa_next_free_sgpr 0
		.amdhsa_accum_offset 4
		.amdhsa_reserve_vcc 0
		.amdhsa_reserve_flat_scratch 0
		.amdhsa_float_round_mode_32 0
		.amdhsa_float_round_mode_16_64 0
		.amdhsa_float_denorm_mode_32 3
		.amdhsa_float_denorm_mode_16_64 3
		.amdhsa_dx10_clamp 1
		.amdhsa_ieee_mode 1
		.amdhsa_fp16_overflow 0
		.amdhsa_tg_split 0
		.amdhsa_exception_fp_ieee_invalid_op 0
		.amdhsa_exception_fp_denorm_src 0
		.amdhsa_exception_fp_ieee_div_zero 0
		.amdhsa_exception_fp_ieee_overflow 0
		.amdhsa_exception_fp_ieee_underflow 0
		.amdhsa_exception_fp_ieee_inexact 0
		.amdhsa_exception_int_div_zero 0
	.end_amdhsa_kernel
	.section	.text._ZN7rocprim17ROCPRIM_400000_NS6detail44device_merge_sort_compile_time_verifier_archINS1_11comp_targetILNS1_3genE0ELNS1_11target_archE4294967295ELNS1_3gpuE0ELNS1_3repE0EEES8_NS0_14default_configES9_NS1_37merge_sort_block_sort_config_selectorIlNS0_10empty_typeEEENS1_38merge_sort_block_merge_config_selectorIlSB_EEEEvv,"axG",@progbits,_ZN7rocprim17ROCPRIM_400000_NS6detail44device_merge_sort_compile_time_verifier_archINS1_11comp_targetILNS1_3genE0ELNS1_11target_archE4294967295ELNS1_3gpuE0ELNS1_3repE0EEES8_NS0_14default_configES9_NS1_37merge_sort_block_sort_config_selectorIlNS0_10empty_typeEEENS1_38merge_sort_block_merge_config_selectorIlSB_EEEEvv,comdat
.Lfunc_end0:
	.size	_ZN7rocprim17ROCPRIM_400000_NS6detail44device_merge_sort_compile_time_verifier_archINS1_11comp_targetILNS1_3genE0ELNS1_11target_archE4294967295ELNS1_3gpuE0ELNS1_3repE0EEES8_NS0_14default_configES9_NS1_37merge_sort_block_sort_config_selectorIlNS0_10empty_typeEEENS1_38merge_sort_block_merge_config_selectorIlSB_EEEEvv, .Lfunc_end0-_ZN7rocprim17ROCPRIM_400000_NS6detail44device_merge_sort_compile_time_verifier_archINS1_11comp_targetILNS1_3genE0ELNS1_11target_archE4294967295ELNS1_3gpuE0ELNS1_3repE0EEES8_NS0_14default_configES9_NS1_37merge_sort_block_sort_config_selectorIlNS0_10empty_typeEEENS1_38merge_sort_block_merge_config_selectorIlSB_EEEEvv
                                        ; -- End function
	.section	.AMDGPU.csdata,"",@progbits
; Kernel info:
; codeLenInByte = 4
; NumSgprs: 4
; NumVgprs: 0
; NumAgprs: 0
; TotalNumVgprs: 0
; ScratchSize: 0
; MemoryBound: 0
; FloatMode: 240
; IeeeMode: 1
; LDSByteSize: 0 bytes/workgroup (compile time only)
; SGPRBlocks: 0
; VGPRBlocks: 0
; NumSGPRsForWavesPerEU: 4
; NumVGPRsForWavesPerEU: 1
; AccumOffset: 4
; Occupancy: 8
; WaveLimiterHint : 0
; COMPUTE_PGM_RSRC2:SCRATCH_EN: 0
; COMPUTE_PGM_RSRC2:USER_SGPR: 4
; COMPUTE_PGM_RSRC2:TRAP_HANDLER: 0
; COMPUTE_PGM_RSRC2:TGID_X_EN: 1
; COMPUTE_PGM_RSRC2:TGID_Y_EN: 0
; COMPUTE_PGM_RSRC2:TGID_Z_EN: 0
; COMPUTE_PGM_RSRC2:TIDIG_COMP_CNT: 0
; COMPUTE_PGM_RSRC3_GFX90A:ACCUM_OFFSET: 0
; COMPUTE_PGM_RSRC3_GFX90A:TG_SPLIT: 0
	.section	.text._ZN7rocprim17ROCPRIM_400000_NS6detail44device_merge_sort_compile_time_verifier_archINS1_11comp_targetILNS1_3genE5ELNS1_11target_archE942ELNS1_3gpuE9ELNS1_3repE0EEES8_NS0_14default_configES9_NS1_37merge_sort_block_sort_config_selectorIlNS0_10empty_typeEEENS1_38merge_sort_block_merge_config_selectorIlSB_EEEEvv,"axG",@progbits,_ZN7rocprim17ROCPRIM_400000_NS6detail44device_merge_sort_compile_time_verifier_archINS1_11comp_targetILNS1_3genE5ELNS1_11target_archE942ELNS1_3gpuE9ELNS1_3repE0EEES8_NS0_14default_configES9_NS1_37merge_sort_block_sort_config_selectorIlNS0_10empty_typeEEENS1_38merge_sort_block_merge_config_selectorIlSB_EEEEvv,comdat
	.protected	_ZN7rocprim17ROCPRIM_400000_NS6detail44device_merge_sort_compile_time_verifier_archINS1_11comp_targetILNS1_3genE5ELNS1_11target_archE942ELNS1_3gpuE9ELNS1_3repE0EEES8_NS0_14default_configES9_NS1_37merge_sort_block_sort_config_selectorIlNS0_10empty_typeEEENS1_38merge_sort_block_merge_config_selectorIlSB_EEEEvv ; -- Begin function _ZN7rocprim17ROCPRIM_400000_NS6detail44device_merge_sort_compile_time_verifier_archINS1_11comp_targetILNS1_3genE5ELNS1_11target_archE942ELNS1_3gpuE9ELNS1_3repE0EEES8_NS0_14default_configES9_NS1_37merge_sort_block_sort_config_selectorIlNS0_10empty_typeEEENS1_38merge_sort_block_merge_config_selectorIlSB_EEEEvv
	.globl	_ZN7rocprim17ROCPRIM_400000_NS6detail44device_merge_sort_compile_time_verifier_archINS1_11comp_targetILNS1_3genE5ELNS1_11target_archE942ELNS1_3gpuE9ELNS1_3repE0EEES8_NS0_14default_configES9_NS1_37merge_sort_block_sort_config_selectorIlNS0_10empty_typeEEENS1_38merge_sort_block_merge_config_selectorIlSB_EEEEvv
	.p2align	8
	.type	_ZN7rocprim17ROCPRIM_400000_NS6detail44device_merge_sort_compile_time_verifier_archINS1_11comp_targetILNS1_3genE5ELNS1_11target_archE942ELNS1_3gpuE9ELNS1_3repE0EEES8_NS0_14default_configES9_NS1_37merge_sort_block_sort_config_selectorIlNS0_10empty_typeEEENS1_38merge_sort_block_merge_config_selectorIlSB_EEEEvv,@function
_ZN7rocprim17ROCPRIM_400000_NS6detail44device_merge_sort_compile_time_verifier_archINS1_11comp_targetILNS1_3genE5ELNS1_11target_archE942ELNS1_3gpuE9ELNS1_3repE0EEES8_NS0_14default_configES9_NS1_37merge_sort_block_sort_config_selectorIlNS0_10empty_typeEEENS1_38merge_sort_block_merge_config_selectorIlSB_EEEEvv: ; @_ZN7rocprim17ROCPRIM_400000_NS6detail44device_merge_sort_compile_time_verifier_archINS1_11comp_targetILNS1_3genE5ELNS1_11target_archE942ELNS1_3gpuE9ELNS1_3repE0EEES8_NS0_14default_configES9_NS1_37merge_sort_block_sort_config_selectorIlNS0_10empty_typeEEENS1_38merge_sort_block_merge_config_selectorIlSB_EEEEvv
; %bb.0:
	s_endpgm
	.section	.rodata,"a",@progbits
	.p2align	6, 0x0
	.amdhsa_kernel _ZN7rocprim17ROCPRIM_400000_NS6detail44device_merge_sort_compile_time_verifier_archINS1_11comp_targetILNS1_3genE5ELNS1_11target_archE942ELNS1_3gpuE9ELNS1_3repE0EEES8_NS0_14default_configES9_NS1_37merge_sort_block_sort_config_selectorIlNS0_10empty_typeEEENS1_38merge_sort_block_merge_config_selectorIlSB_EEEEvv
		.amdhsa_group_segment_fixed_size 0
		.amdhsa_private_segment_fixed_size 0
		.amdhsa_kernarg_size 0
		.amdhsa_user_sgpr_count 4
		.amdhsa_user_sgpr_private_segment_buffer 1
		.amdhsa_user_sgpr_dispatch_ptr 0
		.amdhsa_user_sgpr_queue_ptr 0
		.amdhsa_user_sgpr_kernarg_segment_ptr 0
		.amdhsa_user_sgpr_dispatch_id 0
		.amdhsa_user_sgpr_flat_scratch_init 0
		.amdhsa_user_sgpr_kernarg_preload_length 0
		.amdhsa_user_sgpr_kernarg_preload_offset 0
		.amdhsa_user_sgpr_private_segment_size 0
		.amdhsa_uses_dynamic_stack 0
		.amdhsa_system_sgpr_private_segment_wavefront_offset 0
		.amdhsa_system_sgpr_workgroup_id_x 1
		.amdhsa_system_sgpr_workgroup_id_y 0
		.amdhsa_system_sgpr_workgroup_id_z 0
		.amdhsa_system_sgpr_workgroup_info 0
		.amdhsa_system_vgpr_workitem_id 0
		.amdhsa_next_free_vgpr 1
		.amdhsa_next_free_sgpr 0
		.amdhsa_accum_offset 4
		.amdhsa_reserve_vcc 0
		.amdhsa_reserve_flat_scratch 0
		.amdhsa_float_round_mode_32 0
		.amdhsa_float_round_mode_16_64 0
		.amdhsa_float_denorm_mode_32 3
		.amdhsa_float_denorm_mode_16_64 3
		.amdhsa_dx10_clamp 1
		.amdhsa_ieee_mode 1
		.amdhsa_fp16_overflow 0
		.amdhsa_tg_split 0
		.amdhsa_exception_fp_ieee_invalid_op 0
		.amdhsa_exception_fp_denorm_src 0
		.amdhsa_exception_fp_ieee_div_zero 0
		.amdhsa_exception_fp_ieee_overflow 0
		.amdhsa_exception_fp_ieee_underflow 0
		.amdhsa_exception_fp_ieee_inexact 0
		.amdhsa_exception_int_div_zero 0
	.end_amdhsa_kernel
	.section	.text._ZN7rocprim17ROCPRIM_400000_NS6detail44device_merge_sort_compile_time_verifier_archINS1_11comp_targetILNS1_3genE5ELNS1_11target_archE942ELNS1_3gpuE9ELNS1_3repE0EEES8_NS0_14default_configES9_NS1_37merge_sort_block_sort_config_selectorIlNS0_10empty_typeEEENS1_38merge_sort_block_merge_config_selectorIlSB_EEEEvv,"axG",@progbits,_ZN7rocprim17ROCPRIM_400000_NS6detail44device_merge_sort_compile_time_verifier_archINS1_11comp_targetILNS1_3genE5ELNS1_11target_archE942ELNS1_3gpuE9ELNS1_3repE0EEES8_NS0_14default_configES9_NS1_37merge_sort_block_sort_config_selectorIlNS0_10empty_typeEEENS1_38merge_sort_block_merge_config_selectorIlSB_EEEEvv,comdat
.Lfunc_end1:
	.size	_ZN7rocprim17ROCPRIM_400000_NS6detail44device_merge_sort_compile_time_verifier_archINS1_11comp_targetILNS1_3genE5ELNS1_11target_archE942ELNS1_3gpuE9ELNS1_3repE0EEES8_NS0_14default_configES9_NS1_37merge_sort_block_sort_config_selectorIlNS0_10empty_typeEEENS1_38merge_sort_block_merge_config_selectorIlSB_EEEEvv, .Lfunc_end1-_ZN7rocprim17ROCPRIM_400000_NS6detail44device_merge_sort_compile_time_verifier_archINS1_11comp_targetILNS1_3genE5ELNS1_11target_archE942ELNS1_3gpuE9ELNS1_3repE0EEES8_NS0_14default_configES9_NS1_37merge_sort_block_sort_config_selectorIlNS0_10empty_typeEEENS1_38merge_sort_block_merge_config_selectorIlSB_EEEEvv
                                        ; -- End function
	.section	.AMDGPU.csdata,"",@progbits
; Kernel info:
; codeLenInByte = 4
; NumSgprs: 4
; NumVgprs: 0
; NumAgprs: 0
; TotalNumVgprs: 0
; ScratchSize: 0
; MemoryBound: 0
; FloatMode: 240
; IeeeMode: 1
; LDSByteSize: 0 bytes/workgroup (compile time only)
; SGPRBlocks: 0
; VGPRBlocks: 0
; NumSGPRsForWavesPerEU: 4
; NumVGPRsForWavesPerEU: 1
; AccumOffset: 4
; Occupancy: 8
; WaveLimiterHint : 0
; COMPUTE_PGM_RSRC2:SCRATCH_EN: 0
; COMPUTE_PGM_RSRC2:USER_SGPR: 4
; COMPUTE_PGM_RSRC2:TRAP_HANDLER: 0
; COMPUTE_PGM_RSRC2:TGID_X_EN: 1
; COMPUTE_PGM_RSRC2:TGID_Y_EN: 0
; COMPUTE_PGM_RSRC2:TGID_Z_EN: 0
; COMPUTE_PGM_RSRC2:TIDIG_COMP_CNT: 0
; COMPUTE_PGM_RSRC3_GFX90A:ACCUM_OFFSET: 0
; COMPUTE_PGM_RSRC3_GFX90A:TG_SPLIT: 0
	.section	.text._ZN7rocprim17ROCPRIM_400000_NS6detail44device_merge_sort_compile_time_verifier_archINS1_11comp_targetILNS1_3genE4ELNS1_11target_archE910ELNS1_3gpuE8ELNS1_3repE0EEES8_NS0_14default_configES9_NS1_37merge_sort_block_sort_config_selectorIlNS0_10empty_typeEEENS1_38merge_sort_block_merge_config_selectorIlSB_EEEEvv,"axG",@progbits,_ZN7rocprim17ROCPRIM_400000_NS6detail44device_merge_sort_compile_time_verifier_archINS1_11comp_targetILNS1_3genE4ELNS1_11target_archE910ELNS1_3gpuE8ELNS1_3repE0EEES8_NS0_14default_configES9_NS1_37merge_sort_block_sort_config_selectorIlNS0_10empty_typeEEENS1_38merge_sort_block_merge_config_selectorIlSB_EEEEvv,comdat
	.protected	_ZN7rocprim17ROCPRIM_400000_NS6detail44device_merge_sort_compile_time_verifier_archINS1_11comp_targetILNS1_3genE4ELNS1_11target_archE910ELNS1_3gpuE8ELNS1_3repE0EEES8_NS0_14default_configES9_NS1_37merge_sort_block_sort_config_selectorIlNS0_10empty_typeEEENS1_38merge_sort_block_merge_config_selectorIlSB_EEEEvv ; -- Begin function _ZN7rocprim17ROCPRIM_400000_NS6detail44device_merge_sort_compile_time_verifier_archINS1_11comp_targetILNS1_3genE4ELNS1_11target_archE910ELNS1_3gpuE8ELNS1_3repE0EEES8_NS0_14default_configES9_NS1_37merge_sort_block_sort_config_selectorIlNS0_10empty_typeEEENS1_38merge_sort_block_merge_config_selectorIlSB_EEEEvv
	.globl	_ZN7rocprim17ROCPRIM_400000_NS6detail44device_merge_sort_compile_time_verifier_archINS1_11comp_targetILNS1_3genE4ELNS1_11target_archE910ELNS1_3gpuE8ELNS1_3repE0EEES8_NS0_14default_configES9_NS1_37merge_sort_block_sort_config_selectorIlNS0_10empty_typeEEENS1_38merge_sort_block_merge_config_selectorIlSB_EEEEvv
	.p2align	8
	.type	_ZN7rocprim17ROCPRIM_400000_NS6detail44device_merge_sort_compile_time_verifier_archINS1_11comp_targetILNS1_3genE4ELNS1_11target_archE910ELNS1_3gpuE8ELNS1_3repE0EEES8_NS0_14default_configES9_NS1_37merge_sort_block_sort_config_selectorIlNS0_10empty_typeEEENS1_38merge_sort_block_merge_config_selectorIlSB_EEEEvv,@function
_ZN7rocprim17ROCPRIM_400000_NS6detail44device_merge_sort_compile_time_verifier_archINS1_11comp_targetILNS1_3genE4ELNS1_11target_archE910ELNS1_3gpuE8ELNS1_3repE0EEES8_NS0_14default_configES9_NS1_37merge_sort_block_sort_config_selectorIlNS0_10empty_typeEEENS1_38merge_sort_block_merge_config_selectorIlSB_EEEEvv: ; @_ZN7rocprim17ROCPRIM_400000_NS6detail44device_merge_sort_compile_time_verifier_archINS1_11comp_targetILNS1_3genE4ELNS1_11target_archE910ELNS1_3gpuE8ELNS1_3repE0EEES8_NS0_14default_configES9_NS1_37merge_sort_block_sort_config_selectorIlNS0_10empty_typeEEENS1_38merge_sort_block_merge_config_selectorIlSB_EEEEvv
; %bb.0:
	s_endpgm
	.section	.rodata,"a",@progbits
	.p2align	6, 0x0
	.amdhsa_kernel _ZN7rocprim17ROCPRIM_400000_NS6detail44device_merge_sort_compile_time_verifier_archINS1_11comp_targetILNS1_3genE4ELNS1_11target_archE910ELNS1_3gpuE8ELNS1_3repE0EEES8_NS0_14default_configES9_NS1_37merge_sort_block_sort_config_selectorIlNS0_10empty_typeEEENS1_38merge_sort_block_merge_config_selectorIlSB_EEEEvv
		.amdhsa_group_segment_fixed_size 0
		.amdhsa_private_segment_fixed_size 0
		.amdhsa_kernarg_size 0
		.amdhsa_user_sgpr_count 4
		.amdhsa_user_sgpr_private_segment_buffer 1
		.amdhsa_user_sgpr_dispatch_ptr 0
		.amdhsa_user_sgpr_queue_ptr 0
		.amdhsa_user_sgpr_kernarg_segment_ptr 0
		.amdhsa_user_sgpr_dispatch_id 0
		.amdhsa_user_sgpr_flat_scratch_init 0
		.amdhsa_user_sgpr_kernarg_preload_length 0
		.amdhsa_user_sgpr_kernarg_preload_offset 0
		.amdhsa_user_sgpr_private_segment_size 0
		.amdhsa_uses_dynamic_stack 0
		.amdhsa_system_sgpr_private_segment_wavefront_offset 0
		.amdhsa_system_sgpr_workgroup_id_x 1
		.amdhsa_system_sgpr_workgroup_id_y 0
		.amdhsa_system_sgpr_workgroup_id_z 0
		.amdhsa_system_sgpr_workgroup_info 0
		.amdhsa_system_vgpr_workitem_id 0
		.amdhsa_next_free_vgpr 1
		.amdhsa_next_free_sgpr 0
		.amdhsa_accum_offset 4
		.amdhsa_reserve_vcc 0
		.amdhsa_reserve_flat_scratch 0
		.amdhsa_float_round_mode_32 0
		.amdhsa_float_round_mode_16_64 0
		.amdhsa_float_denorm_mode_32 3
		.amdhsa_float_denorm_mode_16_64 3
		.amdhsa_dx10_clamp 1
		.amdhsa_ieee_mode 1
		.amdhsa_fp16_overflow 0
		.amdhsa_tg_split 0
		.amdhsa_exception_fp_ieee_invalid_op 0
		.amdhsa_exception_fp_denorm_src 0
		.amdhsa_exception_fp_ieee_div_zero 0
		.amdhsa_exception_fp_ieee_overflow 0
		.amdhsa_exception_fp_ieee_underflow 0
		.amdhsa_exception_fp_ieee_inexact 0
		.amdhsa_exception_int_div_zero 0
	.end_amdhsa_kernel
	.section	.text._ZN7rocprim17ROCPRIM_400000_NS6detail44device_merge_sort_compile_time_verifier_archINS1_11comp_targetILNS1_3genE4ELNS1_11target_archE910ELNS1_3gpuE8ELNS1_3repE0EEES8_NS0_14default_configES9_NS1_37merge_sort_block_sort_config_selectorIlNS0_10empty_typeEEENS1_38merge_sort_block_merge_config_selectorIlSB_EEEEvv,"axG",@progbits,_ZN7rocprim17ROCPRIM_400000_NS6detail44device_merge_sort_compile_time_verifier_archINS1_11comp_targetILNS1_3genE4ELNS1_11target_archE910ELNS1_3gpuE8ELNS1_3repE0EEES8_NS0_14default_configES9_NS1_37merge_sort_block_sort_config_selectorIlNS0_10empty_typeEEENS1_38merge_sort_block_merge_config_selectorIlSB_EEEEvv,comdat
.Lfunc_end2:
	.size	_ZN7rocprim17ROCPRIM_400000_NS6detail44device_merge_sort_compile_time_verifier_archINS1_11comp_targetILNS1_3genE4ELNS1_11target_archE910ELNS1_3gpuE8ELNS1_3repE0EEES8_NS0_14default_configES9_NS1_37merge_sort_block_sort_config_selectorIlNS0_10empty_typeEEENS1_38merge_sort_block_merge_config_selectorIlSB_EEEEvv, .Lfunc_end2-_ZN7rocprim17ROCPRIM_400000_NS6detail44device_merge_sort_compile_time_verifier_archINS1_11comp_targetILNS1_3genE4ELNS1_11target_archE910ELNS1_3gpuE8ELNS1_3repE0EEES8_NS0_14default_configES9_NS1_37merge_sort_block_sort_config_selectorIlNS0_10empty_typeEEENS1_38merge_sort_block_merge_config_selectorIlSB_EEEEvv
                                        ; -- End function
	.section	.AMDGPU.csdata,"",@progbits
; Kernel info:
; codeLenInByte = 4
; NumSgprs: 4
; NumVgprs: 0
; NumAgprs: 0
; TotalNumVgprs: 0
; ScratchSize: 0
; MemoryBound: 0
; FloatMode: 240
; IeeeMode: 1
; LDSByteSize: 0 bytes/workgroup (compile time only)
; SGPRBlocks: 0
; VGPRBlocks: 0
; NumSGPRsForWavesPerEU: 4
; NumVGPRsForWavesPerEU: 1
; AccumOffset: 4
; Occupancy: 8
; WaveLimiterHint : 0
; COMPUTE_PGM_RSRC2:SCRATCH_EN: 0
; COMPUTE_PGM_RSRC2:USER_SGPR: 4
; COMPUTE_PGM_RSRC2:TRAP_HANDLER: 0
; COMPUTE_PGM_RSRC2:TGID_X_EN: 1
; COMPUTE_PGM_RSRC2:TGID_Y_EN: 0
; COMPUTE_PGM_RSRC2:TGID_Z_EN: 0
; COMPUTE_PGM_RSRC2:TIDIG_COMP_CNT: 0
; COMPUTE_PGM_RSRC3_GFX90A:ACCUM_OFFSET: 0
; COMPUTE_PGM_RSRC3_GFX90A:TG_SPLIT: 0
	.section	.text._ZN7rocprim17ROCPRIM_400000_NS6detail44device_merge_sort_compile_time_verifier_archINS1_11comp_targetILNS1_3genE3ELNS1_11target_archE908ELNS1_3gpuE7ELNS1_3repE0EEES8_NS0_14default_configES9_NS1_37merge_sort_block_sort_config_selectorIlNS0_10empty_typeEEENS1_38merge_sort_block_merge_config_selectorIlSB_EEEEvv,"axG",@progbits,_ZN7rocprim17ROCPRIM_400000_NS6detail44device_merge_sort_compile_time_verifier_archINS1_11comp_targetILNS1_3genE3ELNS1_11target_archE908ELNS1_3gpuE7ELNS1_3repE0EEES8_NS0_14default_configES9_NS1_37merge_sort_block_sort_config_selectorIlNS0_10empty_typeEEENS1_38merge_sort_block_merge_config_selectorIlSB_EEEEvv,comdat
	.protected	_ZN7rocprim17ROCPRIM_400000_NS6detail44device_merge_sort_compile_time_verifier_archINS1_11comp_targetILNS1_3genE3ELNS1_11target_archE908ELNS1_3gpuE7ELNS1_3repE0EEES8_NS0_14default_configES9_NS1_37merge_sort_block_sort_config_selectorIlNS0_10empty_typeEEENS1_38merge_sort_block_merge_config_selectorIlSB_EEEEvv ; -- Begin function _ZN7rocprim17ROCPRIM_400000_NS6detail44device_merge_sort_compile_time_verifier_archINS1_11comp_targetILNS1_3genE3ELNS1_11target_archE908ELNS1_3gpuE7ELNS1_3repE0EEES8_NS0_14default_configES9_NS1_37merge_sort_block_sort_config_selectorIlNS0_10empty_typeEEENS1_38merge_sort_block_merge_config_selectorIlSB_EEEEvv
	.globl	_ZN7rocprim17ROCPRIM_400000_NS6detail44device_merge_sort_compile_time_verifier_archINS1_11comp_targetILNS1_3genE3ELNS1_11target_archE908ELNS1_3gpuE7ELNS1_3repE0EEES8_NS0_14default_configES9_NS1_37merge_sort_block_sort_config_selectorIlNS0_10empty_typeEEENS1_38merge_sort_block_merge_config_selectorIlSB_EEEEvv
	.p2align	8
	.type	_ZN7rocprim17ROCPRIM_400000_NS6detail44device_merge_sort_compile_time_verifier_archINS1_11comp_targetILNS1_3genE3ELNS1_11target_archE908ELNS1_3gpuE7ELNS1_3repE0EEES8_NS0_14default_configES9_NS1_37merge_sort_block_sort_config_selectorIlNS0_10empty_typeEEENS1_38merge_sort_block_merge_config_selectorIlSB_EEEEvv,@function
_ZN7rocprim17ROCPRIM_400000_NS6detail44device_merge_sort_compile_time_verifier_archINS1_11comp_targetILNS1_3genE3ELNS1_11target_archE908ELNS1_3gpuE7ELNS1_3repE0EEES8_NS0_14default_configES9_NS1_37merge_sort_block_sort_config_selectorIlNS0_10empty_typeEEENS1_38merge_sort_block_merge_config_selectorIlSB_EEEEvv: ; @_ZN7rocprim17ROCPRIM_400000_NS6detail44device_merge_sort_compile_time_verifier_archINS1_11comp_targetILNS1_3genE3ELNS1_11target_archE908ELNS1_3gpuE7ELNS1_3repE0EEES8_NS0_14default_configES9_NS1_37merge_sort_block_sort_config_selectorIlNS0_10empty_typeEEENS1_38merge_sort_block_merge_config_selectorIlSB_EEEEvv
; %bb.0:
	s_endpgm
	.section	.rodata,"a",@progbits
	.p2align	6, 0x0
	.amdhsa_kernel _ZN7rocprim17ROCPRIM_400000_NS6detail44device_merge_sort_compile_time_verifier_archINS1_11comp_targetILNS1_3genE3ELNS1_11target_archE908ELNS1_3gpuE7ELNS1_3repE0EEES8_NS0_14default_configES9_NS1_37merge_sort_block_sort_config_selectorIlNS0_10empty_typeEEENS1_38merge_sort_block_merge_config_selectorIlSB_EEEEvv
		.amdhsa_group_segment_fixed_size 0
		.amdhsa_private_segment_fixed_size 0
		.amdhsa_kernarg_size 0
		.amdhsa_user_sgpr_count 4
		.amdhsa_user_sgpr_private_segment_buffer 1
		.amdhsa_user_sgpr_dispatch_ptr 0
		.amdhsa_user_sgpr_queue_ptr 0
		.amdhsa_user_sgpr_kernarg_segment_ptr 0
		.amdhsa_user_sgpr_dispatch_id 0
		.amdhsa_user_sgpr_flat_scratch_init 0
		.amdhsa_user_sgpr_kernarg_preload_length 0
		.amdhsa_user_sgpr_kernarg_preload_offset 0
		.amdhsa_user_sgpr_private_segment_size 0
		.amdhsa_uses_dynamic_stack 0
		.amdhsa_system_sgpr_private_segment_wavefront_offset 0
		.amdhsa_system_sgpr_workgroup_id_x 1
		.amdhsa_system_sgpr_workgroup_id_y 0
		.amdhsa_system_sgpr_workgroup_id_z 0
		.amdhsa_system_sgpr_workgroup_info 0
		.amdhsa_system_vgpr_workitem_id 0
		.amdhsa_next_free_vgpr 1
		.amdhsa_next_free_sgpr 0
		.amdhsa_accum_offset 4
		.amdhsa_reserve_vcc 0
		.amdhsa_reserve_flat_scratch 0
		.amdhsa_float_round_mode_32 0
		.amdhsa_float_round_mode_16_64 0
		.amdhsa_float_denorm_mode_32 3
		.amdhsa_float_denorm_mode_16_64 3
		.amdhsa_dx10_clamp 1
		.amdhsa_ieee_mode 1
		.amdhsa_fp16_overflow 0
		.amdhsa_tg_split 0
		.amdhsa_exception_fp_ieee_invalid_op 0
		.amdhsa_exception_fp_denorm_src 0
		.amdhsa_exception_fp_ieee_div_zero 0
		.amdhsa_exception_fp_ieee_overflow 0
		.amdhsa_exception_fp_ieee_underflow 0
		.amdhsa_exception_fp_ieee_inexact 0
		.amdhsa_exception_int_div_zero 0
	.end_amdhsa_kernel
	.section	.text._ZN7rocprim17ROCPRIM_400000_NS6detail44device_merge_sort_compile_time_verifier_archINS1_11comp_targetILNS1_3genE3ELNS1_11target_archE908ELNS1_3gpuE7ELNS1_3repE0EEES8_NS0_14default_configES9_NS1_37merge_sort_block_sort_config_selectorIlNS0_10empty_typeEEENS1_38merge_sort_block_merge_config_selectorIlSB_EEEEvv,"axG",@progbits,_ZN7rocprim17ROCPRIM_400000_NS6detail44device_merge_sort_compile_time_verifier_archINS1_11comp_targetILNS1_3genE3ELNS1_11target_archE908ELNS1_3gpuE7ELNS1_3repE0EEES8_NS0_14default_configES9_NS1_37merge_sort_block_sort_config_selectorIlNS0_10empty_typeEEENS1_38merge_sort_block_merge_config_selectorIlSB_EEEEvv,comdat
.Lfunc_end3:
	.size	_ZN7rocprim17ROCPRIM_400000_NS6detail44device_merge_sort_compile_time_verifier_archINS1_11comp_targetILNS1_3genE3ELNS1_11target_archE908ELNS1_3gpuE7ELNS1_3repE0EEES8_NS0_14default_configES9_NS1_37merge_sort_block_sort_config_selectorIlNS0_10empty_typeEEENS1_38merge_sort_block_merge_config_selectorIlSB_EEEEvv, .Lfunc_end3-_ZN7rocprim17ROCPRIM_400000_NS6detail44device_merge_sort_compile_time_verifier_archINS1_11comp_targetILNS1_3genE3ELNS1_11target_archE908ELNS1_3gpuE7ELNS1_3repE0EEES8_NS0_14default_configES9_NS1_37merge_sort_block_sort_config_selectorIlNS0_10empty_typeEEENS1_38merge_sort_block_merge_config_selectorIlSB_EEEEvv
                                        ; -- End function
	.section	.AMDGPU.csdata,"",@progbits
; Kernel info:
; codeLenInByte = 4
; NumSgprs: 4
; NumVgprs: 0
; NumAgprs: 0
; TotalNumVgprs: 0
; ScratchSize: 0
; MemoryBound: 0
; FloatMode: 240
; IeeeMode: 1
; LDSByteSize: 0 bytes/workgroup (compile time only)
; SGPRBlocks: 0
; VGPRBlocks: 0
; NumSGPRsForWavesPerEU: 4
; NumVGPRsForWavesPerEU: 1
; AccumOffset: 4
; Occupancy: 8
; WaveLimiterHint : 0
; COMPUTE_PGM_RSRC2:SCRATCH_EN: 0
; COMPUTE_PGM_RSRC2:USER_SGPR: 4
; COMPUTE_PGM_RSRC2:TRAP_HANDLER: 0
; COMPUTE_PGM_RSRC2:TGID_X_EN: 1
; COMPUTE_PGM_RSRC2:TGID_Y_EN: 0
; COMPUTE_PGM_RSRC2:TGID_Z_EN: 0
; COMPUTE_PGM_RSRC2:TIDIG_COMP_CNT: 0
; COMPUTE_PGM_RSRC3_GFX90A:ACCUM_OFFSET: 0
; COMPUTE_PGM_RSRC3_GFX90A:TG_SPLIT: 0
	.section	.text._ZN7rocprim17ROCPRIM_400000_NS6detail44device_merge_sort_compile_time_verifier_archINS1_11comp_targetILNS1_3genE2ELNS1_11target_archE906ELNS1_3gpuE6ELNS1_3repE0EEES8_NS0_14default_configES9_NS1_37merge_sort_block_sort_config_selectorIlNS0_10empty_typeEEENS1_38merge_sort_block_merge_config_selectorIlSB_EEEEvv,"axG",@progbits,_ZN7rocprim17ROCPRIM_400000_NS6detail44device_merge_sort_compile_time_verifier_archINS1_11comp_targetILNS1_3genE2ELNS1_11target_archE906ELNS1_3gpuE6ELNS1_3repE0EEES8_NS0_14default_configES9_NS1_37merge_sort_block_sort_config_selectorIlNS0_10empty_typeEEENS1_38merge_sort_block_merge_config_selectorIlSB_EEEEvv,comdat
	.protected	_ZN7rocprim17ROCPRIM_400000_NS6detail44device_merge_sort_compile_time_verifier_archINS1_11comp_targetILNS1_3genE2ELNS1_11target_archE906ELNS1_3gpuE6ELNS1_3repE0EEES8_NS0_14default_configES9_NS1_37merge_sort_block_sort_config_selectorIlNS0_10empty_typeEEENS1_38merge_sort_block_merge_config_selectorIlSB_EEEEvv ; -- Begin function _ZN7rocprim17ROCPRIM_400000_NS6detail44device_merge_sort_compile_time_verifier_archINS1_11comp_targetILNS1_3genE2ELNS1_11target_archE906ELNS1_3gpuE6ELNS1_3repE0EEES8_NS0_14default_configES9_NS1_37merge_sort_block_sort_config_selectorIlNS0_10empty_typeEEENS1_38merge_sort_block_merge_config_selectorIlSB_EEEEvv
	.globl	_ZN7rocprim17ROCPRIM_400000_NS6detail44device_merge_sort_compile_time_verifier_archINS1_11comp_targetILNS1_3genE2ELNS1_11target_archE906ELNS1_3gpuE6ELNS1_3repE0EEES8_NS0_14default_configES9_NS1_37merge_sort_block_sort_config_selectorIlNS0_10empty_typeEEENS1_38merge_sort_block_merge_config_selectorIlSB_EEEEvv
	.p2align	8
	.type	_ZN7rocprim17ROCPRIM_400000_NS6detail44device_merge_sort_compile_time_verifier_archINS1_11comp_targetILNS1_3genE2ELNS1_11target_archE906ELNS1_3gpuE6ELNS1_3repE0EEES8_NS0_14default_configES9_NS1_37merge_sort_block_sort_config_selectorIlNS0_10empty_typeEEENS1_38merge_sort_block_merge_config_selectorIlSB_EEEEvv,@function
_ZN7rocprim17ROCPRIM_400000_NS6detail44device_merge_sort_compile_time_verifier_archINS1_11comp_targetILNS1_3genE2ELNS1_11target_archE906ELNS1_3gpuE6ELNS1_3repE0EEES8_NS0_14default_configES9_NS1_37merge_sort_block_sort_config_selectorIlNS0_10empty_typeEEENS1_38merge_sort_block_merge_config_selectorIlSB_EEEEvv: ; @_ZN7rocprim17ROCPRIM_400000_NS6detail44device_merge_sort_compile_time_verifier_archINS1_11comp_targetILNS1_3genE2ELNS1_11target_archE906ELNS1_3gpuE6ELNS1_3repE0EEES8_NS0_14default_configES9_NS1_37merge_sort_block_sort_config_selectorIlNS0_10empty_typeEEENS1_38merge_sort_block_merge_config_selectorIlSB_EEEEvv
; %bb.0:
	s_endpgm
	.section	.rodata,"a",@progbits
	.p2align	6, 0x0
	.amdhsa_kernel _ZN7rocprim17ROCPRIM_400000_NS6detail44device_merge_sort_compile_time_verifier_archINS1_11comp_targetILNS1_3genE2ELNS1_11target_archE906ELNS1_3gpuE6ELNS1_3repE0EEES8_NS0_14default_configES9_NS1_37merge_sort_block_sort_config_selectorIlNS0_10empty_typeEEENS1_38merge_sort_block_merge_config_selectorIlSB_EEEEvv
		.amdhsa_group_segment_fixed_size 0
		.amdhsa_private_segment_fixed_size 0
		.amdhsa_kernarg_size 0
		.amdhsa_user_sgpr_count 4
		.amdhsa_user_sgpr_private_segment_buffer 1
		.amdhsa_user_sgpr_dispatch_ptr 0
		.amdhsa_user_sgpr_queue_ptr 0
		.amdhsa_user_sgpr_kernarg_segment_ptr 0
		.amdhsa_user_sgpr_dispatch_id 0
		.amdhsa_user_sgpr_flat_scratch_init 0
		.amdhsa_user_sgpr_kernarg_preload_length 0
		.amdhsa_user_sgpr_kernarg_preload_offset 0
		.amdhsa_user_sgpr_private_segment_size 0
		.amdhsa_uses_dynamic_stack 0
		.amdhsa_system_sgpr_private_segment_wavefront_offset 0
		.amdhsa_system_sgpr_workgroup_id_x 1
		.amdhsa_system_sgpr_workgroup_id_y 0
		.amdhsa_system_sgpr_workgroup_id_z 0
		.amdhsa_system_sgpr_workgroup_info 0
		.amdhsa_system_vgpr_workitem_id 0
		.amdhsa_next_free_vgpr 1
		.amdhsa_next_free_sgpr 0
		.amdhsa_accum_offset 4
		.amdhsa_reserve_vcc 0
		.amdhsa_reserve_flat_scratch 0
		.amdhsa_float_round_mode_32 0
		.amdhsa_float_round_mode_16_64 0
		.amdhsa_float_denorm_mode_32 3
		.amdhsa_float_denorm_mode_16_64 3
		.amdhsa_dx10_clamp 1
		.amdhsa_ieee_mode 1
		.amdhsa_fp16_overflow 0
		.amdhsa_tg_split 0
		.amdhsa_exception_fp_ieee_invalid_op 0
		.amdhsa_exception_fp_denorm_src 0
		.amdhsa_exception_fp_ieee_div_zero 0
		.amdhsa_exception_fp_ieee_overflow 0
		.amdhsa_exception_fp_ieee_underflow 0
		.amdhsa_exception_fp_ieee_inexact 0
		.amdhsa_exception_int_div_zero 0
	.end_amdhsa_kernel
	.section	.text._ZN7rocprim17ROCPRIM_400000_NS6detail44device_merge_sort_compile_time_verifier_archINS1_11comp_targetILNS1_3genE2ELNS1_11target_archE906ELNS1_3gpuE6ELNS1_3repE0EEES8_NS0_14default_configES9_NS1_37merge_sort_block_sort_config_selectorIlNS0_10empty_typeEEENS1_38merge_sort_block_merge_config_selectorIlSB_EEEEvv,"axG",@progbits,_ZN7rocprim17ROCPRIM_400000_NS6detail44device_merge_sort_compile_time_verifier_archINS1_11comp_targetILNS1_3genE2ELNS1_11target_archE906ELNS1_3gpuE6ELNS1_3repE0EEES8_NS0_14default_configES9_NS1_37merge_sort_block_sort_config_selectorIlNS0_10empty_typeEEENS1_38merge_sort_block_merge_config_selectorIlSB_EEEEvv,comdat
.Lfunc_end4:
	.size	_ZN7rocprim17ROCPRIM_400000_NS6detail44device_merge_sort_compile_time_verifier_archINS1_11comp_targetILNS1_3genE2ELNS1_11target_archE906ELNS1_3gpuE6ELNS1_3repE0EEES8_NS0_14default_configES9_NS1_37merge_sort_block_sort_config_selectorIlNS0_10empty_typeEEENS1_38merge_sort_block_merge_config_selectorIlSB_EEEEvv, .Lfunc_end4-_ZN7rocprim17ROCPRIM_400000_NS6detail44device_merge_sort_compile_time_verifier_archINS1_11comp_targetILNS1_3genE2ELNS1_11target_archE906ELNS1_3gpuE6ELNS1_3repE0EEES8_NS0_14default_configES9_NS1_37merge_sort_block_sort_config_selectorIlNS0_10empty_typeEEENS1_38merge_sort_block_merge_config_selectorIlSB_EEEEvv
                                        ; -- End function
	.section	.AMDGPU.csdata,"",@progbits
; Kernel info:
; codeLenInByte = 4
; NumSgprs: 4
; NumVgprs: 0
; NumAgprs: 0
; TotalNumVgprs: 0
; ScratchSize: 0
; MemoryBound: 0
; FloatMode: 240
; IeeeMode: 1
; LDSByteSize: 0 bytes/workgroup (compile time only)
; SGPRBlocks: 0
; VGPRBlocks: 0
; NumSGPRsForWavesPerEU: 4
; NumVGPRsForWavesPerEU: 1
; AccumOffset: 4
; Occupancy: 8
; WaveLimiterHint : 0
; COMPUTE_PGM_RSRC2:SCRATCH_EN: 0
; COMPUTE_PGM_RSRC2:USER_SGPR: 4
; COMPUTE_PGM_RSRC2:TRAP_HANDLER: 0
; COMPUTE_PGM_RSRC2:TGID_X_EN: 1
; COMPUTE_PGM_RSRC2:TGID_Y_EN: 0
; COMPUTE_PGM_RSRC2:TGID_Z_EN: 0
; COMPUTE_PGM_RSRC2:TIDIG_COMP_CNT: 0
; COMPUTE_PGM_RSRC3_GFX90A:ACCUM_OFFSET: 0
; COMPUTE_PGM_RSRC3_GFX90A:TG_SPLIT: 0
	.section	.text._ZN7rocprim17ROCPRIM_400000_NS6detail44device_merge_sort_compile_time_verifier_archINS1_11comp_targetILNS1_3genE10ELNS1_11target_archE1201ELNS1_3gpuE5ELNS1_3repE0EEES8_NS0_14default_configES9_NS1_37merge_sort_block_sort_config_selectorIlNS0_10empty_typeEEENS1_38merge_sort_block_merge_config_selectorIlSB_EEEEvv,"axG",@progbits,_ZN7rocprim17ROCPRIM_400000_NS6detail44device_merge_sort_compile_time_verifier_archINS1_11comp_targetILNS1_3genE10ELNS1_11target_archE1201ELNS1_3gpuE5ELNS1_3repE0EEES8_NS0_14default_configES9_NS1_37merge_sort_block_sort_config_selectorIlNS0_10empty_typeEEENS1_38merge_sort_block_merge_config_selectorIlSB_EEEEvv,comdat
	.protected	_ZN7rocprim17ROCPRIM_400000_NS6detail44device_merge_sort_compile_time_verifier_archINS1_11comp_targetILNS1_3genE10ELNS1_11target_archE1201ELNS1_3gpuE5ELNS1_3repE0EEES8_NS0_14default_configES9_NS1_37merge_sort_block_sort_config_selectorIlNS0_10empty_typeEEENS1_38merge_sort_block_merge_config_selectorIlSB_EEEEvv ; -- Begin function _ZN7rocprim17ROCPRIM_400000_NS6detail44device_merge_sort_compile_time_verifier_archINS1_11comp_targetILNS1_3genE10ELNS1_11target_archE1201ELNS1_3gpuE5ELNS1_3repE0EEES8_NS0_14default_configES9_NS1_37merge_sort_block_sort_config_selectorIlNS0_10empty_typeEEENS1_38merge_sort_block_merge_config_selectorIlSB_EEEEvv
	.globl	_ZN7rocprim17ROCPRIM_400000_NS6detail44device_merge_sort_compile_time_verifier_archINS1_11comp_targetILNS1_3genE10ELNS1_11target_archE1201ELNS1_3gpuE5ELNS1_3repE0EEES8_NS0_14default_configES9_NS1_37merge_sort_block_sort_config_selectorIlNS0_10empty_typeEEENS1_38merge_sort_block_merge_config_selectorIlSB_EEEEvv
	.p2align	8
	.type	_ZN7rocprim17ROCPRIM_400000_NS6detail44device_merge_sort_compile_time_verifier_archINS1_11comp_targetILNS1_3genE10ELNS1_11target_archE1201ELNS1_3gpuE5ELNS1_3repE0EEES8_NS0_14default_configES9_NS1_37merge_sort_block_sort_config_selectorIlNS0_10empty_typeEEENS1_38merge_sort_block_merge_config_selectorIlSB_EEEEvv,@function
_ZN7rocprim17ROCPRIM_400000_NS6detail44device_merge_sort_compile_time_verifier_archINS1_11comp_targetILNS1_3genE10ELNS1_11target_archE1201ELNS1_3gpuE5ELNS1_3repE0EEES8_NS0_14default_configES9_NS1_37merge_sort_block_sort_config_selectorIlNS0_10empty_typeEEENS1_38merge_sort_block_merge_config_selectorIlSB_EEEEvv: ; @_ZN7rocprim17ROCPRIM_400000_NS6detail44device_merge_sort_compile_time_verifier_archINS1_11comp_targetILNS1_3genE10ELNS1_11target_archE1201ELNS1_3gpuE5ELNS1_3repE0EEES8_NS0_14default_configES9_NS1_37merge_sort_block_sort_config_selectorIlNS0_10empty_typeEEENS1_38merge_sort_block_merge_config_selectorIlSB_EEEEvv
; %bb.0:
	s_endpgm
	.section	.rodata,"a",@progbits
	.p2align	6, 0x0
	.amdhsa_kernel _ZN7rocprim17ROCPRIM_400000_NS6detail44device_merge_sort_compile_time_verifier_archINS1_11comp_targetILNS1_3genE10ELNS1_11target_archE1201ELNS1_3gpuE5ELNS1_3repE0EEES8_NS0_14default_configES9_NS1_37merge_sort_block_sort_config_selectorIlNS0_10empty_typeEEENS1_38merge_sort_block_merge_config_selectorIlSB_EEEEvv
		.amdhsa_group_segment_fixed_size 0
		.amdhsa_private_segment_fixed_size 0
		.amdhsa_kernarg_size 0
		.amdhsa_user_sgpr_count 4
		.amdhsa_user_sgpr_private_segment_buffer 1
		.amdhsa_user_sgpr_dispatch_ptr 0
		.amdhsa_user_sgpr_queue_ptr 0
		.amdhsa_user_sgpr_kernarg_segment_ptr 0
		.amdhsa_user_sgpr_dispatch_id 0
		.amdhsa_user_sgpr_flat_scratch_init 0
		.amdhsa_user_sgpr_kernarg_preload_length 0
		.amdhsa_user_sgpr_kernarg_preload_offset 0
		.amdhsa_user_sgpr_private_segment_size 0
		.amdhsa_uses_dynamic_stack 0
		.amdhsa_system_sgpr_private_segment_wavefront_offset 0
		.amdhsa_system_sgpr_workgroup_id_x 1
		.amdhsa_system_sgpr_workgroup_id_y 0
		.amdhsa_system_sgpr_workgroup_id_z 0
		.amdhsa_system_sgpr_workgroup_info 0
		.amdhsa_system_vgpr_workitem_id 0
		.amdhsa_next_free_vgpr 1
		.amdhsa_next_free_sgpr 0
		.amdhsa_accum_offset 4
		.amdhsa_reserve_vcc 0
		.amdhsa_reserve_flat_scratch 0
		.amdhsa_float_round_mode_32 0
		.amdhsa_float_round_mode_16_64 0
		.amdhsa_float_denorm_mode_32 3
		.amdhsa_float_denorm_mode_16_64 3
		.amdhsa_dx10_clamp 1
		.amdhsa_ieee_mode 1
		.amdhsa_fp16_overflow 0
		.amdhsa_tg_split 0
		.amdhsa_exception_fp_ieee_invalid_op 0
		.amdhsa_exception_fp_denorm_src 0
		.amdhsa_exception_fp_ieee_div_zero 0
		.amdhsa_exception_fp_ieee_overflow 0
		.amdhsa_exception_fp_ieee_underflow 0
		.amdhsa_exception_fp_ieee_inexact 0
		.amdhsa_exception_int_div_zero 0
	.end_amdhsa_kernel
	.section	.text._ZN7rocprim17ROCPRIM_400000_NS6detail44device_merge_sort_compile_time_verifier_archINS1_11comp_targetILNS1_3genE10ELNS1_11target_archE1201ELNS1_3gpuE5ELNS1_3repE0EEES8_NS0_14default_configES9_NS1_37merge_sort_block_sort_config_selectorIlNS0_10empty_typeEEENS1_38merge_sort_block_merge_config_selectorIlSB_EEEEvv,"axG",@progbits,_ZN7rocprim17ROCPRIM_400000_NS6detail44device_merge_sort_compile_time_verifier_archINS1_11comp_targetILNS1_3genE10ELNS1_11target_archE1201ELNS1_3gpuE5ELNS1_3repE0EEES8_NS0_14default_configES9_NS1_37merge_sort_block_sort_config_selectorIlNS0_10empty_typeEEENS1_38merge_sort_block_merge_config_selectorIlSB_EEEEvv,comdat
.Lfunc_end5:
	.size	_ZN7rocprim17ROCPRIM_400000_NS6detail44device_merge_sort_compile_time_verifier_archINS1_11comp_targetILNS1_3genE10ELNS1_11target_archE1201ELNS1_3gpuE5ELNS1_3repE0EEES8_NS0_14default_configES9_NS1_37merge_sort_block_sort_config_selectorIlNS0_10empty_typeEEENS1_38merge_sort_block_merge_config_selectorIlSB_EEEEvv, .Lfunc_end5-_ZN7rocprim17ROCPRIM_400000_NS6detail44device_merge_sort_compile_time_verifier_archINS1_11comp_targetILNS1_3genE10ELNS1_11target_archE1201ELNS1_3gpuE5ELNS1_3repE0EEES8_NS0_14default_configES9_NS1_37merge_sort_block_sort_config_selectorIlNS0_10empty_typeEEENS1_38merge_sort_block_merge_config_selectorIlSB_EEEEvv
                                        ; -- End function
	.section	.AMDGPU.csdata,"",@progbits
; Kernel info:
; codeLenInByte = 4
; NumSgprs: 4
; NumVgprs: 0
; NumAgprs: 0
; TotalNumVgprs: 0
; ScratchSize: 0
; MemoryBound: 0
; FloatMode: 240
; IeeeMode: 1
; LDSByteSize: 0 bytes/workgroup (compile time only)
; SGPRBlocks: 0
; VGPRBlocks: 0
; NumSGPRsForWavesPerEU: 4
; NumVGPRsForWavesPerEU: 1
; AccumOffset: 4
; Occupancy: 8
; WaveLimiterHint : 0
; COMPUTE_PGM_RSRC2:SCRATCH_EN: 0
; COMPUTE_PGM_RSRC2:USER_SGPR: 4
; COMPUTE_PGM_RSRC2:TRAP_HANDLER: 0
; COMPUTE_PGM_RSRC2:TGID_X_EN: 1
; COMPUTE_PGM_RSRC2:TGID_Y_EN: 0
; COMPUTE_PGM_RSRC2:TGID_Z_EN: 0
; COMPUTE_PGM_RSRC2:TIDIG_COMP_CNT: 0
; COMPUTE_PGM_RSRC3_GFX90A:ACCUM_OFFSET: 0
; COMPUTE_PGM_RSRC3_GFX90A:TG_SPLIT: 0
	.section	.text._ZN7rocprim17ROCPRIM_400000_NS6detail44device_merge_sort_compile_time_verifier_archINS1_11comp_targetILNS1_3genE10ELNS1_11target_archE1200ELNS1_3gpuE4ELNS1_3repE0EEENS3_ILS4_10ELS5_1201ELS6_5ELS7_0EEENS0_14default_configESA_NS1_37merge_sort_block_sort_config_selectorIlNS0_10empty_typeEEENS1_38merge_sort_block_merge_config_selectorIlSC_EEEEvv,"axG",@progbits,_ZN7rocprim17ROCPRIM_400000_NS6detail44device_merge_sort_compile_time_verifier_archINS1_11comp_targetILNS1_3genE10ELNS1_11target_archE1200ELNS1_3gpuE4ELNS1_3repE0EEENS3_ILS4_10ELS5_1201ELS6_5ELS7_0EEENS0_14default_configESA_NS1_37merge_sort_block_sort_config_selectorIlNS0_10empty_typeEEENS1_38merge_sort_block_merge_config_selectorIlSC_EEEEvv,comdat
	.protected	_ZN7rocprim17ROCPRIM_400000_NS6detail44device_merge_sort_compile_time_verifier_archINS1_11comp_targetILNS1_3genE10ELNS1_11target_archE1200ELNS1_3gpuE4ELNS1_3repE0EEENS3_ILS4_10ELS5_1201ELS6_5ELS7_0EEENS0_14default_configESA_NS1_37merge_sort_block_sort_config_selectorIlNS0_10empty_typeEEENS1_38merge_sort_block_merge_config_selectorIlSC_EEEEvv ; -- Begin function _ZN7rocprim17ROCPRIM_400000_NS6detail44device_merge_sort_compile_time_verifier_archINS1_11comp_targetILNS1_3genE10ELNS1_11target_archE1200ELNS1_3gpuE4ELNS1_3repE0EEENS3_ILS4_10ELS5_1201ELS6_5ELS7_0EEENS0_14default_configESA_NS1_37merge_sort_block_sort_config_selectorIlNS0_10empty_typeEEENS1_38merge_sort_block_merge_config_selectorIlSC_EEEEvv
	.globl	_ZN7rocprim17ROCPRIM_400000_NS6detail44device_merge_sort_compile_time_verifier_archINS1_11comp_targetILNS1_3genE10ELNS1_11target_archE1200ELNS1_3gpuE4ELNS1_3repE0EEENS3_ILS4_10ELS5_1201ELS6_5ELS7_0EEENS0_14default_configESA_NS1_37merge_sort_block_sort_config_selectorIlNS0_10empty_typeEEENS1_38merge_sort_block_merge_config_selectorIlSC_EEEEvv
	.p2align	8
	.type	_ZN7rocprim17ROCPRIM_400000_NS6detail44device_merge_sort_compile_time_verifier_archINS1_11comp_targetILNS1_3genE10ELNS1_11target_archE1200ELNS1_3gpuE4ELNS1_3repE0EEENS3_ILS4_10ELS5_1201ELS6_5ELS7_0EEENS0_14default_configESA_NS1_37merge_sort_block_sort_config_selectorIlNS0_10empty_typeEEENS1_38merge_sort_block_merge_config_selectorIlSC_EEEEvv,@function
_ZN7rocprim17ROCPRIM_400000_NS6detail44device_merge_sort_compile_time_verifier_archINS1_11comp_targetILNS1_3genE10ELNS1_11target_archE1200ELNS1_3gpuE4ELNS1_3repE0EEENS3_ILS4_10ELS5_1201ELS6_5ELS7_0EEENS0_14default_configESA_NS1_37merge_sort_block_sort_config_selectorIlNS0_10empty_typeEEENS1_38merge_sort_block_merge_config_selectorIlSC_EEEEvv: ; @_ZN7rocprim17ROCPRIM_400000_NS6detail44device_merge_sort_compile_time_verifier_archINS1_11comp_targetILNS1_3genE10ELNS1_11target_archE1200ELNS1_3gpuE4ELNS1_3repE0EEENS3_ILS4_10ELS5_1201ELS6_5ELS7_0EEENS0_14default_configESA_NS1_37merge_sort_block_sort_config_selectorIlNS0_10empty_typeEEENS1_38merge_sort_block_merge_config_selectorIlSC_EEEEvv
; %bb.0:
	s_endpgm
	.section	.rodata,"a",@progbits
	.p2align	6, 0x0
	.amdhsa_kernel _ZN7rocprim17ROCPRIM_400000_NS6detail44device_merge_sort_compile_time_verifier_archINS1_11comp_targetILNS1_3genE10ELNS1_11target_archE1200ELNS1_3gpuE4ELNS1_3repE0EEENS3_ILS4_10ELS5_1201ELS6_5ELS7_0EEENS0_14default_configESA_NS1_37merge_sort_block_sort_config_selectorIlNS0_10empty_typeEEENS1_38merge_sort_block_merge_config_selectorIlSC_EEEEvv
		.amdhsa_group_segment_fixed_size 0
		.amdhsa_private_segment_fixed_size 0
		.amdhsa_kernarg_size 0
		.amdhsa_user_sgpr_count 4
		.amdhsa_user_sgpr_private_segment_buffer 1
		.amdhsa_user_sgpr_dispatch_ptr 0
		.amdhsa_user_sgpr_queue_ptr 0
		.amdhsa_user_sgpr_kernarg_segment_ptr 0
		.amdhsa_user_sgpr_dispatch_id 0
		.amdhsa_user_sgpr_flat_scratch_init 0
		.amdhsa_user_sgpr_kernarg_preload_length 0
		.amdhsa_user_sgpr_kernarg_preload_offset 0
		.amdhsa_user_sgpr_private_segment_size 0
		.amdhsa_uses_dynamic_stack 0
		.amdhsa_system_sgpr_private_segment_wavefront_offset 0
		.amdhsa_system_sgpr_workgroup_id_x 1
		.amdhsa_system_sgpr_workgroup_id_y 0
		.amdhsa_system_sgpr_workgroup_id_z 0
		.amdhsa_system_sgpr_workgroup_info 0
		.amdhsa_system_vgpr_workitem_id 0
		.amdhsa_next_free_vgpr 1
		.amdhsa_next_free_sgpr 0
		.amdhsa_accum_offset 4
		.amdhsa_reserve_vcc 0
		.amdhsa_reserve_flat_scratch 0
		.amdhsa_float_round_mode_32 0
		.amdhsa_float_round_mode_16_64 0
		.amdhsa_float_denorm_mode_32 3
		.amdhsa_float_denorm_mode_16_64 3
		.amdhsa_dx10_clamp 1
		.amdhsa_ieee_mode 1
		.amdhsa_fp16_overflow 0
		.amdhsa_tg_split 0
		.amdhsa_exception_fp_ieee_invalid_op 0
		.amdhsa_exception_fp_denorm_src 0
		.amdhsa_exception_fp_ieee_div_zero 0
		.amdhsa_exception_fp_ieee_overflow 0
		.amdhsa_exception_fp_ieee_underflow 0
		.amdhsa_exception_fp_ieee_inexact 0
		.amdhsa_exception_int_div_zero 0
	.end_amdhsa_kernel
	.section	.text._ZN7rocprim17ROCPRIM_400000_NS6detail44device_merge_sort_compile_time_verifier_archINS1_11comp_targetILNS1_3genE10ELNS1_11target_archE1200ELNS1_3gpuE4ELNS1_3repE0EEENS3_ILS4_10ELS5_1201ELS6_5ELS7_0EEENS0_14default_configESA_NS1_37merge_sort_block_sort_config_selectorIlNS0_10empty_typeEEENS1_38merge_sort_block_merge_config_selectorIlSC_EEEEvv,"axG",@progbits,_ZN7rocprim17ROCPRIM_400000_NS6detail44device_merge_sort_compile_time_verifier_archINS1_11comp_targetILNS1_3genE10ELNS1_11target_archE1200ELNS1_3gpuE4ELNS1_3repE0EEENS3_ILS4_10ELS5_1201ELS6_5ELS7_0EEENS0_14default_configESA_NS1_37merge_sort_block_sort_config_selectorIlNS0_10empty_typeEEENS1_38merge_sort_block_merge_config_selectorIlSC_EEEEvv,comdat
.Lfunc_end6:
	.size	_ZN7rocprim17ROCPRIM_400000_NS6detail44device_merge_sort_compile_time_verifier_archINS1_11comp_targetILNS1_3genE10ELNS1_11target_archE1200ELNS1_3gpuE4ELNS1_3repE0EEENS3_ILS4_10ELS5_1201ELS6_5ELS7_0EEENS0_14default_configESA_NS1_37merge_sort_block_sort_config_selectorIlNS0_10empty_typeEEENS1_38merge_sort_block_merge_config_selectorIlSC_EEEEvv, .Lfunc_end6-_ZN7rocprim17ROCPRIM_400000_NS6detail44device_merge_sort_compile_time_verifier_archINS1_11comp_targetILNS1_3genE10ELNS1_11target_archE1200ELNS1_3gpuE4ELNS1_3repE0EEENS3_ILS4_10ELS5_1201ELS6_5ELS7_0EEENS0_14default_configESA_NS1_37merge_sort_block_sort_config_selectorIlNS0_10empty_typeEEENS1_38merge_sort_block_merge_config_selectorIlSC_EEEEvv
                                        ; -- End function
	.section	.AMDGPU.csdata,"",@progbits
; Kernel info:
; codeLenInByte = 4
; NumSgprs: 4
; NumVgprs: 0
; NumAgprs: 0
; TotalNumVgprs: 0
; ScratchSize: 0
; MemoryBound: 0
; FloatMode: 240
; IeeeMode: 1
; LDSByteSize: 0 bytes/workgroup (compile time only)
; SGPRBlocks: 0
; VGPRBlocks: 0
; NumSGPRsForWavesPerEU: 4
; NumVGPRsForWavesPerEU: 1
; AccumOffset: 4
; Occupancy: 8
; WaveLimiterHint : 0
; COMPUTE_PGM_RSRC2:SCRATCH_EN: 0
; COMPUTE_PGM_RSRC2:USER_SGPR: 4
; COMPUTE_PGM_RSRC2:TRAP_HANDLER: 0
; COMPUTE_PGM_RSRC2:TGID_X_EN: 1
; COMPUTE_PGM_RSRC2:TGID_Y_EN: 0
; COMPUTE_PGM_RSRC2:TGID_Z_EN: 0
; COMPUTE_PGM_RSRC2:TIDIG_COMP_CNT: 0
; COMPUTE_PGM_RSRC3_GFX90A:ACCUM_OFFSET: 0
; COMPUTE_PGM_RSRC3_GFX90A:TG_SPLIT: 0
	.section	.text._ZN7rocprim17ROCPRIM_400000_NS6detail44device_merge_sort_compile_time_verifier_archINS1_11comp_targetILNS1_3genE9ELNS1_11target_archE1100ELNS1_3gpuE3ELNS1_3repE0EEES8_NS0_14default_configES9_NS1_37merge_sort_block_sort_config_selectorIlNS0_10empty_typeEEENS1_38merge_sort_block_merge_config_selectorIlSB_EEEEvv,"axG",@progbits,_ZN7rocprim17ROCPRIM_400000_NS6detail44device_merge_sort_compile_time_verifier_archINS1_11comp_targetILNS1_3genE9ELNS1_11target_archE1100ELNS1_3gpuE3ELNS1_3repE0EEES8_NS0_14default_configES9_NS1_37merge_sort_block_sort_config_selectorIlNS0_10empty_typeEEENS1_38merge_sort_block_merge_config_selectorIlSB_EEEEvv,comdat
	.protected	_ZN7rocprim17ROCPRIM_400000_NS6detail44device_merge_sort_compile_time_verifier_archINS1_11comp_targetILNS1_3genE9ELNS1_11target_archE1100ELNS1_3gpuE3ELNS1_3repE0EEES8_NS0_14default_configES9_NS1_37merge_sort_block_sort_config_selectorIlNS0_10empty_typeEEENS1_38merge_sort_block_merge_config_selectorIlSB_EEEEvv ; -- Begin function _ZN7rocprim17ROCPRIM_400000_NS6detail44device_merge_sort_compile_time_verifier_archINS1_11comp_targetILNS1_3genE9ELNS1_11target_archE1100ELNS1_3gpuE3ELNS1_3repE0EEES8_NS0_14default_configES9_NS1_37merge_sort_block_sort_config_selectorIlNS0_10empty_typeEEENS1_38merge_sort_block_merge_config_selectorIlSB_EEEEvv
	.globl	_ZN7rocprim17ROCPRIM_400000_NS6detail44device_merge_sort_compile_time_verifier_archINS1_11comp_targetILNS1_3genE9ELNS1_11target_archE1100ELNS1_3gpuE3ELNS1_3repE0EEES8_NS0_14default_configES9_NS1_37merge_sort_block_sort_config_selectorIlNS0_10empty_typeEEENS1_38merge_sort_block_merge_config_selectorIlSB_EEEEvv
	.p2align	8
	.type	_ZN7rocprim17ROCPRIM_400000_NS6detail44device_merge_sort_compile_time_verifier_archINS1_11comp_targetILNS1_3genE9ELNS1_11target_archE1100ELNS1_3gpuE3ELNS1_3repE0EEES8_NS0_14default_configES9_NS1_37merge_sort_block_sort_config_selectorIlNS0_10empty_typeEEENS1_38merge_sort_block_merge_config_selectorIlSB_EEEEvv,@function
_ZN7rocprim17ROCPRIM_400000_NS6detail44device_merge_sort_compile_time_verifier_archINS1_11comp_targetILNS1_3genE9ELNS1_11target_archE1100ELNS1_3gpuE3ELNS1_3repE0EEES8_NS0_14default_configES9_NS1_37merge_sort_block_sort_config_selectorIlNS0_10empty_typeEEENS1_38merge_sort_block_merge_config_selectorIlSB_EEEEvv: ; @_ZN7rocprim17ROCPRIM_400000_NS6detail44device_merge_sort_compile_time_verifier_archINS1_11comp_targetILNS1_3genE9ELNS1_11target_archE1100ELNS1_3gpuE3ELNS1_3repE0EEES8_NS0_14default_configES9_NS1_37merge_sort_block_sort_config_selectorIlNS0_10empty_typeEEENS1_38merge_sort_block_merge_config_selectorIlSB_EEEEvv
; %bb.0:
	s_endpgm
	.section	.rodata,"a",@progbits
	.p2align	6, 0x0
	.amdhsa_kernel _ZN7rocprim17ROCPRIM_400000_NS6detail44device_merge_sort_compile_time_verifier_archINS1_11comp_targetILNS1_3genE9ELNS1_11target_archE1100ELNS1_3gpuE3ELNS1_3repE0EEES8_NS0_14default_configES9_NS1_37merge_sort_block_sort_config_selectorIlNS0_10empty_typeEEENS1_38merge_sort_block_merge_config_selectorIlSB_EEEEvv
		.amdhsa_group_segment_fixed_size 0
		.amdhsa_private_segment_fixed_size 0
		.amdhsa_kernarg_size 0
		.amdhsa_user_sgpr_count 4
		.amdhsa_user_sgpr_private_segment_buffer 1
		.amdhsa_user_sgpr_dispatch_ptr 0
		.amdhsa_user_sgpr_queue_ptr 0
		.amdhsa_user_sgpr_kernarg_segment_ptr 0
		.amdhsa_user_sgpr_dispatch_id 0
		.amdhsa_user_sgpr_flat_scratch_init 0
		.amdhsa_user_sgpr_kernarg_preload_length 0
		.amdhsa_user_sgpr_kernarg_preload_offset 0
		.amdhsa_user_sgpr_private_segment_size 0
		.amdhsa_uses_dynamic_stack 0
		.amdhsa_system_sgpr_private_segment_wavefront_offset 0
		.amdhsa_system_sgpr_workgroup_id_x 1
		.amdhsa_system_sgpr_workgroup_id_y 0
		.amdhsa_system_sgpr_workgroup_id_z 0
		.amdhsa_system_sgpr_workgroup_info 0
		.amdhsa_system_vgpr_workitem_id 0
		.amdhsa_next_free_vgpr 1
		.amdhsa_next_free_sgpr 0
		.amdhsa_accum_offset 4
		.amdhsa_reserve_vcc 0
		.amdhsa_reserve_flat_scratch 0
		.amdhsa_float_round_mode_32 0
		.amdhsa_float_round_mode_16_64 0
		.amdhsa_float_denorm_mode_32 3
		.amdhsa_float_denorm_mode_16_64 3
		.amdhsa_dx10_clamp 1
		.amdhsa_ieee_mode 1
		.amdhsa_fp16_overflow 0
		.amdhsa_tg_split 0
		.amdhsa_exception_fp_ieee_invalid_op 0
		.amdhsa_exception_fp_denorm_src 0
		.amdhsa_exception_fp_ieee_div_zero 0
		.amdhsa_exception_fp_ieee_overflow 0
		.amdhsa_exception_fp_ieee_underflow 0
		.amdhsa_exception_fp_ieee_inexact 0
		.amdhsa_exception_int_div_zero 0
	.end_amdhsa_kernel
	.section	.text._ZN7rocprim17ROCPRIM_400000_NS6detail44device_merge_sort_compile_time_verifier_archINS1_11comp_targetILNS1_3genE9ELNS1_11target_archE1100ELNS1_3gpuE3ELNS1_3repE0EEES8_NS0_14default_configES9_NS1_37merge_sort_block_sort_config_selectorIlNS0_10empty_typeEEENS1_38merge_sort_block_merge_config_selectorIlSB_EEEEvv,"axG",@progbits,_ZN7rocprim17ROCPRIM_400000_NS6detail44device_merge_sort_compile_time_verifier_archINS1_11comp_targetILNS1_3genE9ELNS1_11target_archE1100ELNS1_3gpuE3ELNS1_3repE0EEES8_NS0_14default_configES9_NS1_37merge_sort_block_sort_config_selectorIlNS0_10empty_typeEEENS1_38merge_sort_block_merge_config_selectorIlSB_EEEEvv,comdat
.Lfunc_end7:
	.size	_ZN7rocprim17ROCPRIM_400000_NS6detail44device_merge_sort_compile_time_verifier_archINS1_11comp_targetILNS1_3genE9ELNS1_11target_archE1100ELNS1_3gpuE3ELNS1_3repE0EEES8_NS0_14default_configES9_NS1_37merge_sort_block_sort_config_selectorIlNS0_10empty_typeEEENS1_38merge_sort_block_merge_config_selectorIlSB_EEEEvv, .Lfunc_end7-_ZN7rocprim17ROCPRIM_400000_NS6detail44device_merge_sort_compile_time_verifier_archINS1_11comp_targetILNS1_3genE9ELNS1_11target_archE1100ELNS1_3gpuE3ELNS1_3repE0EEES8_NS0_14default_configES9_NS1_37merge_sort_block_sort_config_selectorIlNS0_10empty_typeEEENS1_38merge_sort_block_merge_config_selectorIlSB_EEEEvv
                                        ; -- End function
	.section	.AMDGPU.csdata,"",@progbits
; Kernel info:
; codeLenInByte = 4
; NumSgprs: 4
; NumVgprs: 0
; NumAgprs: 0
; TotalNumVgprs: 0
; ScratchSize: 0
; MemoryBound: 0
; FloatMode: 240
; IeeeMode: 1
; LDSByteSize: 0 bytes/workgroup (compile time only)
; SGPRBlocks: 0
; VGPRBlocks: 0
; NumSGPRsForWavesPerEU: 4
; NumVGPRsForWavesPerEU: 1
; AccumOffset: 4
; Occupancy: 8
; WaveLimiterHint : 0
; COMPUTE_PGM_RSRC2:SCRATCH_EN: 0
; COMPUTE_PGM_RSRC2:USER_SGPR: 4
; COMPUTE_PGM_RSRC2:TRAP_HANDLER: 0
; COMPUTE_PGM_RSRC2:TGID_X_EN: 1
; COMPUTE_PGM_RSRC2:TGID_Y_EN: 0
; COMPUTE_PGM_RSRC2:TGID_Z_EN: 0
; COMPUTE_PGM_RSRC2:TIDIG_COMP_CNT: 0
; COMPUTE_PGM_RSRC3_GFX90A:ACCUM_OFFSET: 0
; COMPUTE_PGM_RSRC3_GFX90A:TG_SPLIT: 0
	.section	.text._ZN7rocprim17ROCPRIM_400000_NS6detail44device_merge_sort_compile_time_verifier_archINS1_11comp_targetILNS1_3genE8ELNS1_11target_archE1030ELNS1_3gpuE2ELNS1_3repE0EEES8_NS0_14default_configES9_NS1_37merge_sort_block_sort_config_selectorIlNS0_10empty_typeEEENS1_38merge_sort_block_merge_config_selectorIlSB_EEEEvv,"axG",@progbits,_ZN7rocprim17ROCPRIM_400000_NS6detail44device_merge_sort_compile_time_verifier_archINS1_11comp_targetILNS1_3genE8ELNS1_11target_archE1030ELNS1_3gpuE2ELNS1_3repE0EEES8_NS0_14default_configES9_NS1_37merge_sort_block_sort_config_selectorIlNS0_10empty_typeEEENS1_38merge_sort_block_merge_config_selectorIlSB_EEEEvv,comdat
	.protected	_ZN7rocprim17ROCPRIM_400000_NS6detail44device_merge_sort_compile_time_verifier_archINS1_11comp_targetILNS1_3genE8ELNS1_11target_archE1030ELNS1_3gpuE2ELNS1_3repE0EEES8_NS0_14default_configES9_NS1_37merge_sort_block_sort_config_selectorIlNS0_10empty_typeEEENS1_38merge_sort_block_merge_config_selectorIlSB_EEEEvv ; -- Begin function _ZN7rocprim17ROCPRIM_400000_NS6detail44device_merge_sort_compile_time_verifier_archINS1_11comp_targetILNS1_3genE8ELNS1_11target_archE1030ELNS1_3gpuE2ELNS1_3repE0EEES8_NS0_14default_configES9_NS1_37merge_sort_block_sort_config_selectorIlNS0_10empty_typeEEENS1_38merge_sort_block_merge_config_selectorIlSB_EEEEvv
	.globl	_ZN7rocprim17ROCPRIM_400000_NS6detail44device_merge_sort_compile_time_verifier_archINS1_11comp_targetILNS1_3genE8ELNS1_11target_archE1030ELNS1_3gpuE2ELNS1_3repE0EEES8_NS0_14default_configES9_NS1_37merge_sort_block_sort_config_selectorIlNS0_10empty_typeEEENS1_38merge_sort_block_merge_config_selectorIlSB_EEEEvv
	.p2align	8
	.type	_ZN7rocprim17ROCPRIM_400000_NS6detail44device_merge_sort_compile_time_verifier_archINS1_11comp_targetILNS1_3genE8ELNS1_11target_archE1030ELNS1_3gpuE2ELNS1_3repE0EEES8_NS0_14default_configES9_NS1_37merge_sort_block_sort_config_selectorIlNS0_10empty_typeEEENS1_38merge_sort_block_merge_config_selectorIlSB_EEEEvv,@function
_ZN7rocprim17ROCPRIM_400000_NS6detail44device_merge_sort_compile_time_verifier_archINS1_11comp_targetILNS1_3genE8ELNS1_11target_archE1030ELNS1_3gpuE2ELNS1_3repE0EEES8_NS0_14default_configES9_NS1_37merge_sort_block_sort_config_selectorIlNS0_10empty_typeEEENS1_38merge_sort_block_merge_config_selectorIlSB_EEEEvv: ; @_ZN7rocprim17ROCPRIM_400000_NS6detail44device_merge_sort_compile_time_verifier_archINS1_11comp_targetILNS1_3genE8ELNS1_11target_archE1030ELNS1_3gpuE2ELNS1_3repE0EEES8_NS0_14default_configES9_NS1_37merge_sort_block_sort_config_selectorIlNS0_10empty_typeEEENS1_38merge_sort_block_merge_config_selectorIlSB_EEEEvv
; %bb.0:
	s_endpgm
	.section	.rodata,"a",@progbits
	.p2align	6, 0x0
	.amdhsa_kernel _ZN7rocprim17ROCPRIM_400000_NS6detail44device_merge_sort_compile_time_verifier_archINS1_11comp_targetILNS1_3genE8ELNS1_11target_archE1030ELNS1_3gpuE2ELNS1_3repE0EEES8_NS0_14default_configES9_NS1_37merge_sort_block_sort_config_selectorIlNS0_10empty_typeEEENS1_38merge_sort_block_merge_config_selectorIlSB_EEEEvv
		.amdhsa_group_segment_fixed_size 0
		.amdhsa_private_segment_fixed_size 0
		.amdhsa_kernarg_size 0
		.amdhsa_user_sgpr_count 4
		.amdhsa_user_sgpr_private_segment_buffer 1
		.amdhsa_user_sgpr_dispatch_ptr 0
		.amdhsa_user_sgpr_queue_ptr 0
		.amdhsa_user_sgpr_kernarg_segment_ptr 0
		.amdhsa_user_sgpr_dispatch_id 0
		.amdhsa_user_sgpr_flat_scratch_init 0
		.amdhsa_user_sgpr_kernarg_preload_length 0
		.amdhsa_user_sgpr_kernarg_preload_offset 0
		.amdhsa_user_sgpr_private_segment_size 0
		.amdhsa_uses_dynamic_stack 0
		.amdhsa_system_sgpr_private_segment_wavefront_offset 0
		.amdhsa_system_sgpr_workgroup_id_x 1
		.amdhsa_system_sgpr_workgroup_id_y 0
		.amdhsa_system_sgpr_workgroup_id_z 0
		.amdhsa_system_sgpr_workgroup_info 0
		.amdhsa_system_vgpr_workitem_id 0
		.amdhsa_next_free_vgpr 1
		.amdhsa_next_free_sgpr 0
		.amdhsa_accum_offset 4
		.amdhsa_reserve_vcc 0
		.amdhsa_reserve_flat_scratch 0
		.amdhsa_float_round_mode_32 0
		.amdhsa_float_round_mode_16_64 0
		.amdhsa_float_denorm_mode_32 3
		.amdhsa_float_denorm_mode_16_64 3
		.amdhsa_dx10_clamp 1
		.amdhsa_ieee_mode 1
		.amdhsa_fp16_overflow 0
		.amdhsa_tg_split 0
		.amdhsa_exception_fp_ieee_invalid_op 0
		.amdhsa_exception_fp_denorm_src 0
		.amdhsa_exception_fp_ieee_div_zero 0
		.amdhsa_exception_fp_ieee_overflow 0
		.amdhsa_exception_fp_ieee_underflow 0
		.amdhsa_exception_fp_ieee_inexact 0
		.amdhsa_exception_int_div_zero 0
	.end_amdhsa_kernel
	.section	.text._ZN7rocprim17ROCPRIM_400000_NS6detail44device_merge_sort_compile_time_verifier_archINS1_11comp_targetILNS1_3genE8ELNS1_11target_archE1030ELNS1_3gpuE2ELNS1_3repE0EEES8_NS0_14default_configES9_NS1_37merge_sort_block_sort_config_selectorIlNS0_10empty_typeEEENS1_38merge_sort_block_merge_config_selectorIlSB_EEEEvv,"axG",@progbits,_ZN7rocprim17ROCPRIM_400000_NS6detail44device_merge_sort_compile_time_verifier_archINS1_11comp_targetILNS1_3genE8ELNS1_11target_archE1030ELNS1_3gpuE2ELNS1_3repE0EEES8_NS0_14default_configES9_NS1_37merge_sort_block_sort_config_selectorIlNS0_10empty_typeEEENS1_38merge_sort_block_merge_config_selectorIlSB_EEEEvv,comdat
.Lfunc_end8:
	.size	_ZN7rocprim17ROCPRIM_400000_NS6detail44device_merge_sort_compile_time_verifier_archINS1_11comp_targetILNS1_3genE8ELNS1_11target_archE1030ELNS1_3gpuE2ELNS1_3repE0EEES8_NS0_14default_configES9_NS1_37merge_sort_block_sort_config_selectorIlNS0_10empty_typeEEENS1_38merge_sort_block_merge_config_selectorIlSB_EEEEvv, .Lfunc_end8-_ZN7rocprim17ROCPRIM_400000_NS6detail44device_merge_sort_compile_time_verifier_archINS1_11comp_targetILNS1_3genE8ELNS1_11target_archE1030ELNS1_3gpuE2ELNS1_3repE0EEES8_NS0_14default_configES9_NS1_37merge_sort_block_sort_config_selectorIlNS0_10empty_typeEEENS1_38merge_sort_block_merge_config_selectorIlSB_EEEEvv
                                        ; -- End function
	.section	.AMDGPU.csdata,"",@progbits
; Kernel info:
; codeLenInByte = 4
; NumSgprs: 4
; NumVgprs: 0
; NumAgprs: 0
; TotalNumVgprs: 0
; ScratchSize: 0
; MemoryBound: 0
; FloatMode: 240
; IeeeMode: 1
; LDSByteSize: 0 bytes/workgroup (compile time only)
; SGPRBlocks: 0
; VGPRBlocks: 0
; NumSGPRsForWavesPerEU: 4
; NumVGPRsForWavesPerEU: 1
; AccumOffset: 4
; Occupancy: 8
; WaveLimiterHint : 0
; COMPUTE_PGM_RSRC2:SCRATCH_EN: 0
; COMPUTE_PGM_RSRC2:USER_SGPR: 4
; COMPUTE_PGM_RSRC2:TRAP_HANDLER: 0
; COMPUTE_PGM_RSRC2:TGID_X_EN: 1
; COMPUTE_PGM_RSRC2:TGID_Y_EN: 0
; COMPUTE_PGM_RSRC2:TGID_Z_EN: 0
; COMPUTE_PGM_RSRC2:TIDIG_COMP_CNT: 0
; COMPUTE_PGM_RSRC3_GFX90A:ACCUM_OFFSET: 0
; COMPUTE_PGM_RSRC3_GFX90A:TG_SPLIT: 0
	.section	.text._ZN7rocprim17ROCPRIM_400000_NS6detail17trampoline_kernelINS0_14default_configENS1_37merge_sort_block_sort_config_selectorIlNS0_10empty_typeEEEZNS1_21merge_sort_block_sortIS3_PlS8_PS5_S9_ZN2at6native12_GLOBAL__N_124unique_dim_cuda_templateIhEESt5tupleIJNSA_6TensorESF_SF_EERKSF_lbbbEUlllE_EE10hipError_tT0_T1_T2_T3_mRjT4_P12ihipStream_tbNS1_7vsmem_tEEUlT_E_NS1_11comp_targetILNS1_3genE0ELNS1_11target_archE4294967295ELNS1_3gpuE0ELNS1_3repE0EEENS1_30default_config_static_selectorELNS0_4arch9wavefront6targetE1EEEvSM_,"axG",@progbits,_ZN7rocprim17ROCPRIM_400000_NS6detail17trampoline_kernelINS0_14default_configENS1_37merge_sort_block_sort_config_selectorIlNS0_10empty_typeEEEZNS1_21merge_sort_block_sortIS3_PlS8_PS5_S9_ZN2at6native12_GLOBAL__N_124unique_dim_cuda_templateIhEESt5tupleIJNSA_6TensorESF_SF_EERKSF_lbbbEUlllE_EE10hipError_tT0_T1_T2_T3_mRjT4_P12ihipStream_tbNS1_7vsmem_tEEUlT_E_NS1_11comp_targetILNS1_3genE0ELNS1_11target_archE4294967295ELNS1_3gpuE0ELNS1_3repE0EEENS1_30default_config_static_selectorELNS0_4arch9wavefront6targetE1EEEvSM_,comdat
	.globl	_ZN7rocprim17ROCPRIM_400000_NS6detail17trampoline_kernelINS0_14default_configENS1_37merge_sort_block_sort_config_selectorIlNS0_10empty_typeEEEZNS1_21merge_sort_block_sortIS3_PlS8_PS5_S9_ZN2at6native12_GLOBAL__N_124unique_dim_cuda_templateIhEESt5tupleIJNSA_6TensorESF_SF_EERKSF_lbbbEUlllE_EE10hipError_tT0_T1_T2_T3_mRjT4_P12ihipStream_tbNS1_7vsmem_tEEUlT_E_NS1_11comp_targetILNS1_3genE0ELNS1_11target_archE4294967295ELNS1_3gpuE0ELNS1_3repE0EEENS1_30default_config_static_selectorELNS0_4arch9wavefront6targetE1EEEvSM_ ; -- Begin function _ZN7rocprim17ROCPRIM_400000_NS6detail17trampoline_kernelINS0_14default_configENS1_37merge_sort_block_sort_config_selectorIlNS0_10empty_typeEEEZNS1_21merge_sort_block_sortIS3_PlS8_PS5_S9_ZN2at6native12_GLOBAL__N_124unique_dim_cuda_templateIhEESt5tupleIJNSA_6TensorESF_SF_EERKSF_lbbbEUlllE_EE10hipError_tT0_T1_T2_T3_mRjT4_P12ihipStream_tbNS1_7vsmem_tEEUlT_E_NS1_11comp_targetILNS1_3genE0ELNS1_11target_archE4294967295ELNS1_3gpuE0ELNS1_3repE0EEENS1_30default_config_static_selectorELNS0_4arch9wavefront6targetE1EEEvSM_
	.p2align	8
	.type	_ZN7rocprim17ROCPRIM_400000_NS6detail17trampoline_kernelINS0_14default_configENS1_37merge_sort_block_sort_config_selectorIlNS0_10empty_typeEEEZNS1_21merge_sort_block_sortIS3_PlS8_PS5_S9_ZN2at6native12_GLOBAL__N_124unique_dim_cuda_templateIhEESt5tupleIJNSA_6TensorESF_SF_EERKSF_lbbbEUlllE_EE10hipError_tT0_T1_T2_T3_mRjT4_P12ihipStream_tbNS1_7vsmem_tEEUlT_E_NS1_11comp_targetILNS1_3genE0ELNS1_11target_archE4294967295ELNS1_3gpuE0ELNS1_3repE0EEENS1_30default_config_static_selectorELNS0_4arch9wavefront6targetE1EEEvSM_,@function
_ZN7rocprim17ROCPRIM_400000_NS6detail17trampoline_kernelINS0_14default_configENS1_37merge_sort_block_sort_config_selectorIlNS0_10empty_typeEEEZNS1_21merge_sort_block_sortIS3_PlS8_PS5_S9_ZN2at6native12_GLOBAL__N_124unique_dim_cuda_templateIhEESt5tupleIJNSA_6TensorESF_SF_EERKSF_lbbbEUlllE_EE10hipError_tT0_T1_T2_T3_mRjT4_P12ihipStream_tbNS1_7vsmem_tEEUlT_E_NS1_11comp_targetILNS1_3genE0ELNS1_11target_archE4294967295ELNS1_3gpuE0ELNS1_3repE0EEENS1_30default_config_static_selectorELNS0_4arch9wavefront6targetE1EEEvSM_: ; @_ZN7rocprim17ROCPRIM_400000_NS6detail17trampoline_kernelINS0_14default_configENS1_37merge_sort_block_sort_config_selectorIlNS0_10empty_typeEEEZNS1_21merge_sort_block_sortIS3_PlS8_PS5_S9_ZN2at6native12_GLOBAL__N_124unique_dim_cuda_templateIhEESt5tupleIJNSA_6TensorESF_SF_EERKSF_lbbbEUlllE_EE10hipError_tT0_T1_T2_T3_mRjT4_P12ihipStream_tbNS1_7vsmem_tEEUlT_E_NS1_11comp_targetILNS1_3genE0ELNS1_11target_archE4294967295ELNS1_3gpuE0ELNS1_3repE0EEENS1_30default_config_static_selectorELNS0_4arch9wavefront6targetE1EEEvSM_
; %bb.0:
	.section	.rodata,"a",@progbits
	.p2align	6, 0x0
	.amdhsa_kernel _ZN7rocprim17ROCPRIM_400000_NS6detail17trampoline_kernelINS0_14default_configENS1_37merge_sort_block_sort_config_selectorIlNS0_10empty_typeEEEZNS1_21merge_sort_block_sortIS3_PlS8_PS5_S9_ZN2at6native12_GLOBAL__N_124unique_dim_cuda_templateIhEESt5tupleIJNSA_6TensorESF_SF_EERKSF_lbbbEUlllE_EE10hipError_tT0_T1_T2_T3_mRjT4_P12ihipStream_tbNS1_7vsmem_tEEUlT_E_NS1_11comp_targetILNS1_3genE0ELNS1_11target_archE4294967295ELNS1_3gpuE0ELNS1_3repE0EEENS1_30default_config_static_selectorELNS0_4arch9wavefront6targetE1EEEvSM_
		.amdhsa_group_segment_fixed_size 0
		.amdhsa_private_segment_fixed_size 0
		.amdhsa_kernarg_size 72
		.amdhsa_user_sgpr_count 6
		.amdhsa_user_sgpr_private_segment_buffer 1
		.amdhsa_user_sgpr_dispatch_ptr 0
		.amdhsa_user_sgpr_queue_ptr 0
		.amdhsa_user_sgpr_kernarg_segment_ptr 1
		.amdhsa_user_sgpr_dispatch_id 0
		.amdhsa_user_sgpr_flat_scratch_init 0
		.amdhsa_user_sgpr_kernarg_preload_length 0
		.amdhsa_user_sgpr_kernarg_preload_offset 0
		.amdhsa_user_sgpr_private_segment_size 0
		.amdhsa_uses_dynamic_stack 0
		.amdhsa_system_sgpr_private_segment_wavefront_offset 0
		.amdhsa_system_sgpr_workgroup_id_x 1
		.amdhsa_system_sgpr_workgroup_id_y 0
		.amdhsa_system_sgpr_workgroup_id_z 0
		.amdhsa_system_sgpr_workgroup_info 0
		.amdhsa_system_vgpr_workitem_id 0
		.amdhsa_next_free_vgpr 1
		.amdhsa_next_free_sgpr 0
		.amdhsa_accum_offset 4
		.amdhsa_reserve_vcc 0
		.amdhsa_reserve_flat_scratch 0
		.amdhsa_float_round_mode_32 0
		.amdhsa_float_round_mode_16_64 0
		.amdhsa_float_denorm_mode_32 3
		.amdhsa_float_denorm_mode_16_64 3
		.amdhsa_dx10_clamp 1
		.amdhsa_ieee_mode 1
		.amdhsa_fp16_overflow 0
		.amdhsa_tg_split 0
		.amdhsa_exception_fp_ieee_invalid_op 0
		.amdhsa_exception_fp_denorm_src 0
		.amdhsa_exception_fp_ieee_div_zero 0
		.amdhsa_exception_fp_ieee_overflow 0
		.amdhsa_exception_fp_ieee_underflow 0
		.amdhsa_exception_fp_ieee_inexact 0
		.amdhsa_exception_int_div_zero 0
	.end_amdhsa_kernel
	.section	.text._ZN7rocprim17ROCPRIM_400000_NS6detail17trampoline_kernelINS0_14default_configENS1_37merge_sort_block_sort_config_selectorIlNS0_10empty_typeEEEZNS1_21merge_sort_block_sortIS3_PlS8_PS5_S9_ZN2at6native12_GLOBAL__N_124unique_dim_cuda_templateIhEESt5tupleIJNSA_6TensorESF_SF_EERKSF_lbbbEUlllE_EE10hipError_tT0_T1_T2_T3_mRjT4_P12ihipStream_tbNS1_7vsmem_tEEUlT_E_NS1_11comp_targetILNS1_3genE0ELNS1_11target_archE4294967295ELNS1_3gpuE0ELNS1_3repE0EEENS1_30default_config_static_selectorELNS0_4arch9wavefront6targetE1EEEvSM_,"axG",@progbits,_ZN7rocprim17ROCPRIM_400000_NS6detail17trampoline_kernelINS0_14default_configENS1_37merge_sort_block_sort_config_selectorIlNS0_10empty_typeEEEZNS1_21merge_sort_block_sortIS3_PlS8_PS5_S9_ZN2at6native12_GLOBAL__N_124unique_dim_cuda_templateIhEESt5tupleIJNSA_6TensorESF_SF_EERKSF_lbbbEUlllE_EE10hipError_tT0_T1_T2_T3_mRjT4_P12ihipStream_tbNS1_7vsmem_tEEUlT_E_NS1_11comp_targetILNS1_3genE0ELNS1_11target_archE4294967295ELNS1_3gpuE0ELNS1_3repE0EEENS1_30default_config_static_selectorELNS0_4arch9wavefront6targetE1EEEvSM_,comdat
.Lfunc_end9:
	.size	_ZN7rocprim17ROCPRIM_400000_NS6detail17trampoline_kernelINS0_14default_configENS1_37merge_sort_block_sort_config_selectorIlNS0_10empty_typeEEEZNS1_21merge_sort_block_sortIS3_PlS8_PS5_S9_ZN2at6native12_GLOBAL__N_124unique_dim_cuda_templateIhEESt5tupleIJNSA_6TensorESF_SF_EERKSF_lbbbEUlllE_EE10hipError_tT0_T1_T2_T3_mRjT4_P12ihipStream_tbNS1_7vsmem_tEEUlT_E_NS1_11comp_targetILNS1_3genE0ELNS1_11target_archE4294967295ELNS1_3gpuE0ELNS1_3repE0EEENS1_30default_config_static_selectorELNS0_4arch9wavefront6targetE1EEEvSM_, .Lfunc_end9-_ZN7rocprim17ROCPRIM_400000_NS6detail17trampoline_kernelINS0_14default_configENS1_37merge_sort_block_sort_config_selectorIlNS0_10empty_typeEEEZNS1_21merge_sort_block_sortIS3_PlS8_PS5_S9_ZN2at6native12_GLOBAL__N_124unique_dim_cuda_templateIhEESt5tupleIJNSA_6TensorESF_SF_EERKSF_lbbbEUlllE_EE10hipError_tT0_T1_T2_T3_mRjT4_P12ihipStream_tbNS1_7vsmem_tEEUlT_E_NS1_11comp_targetILNS1_3genE0ELNS1_11target_archE4294967295ELNS1_3gpuE0ELNS1_3repE0EEENS1_30default_config_static_selectorELNS0_4arch9wavefront6targetE1EEEvSM_
                                        ; -- End function
	.section	.AMDGPU.csdata,"",@progbits
; Kernel info:
; codeLenInByte = 0
; NumSgprs: 4
; NumVgprs: 0
; NumAgprs: 0
; TotalNumVgprs: 0
; ScratchSize: 0
; MemoryBound: 0
; FloatMode: 240
; IeeeMode: 1
; LDSByteSize: 0 bytes/workgroup (compile time only)
; SGPRBlocks: 0
; VGPRBlocks: 0
; NumSGPRsForWavesPerEU: 4
; NumVGPRsForWavesPerEU: 1
; AccumOffset: 4
; Occupancy: 8
; WaveLimiterHint : 0
; COMPUTE_PGM_RSRC2:SCRATCH_EN: 0
; COMPUTE_PGM_RSRC2:USER_SGPR: 6
; COMPUTE_PGM_RSRC2:TRAP_HANDLER: 0
; COMPUTE_PGM_RSRC2:TGID_X_EN: 1
; COMPUTE_PGM_RSRC2:TGID_Y_EN: 0
; COMPUTE_PGM_RSRC2:TGID_Z_EN: 0
; COMPUTE_PGM_RSRC2:TIDIG_COMP_CNT: 0
; COMPUTE_PGM_RSRC3_GFX90A:ACCUM_OFFSET: 0
; COMPUTE_PGM_RSRC3_GFX90A:TG_SPLIT: 0
	.section	.text._ZN7rocprim17ROCPRIM_400000_NS6detail17trampoline_kernelINS0_14default_configENS1_37merge_sort_block_sort_config_selectorIlNS0_10empty_typeEEEZNS1_21merge_sort_block_sortIS3_PlS8_PS5_S9_ZN2at6native12_GLOBAL__N_124unique_dim_cuda_templateIhEESt5tupleIJNSA_6TensorESF_SF_EERKSF_lbbbEUlllE_EE10hipError_tT0_T1_T2_T3_mRjT4_P12ihipStream_tbNS1_7vsmem_tEEUlT_E_NS1_11comp_targetILNS1_3genE5ELNS1_11target_archE942ELNS1_3gpuE9ELNS1_3repE0EEENS1_30default_config_static_selectorELNS0_4arch9wavefront6targetE1EEEvSM_,"axG",@progbits,_ZN7rocprim17ROCPRIM_400000_NS6detail17trampoline_kernelINS0_14default_configENS1_37merge_sort_block_sort_config_selectorIlNS0_10empty_typeEEEZNS1_21merge_sort_block_sortIS3_PlS8_PS5_S9_ZN2at6native12_GLOBAL__N_124unique_dim_cuda_templateIhEESt5tupleIJNSA_6TensorESF_SF_EERKSF_lbbbEUlllE_EE10hipError_tT0_T1_T2_T3_mRjT4_P12ihipStream_tbNS1_7vsmem_tEEUlT_E_NS1_11comp_targetILNS1_3genE5ELNS1_11target_archE942ELNS1_3gpuE9ELNS1_3repE0EEENS1_30default_config_static_selectorELNS0_4arch9wavefront6targetE1EEEvSM_,comdat
	.globl	_ZN7rocprim17ROCPRIM_400000_NS6detail17trampoline_kernelINS0_14default_configENS1_37merge_sort_block_sort_config_selectorIlNS0_10empty_typeEEEZNS1_21merge_sort_block_sortIS3_PlS8_PS5_S9_ZN2at6native12_GLOBAL__N_124unique_dim_cuda_templateIhEESt5tupleIJNSA_6TensorESF_SF_EERKSF_lbbbEUlllE_EE10hipError_tT0_T1_T2_T3_mRjT4_P12ihipStream_tbNS1_7vsmem_tEEUlT_E_NS1_11comp_targetILNS1_3genE5ELNS1_11target_archE942ELNS1_3gpuE9ELNS1_3repE0EEENS1_30default_config_static_selectorELNS0_4arch9wavefront6targetE1EEEvSM_ ; -- Begin function _ZN7rocprim17ROCPRIM_400000_NS6detail17trampoline_kernelINS0_14default_configENS1_37merge_sort_block_sort_config_selectorIlNS0_10empty_typeEEEZNS1_21merge_sort_block_sortIS3_PlS8_PS5_S9_ZN2at6native12_GLOBAL__N_124unique_dim_cuda_templateIhEESt5tupleIJNSA_6TensorESF_SF_EERKSF_lbbbEUlllE_EE10hipError_tT0_T1_T2_T3_mRjT4_P12ihipStream_tbNS1_7vsmem_tEEUlT_E_NS1_11comp_targetILNS1_3genE5ELNS1_11target_archE942ELNS1_3gpuE9ELNS1_3repE0EEENS1_30default_config_static_selectorELNS0_4arch9wavefront6targetE1EEEvSM_
	.p2align	8
	.type	_ZN7rocprim17ROCPRIM_400000_NS6detail17trampoline_kernelINS0_14default_configENS1_37merge_sort_block_sort_config_selectorIlNS0_10empty_typeEEEZNS1_21merge_sort_block_sortIS3_PlS8_PS5_S9_ZN2at6native12_GLOBAL__N_124unique_dim_cuda_templateIhEESt5tupleIJNSA_6TensorESF_SF_EERKSF_lbbbEUlllE_EE10hipError_tT0_T1_T2_T3_mRjT4_P12ihipStream_tbNS1_7vsmem_tEEUlT_E_NS1_11comp_targetILNS1_3genE5ELNS1_11target_archE942ELNS1_3gpuE9ELNS1_3repE0EEENS1_30default_config_static_selectorELNS0_4arch9wavefront6targetE1EEEvSM_,@function
_ZN7rocprim17ROCPRIM_400000_NS6detail17trampoline_kernelINS0_14default_configENS1_37merge_sort_block_sort_config_selectorIlNS0_10empty_typeEEEZNS1_21merge_sort_block_sortIS3_PlS8_PS5_S9_ZN2at6native12_GLOBAL__N_124unique_dim_cuda_templateIhEESt5tupleIJNSA_6TensorESF_SF_EERKSF_lbbbEUlllE_EE10hipError_tT0_T1_T2_T3_mRjT4_P12ihipStream_tbNS1_7vsmem_tEEUlT_E_NS1_11comp_targetILNS1_3genE5ELNS1_11target_archE942ELNS1_3gpuE9ELNS1_3repE0EEENS1_30default_config_static_selectorELNS0_4arch9wavefront6targetE1EEEvSM_: ; @_ZN7rocprim17ROCPRIM_400000_NS6detail17trampoline_kernelINS0_14default_configENS1_37merge_sort_block_sort_config_selectorIlNS0_10empty_typeEEEZNS1_21merge_sort_block_sortIS3_PlS8_PS5_S9_ZN2at6native12_GLOBAL__N_124unique_dim_cuda_templateIhEESt5tupleIJNSA_6TensorESF_SF_EERKSF_lbbbEUlllE_EE10hipError_tT0_T1_T2_T3_mRjT4_P12ihipStream_tbNS1_7vsmem_tEEUlT_E_NS1_11comp_targetILNS1_3genE5ELNS1_11target_archE942ELNS1_3gpuE9ELNS1_3repE0EEENS1_30default_config_static_selectorELNS0_4arch9wavefront6targetE1EEEvSM_
; %bb.0:
	.section	.rodata,"a",@progbits
	.p2align	6, 0x0
	.amdhsa_kernel _ZN7rocprim17ROCPRIM_400000_NS6detail17trampoline_kernelINS0_14default_configENS1_37merge_sort_block_sort_config_selectorIlNS0_10empty_typeEEEZNS1_21merge_sort_block_sortIS3_PlS8_PS5_S9_ZN2at6native12_GLOBAL__N_124unique_dim_cuda_templateIhEESt5tupleIJNSA_6TensorESF_SF_EERKSF_lbbbEUlllE_EE10hipError_tT0_T1_T2_T3_mRjT4_P12ihipStream_tbNS1_7vsmem_tEEUlT_E_NS1_11comp_targetILNS1_3genE5ELNS1_11target_archE942ELNS1_3gpuE9ELNS1_3repE0EEENS1_30default_config_static_selectorELNS0_4arch9wavefront6targetE1EEEvSM_
		.amdhsa_group_segment_fixed_size 0
		.amdhsa_private_segment_fixed_size 0
		.amdhsa_kernarg_size 72
		.amdhsa_user_sgpr_count 6
		.amdhsa_user_sgpr_private_segment_buffer 1
		.amdhsa_user_sgpr_dispatch_ptr 0
		.amdhsa_user_sgpr_queue_ptr 0
		.amdhsa_user_sgpr_kernarg_segment_ptr 1
		.amdhsa_user_sgpr_dispatch_id 0
		.amdhsa_user_sgpr_flat_scratch_init 0
		.amdhsa_user_sgpr_kernarg_preload_length 0
		.amdhsa_user_sgpr_kernarg_preload_offset 0
		.amdhsa_user_sgpr_private_segment_size 0
		.amdhsa_uses_dynamic_stack 0
		.amdhsa_system_sgpr_private_segment_wavefront_offset 0
		.amdhsa_system_sgpr_workgroup_id_x 1
		.amdhsa_system_sgpr_workgroup_id_y 0
		.amdhsa_system_sgpr_workgroup_id_z 0
		.amdhsa_system_sgpr_workgroup_info 0
		.amdhsa_system_vgpr_workitem_id 0
		.amdhsa_next_free_vgpr 1
		.amdhsa_next_free_sgpr 0
		.amdhsa_accum_offset 4
		.amdhsa_reserve_vcc 0
		.amdhsa_reserve_flat_scratch 0
		.amdhsa_float_round_mode_32 0
		.amdhsa_float_round_mode_16_64 0
		.amdhsa_float_denorm_mode_32 3
		.amdhsa_float_denorm_mode_16_64 3
		.amdhsa_dx10_clamp 1
		.amdhsa_ieee_mode 1
		.amdhsa_fp16_overflow 0
		.amdhsa_tg_split 0
		.amdhsa_exception_fp_ieee_invalid_op 0
		.amdhsa_exception_fp_denorm_src 0
		.amdhsa_exception_fp_ieee_div_zero 0
		.amdhsa_exception_fp_ieee_overflow 0
		.amdhsa_exception_fp_ieee_underflow 0
		.amdhsa_exception_fp_ieee_inexact 0
		.amdhsa_exception_int_div_zero 0
	.end_amdhsa_kernel
	.section	.text._ZN7rocprim17ROCPRIM_400000_NS6detail17trampoline_kernelINS0_14default_configENS1_37merge_sort_block_sort_config_selectorIlNS0_10empty_typeEEEZNS1_21merge_sort_block_sortIS3_PlS8_PS5_S9_ZN2at6native12_GLOBAL__N_124unique_dim_cuda_templateIhEESt5tupleIJNSA_6TensorESF_SF_EERKSF_lbbbEUlllE_EE10hipError_tT0_T1_T2_T3_mRjT4_P12ihipStream_tbNS1_7vsmem_tEEUlT_E_NS1_11comp_targetILNS1_3genE5ELNS1_11target_archE942ELNS1_3gpuE9ELNS1_3repE0EEENS1_30default_config_static_selectorELNS0_4arch9wavefront6targetE1EEEvSM_,"axG",@progbits,_ZN7rocprim17ROCPRIM_400000_NS6detail17trampoline_kernelINS0_14default_configENS1_37merge_sort_block_sort_config_selectorIlNS0_10empty_typeEEEZNS1_21merge_sort_block_sortIS3_PlS8_PS5_S9_ZN2at6native12_GLOBAL__N_124unique_dim_cuda_templateIhEESt5tupleIJNSA_6TensorESF_SF_EERKSF_lbbbEUlllE_EE10hipError_tT0_T1_T2_T3_mRjT4_P12ihipStream_tbNS1_7vsmem_tEEUlT_E_NS1_11comp_targetILNS1_3genE5ELNS1_11target_archE942ELNS1_3gpuE9ELNS1_3repE0EEENS1_30default_config_static_selectorELNS0_4arch9wavefront6targetE1EEEvSM_,comdat
.Lfunc_end10:
	.size	_ZN7rocprim17ROCPRIM_400000_NS6detail17trampoline_kernelINS0_14default_configENS1_37merge_sort_block_sort_config_selectorIlNS0_10empty_typeEEEZNS1_21merge_sort_block_sortIS3_PlS8_PS5_S9_ZN2at6native12_GLOBAL__N_124unique_dim_cuda_templateIhEESt5tupleIJNSA_6TensorESF_SF_EERKSF_lbbbEUlllE_EE10hipError_tT0_T1_T2_T3_mRjT4_P12ihipStream_tbNS1_7vsmem_tEEUlT_E_NS1_11comp_targetILNS1_3genE5ELNS1_11target_archE942ELNS1_3gpuE9ELNS1_3repE0EEENS1_30default_config_static_selectorELNS0_4arch9wavefront6targetE1EEEvSM_, .Lfunc_end10-_ZN7rocprim17ROCPRIM_400000_NS6detail17trampoline_kernelINS0_14default_configENS1_37merge_sort_block_sort_config_selectorIlNS0_10empty_typeEEEZNS1_21merge_sort_block_sortIS3_PlS8_PS5_S9_ZN2at6native12_GLOBAL__N_124unique_dim_cuda_templateIhEESt5tupleIJNSA_6TensorESF_SF_EERKSF_lbbbEUlllE_EE10hipError_tT0_T1_T2_T3_mRjT4_P12ihipStream_tbNS1_7vsmem_tEEUlT_E_NS1_11comp_targetILNS1_3genE5ELNS1_11target_archE942ELNS1_3gpuE9ELNS1_3repE0EEENS1_30default_config_static_selectorELNS0_4arch9wavefront6targetE1EEEvSM_
                                        ; -- End function
	.section	.AMDGPU.csdata,"",@progbits
; Kernel info:
; codeLenInByte = 0
; NumSgprs: 4
; NumVgprs: 0
; NumAgprs: 0
; TotalNumVgprs: 0
; ScratchSize: 0
; MemoryBound: 0
; FloatMode: 240
; IeeeMode: 1
; LDSByteSize: 0 bytes/workgroup (compile time only)
; SGPRBlocks: 0
; VGPRBlocks: 0
; NumSGPRsForWavesPerEU: 4
; NumVGPRsForWavesPerEU: 1
; AccumOffset: 4
; Occupancy: 8
; WaveLimiterHint : 0
; COMPUTE_PGM_RSRC2:SCRATCH_EN: 0
; COMPUTE_PGM_RSRC2:USER_SGPR: 6
; COMPUTE_PGM_RSRC2:TRAP_HANDLER: 0
; COMPUTE_PGM_RSRC2:TGID_X_EN: 1
; COMPUTE_PGM_RSRC2:TGID_Y_EN: 0
; COMPUTE_PGM_RSRC2:TGID_Z_EN: 0
; COMPUTE_PGM_RSRC2:TIDIG_COMP_CNT: 0
; COMPUTE_PGM_RSRC3_GFX90A:ACCUM_OFFSET: 0
; COMPUTE_PGM_RSRC3_GFX90A:TG_SPLIT: 0
	.section	.text._ZN7rocprim17ROCPRIM_400000_NS6detail17trampoline_kernelINS0_14default_configENS1_37merge_sort_block_sort_config_selectorIlNS0_10empty_typeEEEZNS1_21merge_sort_block_sortIS3_PlS8_PS5_S9_ZN2at6native12_GLOBAL__N_124unique_dim_cuda_templateIhEESt5tupleIJNSA_6TensorESF_SF_EERKSF_lbbbEUlllE_EE10hipError_tT0_T1_T2_T3_mRjT4_P12ihipStream_tbNS1_7vsmem_tEEUlT_E_NS1_11comp_targetILNS1_3genE4ELNS1_11target_archE910ELNS1_3gpuE8ELNS1_3repE0EEENS1_30default_config_static_selectorELNS0_4arch9wavefront6targetE1EEEvSM_,"axG",@progbits,_ZN7rocprim17ROCPRIM_400000_NS6detail17trampoline_kernelINS0_14default_configENS1_37merge_sort_block_sort_config_selectorIlNS0_10empty_typeEEEZNS1_21merge_sort_block_sortIS3_PlS8_PS5_S9_ZN2at6native12_GLOBAL__N_124unique_dim_cuda_templateIhEESt5tupleIJNSA_6TensorESF_SF_EERKSF_lbbbEUlllE_EE10hipError_tT0_T1_T2_T3_mRjT4_P12ihipStream_tbNS1_7vsmem_tEEUlT_E_NS1_11comp_targetILNS1_3genE4ELNS1_11target_archE910ELNS1_3gpuE8ELNS1_3repE0EEENS1_30default_config_static_selectorELNS0_4arch9wavefront6targetE1EEEvSM_,comdat
	.globl	_ZN7rocprim17ROCPRIM_400000_NS6detail17trampoline_kernelINS0_14default_configENS1_37merge_sort_block_sort_config_selectorIlNS0_10empty_typeEEEZNS1_21merge_sort_block_sortIS3_PlS8_PS5_S9_ZN2at6native12_GLOBAL__N_124unique_dim_cuda_templateIhEESt5tupleIJNSA_6TensorESF_SF_EERKSF_lbbbEUlllE_EE10hipError_tT0_T1_T2_T3_mRjT4_P12ihipStream_tbNS1_7vsmem_tEEUlT_E_NS1_11comp_targetILNS1_3genE4ELNS1_11target_archE910ELNS1_3gpuE8ELNS1_3repE0EEENS1_30default_config_static_selectorELNS0_4arch9wavefront6targetE1EEEvSM_ ; -- Begin function _ZN7rocprim17ROCPRIM_400000_NS6detail17trampoline_kernelINS0_14default_configENS1_37merge_sort_block_sort_config_selectorIlNS0_10empty_typeEEEZNS1_21merge_sort_block_sortIS3_PlS8_PS5_S9_ZN2at6native12_GLOBAL__N_124unique_dim_cuda_templateIhEESt5tupleIJNSA_6TensorESF_SF_EERKSF_lbbbEUlllE_EE10hipError_tT0_T1_T2_T3_mRjT4_P12ihipStream_tbNS1_7vsmem_tEEUlT_E_NS1_11comp_targetILNS1_3genE4ELNS1_11target_archE910ELNS1_3gpuE8ELNS1_3repE0EEENS1_30default_config_static_selectorELNS0_4arch9wavefront6targetE1EEEvSM_
	.p2align	8
	.type	_ZN7rocprim17ROCPRIM_400000_NS6detail17trampoline_kernelINS0_14default_configENS1_37merge_sort_block_sort_config_selectorIlNS0_10empty_typeEEEZNS1_21merge_sort_block_sortIS3_PlS8_PS5_S9_ZN2at6native12_GLOBAL__N_124unique_dim_cuda_templateIhEESt5tupleIJNSA_6TensorESF_SF_EERKSF_lbbbEUlllE_EE10hipError_tT0_T1_T2_T3_mRjT4_P12ihipStream_tbNS1_7vsmem_tEEUlT_E_NS1_11comp_targetILNS1_3genE4ELNS1_11target_archE910ELNS1_3gpuE8ELNS1_3repE0EEENS1_30default_config_static_selectorELNS0_4arch9wavefront6targetE1EEEvSM_,@function
_ZN7rocprim17ROCPRIM_400000_NS6detail17trampoline_kernelINS0_14default_configENS1_37merge_sort_block_sort_config_selectorIlNS0_10empty_typeEEEZNS1_21merge_sort_block_sortIS3_PlS8_PS5_S9_ZN2at6native12_GLOBAL__N_124unique_dim_cuda_templateIhEESt5tupleIJNSA_6TensorESF_SF_EERKSF_lbbbEUlllE_EE10hipError_tT0_T1_T2_T3_mRjT4_P12ihipStream_tbNS1_7vsmem_tEEUlT_E_NS1_11comp_targetILNS1_3genE4ELNS1_11target_archE910ELNS1_3gpuE8ELNS1_3repE0EEENS1_30default_config_static_selectorELNS0_4arch9wavefront6targetE1EEEvSM_: ; @_ZN7rocprim17ROCPRIM_400000_NS6detail17trampoline_kernelINS0_14default_configENS1_37merge_sort_block_sort_config_selectorIlNS0_10empty_typeEEEZNS1_21merge_sort_block_sortIS3_PlS8_PS5_S9_ZN2at6native12_GLOBAL__N_124unique_dim_cuda_templateIhEESt5tupleIJNSA_6TensorESF_SF_EERKSF_lbbbEUlllE_EE10hipError_tT0_T1_T2_T3_mRjT4_P12ihipStream_tbNS1_7vsmem_tEEUlT_E_NS1_11comp_targetILNS1_3genE4ELNS1_11target_archE910ELNS1_3gpuE8ELNS1_3repE0EEENS1_30default_config_static_selectorELNS0_4arch9wavefront6targetE1EEEvSM_
; %bb.0:
	s_load_dwordx2 s[18:19], s[4:5], 0x48
	s_load_dword s0, s[4:5], 0x0
	s_add_u32 s10, s4, 0x48
	s_addc_u32 s11, s5, 0
	s_waitcnt lgkmcnt(0)
	s_mul_i32 s1, s19, s8
	s_add_i32 s1, s1, s7
	s_mul_i32 s1, s1, s18
	s_add_i32 s2, s1, s6
	s_cmp_ge_u32 s2, s0
	s_cbranch_scc1 .LBB11_876
; %bb.1:
	s_load_dwordx2 s[20:21], s[4:5], 0x8
	s_load_dwordx4 s[24:27], s[4:5], 0x18
	s_load_dwordx4 s[12:15], s[4:5], 0x38
	s_mov_b32 s3, 0
	s_lshl_b64 s[0:1], s[2:3], 13
	s_waitcnt lgkmcnt(0)
	s_lshr_b64 s[4:5], s[20:21], 10
	s_add_u32 s8, s24, s0
	s_addc_u32 s9, s25, s1
	s_add_u32 s16, s26, s0
	s_addc_u32 s17, s27, s1
	v_and_b32_e32 v12, 0x3ff, v0
	s_cmp_lg_u64 s[4:5], s[2:3]
	v_bfe_u32 v28, v0, 10, 10
	v_bfe_u32 v29, v0, 20, 10
	v_lshlrev_b32_e32 v26, 3, v12
	v_lshrrev_b32_e32 v31, 2, v12
	v_lshlrev_b32_e32 v27, 2, v12
	v_lshrrev_b32_e32 v30, 3, v12
	v_cmp_gt_i64_e64 s[4:5], s[12:13], 0
	s_cbranch_scc0 .LBB11_8
; %bb.2:
	v_mov_b32_e32 v0, s9
	v_add_co_u32_e32 v4, vcc, s8, v26
	v_addc_co_u32_e32 v5, vcc, 0, v0, vcc
	v_add_co_u32_e32 v4, vcc, 0x1000, v4
	v_addc_co_u32_e32 v5, vcc, 0, v5, vcc
	global_load_dwordx2 v[0:1], v26, s[8:9]
	global_load_dwordx2 v[2:3], v26, s[8:9] offset:2048
	global_load_dwordx2 v[6:7], v[4:5], off
	global_load_dwordx2 v[8:9], v[4:5], off offset:2048
	v_and_b32_e32 v4, 0xf8, v31
	v_add_u32_e32 v5, 0x100, v12
	v_add_u32_e32 v10, 0x200, v12
	;; [unrolled: 1-line block ×4, first 2 shown]
	v_lshrrev_b32_e32 v4, 2, v5
	v_lshrrev_b32_e32 v5, 2, v10
	;; [unrolled: 1-line block ×3, first 2 shown]
	v_add_lshl_u32 v33, v30, v27, 3
	v_and_b32_e32 v4, 0x1f8, v4
	v_and_b32_e32 v5, 0x1f8, v5
	v_and_b32_e32 v10, 0x1f8, v10
	v_add_u32_e32 v34, v4, v26
	v_add_u32_e32 v35, v5, v26
	;; [unrolled: 1-line block ×3, first 2 shown]
	v_mov_b32_e32 v13, 0
	s_waitcnt vmcnt(3)
	ds_write_b64 v32, v[0:1]
	s_waitcnt vmcnt(2)
	ds_write_b64 v34, v[2:3] offset:2048
	s_waitcnt vmcnt(1)
	ds_write_b64 v35, v[6:7] offset:4096
	;; [unrolled: 2-line block ×3, first 2 shown]
	s_waitcnt lgkmcnt(0)
	s_barrier
	ds_read2_b64 v[8:11], v33 offset1:1
	ds_read2_b64 v[4:7], v33 offset0:2 offset1:3
	s_waitcnt lgkmcnt(0)
	s_barrier
	s_load_dword s0, s[10:11], 0xc
	v_mov_b32_e32 v0, v8
	v_mov_b32_e32 v1, v9
	;; [unrolled: 1-line block ×4, first 2 shown]
	s_waitcnt lgkmcnt(0)
	s_lshr_b32 s7, s0, 16
	s_cmp_lt_u32 s6, s18
	s_cselect_b32 s0, 12, 18
	s_add_u32 s0, s10, s0
	s_addc_u32 s1, s11, 0
	global_load_ushort v14, v13, s[0:1]
	v_mad_u32_u24 v15, v29, s7, v28
	s_movk_i32 s0, 0x400
	s_waitcnt vmcnt(0)
	v_mul_lo_u32 v14, v15, v14
	v_add_lshl_u32 v37, v14, v12, 2
	v_cmp_gt_u32_e32 vcc, s0, v37
	s_and_saveexec_b64 s[22:23], vcc
	s_cbranch_execz .LBB11_62
; %bb.3:
	v_cndmask_b32_e64 v14, 0, 1, s[4:5]
	v_cmp_ne_u32_e64 s[0:1], 1, v14
	s_andn2_b64 vcc, exec, s[4:5]
	s_cbranch_vccnz .LBB11_14
; %bb.4:
	v_pk_mov_b32 v[16:17], s[14:15], s[14:15] op_sel:[0,1]
	v_mad_u64_u32 v[14:15], s[24:25], v10, s12, v[16:17]
	v_mul_lo_u32 v18, v10, s13
	v_mul_lo_u32 v19, v11, s12
	v_add3_u32 v15, v19, v15, v18
	v_mad_u64_u32 v[16:17], s[24:25], v8, s12, v[16:17]
	v_mul_lo_u32 v18, v8, s13
	v_mul_lo_u32 v19, v9, s12
	v_add3_u32 v17, v19, v17, v18
	s_mov_b64 s[26:27], 0
	s_mov_b64 s[38:39], s[12:13]
                                        ; implicit-def: $sgpr24_sgpr25
                                        ; implicit-def: $sgpr28_sgpr29
                                        ; implicit-def: $sgpr34_sgpr35
                                        ; implicit-def: $sgpr30_sgpr31
                                        ; implicit-def: $sgpr36_sgpr37
                                        ; implicit-def: $sgpr40_sgpr41
	s_branch .LBB11_6
.LBB11_5:                               ;   in Loop: Header=BB11_6 Depth=1
	s_or_b64 exec, exec, s[44:45]
	s_and_b64 s[44:45], exec, s[34:35]
	s_or_b64 s[26:27], s[44:45], s[26:27]
	s_andn2_b64 s[40:41], s[40:41], exec
	s_and_b64 s[44:45], s[36:37], exec
	s_or_b64 s[40:41], s[40:41], s[44:45]
	s_andn2_b64 s[28:29], s[28:29], exec
	s_and_b64 s[44:45], s[30:31], exec
	s_andn2_b64 s[24:25], s[24:25], exec
	s_and_b64 s[42:43], s[42:43], exec
	s_or_b64 s[28:29], s[28:29], s[44:45]
	s_or_b64 s[24:25], s[24:25], s[42:43]
	s_andn2_b64 exec, exec, s[26:27]
	s_cbranch_execz .LBB11_9
.LBB11_6:                               ; =>This Inner Loop Header: Depth=1
	global_load_ubyte v18, v[14:15], off
	global_load_ubyte v19, v[16:17], off
	s_andn2_b64 s[36:37], s[36:37], exec
	s_or_b64 s[30:31], s[30:31], exec
	s_or_b64 s[34:35], s[34:35], exec
	s_waitcnt vmcnt(0)
	v_cmp_le_u16_sdwa s[44:45], v18, v19 src0_sel:BYTE_0 src1_sel:BYTE_0
	v_cmp_lt_u16_sdwa s[42:43], v18, v19 src0_sel:BYTE_0 src1_sel:BYTE_0
	s_and_b64 s[44:45], s[44:45], s[40:41]
	v_cmp_eq_u16_sdwa s[46:47], v18, v19 src0_sel:BYTE_0 src1_sel:BYTE_0
	s_or_b64 s[42:43], s[42:43], s[44:45]
	s_and_saveexec_b64 s[44:45], s[46:47]
	s_cbranch_execz .LBB11_5
; %bb.7:                                ;   in Loop: Header=BB11_6 Depth=1
	s_add_u32 s38, s38, -1
	s_addc_u32 s39, s39, -1
	v_add_co_u32_e32 v14, vcc, 1, v14
	s_cmp_eq_u64 s[38:39], 0
	v_addc_co_u32_e32 v15, vcc, 0, v15, vcc
	s_cselect_b64 s[40:41], -1, 0
	v_add_co_u32_e32 v16, vcc, 1, v16
	s_andn2_b64 s[36:37], s[36:37], exec
	s_and_b64 s[46:47], s[42:43], exec
	s_andn2_b64 s[34:35], s[34:35], exec
	s_and_b64 s[40:41], s[40:41], exec
	v_addc_co_u32_e32 v17, vcc, 0, v17, vcc
	s_or_b64 s[36:37], s[36:37], s[46:47]
	s_andn2_b64 s[30:31], s[30:31], exec
	s_or_b64 s[34:35], s[34:35], s[40:41]
                                        ; implicit-def: $sgpr40_sgpr41
	s_branch .LBB11_5
.LBB11_8:
	s_mov_b64 s[22:23], 0
                                        ; implicit-def: $vgpr0_vgpr1
	s_cbranch_execnz .LBB11_519
	s_branch .LBB11_874
.LBB11_9:
	s_or_b64 exec, exec, s[26:27]
	s_and_saveexec_b64 s[26:27], s[28:29]
	s_xor_b64 s[26:27], exec, s[26:27]
	s_cbranch_execz .LBB11_13
; %bb.10:
	v_pk_mov_b32 v[14:15], v[10:11], v[10:11] op_sel:[0,1]
	s_and_saveexec_b64 s[28:29], s[24:25]
; %bb.11:
	v_mov_b32_e32 v0, v10
	v_mov_b32_e32 v1, v11
	;; [unrolled: 1-line block ×4, first 2 shown]
	v_pk_mov_b32 v[14:15], v[8:9], v[8:9] op_sel:[0,1]
	v_pk_mov_b32 v[8:9], v[10:11], v[10:11] op_sel:[0,1]
; %bb.12:
	s_or_b64 exec, exec, s[28:29]
	v_pk_mov_b32 v[10:11], v[14:15], v[14:15] op_sel:[0,1]
.LBB11_13:
	s_or_b64 exec, exec, s[26:27]
.LBB11_14:
	v_mul_lo_u32 v20, v5, s12
	v_mul_lo_u32 v21, v4, s13
	v_mad_u64_u32 v[18:19], s[24:25], v4, s12, 0
	v_mov_b32_e32 v16, v6
	v_mov_b32_e32 v17, v7
	;; [unrolled: 1-line block ×4, first 2 shown]
	s_and_b64 vcc, exec, s[0:1]
	v_add3_u32 v19, v19, v21, v20
	s_cbranch_vccnz .LBB11_24
; %bb.15:
	v_pk_mov_b32 v[22:23], s[14:15], s[14:15] op_sel:[0,1]
	v_mul_lo_u32 v24, v7, s12
	v_mul_lo_u32 v25, v6, s13
	v_mad_u64_u32 v[20:21], s[24:25], v6, s12, 0
	v_mad_u64_u32 v[22:23], s[24:25], v6, s12, v[22:23]
	v_add3_u32 v21, v21, v25, v24
	v_add3_u32 v23, v24, v23, v25
	v_mov_b32_e32 v25, s15
	v_add_co_u32_e32 v24, vcc, s14, v18
	v_addc_co_u32_e32 v25, vcc, v25, v19, vcc
	s_mov_b64 s[28:29], 0
	s_mov_b64 s[38:39], s[12:13]
                                        ; implicit-def: $sgpr24_sgpr25
                                        ; implicit-def: $sgpr26_sgpr27
                                        ; implicit-def: $sgpr34_sgpr35
                                        ; implicit-def: $sgpr30_sgpr31
                                        ; implicit-def: $sgpr36_sgpr37
                                        ; implicit-def: $sgpr40_sgpr41
	s_branch .LBB11_17
.LBB11_16:                              ;   in Loop: Header=BB11_17 Depth=1
	s_or_b64 exec, exec, s[44:45]
	s_and_b64 s[44:45], exec, s[34:35]
	s_or_b64 s[28:29], s[44:45], s[28:29]
	s_andn2_b64 s[40:41], s[40:41], exec
	s_and_b64 s[44:45], s[36:37], exec
	s_or_b64 s[40:41], s[40:41], s[44:45]
	s_andn2_b64 s[26:27], s[26:27], exec
	s_and_b64 s[44:45], s[30:31], exec
	s_andn2_b64 s[24:25], s[24:25], exec
	s_and_b64 s[42:43], s[42:43], exec
	s_or_b64 s[26:27], s[26:27], s[44:45]
	s_or_b64 s[24:25], s[24:25], s[42:43]
	s_andn2_b64 exec, exec, s[28:29]
	s_cbranch_execz .LBB11_19
.LBB11_17:                              ; =>This Inner Loop Header: Depth=1
	global_load_ubyte v38, v[22:23], off
	global_load_ubyte v39, v[24:25], off
	s_andn2_b64 s[36:37], s[36:37], exec
	s_or_b64 s[30:31], s[30:31], exec
	s_or_b64 s[34:35], s[34:35], exec
	s_waitcnt vmcnt(0)
	v_cmp_le_u16_sdwa s[44:45], v38, v39 src0_sel:BYTE_0 src1_sel:BYTE_0
	v_cmp_lt_u16_sdwa s[42:43], v38, v39 src0_sel:BYTE_0 src1_sel:BYTE_0
	s_and_b64 s[44:45], s[44:45], s[40:41]
	v_cmp_eq_u16_sdwa s[46:47], v38, v39 src0_sel:BYTE_0 src1_sel:BYTE_0
	s_or_b64 s[42:43], s[42:43], s[44:45]
	s_and_saveexec_b64 s[44:45], s[46:47]
	s_cbranch_execz .LBB11_16
; %bb.18:                               ;   in Loop: Header=BB11_17 Depth=1
	s_add_u32 s38, s38, -1
	s_addc_u32 s39, s39, -1
	v_add_co_u32_e32 v22, vcc, 1, v22
	s_cmp_eq_u64 s[38:39], 0
	v_addc_co_u32_e32 v23, vcc, 0, v23, vcc
	s_cselect_b64 s[40:41], -1, 0
	v_add_co_u32_e32 v24, vcc, 1, v24
	s_andn2_b64 s[36:37], s[36:37], exec
	s_and_b64 s[46:47], s[42:43], exec
	s_andn2_b64 s[34:35], s[34:35], exec
	s_and_b64 s[40:41], s[40:41], exec
	v_addc_co_u32_e32 v25, vcc, 0, v25, vcc
	s_or_b64 s[36:37], s[36:37], s[46:47]
	s_andn2_b64 s[30:31], s[30:31], exec
	s_or_b64 s[34:35], s[34:35], s[40:41]
                                        ; implicit-def: $sgpr40_sgpr41
	s_branch .LBB11_16
.LBB11_19:
	s_or_b64 exec, exec, s[28:29]
	s_and_saveexec_b64 s[28:29], s[26:27]
	s_xor_b64 s[26:27], exec, s[28:29]
	s_cbranch_execz .LBB11_23
; %bb.20:
	s_and_saveexec_b64 s[28:29], s[24:25]
	s_cbranch_execz .LBB11_22
; %bb.21:
	v_mov_b32_e32 v38, v0
	v_mov_b32_e32 v39, v1
	v_mov_b32_e32 v40, v2
	v_mov_b32_e32 v41, v3
	v_mov_b32_e32 v42, v6
	v_mov_b32_e32 v43, v7
	v_mov_b32_e32 v44, v4
	v_mov_b32_e32 v45, v5
	v_pk_mov_b32 v[22:23], v[16:17], v[16:17] op_sel:[0,1]
	v_pk_mov_b32 v[0:1], v[38:39], v[38:39] op_sel:[0,1]
	;; [unrolled: 1-line block ×8, first 2 shown]
.LBB11_22:
	s_or_b64 exec, exec, s[28:29]
.LBB11_23:
	s_or_b64 exec, exec, s[26:27]
.LBB11_24:
	v_mul_lo_u32 v22, v11, s12
	v_mul_lo_u32 v23, v10, s13
	v_mad_u64_u32 v[20:21], s[24:25], v10, s12, 0
	s_and_b64 vcc, exec, s[0:1]
	v_add3_u32 v21, v21, v23, v22
	s_cbranch_vccnz .LBB11_34
; %bb.25:
	s_mov_b64 s[28:29], 0
	s_mov_b64 s[38:39], s[12:13]
	;; [unrolled: 1-line block ×3, first 2 shown]
                                        ; implicit-def: $sgpr24_sgpr25
                                        ; implicit-def: $sgpr26_sgpr27
                                        ; implicit-def: $sgpr34_sgpr35
                                        ; implicit-def: $sgpr30_sgpr31
                                        ; implicit-def: $sgpr36_sgpr37
                                        ; implicit-def: $sgpr42_sgpr43
	s_branch .LBB11_27
.LBB11_26:                              ;   in Loop: Header=BB11_27 Depth=1
	s_or_b64 exec, exec, s[46:47]
	s_and_b64 s[46:47], exec, s[34:35]
	s_or_b64 s[28:29], s[46:47], s[28:29]
	s_andn2_b64 s[42:43], s[42:43], exec
	s_and_b64 s[46:47], s[36:37], exec
	s_or_b64 s[42:43], s[42:43], s[46:47]
	s_andn2_b64 s[26:27], s[26:27], exec
	s_and_b64 s[46:47], s[30:31], exec
	s_andn2_b64 s[24:25], s[24:25], exec
	s_and_b64 s[44:45], s[44:45], exec
	s_or_b64 s[26:27], s[26:27], s[46:47]
	s_or_b64 s[24:25], s[24:25], s[44:45]
	s_andn2_b64 exec, exec, s[28:29]
	s_cbranch_execz .LBB11_29
.LBB11_27:                              ; =>This Inner Loop Header: Depth=1
	v_mov_b32_e32 v25, s41
	v_add_co_u32_e32 v22, vcc, s40, v18
	v_addc_co_u32_e32 v23, vcc, v25, v19, vcc
	v_add_co_u32_e32 v24, vcc, s40, v20
	v_addc_co_u32_e32 v25, vcc, v25, v21, vcc
	global_load_ubyte v38, v[22:23], off
	global_load_ubyte v39, v[24:25], off
	s_andn2_b64 s[36:37], s[36:37], exec
	s_or_b64 s[30:31], s[30:31], exec
	s_or_b64 s[34:35], s[34:35], exec
	s_waitcnt vmcnt(0)
	v_cmp_le_u16_sdwa s[46:47], v38, v39 src0_sel:BYTE_0 src1_sel:BYTE_0
	v_cmp_lt_u16_sdwa s[44:45], v38, v39 src0_sel:BYTE_0 src1_sel:BYTE_0
	s_and_b64 s[46:47], s[46:47], s[42:43]
	v_cmp_eq_u16_sdwa s[48:49], v38, v39 src0_sel:BYTE_0 src1_sel:BYTE_0
	s_or_b64 s[44:45], s[44:45], s[46:47]
	s_and_saveexec_b64 s[46:47], s[48:49]
	s_cbranch_execz .LBB11_26
; %bb.28:                               ;   in Loop: Header=BB11_27 Depth=1
	s_add_u32 s40, s40, 1
	s_addc_u32 s41, s41, 0
	s_add_u32 s38, s38, -1
	s_addc_u32 s39, s39, -1
	s_cmp_eq_u64 s[38:39], 0
	s_cselect_b64 s[42:43], -1, 0
	s_andn2_b64 s[36:37], s[36:37], exec
	s_and_b64 s[48:49], s[44:45], exec
	s_andn2_b64 s[34:35], s[34:35], exec
	s_and_b64 s[42:43], s[42:43], exec
	s_or_b64 s[36:37], s[36:37], s[48:49]
	s_andn2_b64 s[30:31], s[30:31], exec
	s_or_b64 s[34:35], s[34:35], s[42:43]
                                        ; implicit-def: $sgpr42_sgpr43
	s_branch .LBB11_26
.LBB11_29:
	s_or_b64 exec, exec, s[28:29]
	s_and_saveexec_b64 s[28:29], s[26:27]
	s_xor_b64 s[26:27], exec, s[28:29]
	s_cbranch_execz .LBB11_33
; %bb.30:
	v_pk_mov_b32 v[22:23], v[10:11], v[10:11] op_sel:[0,1]
	s_and_saveexec_b64 s[28:29], s[24:25]
; %bb.31:
	v_mov_b32_e32 v2, v14
	v_mov_b32_e32 v3, v15
	;; [unrolled: 1-line block ×4, first 2 shown]
	v_pk_mov_b32 v[22:23], v[14:15], v[14:15] op_sel:[0,1]
	v_pk_mov_b32 v[14:15], v[10:11], v[10:11] op_sel:[0,1]
	;; [unrolled: 1-line block ×3, first 2 shown]
; %bb.32:
	s_or_b64 exec, exec, s[28:29]
	v_pk_mov_b32 v[10:11], v[22:23], v[22:23] op_sel:[0,1]
.LBB11_33:
	s_or_b64 exec, exec, s[26:27]
.LBB11_34:
	s_and_b64 vcc, exec, s[0:1]
	s_cbranch_vccnz .LBB11_44
; %bb.35:
	v_mov_b32_e32 v19, s15
	v_add_co_u32_e32 v18, vcc, s14, v20
	v_addc_co_u32_e32 v19, vcc, v19, v21, vcc
	v_pk_mov_b32 v[20:21], s[14:15], s[14:15] op_sel:[0,1]
	v_mad_u64_u32 v[20:21], s[24:25], v8, s12, v[20:21]
	v_mul_lo_u32 v22, v8, s13
	v_mul_lo_u32 v23, v9, s12
	v_add3_u32 v21, v23, v21, v22
	s_mov_b64 s[26:27], 0
	s_mov_b64 s[38:39], s[12:13]
                                        ; implicit-def: $sgpr24_sgpr25
                                        ; implicit-def: $sgpr28_sgpr29
                                        ; implicit-def: $sgpr34_sgpr35
                                        ; implicit-def: $sgpr30_sgpr31
                                        ; implicit-def: $sgpr36_sgpr37
                                        ; implicit-def: $sgpr40_sgpr41
	s_branch .LBB11_37
.LBB11_36:                              ;   in Loop: Header=BB11_37 Depth=1
	s_or_b64 exec, exec, s[44:45]
	s_and_b64 s[44:45], exec, s[34:35]
	s_or_b64 s[26:27], s[44:45], s[26:27]
	s_andn2_b64 s[40:41], s[40:41], exec
	s_and_b64 s[44:45], s[36:37], exec
	s_or_b64 s[40:41], s[40:41], s[44:45]
	s_andn2_b64 s[28:29], s[28:29], exec
	s_and_b64 s[44:45], s[30:31], exec
	s_andn2_b64 s[24:25], s[24:25], exec
	s_and_b64 s[42:43], s[42:43], exec
	s_or_b64 s[28:29], s[28:29], s[44:45]
	s_or_b64 s[24:25], s[24:25], s[42:43]
	s_andn2_b64 exec, exec, s[26:27]
	s_cbranch_execz .LBB11_39
.LBB11_37:                              ; =>This Inner Loop Header: Depth=1
	global_load_ubyte v22, v[18:19], off
	global_load_ubyte v23, v[20:21], off
	s_andn2_b64 s[36:37], s[36:37], exec
	s_or_b64 s[30:31], s[30:31], exec
	s_or_b64 s[34:35], s[34:35], exec
	s_waitcnt vmcnt(0)
	v_cmp_le_u16_sdwa s[44:45], v22, v23 src0_sel:BYTE_0 src1_sel:BYTE_0
	v_cmp_lt_u16_sdwa s[42:43], v22, v23 src0_sel:BYTE_0 src1_sel:BYTE_0
	s_and_b64 s[44:45], s[44:45], s[40:41]
	v_cmp_eq_u16_sdwa s[46:47], v22, v23 src0_sel:BYTE_0 src1_sel:BYTE_0
	s_or_b64 s[42:43], s[42:43], s[44:45]
	s_and_saveexec_b64 s[44:45], s[46:47]
	s_cbranch_execz .LBB11_36
; %bb.38:                               ;   in Loop: Header=BB11_37 Depth=1
	s_add_u32 s38, s38, -1
	s_addc_u32 s39, s39, -1
	v_add_co_u32_e32 v18, vcc, 1, v18
	s_cmp_eq_u64 s[38:39], 0
	v_addc_co_u32_e32 v19, vcc, 0, v19, vcc
	s_cselect_b64 s[40:41], -1, 0
	v_add_co_u32_e32 v20, vcc, 1, v20
	s_andn2_b64 s[36:37], s[36:37], exec
	s_and_b64 s[46:47], s[42:43], exec
	s_andn2_b64 s[34:35], s[34:35], exec
	s_and_b64 s[40:41], s[40:41], exec
	v_addc_co_u32_e32 v21, vcc, 0, v21, vcc
	s_or_b64 s[36:37], s[36:37], s[46:47]
	s_andn2_b64 s[30:31], s[30:31], exec
	s_or_b64 s[34:35], s[34:35], s[40:41]
                                        ; implicit-def: $sgpr40_sgpr41
	s_branch .LBB11_36
.LBB11_39:
	s_or_b64 exec, exec, s[26:27]
	s_and_saveexec_b64 s[26:27], s[28:29]
	s_xor_b64 s[26:27], exec, s[26:27]
	s_cbranch_execz .LBB11_43
; %bb.40:
	v_pk_mov_b32 v[18:19], v[10:11], v[10:11] op_sel:[0,1]
	s_and_saveexec_b64 s[28:29], s[24:25]
; %bb.41:
	v_mov_b32_e32 v0, v10
	v_mov_b32_e32 v1, v11
	;; [unrolled: 1-line block ×4, first 2 shown]
	v_pk_mov_b32 v[18:19], v[8:9], v[8:9] op_sel:[0,1]
	v_pk_mov_b32 v[8:9], v[10:11], v[10:11] op_sel:[0,1]
; %bb.42:
	s_or_b64 exec, exec, s[28:29]
	v_pk_mov_b32 v[10:11], v[18:19], v[18:19] op_sel:[0,1]
.LBB11_43:
	s_or_b64 exec, exec, s[26:27]
.LBB11_44:
	v_mul_lo_u32 v20, v15, s12
	v_mul_lo_u32 v21, v14, s13
	v_mad_u64_u32 v[18:19], s[24:25], v14, s12, 0
	s_and_b64 vcc, exec, s[0:1]
	v_add3_u32 v19, v19, v21, v20
	s_cbranch_vccnz .LBB11_54
; %bb.45:
	v_pk_mov_b32 v[22:23], s[14:15], s[14:15] op_sel:[0,1]
	v_mul_lo_u32 v24, v17, s12
	v_mul_lo_u32 v25, v16, s13
	v_mad_u64_u32 v[20:21], s[24:25], v16, s12, 0
	v_mad_u64_u32 v[22:23], s[24:25], v16, s12, v[22:23]
	v_add3_u32 v21, v21, v25, v24
	v_add3_u32 v23, v24, v23, v25
	v_mov_b32_e32 v25, s15
	v_add_co_u32_e32 v24, vcc, s14, v18
	v_addc_co_u32_e32 v25, vcc, v25, v19, vcc
	s_mov_b64 s[28:29], 0
	s_mov_b64 s[38:39], s[12:13]
                                        ; implicit-def: $sgpr24_sgpr25
                                        ; implicit-def: $sgpr26_sgpr27
                                        ; implicit-def: $sgpr34_sgpr35
                                        ; implicit-def: $sgpr30_sgpr31
                                        ; implicit-def: $sgpr36_sgpr37
                                        ; implicit-def: $sgpr40_sgpr41
	s_branch .LBB11_47
.LBB11_46:                              ;   in Loop: Header=BB11_47 Depth=1
	s_or_b64 exec, exec, s[44:45]
	s_and_b64 s[44:45], exec, s[34:35]
	s_or_b64 s[28:29], s[44:45], s[28:29]
	s_andn2_b64 s[40:41], s[40:41], exec
	s_and_b64 s[44:45], s[36:37], exec
	s_or_b64 s[40:41], s[40:41], s[44:45]
	s_andn2_b64 s[26:27], s[26:27], exec
	s_and_b64 s[44:45], s[30:31], exec
	s_andn2_b64 s[24:25], s[24:25], exec
	s_and_b64 s[42:43], s[42:43], exec
	s_or_b64 s[26:27], s[26:27], s[44:45]
	s_or_b64 s[24:25], s[24:25], s[42:43]
	s_andn2_b64 exec, exec, s[28:29]
	s_cbranch_execz .LBB11_49
.LBB11_47:                              ; =>This Inner Loop Header: Depth=1
	global_load_ubyte v38, v[22:23], off
	global_load_ubyte v39, v[24:25], off
	s_andn2_b64 s[36:37], s[36:37], exec
	s_or_b64 s[30:31], s[30:31], exec
	s_or_b64 s[34:35], s[34:35], exec
	s_waitcnt vmcnt(0)
	v_cmp_le_u16_sdwa s[44:45], v38, v39 src0_sel:BYTE_0 src1_sel:BYTE_0
	v_cmp_lt_u16_sdwa s[42:43], v38, v39 src0_sel:BYTE_0 src1_sel:BYTE_0
	s_and_b64 s[44:45], s[44:45], s[40:41]
	v_cmp_eq_u16_sdwa s[46:47], v38, v39 src0_sel:BYTE_0 src1_sel:BYTE_0
	s_or_b64 s[42:43], s[42:43], s[44:45]
	s_and_saveexec_b64 s[44:45], s[46:47]
	s_cbranch_execz .LBB11_46
; %bb.48:                               ;   in Loop: Header=BB11_47 Depth=1
	s_add_u32 s38, s38, -1
	s_addc_u32 s39, s39, -1
	v_add_co_u32_e32 v22, vcc, 1, v22
	s_cmp_eq_u64 s[38:39], 0
	v_addc_co_u32_e32 v23, vcc, 0, v23, vcc
	s_cselect_b64 s[40:41], -1, 0
	v_add_co_u32_e32 v24, vcc, 1, v24
	s_andn2_b64 s[36:37], s[36:37], exec
	s_and_b64 s[46:47], s[42:43], exec
	s_andn2_b64 s[34:35], s[34:35], exec
	s_and_b64 s[40:41], s[40:41], exec
	v_addc_co_u32_e32 v25, vcc, 0, v25, vcc
	s_or_b64 s[36:37], s[36:37], s[46:47]
	s_andn2_b64 s[30:31], s[30:31], exec
	s_or_b64 s[34:35], s[34:35], s[40:41]
                                        ; implicit-def: $sgpr40_sgpr41
	s_branch .LBB11_46
.LBB11_49:
	s_or_b64 exec, exec, s[28:29]
	s_and_saveexec_b64 s[28:29], s[26:27]
	s_xor_b64 s[26:27], exec, s[28:29]
	s_cbranch_execz .LBB11_53
; %bb.50:
	s_and_saveexec_b64 s[28:29], s[24:25]
; %bb.51:
	v_mov_b32_e32 v4, v16
	v_mov_b32_e32 v5, v17
	;; [unrolled: 1-line block ×4, first 2 shown]
	v_pk_mov_b32 v[14:15], v[16:17], v[16:17] op_sel:[0,1]
	v_pk_mov_b32 v[18:19], v[20:21], v[20:21] op_sel:[0,1]
; %bb.52:
	s_or_b64 exec, exec, s[28:29]
.LBB11_53:
	s_or_b64 exec, exec, s[26:27]
.LBB11_54:
	s_and_b64 vcc, exec, s[0:1]
	s_cbranch_vccnz .LBB11_62
; %bb.55:
	v_mov_b32_e32 v17, s15
	v_add_co_u32_e32 v16, vcc, s14, v18
	v_addc_co_u32_e32 v17, vcc, v17, v19, vcc
	v_pk_mov_b32 v[18:19], s[14:15], s[14:15] op_sel:[0,1]
	v_mad_u64_u32 v[18:19], s[0:1], v10, s12, v[18:19]
	v_mul_lo_u32 v20, v10, s13
	v_mul_lo_u32 v21, v11, s12
	v_add3_u32 v19, v21, v19, v20
	s_mov_b64 s[24:25], 0
	s_mov_b64 s[36:37], s[12:13]
                                        ; implicit-def: $sgpr0_sgpr1
                                        ; implicit-def: $sgpr26_sgpr27
                                        ; implicit-def: $sgpr30_sgpr31
                                        ; implicit-def: $sgpr28_sgpr29
                                        ; implicit-def: $sgpr34_sgpr35
                                        ; implicit-def: $sgpr38_sgpr39
	s_branch .LBB11_57
.LBB11_56:                              ;   in Loop: Header=BB11_57 Depth=1
	s_or_b64 exec, exec, s[42:43]
	s_and_b64 s[42:43], exec, s[30:31]
	s_or_b64 s[24:25], s[42:43], s[24:25]
	s_andn2_b64 s[38:39], s[38:39], exec
	s_and_b64 s[42:43], s[34:35], exec
	s_or_b64 s[38:39], s[38:39], s[42:43]
	s_andn2_b64 s[26:27], s[26:27], exec
	s_and_b64 s[42:43], s[28:29], exec
	s_andn2_b64 s[0:1], s[0:1], exec
	s_and_b64 s[40:41], s[40:41], exec
	s_or_b64 s[26:27], s[26:27], s[42:43]
	s_or_b64 s[0:1], s[0:1], s[40:41]
	s_andn2_b64 exec, exec, s[24:25]
	s_cbranch_execz .LBB11_59
.LBB11_57:                              ; =>This Inner Loop Header: Depth=1
	global_load_ubyte v20, v[16:17], off
	global_load_ubyte v21, v[18:19], off
	s_andn2_b64 s[34:35], s[34:35], exec
	s_or_b64 s[28:29], s[28:29], exec
	s_or_b64 s[30:31], s[30:31], exec
	s_waitcnt vmcnt(0)
	v_cmp_le_u16_sdwa s[42:43], v20, v21 src0_sel:BYTE_0 src1_sel:BYTE_0
	v_cmp_lt_u16_sdwa s[40:41], v20, v21 src0_sel:BYTE_0 src1_sel:BYTE_0
	s_and_b64 s[42:43], s[42:43], s[38:39]
	v_cmp_eq_u16_sdwa s[44:45], v20, v21 src0_sel:BYTE_0 src1_sel:BYTE_0
	s_or_b64 s[40:41], s[40:41], s[42:43]
	s_and_saveexec_b64 s[42:43], s[44:45]
	s_cbranch_execz .LBB11_56
; %bb.58:                               ;   in Loop: Header=BB11_57 Depth=1
	s_add_u32 s36, s36, -1
	s_addc_u32 s37, s37, -1
	v_add_co_u32_e32 v16, vcc, 1, v16
	s_cmp_eq_u64 s[36:37], 0
	v_addc_co_u32_e32 v17, vcc, 0, v17, vcc
	s_cselect_b64 s[38:39], -1, 0
	v_add_co_u32_e32 v18, vcc, 1, v18
	s_andn2_b64 s[34:35], s[34:35], exec
	s_and_b64 s[44:45], s[40:41], exec
	s_andn2_b64 s[30:31], s[30:31], exec
	s_and_b64 s[38:39], s[38:39], exec
	v_addc_co_u32_e32 v19, vcc, 0, v19, vcc
	s_or_b64 s[34:35], s[34:35], s[44:45]
	s_andn2_b64 s[28:29], s[28:29], exec
	s_or_b64 s[30:31], s[30:31], s[38:39]
                                        ; implicit-def: $sgpr38_sgpr39
	s_branch .LBB11_56
.LBB11_59:
	s_or_b64 exec, exec, s[24:25]
	s_and_saveexec_b64 s[24:25], s[26:27]
	s_xor_b64 s[24:25], exec, s[24:25]
; %bb.60:
	v_cndmask_b32_e64 v5, v5, v11, s[0:1]
	v_cndmask_b32_e64 v4, v4, v10, s[0:1]
	;; [unrolled: 1-line block ×4, first 2 shown]
; %bb.61:
	s_or_b64 exec, exec, s[24:25]
.LBB11_62:
	s_or_b64 exec, exec, s[22:23]
	v_mbcnt_lo_u32_b32 v10, -1, 0
	v_and_b32_e32 v11, 0xffffff00, v37
	v_mbcnt_hi_u32_b32 v10, -1, v10
	s_movk_i32 s0, 0x400
	v_lshlrev_b32_e32 v16, 3, v11
	v_sub_u32_e64 v17, s0, v11 clamp
	v_lshlrev_b32_e32 v18, 2, v10
	v_lshl_add_u32 v19, v10, 5, v16
	v_mov_b32_e32 v10, v2
	v_mov_b32_e32 v11, v3
	ds_write_b128 v19, v[8:11]
	ds_write_b128 v19, v[4:7] offset:16
	v_or_b32_e32 v8, 4, v18
	v_min_u32_e32 v14, v17, v8
	v_add_u32_e32 v8, 4, v14
	v_and_b32_e32 v22, 0x1f8, v18
	v_min_u32_e32 v15, v17, v8
	v_and_b32_e32 v8, 4, v18
	v_min_u32_e32 v23, v17, v8
	v_sub_u32_e32 v8, v14, v22
	v_sub_u32_e32 v9, v15, v14
	v_sub_u32_e64 v21, v23, v9 clamp
	v_min_u32_e32 v24, v23, v8
	v_lshl_add_u32 v20, v22, 3, v16
	v_cmp_lt_u32_e32 vcc, v21, v24
	; wave barrier
	s_and_saveexec_b64 s[22:23], vcc
	s_cbranch_execz .LBB11_72
; %bb.63:
	v_lshlrev_b32_e32 v8, 3, v14
	v_lshlrev_b32_e32 v9, 3, v23
	v_add3_u32 v25, v16, v8, v9
	v_cndmask_b32_e64 v8, 0, 1, s[4:5]
	s_mov_b64 s[24:25], 0
	v_cmp_ne_u32_e64 s[0:1], 1, v8
	s_branch .LBB11_66
.LBB11_64:                              ;   in Loop: Header=BB11_66 Depth=1
	s_or_b64 exec, exec, s[28:29]
.LBB11_65:                              ;   in Loop: Header=BB11_66 Depth=1
	v_add_u32_e32 v8, 1, v37
	v_cndmask_b32_e64 v24, v24, v37, s[26:27]
	v_cndmask_b32_e64 v21, v8, v21, s[26:27]
	v_cmp_ge_u32_e32 vcc, v21, v24
	s_or_b64 s[24:25], vcc, s[24:25]
	s_andn2_b64 exec, exec, s[24:25]
	s_cbranch_execz .LBB11_71
.LBB11_66:                              ; =>This Loop Header: Depth=1
                                        ;     Child Loop BB11_69 Depth 2
	v_add_u32_e32 v8, v24, v21
	v_lshrrev_b32_e32 v37, 1, v8
	s_and_b64 vcc, exec, s[0:1]
	s_mov_b64 s[26:27], 0
	s_cbranch_vccnz .LBB11_65
; %bb.67:                               ;   in Loop: Header=BB11_66 Depth=1
	v_not_b32_e32 v8, v37
	v_lshl_add_u32 v8, v8, 3, v25
	ds_read_b64 v[8:9], v8
	v_lshl_add_u32 v38, v37, 3, v20
	ds_read_b64 v[38:39], v38
	v_pk_mov_b32 v[10:11], s[14:15], s[14:15] op_sel:[0,1]
	s_mov_b64 s[28:29], 0
	s_waitcnt lgkmcnt(1)
	v_mul_lo_u32 v40, v8, s13
	v_mul_lo_u32 v41, v9, s12
	v_mad_u64_u32 v[8:9], s[26:27], v8, s12, v[10:11]
	v_add3_u32 v9, v41, v9, v40
	s_waitcnt lgkmcnt(0)
	v_mul_lo_u32 v40, v38, s13
	v_mul_lo_u32 v39, v39, s12
	v_mad_u64_u32 v[10:11], s[26:27], v38, s12, v[10:11]
	v_add3_u32 v11, v39, v11, v40
	s_mov_b64 s[36:37], s[12:13]
                                        ; implicit-def: $sgpr26_sgpr27
                                        ; implicit-def: $sgpr30_sgpr31
                                        ; implicit-def: $sgpr34_sgpr35
                                        ; implicit-def: $sgpr38_sgpr39
                                        ; implicit-def: $sgpr40_sgpr41
	s_branch .LBB11_69
.LBB11_68:                              ;   in Loop: Header=BB11_69 Depth=2
	s_or_b64 exec, exec, s[42:43]
	s_and_b64 s[42:43], exec, s[30:31]
	s_or_b64 s[28:29], s[42:43], s[28:29]
	s_andn2_b64 s[40:41], s[40:41], exec
	s_and_b64 s[42:43], s[34:35], exec
	s_or_b64 s[40:41], s[40:41], s[42:43]
	s_andn2_b64 s[26:27], s[26:27], exec
	s_and_b64 s[42:43], s[38:39], exec
	s_or_b64 s[26:27], s[26:27], s[42:43]
	s_andn2_b64 exec, exec, s[28:29]
	s_cbranch_execz .LBB11_64
.LBB11_69:                              ;   Parent Loop BB11_66 Depth=1
                                        ; =>  This Inner Loop Header: Depth=2
	global_load_ubyte v38, v[8:9], off
	global_load_ubyte v39, v[10:11], off
	s_andn2_b64 s[38:39], s[38:39], exec
	s_andn2_b64 s[34:35], s[34:35], exec
	s_or_b64 s[30:31], s[30:31], exec
	s_waitcnt vmcnt(0)
	v_cmp_le_u16_sdwa s[44:45], v38, v39 src0_sel:BYTE_0 src1_sel:BYTE_0
	v_cmp_lt_u16_sdwa s[42:43], v38, v39 src0_sel:BYTE_0 src1_sel:BYTE_0
	s_and_b64 s[44:45], s[44:45], s[40:41]
	s_or_b64 s[44:45], s[42:43], s[44:45]
	s_and_b64 s[42:43], s[44:45], exec
	v_cmp_eq_u16_sdwa s[46:47], v38, v39 src0_sel:BYTE_0 src1_sel:BYTE_0
	s_or_b64 s[38:39], s[38:39], s[42:43]
	s_and_saveexec_b64 s[42:43], s[46:47]
	s_cbranch_execz .LBB11_68
; %bb.70:                               ;   in Loop: Header=BB11_69 Depth=2
	s_add_u32 s36, s36, -1
	s_addc_u32 s37, s37, -1
	v_add_co_u32_e32 v8, vcc, 1, v8
	s_cmp_eq_u64 s[36:37], 0
	v_addc_co_u32_e32 v9, vcc, 0, v9, vcc
	s_cselect_b64 s[40:41], -1, 0
	v_add_co_u32_e32 v10, vcc, 1, v10
	s_andn2_b64 s[34:35], s[34:35], exec
	s_and_b64 s[44:45], s[44:45], exec
	s_andn2_b64 s[30:31], s[30:31], exec
	s_and_b64 s[40:41], s[40:41], exec
	v_addc_co_u32_e32 v11, vcc, 0, v11, vcc
	s_andn2_b64 s[38:39], s[38:39], exec
	s_or_b64 s[34:35], s[34:35], s[44:45]
	s_or_b64 s[30:31], s[30:31], s[40:41]
                                        ; implicit-def: $sgpr40_sgpr41
	s_branch .LBB11_68
.LBB11_71:
	s_or_b64 exec, exec, s[24:25]
.LBB11_72:
	s_or_b64 exec, exec, s[22:23]
	v_add_u32_e32 v9, v14, v23
	v_add_u32_e32 v8, v21, v22
	v_sub_u32_e32 v9, v9, v21
	v_cmp_le_u32_e32 vcc, v8, v14
	v_cmp_le_u32_e64 s[0:1], v9, v15
	s_or_b64 s[0:1], vcc, s[0:1]
	s_and_saveexec_b64 s[22:23], s[0:1]
	s_cbranch_execz .LBB11_119
; %bb.73:
	v_cmp_ge_u32_e32 vcc, v8, v14
	v_cmp_lt_u32_e64 s[0:1], v8, v14
                                        ; implicit-def: $vgpr0_vgpr1
	s_and_saveexec_b64 s[24:25], s[0:1]
	s_cbranch_execz .LBB11_75
; %bb.74:
	v_lshl_add_u32 v0, v21, 3, v20
	ds_read_b64 v[0:1], v0
.LBB11_75:
	s_or_b64 exec, exec, s[24:25]
	v_cmp_ge_u32_e64 s[24:25], v9, v15
	v_cmp_lt_u32_e64 s[0:1], v9, v15
                                        ; implicit-def: $vgpr2_vgpr3
	s_and_saveexec_b64 s[26:27], s[0:1]
	s_cbranch_execz .LBB11_77
; %bb.76:
	v_lshl_add_u32 v2, v9, 3, v16
	ds_read_b64 v[2:3], v2
.LBB11_77:
	s_or_b64 exec, exec, s[26:27]
	s_or_b64 s[26:27], vcc, s[24:25]
	s_mov_b64 s[0:1], -1
	s_xor_b64 s[28:29], s[26:27], -1
	s_and_saveexec_b64 s[26:27], s[28:29]
	s_cbranch_execz .LBB11_86
; %bb.78:
	s_andn2_b64 vcc, exec, s[4:5]
	s_cbranch_vccnz .LBB11_84
; %bb.79:
	v_pk_mov_b32 v[6:7], s[14:15], s[14:15] op_sel:[0,1]
	s_waitcnt lgkmcnt(0)
	v_mad_u64_u32 v[4:5], s[28:29], v2, s12, v[6:7]
	v_mul_lo_u32 v10, v2, s13
	v_mul_lo_u32 v11, v3, s12
	v_add3_u32 v5, v11, v5, v10
	v_mad_u64_u32 v[6:7], s[28:29], v0, s12, v[6:7]
	v_mul_lo_u32 v10, v0, s13
	v_mul_lo_u32 v11, v1, s12
	v_add3_u32 v7, v11, v7, v10
	s_mov_b64 s[28:29], 0
	s_mov_b64 s[38:39], s[12:13]
                                        ; implicit-def: $sgpr30_sgpr31
                                        ; implicit-def: $sgpr34_sgpr35
                                        ; implicit-def: $sgpr40_sgpr41
                                        ; implicit-def: $sgpr36_sgpr37
                                        ; implicit-def: $sgpr42_sgpr43
	s_branch .LBB11_81
.LBB11_80:                              ;   in Loop: Header=BB11_81 Depth=1
	s_or_b64 exec, exec, s[44:45]
	s_and_b64 s[44:45], exec, s[34:35]
	s_or_b64 s[28:29], s[44:45], s[28:29]
	s_andn2_b64 s[42:43], s[42:43], exec
	s_and_b64 s[44:45], s[36:37], exec
	s_or_b64 s[42:43], s[42:43], s[44:45]
	s_andn2_b64 s[30:31], s[30:31], exec
	s_and_b64 s[44:45], s[40:41], exec
	s_or_b64 s[30:31], s[30:31], s[44:45]
	s_andn2_b64 exec, exec, s[28:29]
	s_cbranch_execz .LBB11_83
.LBB11_81:                              ; =>This Inner Loop Header: Depth=1
	global_load_ubyte v10, v[4:5], off
	global_load_ubyte v11, v[6:7], off
	s_andn2_b64 s[40:41], s[40:41], exec
	s_andn2_b64 s[36:37], s[36:37], exec
	s_or_b64 s[34:35], s[34:35], exec
	s_waitcnt vmcnt(0)
	v_cmp_le_u16_sdwa s[46:47], v10, v11 src0_sel:BYTE_0 src1_sel:BYTE_0
	v_cmp_lt_u16_sdwa s[44:45], v10, v11 src0_sel:BYTE_0 src1_sel:BYTE_0
	s_and_b64 s[46:47], s[46:47], s[42:43]
	s_or_b64 s[46:47], s[44:45], s[46:47]
	s_and_b64 s[44:45], s[46:47], exec
	v_cmp_eq_u16_sdwa s[48:49], v10, v11 src0_sel:BYTE_0 src1_sel:BYTE_0
	s_or_b64 s[40:41], s[40:41], s[44:45]
	s_and_saveexec_b64 s[44:45], s[48:49]
	s_cbranch_execz .LBB11_80
; %bb.82:                               ;   in Loop: Header=BB11_81 Depth=1
	s_add_u32 s38, s38, -1
	s_addc_u32 s39, s39, -1
	v_add_co_u32_e32 v4, vcc, 1, v4
	s_cmp_eq_u64 s[38:39], 0
	v_addc_co_u32_e32 v5, vcc, 0, v5, vcc
	s_cselect_b64 s[42:43], -1, 0
	v_add_co_u32_e32 v6, vcc, 1, v6
	s_andn2_b64 s[36:37], s[36:37], exec
	s_and_b64 s[46:47], s[46:47], exec
	s_andn2_b64 s[34:35], s[34:35], exec
	s_and_b64 s[42:43], s[42:43], exec
	v_addc_co_u32_e32 v7, vcc, 0, v7, vcc
	s_or_b64 s[36:37], s[36:37], s[46:47]
	s_andn2_b64 s[40:41], s[40:41], exec
	s_or_b64 s[34:35], s[34:35], s[42:43]
                                        ; implicit-def: $sgpr42_sgpr43
	s_branch .LBB11_80
.LBB11_83:
	s_or_b64 exec, exec, s[28:29]
	s_xor_b64 s[28:29], s[30:31], -1
	s_branch .LBB11_85
.LBB11_84:
	s_mov_b64 s[28:29], -1
.LBB11_85:
	s_andn2_b64 s[24:25], s[24:25], exec
	s_and_b64 s[28:29], s[28:29], exec
	s_or_b64 s[24:25], s[24:25], s[28:29]
.LBB11_86:
	s_or_b64 exec, exec, s[26:27]
	v_cndmask_b32_e64 v4, v9, v8, s[24:25]
	v_cndmask_b32_e64 v5, v15, v14, s[24:25]
	v_add_u32_e32 v6, 1, v4
	v_add_u32_e32 v4, -1, v5
	v_min_u32_e32 v4, v6, v4
	v_lshl_add_u32 v4, v4, 3, v16
	ds_read_b64 v[4:5], v4
	v_cndmask_b32_e64 v9, v6, v9, s[24:25]
	v_cndmask_b32_e64 v8, v8, v6, s[24:25]
	v_cmp_lt_u32_e32 vcc, v9, v15
	s_waitcnt lgkmcnt(0)
	v_cndmask_b32_e64 v20, v5, v3, s[24:25]
	v_cndmask_b32_e64 v21, v4, v2, s[24:25]
	v_cndmask_b32_e64 v22, v1, v5, s[24:25]
	v_cndmask_b32_e64 v23, v0, v4, s[24:25]
	s_and_saveexec_b64 s[26:27], vcc
	s_cbranch_execz .LBB11_97
; %bb.87:
	v_cmp_lt_u32_e32 vcc, v8, v14
	s_mov_b64 s[28:29], 0
	s_and_saveexec_b64 s[0:1], vcc
	s_cbranch_execz .LBB11_96
; %bb.88:
	s_andn2_b64 vcc, exec, s[4:5]
	s_cbranch_vccnz .LBB11_94
; %bb.89:
	v_pk_mov_b32 v[6:7], s[14:15], s[14:15] op_sel:[0,1]
	v_mad_u64_u32 v[4:5], s[28:29], v21, s12, v[6:7]
	v_mul_lo_u32 v10, v21, s13
	v_mul_lo_u32 v11, v20, s12
	v_add3_u32 v5, v11, v5, v10
	v_mad_u64_u32 v[6:7], s[28:29], v23, s12, v[6:7]
	v_mul_lo_u32 v10, v23, s13
	v_mul_lo_u32 v11, v22, s12
	v_add3_u32 v7, v11, v7, v10
	s_mov_b64 s[28:29], 0
	s_mov_b64 s[38:39], s[12:13]
                                        ; implicit-def: $sgpr30_sgpr31
                                        ; implicit-def: $sgpr34_sgpr35
                                        ; implicit-def: $sgpr40_sgpr41
                                        ; implicit-def: $sgpr36_sgpr37
                                        ; implicit-def: $sgpr42_sgpr43
	s_branch .LBB11_91
.LBB11_90:                              ;   in Loop: Header=BB11_91 Depth=1
	s_or_b64 exec, exec, s[44:45]
	s_and_b64 s[44:45], exec, s[34:35]
	s_or_b64 s[28:29], s[44:45], s[28:29]
	s_andn2_b64 s[42:43], s[42:43], exec
	s_and_b64 s[44:45], s[36:37], exec
	s_or_b64 s[42:43], s[42:43], s[44:45]
	s_andn2_b64 s[30:31], s[30:31], exec
	s_and_b64 s[44:45], s[40:41], exec
	s_or_b64 s[30:31], s[30:31], s[44:45]
	s_andn2_b64 exec, exec, s[28:29]
	s_cbranch_execz .LBB11_93
.LBB11_91:                              ; =>This Inner Loop Header: Depth=1
	global_load_ubyte v10, v[4:5], off
	global_load_ubyte v11, v[6:7], off
	s_andn2_b64 s[40:41], s[40:41], exec
	s_andn2_b64 s[36:37], s[36:37], exec
	s_or_b64 s[34:35], s[34:35], exec
	s_waitcnt vmcnt(0)
	v_cmp_le_u16_sdwa s[46:47], v10, v11 src0_sel:BYTE_0 src1_sel:BYTE_0
	v_cmp_lt_u16_sdwa s[44:45], v10, v11 src0_sel:BYTE_0 src1_sel:BYTE_0
	s_and_b64 s[46:47], s[46:47], s[42:43]
	s_or_b64 s[46:47], s[44:45], s[46:47]
	s_and_b64 s[44:45], s[46:47], exec
	v_cmp_eq_u16_sdwa s[48:49], v10, v11 src0_sel:BYTE_0 src1_sel:BYTE_0
	s_or_b64 s[40:41], s[40:41], s[44:45]
	s_and_saveexec_b64 s[44:45], s[48:49]
	s_cbranch_execz .LBB11_90
; %bb.92:                               ;   in Loop: Header=BB11_91 Depth=1
	s_add_u32 s38, s38, -1
	s_addc_u32 s39, s39, -1
	v_add_co_u32_e32 v4, vcc, 1, v4
	s_cmp_eq_u64 s[38:39], 0
	v_addc_co_u32_e32 v5, vcc, 0, v5, vcc
	s_cselect_b64 s[42:43], -1, 0
	v_add_co_u32_e32 v6, vcc, 1, v6
	s_andn2_b64 s[36:37], s[36:37], exec
	s_and_b64 s[46:47], s[46:47], exec
	s_andn2_b64 s[34:35], s[34:35], exec
	s_and_b64 s[42:43], s[42:43], exec
	v_addc_co_u32_e32 v7, vcc, 0, v7, vcc
	s_or_b64 s[36:37], s[36:37], s[46:47]
	s_andn2_b64 s[40:41], s[40:41], exec
	s_or_b64 s[34:35], s[34:35], s[42:43]
                                        ; implicit-def: $sgpr42_sgpr43
	s_branch .LBB11_90
.LBB11_93:
	s_or_b64 exec, exec, s[28:29]
	s_xor_b64 s[28:29], s[30:31], -1
	s_branch .LBB11_95
.LBB11_94:
	s_mov_b64 s[28:29], -1
.LBB11_95:
	s_and_b64 s[28:29], s[28:29], exec
.LBB11_96:
	s_or_b64 exec, exec, s[0:1]
	s_orn2_b64 s[0:1], s[28:29], exec
.LBB11_97:
	s_or_b64 exec, exec, s[26:27]
	v_cndmask_b32_e64 v4, v9, v8, s[0:1]
	v_cndmask_b32_e64 v5, v15, v14, s[0:1]
	v_add_u32_e32 v6, 1, v4
	v_add_u32_e32 v4, -1, v5
	v_min_u32_e32 v4, v6, v4
	v_lshl_add_u32 v4, v4, 3, v16
	ds_read_b64 v[4:5], v4
	v_cndmask_b32_e64 v9, v6, v9, s[0:1]
	v_cndmask_b32_e64 v8, v8, v6, s[0:1]
	v_cmp_lt_u32_e32 vcc, v9, v15
	s_mov_b64 s[26:27], -1
	s_waitcnt lgkmcnt(0)
	v_cndmask_b32_e64 v24, v5, v20, s[0:1]
	v_cndmask_b32_e64 v25, v4, v21, s[0:1]
	;; [unrolled: 1-line block ×4, first 2 shown]
	s_and_saveexec_b64 s[28:29], vcc
	s_cbranch_execz .LBB11_108
; %bb.98:
	v_cmp_lt_u32_e32 vcc, v8, v14
	s_mov_b64 s[30:31], 0
	s_and_saveexec_b64 s[26:27], vcc
	s_cbranch_execz .LBB11_107
; %bb.99:
	s_andn2_b64 vcc, exec, s[4:5]
	s_cbranch_vccnz .LBB11_105
; %bb.100:
	v_pk_mov_b32 v[6:7], s[14:15], s[14:15] op_sel:[0,1]
	v_mad_u64_u32 v[4:5], s[30:31], v25, s12, v[6:7]
	v_mul_lo_u32 v10, v25, s13
	v_mul_lo_u32 v11, v24, s12
	v_add3_u32 v5, v11, v5, v10
	v_mad_u64_u32 v[6:7], s[30:31], v38, s12, v[6:7]
	v_mul_lo_u32 v10, v38, s13
	v_mul_lo_u32 v11, v37, s12
	v_add3_u32 v7, v11, v7, v10
	s_mov_b64 s[30:31], 0
	s_mov_b64 s[40:41], s[12:13]
                                        ; implicit-def: $sgpr34_sgpr35
                                        ; implicit-def: $sgpr36_sgpr37
                                        ; implicit-def: $sgpr42_sgpr43
                                        ; implicit-def: $sgpr38_sgpr39
                                        ; implicit-def: $sgpr44_sgpr45
	s_branch .LBB11_102
.LBB11_101:                             ;   in Loop: Header=BB11_102 Depth=1
	s_or_b64 exec, exec, s[46:47]
	s_and_b64 s[46:47], exec, s[36:37]
	s_or_b64 s[30:31], s[46:47], s[30:31]
	s_andn2_b64 s[44:45], s[44:45], exec
	s_and_b64 s[46:47], s[38:39], exec
	s_or_b64 s[44:45], s[44:45], s[46:47]
	s_andn2_b64 s[34:35], s[34:35], exec
	s_and_b64 s[46:47], s[42:43], exec
	s_or_b64 s[34:35], s[34:35], s[46:47]
	s_andn2_b64 exec, exec, s[30:31]
	s_cbranch_execz .LBB11_104
.LBB11_102:                             ; =>This Inner Loop Header: Depth=1
	global_load_ubyte v10, v[4:5], off
	global_load_ubyte v11, v[6:7], off
	s_andn2_b64 s[42:43], s[42:43], exec
	s_andn2_b64 s[38:39], s[38:39], exec
	s_or_b64 s[36:37], s[36:37], exec
	s_waitcnt vmcnt(0)
	v_cmp_le_u16_sdwa s[48:49], v10, v11 src0_sel:BYTE_0 src1_sel:BYTE_0
	v_cmp_lt_u16_sdwa s[46:47], v10, v11 src0_sel:BYTE_0 src1_sel:BYTE_0
	s_and_b64 s[48:49], s[48:49], s[44:45]
	s_or_b64 s[48:49], s[46:47], s[48:49]
	s_and_b64 s[46:47], s[48:49], exec
	v_cmp_eq_u16_sdwa s[50:51], v10, v11 src0_sel:BYTE_0 src1_sel:BYTE_0
	s_or_b64 s[42:43], s[42:43], s[46:47]
	s_and_saveexec_b64 s[46:47], s[50:51]
	s_cbranch_execz .LBB11_101
; %bb.103:                              ;   in Loop: Header=BB11_102 Depth=1
	s_add_u32 s40, s40, -1
	s_addc_u32 s41, s41, -1
	v_add_co_u32_e32 v4, vcc, 1, v4
	s_cmp_eq_u64 s[40:41], 0
	v_addc_co_u32_e32 v5, vcc, 0, v5, vcc
	s_cselect_b64 s[44:45], -1, 0
	v_add_co_u32_e32 v6, vcc, 1, v6
	s_andn2_b64 s[38:39], s[38:39], exec
	s_and_b64 s[48:49], s[48:49], exec
	s_andn2_b64 s[36:37], s[36:37], exec
	s_and_b64 s[44:45], s[44:45], exec
	v_addc_co_u32_e32 v7, vcc, 0, v7, vcc
	s_or_b64 s[38:39], s[38:39], s[48:49]
	s_andn2_b64 s[42:43], s[42:43], exec
	s_or_b64 s[36:37], s[36:37], s[44:45]
                                        ; implicit-def: $sgpr44_sgpr45
	s_branch .LBB11_101
.LBB11_104:
	s_or_b64 exec, exec, s[30:31]
	s_xor_b64 s[30:31], s[34:35], -1
	s_branch .LBB11_106
.LBB11_105:
	s_mov_b64 s[30:31], -1
.LBB11_106:
	s_and_b64 s[30:31], s[30:31], exec
.LBB11_107:
	s_or_b64 exec, exec, s[26:27]
	s_orn2_b64 s[26:27], s[30:31], exec
.LBB11_108:
	s_or_b64 exec, exec, s[28:29]
	v_cndmask_b32_e64 v4, v9, v8, s[26:27]
	v_cndmask_b32_e64 v5, v15, v14, s[26:27]
	v_add_u32_e32 v10, 1, v4
	v_add_u32_e32 v4, -1, v5
	v_min_u32_e32 v4, v10, v4
	v_lshl_add_u32 v4, v4, 3, v16
	ds_read_b64 v[4:5], v4
	v_cndmask_b32_e64 v9, v10, v9, s[26:27]
	v_cmp_lt_u32_e32 vcc, v9, v15
	s_waitcnt lgkmcnt(0)
	v_cndmask_b32_e64 v7, v37, v5, s[26:27]
	v_cndmask_b32_e64 v6, v38, v4, s[26:27]
	s_and_saveexec_b64 s[28:29], vcc
	s_cbranch_execz .LBB11_118
; %bb.109:
	v_cndmask_b32_e64 v8, v8, v10, s[26:27]
	v_cndmask_b32_e64 v5, v5, v24, s[26:27]
	;; [unrolled: 1-line block ×3, first 2 shown]
	v_cmp_lt_u32_e32 vcc, v8, v14
	s_and_saveexec_b64 s[30:31], vcc
	s_cbranch_execz .LBB11_117
; %bb.110:
	s_andn2_b64 vcc, exec, s[4:5]
	s_cbranch_vccnz .LBB11_116
; %bb.111:
	v_pk_mov_b32 v[10:11], s[14:15], s[14:15] op_sel:[0,1]
	v_mad_u64_u32 v[8:9], s[34:35], v4, s12, v[10:11]
	v_mul_lo_u32 v14, v4, s13
	v_mul_lo_u32 v15, v5, s12
	v_add3_u32 v9, v15, v9, v14
	v_mad_u64_u32 v[10:11], s[34:35], v6, s12, v[10:11]
	v_mul_lo_u32 v14, v6, s13
	v_mul_lo_u32 v15, v7, s12
	v_add3_u32 v11, v15, v11, v14
	s_mov_b64 s[34:35], 0
	s_mov_b64 s[42:43], s[12:13]
                                        ; implicit-def: $sgpr36_sgpr37
                                        ; implicit-def: $sgpr38_sgpr39
                                        ; implicit-def: $sgpr44_sgpr45
                                        ; implicit-def: $sgpr40_sgpr41
                                        ; implicit-def: $sgpr46_sgpr47
	s_branch .LBB11_113
.LBB11_112:                             ;   in Loop: Header=BB11_113 Depth=1
	s_or_b64 exec, exec, s[48:49]
	s_and_b64 s[48:49], exec, s[38:39]
	s_or_b64 s[34:35], s[48:49], s[34:35]
	s_andn2_b64 s[46:47], s[46:47], exec
	s_and_b64 s[48:49], s[40:41], exec
	s_or_b64 s[46:47], s[46:47], s[48:49]
	s_andn2_b64 s[36:37], s[36:37], exec
	s_and_b64 s[48:49], s[44:45], exec
	s_or_b64 s[36:37], s[36:37], s[48:49]
	s_andn2_b64 exec, exec, s[34:35]
	s_cbranch_execz .LBB11_115
.LBB11_113:                             ; =>This Inner Loop Header: Depth=1
	global_load_ubyte v14, v[8:9], off
	global_load_ubyte v15, v[10:11], off
	s_andn2_b64 s[44:45], s[44:45], exec
	s_andn2_b64 s[40:41], s[40:41], exec
	s_or_b64 s[38:39], s[38:39], exec
	s_waitcnt vmcnt(0)
	v_cmp_le_u16_sdwa s[50:51], v14, v15 src0_sel:BYTE_0 src1_sel:BYTE_0
	v_cmp_lt_u16_sdwa s[48:49], v14, v15 src0_sel:BYTE_0 src1_sel:BYTE_0
	s_and_b64 s[50:51], s[50:51], s[46:47]
	s_or_b64 s[50:51], s[48:49], s[50:51]
	s_and_b64 s[48:49], s[50:51], exec
	v_cmp_eq_u16_sdwa s[52:53], v14, v15 src0_sel:BYTE_0 src1_sel:BYTE_0
	s_or_b64 s[44:45], s[44:45], s[48:49]
	s_and_saveexec_b64 s[48:49], s[52:53]
	s_cbranch_execz .LBB11_112
; %bb.114:                              ;   in Loop: Header=BB11_113 Depth=1
	s_add_u32 s42, s42, -1
	s_addc_u32 s43, s43, -1
	v_add_co_u32_e32 v8, vcc, 1, v8
	s_cmp_eq_u64 s[42:43], 0
	v_addc_co_u32_e32 v9, vcc, 0, v9, vcc
	s_cselect_b64 s[46:47], -1, 0
	v_add_co_u32_e32 v10, vcc, 1, v10
	s_andn2_b64 s[40:41], s[40:41], exec
	s_and_b64 s[50:51], s[50:51], exec
	s_andn2_b64 s[38:39], s[38:39], exec
	s_and_b64 s[46:47], s[46:47], exec
	v_addc_co_u32_e32 v11, vcc, 0, v11, vcc
	s_or_b64 s[40:41], s[40:41], s[50:51]
	s_andn2_b64 s[44:45], s[44:45], exec
	s_or_b64 s[38:39], s[38:39], s[46:47]
                                        ; implicit-def: $sgpr46_sgpr47
	s_branch .LBB11_112
.LBB11_115:
	s_or_b64 exec, exec, s[34:35]
	v_cndmask_b32_e64 v7, v7, v5, s[36:37]
	v_cndmask_b32_e64 v6, v6, v4, s[36:37]
.LBB11_116:
	v_pk_mov_b32 v[4:5], v[6:7], v[6:7] op_sel:[0,1]
.LBB11_117:
	s_or_b64 exec, exec, s[30:31]
	v_pk_mov_b32 v[6:7], v[4:5], v[4:5] op_sel:[0,1]
.LBB11_118:
	s_or_b64 exec, exec, s[28:29]
	v_cndmask_b32_e64 v1, v3, v1, s[24:25]
	v_cndmask_b32_e64 v0, v2, v0, s[24:25]
	;; [unrolled: 1-line block ×6, first 2 shown]
.LBB11_119:
	s_or_b64 exec, exec, s[22:23]
	v_and_b32_e32 v22, 0x1f0, v18
	v_or_b32_e32 v8, 8, v22
	v_min_u32_e32 v14, v17, v8
	v_add_u32_e32 v8, 8, v14
	v_min_u32_e32 v15, v17, v8
	v_and_b32_e32 v8, 12, v18
	v_min_u32_e32 v23, v17, v8
	v_sub_u32_e32 v8, v14, v22
	v_sub_u32_e32 v9, v15, v14
	v_sub_u32_e64 v21, v23, v9 clamp
	v_min_u32_e32 v24, v23, v8
	v_lshl_add_u32 v20, v22, 3, v16
	v_cmp_lt_u32_e32 vcc, v21, v24
	; wave barrier
	ds_write_b128 v19, v[0:3]
	ds_write_b128 v19, v[4:7] offset:16
	; wave barrier
	s_and_saveexec_b64 s[22:23], vcc
	s_cbranch_execz .LBB11_129
; %bb.120:
	v_lshlrev_b32_e32 v8, 3, v14
	v_lshlrev_b32_e32 v9, 3, v23
	v_add3_u32 v25, v16, v8, v9
	v_cndmask_b32_e64 v8, 0, 1, s[4:5]
	s_mov_b64 s[24:25], 0
	v_cmp_ne_u32_e64 s[0:1], 1, v8
	s_branch .LBB11_123
.LBB11_121:                             ;   in Loop: Header=BB11_123 Depth=1
	s_or_b64 exec, exec, s[28:29]
.LBB11_122:                             ;   in Loop: Header=BB11_123 Depth=1
	v_add_u32_e32 v8, 1, v37
	v_cndmask_b32_e64 v24, v24, v37, s[26:27]
	v_cndmask_b32_e64 v21, v8, v21, s[26:27]
	v_cmp_ge_u32_e32 vcc, v21, v24
	s_or_b64 s[24:25], vcc, s[24:25]
	s_andn2_b64 exec, exec, s[24:25]
	s_cbranch_execz .LBB11_128
.LBB11_123:                             ; =>This Loop Header: Depth=1
                                        ;     Child Loop BB11_126 Depth 2
	v_add_u32_e32 v8, v24, v21
	v_lshrrev_b32_e32 v37, 1, v8
	s_and_b64 vcc, exec, s[0:1]
	s_mov_b64 s[26:27], 0
	s_cbranch_vccnz .LBB11_122
; %bb.124:                              ;   in Loop: Header=BB11_123 Depth=1
	v_not_b32_e32 v8, v37
	v_lshl_add_u32 v8, v8, 3, v25
	ds_read_b64 v[8:9], v8
	v_lshl_add_u32 v38, v37, 3, v20
	ds_read_b64 v[38:39], v38
	v_pk_mov_b32 v[10:11], s[14:15], s[14:15] op_sel:[0,1]
	s_mov_b64 s[28:29], 0
	s_waitcnt lgkmcnt(1)
	v_mul_lo_u32 v40, v8, s13
	v_mul_lo_u32 v41, v9, s12
	v_mad_u64_u32 v[8:9], s[26:27], v8, s12, v[10:11]
	v_add3_u32 v9, v41, v9, v40
	s_waitcnt lgkmcnt(0)
	v_mul_lo_u32 v40, v38, s13
	v_mul_lo_u32 v39, v39, s12
	v_mad_u64_u32 v[10:11], s[26:27], v38, s12, v[10:11]
	v_add3_u32 v11, v39, v11, v40
	s_mov_b64 s[36:37], s[12:13]
                                        ; implicit-def: $sgpr26_sgpr27
                                        ; implicit-def: $sgpr30_sgpr31
                                        ; implicit-def: $sgpr34_sgpr35
                                        ; implicit-def: $sgpr38_sgpr39
                                        ; implicit-def: $sgpr40_sgpr41
	s_branch .LBB11_126
.LBB11_125:                             ;   in Loop: Header=BB11_126 Depth=2
	s_or_b64 exec, exec, s[42:43]
	s_and_b64 s[42:43], exec, s[30:31]
	s_or_b64 s[28:29], s[42:43], s[28:29]
	s_andn2_b64 s[40:41], s[40:41], exec
	s_and_b64 s[42:43], s[34:35], exec
	s_or_b64 s[40:41], s[40:41], s[42:43]
	s_andn2_b64 s[26:27], s[26:27], exec
	s_and_b64 s[42:43], s[38:39], exec
	s_or_b64 s[26:27], s[26:27], s[42:43]
	s_andn2_b64 exec, exec, s[28:29]
	s_cbranch_execz .LBB11_121
.LBB11_126:                             ;   Parent Loop BB11_123 Depth=1
                                        ; =>  This Inner Loop Header: Depth=2
	global_load_ubyte v38, v[8:9], off
	global_load_ubyte v39, v[10:11], off
	s_andn2_b64 s[38:39], s[38:39], exec
	s_andn2_b64 s[34:35], s[34:35], exec
	s_or_b64 s[30:31], s[30:31], exec
	s_waitcnt vmcnt(0)
	v_cmp_le_u16_sdwa s[44:45], v38, v39 src0_sel:BYTE_0 src1_sel:BYTE_0
	v_cmp_lt_u16_sdwa s[42:43], v38, v39 src0_sel:BYTE_0 src1_sel:BYTE_0
	s_and_b64 s[44:45], s[44:45], s[40:41]
	s_or_b64 s[44:45], s[42:43], s[44:45]
	s_and_b64 s[42:43], s[44:45], exec
	v_cmp_eq_u16_sdwa s[46:47], v38, v39 src0_sel:BYTE_0 src1_sel:BYTE_0
	s_or_b64 s[38:39], s[38:39], s[42:43]
	s_and_saveexec_b64 s[42:43], s[46:47]
	s_cbranch_execz .LBB11_125
; %bb.127:                              ;   in Loop: Header=BB11_126 Depth=2
	s_add_u32 s36, s36, -1
	s_addc_u32 s37, s37, -1
	v_add_co_u32_e32 v8, vcc, 1, v8
	s_cmp_eq_u64 s[36:37], 0
	v_addc_co_u32_e32 v9, vcc, 0, v9, vcc
	s_cselect_b64 s[40:41], -1, 0
	v_add_co_u32_e32 v10, vcc, 1, v10
	s_andn2_b64 s[34:35], s[34:35], exec
	s_and_b64 s[44:45], s[44:45], exec
	s_andn2_b64 s[30:31], s[30:31], exec
	s_and_b64 s[40:41], s[40:41], exec
	v_addc_co_u32_e32 v11, vcc, 0, v11, vcc
	s_andn2_b64 s[38:39], s[38:39], exec
	s_or_b64 s[34:35], s[34:35], s[44:45]
	s_or_b64 s[30:31], s[30:31], s[40:41]
                                        ; implicit-def: $sgpr40_sgpr41
	s_branch .LBB11_125
.LBB11_128:
	s_or_b64 exec, exec, s[24:25]
.LBB11_129:
	s_or_b64 exec, exec, s[22:23]
	v_add_u32_e32 v8, v14, v23
	v_add_u32_e32 v22, v21, v22
	v_sub_u32_e32 v23, v8, v21
	v_cmp_le_u32_e32 vcc, v22, v14
	v_cmp_le_u32_e64 s[0:1], v23, v15
	s_or_b64 s[0:1], vcc, s[0:1]
	s_and_saveexec_b64 s[22:23], s[0:1]
	s_cbranch_execz .LBB11_176
; %bb.130:
	v_cmp_ge_u32_e32 vcc, v22, v14
	v_cmp_lt_u32_e64 s[0:1], v22, v14
                                        ; implicit-def: $vgpr0_vgpr1
	s_and_saveexec_b64 s[24:25], s[0:1]
	s_cbranch_execz .LBB11_132
; %bb.131:
	v_lshl_add_u32 v0, v21, 3, v20
	ds_read_b64 v[0:1], v0
.LBB11_132:
	s_or_b64 exec, exec, s[24:25]
	v_cmp_ge_u32_e64 s[24:25], v23, v15
	v_cmp_lt_u32_e64 s[0:1], v23, v15
                                        ; implicit-def: $vgpr4_vgpr5
	s_and_saveexec_b64 s[26:27], s[0:1]
	s_cbranch_execz .LBB11_134
; %bb.133:
	v_lshl_add_u32 v2, v23, 3, v16
	ds_read_b64 v[4:5], v2
.LBB11_134:
	s_or_b64 exec, exec, s[26:27]
	s_or_b64 s[26:27], vcc, s[24:25]
	s_mov_b64 s[0:1], -1
	s_xor_b64 s[28:29], s[26:27], -1
	s_and_saveexec_b64 s[26:27], s[28:29]
	s_cbranch_execz .LBB11_143
; %bb.135:
	s_andn2_b64 vcc, exec, s[4:5]
	s_cbranch_vccnz .LBB11_141
; %bb.136:
	v_pk_mov_b32 v[6:7], s[14:15], s[14:15] op_sel:[0,1]
	s_waitcnt lgkmcnt(0)
	v_mad_u64_u32 v[2:3], s[28:29], v4, s12, v[6:7]
	v_mul_lo_u32 v8, v4, s13
	v_mul_lo_u32 v9, v5, s12
	v_add3_u32 v3, v9, v3, v8
	v_mad_u64_u32 v[6:7], s[28:29], v0, s12, v[6:7]
	v_mul_lo_u32 v8, v0, s13
	v_mul_lo_u32 v9, v1, s12
	v_add3_u32 v7, v9, v7, v8
	s_mov_b64 s[28:29], 0
	s_mov_b64 s[38:39], s[12:13]
                                        ; implicit-def: $sgpr30_sgpr31
                                        ; implicit-def: $sgpr34_sgpr35
                                        ; implicit-def: $sgpr40_sgpr41
                                        ; implicit-def: $sgpr36_sgpr37
                                        ; implicit-def: $sgpr42_sgpr43
	s_branch .LBB11_138
.LBB11_137:                             ;   in Loop: Header=BB11_138 Depth=1
	s_or_b64 exec, exec, s[44:45]
	s_and_b64 s[44:45], exec, s[34:35]
	s_or_b64 s[28:29], s[44:45], s[28:29]
	s_andn2_b64 s[42:43], s[42:43], exec
	s_and_b64 s[44:45], s[36:37], exec
	s_or_b64 s[42:43], s[42:43], s[44:45]
	s_andn2_b64 s[30:31], s[30:31], exec
	s_and_b64 s[44:45], s[40:41], exec
	s_or_b64 s[30:31], s[30:31], s[44:45]
	s_andn2_b64 exec, exec, s[28:29]
	s_cbranch_execz .LBB11_140
.LBB11_138:                             ; =>This Inner Loop Header: Depth=1
	global_load_ubyte v8, v[2:3], off
	global_load_ubyte v9, v[6:7], off
	s_andn2_b64 s[40:41], s[40:41], exec
	s_andn2_b64 s[36:37], s[36:37], exec
	s_or_b64 s[34:35], s[34:35], exec
	s_waitcnt vmcnt(0)
	v_cmp_le_u16_sdwa s[46:47], v8, v9 src0_sel:BYTE_0 src1_sel:BYTE_0
	v_cmp_lt_u16_sdwa s[44:45], v8, v9 src0_sel:BYTE_0 src1_sel:BYTE_0
	s_and_b64 s[46:47], s[46:47], s[42:43]
	s_or_b64 s[46:47], s[44:45], s[46:47]
	s_and_b64 s[44:45], s[46:47], exec
	v_cmp_eq_u16_sdwa s[48:49], v8, v9 src0_sel:BYTE_0 src1_sel:BYTE_0
	s_or_b64 s[40:41], s[40:41], s[44:45]
	s_and_saveexec_b64 s[44:45], s[48:49]
	s_cbranch_execz .LBB11_137
; %bb.139:                              ;   in Loop: Header=BB11_138 Depth=1
	s_add_u32 s38, s38, -1
	s_addc_u32 s39, s39, -1
	v_add_co_u32_e32 v2, vcc, 1, v2
	s_cmp_eq_u64 s[38:39], 0
	v_addc_co_u32_e32 v3, vcc, 0, v3, vcc
	s_cselect_b64 s[42:43], -1, 0
	v_add_co_u32_e32 v6, vcc, 1, v6
	s_andn2_b64 s[36:37], s[36:37], exec
	s_and_b64 s[46:47], s[46:47], exec
	s_andn2_b64 s[34:35], s[34:35], exec
	s_and_b64 s[42:43], s[42:43], exec
	v_addc_co_u32_e32 v7, vcc, 0, v7, vcc
	s_or_b64 s[36:37], s[36:37], s[46:47]
	s_andn2_b64 s[40:41], s[40:41], exec
	s_or_b64 s[34:35], s[34:35], s[42:43]
                                        ; implicit-def: $sgpr42_sgpr43
	s_branch .LBB11_137
.LBB11_140:
	s_or_b64 exec, exec, s[28:29]
	s_xor_b64 s[28:29], s[30:31], -1
	s_branch .LBB11_142
.LBB11_141:
	s_mov_b64 s[28:29], -1
.LBB11_142:
	s_andn2_b64 s[24:25], s[24:25], exec
	s_and_b64 s[28:29], s[28:29], exec
	s_or_b64 s[24:25], s[24:25], s[28:29]
.LBB11_143:
	s_or_b64 exec, exec, s[26:27]
	v_cndmask_b32_e64 v2, v23, v22, s[24:25]
	v_cndmask_b32_e64 v3, v15, v14, s[24:25]
	v_add_u32_e32 v6, 1, v2
	v_add_u32_e32 v2, -1, v3
	v_min_u32_e32 v2, v6, v2
	v_lshl_add_u32 v2, v2, 3, v16
	ds_read_b64 v[2:3], v2
	v_cndmask_b32_e64 v23, v6, v23, s[24:25]
	v_cndmask_b32_e64 v22, v22, v6, s[24:25]
	v_cmp_lt_u32_e32 vcc, v23, v15
	s_waitcnt lgkmcnt(0)
	v_cndmask_b32_e64 v8, v3, v5, s[24:25]
	v_cndmask_b32_e64 v9, v2, v4, s[24:25]
	;; [unrolled: 1-line block ×4, first 2 shown]
	s_and_saveexec_b64 s[26:27], vcc
	s_cbranch_execz .LBB11_154
; %bb.144:
	v_cmp_lt_u32_e32 vcc, v22, v14
	s_mov_b64 s[28:29], 0
	s_and_saveexec_b64 s[0:1], vcc
	s_cbranch_execz .LBB11_153
; %bb.145:
	s_andn2_b64 vcc, exec, s[4:5]
	s_cbranch_vccnz .LBB11_151
; %bb.146:
	v_pk_mov_b32 v[6:7], s[14:15], s[14:15] op_sel:[0,1]
	v_mad_u64_u32 v[2:3], s[28:29], v9, s12, v[6:7]
	v_mul_lo_u32 v20, v9, s13
	v_mul_lo_u32 v21, v8, s12
	v_add3_u32 v3, v21, v3, v20
	v_mad_u64_u32 v[6:7], s[28:29], v11, s12, v[6:7]
	v_mul_lo_u32 v20, v11, s13
	v_mul_lo_u32 v21, v10, s12
	v_add3_u32 v7, v21, v7, v20
	s_mov_b64 s[28:29], 0
	s_mov_b64 s[38:39], s[12:13]
                                        ; implicit-def: $sgpr30_sgpr31
                                        ; implicit-def: $sgpr34_sgpr35
                                        ; implicit-def: $sgpr40_sgpr41
                                        ; implicit-def: $sgpr36_sgpr37
                                        ; implicit-def: $sgpr42_sgpr43
	s_branch .LBB11_148
.LBB11_147:                             ;   in Loop: Header=BB11_148 Depth=1
	s_or_b64 exec, exec, s[44:45]
	s_and_b64 s[44:45], exec, s[34:35]
	s_or_b64 s[28:29], s[44:45], s[28:29]
	s_andn2_b64 s[42:43], s[42:43], exec
	s_and_b64 s[44:45], s[36:37], exec
	s_or_b64 s[42:43], s[42:43], s[44:45]
	s_andn2_b64 s[30:31], s[30:31], exec
	s_and_b64 s[44:45], s[40:41], exec
	s_or_b64 s[30:31], s[30:31], s[44:45]
	s_andn2_b64 exec, exec, s[28:29]
	s_cbranch_execz .LBB11_150
.LBB11_148:                             ; =>This Inner Loop Header: Depth=1
	global_load_ubyte v20, v[2:3], off
	global_load_ubyte v21, v[6:7], off
	s_andn2_b64 s[40:41], s[40:41], exec
	s_andn2_b64 s[36:37], s[36:37], exec
	s_or_b64 s[34:35], s[34:35], exec
	s_waitcnt vmcnt(0)
	v_cmp_le_u16_sdwa s[46:47], v20, v21 src0_sel:BYTE_0 src1_sel:BYTE_0
	v_cmp_lt_u16_sdwa s[44:45], v20, v21 src0_sel:BYTE_0 src1_sel:BYTE_0
	s_and_b64 s[46:47], s[46:47], s[42:43]
	s_or_b64 s[46:47], s[44:45], s[46:47]
	s_and_b64 s[44:45], s[46:47], exec
	v_cmp_eq_u16_sdwa s[48:49], v20, v21 src0_sel:BYTE_0 src1_sel:BYTE_0
	s_or_b64 s[40:41], s[40:41], s[44:45]
	s_and_saveexec_b64 s[44:45], s[48:49]
	s_cbranch_execz .LBB11_147
; %bb.149:                              ;   in Loop: Header=BB11_148 Depth=1
	s_add_u32 s38, s38, -1
	s_addc_u32 s39, s39, -1
	v_add_co_u32_e32 v2, vcc, 1, v2
	s_cmp_eq_u64 s[38:39], 0
	v_addc_co_u32_e32 v3, vcc, 0, v3, vcc
	s_cselect_b64 s[42:43], -1, 0
	v_add_co_u32_e32 v6, vcc, 1, v6
	s_andn2_b64 s[36:37], s[36:37], exec
	s_and_b64 s[46:47], s[46:47], exec
	s_andn2_b64 s[34:35], s[34:35], exec
	s_and_b64 s[42:43], s[42:43], exec
	v_addc_co_u32_e32 v7, vcc, 0, v7, vcc
	s_or_b64 s[36:37], s[36:37], s[46:47]
	s_andn2_b64 s[40:41], s[40:41], exec
	s_or_b64 s[34:35], s[34:35], s[42:43]
                                        ; implicit-def: $sgpr42_sgpr43
	s_branch .LBB11_147
.LBB11_150:
	s_or_b64 exec, exec, s[28:29]
	s_xor_b64 s[28:29], s[30:31], -1
	s_branch .LBB11_152
.LBB11_151:
	s_mov_b64 s[28:29], -1
.LBB11_152:
	s_and_b64 s[28:29], s[28:29], exec
.LBB11_153:
	s_or_b64 exec, exec, s[0:1]
	s_orn2_b64 s[0:1], s[28:29], exec
.LBB11_154:
	s_or_b64 exec, exec, s[26:27]
	v_cndmask_b32_e64 v2, v23, v22, s[0:1]
	v_cndmask_b32_e64 v3, v15, v14, s[0:1]
	v_add_u32_e32 v6, 1, v2
	v_add_u32_e32 v2, -1, v3
	v_min_u32_e32 v2, v6, v2
	v_lshl_add_u32 v2, v2, 3, v16
	ds_read_b64 v[2:3], v2
	v_cndmask_b32_e64 v23, v6, v23, s[0:1]
	v_cndmask_b32_e64 v22, v22, v6, s[0:1]
	v_cmp_lt_u32_e32 vcc, v23, v15
	s_mov_b64 s[28:29], -1
	s_waitcnt lgkmcnt(0)
	v_cndmask_b32_e64 v20, v3, v8, s[0:1]
	v_cndmask_b32_e64 v21, v2, v9, s[0:1]
	;; [unrolled: 1-line block ×4, first 2 shown]
	s_and_saveexec_b64 s[26:27], vcc
	s_cbranch_execz .LBB11_165
; %bb.155:
	v_cmp_lt_u32_e32 vcc, v22, v14
	s_mov_b64 s[30:31], 0
	s_and_saveexec_b64 s[28:29], vcc
	s_cbranch_execz .LBB11_164
; %bb.156:
	s_andn2_b64 vcc, exec, s[4:5]
	s_cbranch_vccnz .LBB11_162
; %bb.157:
	v_pk_mov_b32 v[6:7], s[14:15], s[14:15] op_sel:[0,1]
	v_mad_u64_u32 v[2:3], s[30:31], v21, s12, v[6:7]
	v_mul_lo_u32 v37, v21, s13
	v_mul_lo_u32 v38, v20, s12
	v_add3_u32 v3, v38, v3, v37
	v_mad_u64_u32 v[6:7], s[30:31], v25, s12, v[6:7]
	v_mul_lo_u32 v37, v25, s13
	v_mul_lo_u32 v38, v24, s12
	v_add3_u32 v7, v38, v7, v37
	s_mov_b64 s[30:31], 0
	s_mov_b64 s[40:41], s[12:13]
                                        ; implicit-def: $sgpr34_sgpr35
                                        ; implicit-def: $sgpr36_sgpr37
                                        ; implicit-def: $sgpr42_sgpr43
                                        ; implicit-def: $sgpr38_sgpr39
                                        ; implicit-def: $sgpr44_sgpr45
	s_branch .LBB11_159
.LBB11_158:                             ;   in Loop: Header=BB11_159 Depth=1
	s_or_b64 exec, exec, s[46:47]
	s_and_b64 s[46:47], exec, s[36:37]
	s_or_b64 s[30:31], s[46:47], s[30:31]
	s_andn2_b64 s[44:45], s[44:45], exec
	s_and_b64 s[46:47], s[38:39], exec
	s_or_b64 s[44:45], s[44:45], s[46:47]
	s_andn2_b64 s[34:35], s[34:35], exec
	s_and_b64 s[46:47], s[42:43], exec
	s_or_b64 s[34:35], s[34:35], s[46:47]
	s_andn2_b64 exec, exec, s[30:31]
	s_cbranch_execz .LBB11_161
.LBB11_159:                             ; =>This Inner Loop Header: Depth=1
	global_load_ubyte v37, v[2:3], off
	global_load_ubyte v38, v[6:7], off
	s_andn2_b64 s[42:43], s[42:43], exec
	s_andn2_b64 s[38:39], s[38:39], exec
	s_or_b64 s[36:37], s[36:37], exec
	s_waitcnt vmcnt(0)
	v_cmp_le_u16_sdwa s[48:49], v37, v38 src0_sel:BYTE_0 src1_sel:BYTE_0
	v_cmp_lt_u16_sdwa s[46:47], v37, v38 src0_sel:BYTE_0 src1_sel:BYTE_0
	s_and_b64 s[48:49], s[48:49], s[44:45]
	s_or_b64 s[48:49], s[46:47], s[48:49]
	s_and_b64 s[46:47], s[48:49], exec
	v_cmp_eq_u16_sdwa s[50:51], v37, v38 src0_sel:BYTE_0 src1_sel:BYTE_0
	s_or_b64 s[42:43], s[42:43], s[46:47]
	s_and_saveexec_b64 s[46:47], s[50:51]
	s_cbranch_execz .LBB11_158
; %bb.160:                              ;   in Loop: Header=BB11_159 Depth=1
	s_add_u32 s40, s40, -1
	s_addc_u32 s41, s41, -1
	v_add_co_u32_e32 v2, vcc, 1, v2
	s_cmp_eq_u64 s[40:41], 0
	v_addc_co_u32_e32 v3, vcc, 0, v3, vcc
	s_cselect_b64 s[44:45], -1, 0
	v_add_co_u32_e32 v6, vcc, 1, v6
	s_andn2_b64 s[38:39], s[38:39], exec
	s_and_b64 s[48:49], s[48:49], exec
	s_andn2_b64 s[36:37], s[36:37], exec
	s_and_b64 s[44:45], s[44:45], exec
	v_addc_co_u32_e32 v7, vcc, 0, v7, vcc
	s_or_b64 s[38:39], s[38:39], s[48:49]
	s_andn2_b64 s[42:43], s[42:43], exec
	s_or_b64 s[36:37], s[36:37], s[44:45]
                                        ; implicit-def: $sgpr44_sgpr45
	s_branch .LBB11_158
.LBB11_161:
	s_or_b64 exec, exec, s[30:31]
	s_xor_b64 s[30:31], s[34:35], -1
	s_branch .LBB11_163
.LBB11_162:
	s_mov_b64 s[30:31], -1
.LBB11_163:
	s_and_b64 s[30:31], s[30:31], exec
.LBB11_164:
	s_or_b64 exec, exec, s[28:29]
	s_orn2_b64 s[28:29], s[30:31], exec
.LBB11_165:
	s_or_b64 exec, exec, s[26:27]
	v_cndmask_b32_e64 v6, v23, v22, s[28:29]
	v_cndmask_b32_e64 v7, v15, v14, s[28:29]
	;; [unrolled: 1-line block ×3, first 2 shown]
	v_add_u32_e32 v10, 1, v6
	v_add_u32_e32 v6, -1, v7
	v_min_u32_e32 v6, v10, v6
	v_lshl_add_u32 v6, v6, 3, v16
	v_cndmask_b32_e64 v2, v9, v11, s[0:1]
	ds_read_b64 v[8:9], v6
	v_cndmask_b32_e64 v11, v10, v23, s[28:29]
	v_cndmask_b32_e64 v1, v5, v1, s[24:25]
	;; [unrolled: 1-line block ×5, first 2 shown]
	s_waitcnt lgkmcnt(0)
	v_cndmask_b32_e64 v7, v24, v9, s[28:29]
	v_cndmask_b32_e64 v6, v25, v8, s[28:29]
	v_cmp_lt_u32_e32 vcc, v11, v15
	s_and_saveexec_b64 s[0:1], vcc
	s_cbranch_execz .LBB11_175
; %bb.166:
	v_cndmask_b32_e64 v10, v22, v10, s[28:29]
	v_cndmask_b32_e64 v9, v9, v20, s[28:29]
	;; [unrolled: 1-line block ×3, first 2 shown]
	v_cmp_lt_u32_e32 vcc, v10, v14
	s_and_saveexec_b64 s[24:25], vcc
	s_cbranch_execz .LBB11_174
; %bb.167:
	s_andn2_b64 vcc, exec, s[4:5]
	s_cbranch_vccnz .LBB11_173
; %bb.168:
	v_pk_mov_b32 v[14:15], s[14:15], s[14:15] op_sel:[0,1]
	v_mad_u64_u32 v[10:11], s[26:27], v8, s12, v[14:15]
	v_mul_lo_u32 v20, v8, s13
	v_mul_lo_u32 v21, v9, s12
	v_add3_u32 v11, v21, v11, v20
	v_mad_u64_u32 v[14:15], s[26:27], v6, s12, v[14:15]
	v_mul_lo_u32 v20, v6, s13
	v_mul_lo_u32 v21, v7, s12
	v_add3_u32 v15, v21, v15, v20
	s_mov_b64 s[26:27], 0
	s_mov_b64 s[36:37], s[12:13]
                                        ; implicit-def: $sgpr28_sgpr29
                                        ; implicit-def: $sgpr30_sgpr31
                                        ; implicit-def: $sgpr38_sgpr39
                                        ; implicit-def: $sgpr34_sgpr35
                                        ; implicit-def: $sgpr40_sgpr41
	s_branch .LBB11_170
.LBB11_169:                             ;   in Loop: Header=BB11_170 Depth=1
	s_or_b64 exec, exec, s[42:43]
	s_and_b64 s[42:43], exec, s[30:31]
	s_or_b64 s[26:27], s[42:43], s[26:27]
	s_andn2_b64 s[40:41], s[40:41], exec
	s_and_b64 s[42:43], s[34:35], exec
	s_or_b64 s[40:41], s[40:41], s[42:43]
	s_andn2_b64 s[28:29], s[28:29], exec
	s_and_b64 s[42:43], s[38:39], exec
	s_or_b64 s[28:29], s[28:29], s[42:43]
	s_andn2_b64 exec, exec, s[26:27]
	s_cbranch_execz .LBB11_172
.LBB11_170:                             ; =>This Inner Loop Header: Depth=1
	global_load_ubyte v20, v[10:11], off
	global_load_ubyte v21, v[14:15], off
	s_andn2_b64 s[38:39], s[38:39], exec
	s_andn2_b64 s[34:35], s[34:35], exec
	s_or_b64 s[30:31], s[30:31], exec
	s_waitcnt vmcnt(0)
	v_cmp_le_u16_sdwa s[44:45], v20, v21 src0_sel:BYTE_0 src1_sel:BYTE_0
	v_cmp_lt_u16_sdwa s[42:43], v20, v21 src0_sel:BYTE_0 src1_sel:BYTE_0
	s_and_b64 s[44:45], s[44:45], s[40:41]
	s_or_b64 s[44:45], s[42:43], s[44:45]
	s_and_b64 s[42:43], s[44:45], exec
	v_cmp_eq_u16_sdwa s[46:47], v20, v21 src0_sel:BYTE_0 src1_sel:BYTE_0
	s_or_b64 s[38:39], s[38:39], s[42:43]
	s_and_saveexec_b64 s[42:43], s[46:47]
	s_cbranch_execz .LBB11_169
; %bb.171:                              ;   in Loop: Header=BB11_170 Depth=1
	s_add_u32 s36, s36, -1
	s_addc_u32 s37, s37, -1
	v_add_co_u32_e32 v10, vcc, 1, v10
	s_cmp_eq_u64 s[36:37], 0
	v_addc_co_u32_e32 v11, vcc, 0, v11, vcc
	s_cselect_b64 s[40:41], -1, 0
	v_add_co_u32_e32 v14, vcc, 1, v14
	s_andn2_b64 s[34:35], s[34:35], exec
	s_and_b64 s[44:45], s[44:45], exec
	s_andn2_b64 s[30:31], s[30:31], exec
	s_and_b64 s[40:41], s[40:41], exec
	v_addc_co_u32_e32 v15, vcc, 0, v15, vcc
	s_or_b64 s[34:35], s[34:35], s[44:45]
	s_andn2_b64 s[38:39], s[38:39], exec
	s_or_b64 s[30:31], s[30:31], s[40:41]
                                        ; implicit-def: $sgpr40_sgpr41
	s_branch .LBB11_169
.LBB11_172:
	s_or_b64 exec, exec, s[26:27]
	v_cndmask_b32_e64 v7, v7, v9, s[28:29]
	v_cndmask_b32_e64 v6, v6, v8, s[28:29]
.LBB11_173:
	v_pk_mov_b32 v[8:9], v[6:7], v[6:7] op_sel:[0,1]
.LBB11_174:
	s_or_b64 exec, exec, s[24:25]
	v_pk_mov_b32 v[6:7], v[8:9], v[8:9] op_sel:[0,1]
.LBB11_175:
	s_or_b64 exec, exec, s[0:1]
.LBB11_176:
	s_or_b64 exec, exec, s[22:23]
	v_and_b32_e32 v22, 0x1e0, v18
	v_or_b32_e32 v8, 16, v22
	v_min_u32_e32 v14, v17, v8
	v_add_u32_e32 v8, 16, v14
	v_min_u32_e32 v15, v17, v8
	v_and_b32_e32 v8, 28, v18
	v_min_u32_e32 v23, v17, v8
	v_sub_u32_e32 v8, v14, v22
	v_sub_u32_e32 v9, v15, v14
	v_sub_u32_e64 v21, v23, v9 clamp
	v_min_u32_e32 v24, v23, v8
	v_lshl_add_u32 v20, v22, 3, v16
	v_cmp_lt_u32_e32 vcc, v21, v24
	; wave barrier
	ds_write_b128 v19, v[0:3]
	ds_write_b128 v19, v[4:7] offset:16
	; wave barrier
	s_and_saveexec_b64 s[22:23], vcc
	s_cbranch_execz .LBB11_186
; %bb.177:
	v_lshlrev_b32_e32 v8, 3, v14
	v_lshlrev_b32_e32 v9, 3, v23
	v_add3_u32 v25, v16, v8, v9
	v_cndmask_b32_e64 v8, 0, 1, s[4:5]
	s_mov_b64 s[24:25], 0
	v_cmp_ne_u32_e64 s[0:1], 1, v8
	s_branch .LBB11_180
.LBB11_178:                             ;   in Loop: Header=BB11_180 Depth=1
	s_or_b64 exec, exec, s[28:29]
.LBB11_179:                             ;   in Loop: Header=BB11_180 Depth=1
	v_add_u32_e32 v8, 1, v37
	v_cndmask_b32_e64 v24, v24, v37, s[26:27]
	v_cndmask_b32_e64 v21, v8, v21, s[26:27]
	v_cmp_ge_u32_e32 vcc, v21, v24
	s_or_b64 s[24:25], vcc, s[24:25]
	s_andn2_b64 exec, exec, s[24:25]
	s_cbranch_execz .LBB11_185
.LBB11_180:                             ; =>This Loop Header: Depth=1
                                        ;     Child Loop BB11_183 Depth 2
	v_add_u32_e32 v8, v24, v21
	v_lshrrev_b32_e32 v37, 1, v8
	s_and_b64 vcc, exec, s[0:1]
	s_mov_b64 s[26:27], 0
	s_cbranch_vccnz .LBB11_179
; %bb.181:                              ;   in Loop: Header=BB11_180 Depth=1
	v_not_b32_e32 v8, v37
	v_lshl_add_u32 v8, v8, 3, v25
	ds_read_b64 v[8:9], v8
	v_lshl_add_u32 v38, v37, 3, v20
	ds_read_b64 v[38:39], v38
	v_pk_mov_b32 v[10:11], s[14:15], s[14:15] op_sel:[0,1]
	s_mov_b64 s[28:29], 0
	s_waitcnt lgkmcnt(1)
	v_mul_lo_u32 v40, v8, s13
	v_mul_lo_u32 v41, v9, s12
	v_mad_u64_u32 v[8:9], s[26:27], v8, s12, v[10:11]
	v_add3_u32 v9, v41, v9, v40
	s_waitcnt lgkmcnt(0)
	v_mul_lo_u32 v40, v38, s13
	v_mul_lo_u32 v39, v39, s12
	v_mad_u64_u32 v[10:11], s[26:27], v38, s12, v[10:11]
	v_add3_u32 v11, v39, v11, v40
	s_mov_b64 s[36:37], s[12:13]
                                        ; implicit-def: $sgpr26_sgpr27
                                        ; implicit-def: $sgpr30_sgpr31
                                        ; implicit-def: $sgpr34_sgpr35
                                        ; implicit-def: $sgpr38_sgpr39
                                        ; implicit-def: $sgpr40_sgpr41
	s_branch .LBB11_183
.LBB11_182:                             ;   in Loop: Header=BB11_183 Depth=2
	s_or_b64 exec, exec, s[42:43]
	s_and_b64 s[42:43], exec, s[30:31]
	s_or_b64 s[28:29], s[42:43], s[28:29]
	s_andn2_b64 s[40:41], s[40:41], exec
	s_and_b64 s[42:43], s[34:35], exec
	s_or_b64 s[40:41], s[40:41], s[42:43]
	s_andn2_b64 s[26:27], s[26:27], exec
	s_and_b64 s[42:43], s[38:39], exec
	s_or_b64 s[26:27], s[26:27], s[42:43]
	s_andn2_b64 exec, exec, s[28:29]
	s_cbranch_execz .LBB11_178
.LBB11_183:                             ;   Parent Loop BB11_180 Depth=1
                                        ; =>  This Inner Loop Header: Depth=2
	global_load_ubyte v38, v[8:9], off
	global_load_ubyte v39, v[10:11], off
	s_andn2_b64 s[38:39], s[38:39], exec
	s_andn2_b64 s[34:35], s[34:35], exec
	s_or_b64 s[30:31], s[30:31], exec
	s_waitcnt vmcnt(0)
	v_cmp_le_u16_sdwa s[44:45], v38, v39 src0_sel:BYTE_0 src1_sel:BYTE_0
	v_cmp_lt_u16_sdwa s[42:43], v38, v39 src0_sel:BYTE_0 src1_sel:BYTE_0
	s_and_b64 s[44:45], s[44:45], s[40:41]
	s_or_b64 s[44:45], s[42:43], s[44:45]
	s_and_b64 s[42:43], s[44:45], exec
	v_cmp_eq_u16_sdwa s[46:47], v38, v39 src0_sel:BYTE_0 src1_sel:BYTE_0
	s_or_b64 s[38:39], s[38:39], s[42:43]
	s_and_saveexec_b64 s[42:43], s[46:47]
	s_cbranch_execz .LBB11_182
; %bb.184:                              ;   in Loop: Header=BB11_183 Depth=2
	s_add_u32 s36, s36, -1
	s_addc_u32 s37, s37, -1
	v_add_co_u32_e32 v8, vcc, 1, v8
	s_cmp_eq_u64 s[36:37], 0
	v_addc_co_u32_e32 v9, vcc, 0, v9, vcc
	s_cselect_b64 s[40:41], -1, 0
	v_add_co_u32_e32 v10, vcc, 1, v10
	s_andn2_b64 s[34:35], s[34:35], exec
	s_and_b64 s[44:45], s[44:45], exec
	s_andn2_b64 s[30:31], s[30:31], exec
	s_and_b64 s[40:41], s[40:41], exec
	v_addc_co_u32_e32 v11, vcc, 0, v11, vcc
	s_andn2_b64 s[38:39], s[38:39], exec
	s_or_b64 s[34:35], s[34:35], s[44:45]
	s_or_b64 s[30:31], s[30:31], s[40:41]
                                        ; implicit-def: $sgpr40_sgpr41
	s_branch .LBB11_182
.LBB11_185:
	s_or_b64 exec, exec, s[24:25]
.LBB11_186:
	s_or_b64 exec, exec, s[22:23]
	v_add_u32_e32 v8, v14, v23
	v_add_u32_e32 v22, v21, v22
	v_sub_u32_e32 v23, v8, v21
	v_cmp_le_u32_e32 vcc, v22, v14
	v_cmp_le_u32_e64 s[0:1], v23, v15
	s_or_b64 s[0:1], vcc, s[0:1]
	s_and_saveexec_b64 s[22:23], s[0:1]
	s_cbranch_execz .LBB11_233
; %bb.187:
	v_cmp_ge_u32_e32 vcc, v22, v14
	v_cmp_lt_u32_e64 s[0:1], v22, v14
                                        ; implicit-def: $vgpr0_vgpr1
	s_and_saveexec_b64 s[24:25], s[0:1]
	s_cbranch_execz .LBB11_189
; %bb.188:
	v_lshl_add_u32 v0, v21, 3, v20
	ds_read_b64 v[0:1], v0
.LBB11_189:
	s_or_b64 exec, exec, s[24:25]
	v_cmp_ge_u32_e64 s[24:25], v23, v15
	v_cmp_lt_u32_e64 s[0:1], v23, v15
                                        ; implicit-def: $vgpr4_vgpr5
	s_and_saveexec_b64 s[26:27], s[0:1]
	s_cbranch_execz .LBB11_191
; %bb.190:
	v_lshl_add_u32 v2, v23, 3, v16
	ds_read_b64 v[4:5], v2
.LBB11_191:
	s_or_b64 exec, exec, s[26:27]
	s_or_b64 s[26:27], vcc, s[24:25]
	s_mov_b64 s[0:1], -1
	s_xor_b64 s[28:29], s[26:27], -1
	s_and_saveexec_b64 s[26:27], s[28:29]
	s_cbranch_execz .LBB11_200
; %bb.192:
	s_andn2_b64 vcc, exec, s[4:5]
	s_cbranch_vccnz .LBB11_198
; %bb.193:
	v_pk_mov_b32 v[6:7], s[14:15], s[14:15] op_sel:[0,1]
	s_waitcnt lgkmcnt(0)
	v_mad_u64_u32 v[2:3], s[28:29], v4, s12, v[6:7]
	v_mul_lo_u32 v8, v4, s13
	v_mul_lo_u32 v9, v5, s12
	v_add3_u32 v3, v9, v3, v8
	v_mad_u64_u32 v[6:7], s[28:29], v0, s12, v[6:7]
	v_mul_lo_u32 v8, v0, s13
	v_mul_lo_u32 v9, v1, s12
	v_add3_u32 v7, v9, v7, v8
	s_mov_b64 s[28:29], 0
	s_mov_b64 s[38:39], s[12:13]
                                        ; implicit-def: $sgpr30_sgpr31
                                        ; implicit-def: $sgpr34_sgpr35
                                        ; implicit-def: $sgpr40_sgpr41
                                        ; implicit-def: $sgpr36_sgpr37
                                        ; implicit-def: $sgpr42_sgpr43
	s_branch .LBB11_195
.LBB11_194:                             ;   in Loop: Header=BB11_195 Depth=1
	s_or_b64 exec, exec, s[44:45]
	s_and_b64 s[44:45], exec, s[34:35]
	s_or_b64 s[28:29], s[44:45], s[28:29]
	s_andn2_b64 s[42:43], s[42:43], exec
	s_and_b64 s[44:45], s[36:37], exec
	s_or_b64 s[42:43], s[42:43], s[44:45]
	s_andn2_b64 s[30:31], s[30:31], exec
	s_and_b64 s[44:45], s[40:41], exec
	s_or_b64 s[30:31], s[30:31], s[44:45]
	s_andn2_b64 exec, exec, s[28:29]
	s_cbranch_execz .LBB11_197
.LBB11_195:                             ; =>This Inner Loop Header: Depth=1
	global_load_ubyte v8, v[2:3], off
	global_load_ubyte v9, v[6:7], off
	s_andn2_b64 s[40:41], s[40:41], exec
	s_andn2_b64 s[36:37], s[36:37], exec
	s_or_b64 s[34:35], s[34:35], exec
	s_waitcnt vmcnt(0)
	v_cmp_le_u16_sdwa s[46:47], v8, v9 src0_sel:BYTE_0 src1_sel:BYTE_0
	v_cmp_lt_u16_sdwa s[44:45], v8, v9 src0_sel:BYTE_0 src1_sel:BYTE_0
	s_and_b64 s[46:47], s[46:47], s[42:43]
	s_or_b64 s[46:47], s[44:45], s[46:47]
	s_and_b64 s[44:45], s[46:47], exec
	v_cmp_eq_u16_sdwa s[48:49], v8, v9 src0_sel:BYTE_0 src1_sel:BYTE_0
	s_or_b64 s[40:41], s[40:41], s[44:45]
	s_and_saveexec_b64 s[44:45], s[48:49]
	s_cbranch_execz .LBB11_194
; %bb.196:                              ;   in Loop: Header=BB11_195 Depth=1
	s_add_u32 s38, s38, -1
	s_addc_u32 s39, s39, -1
	v_add_co_u32_e32 v2, vcc, 1, v2
	s_cmp_eq_u64 s[38:39], 0
	v_addc_co_u32_e32 v3, vcc, 0, v3, vcc
	s_cselect_b64 s[42:43], -1, 0
	v_add_co_u32_e32 v6, vcc, 1, v6
	s_andn2_b64 s[36:37], s[36:37], exec
	s_and_b64 s[46:47], s[46:47], exec
	s_andn2_b64 s[34:35], s[34:35], exec
	s_and_b64 s[42:43], s[42:43], exec
	v_addc_co_u32_e32 v7, vcc, 0, v7, vcc
	s_or_b64 s[36:37], s[36:37], s[46:47]
	s_andn2_b64 s[40:41], s[40:41], exec
	s_or_b64 s[34:35], s[34:35], s[42:43]
                                        ; implicit-def: $sgpr42_sgpr43
	s_branch .LBB11_194
.LBB11_197:
	s_or_b64 exec, exec, s[28:29]
	s_xor_b64 s[28:29], s[30:31], -1
	s_branch .LBB11_199
.LBB11_198:
	s_mov_b64 s[28:29], -1
.LBB11_199:
	s_andn2_b64 s[24:25], s[24:25], exec
	s_and_b64 s[28:29], s[28:29], exec
	s_or_b64 s[24:25], s[24:25], s[28:29]
.LBB11_200:
	s_or_b64 exec, exec, s[26:27]
	v_cndmask_b32_e64 v2, v23, v22, s[24:25]
	v_cndmask_b32_e64 v3, v15, v14, s[24:25]
	v_add_u32_e32 v6, 1, v2
	v_add_u32_e32 v2, -1, v3
	v_min_u32_e32 v2, v6, v2
	v_lshl_add_u32 v2, v2, 3, v16
	ds_read_b64 v[2:3], v2
	v_cndmask_b32_e64 v23, v6, v23, s[24:25]
	v_cndmask_b32_e64 v22, v22, v6, s[24:25]
	v_cmp_lt_u32_e32 vcc, v23, v15
	s_waitcnt lgkmcnt(0)
	v_cndmask_b32_e64 v8, v3, v5, s[24:25]
	v_cndmask_b32_e64 v9, v2, v4, s[24:25]
	;; [unrolled: 1-line block ×4, first 2 shown]
	s_and_saveexec_b64 s[26:27], vcc
	s_cbranch_execz .LBB11_211
; %bb.201:
	v_cmp_lt_u32_e32 vcc, v22, v14
	s_mov_b64 s[28:29], 0
	s_and_saveexec_b64 s[0:1], vcc
	s_cbranch_execz .LBB11_210
; %bb.202:
	s_andn2_b64 vcc, exec, s[4:5]
	s_cbranch_vccnz .LBB11_208
; %bb.203:
	v_pk_mov_b32 v[6:7], s[14:15], s[14:15] op_sel:[0,1]
	v_mad_u64_u32 v[2:3], s[28:29], v9, s12, v[6:7]
	v_mul_lo_u32 v20, v9, s13
	v_mul_lo_u32 v21, v8, s12
	v_add3_u32 v3, v21, v3, v20
	v_mad_u64_u32 v[6:7], s[28:29], v11, s12, v[6:7]
	v_mul_lo_u32 v20, v11, s13
	v_mul_lo_u32 v21, v10, s12
	v_add3_u32 v7, v21, v7, v20
	s_mov_b64 s[28:29], 0
	s_mov_b64 s[38:39], s[12:13]
                                        ; implicit-def: $sgpr30_sgpr31
                                        ; implicit-def: $sgpr34_sgpr35
                                        ; implicit-def: $sgpr40_sgpr41
                                        ; implicit-def: $sgpr36_sgpr37
                                        ; implicit-def: $sgpr42_sgpr43
	s_branch .LBB11_205
.LBB11_204:                             ;   in Loop: Header=BB11_205 Depth=1
	s_or_b64 exec, exec, s[44:45]
	s_and_b64 s[44:45], exec, s[34:35]
	s_or_b64 s[28:29], s[44:45], s[28:29]
	s_andn2_b64 s[42:43], s[42:43], exec
	s_and_b64 s[44:45], s[36:37], exec
	s_or_b64 s[42:43], s[42:43], s[44:45]
	s_andn2_b64 s[30:31], s[30:31], exec
	s_and_b64 s[44:45], s[40:41], exec
	s_or_b64 s[30:31], s[30:31], s[44:45]
	s_andn2_b64 exec, exec, s[28:29]
	s_cbranch_execz .LBB11_207
.LBB11_205:                             ; =>This Inner Loop Header: Depth=1
	global_load_ubyte v20, v[2:3], off
	global_load_ubyte v21, v[6:7], off
	s_andn2_b64 s[40:41], s[40:41], exec
	s_andn2_b64 s[36:37], s[36:37], exec
	s_or_b64 s[34:35], s[34:35], exec
	s_waitcnt vmcnt(0)
	v_cmp_le_u16_sdwa s[46:47], v20, v21 src0_sel:BYTE_0 src1_sel:BYTE_0
	v_cmp_lt_u16_sdwa s[44:45], v20, v21 src0_sel:BYTE_0 src1_sel:BYTE_0
	s_and_b64 s[46:47], s[46:47], s[42:43]
	s_or_b64 s[46:47], s[44:45], s[46:47]
	s_and_b64 s[44:45], s[46:47], exec
	v_cmp_eq_u16_sdwa s[48:49], v20, v21 src0_sel:BYTE_0 src1_sel:BYTE_0
	s_or_b64 s[40:41], s[40:41], s[44:45]
	s_and_saveexec_b64 s[44:45], s[48:49]
	s_cbranch_execz .LBB11_204
; %bb.206:                              ;   in Loop: Header=BB11_205 Depth=1
	s_add_u32 s38, s38, -1
	s_addc_u32 s39, s39, -1
	v_add_co_u32_e32 v2, vcc, 1, v2
	s_cmp_eq_u64 s[38:39], 0
	v_addc_co_u32_e32 v3, vcc, 0, v3, vcc
	s_cselect_b64 s[42:43], -1, 0
	v_add_co_u32_e32 v6, vcc, 1, v6
	s_andn2_b64 s[36:37], s[36:37], exec
	s_and_b64 s[46:47], s[46:47], exec
	s_andn2_b64 s[34:35], s[34:35], exec
	s_and_b64 s[42:43], s[42:43], exec
	v_addc_co_u32_e32 v7, vcc, 0, v7, vcc
	s_or_b64 s[36:37], s[36:37], s[46:47]
	s_andn2_b64 s[40:41], s[40:41], exec
	s_or_b64 s[34:35], s[34:35], s[42:43]
                                        ; implicit-def: $sgpr42_sgpr43
	s_branch .LBB11_204
.LBB11_207:
	s_or_b64 exec, exec, s[28:29]
	s_xor_b64 s[28:29], s[30:31], -1
	s_branch .LBB11_209
.LBB11_208:
	s_mov_b64 s[28:29], -1
.LBB11_209:
	s_and_b64 s[28:29], s[28:29], exec
.LBB11_210:
	s_or_b64 exec, exec, s[0:1]
	s_orn2_b64 s[0:1], s[28:29], exec
.LBB11_211:
	s_or_b64 exec, exec, s[26:27]
	v_cndmask_b32_e64 v2, v23, v22, s[0:1]
	v_cndmask_b32_e64 v3, v15, v14, s[0:1]
	v_add_u32_e32 v6, 1, v2
	v_add_u32_e32 v2, -1, v3
	v_min_u32_e32 v2, v6, v2
	v_lshl_add_u32 v2, v2, 3, v16
	ds_read_b64 v[2:3], v2
	v_cndmask_b32_e64 v23, v6, v23, s[0:1]
	v_cndmask_b32_e64 v22, v22, v6, s[0:1]
	v_cmp_lt_u32_e32 vcc, v23, v15
	s_mov_b64 s[28:29], -1
	s_waitcnt lgkmcnt(0)
	v_cndmask_b32_e64 v20, v3, v8, s[0:1]
	v_cndmask_b32_e64 v21, v2, v9, s[0:1]
	;; [unrolled: 1-line block ×4, first 2 shown]
	s_and_saveexec_b64 s[26:27], vcc
	s_cbranch_execz .LBB11_222
; %bb.212:
	v_cmp_lt_u32_e32 vcc, v22, v14
	s_mov_b64 s[30:31], 0
	s_and_saveexec_b64 s[28:29], vcc
	s_cbranch_execz .LBB11_221
; %bb.213:
	s_andn2_b64 vcc, exec, s[4:5]
	s_cbranch_vccnz .LBB11_219
; %bb.214:
	v_pk_mov_b32 v[6:7], s[14:15], s[14:15] op_sel:[0,1]
	v_mad_u64_u32 v[2:3], s[30:31], v21, s12, v[6:7]
	v_mul_lo_u32 v37, v21, s13
	v_mul_lo_u32 v38, v20, s12
	v_add3_u32 v3, v38, v3, v37
	v_mad_u64_u32 v[6:7], s[30:31], v25, s12, v[6:7]
	v_mul_lo_u32 v37, v25, s13
	v_mul_lo_u32 v38, v24, s12
	v_add3_u32 v7, v38, v7, v37
	s_mov_b64 s[30:31], 0
	s_mov_b64 s[40:41], s[12:13]
                                        ; implicit-def: $sgpr34_sgpr35
                                        ; implicit-def: $sgpr36_sgpr37
                                        ; implicit-def: $sgpr42_sgpr43
                                        ; implicit-def: $sgpr38_sgpr39
                                        ; implicit-def: $sgpr44_sgpr45
	s_branch .LBB11_216
.LBB11_215:                             ;   in Loop: Header=BB11_216 Depth=1
	s_or_b64 exec, exec, s[46:47]
	s_and_b64 s[46:47], exec, s[36:37]
	s_or_b64 s[30:31], s[46:47], s[30:31]
	s_andn2_b64 s[44:45], s[44:45], exec
	s_and_b64 s[46:47], s[38:39], exec
	s_or_b64 s[44:45], s[44:45], s[46:47]
	s_andn2_b64 s[34:35], s[34:35], exec
	s_and_b64 s[46:47], s[42:43], exec
	s_or_b64 s[34:35], s[34:35], s[46:47]
	s_andn2_b64 exec, exec, s[30:31]
	s_cbranch_execz .LBB11_218
.LBB11_216:                             ; =>This Inner Loop Header: Depth=1
	global_load_ubyte v37, v[2:3], off
	global_load_ubyte v38, v[6:7], off
	s_andn2_b64 s[42:43], s[42:43], exec
	s_andn2_b64 s[38:39], s[38:39], exec
	s_or_b64 s[36:37], s[36:37], exec
	s_waitcnt vmcnt(0)
	v_cmp_le_u16_sdwa s[48:49], v37, v38 src0_sel:BYTE_0 src1_sel:BYTE_0
	v_cmp_lt_u16_sdwa s[46:47], v37, v38 src0_sel:BYTE_0 src1_sel:BYTE_0
	s_and_b64 s[48:49], s[48:49], s[44:45]
	s_or_b64 s[48:49], s[46:47], s[48:49]
	s_and_b64 s[46:47], s[48:49], exec
	v_cmp_eq_u16_sdwa s[50:51], v37, v38 src0_sel:BYTE_0 src1_sel:BYTE_0
	s_or_b64 s[42:43], s[42:43], s[46:47]
	s_and_saveexec_b64 s[46:47], s[50:51]
	s_cbranch_execz .LBB11_215
; %bb.217:                              ;   in Loop: Header=BB11_216 Depth=1
	s_add_u32 s40, s40, -1
	s_addc_u32 s41, s41, -1
	v_add_co_u32_e32 v2, vcc, 1, v2
	s_cmp_eq_u64 s[40:41], 0
	v_addc_co_u32_e32 v3, vcc, 0, v3, vcc
	s_cselect_b64 s[44:45], -1, 0
	v_add_co_u32_e32 v6, vcc, 1, v6
	s_andn2_b64 s[38:39], s[38:39], exec
	s_and_b64 s[48:49], s[48:49], exec
	s_andn2_b64 s[36:37], s[36:37], exec
	s_and_b64 s[44:45], s[44:45], exec
	v_addc_co_u32_e32 v7, vcc, 0, v7, vcc
	s_or_b64 s[38:39], s[38:39], s[48:49]
	s_andn2_b64 s[42:43], s[42:43], exec
	s_or_b64 s[36:37], s[36:37], s[44:45]
                                        ; implicit-def: $sgpr44_sgpr45
	s_branch .LBB11_215
.LBB11_218:
	s_or_b64 exec, exec, s[30:31]
	s_xor_b64 s[30:31], s[34:35], -1
	s_branch .LBB11_220
.LBB11_219:
	s_mov_b64 s[30:31], -1
.LBB11_220:
	s_and_b64 s[30:31], s[30:31], exec
.LBB11_221:
	s_or_b64 exec, exec, s[28:29]
	s_orn2_b64 s[28:29], s[30:31], exec
.LBB11_222:
	s_or_b64 exec, exec, s[26:27]
	v_cndmask_b32_e64 v6, v23, v22, s[28:29]
	v_cndmask_b32_e64 v7, v15, v14, s[28:29]
	v_cndmask_b32_e64 v3, v8, v10, s[0:1]
	v_add_u32_e32 v10, 1, v6
	v_add_u32_e32 v6, -1, v7
	v_min_u32_e32 v6, v10, v6
	v_lshl_add_u32 v6, v6, 3, v16
	v_cndmask_b32_e64 v2, v9, v11, s[0:1]
	ds_read_b64 v[8:9], v6
	v_cndmask_b32_e64 v11, v10, v23, s[28:29]
	v_cndmask_b32_e64 v1, v5, v1, s[24:25]
	;; [unrolled: 1-line block ×5, first 2 shown]
	s_waitcnt lgkmcnt(0)
	v_cndmask_b32_e64 v7, v24, v9, s[28:29]
	v_cndmask_b32_e64 v6, v25, v8, s[28:29]
	v_cmp_lt_u32_e32 vcc, v11, v15
	s_and_saveexec_b64 s[0:1], vcc
	s_cbranch_execz .LBB11_232
; %bb.223:
	v_cndmask_b32_e64 v10, v22, v10, s[28:29]
	v_cndmask_b32_e64 v9, v9, v20, s[28:29]
	;; [unrolled: 1-line block ×3, first 2 shown]
	v_cmp_lt_u32_e32 vcc, v10, v14
	s_and_saveexec_b64 s[24:25], vcc
	s_cbranch_execz .LBB11_231
; %bb.224:
	s_andn2_b64 vcc, exec, s[4:5]
	s_cbranch_vccnz .LBB11_230
; %bb.225:
	v_pk_mov_b32 v[14:15], s[14:15], s[14:15] op_sel:[0,1]
	v_mad_u64_u32 v[10:11], s[26:27], v8, s12, v[14:15]
	v_mul_lo_u32 v20, v8, s13
	v_mul_lo_u32 v21, v9, s12
	v_add3_u32 v11, v21, v11, v20
	v_mad_u64_u32 v[14:15], s[26:27], v6, s12, v[14:15]
	v_mul_lo_u32 v20, v6, s13
	v_mul_lo_u32 v21, v7, s12
	v_add3_u32 v15, v21, v15, v20
	s_mov_b64 s[26:27], 0
	s_mov_b64 s[36:37], s[12:13]
                                        ; implicit-def: $sgpr28_sgpr29
                                        ; implicit-def: $sgpr30_sgpr31
                                        ; implicit-def: $sgpr38_sgpr39
                                        ; implicit-def: $sgpr34_sgpr35
                                        ; implicit-def: $sgpr40_sgpr41
	s_branch .LBB11_227
.LBB11_226:                             ;   in Loop: Header=BB11_227 Depth=1
	s_or_b64 exec, exec, s[42:43]
	s_and_b64 s[42:43], exec, s[30:31]
	s_or_b64 s[26:27], s[42:43], s[26:27]
	s_andn2_b64 s[40:41], s[40:41], exec
	s_and_b64 s[42:43], s[34:35], exec
	s_or_b64 s[40:41], s[40:41], s[42:43]
	s_andn2_b64 s[28:29], s[28:29], exec
	s_and_b64 s[42:43], s[38:39], exec
	s_or_b64 s[28:29], s[28:29], s[42:43]
	s_andn2_b64 exec, exec, s[26:27]
	s_cbranch_execz .LBB11_229
.LBB11_227:                             ; =>This Inner Loop Header: Depth=1
	global_load_ubyte v20, v[10:11], off
	global_load_ubyte v21, v[14:15], off
	s_andn2_b64 s[38:39], s[38:39], exec
	s_andn2_b64 s[34:35], s[34:35], exec
	s_or_b64 s[30:31], s[30:31], exec
	s_waitcnt vmcnt(0)
	v_cmp_le_u16_sdwa s[44:45], v20, v21 src0_sel:BYTE_0 src1_sel:BYTE_0
	v_cmp_lt_u16_sdwa s[42:43], v20, v21 src0_sel:BYTE_0 src1_sel:BYTE_0
	s_and_b64 s[44:45], s[44:45], s[40:41]
	s_or_b64 s[44:45], s[42:43], s[44:45]
	s_and_b64 s[42:43], s[44:45], exec
	v_cmp_eq_u16_sdwa s[46:47], v20, v21 src0_sel:BYTE_0 src1_sel:BYTE_0
	s_or_b64 s[38:39], s[38:39], s[42:43]
	s_and_saveexec_b64 s[42:43], s[46:47]
	s_cbranch_execz .LBB11_226
; %bb.228:                              ;   in Loop: Header=BB11_227 Depth=1
	s_add_u32 s36, s36, -1
	s_addc_u32 s37, s37, -1
	v_add_co_u32_e32 v10, vcc, 1, v10
	s_cmp_eq_u64 s[36:37], 0
	v_addc_co_u32_e32 v11, vcc, 0, v11, vcc
	s_cselect_b64 s[40:41], -1, 0
	v_add_co_u32_e32 v14, vcc, 1, v14
	s_andn2_b64 s[34:35], s[34:35], exec
	s_and_b64 s[44:45], s[44:45], exec
	s_andn2_b64 s[30:31], s[30:31], exec
	s_and_b64 s[40:41], s[40:41], exec
	v_addc_co_u32_e32 v15, vcc, 0, v15, vcc
	s_or_b64 s[34:35], s[34:35], s[44:45]
	s_andn2_b64 s[38:39], s[38:39], exec
	s_or_b64 s[30:31], s[30:31], s[40:41]
                                        ; implicit-def: $sgpr40_sgpr41
	s_branch .LBB11_226
.LBB11_229:
	s_or_b64 exec, exec, s[26:27]
	v_cndmask_b32_e64 v7, v7, v9, s[28:29]
	v_cndmask_b32_e64 v6, v6, v8, s[28:29]
.LBB11_230:
	v_pk_mov_b32 v[8:9], v[6:7], v[6:7] op_sel:[0,1]
.LBB11_231:
	s_or_b64 exec, exec, s[24:25]
	v_pk_mov_b32 v[6:7], v[8:9], v[8:9] op_sel:[0,1]
.LBB11_232:
	s_or_b64 exec, exec, s[0:1]
.LBB11_233:
	s_or_b64 exec, exec, s[22:23]
	; wave barrier
	ds_write_b128 v19, v[0:3]
	ds_write_b128 v19, v[4:7] offset:16
	v_and_b32_e32 v19, 0x1c0, v18
	v_or_b32_e32 v8, 32, v19
	v_min_u32_e32 v14, v17, v8
	v_add_u32_e32 v8, 32, v14
	v_min_u32_e32 v15, v17, v8
	v_and_b32_e32 v8, 60, v18
	v_min_u32_e32 v20, v17, v8
	v_sub_u32_e32 v8, v14, v19
	v_sub_u32_e32 v9, v15, v14
	v_sub_u32_e64 v18, v20, v9 clamp
	v_min_u32_e32 v21, v20, v8
	v_lshl_add_u32 v17, v19, 3, v16
	v_cmp_lt_u32_e32 vcc, v18, v21
	; wave barrier
	s_and_saveexec_b64 s[22:23], vcc
	s_cbranch_execz .LBB11_243
; %bb.234:
	v_lshlrev_b32_e32 v8, 3, v14
	v_lshlrev_b32_e32 v9, 3, v20
	v_add3_u32 v22, v16, v8, v9
	v_cndmask_b32_e64 v8, 0, 1, s[4:5]
	s_mov_b64 s[24:25], 0
	v_cmp_ne_u32_e64 s[0:1], 1, v8
	s_branch .LBB11_237
.LBB11_235:                             ;   in Loop: Header=BB11_237 Depth=1
	s_or_b64 exec, exec, s[28:29]
.LBB11_236:                             ;   in Loop: Header=BB11_237 Depth=1
	v_add_u32_e32 v8, 1, v23
	v_cndmask_b32_e64 v21, v21, v23, s[26:27]
	v_cndmask_b32_e64 v18, v8, v18, s[26:27]
	v_cmp_ge_u32_e32 vcc, v18, v21
	s_or_b64 s[24:25], vcc, s[24:25]
	s_andn2_b64 exec, exec, s[24:25]
	s_cbranch_execz .LBB11_242
.LBB11_237:                             ; =>This Loop Header: Depth=1
                                        ;     Child Loop BB11_240 Depth 2
	v_add_u32_e32 v8, v21, v18
	v_lshrrev_b32_e32 v23, 1, v8
	s_and_b64 vcc, exec, s[0:1]
	s_mov_b64 s[26:27], 0
	s_cbranch_vccnz .LBB11_236
; %bb.238:                              ;   in Loop: Header=BB11_237 Depth=1
	v_not_b32_e32 v8, v23
	v_lshl_add_u32 v8, v8, 3, v22
	ds_read_b64 v[8:9], v8
	v_lshl_add_u32 v24, v23, 3, v17
	ds_read_b64 v[24:25], v24
	v_pk_mov_b32 v[10:11], s[14:15], s[14:15] op_sel:[0,1]
	s_mov_b64 s[28:29], 0
	s_waitcnt lgkmcnt(1)
	v_mul_lo_u32 v37, v8, s13
	v_mul_lo_u32 v38, v9, s12
	v_mad_u64_u32 v[8:9], s[26:27], v8, s12, v[10:11]
	v_add3_u32 v9, v38, v9, v37
	s_waitcnt lgkmcnt(0)
	v_mul_lo_u32 v37, v24, s13
	v_mul_lo_u32 v25, v25, s12
	v_mad_u64_u32 v[10:11], s[26:27], v24, s12, v[10:11]
	v_add3_u32 v11, v25, v11, v37
	s_mov_b64 s[36:37], s[12:13]
                                        ; implicit-def: $sgpr26_sgpr27
                                        ; implicit-def: $sgpr30_sgpr31
                                        ; implicit-def: $sgpr34_sgpr35
                                        ; implicit-def: $sgpr38_sgpr39
                                        ; implicit-def: $sgpr40_sgpr41
	s_branch .LBB11_240
.LBB11_239:                             ;   in Loop: Header=BB11_240 Depth=2
	s_or_b64 exec, exec, s[42:43]
	s_and_b64 s[42:43], exec, s[30:31]
	s_or_b64 s[28:29], s[42:43], s[28:29]
	s_andn2_b64 s[40:41], s[40:41], exec
	s_and_b64 s[42:43], s[34:35], exec
	s_or_b64 s[40:41], s[40:41], s[42:43]
	s_andn2_b64 s[26:27], s[26:27], exec
	s_and_b64 s[42:43], s[38:39], exec
	s_or_b64 s[26:27], s[26:27], s[42:43]
	s_andn2_b64 exec, exec, s[28:29]
	s_cbranch_execz .LBB11_235
.LBB11_240:                             ;   Parent Loop BB11_237 Depth=1
                                        ; =>  This Inner Loop Header: Depth=2
	global_load_ubyte v24, v[8:9], off
	global_load_ubyte v25, v[10:11], off
	s_andn2_b64 s[38:39], s[38:39], exec
	s_andn2_b64 s[34:35], s[34:35], exec
	s_or_b64 s[30:31], s[30:31], exec
	s_waitcnt vmcnt(0)
	v_cmp_le_u16_sdwa s[44:45], v24, v25 src0_sel:BYTE_0 src1_sel:BYTE_0
	v_cmp_lt_u16_sdwa s[42:43], v24, v25 src0_sel:BYTE_0 src1_sel:BYTE_0
	s_and_b64 s[44:45], s[44:45], s[40:41]
	s_or_b64 s[44:45], s[42:43], s[44:45]
	s_and_b64 s[42:43], s[44:45], exec
	v_cmp_eq_u16_sdwa s[46:47], v24, v25 src0_sel:BYTE_0 src1_sel:BYTE_0
	s_or_b64 s[38:39], s[38:39], s[42:43]
	s_and_saveexec_b64 s[42:43], s[46:47]
	s_cbranch_execz .LBB11_239
; %bb.241:                              ;   in Loop: Header=BB11_240 Depth=2
	s_add_u32 s36, s36, -1
	s_addc_u32 s37, s37, -1
	v_add_co_u32_e32 v8, vcc, 1, v8
	s_cmp_eq_u64 s[36:37], 0
	v_addc_co_u32_e32 v9, vcc, 0, v9, vcc
	s_cselect_b64 s[40:41], -1, 0
	v_add_co_u32_e32 v10, vcc, 1, v10
	s_andn2_b64 s[34:35], s[34:35], exec
	s_and_b64 s[44:45], s[44:45], exec
	s_andn2_b64 s[30:31], s[30:31], exec
	s_and_b64 s[40:41], s[40:41], exec
	v_addc_co_u32_e32 v11, vcc, 0, v11, vcc
	s_andn2_b64 s[38:39], s[38:39], exec
	s_or_b64 s[34:35], s[34:35], s[44:45]
	s_or_b64 s[30:31], s[30:31], s[40:41]
                                        ; implicit-def: $sgpr40_sgpr41
	s_branch .LBB11_239
.LBB11_242:
	s_or_b64 exec, exec, s[24:25]
.LBB11_243:
	s_or_b64 exec, exec, s[22:23]
	v_add_u32_e32 v8, v14, v20
	v_add_u32_e32 v19, v18, v19
	v_sub_u32_e32 v20, v8, v18
	v_cmp_le_u32_e32 vcc, v19, v14
	v_cmp_le_u32_e64 s[0:1], v20, v15
	s_or_b64 s[0:1], vcc, s[0:1]
	s_and_saveexec_b64 s[22:23], s[0:1]
	s_cbranch_execz .LBB11_290
; %bb.244:
	v_cmp_ge_u32_e32 vcc, v19, v14
	v_cmp_lt_u32_e64 s[0:1], v19, v14
                                        ; implicit-def: $vgpr0_vgpr1
	s_and_saveexec_b64 s[24:25], s[0:1]
	s_cbranch_execz .LBB11_246
; %bb.245:
	v_lshl_add_u32 v0, v18, 3, v17
	ds_read_b64 v[0:1], v0
.LBB11_246:
	s_or_b64 exec, exec, s[24:25]
	v_cmp_ge_u32_e64 s[24:25], v20, v15
	v_cmp_lt_u32_e64 s[0:1], v20, v15
                                        ; implicit-def: $vgpr4_vgpr5
	s_and_saveexec_b64 s[26:27], s[0:1]
	s_cbranch_execz .LBB11_248
; %bb.247:
	v_lshl_add_u32 v2, v20, 3, v16
	ds_read_b64 v[4:5], v2
.LBB11_248:
	s_or_b64 exec, exec, s[26:27]
	s_or_b64 s[26:27], vcc, s[24:25]
	s_mov_b64 s[0:1], -1
	s_xor_b64 s[28:29], s[26:27], -1
	s_and_saveexec_b64 s[26:27], s[28:29]
	s_cbranch_execz .LBB11_257
; %bb.249:
	s_andn2_b64 vcc, exec, s[4:5]
	s_cbranch_vccnz .LBB11_255
; %bb.250:
	v_pk_mov_b32 v[6:7], s[14:15], s[14:15] op_sel:[0,1]
	s_waitcnt lgkmcnt(0)
	v_mad_u64_u32 v[2:3], s[28:29], v4, s12, v[6:7]
	v_mul_lo_u32 v8, v4, s13
	v_mul_lo_u32 v9, v5, s12
	v_add3_u32 v3, v9, v3, v8
	v_mad_u64_u32 v[6:7], s[28:29], v0, s12, v[6:7]
	v_mul_lo_u32 v8, v0, s13
	v_mul_lo_u32 v9, v1, s12
	v_add3_u32 v7, v9, v7, v8
	s_mov_b64 s[28:29], 0
	s_mov_b64 s[38:39], s[12:13]
                                        ; implicit-def: $sgpr30_sgpr31
                                        ; implicit-def: $sgpr34_sgpr35
                                        ; implicit-def: $sgpr40_sgpr41
                                        ; implicit-def: $sgpr36_sgpr37
                                        ; implicit-def: $sgpr42_sgpr43
	s_branch .LBB11_252
.LBB11_251:                             ;   in Loop: Header=BB11_252 Depth=1
	s_or_b64 exec, exec, s[44:45]
	s_and_b64 s[44:45], exec, s[34:35]
	s_or_b64 s[28:29], s[44:45], s[28:29]
	s_andn2_b64 s[42:43], s[42:43], exec
	s_and_b64 s[44:45], s[36:37], exec
	s_or_b64 s[42:43], s[42:43], s[44:45]
	s_andn2_b64 s[30:31], s[30:31], exec
	s_and_b64 s[44:45], s[40:41], exec
	s_or_b64 s[30:31], s[30:31], s[44:45]
	s_andn2_b64 exec, exec, s[28:29]
	s_cbranch_execz .LBB11_254
.LBB11_252:                             ; =>This Inner Loop Header: Depth=1
	global_load_ubyte v8, v[2:3], off
	global_load_ubyte v9, v[6:7], off
	s_andn2_b64 s[40:41], s[40:41], exec
	s_andn2_b64 s[36:37], s[36:37], exec
	s_or_b64 s[34:35], s[34:35], exec
	s_waitcnt vmcnt(0)
	v_cmp_le_u16_sdwa s[46:47], v8, v9 src0_sel:BYTE_0 src1_sel:BYTE_0
	v_cmp_lt_u16_sdwa s[44:45], v8, v9 src0_sel:BYTE_0 src1_sel:BYTE_0
	s_and_b64 s[46:47], s[46:47], s[42:43]
	s_or_b64 s[46:47], s[44:45], s[46:47]
	s_and_b64 s[44:45], s[46:47], exec
	v_cmp_eq_u16_sdwa s[48:49], v8, v9 src0_sel:BYTE_0 src1_sel:BYTE_0
	s_or_b64 s[40:41], s[40:41], s[44:45]
	s_and_saveexec_b64 s[44:45], s[48:49]
	s_cbranch_execz .LBB11_251
; %bb.253:                              ;   in Loop: Header=BB11_252 Depth=1
	s_add_u32 s38, s38, -1
	s_addc_u32 s39, s39, -1
	v_add_co_u32_e32 v2, vcc, 1, v2
	s_cmp_eq_u64 s[38:39], 0
	v_addc_co_u32_e32 v3, vcc, 0, v3, vcc
	s_cselect_b64 s[42:43], -1, 0
	v_add_co_u32_e32 v6, vcc, 1, v6
	s_andn2_b64 s[36:37], s[36:37], exec
	s_and_b64 s[46:47], s[46:47], exec
	s_andn2_b64 s[34:35], s[34:35], exec
	s_and_b64 s[42:43], s[42:43], exec
	v_addc_co_u32_e32 v7, vcc, 0, v7, vcc
	s_or_b64 s[36:37], s[36:37], s[46:47]
	s_andn2_b64 s[40:41], s[40:41], exec
	s_or_b64 s[34:35], s[34:35], s[42:43]
                                        ; implicit-def: $sgpr42_sgpr43
	s_branch .LBB11_251
.LBB11_254:
	s_or_b64 exec, exec, s[28:29]
	s_xor_b64 s[28:29], s[30:31], -1
	s_branch .LBB11_256
.LBB11_255:
	s_mov_b64 s[28:29], -1
.LBB11_256:
	s_andn2_b64 s[24:25], s[24:25], exec
	s_and_b64 s[28:29], s[28:29], exec
	s_or_b64 s[24:25], s[24:25], s[28:29]
.LBB11_257:
	s_or_b64 exec, exec, s[26:27]
	v_cndmask_b32_e64 v2, v20, v19, s[24:25]
	v_cndmask_b32_e64 v3, v15, v14, s[24:25]
	v_add_u32_e32 v6, 1, v2
	v_add_u32_e32 v2, -1, v3
	v_min_u32_e32 v2, v6, v2
	v_lshl_add_u32 v2, v2, 3, v16
	ds_read_b64 v[2:3], v2
	v_cndmask_b32_e64 v20, v6, v20, s[24:25]
	v_cndmask_b32_e64 v19, v19, v6, s[24:25]
	v_cmp_lt_u32_e32 vcc, v20, v15
	s_waitcnt lgkmcnt(0)
	v_cndmask_b32_e64 v8, v3, v5, s[24:25]
	v_cndmask_b32_e64 v9, v2, v4, s[24:25]
	;; [unrolled: 1-line block ×4, first 2 shown]
	s_and_saveexec_b64 s[26:27], vcc
	s_cbranch_execz .LBB11_268
; %bb.258:
	v_cmp_lt_u32_e32 vcc, v19, v14
	s_mov_b64 s[28:29], 0
	s_and_saveexec_b64 s[0:1], vcc
	s_cbranch_execz .LBB11_267
; %bb.259:
	s_andn2_b64 vcc, exec, s[4:5]
	s_cbranch_vccnz .LBB11_265
; %bb.260:
	v_pk_mov_b32 v[6:7], s[14:15], s[14:15] op_sel:[0,1]
	v_mad_u64_u32 v[2:3], s[28:29], v9, s12, v[6:7]
	v_mul_lo_u32 v17, v9, s13
	v_mul_lo_u32 v18, v8, s12
	v_add3_u32 v3, v18, v3, v17
	v_mad_u64_u32 v[6:7], s[28:29], v11, s12, v[6:7]
	v_mul_lo_u32 v17, v11, s13
	v_mul_lo_u32 v18, v10, s12
	v_add3_u32 v7, v18, v7, v17
	s_mov_b64 s[28:29], 0
	s_mov_b64 s[38:39], s[12:13]
                                        ; implicit-def: $sgpr30_sgpr31
                                        ; implicit-def: $sgpr34_sgpr35
                                        ; implicit-def: $sgpr40_sgpr41
                                        ; implicit-def: $sgpr36_sgpr37
                                        ; implicit-def: $sgpr42_sgpr43
	s_branch .LBB11_262
.LBB11_261:                             ;   in Loop: Header=BB11_262 Depth=1
	s_or_b64 exec, exec, s[44:45]
	s_and_b64 s[44:45], exec, s[34:35]
	s_or_b64 s[28:29], s[44:45], s[28:29]
	s_andn2_b64 s[42:43], s[42:43], exec
	s_and_b64 s[44:45], s[36:37], exec
	s_or_b64 s[42:43], s[42:43], s[44:45]
	s_andn2_b64 s[30:31], s[30:31], exec
	s_and_b64 s[44:45], s[40:41], exec
	s_or_b64 s[30:31], s[30:31], s[44:45]
	s_andn2_b64 exec, exec, s[28:29]
	s_cbranch_execz .LBB11_264
.LBB11_262:                             ; =>This Inner Loop Header: Depth=1
	global_load_ubyte v17, v[2:3], off
	global_load_ubyte v18, v[6:7], off
	s_andn2_b64 s[40:41], s[40:41], exec
	s_andn2_b64 s[36:37], s[36:37], exec
	s_or_b64 s[34:35], s[34:35], exec
	s_waitcnt vmcnt(0)
	v_cmp_le_u16_sdwa s[46:47], v17, v18 src0_sel:BYTE_0 src1_sel:BYTE_0
	v_cmp_lt_u16_sdwa s[44:45], v17, v18 src0_sel:BYTE_0 src1_sel:BYTE_0
	s_and_b64 s[46:47], s[46:47], s[42:43]
	s_or_b64 s[46:47], s[44:45], s[46:47]
	s_and_b64 s[44:45], s[46:47], exec
	v_cmp_eq_u16_sdwa s[48:49], v17, v18 src0_sel:BYTE_0 src1_sel:BYTE_0
	s_or_b64 s[40:41], s[40:41], s[44:45]
	s_and_saveexec_b64 s[44:45], s[48:49]
	s_cbranch_execz .LBB11_261
; %bb.263:                              ;   in Loop: Header=BB11_262 Depth=1
	s_add_u32 s38, s38, -1
	s_addc_u32 s39, s39, -1
	v_add_co_u32_e32 v2, vcc, 1, v2
	s_cmp_eq_u64 s[38:39], 0
	v_addc_co_u32_e32 v3, vcc, 0, v3, vcc
	s_cselect_b64 s[42:43], -1, 0
	v_add_co_u32_e32 v6, vcc, 1, v6
	s_andn2_b64 s[36:37], s[36:37], exec
	s_and_b64 s[46:47], s[46:47], exec
	s_andn2_b64 s[34:35], s[34:35], exec
	s_and_b64 s[42:43], s[42:43], exec
	v_addc_co_u32_e32 v7, vcc, 0, v7, vcc
	s_or_b64 s[36:37], s[36:37], s[46:47]
	s_andn2_b64 s[40:41], s[40:41], exec
	s_or_b64 s[34:35], s[34:35], s[42:43]
                                        ; implicit-def: $sgpr42_sgpr43
	s_branch .LBB11_261
.LBB11_264:
	s_or_b64 exec, exec, s[28:29]
	s_xor_b64 s[28:29], s[30:31], -1
	s_branch .LBB11_266
.LBB11_265:
	s_mov_b64 s[28:29], -1
.LBB11_266:
	s_and_b64 s[28:29], s[28:29], exec
.LBB11_267:
	s_or_b64 exec, exec, s[0:1]
	s_orn2_b64 s[0:1], s[28:29], exec
.LBB11_268:
	s_or_b64 exec, exec, s[26:27]
	v_cndmask_b32_e64 v2, v20, v19, s[0:1]
	v_cndmask_b32_e64 v3, v15, v14, s[0:1]
	v_add_u32_e32 v6, 1, v2
	v_add_u32_e32 v2, -1, v3
	v_min_u32_e32 v2, v6, v2
	v_lshl_add_u32 v2, v2, 3, v16
	ds_read_b64 v[2:3], v2
	v_cndmask_b32_e64 v20, v6, v20, s[0:1]
	v_cndmask_b32_e64 v19, v19, v6, s[0:1]
	v_cmp_lt_u32_e32 vcc, v20, v15
	s_mov_b64 s[28:29], -1
	s_waitcnt lgkmcnt(0)
	v_cndmask_b32_e64 v17, v3, v8, s[0:1]
	v_cndmask_b32_e64 v18, v2, v9, s[0:1]
	;; [unrolled: 1-line block ×4, first 2 shown]
	s_and_saveexec_b64 s[26:27], vcc
	s_cbranch_execz .LBB11_279
; %bb.269:
	v_cmp_lt_u32_e32 vcc, v19, v14
	s_mov_b64 s[30:31], 0
	s_and_saveexec_b64 s[28:29], vcc
	s_cbranch_execz .LBB11_278
; %bb.270:
	s_andn2_b64 vcc, exec, s[4:5]
	s_cbranch_vccnz .LBB11_276
; %bb.271:
	v_pk_mov_b32 v[6:7], s[14:15], s[14:15] op_sel:[0,1]
	v_mad_u64_u32 v[2:3], s[30:31], v18, s12, v[6:7]
	v_mul_lo_u32 v23, v18, s13
	v_mul_lo_u32 v24, v17, s12
	v_add3_u32 v3, v24, v3, v23
	v_mad_u64_u32 v[6:7], s[30:31], v22, s12, v[6:7]
	v_mul_lo_u32 v23, v22, s13
	v_mul_lo_u32 v24, v21, s12
	v_add3_u32 v7, v24, v7, v23
	s_mov_b64 s[30:31], 0
	s_mov_b64 s[40:41], s[12:13]
                                        ; implicit-def: $sgpr34_sgpr35
                                        ; implicit-def: $sgpr36_sgpr37
                                        ; implicit-def: $sgpr42_sgpr43
                                        ; implicit-def: $sgpr38_sgpr39
                                        ; implicit-def: $sgpr44_sgpr45
	s_branch .LBB11_273
.LBB11_272:                             ;   in Loop: Header=BB11_273 Depth=1
	s_or_b64 exec, exec, s[46:47]
	s_and_b64 s[46:47], exec, s[36:37]
	s_or_b64 s[30:31], s[46:47], s[30:31]
	s_andn2_b64 s[44:45], s[44:45], exec
	s_and_b64 s[46:47], s[38:39], exec
	s_or_b64 s[44:45], s[44:45], s[46:47]
	s_andn2_b64 s[34:35], s[34:35], exec
	s_and_b64 s[46:47], s[42:43], exec
	s_or_b64 s[34:35], s[34:35], s[46:47]
	s_andn2_b64 exec, exec, s[30:31]
	s_cbranch_execz .LBB11_275
.LBB11_273:                             ; =>This Inner Loop Header: Depth=1
	global_load_ubyte v23, v[2:3], off
	global_load_ubyte v24, v[6:7], off
	s_andn2_b64 s[42:43], s[42:43], exec
	s_andn2_b64 s[38:39], s[38:39], exec
	s_or_b64 s[36:37], s[36:37], exec
	s_waitcnt vmcnt(0)
	v_cmp_le_u16_sdwa s[48:49], v23, v24 src0_sel:BYTE_0 src1_sel:BYTE_0
	v_cmp_lt_u16_sdwa s[46:47], v23, v24 src0_sel:BYTE_0 src1_sel:BYTE_0
	s_and_b64 s[48:49], s[48:49], s[44:45]
	s_or_b64 s[48:49], s[46:47], s[48:49]
	s_and_b64 s[46:47], s[48:49], exec
	v_cmp_eq_u16_sdwa s[50:51], v23, v24 src0_sel:BYTE_0 src1_sel:BYTE_0
	s_or_b64 s[42:43], s[42:43], s[46:47]
	s_and_saveexec_b64 s[46:47], s[50:51]
	s_cbranch_execz .LBB11_272
; %bb.274:                              ;   in Loop: Header=BB11_273 Depth=1
	s_add_u32 s40, s40, -1
	s_addc_u32 s41, s41, -1
	v_add_co_u32_e32 v2, vcc, 1, v2
	s_cmp_eq_u64 s[40:41], 0
	v_addc_co_u32_e32 v3, vcc, 0, v3, vcc
	s_cselect_b64 s[44:45], -1, 0
	v_add_co_u32_e32 v6, vcc, 1, v6
	s_andn2_b64 s[38:39], s[38:39], exec
	s_and_b64 s[48:49], s[48:49], exec
	s_andn2_b64 s[36:37], s[36:37], exec
	s_and_b64 s[44:45], s[44:45], exec
	v_addc_co_u32_e32 v7, vcc, 0, v7, vcc
	s_or_b64 s[38:39], s[38:39], s[48:49]
	s_andn2_b64 s[42:43], s[42:43], exec
	s_or_b64 s[36:37], s[36:37], s[44:45]
                                        ; implicit-def: $sgpr44_sgpr45
	s_branch .LBB11_272
.LBB11_275:
	s_or_b64 exec, exec, s[30:31]
	s_xor_b64 s[30:31], s[34:35], -1
	s_branch .LBB11_277
.LBB11_276:
	s_mov_b64 s[30:31], -1
.LBB11_277:
	s_and_b64 s[30:31], s[30:31], exec
.LBB11_278:
	s_or_b64 exec, exec, s[28:29]
	s_orn2_b64 s[28:29], s[30:31], exec
.LBB11_279:
	s_or_b64 exec, exec, s[26:27]
	v_cndmask_b32_e64 v6, v20, v19, s[28:29]
	v_cndmask_b32_e64 v7, v15, v14, s[28:29]
	;; [unrolled: 1-line block ×3, first 2 shown]
	v_add_u32_e32 v10, 1, v6
	v_add_u32_e32 v6, -1, v7
	v_min_u32_e32 v6, v10, v6
	v_lshl_add_u32 v6, v6, 3, v16
	v_cndmask_b32_e64 v2, v9, v11, s[0:1]
	ds_read_b64 v[8:9], v6
	v_cndmask_b32_e64 v11, v10, v20, s[28:29]
	v_cndmask_b32_e64 v1, v5, v1, s[24:25]
	;; [unrolled: 1-line block ×5, first 2 shown]
	s_waitcnt lgkmcnt(0)
	v_cndmask_b32_e64 v7, v21, v9, s[28:29]
	v_cndmask_b32_e64 v6, v22, v8, s[28:29]
	v_cmp_lt_u32_e32 vcc, v11, v15
	s_and_saveexec_b64 s[0:1], vcc
	s_cbranch_execz .LBB11_289
; %bb.280:
	v_cndmask_b32_e64 v10, v19, v10, s[28:29]
	v_cndmask_b32_e64 v9, v9, v17, s[28:29]
	;; [unrolled: 1-line block ×3, first 2 shown]
	v_cmp_lt_u32_e32 vcc, v10, v14
	s_and_saveexec_b64 s[24:25], vcc
	s_cbranch_execz .LBB11_288
; %bb.281:
	s_andn2_b64 vcc, exec, s[4:5]
	s_cbranch_vccnz .LBB11_287
; %bb.282:
	v_pk_mov_b32 v[14:15], s[14:15], s[14:15] op_sel:[0,1]
	v_mad_u64_u32 v[10:11], s[26:27], v8, s12, v[14:15]
	v_mul_lo_u32 v16, v8, s13
	v_mul_lo_u32 v17, v9, s12
	v_add3_u32 v11, v17, v11, v16
	v_mad_u64_u32 v[14:15], s[26:27], v6, s12, v[14:15]
	v_mul_lo_u32 v16, v6, s13
	v_mul_lo_u32 v17, v7, s12
	v_add3_u32 v15, v17, v15, v16
	s_mov_b64 s[26:27], 0
	s_mov_b64 s[36:37], s[12:13]
                                        ; implicit-def: $sgpr28_sgpr29
                                        ; implicit-def: $sgpr30_sgpr31
                                        ; implicit-def: $sgpr38_sgpr39
                                        ; implicit-def: $sgpr34_sgpr35
                                        ; implicit-def: $sgpr40_sgpr41
	s_branch .LBB11_284
.LBB11_283:                             ;   in Loop: Header=BB11_284 Depth=1
	s_or_b64 exec, exec, s[42:43]
	s_and_b64 s[42:43], exec, s[30:31]
	s_or_b64 s[26:27], s[42:43], s[26:27]
	s_andn2_b64 s[40:41], s[40:41], exec
	s_and_b64 s[42:43], s[34:35], exec
	s_or_b64 s[40:41], s[40:41], s[42:43]
	s_andn2_b64 s[28:29], s[28:29], exec
	s_and_b64 s[42:43], s[38:39], exec
	s_or_b64 s[28:29], s[28:29], s[42:43]
	s_andn2_b64 exec, exec, s[26:27]
	s_cbranch_execz .LBB11_286
.LBB11_284:                             ; =>This Inner Loop Header: Depth=1
	global_load_ubyte v16, v[10:11], off
	global_load_ubyte v17, v[14:15], off
	s_andn2_b64 s[38:39], s[38:39], exec
	s_andn2_b64 s[34:35], s[34:35], exec
	s_or_b64 s[30:31], s[30:31], exec
	s_waitcnt vmcnt(0)
	v_cmp_le_u16_sdwa s[44:45], v16, v17 src0_sel:BYTE_0 src1_sel:BYTE_0
	v_cmp_lt_u16_sdwa s[42:43], v16, v17 src0_sel:BYTE_0 src1_sel:BYTE_0
	s_and_b64 s[44:45], s[44:45], s[40:41]
	s_or_b64 s[44:45], s[42:43], s[44:45]
	s_and_b64 s[42:43], s[44:45], exec
	v_cmp_eq_u16_sdwa s[46:47], v16, v17 src0_sel:BYTE_0 src1_sel:BYTE_0
	s_or_b64 s[38:39], s[38:39], s[42:43]
	s_and_saveexec_b64 s[42:43], s[46:47]
	s_cbranch_execz .LBB11_283
; %bb.285:                              ;   in Loop: Header=BB11_284 Depth=1
	s_add_u32 s36, s36, -1
	s_addc_u32 s37, s37, -1
	v_add_co_u32_e32 v10, vcc, 1, v10
	s_cmp_eq_u64 s[36:37], 0
	v_addc_co_u32_e32 v11, vcc, 0, v11, vcc
	s_cselect_b64 s[40:41], -1, 0
	v_add_co_u32_e32 v14, vcc, 1, v14
	s_andn2_b64 s[34:35], s[34:35], exec
	s_and_b64 s[44:45], s[44:45], exec
	s_andn2_b64 s[30:31], s[30:31], exec
	s_and_b64 s[40:41], s[40:41], exec
	v_addc_co_u32_e32 v15, vcc, 0, v15, vcc
	s_or_b64 s[34:35], s[34:35], s[44:45]
	s_andn2_b64 s[38:39], s[38:39], exec
	s_or_b64 s[30:31], s[30:31], s[40:41]
                                        ; implicit-def: $sgpr40_sgpr41
	s_branch .LBB11_283
.LBB11_286:
	s_or_b64 exec, exec, s[26:27]
	v_cndmask_b32_e64 v7, v7, v9, s[28:29]
	v_cndmask_b32_e64 v6, v6, v8, s[28:29]
.LBB11_287:
	v_pk_mov_b32 v[8:9], v[6:7], v[6:7] op_sel:[0,1]
.LBB11_288:
	s_or_b64 exec, exec, s[24:25]
	v_pk_mov_b32 v[6:7], v[8:9], v[8:9] op_sel:[0,1]
.LBB11_289:
	s_or_b64 exec, exec, s[0:1]
.LBB11_290:
	s_or_b64 exec, exec, s[22:23]
	v_and_b32_e32 v19, 0xf80, v27
	v_or_b32_e32 v8, 64, v19
	v_min_u32_e32 v14, 0x400, v8
	v_min_u32_e32 v8, 0x3c0, v8
	v_add_u32_e32 v15, 64, v8
	v_and_b32_e32 v20, 0x7c, v27
	v_sub_u32_e32 v8, v14, v19
	v_sub_u32_e32 v9, v15, v14
	v_sub_u32_e64 v18, v20, v9 clamp
	v_min_u32_e32 v21, v20, v8
	v_lshlrev_b32_e32 v16, 3, v27
	v_lshlrev_b32_e32 v17, 3, v19
	v_cmp_lt_u32_e32 vcc, v18, v21
	; wave barrier
	s_waitcnt lgkmcnt(0)
	s_barrier
	ds_write_b128 v16, v[0:3]
	ds_write_b128 v16, v[4:7] offset:16
	s_waitcnt lgkmcnt(0)
	s_barrier
	s_and_saveexec_b64 s[22:23], vcc
	s_cbranch_execz .LBB11_300
; %bb.291:
	v_lshlrev_b32_e32 v8, 3, v20
	v_lshl_add_u32 v22, v14, 3, v8
	v_cndmask_b32_e64 v8, 0, 1, s[4:5]
	s_mov_b64 s[24:25], 0
	v_cmp_ne_u32_e64 s[0:1], 1, v8
	s_branch .LBB11_294
.LBB11_292:                             ;   in Loop: Header=BB11_294 Depth=1
	s_or_b64 exec, exec, s[28:29]
.LBB11_293:                             ;   in Loop: Header=BB11_294 Depth=1
	v_add_u32_e32 v8, 1, v23
	v_cndmask_b32_e64 v21, v21, v23, s[26:27]
	v_cndmask_b32_e64 v18, v8, v18, s[26:27]
	v_cmp_ge_u32_e32 vcc, v18, v21
	s_or_b64 s[24:25], vcc, s[24:25]
	s_andn2_b64 exec, exec, s[24:25]
	s_cbranch_execz .LBB11_299
.LBB11_294:                             ; =>This Loop Header: Depth=1
                                        ;     Child Loop BB11_297 Depth 2
	v_add_u32_e32 v8, v21, v18
	v_lshrrev_b32_e32 v23, 1, v8
	s_and_b64 vcc, exec, s[0:1]
	s_mov_b64 s[26:27], 0
	s_cbranch_vccnz .LBB11_293
; %bb.295:                              ;   in Loop: Header=BB11_294 Depth=1
	v_not_b32_e32 v8, v23
	v_lshl_add_u32 v8, v8, 3, v22
	ds_read_b64 v[8:9], v8
	v_lshl_add_u32 v24, v23, 3, v17
	ds_read_b64 v[24:25], v24
	v_pk_mov_b32 v[10:11], s[14:15], s[14:15] op_sel:[0,1]
	s_mov_b64 s[28:29], 0
	s_waitcnt lgkmcnt(1)
	v_mul_lo_u32 v37, v8, s13
	v_mul_lo_u32 v38, v9, s12
	v_mad_u64_u32 v[8:9], s[26:27], v8, s12, v[10:11]
	v_add3_u32 v9, v38, v9, v37
	s_waitcnt lgkmcnt(0)
	v_mul_lo_u32 v37, v24, s13
	v_mul_lo_u32 v25, v25, s12
	v_mad_u64_u32 v[10:11], s[26:27], v24, s12, v[10:11]
	v_add3_u32 v11, v25, v11, v37
	s_mov_b64 s[36:37], s[12:13]
                                        ; implicit-def: $sgpr26_sgpr27
                                        ; implicit-def: $sgpr30_sgpr31
                                        ; implicit-def: $sgpr34_sgpr35
                                        ; implicit-def: $sgpr38_sgpr39
                                        ; implicit-def: $sgpr40_sgpr41
	s_branch .LBB11_297
.LBB11_296:                             ;   in Loop: Header=BB11_297 Depth=2
	s_or_b64 exec, exec, s[42:43]
	s_and_b64 s[42:43], exec, s[30:31]
	s_or_b64 s[28:29], s[42:43], s[28:29]
	s_andn2_b64 s[40:41], s[40:41], exec
	s_and_b64 s[42:43], s[34:35], exec
	s_or_b64 s[40:41], s[40:41], s[42:43]
	s_andn2_b64 s[26:27], s[26:27], exec
	s_and_b64 s[42:43], s[38:39], exec
	s_or_b64 s[26:27], s[26:27], s[42:43]
	s_andn2_b64 exec, exec, s[28:29]
	s_cbranch_execz .LBB11_292
.LBB11_297:                             ;   Parent Loop BB11_294 Depth=1
                                        ; =>  This Inner Loop Header: Depth=2
	global_load_ubyte v24, v[8:9], off
	global_load_ubyte v25, v[10:11], off
	s_andn2_b64 s[38:39], s[38:39], exec
	s_andn2_b64 s[34:35], s[34:35], exec
	s_or_b64 s[30:31], s[30:31], exec
	s_waitcnt vmcnt(0)
	v_cmp_le_u16_sdwa s[44:45], v24, v25 src0_sel:BYTE_0 src1_sel:BYTE_0
	v_cmp_lt_u16_sdwa s[42:43], v24, v25 src0_sel:BYTE_0 src1_sel:BYTE_0
	s_and_b64 s[44:45], s[44:45], s[40:41]
	s_or_b64 s[44:45], s[42:43], s[44:45]
	s_and_b64 s[42:43], s[44:45], exec
	v_cmp_eq_u16_sdwa s[46:47], v24, v25 src0_sel:BYTE_0 src1_sel:BYTE_0
	s_or_b64 s[38:39], s[38:39], s[42:43]
	s_and_saveexec_b64 s[42:43], s[46:47]
	s_cbranch_execz .LBB11_296
; %bb.298:                              ;   in Loop: Header=BB11_297 Depth=2
	s_add_u32 s36, s36, -1
	s_addc_u32 s37, s37, -1
	v_add_co_u32_e32 v8, vcc, 1, v8
	s_cmp_eq_u64 s[36:37], 0
	v_addc_co_u32_e32 v9, vcc, 0, v9, vcc
	s_cselect_b64 s[40:41], -1, 0
	v_add_co_u32_e32 v10, vcc, 1, v10
	s_andn2_b64 s[34:35], s[34:35], exec
	s_and_b64 s[44:45], s[44:45], exec
	s_andn2_b64 s[30:31], s[30:31], exec
	s_and_b64 s[40:41], s[40:41], exec
	v_addc_co_u32_e32 v11, vcc, 0, v11, vcc
	s_andn2_b64 s[38:39], s[38:39], exec
	s_or_b64 s[34:35], s[34:35], s[44:45]
	s_or_b64 s[30:31], s[30:31], s[40:41]
                                        ; implicit-def: $sgpr40_sgpr41
	s_branch .LBB11_296
.LBB11_299:
	s_or_b64 exec, exec, s[24:25]
.LBB11_300:
	s_or_b64 exec, exec, s[22:23]
	v_sub_u32_e32 v8, v20, v18
	v_add_u32_e32 v19, v18, v19
	v_add_u32_e32 v20, v8, v14
	v_cmp_le_u32_e32 vcc, v19, v14
	v_cmp_le_u32_e64 s[0:1], v20, v15
	s_or_b64 s[0:1], vcc, s[0:1]
	s_and_saveexec_b64 s[22:23], s[0:1]
	s_cbranch_execz .LBB11_347
; %bb.301:
	v_cmp_ge_u32_e32 vcc, v19, v14
	v_cmp_lt_u32_e64 s[0:1], v19, v14
                                        ; implicit-def: $vgpr0_vgpr1
	s_and_saveexec_b64 s[24:25], s[0:1]
	s_cbranch_execz .LBB11_303
; %bb.302:
	v_lshl_add_u32 v0, v18, 3, v17
	ds_read_b64 v[0:1], v0
.LBB11_303:
	s_or_b64 exec, exec, s[24:25]
	v_cmp_ge_u32_e64 s[24:25], v20, v15
	v_cmp_lt_u32_e64 s[0:1], v20, v15
                                        ; implicit-def: $vgpr4_vgpr5
	s_and_saveexec_b64 s[26:27], s[0:1]
	s_cbranch_execz .LBB11_305
; %bb.304:
	v_lshlrev_b32_e32 v2, 3, v20
	ds_read_b64 v[4:5], v2
.LBB11_305:
	s_or_b64 exec, exec, s[26:27]
	s_or_b64 s[26:27], vcc, s[24:25]
	s_mov_b64 s[0:1], -1
	s_xor_b64 s[28:29], s[26:27], -1
	s_and_saveexec_b64 s[26:27], s[28:29]
	s_cbranch_execz .LBB11_314
; %bb.306:
	s_andn2_b64 vcc, exec, s[4:5]
	s_cbranch_vccnz .LBB11_312
; %bb.307:
	v_pk_mov_b32 v[6:7], s[14:15], s[14:15] op_sel:[0,1]
	s_waitcnt lgkmcnt(0)
	v_mad_u64_u32 v[2:3], s[28:29], v4, s12, v[6:7]
	v_mul_lo_u32 v8, v4, s13
	v_mul_lo_u32 v9, v5, s12
	v_add3_u32 v3, v9, v3, v8
	v_mad_u64_u32 v[6:7], s[28:29], v0, s12, v[6:7]
	v_mul_lo_u32 v8, v0, s13
	v_mul_lo_u32 v9, v1, s12
	v_add3_u32 v7, v9, v7, v8
	s_mov_b64 s[28:29], 0
	s_mov_b64 s[38:39], s[12:13]
                                        ; implicit-def: $sgpr30_sgpr31
                                        ; implicit-def: $sgpr34_sgpr35
                                        ; implicit-def: $sgpr40_sgpr41
                                        ; implicit-def: $sgpr36_sgpr37
                                        ; implicit-def: $sgpr42_sgpr43
	s_branch .LBB11_309
.LBB11_308:                             ;   in Loop: Header=BB11_309 Depth=1
	s_or_b64 exec, exec, s[44:45]
	s_and_b64 s[44:45], exec, s[34:35]
	s_or_b64 s[28:29], s[44:45], s[28:29]
	s_andn2_b64 s[42:43], s[42:43], exec
	s_and_b64 s[44:45], s[36:37], exec
	s_or_b64 s[42:43], s[42:43], s[44:45]
	s_andn2_b64 s[30:31], s[30:31], exec
	s_and_b64 s[44:45], s[40:41], exec
	s_or_b64 s[30:31], s[30:31], s[44:45]
	s_andn2_b64 exec, exec, s[28:29]
	s_cbranch_execz .LBB11_311
.LBB11_309:                             ; =>This Inner Loop Header: Depth=1
	global_load_ubyte v8, v[2:3], off
	global_load_ubyte v9, v[6:7], off
	s_andn2_b64 s[40:41], s[40:41], exec
	s_andn2_b64 s[36:37], s[36:37], exec
	s_or_b64 s[34:35], s[34:35], exec
	s_waitcnt vmcnt(0)
	v_cmp_le_u16_sdwa s[46:47], v8, v9 src0_sel:BYTE_0 src1_sel:BYTE_0
	v_cmp_lt_u16_sdwa s[44:45], v8, v9 src0_sel:BYTE_0 src1_sel:BYTE_0
	s_and_b64 s[46:47], s[46:47], s[42:43]
	s_or_b64 s[46:47], s[44:45], s[46:47]
	s_and_b64 s[44:45], s[46:47], exec
	v_cmp_eq_u16_sdwa s[48:49], v8, v9 src0_sel:BYTE_0 src1_sel:BYTE_0
	s_or_b64 s[40:41], s[40:41], s[44:45]
	s_and_saveexec_b64 s[44:45], s[48:49]
	s_cbranch_execz .LBB11_308
; %bb.310:                              ;   in Loop: Header=BB11_309 Depth=1
	s_add_u32 s38, s38, -1
	s_addc_u32 s39, s39, -1
	v_add_co_u32_e32 v2, vcc, 1, v2
	s_cmp_eq_u64 s[38:39], 0
	v_addc_co_u32_e32 v3, vcc, 0, v3, vcc
	s_cselect_b64 s[42:43], -1, 0
	v_add_co_u32_e32 v6, vcc, 1, v6
	s_andn2_b64 s[36:37], s[36:37], exec
	s_and_b64 s[46:47], s[46:47], exec
	s_andn2_b64 s[34:35], s[34:35], exec
	s_and_b64 s[42:43], s[42:43], exec
	v_addc_co_u32_e32 v7, vcc, 0, v7, vcc
	s_or_b64 s[36:37], s[36:37], s[46:47]
	s_andn2_b64 s[40:41], s[40:41], exec
	s_or_b64 s[34:35], s[34:35], s[42:43]
                                        ; implicit-def: $sgpr42_sgpr43
	s_branch .LBB11_308
.LBB11_311:
	s_or_b64 exec, exec, s[28:29]
	s_xor_b64 s[28:29], s[30:31], -1
	s_branch .LBB11_313
.LBB11_312:
	s_mov_b64 s[28:29], -1
.LBB11_313:
	s_andn2_b64 s[24:25], s[24:25], exec
	s_and_b64 s[28:29], s[28:29], exec
	s_or_b64 s[24:25], s[24:25], s[28:29]
.LBB11_314:
	s_or_b64 exec, exec, s[26:27]
	v_cndmask_b32_e64 v2, v20, v19, s[24:25]
	v_cndmask_b32_e64 v3, v15, v14, s[24:25]
	v_add_u32_e32 v6, 1, v2
	v_add_u32_e32 v2, -1, v3
	v_min_u32_e32 v2, v6, v2
	v_lshlrev_b32_e32 v2, 3, v2
	ds_read_b64 v[2:3], v2
	v_cndmask_b32_e64 v20, v6, v20, s[24:25]
	v_cndmask_b32_e64 v19, v19, v6, s[24:25]
	v_cmp_lt_u32_e32 vcc, v20, v15
	s_waitcnt lgkmcnt(0)
	v_cndmask_b32_e64 v8, v3, v5, s[24:25]
	v_cndmask_b32_e64 v9, v2, v4, s[24:25]
	v_cndmask_b32_e64 v10, v1, v3, s[24:25]
	v_cndmask_b32_e64 v11, v0, v2, s[24:25]
	s_and_saveexec_b64 s[26:27], vcc
	s_cbranch_execz .LBB11_325
; %bb.315:
	v_cmp_lt_u32_e32 vcc, v19, v14
	s_mov_b64 s[28:29], 0
	s_and_saveexec_b64 s[0:1], vcc
	s_cbranch_execz .LBB11_324
; %bb.316:
	s_andn2_b64 vcc, exec, s[4:5]
	s_cbranch_vccnz .LBB11_322
; %bb.317:
	v_pk_mov_b32 v[6:7], s[14:15], s[14:15] op_sel:[0,1]
	v_mad_u64_u32 v[2:3], s[28:29], v9, s12, v[6:7]
	v_mul_lo_u32 v17, v9, s13
	v_mul_lo_u32 v18, v8, s12
	v_add3_u32 v3, v18, v3, v17
	v_mad_u64_u32 v[6:7], s[28:29], v11, s12, v[6:7]
	v_mul_lo_u32 v17, v11, s13
	v_mul_lo_u32 v18, v10, s12
	v_add3_u32 v7, v18, v7, v17
	s_mov_b64 s[28:29], 0
	s_mov_b64 s[38:39], s[12:13]
                                        ; implicit-def: $sgpr30_sgpr31
                                        ; implicit-def: $sgpr34_sgpr35
                                        ; implicit-def: $sgpr40_sgpr41
                                        ; implicit-def: $sgpr36_sgpr37
                                        ; implicit-def: $sgpr42_sgpr43
	s_branch .LBB11_319
.LBB11_318:                             ;   in Loop: Header=BB11_319 Depth=1
	s_or_b64 exec, exec, s[44:45]
	s_and_b64 s[44:45], exec, s[34:35]
	s_or_b64 s[28:29], s[44:45], s[28:29]
	s_andn2_b64 s[42:43], s[42:43], exec
	s_and_b64 s[44:45], s[36:37], exec
	s_or_b64 s[42:43], s[42:43], s[44:45]
	s_andn2_b64 s[30:31], s[30:31], exec
	s_and_b64 s[44:45], s[40:41], exec
	s_or_b64 s[30:31], s[30:31], s[44:45]
	s_andn2_b64 exec, exec, s[28:29]
	s_cbranch_execz .LBB11_321
.LBB11_319:                             ; =>This Inner Loop Header: Depth=1
	global_load_ubyte v17, v[2:3], off
	global_load_ubyte v18, v[6:7], off
	s_andn2_b64 s[40:41], s[40:41], exec
	s_andn2_b64 s[36:37], s[36:37], exec
	s_or_b64 s[34:35], s[34:35], exec
	s_waitcnt vmcnt(0)
	v_cmp_le_u16_sdwa s[46:47], v17, v18 src0_sel:BYTE_0 src1_sel:BYTE_0
	v_cmp_lt_u16_sdwa s[44:45], v17, v18 src0_sel:BYTE_0 src1_sel:BYTE_0
	s_and_b64 s[46:47], s[46:47], s[42:43]
	s_or_b64 s[46:47], s[44:45], s[46:47]
	s_and_b64 s[44:45], s[46:47], exec
	v_cmp_eq_u16_sdwa s[48:49], v17, v18 src0_sel:BYTE_0 src1_sel:BYTE_0
	s_or_b64 s[40:41], s[40:41], s[44:45]
	s_and_saveexec_b64 s[44:45], s[48:49]
	s_cbranch_execz .LBB11_318
; %bb.320:                              ;   in Loop: Header=BB11_319 Depth=1
	s_add_u32 s38, s38, -1
	s_addc_u32 s39, s39, -1
	v_add_co_u32_e32 v2, vcc, 1, v2
	s_cmp_eq_u64 s[38:39], 0
	v_addc_co_u32_e32 v3, vcc, 0, v3, vcc
	s_cselect_b64 s[42:43], -1, 0
	v_add_co_u32_e32 v6, vcc, 1, v6
	s_andn2_b64 s[36:37], s[36:37], exec
	s_and_b64 s[46:47], s[46:47], exec
	s_andn2_b64 s[34:35], s[34:35], exec
	s_and_b64 s[42:43], s[42:43], exec
	v_addc_co_u32_e32 v7, vcc, 0, v7, vcc
	s_or_b64 s[36:37], s[36:37], s[46:47]
	s_andn2_b64 s[40:41], s[40:41], exec
	s_or_b64 s[34:35], s[34:35], s[42:43]
                                        ; implicit-def: $sgpr42_sgpr43
	s_branch .LBB11_318
.LBB11_321:
	s_or_b64 exec, exec, s[28:29]
	s_xor_b64 s[28:29], s[30:31], -1
	s_branch .LBB11_323
.LBB11_322:
	s_mov_b64 s[28:29], -1
.LBB11_323:
	s_and_b64 s[28:29], s[28:29], exec
.LBB11_324:
	s_or_b64 exec, exec, s[0:1]
	s_orn2_b64 s[0:1], s[28:29], exec
.LBB11_325:
	s_or_b64 exec, exec, s[26:27]
	v_cndmask_b32_e64 v2, v20, v19, s[0:1]
	v_cndmask_b32_e64 v3, v15, v14, s[0:1]
	v_add_u32_e32 v6, 1, v2
	v_add_u32_e32 v2, -1, v3
	v_min_u32_e32 v2, v6, v2
	v_lshlrev_b32_e32 v2, 3, v2
	ds_read_b64 v[2:3], v2
	v_cndmask_b32_e64 v20, v6, v20, s[0:1]
	v_cndmask_b32_e64 v19, v19, v6, s[0:1]
	v_cmp_lt_u32_e32 vcc, v20, v15
	s_mov_b64 s[28:29], -1
	s_waitcnt lgkmcnt(0)
	v_cndmask_b32_e64 v17, v3, v8, s[0:1]
	v_cndmask_b32_e64 v18, v2, v9, s[0:1]
	;; [unrolled: 1-line block ×4, first 2 shown]
	s_and_saveexec_b64 s[26:27], vcc
	s_cbranch_execz .LBB11_336
; %bb.326:
	v_cmp_lt_u32_e32 vcc, v19, v14
	s_mov_b64 s[30:31], 0
	s_and_saveexec_b64 s[28:29], vcc
	s_cbranch_execz .LBB11_335
; %bb.327:
	s_andn2_b64 vcc, exec, s[4:5]
	s_cbranch_vccnz .LBB11_333
; %bb.328:
	v_pk_mov_b32 v[6:7], s[14:15], s[14:15] op_sel:[0,1]
	v_mad_u64_u32 v[2:3], s[30:31], v18, s12, v[6:7]
	v_mul_lo_u32 v23, v18, s13
	v_mul_lo_u32 v24, v17, s12
	v_add3_u32 v3, v24, v3, v23
	v_mad_u64_u32 v[6:7], s[30:31], v22, s12, v[6:7]
	v_mul_lo_u32 v23, v22, s13
	v_mul_lo_u32 v24, v21, s12
	v_add3_u32 v7, v24, v7, v23
	s_mov_b64 s[30:31], 0
	s_mov_b64 s[40:41], s[12:13]
                                        ; implicit-def: $sgpr34_sgpr35
                                        ; implicit-def: $sgpr36_sgpr37
                                        ; implicit-def: $sgpr42_sgpr43
                                        ; implicit-def: $sgpr38_sgpr39
                                        ; implicit-def: $sgpr44_sgpr45
	s_branch .LBB11_330
.LBB11_329:                             ;   in Loop: Header=BB11_330 Depth=1
	s_or_b64 exec, exec, s[46:47]
	s_and_b64 s[46:47], exec, s[36:37]
	s_or_b64 s[30:31], s[46:47], s[30:31]
	s_andn2_b64 s[44:45], s[44:45], exec
	s_and_b64 s[46:47], s[38:39], exec
	s_or_b64 s[44:45], s[44:45], s[46:47]
	s_andn2_b64 s[34:35], s[34:35], exec
	s_and_b64 s[46:47], s[42:43], exec
	s_or_b64 s[34:35], s[34:35], s[46:47]
	s_andn2_b64 exec, exec, s[30:31]
	s_cbranch_execz .LBB11_332
.LBB11_330:                             ; =>This Inner Loop Header: Depth=1
	global_load_ubyte v23, v[2:3], off
	global_load_ubyte v24, v[6:7], off
	s_andn2_b64 s[42:43], s[42:43], exec
	s_andn2_b64 s[38:39], s[38:39], exec
	s_or_b64 s[36:37], s[36:37], exec
	s_waitcnt vmcnt(0)
	v_cmp_le_u16_sdwa s[48:49], v23, v24 src0_sel:BYTE_0 src1_sel:BYTE_0
	v_cmp_lt_u16_sdwa s[46:47], v23, v24 src0_sel:BYTE_0 src1_sel:BYTE_0
	s_and_b64 s[48:49], s[48:49], s[44:45]
	s_or_b64 s[48:49], s[46:47], s[48:49]
	s_and_b64 s[46:47], s[48:49], exec
	v_cmp_eq_u16_sdwa s[50:51], v23, v24 src0_sel:BYTE_0 src1_sel:BYTE_0
	s_or_b64 s[42:43], s[42:43], s[46:47]
	s_and_saveexec_b64 s[46:47], s[50:51]
	s_cbranch_execz .LBB11_329
; %bb.331:                              ;   in Loop: Header=BB11_330 Depth=1
	s_add_u32 s40, s40, -1
	s_addc_u32 s41, s41, -1
	v_add_co_u32_e32 v2, vcc, 1, v2
	s_cmp_eq_u64 s[40:41], 0
	v_addc_co_u32_e32 v3, vcc, 0, v3, vcc
	s_cselect_b64 s[44:45], -1, 0
	v_add_co_u32_e32 v6, vcc, 1, v6
	s_andn2_b64 s[38:39], s[38:39], exec
	s_and_b64 s[48:49], s[48:49], exec
	s_andn2_b64 s[36:37], s[36:37], exec
	s_and_b64 s[44:45], s[44:45], exec
	v_addc_co_u32_e32 v7, vcc, 0, v7, vcc
	s_or_b64 s[38:39], s[38:39], s[48:49]
	s_andn2_b64 s[42:43], s[42:43], exec
	s_or_b64 s[36:37], s[36:37], s[44:45]
                                        ; implicit-def: $sgpr44_sgpr45
	s_branch .LBB11_329
.LBB11_332:
	s_or_b64 exec, exec, s[30:31]
	s_xor_b64 s[30:31], s[34:35], -1
	s_branch .LBB11_334
.LBB11_333:
	s_mov_b64 s[30:31], -1
.LBB11_334:
	s_and_b64 s[30:31], s[30:31], exec
.LBB11_335:
	s_or_b64 exec, exec, s[28:29]
	s_orn2_b64 s[28:29], s[30:31], exec
.LBB11_336:
	s_or_b64 exec, exec, s[26:27]
	v_cndmask_b32_e64 v6, v20, v19, s[28:29]
	v_cndmask_b32_e64 v7, v15, v14, s[28:29]
	;; [unrolled: 1-line block ×3, first 2 shown]
	v_add_u32_e32 v10, 1, v6
	v_add_u32_e32 v6, -1, v7
	v_min_u32_e32 v6, v10, v6
	v_lshlrev_b32_e32 v6, 3, v6
	v_cndmask_b32_e64 v2, v9, v11, s[0:1]
	ds_read_b64 v[8:9], v6
	v_cndmask_b32_e64 v11, v10, v20, s[28:29]
	v_cndmask_b32_e64 v1, v5, v1, s[24:25]
	;; [unrolled: 1-line block ×5, first 2 shown]
	s_waitcnt lgkmcnt(0)
	v_cndmask_b32_e64 v7, v21, v9, s[28:29]
	v_cndmask_b32_e64 v6, v22, v8, s[28:29]
	v_cmp_lt_u32_e32 vcc, v11, v15
	s_and_saveexec_b64 s[0:1], vcc
	s_cbranch_execz .LBB11_346
; %bb.337:
	v_cndmask_b32_e64 v10, v19, v10, s[28:29]
	v_cndmask_b32_e64 v9, v9, v17, s[28:29]
	;; [unrolled: 1-line block ×3, first 2 shown]
	v_cmp_lt_u32_e32 vcc, v10, v14
	s_and_saveexec_b64 s[24:25], vcc
	s_cbranch_execz .LBB11_345
; %bb.338:
	s_andn2_b64 vcc, exec, s[4:5]
	s_cbranch_vccnz .LBB11_344
; %bb.339:
	v_pk_mov_b32 v[14:15], s[14:15], s[14:15] op_sel:[0,1]
	v_mad_u64_u32 v[10:11], s[26:27], v8, s12, v[14:15]
	v_mul_lo_u32 v17, v8, s13
	v_mul_lo_u32 v18, v9, s12
	v_add3_u32 v11, v18, v11, v17
	v_mad_u64_u32 v[14:15], s[26:27], v6, s12, v[14:15]
	v_mul_lo_u32 v17, v6, s13
	v_mul_lo_u32 v18, v7, s12
	v_add3_u32 v15, v18, v15, v17
	s_mov_b64 s[26:27], 0
	s_mov_b64 s[36:37], s[12:13]
                                        ; implicit-def: $sgpr28_sgpr29
                                        ; implicit-def: $sgpr30_sgpr31
                                        ; implicit-def: $sgpr38_sgpr39
                                        ; implicit-def: $sgpr34_sgpr35
                                        ; implicit-def: $sgpr40_sgpr41
	s_branch .LBB11_341
.LBB11_340:                             ;   in Loop: Header=BB11_341 Depth=1
	s_or_b64 exec, exec, s[42:43]
	s_and_b64 s[42:43], exec, s[30:31]
	s_or_b64 s[26:27], s[42:43], s[26:27]
	s_andn2_b64 s[40:41], s[40:41], exec
	s_and_b64 s[42:43], s[34:35], exec
	s_or_b64 s[40:41], s[40:41], s[42:43]
	s_andn2_b64 s[28:29], s[28:29], exec
	s_and_b64 s[42:43], s[38:39], exec
	s_or_b64 s[28:29], s[28:29], s[42:43]
	s_andn2_b64 exec, exec, s[26:27]
	s_cbranch_execz .LBB11_343
.LBB11_341:                             ; =>This Inner Loop Header: Depth=1
	global_load_ubyte v17, v[10:11], off
	global_load_ubyte v18, v[14:15], off
	s_andn2_b64 s[38:39], s[38:39], exec
	s_andn2_b64 s[34:35], s[34:35], exec
	s_or_b64 s[30:31], s[30:31], exec
	s_waitcnt vmcnt(0)
	v_cmp_le_u16_sdwa s[44:45], v17, v18 src0_sel:BYTE_0 src1_sel:BYTE_0
	v_cmp_lt_u16_sdwa s[42:43], v17, v18 src0_sel:BYTE_0 src1_sel:BYTE_0
	s_and_b64 s[44:45], s[44:45], s[40:41]
	s_or_b64 s[44:45], s[42:43], s[44:45]
	s_and_b64 s[42:43], s[44:45], exec
	v_cmp_eq_u16_sdwa s[46:47], v17, v18 src0_sel:BYTE_0 src1_sel:BYTE_0
	s_or_b64 s[38:39], s[38:39], s[42:43]
	s_and_saveexec_b64 s[42:43], s[46:47]
	s_cbranch_execz .LBB11_340
; %bb.342:                              ;   in Loop: Header=BB11_341 Depth=1
	s_add_u32 s36, s36, -1
	s_addc_u32 s37, s37, -1
	v_add_co_u32_e32 v10, vcc, 1, v10
	s_cmp_eq_u64 s[36:37], 0
	v_addc_co_u32_e32 v11, vcc, 0, v11, vcc
	s_cselect_b64 s[40:41], -1, 0
	v_add_co_u32_e32 v14, vcc, 1, v14
	s_andn2_b64 s[34:35], s[34:35], exec
	s_and_b64 s[44:45], s[44:45], exec
	s_andn2_b64 s[30:31], s[30:31], exec
	s_and_b64 s[40:41], s[40:41], exec
	v_addc_co_u32_e32 v15, vcc, 0, v15, vcc
	s_or_b64 s[34:35], s[34:35], s[44:45]
	s_andn2_b64 s[38:39], s[38:39], exec
	s_or_b64 s[30:31], s[30:31], s[40:41]
                                        ; implicit-def: $sgpr40_sgpr41
	s_branch .LBB11_340
.LBB11_343:
	s_or_b64 exec, exec, s[26:27]
	v_cndmask_b32_e64 v7, v7, v9, s[28:29]
	v_cndmask_b32_e64 v6, v6, v8, s[28:29]
.LBB11_344:
	v_pk_mov_b32 v[8:9], v[6:7], v[6:7] op_sel:[0,1]
.LBB11_345:
	s_or_b64 exec, exec, s[24:25]
	v_pk_mov_b32 v[6:7], v[8:9], v[8:9] op_sel:[0,1]
.LBB11_346:
	s_or_b64 exec, exec, s[0:1]
.LBB11_347:
	s_or_b64 exec, exec, s[22:23]
	v_and_b32_e32 v19, 0xf00, v27
	v_or_b32_e32 v8, 0x80, v19
	v_min_u32_e32 v14, 0x400, v8
	v_min_u32_e32 v8, 0x380, v8
	v_add_u32_e32 v15, 0x80, v8
	v_and_b32_e32 v20, 0xfc, v27
	v_sub_u32_e32 v8, v14, v19
	v_sub_u32_e32 v9, v15, v14
	v_sub_u32_e64 v18, v20, v9 clamp
	v_min_u32_e32 v21, v20, v8
	v_lshlrev_b32_e32 v17, 3, v19
	v_cmp_lt_u32_e32 vcc, v18, v21
	s_barrier
	ds_write_b128 v16, v[0:3]
	ds_write_b128 v16, v[4:7] offset:16
	s_waitcnt lgkmcnt(0)
	s_barrier
	s_and_saveexec_b64 s[22:23], vcc
	s_cbranch_execz .LBB11_357
; %bb.348:
	v_lshlrev_b32_e32 v8, 3, v20
	v_lshl_add_u32 v22, v14, 3, v8
	v_cndmask_b32_e64 v8, 0, 1, s[4:5]
	s_mov_b64 s[24:25], 0
	v_cmp_ne_u32_e64 s[0:1], 1, v8
	s_branch .LBB11_351
.LBB11_349:                             ;   in Loop: Header=BB11_351 Depth=1
	s_or_b64 exec, exec, s[28:29]
.LBB11_350:                             ;   in Loop: Header=BB11_351 Depth=1
	v_add_u32_e32 v8, 1, v23
	v_cndmask_b32_e64 v21, v21, v23, s[26:27]
	v_cndmask_b32_e64 v18, v8, v18, s[26:27]
	v_cmp_ge_u32_e32 vcc, v18, v21
	s_or_b64 s[24:25], vcc, s[24:25]
	s_andn2_b64 exec, exec, s[24:25]
	s_cbranch_execz .LBB11_356
.LBB11_351:                             ; =>This Loop Header: Depth=1
                                        ;     Child Loop BB11_354 Depth 2
	v_add_u32_e32 v8, v21, v18
	v_lshrrev_b32_e32 v23, 1, v8
	s_and_b64 vcc, exec, s[0:1]
	s_mov_b64 s[26:27], 0
	s_cbranch_vccnz .LBB11_350
; %bb.352:                              ;   in Loop: Header=BB11_351 Depth=1
	v_not_b32_e32 v8, v23
	v_lshl_add_u32 v8, v8, 3, v22
	ds_read_b64 v[8:9], v8
	v_lshl_add_u32 v24, v23, 3, v17
	ds_read_b64 v[24:25], v24
	v_pk_mov_b32 v[10:11], s[14:15], s[14:15] op_sel:[0,1]
	s_mov_b64 s[28:29], 0
	s_waitcnt lgkmcnt(1)
	v_mul_lo_u32 v37, v8, s13
	v_mul_lo_u32 v38, v9, s12
	v_mad_u64_u32 v[8:9], s[26:27], v8, s12, v[10:11]
	v_add3_u32 v9, v38, v9, v37
	s_waitcnt lgkmcnt(0)
	v_mul_lo_u32 v37, v24, s13
	v_mul_lo_u32 v25, v25, s12
	v_mad_u64_u32 v[10:11], s[26:27], v24, s12, v[10:11]
	v_add3_u32 v11, v25, v11, v37
	s_mov_b64 s[36:37], s[12:13]
                                        ; implicit-def: $sgpr26_sgpr27
                                        ; implicit-def: $sgpr30_sgpr31
                                        ; implicit-def: $sgpr34_sgpr35
                                        ; implicit-def: $sgpr38_sgpr39
                                        ; implicit-def: $sgpr40_sgpr41
	s_branch .LBB11_354
.LBB11_353:                             ;   in Loop: Header=BB11_354 Depth=2
	s_or_b64 exec, exec, s[42:43]
	s_and_b64 s[42:43], exec, s[30:31]
	s_or_b64 s[28:29], s[42:43], s[28:29]
	s_andn2_b64 s[40:41], s[40:41], exec
	s_and_b64 s[42:43], s[34:35], exec
	s_or_b64 s[40:41], s[40:41], s[42:43]
	s_andn2_b64 s[26:27], s[26:27], exec
	s_and_b64 s[42:43], s[38:39], exec
	s_or_b64 s[26:27], s[26:27], s[42:43]
	s_andn2_b64 exec, exec, s[28:29]
	s_cbranch_execz .LBB11_349
.LBB11_354:                             ;   Parent Loop BB11_351 Depth=1
                                        ; =>  This Inner Loop Header: Depth=2
	global_load_ubyte v24, v[8:9], off
	global_load_ubyte v25, v[10:11], off
	s_andn2_b64 s[38:39], s[38:39], exec
	s_andn2_b64 s[34:35], s[34:35], exec
	s_or_b64 s[30:31], s[30:31], exec
	s_waitcnt vmcnt(0)
	v_cmp_le_u16_sdwa s[44:45], v24, v25 src0_sel:BYTE_0 src1_sel:BYTE_0
	v_cmp_lt_u16_sdwa s[42:43], v24, v25 src0_sel:BYTE_0 src1_sel:BYTE_0
	s_and_b64 s[44:45], s[44:45], s[40:41]
	s_or_b64 s[44:45], s[42:43], s[44:45]
	s_and_b64 s[42:43], s[44:45], exec
	v_cmp_eq_u16_sdwa s[46:47], v24, v25 src0_sel:BYTE_0 src1_sel:BYTE_0
	s_or_b64 s[38:39], s[38:39], s[42:43]
	s_and_saveexec_b64 s[42:43], s[46:47]
	s_cbranch_execz .LBB11_353
; %bb.355:                              ;   in Loop: Header=BB11_354 Depth=2
	s_add_u32 s36, s36, -1
	s_addc_u32 s37, s37, -1
	v_add_co_u32_e32 v8, vcc, 1, v8
	s_cmp_eq_u64 s[36:37], 0
	v_addc_co_u32_e32 v9, vcc, 0, v9, vcc
	s_cselect_b64 s[40:41], -1, 0
	v_add_co_u32_e32 v10, vcc, 1, v10
	s_andn2_b64 s[34:35], s[34:35], exec
	s_and_b64 s[44:45], s[44:45], exec
	s_andn2_b64 s[30:31], s[30:31], exec
	s_and_b64 s[40:41], s[40:41], exec
	v_addc_co_u32_e32 v11, vcc, 0, v11, vcc
	s_andn2_b64 s[38:39], s[38:39], exec
	s_or_b64 s[34:35], s[34:35], s[44:45]
	s_or_b64 s[30:31], s[30:31], s[40:41]
                                        ; implicit-def: $sgpr40_sgpr41
	s_branch .LBB11_353
.LBB11_356:
	s_or_b64 exec, exec, s[24:25]
.LBB11_357:
	s_or_b64 exec, exec, s[22:23]
	v_sub_u32_e32 v8, v20, v18
	v_add_u32_e32 v19, v18, v19
	v_add_u32_e32 v20, v8, v14
	v_cmp_le_u32_e32 vcc, v19, v14
	v_cmp_le_u32_e64 s[0:1], v20, v15
	s_or_b64 s[0:1], vcc, s[0:1]
	s_and_saveexec_b64 s[22:23], s[0:1]
	s_cbranch_execz .LBB11_404
; %bb.358:
	v_cmp_ge_u32_e32 vcc, v19, v14
	v_cmp_lt_u32_e64 s[0:1], v19, v14
                                        ; implicit-def: $vgpr0_vgpr1
	s_and_saveexec_b64 s[24:25], s[0:1]
	s_cbranch_execz .LBB11_360
; %bb.359:
	v_lshl_add_u32 v0, v18, 3, v17
	ds_read_b64 v[0:1], v0
.LBB11_360:
	s_or_b64 exec, exec, s[24:25]
	v_cmp_ge_u32_e64 s[24:25], v20, v15
	v_cmp_lt_u32_e64 s[0:1], v20, v15
                                        ; implicit-def: $vgpr4_vgpr5
	s_and_saveexec_b64 s[26:27], s[0:1]
	s_cbranch_execz .LBB11_362
; %bb.361:
	v_lshlrev_b32_e32 v2, 3, v20
	ds_read_b64 v[4:5], v2
.LBB11_362:
	s_or_b64 exec, exec, s[26:27]
	s_or_b64 s[26:27], vcc, s[24:25]
	s_mov_b64 s[0:1], -1
	s_xor_b64 s[28:29], s[26:27], -1
	s_and_saveexec_b64 s[26:27], s[28:29]
	s_cbranch_execz .LBB11_371
; %bb.363:
	s_andn2_b64 vcc, exec, s[4:5]
	s_cbranch_vccnz .LBB11_369
; %bb.364:
	v_pk_mov_b32 v[6:7], s[14:15], s[14:15] op_sel:[0,1]
	s_waitcnt lgkmcnt(0)
	v_mad_u64_u32 v[2:3], s[28:29], v4, s12, v[6:7]
	v_mul_lo_u32 v8, v4, s13
	v_mul_lo_u32 v9, v5, s12
	v_add3_u32 v3, v9, v3, v8
	v_mad_u64_u32 v[6:7], s[28:29], v0, s12, v[6:7]
	v_mul_lo_u32 v8, v0, s13
	v_mul_lo_u32 v9, v1, s12
	v_add3_u32 v7, v9, v7, v8
	s_mov_b64 s[28:29], 0
	s_mov_b64 s[38:39], s[12:13]
                                        ; implicit-def: $sgpr30_sgpr31
                                        ; implicit-def: $sgpr34_sgpr35
                                        ; implicit-def: $sgpr40_sgpr41
                                        ; implicit-def: $sgpr36_sgpr37
                                        ; implicit-def: $sgpr42_sgpr43
	s_branch .LBB11_366
.LBB11_365:                             ;   in Loop: Header=BB11_366 Depth=1
	s_or_b64 exec, exec, s[44:45]
	s_and_b64 s[44:45], exec, s[34:35]
	s_or_b64 s[28:29], s[44:45], s[28:29]
	s_andn2_b64 s[42:43], s[42:43], exec
	s_and_b64 s[44:45], s[36:37], exec
	s_or_b64 s[42:43], s[42:43], s[44:45]
	s_andn2_b64 s[30:31], s[30:31], exec
	s_and_b64 s[44:45], s[40:41], exec
	s_or_b64 s[30:31], s[30:31], s[44:45]
	s_andn2_b64 exec, exec, s[28:29]
	s_cbranch_execz .LBB11_368
.LBB11_366:                             ; =>This Inner Loop Header: Depth=1
	global_load_ubyte v8, v[2:3], off
	global_load_ubyte v9, v[6:7], off
	s_andn2_b64 s[40:41], s[40:41], exec
	s_andn2_b64 s[36:37], s[36:37], exec
	s_or_b64 s[34:35], s[34:35], exec
	s_waitcnt vmcnt(0)
	v_cmp_le_u16_sdwa s[46:47], v8, v9 src0_sel:BYTE_0 src1_sel:BYTE_0
	v_cmp_lt_u16_sdwa s[44:45], v8, v9 src0_sel:BYTE_0 src1_sel:BYTE_0
	s_and_b64 s[46:47], s[46:47], s[42:43]
	s_or_b64 s[46:47], s[44:45], s[46:47]
	s_and_b64 s[44:45], s[46:47], exec
	v_cmp_eq_u16_sdwa s[48:49], v8, v9 src0_sel:BYTE_0 src1_sel:BYTE_0
	s_or_b64 s[40:41], s[40:41], s[44:45]
	s_and_saveexec_b64 s[44:45], s[48:49]
	s_cbranch_execz .LBB11_365
; %bb.367:                              ;   in Loop: Header=BB11_366 Depth=1
	s_add_u32 s38, s38, -1
	s_addc_u32 s39, s39, -1
	v_add_co_u32_e32 v2, vcc, 1, v2
	s_cmp_eq_u64 s[38:39], 0
	v_addc_co_u32_e32 v3, vcc, 0, v3, vcc
	s_cselect_b64 s[42:43], -1, 0
	v_add_co_u32_e32 v6, vcc, 1, v6
	s_andn2_b64 s[36:37], s[36:37], exec
	s_and_b64 s[46:47], s[46:47], exec
	s_andn2_b64 s[34:35], s[34:35], exec
	s_and_b64 s[42:43], s[42:43], exec
	v_addc_co_u32_e32 v7, vcc, 0, v7, vcc
	s_or_b64 s[36:37], s[36:37], s[46:47]
	s_andn2_b64 s[40:41], s[40:41], exec
	s_or_b64 s[34:35], s[34:35], s[42:43]
                                        ; implicit-def: $sgpr42_sgpr43
	s_branch .LBB11_365
.LBB11_368:
	s_or_b64 exec, exec, s[28:29]
	s_xor_b64 s[28:29], s[30:31], -1
	s_branch .LBB11_370
.LBB11_369:
	s_mov_b64 s[28:29], -1
.LBB11_370:
	s_andn2_b64 s[24:25], s[24:25], exec
	s_and_b64 s[28:29], s[28:29], exec
	s_or_b64 s[24:25], s[24:25], s[28:29]
.LBB11_371:
	s_or_b64 exec, exec, s[26:27]
	v_cndmask_b32_e64 v2, v20, v19, s[24:25]
	v_cndmask_b32_e64 v3, v15, v14, s[24:25]
	v_add_u32_e32 v6, 1, v2
	v_add_u32_e32 v2, -1, v3
	v_min_u32_e32 v2, v6, v2
	v_lshlrev_b32_e32 v2, 3, v2
	ds_read_b64 v[2:3], v2
	v_cndmask_b32_e64 v20, v6, v20, s[24:25]
	v_cndmask_b32_e64 v19, v19, v6, s[24:25]
	v_cmp_lt_u32_e32 vcc, v20, v15
	s_waitcnt lgkmcnt(0)
	v_cndmask_b32_e64 v8, v3, v5, s[24:25]
	v_cndmask_b32_e64 v9, v2, v4, s[24:25]
	;; [unrolled: 1-line block ×4, first 2 shown]
	s_and_saveexec_b64 s[26:27], vcc
	s_cbranch_execz .LBB11_382
; %bb.372:
	v_cmp_lt_u32_e32 vcc, v19, v14
	s_mov_b64 s[28:29], 0
	s_and_saveexec_b64 s[0:1], vcc
	s_cbranch_execz .LBB11_381
; %bb.373:
	s_andn2_b64 vcc, exec, s[4:5]
	s_cbranch_vccnz .LBB11_379
; %bb.374:
	v_pk_mov_b32 v[6:7], s[14:15], s[14:15] op_sel:[0,1]
	v_mad_u64_u32 v[2:3], s[28:29], v9, s12, v[6:7]
	v_mul_lo_u32 v17, v9, s13
	v_mul_lo_u32 v18, v8, s12
	v_add3_u32 v3, v18, v3, v17
	v_mad_u64_u32 v[6:7], s[28:29], v11, s12, v[6:7]
	v_mul_lo_u32 v17, v11, s13
	v_mul_lo_u32 v18, v10, s12
	v_add3_u32 v7, v18, v7, v17
	s_mov_b64 s[28:29], 0
	s_mov_b64 s[38:39], s[12:13]
                                        ; implicit-def: $sgpr30_sgpr31
                                        ; implicit-def: $sgpr34_sgpr35
                                        ; implicit-def: $sgpr40_sgpr41
                                        ; implicit-def: $sgpr36_sgpr37
                                        ; implicit-def: $sgpr42_sgpr43
	s_branch .LBB11_376
.LBB11_375:                             ;   in Loop: Header=BB11_376 Depth=1
	s_or_b64 exec, exec, s[44:45]
	s_and_b64 s[44:45], exec, s[34:35]
	s_or_b64 s[28:29], s[44:45], s[28:29]
	s_andn2_b64 s[42:43], s[42:43], exec
	s_and_b64 s[44:45], s[36:37], exec
	s_or_b64 s[42:43], s[42:43], s[44:45]
	s_andn2_b64 s[30:31], s[30:31], exec
	s_and_b64 s[44:45], s[40:41], exec
	s_or_b64 s[30:31], s[30:31], s[44:45]
	s_andn2_b64 exec, exec, s[28:29]
	s_cbranch_execz .LBB11_378
.LBB11_376:                             ; =>This Inner Loop Header: Depth=1
	global_load_ubyte v17, v[2:3], off
	global_load_ubyte v18, v[6:7], off
	s_andn2_b64 s[40:41], s[40:41], exec
	s_andn2_b64 s[36:37], s[36:37], exec
	s_or_b64 s[34:35], s[34:35], exec
	s_waitcnt vmcnt(0)
	v_cmp_le_u16_sdwa s[46:47], v17, v18 src0_sel:BYTE_0 src1_sel:BYTE_0
	v_cmp_lt_u16_sdwa s[44:45], v17, v18 src0_sel:BYTE_0 src1_sel:BYTE_0
	s_and_b64 s[46:47], s[46:47], s[42:43]
	s_or_b64 s[46:47], s[44:45], s[46:47]
	s_and_b64 s[44:45], s[46:47], exec
	v_cmp_eq_u16_sdwa s[48:49], v17, v18 src0_sel:BYTE_0 src1_sel:BYTE_0
	s_or_b64 s[40:41], s[40:41], s[44:45]
	s_and_saveexec_b64 s[44:45], s[48:49]
	s_cbranch_execz .LBB11_375
; %bb.377:                              ;   in Loop: Header=BB11_376 Depth=1
	s_add_u32 s38, s38, -1
	s_addc_u32 s39, s39, -1
	v_add_co_u32_e32 v2, vcc, 1, v2
	s_cmp_eq_u64 s[38:39], 0
	v_addc_co_u32_e32 v3, vcc, 0, v3, vcc
	s_cselect_b64 s[42:43], -1, 0
	v_add_co_u32_e32 v6, vcc, 1, v6
	s_andn2_b64 s[36:37], s[36:37], exec
	s_and_b64 s[46:47], s[46:47], exec
	s_andn2_b64 s[34:35], s[34:35], exec
	s_and_b64 s[42:43], s[42:43], exec
	v_addc_co_u32_e32 v7, vcc, 0, v7, vcc
	s_or_b64 s[36:37], s[36:37], s[46:47]
	s_andn2_b64 s[40:41], s[40:41], exec
	s_or_b64 s[34:35], s[34:35], s[42:43]
                                        ; implicit-def: $sgpr42_sgpr43
	s_branch .LBB11_375
.LBB11_378:
	s_or_b64 exec, exec, s[28:29]
	s_xor_b64 s[28:29], s[30:31], -1
	s_branch .LBB11_380
.LBB11_379:
	s_mov_b64 s[28:29], -1
.LBB11_380:
	s_and_b64 s[28:29], s[28:29], exec
.LBB11_381:
	s_or_b64 exec, exec, s[0:1]
	s_orn2_b64 s[0:1], s[28:29], exec
.LBB11_382:
	s_or_b64 exec, exec, s[26:27]
	v_cndmask_b32_e64 v2, v20, v19, s[0:1]
	v_cndmask_b32_e64 v3, v15, v14, s[0:1]
	v_add_u32_e32 v6, 1, v2
	v_add_u32_e32 v2, -1, v3
	v_min_u32_e32 v2, v6, v2
	v_lshlrev_b32_e32 v2, 3, v2
	ds_read_b64 v[2:3], v2
	v_cndmask_b32_e64 v20, v6, v20, s[0:1]
	v_cndmask_b32_e64 v19, v19, v6, s[0:1]
	v_cmp_lt_u32_e32 vcc, v20, v15
	s_mov_b64 s[28:29], -1
	s_waitcnt lgkmcnt(0)
	v_cndmask_b32_e64 v17, v3, v8, s[0:1]
	v_cndmask_b32_e64 v18, v2, v9, s[0:1]
	;; [unrolled: 1-line block ×4, first 2 shown]
	s_and_saveexec_b64 s[26:27], vcc
	s_cbranch_execz .LBB11_393
; %bb.383:
	v_cmp_lt_u32_e32 vcc, v19, v14
	s_mov_b64 s[30:31], 0
	s_and_saveexec_b64 s[28:29], vcc
	s_cbranch_execz .LBB11_392
; %bb.384:
	s_andn2_b64 vcc, exec, s[4:5]
	s_cbranch_vccnz .LBB11_390
; %bb.385:
	v_pk_mov_b32 v[6:7], s[14:15], s[14:15] op_sel:[0,1]
	v_mad_u64_u32 v[2:3], s[30:31], v18, s12, v[6:7]
	v_mul_lo_u32 v23, v18, s13
	v_mul_lo_u32 v24, v17, s12
	v_add3_u32 v3, v24, v3, v23
	v_mad_u64_u32 v[6:7], s[30:31], v22, s12, v[6:7]
	v_mul_lo_u32 v23, v22, s13
	v_mul_lo_u32 v24, v21, s12
	v_add3_u32 v7, v24, v7, v23
	s_mov_b64 s[30:31], 0
	s_mov_b64 s[40:41], s[12:13]
                                        ; implicit-def: $sgpr34_sgpr35
                                        ; implicit-def: $sgpr36_sgpr37
                                        ; implicit-def: $sgpr42_sgpr43
                                        ; implicit-def: $sgpr38_sgpr39
                                        ; implicit-def: $sgpr44_sgpr45
	s_branch .LBB11_387
.LBB11_386:                             ;   in Loop: Header=BB11_387 Depth=1
	s_or_b64 exec, exec, s[46:47]
	s_and_b64 s[46:47], exec, s[36:37]
	s_or_b64 s[30:31], s[46:47], s[30:31]
	s_andn2_b64 s[44:45], s[44:45], exec
	s_and_b64 s[46:47], s[38:39], exec
	s_or_b64 s[44:45], s[44:45], s[46:47]
	s_andn2_b64 s[34:35], s[34:35], exec
	s_and_b64 s[46:47], s[42:43], exec
	s_or_b64 s[34:35], s[34:35], s[46:47]
	s_andn2_b64 exec, exec, s[30:31]
	s_cbranch_execz .LBB11_389
.LBB11_387:                             ; =>This Inner Loop Header: Depth=1
	global_load_ubyte v23, v[2:3], off
	global_load_ubyte v24, v[6:7], off
	s_andn2_b64 s[42:43], s[42:43], exec
	s_andn2_b64 s[38:39], s[38:39], exec
	s_or_b64 s[36:37], s[36:37], exec
	s_waitcnt vmcnt(0)
	v_cmp_le_u16_sdwa s[48:49], v23, v24 src0_sel:BYTE_0 src1_sel:BYTE_0
	v_cmp_lt_u16_sdwa s[46:47], v23, v24 src0_sel:BYTE_0 src1_sel:BYTE_0
	s_and_b64 s[48:49], s[48:49], s[44:45]
	s_or_b64 s[48:49], s[46:47], s[48:49]
	s_and_b64 s[46:47], s[48:49], exec
	v_cmp_eq_u16_sdwa s[50:51], v23, v24 src0_sel:BYTE_0 src1_sel:BYTE_0
	s_or_b64 s[42:43], s[42:43], s[46:47]
	s_and_saveexec_b64 s[46:47], s[50:51]
	s_cbranch_execz .LBB11_386
; %bb.388:                              ;   in Loop: Header=BB11_387 Depth=1
	s_add_u32 s40, s40, -1
	s_addc_u32 s41, s41, -1
	v_add_co_u32_e32 v2, vcc, 1, v2
	s_cmp_eq_u64 s[40:41], 0
	v_addc_co_u32_e32 v3, vcc, 0, v3, vcc
	s_cselect_b64 s[44:45], -1, 0
	v_add_co_u32_e32 v6, vcc, 1, v6
	s_andn2_b64 s[38:39], s[38:39], exec
	s_and_b64 s[48:49], s[48:49], exec
	s_andn2_b64 s[36:37], s[36:37], exec
	s_and_b64 s[44:45], s[44:45], exec
	v_addc_co_u32_e32 v7, vcc, 0, v7, vcc
	s_or_b64 s[38:39], s[38:39], s[48:49]
	s_andn2_b64 s[42:43], s[42:43], exec
	s_or_b64 s[36:37], s[36:37], s[44:45]
                                        ; implicit-def: $sgpr44_sgpr45
	s_branch .LBB11_386
.LBB11_389:
	s_or_b64 exec, exec, s[30:31]
	s_xor_b64 s[30:31], s[34:35], -1
	s_branch .LBB11_391
.LBB11_390:
	s_mov_b64 s[30:31], -1
.LBB11_391:
	s_and_b64 s[30:31], s[30:31], exec
.LBB11_392:
	s_or_b64 exec, exec, s[28:29]
	s_orn2_b64 s[28:29], s[30:31], exec
.LBB11_393:
	s_or_b64 exec, exec, s[26:27]
	v_cndmask_b32_e64 v6, v20, v19, s[28:29]
	v_cndmask_b32_e64 v7, v15, v14, s[28:29]
	;; [unrolled: 1-line block ×3, first 2 shown]
	v_add_u32_e32 v10, 1, v6
	v_add_u32_e32 v6, -1, v7
	v_min_u32_e32 v6, v10, v6
	v_lshlrev_b32_e32 v6, 3, v6
	v_cndmask_b32_e64 v2, v9, v11, s[0:1]
	ds_read_b64 v[8:9], v6
	v_cndmask_b32_e64 v11, v10, v20, s[28:29]
	v_cndmask_b32_e64 v1, v5, v1, s[24:25]
	;; [unrolled: 1-line block ×5, first 2 shown]
	s_waitcnt lgkmcnt(0)
	v_cndmask_b32_e64 v7, v21, v9, s[28:29]
	v_cndmask_b32_e64 v6, v22, v8, s[28:29]
	v_cmp_lt_u32_e32 vcc, v11, v15
	s_and_saveexec_b64 s[0:1], vcc
	s_cbranch_execz .LBB11_403
; %bb.394:
	v_cndmask_b32_e64 v10, v19, v10, s[28:29]
	v_cndmask_b32_e64 v9, v9, v17, s[28:29]
	;; [unrolled: 1-line block ×3, first 2 shown]
	v_cmp_lt_u32_e32 vcc, v10, v14
	s_and_saveexec_b64 s[24:25], vcc
	s_cbranch_execz .LBB11_402
; %bb.395:
	s_andn2_b64 vcc, exec, s[4:5]
	s_cbranch_vccnz .LBB11_401
; %bb.396:
	v_pk_mov_b32 v[14:15], s[14:15], s[14:15] op_sel:[0,1]
	v_mad_u64_u32 v[10:11], s[26:27], v8, s12, v[14:15]
	v_mul_lo_u32 v17, v8, s13
	v_mul_lo_u32 v18, v9, s12
	v_add3_u32 v11, v18, v11, v17
	v_mad_u64_u32 v[14:15], s[26:27], v6, s12, v[14:15]
	v_mul_lo_u32 v17, v6, s13
	v_mul_lo_u32 v18, v7, s12
	v_add3_u32 v15, v18, v15, v17
	s_mov_b64 s[26:27], 0
	s_mov_b64 s[36:37], s[12:13]
                                        ; implicit-def: $sgpr28_sgpr29
                                        ; implicit-def: $sgpr30_sgpr31
                                        ; implicit-def: $sgpr38_sgpr39
                                        ; implicit-def: $sgpr34_sgpr35
                                        ; implicit-def: $sgpr40_sgpr41
	s_branch .LBB11_398
.LBB11_397:                             ;   in Loop: Header=BB11_398 Depth=1
	s_or_b64 exec, exec, s[42:43]
	s_and_b64 s[42:43], exec, s[30:31]
	s_or_b64 s[26:27], s[42:43], s[26:27]
	s_andn2_b64 s[40:41], s[40:41], exec
	s_and_b64 s[42:43], s[34:35], exec
	s_or_b64 s[40:41], s[40:41], s[42:43]
	s_andn2_b64 s[28:29], s[28:29], exec
	s_and_b64 s[42:43], s[38:39], exec
	s_or_b64 s[28:29], s[28:29], s[42:43]
	s_andn2_b64 exec, exec, s[26:27]
	s_cbranch_execz .LBB11_400
.LBB11_398:                             ; =>This Inner Loop Header: Depth=1
	global_load_ubyte v17, v[10:11], off
	global_load_ubyte v18, v[14:15], off
	s_andn2_b64 s[38:39], s[38:39], exec
	s_andn2_b64 s[34:35], s[34:35], exec
	s_or_b64 s[30:31], s[30:31], exec
	s_waitcnt vmcnt(0)
	v_cmp_le_u16_sdwa s[44:45], v17, v18 src0_sel:BYTE_0 src1_sel:BYTE_0
	v_cmp_lt_u16_sdwa s[42:43], v17, v18 src0_sel:BYTE_0 src1_sel:BYTE_0
	s_and_b64 s[44:45], s[44:45], s[40:41]
	s_or_b64 s[44:45], s[42:43], s[44:45]
	s_and_b64 s[42:43], s[44:45], exec
	v_cmp_eq_u16_sdwa s[46:47], v17, v18 src0_sel:BYTE_0 src1_sel:BYTE_0
	s_or_b64 s[38:39], s[38:39], s[42:43]
	s_and_saveexec_b64 s[42:43], s[46:47]
	s_cbranch_execz .LBB11_397
; %bb.399:                              ;   in Loop: Header=BB11_398 Depth=1
	s_add_u32 s36, s36, -1
	s_addc_u32 s37, s37, -1
	v_add_co_u32_e32 v10, vcc, 1, v10
	s_cmp_eq_u64 s[36:37], 0
	v_addc_co_u32_e32 v11, vcc, 0, v11, vcc
	s_cselect_b64 s[40:41], -1, 0
	v_add_co_u32_e32 v14, vcc, 1, v14
	s_andn2_b64 s[34:35], s[34:35], exec
	s_and_b64 s[44:45], s[44:45], exec
	s_andn2_b64 s[30:31], s[30:31], exec
	s_and_b64 s[40:41], s[40:41], exec
	v_addc_co_u32_e32 v15, vcc, 0, v15, vcc
	s_or_b64 s[34:35], s[34:35], s[44:45]
	s_andn2_b64 s[38:39], s[38:39], exec
	s_or_b64 s[30:31], s[30:31], s[40:41]
                                        ; implicit-def: $sgpr40_sgpr41
	s_branch .LBB11_397
.LBB11_400:
	s_or_b64 exec, exec, s[26:27]
	v_cndmask_b32_e64 v7, v7, v9, s[28:29]
	v_cndmask_b32_e64 v6, v6, v8, s[28:29]
.LBB11_401:
	v_pk_mov_b32 v[8:9], v[6:7], v[6:7] op_sel:[0,1]
.LBB11_402:
	s_or_b64 exec, exec, s[24:25]
	v_pk_mov_b32 v[6:7], v[8:9], v[8:9] op_sel:[0,1]
.LBB11_403:
	s_or_b64 exec, exec, s[0:1]
.LBB11_404:
	s_or_b64 exec, exec, s[22:23]
	v_and_b32_e32 v19, 0xe00, v27
	v_or_b32_e32 v8, 0x100, v19
	v_min_u32_e32 v14, 0x400, v8
	v_min_u32_e32 v8, 0x300, v8
	v_add_u32_e32 v15, 0x100, v8
	v_and_b32_e32 v20, 0x1fc, v27
	v_sub_u32_e32 v8, v14, v19
	v_sub_u32_e32 v9, v15, v14
	v_sub_u32_e64 v18, v20, v9 clamp
	v_min_u32_e32 v21, v20, v8
	v_lshlrev_b32_e32 v17, 3, v19
	v_cmp_lt_u32_e32 vcc, v18, v21
	s_barrier
	ds_write_b128 v16, v[0:3]
	ds_write_b128 v16, v[4:7] offset:16
	s_waitcnt lgkmcnt(0)
	s_barrier
	s_and_saveexec_b64 s[22:23], vcc
	s_cbranch_execz .LBB11_414
; %bb.405:
	v_lshlrev_b32_e32 v8, 3, v20
	v_lshl_add_u32 v22, v14, 3, v8
	v_cndmask_b32_e64 v8, 0, 1, s[4:5]
	s_mov_b64 s[24:25], 0
	v_cmp_ne_u32_e64 s[0:1], 1, v8
	s_branch .LBB11_408
.LBB11_406:                             ;   in Loop: Header=BB11_408 Depth=1
	s_or_b64 exec, exec, s[28:29]
.LBB11_407:                             ;   in Loop: Header=BB11_408 Depth=1
	v_add_u32_e32 v8, 1, v23
	v_cndmask_b32_e64 v21, v21, v23, s[26:27]
	v_cndmask_b32_e64 v18, v8, v18, s[26:27]
	v_cmp_ge_u32_e32 vcc, v18, v21
	s_or_b64 s[24:25], vcc, s[24:25]
	s_andn2_b64 exec, exec, s[24:25]
	s_cbranch_execz .LBB11_413
.LBB11_408:                             ; =>This Loop Header: Depth=1
                                        ;     Child Loop BB11_411 Depth 2
	v_add_u32_e32 v8, v21, v18
	v_lshrrev_b32_e32 v23, 1, v8
	s_and_b64 vcc, exec, s[0:1]
	s_mov_b64 s[26:27], 0
	s_cbranch_vccnz .LBB11_407
; %bb.409:                              ;   in Loop: Header=BB11_408 Depth=1
	v_not_b32_e32 v8, v23
	v_lshl_add_u32 v8, v8, 3, v22
	ds_read_b64 v[8:9], v8
	v_lshl_add_u32 v24, v23, 3, v17
	ds_read_b64 v[24:25], v24
	v_pk_mov_b32 v[10:11], s[14:15], s[14:15] op_sel:[0,1]
	s_mov_b64 s[28:29], 0
	s_waitcnt lgkmcnt(1)
	v_mul_lo_u32 v37, v8, s13
	v_mul_lo_u32 v38, v9, s12
	v_mad_u64_u32 v[8:9], s[26:27], v8, s12, v[10:11]
	v_add3_u32 v9, v38, v9, v37
	s_waitcnt lgkmcnt(0)
	v_mul_lo_u32 v37, v24, s13
	v_mul_lo_u32 v25, v25, s12
	v_mad_u64_u32 v[10:11], s[26:27], v24, s12, v[10:11]
	v_add3_u32 v11, v25, v11, v37
	s_mov_b64 s[36:37], s[12:13]
                                        ; implicit-def: $sgpr26_sgpr27
                                        ; implicit-def: $sgpr30_sgpr31
                                        ; implicit-def: $sgpr34_sgpr35
                                        ; implicit-def: $sgpr38_sgpr39
                                        ; implicit-def: $sgpr40_sgpr41
	s_branch .LBB11_411
.LBB11_410:                             ;   in Loop: Header=BB11_411 Depth=2
	s_or_b64 exec, exec, s[42:43]
	s_and_b64 s[42:43], exec, s[30:31]
	s_or_b64 s[28:29], s[42:43], s[28:29]
	s_andn2_b64 s[40:41], s[40:41], exec
	s_and_b64 s[42:43], s[34:35], exec
	s_or_b64 s[40:41], s[40:41], s[42:43]
	s_andn2_b64 s[26:27], s[26:27], exec
	s_and_b64 s[42:43], s[38:39], exec
	s_or_b64 s[26:27], s[26:27], s[42:43]
	s_andn2_b64 exec, exec, s[28:29]
	s_cbranch_execz .LBB11_406
.LBB11_411:                             ;   Parent Loop BB11_408 Depth=1
                                        ; =>  This Inner Loop Header: Depth=2
	global_load_ubyte v24, v[8:9], off
	global_load_ubyte v25, v[10:11], off
	s_andn2_b64 s[38:39], s[38:39], exec
	s_andn2_b64 s[34:35], s[34:35], exec
	s_or_b64 s[30:31], s[30:31], exec
	s_waitcnt vmcnt(0)
	v_cmp_le_u16_sdwa s[44:45], v24, v25 src0_sel:BYTE_0 src1_sel:BYTE_0
	v_cmp_lt_u16_sdwa s[42:43], v24, v25 src0_sel:BYTE_0 src1_sel:BYTE_0
	s_and_b64 s[44:45], s[44:45], s[40:41]
	s_or_b64 s[44:45], s[42:43], s[44:45]
	s_and_b64 s[42:43], s[44:45], exec
	v_cmp_eq_u16_sdwa s[46:47], v24, v25 src0_sel:BYTE_0 src1_sel:BYTE_0
	s_or_b64 s[38:39], s[38:39], s[42:43]
	s_and_saveexec_b64 s[42:43], s[46:47]
	s_cbranch_execz .LBB11_410
; %bb.412:                              ;   in Loop: Header=BB11_411 Depth=2
	s_add_u32 s36, s36, -1
	s_addc_u32 s37, s37, -1
	v_add_co_u32_e32 v8, vcc, 1, v8
	s_cmp_eq_u64 s[36:37], 0
	v_addc_co_u32_e32 v9, vcc, 0, v9, vcc
	s_cselect_b64 s[40:41], -1, 0
	v_add_co_u32_e32 v10, vcc, 1, v10
	s_andn2_b64 s[34:35], s[34:35], exec
	s_and_b64 s[44:45], s[44:45], exec
	s_andn2_b64 s[30:31], s[30:31], exec
	s_and_b64 s[40:41], s[40:41], exec
	v_addc_co_u32_e32 v11, vcc, 0, v11, vcc
	s_andn2_b64 s[38:39], s[38:39], exec
	s_or_b64 s[34:35], s[34:35], s[44:45]
	s_or_b64 s[30:31], s[30:31], s[40:41]
                                        ; implicit-def: $sgpr40_sgpr41
	s_branch .LBB11_410
.LBB11_413:
	s_or_b64 exec, exec, s[24:25]
.LBB11_414:
	s_or_b64 exec, exec, s[22:23]
	v_sub_u32_e32 v8, v20, v18
	v_add_u32_e32 v19, v18, v19
	v_add_u32_e32 v20, v8, v14
	v_cmp_le_u32_e32 vcc, v19, v14
	v_cmp_le_u32_e64 s[0:1], v20, v15
	s_or_b64 s[0:1], vcc, s[0:1]
	s_and_saveexec_b64 s[22:23], s[0:1]
	s_cbranch_execz .LBB11_461
; %bb.415:
	v_cmp_ge_u32_e32 vcc, v19, v14
	v_cmp_lt_u32_e64 s[0:1], v19, v14
                                        ; implicit-def: $vgpr0_vgpr1
	s_and_saveexec_b64 s[24:25], s[0:1]
	s_cbranch_execz .LBB11_417
; %bb.416:
	v_lshl_add_u32 v0, v18, 3, v17
	ds_read_b64 v[0:1], v0
.LBB11_417:
	s_or_b64 exec, exec, s[24:25]
	v_cmp_ge_u32_e64 s[24:25], v20, v15
	v_cmp_lt_u32_e64 s[0:1], v20, v15
                                        ; implicit-def: $vgpr4_vgpr5
	s_and_saveexec_b64 s[26:27], s[0:1]
	s_cbranch_execz .LBB11_419
; %bb.418:
	v_lshlrev_b32_e32 v2, 3, v20
	ds_read_b64 v[4:5], v2
.LBB11_419:
	s_or_b64 exec, exec, s[26:27]
	s_or_b64 s[26:27], vcc, s[24:25]
	s_mov_b64 s[0:1], -1
	s_xor_b64 s[28:29], s[26:27], -1
	s_and_saveexec_b64 s[26:27], s[28:29]
	s_cbranch_execz .LBB11_428
; %bb.420:
	s_andn2_b64 vcc, exec, s[4:5]
	s_cbranch_vccnz .LBB11_426
; %bb.421:
	v_pk_mov_b32 v[6:7], s[14:15], s[14:15] op_sel:[0,1]
	s_waitcnt lgkmcnt(0)
	v_mad_u64_u32 v[2:3], s[28:29], v4, s12, v[6:7]
	v_mul_lo_u32 v8, v4, s13
	v_mul_lo_u32 v9, v5, s12
	v_add3_u32 v3, v9, v3, v8
	v_mad_u64_u32 v[6:7], s[28:29], v0, s12, v[6:7]
	v_mul_lo_u32 v8, v0, s13
	v_mul_lo_u32 v9, v1, s12
	v_add3_u32 v7, v9, v7, v8
	s_mov_b64 s[28:29], 0
	s_mov_b64 s[38:39], s[12:13]
                                        ; implicit-def: $sgpr30_sgpr31
                                        ; implicit-def: $sgpr34_sgpr35
                                        ; implicit-def: $sgpr40_sgpr41
                                        ; implicit-def: $sgpr36_sgpr37
                                        ; implicit-def: $sgpr42_sgpr43
	s_branch .LBB11_423
.LBB11_422:                             ;   in Loop: Header=BB11_423 Depth=1
	s_or_b64 exec, exec, s[44:45]
	s_and_b64 s[44:45], exec, s[34:35]
	s_or_b64 s[28:29], s[44:45], s[28:29]
	s_andn2_b64 s[42:43], s[42:43], exec
	s_and_b64 s[44:45], s[36:37], exec
	s_or_b64 s[42:43], s[42:43], s[44:45]
	s_andn2_b64 s[30:31], s[30:31], exec
	s_and_b64 s[44:45], s[40:41], exec
	s_or_b64 s[30:31], s[30:31], s[44:45]
	s_andn2_b64 exec, exec, s[28:29]
	s_cbranch_execz .LBB11_425
.LBB11_423:                             ; =>This Inner Loop Header: Depth=1
	global_load_ubyte v8, v[2:3], off
	global_load_ubyte v9, v[6:7], off
	s_andn2_b64 s[40:41], s[40:41], exec
	s_andn2_b64 s[36:37], s[36:37], exec
	s_or_b64 s[34:35], s[34:35], exec
	s_waitcnt vmcnt(0)
	v_cmp_le_u16_sdwa s[46:47], v8, v9 src0_sel:BYTE_0 src1_sel:BYTE_0
	v_cmp_lt_u16_sdwa s[44:45], v8, v9 src0_sel:BYTE_0 src1_sel:BYTE_0
	s_and_b64 s[46:47], s[46:47], s[42:43]
	s_or_b64 s[46:47], s[44:45], s[46:47]
	s_and_b64 s[44:45], s[46:47], exec
	v_cmp_eq_u16_sdwa s[48:49], v8, v9 src0_sel:BYTE_0 src1_sel:BYTE_0
	s_or_b64 s[40:41], s[40:41], s[44:45]
	s_and_saveexec_b64 s[44:45], s[48:49]
	s_cbranch_execz .LBB11_422
; %bb.424:                              ;   in Loop: Header=BB11_423 Depth=1
	s_add_u32 s38, s38, -1
	s_addc_u32 s39, s39, -1
	v_add_co_u32_e32 v2, vcc, 1, v2
	s_cmp_eq_u64 s[38:39], 0
	v_addc_co_u32_e32 v3, vcc, 0, v3, vcc
	s_cselect_b64 s[42:43], -1, 0
	v_add_co_u32_e32 v6, vcc, 1, v6
	s_andn2_b64 s[36:37], s[36:37], exec
	s_and_b64 s[46:47], s[46:47], exec
	s_andn2_b64 s[34:35], s[34:35], exec
	s_and_b64 s[42:43], s[42:43], exec
	v_addc_co_u32_e32 v7, vcc, 0, v7, vcc
	s_or_b64 s[36:37], s[36:37], s[46:47]
	s_andn2_b64 s[40:41], s[40:41], exec
	s_or_b64 s[34:35], s[34:35], s[42:43]
                                        ; implicit-def: $sgpr42_sgpr43
	s_branch .LBB11_422
.LBB11_425:
	s_or_b64 exec, exec, s[28:29]
	s_xor_b64 s[28:29], s[30:31], -1
	s_branch .LBB11_427
.LBB11_426:
	s_mov_b64 s[28:29], -1
.LBB11_427:
	s_andn2_b64 s[24:25], s[24:25], exec
	s_and_b64 s[28:29], s[28:29], exec
	s_or_b64 s[24:25], s[24:25], s[28:29]
.LBB11_428:
	s_or_b64 exec, exec, s[26:27]
	v_cndmask_b32_e64 v2, v20, v19, s[24:25]
	v_cndmask_b32_e64 v3, v15, v14, s[24:25]
	v_add_u32_e32 v6, 1, v2
	v_add_u32_e32 v2, -1, v3
	v_min_u32_e32 v2, v6, v2
	v_lshlrev_b32_e32 v2, 3, v2
	ds_read_b64 v[2:3], v2
	v_cndmask_b32_e64 v20, v6, v20, s[24:25]
	v_cndmask_b32_e64 v19, v19, v6, s[24:25]
	v_cmp_lt_u32_e32 vcc, v20, v15
	s_waitcnt lgkmcnt(0)
	v_cndmask_b32_e64 v8, v3, v5, s[24:25]
	v_cndmask_b32_e64 v9, v2, v4, s[24:25]
	;; [unrolled: 1-line block ×4, first 2 shown]
	s_and_saveexec_b64 s[26:27], vcc
	s_cbranch_execz .LBB11_439
; %bb.429:
	v_cmp_lt_u32_e32 vcc, v19, v14
	s_mov_b64 s[28:29], 0
	s_and_saveexec_b64 s[0:1], vcc
	s_cbranch_execz .LBB11_438
; %bb.430:
	s_andn2_b64 vcc, exec, s[4:5]
	s_cbranch_vccnz .LBB11_436
; %bb.431:
	v_pk_mov_b32 v[6:7], s[14:15], s[14:15] op_sel:[0,1]
	v_mad_u64_u32 v[2:3], s[28:29], v9, s12, v[6:7]
	v_mul_lo_u32 v17, v9, s13
	v_mul_lo_u32 v18, v8, s12
	v_add3_u32 v3, v18, v3, v17
	v_mad_u64_u32 v[6:7], s[28:29], v11, s12, v[6:7]
	v_mul_lo_u32 v17, v11, s13
	v_mul_lo_u32 v18, v10, s12
	v_add3_u32 v7, v18, v7, v17
	s_mov_b64 s[28:29], 0
	s_mov_b64 s[38:39], s[12:13]
                                        ; implicit-def: $sgpr30_sgpr31
                                        ; implicit-def: $sgpr34_sgpr35
                                        ; implicit-def: $sgpr40_sgpr41
                                        ; implicit-def: $sgpr36_sgpr37
                                        ; implicit-def: $sgpr42_sgpr43
	s_branch .LBB11_433
.LBB11_432:                             ;   in Loop: Header=BB11_433 Depth=1
	s_or_b64 exec, exec, s[44:45]
	s_and_b64 s[44:45], exec, s[34:35]
	s_or_b64 s[28:29], s[44:45], s[28:29]
	s_andn2_b64 s[42:43], s[42:43], exec
	s_and_b64 s[44:45], s[36:37], exec
	s_or_b64 s[42:43], s[42:43], s[44:45]
	s_andn2_b64 s[30:31], s[30:31], exec
	s_and_b64 s[44:45], s[40:41], exec
	s_or_b64 s[30:31], s[30:31], s[44:45]
	s_andn2_b64 exec, exec, s[28:29]
	s_cbranch_execz .LBB11_435
.LBB11_433:                             ; =>This Inner Loop Header: Depth=1
	global_load_ubyte v17, v[2:3], off
	global_load_ubyte v18, v[6:7], off
	s_andn2_b64 s[40:41], s[40:41], exec
	s_andn2_b64 s[36:37], s[36:37], exec
	s_or_b64 s[34:35], s[34:35], exec
	s_waitcnt vmcnt(0)
	v_cmp_le_u16_sdwa s[46:47], v17, v18 src0_sel:BYTE_0 src1_sel:BYTE_0
	v_cmp_lt_u16_sdwa s[44:45], v17, v18 src0_sel:BYTE_0 src1_sel:BYTE_0
	s_and_b64 s[46:47], s[46:47], s[42:43]
	s_or_b64 s[46:47], s[44:45], s[46:47]
	s_and_b64 s[44:45], s[46:47], exec
	v_cmp_eq_u16_sdwa s[48:49], v17, v18 src0_sel:BYTE_0 src1_sel:BYTE_0
	s_or_b64 s[40:41], s[40:41], s[44:45]
	s_and_saveexec_b64 s[44:45], s[48:49]
	s_cbranch_execz .LBB11_432
; %bb.434:                              ;   in Loop: Header=BB11_433 Depth=1
	s_add_u32 s38, s38, -1
	s_addc_u32 s39, s39, -1
	v_add_co_u32_e32 v2, vcc, 1, v2
	s_cmp_eq_u64 s[38:39], 0
	v_addc_co_u32_e32 v3, vcc, 0, v3, vcc
	s_cselect_b64 s[42:43], -1, 0
	v_add_co_u32_e32 v6, vcc, 1, v6
	s_andn2_b64 s[36:37], s[36:37], exec
	s_and_b64 s[46:47], s[46:47], exec
	s_andn2_b64 s[34:35], s[34:35], exec
	s_and_b64 s[42:43], s[42:43], exec
	v_addc_co_u32_e32 v7, vcc, 0, v7, vcc
	s_or_b64 s[36:37], s[36:37], s[46:47]
	s_andn2_b64 s[40:41], s[40:41], exec
	s_or_b64 s[34:35], s[34:35], s[42:43]
                                        ; implicit-def: $sgpr42_sgpr43
	s_branch .LBB11_432
.LBB11_435:
	s_or_b64 exec, exec, s[28:29]
	s_xor_b64 s[28:29], s[30:31], -1
	s_branch .LBB11_437
.LBB11_436:
	s_mov_b64 s[28:29], -1
.LBB11_437:
	s_and_b64 s[28:29], s[28:29], exec
.LBB11_438:
	s_or_b64 exec, exec, s[0:1]
	s_orn2_b64 s[0:1], s[28:29], exec
.LBB11_439:
	s_or_b64 exec, exec, s[26:27]
	v_cndmask_b32_e64 v2, v20, v19, s[0:1]
	v_cndmask_b32_e64 v3, v15, v14, s[0:1]
	v_add_u32_e32 v6, 1, v2
	v_add_u32_e32 v2, -1, v3
	v_min_u32_e32 v2, v6, v2
	v_lshlrev_b32_e32 v2, 3, v2
	ds_read_b64 v[2:3], v2
	v_cndmask_b32_e64 v20, v6, v20, s[0:1]
	v_cndmask_b32_e64 v19, v19, v6, s[0:1]
	v_cmp_lt_u32_e32 vcc, v20, v15
	s_mov_b64 s[28:29], -1
	s_waitcnt lgkmcnt(0)
	v_cndmask_b32_e64 v17, v3, v8, s[0:1]
	v_cndmask_b32_e64 v18, v2, v9, s[0:1]
	;; [unrolled: 1-line block ×4, first 2 shown]
	s_and_saveexec_b64 s[26:27], vcc
	s_cbranch_execz .LBB11_450
; %bb.440:
	v_cmp_lt_u32_e32 vcc, v19, v14
	s_mov_b64 s[30:31], 0
	s_and_saveexec_b64 s[28:29], vcc
	s_cbranch_execz .LBB11_449
; %bb.441:
	s_andn2_b64 vcc, exec, s[4:5]
	s_cbranch_vccnz .LBB11_447
; %bb.442:
	v_pk_mov_b32 v[6:7], s[14:15], s[14:15] op_sel:[0,1]
	v_mad_u64_u32 v[2:3], s[30:31], v18, s12, v[6:7]
	v_mul_lo_u32 v23, v18, s13
	v_mul_lo_u32 v24, v17, s12
	v_add3_u32 v3, v24, v3, v23
	v_mad_u64_u32 v[6:7], s[30:31], v22, s12, v[6:7]
	v_mul_lo_u32 v23, v22, s13
	v_mul_lo_u32 v24, v21, s12
	v_add3_u32 v7, v24, v7, v23
	s_mov_b64 s[30:31], 0
	s_mov_b64 s[40:41], s[12:13]
                                        ; implicit-def: $sgpr34_sgpr35
                                        ; implicit-def: $sgpr36_sgpr37
                                        ; implicit-def: $sgpr42_sgpr43
                                        ; implicit-def: $sgpr38_sgpr39
                                        ; implicit-def: $sgpr44_sgpr45
	s_branch .LBB11_444
.LBB11_443:                             ;   in Loop: Header=BB11_444 Depth=1
	s_or_b64 exec, exec, s[46:47]
	s_and_b64 s[46:47], exec, s[36:37]
	s_or_b64 s[30:31], s[46:47], s[30:31]
	s_andn2_b64 s[44:45], s[44:45], exec
	s_and_b64 s[46:47], s[38:39], exec
	s_or_b64 s[44:45], s[44:45], s[46:47]
	s_andn2_b64 s[34:35], s[34:35], exec
	s_and_b64 s[46:47], s[42:43], exec
	s_or_b64 s[34:35], s[34:35], s[46:47]
	s_andn2_b64 exec, exec, s[30:31]
	s_cbranch_execz .LBB11_446
.LBB11_444:                             ; =>This Inner Loop Header: Depth=1
	global_load_ubyte v23, v[2:3], off
	global_load_ubyte v24, v[6:7], off
	s_andn2_b64 s[42:43], s[42:43], exec
	s_andn2_b64 s[38:39], s[38:39], exec
	s_or_b64 s[36:37], s[36:37], exec
	s_waitcnt vmcnt(0)
	v_cmp_le_u16_sdwa s[48:49], v23, v24 src0_sel:BYTE_0 src1_sel:BYTE_0
	v_cmp_lt_u16_sdwa s[46:47], v23, v24 src0_sel:BYTE_0 src1_sel:BYTE_0
	s_and_b64 s[48:49], s[48:49], s[44:45]
	s_or_b64 s[48:49], s[46:47], s[48:49]
	s_and_b64 s[46:47], s[48:49], exec
	v_cmp_eq_u16_sdwa s[50:51], v23, v24 src0_sel:BYTE_0 src1_sel:BYTE_0
	s_or_b64 s[42:43], s[42:43], s[46:47]
	s_and_saveexec_b64 s[46:47], s[50:51]
	s_cbranch_execz .LBB11_443
; %bb.445:                              ;   in Loop: Header=BB11_444 Depth=1
	s_add_u32 s40, s40, -1
	s_addc_u32 s41, s41, -1
	v_add_co_u32_e32 v2, vcc, 1, v2
	s_cmp_eq_u64 s[40:41], 0
	v_addc_co_u32_e32 v3, vcc, 0, v3, vcc
	s_cselect_b64 s[44:45], -1, 0
	v_add_co_u32_e32 v6, vcc, 1, v6
	s_andn2_b64 s[38:39], s[38:39], exec
	s_and_b64 s[48:49], s[48:49], exec
	s_andn2_b64 s[36:37], s[36:37], exec
	s_and_b64 s[44:45], s[44:45], exec
	v_addc_co_u32_e32 v7, vcc, 0, v7, vcc
	s_or_b64 s[38:39], s[38:39], s[48:49]
	s_andn2_b64 s[42:43], s[42:43], exec
	s_or_b64 s[36:37], s[36:37], s[44:45]
                                        ; implicit-def: $sgpr44_sgpr45
	s_branch .LBB11_443
.LBB11_446:
	s_or_b64 exec, exec, s[30:31]
	s_xor_b64 s[30:31], s[34:35], -1
	s_branch .LBB11_448
.LBB11_447:
	s_mov_b64 s[30:31], -1
.LBB11_448:
	s_and_b64 s[30:31], s[30:31], exec
.LBB11_449:
	s_or_b64 exec, exec, s[28:29]
	s_orn2_b64 s[28:29], s[30:31], exec
.LBB11_450:
	s_or_b64 exec, exec, s[26:27]
	v_cndmask_b32_e64 v6, v20, v19, s[28:29]
	v_cndmask_b32_e64 v7, v15, v14, s[28:29]
	;; [unrolled: 1-line block ×3, first 2 shown]
	v_add_u32_e32 v10, 1, v6
	v_add_u32_e32 v6, -1, v7
	v_min_u32_e32 v6, v10, v6
	v_lshlrev_b32_e32 v6, 3, v6
	v_cndmask_b32_e64 v2, v9, v11, s[0:1]
	ds_read_b64 v[8:9], v6
	v_cndmask_b32_e64 v11, v10, v20, s[28:29]
	v_cndmask_b32_e64 v1, v5, v1, s[24:25]
	;; [unrolled: 1-line block ×5, first 2 shown]
	s_waitcnt lgkmcnt(0)
	v_cndmask_b32_e64 v7, v21, v9, s[28:29]
	v_cndmask_b32_e64 v6, v22, v8, s[28:29]
	v_cmp_lt_u32_e32 vcc, v11, v15
	s_and_saveexec_b64 s[0:1], vcc
	s_cbranch_execz .LBB11_460
; %bb.451:
	v_cndmask_b32_e64 v10, v19, v10, s[28:29]
	v_cndmask_b32_e64 v9, v9, v17, s[28:29]
	v_cndmask_b32_e64 v8, v8, v18, s[28:29]
	v_cmp_lt_u32_e32 vcc, v10, v14
	s_and_saveexec_b64 s[24:25], vcc
	s_cbranch_execz .LBB11_459
; %bb.452:
	s_andn2_b64 vcc, exec, s[4:5]
	s_cbranch_vccnz .LBB11_458
; %bb.453:
	v_pk_mov_b32 v[14:15], s[14:15], s[14:15] op_sel:[0,1]
	v_mad_u64_u32 v[10:11], s[26:27], v8, s12, v[14:15]
	v_mul_lo_u32 v17, v8, s13
	v_mul_lo_u32 v18, v9, s12
	v_add3_u32 v11, v18, v11, v17
	v_mad_u64_u32 v[14:15], s[26:27], v6, s12, v[14:15]
	v_mul_lo_u32 v17, v6, s13
	v_mul_lo_u32 v18, v7, s12
	v_add3_u32 v15, v18, v15, v17
	s_mov_b64 s[26:27], 0
	s_mov_b64 s[36:37], s[12:13]
                                        ; implicit-def: $sgpr28_sgpr29
                                        ; implicit-def: $sgpr30_sgpr31
                                        ; implicit-def: $sgpr38_sgpr39
                                        ; implicit-def: $sgpr34_sgpr35
                                        ; implicit-def: $sgpr40_sgpr41
	s_branch .LBB11_455
.LBB11_454:                             ;   in Loop: Header=BB11_455 Depth=1
	s_or_b64 exec, exec, s[42:43]
	s_and_b64 s[42:43], exec, s[30:31]
	s_or_b64 s[26:27], s[42:43], s[26:27]
	s_andn2_b64 s[40:41], s[40:41], exec
	s_and_b64 s[42:43], s[34:35], exec
	s_or_b64 s[40:41], s[40:41], s[42:43]
	s_andn2_b64 s[28:29], s[28:29], exec
	s_and_b64 s[42:43], s[38:39], exec
	s_or_b64 s[28:29], s[28:29], s[42:43]
	s_andn2_b64 exec, exec, s[26:27]
	s_cbranch_execz .LBB11_457
.LBB11_455:                             ; =>This Inner Loop Header: Depth=1
	global_load_ubyte v17, v[10:11], off
	global_load_ubyte v18, v[14:15], off
	s_andn2_b64 s[38:39], s[38:39], exec
	s_andn2_b64 s[34:35], s[34:35], exec
	s_or_b64 s[30:31], s[30:31], exec
	s_waitcnt vmcnt(0)
	v_cmp_le_u16_sdwa s[44:45], v17, v18 src0_sel:BYTE_0 src1_sel:BYTE_0
	v_cmp_lt_u16_sdwa s[42:43], v17, v18 src0_sel:BYTE_0 src1_sel:BYTE_0
	s_and_b64 s[44:45], s[44:45], s[40:41]
	s_or_b64 s[44:45], s[42:43], s[44:45]
	s_and_b64 s[42:43], s[44:45], exec
	v_cmp_eq_u16_sdwa s[46:47], v17, v18 src0_sel:BYTE_0 src1_sel:BYTE_0
	s_or_b64 s[38:39], s[38:39], s[42:43]
	s_and_saveexec_b64 s[42:43], s[46:47]
	s_cbranch_execz .LBB11_454
; %bb.456:                              ;   in Loop: Header=BB11_455 Depth=1
	s_add_u32 s36, s36, -1
	s_addc_u32 s37, s37, -1
	v_add_co_u32_e32 v10, vcc, 1, v10
	s_cmp_eq_u64 s[36:37], 0
	v_addc_co_u32_e32 v11, vcc, 0, v11, vcc
	s_cselect_b64 s[40:41], -1, 0
	v_add_co_u32_e32 v14, vcc, 1, v14
	s_andn2_b64 s[34:35], s[34:35], exec
	s_and_b64 s[44:45], s[44:45], exec
	s_andn2_b64 s[30:31], s[30:31], exec
	s_and_b64 s[40:41], s[40:41], exec
	v_addc_co_u32_e32 v15, vcc, 0, v15, vcc
	s_or_b64 s[34:35], s[34:35], s[44:45]
	s_andn2_b64 s[38:39], s[38:39], exec
	s_or_b64 s[30:31], s[30:31], s[40:41]
                                        ; implicit-def: $sgpr40_sgpr41
	s_branch .LBB11_454
.LBB11_457:
	s_or_b64 exec, exec, s[26:27]
	v_cndmask_b32_e64 v7, v7, v9, s[28:29]
	v_cndmask_b32_e64 v6, v6, v8, s[28:29]
.LBB11_458:
	v_pk_mov_b32 v[8:9], v[6:7], v[6:7] op_sel:[0,1]
.LBB11_459:
	s_or_b64 exec, exec, s[24:25]
	v_pk_mov_b32 v[6:7], v[8:9], v[8:9] op_sel:[0,1]
.LBB11_460:
	s_or_b64 exec, exec, s[0:1]
.LBB11_461:
	s_or_b64 exec, exec, s[22:23]
	s_barrier
	ds_write_b128 v16, v[0:3]
	ds_write_b128 v16, v[4:7] offset:16
	v_and_b32_e32 v16, 0xc00, v27
	v_or_b32_e32 v8, 0x200, v16
	v_min_u32_e32 v14, 0x400, v8
	v_and_b32_e32 v17, 0x3fc, v27
	v_sub_u32_e32 v8, v14, v16
	v_sub_u32_e32 v9, 0x400, v14
	v_sub_u32_e64 v18, v17, v9 clamp
	v_min_u32_e32 v19, v17, v8
	v_lshlrev_b32_e32 v15, 3, v16
	v_cmp_lt_u32_e32 vcc, v18, v19
	s_waitcnt lgkmcnt(0)
	s_barrier
	s_and_saveexec_b64 s[22:23], vcc
	s_cbranch_execz .LBB11_471
; %bb.462:
	v_lshlrev_b32_e32 v8, 3, v17
	v_lshl_add_u32 v20, v14, 3, v8
	v_cndmask_b32_e64 v8, 0, 1, s[4:5]
	s_mov_b64 s[24:25], 0
	v_cmp_ne_u32_e64 s[0:1], 1, v8
	s_branch .LBB11_465
.LBB11_463:                             ;   in Loop: Header=BB11_465 Depth=1
	s_or_b64 exec, exec, s[28:29]
.LBB11_464:                             ;   in Loop: Header=BB11_465 Depth=1
	v_add_u32_e32 v8, 1, v21
	v_cndmask_b32_e64 v19, v19, v21, s[26:27]
	v_cndmask_b32_e64 v18, v8, v18, s[26:27]
	v_cmp_ge_u32_e32 vcc, v18, v19
	s_or_b64 s[24:25], vcc, s[24:25]
	s_andn2_b64 exec, exec, s[24:25]
	s_cbranch_execz .LBB11_470
.LBB11_465:                             ; =>This Loop Header: Depth=1
                                        ;     Child Loop BB11_468 Depth 2
	v_add_u32_e32 v8, v19, v18
	v_lshrrev_b32_e32 v21, 1, v8
	s_and_b64 vcc, exec, s[0:1]
	s_mov_b64 s[26:27], 0
	s_cbranch_vccnz .LBB11_464
; %bb.466:                              ;   in Loop: Header=BB11_465 Depth=1
	v_not_b32_e32 v8, v21
	v_lshl_add_u32 v8, v8, 3, v20
	ds_read_b64 v[8:9], v8
	v_lshl_add_u32 v22, v21, 3, v15
	ds_read_b64 v[22:23], v22
	v_pk_mov_b32 v[10:11], s[14:15], s[14:15] op_sel:[0,1]
	s_mov_b64 s[28:29], 0
	s_waitcnt lgkmcnt(1)
	v_mul_lo_u32 v24, v8, s13
	v_mul_lo_u32 v25, v9, s12
	v_mad_u64_u32 v[8:9], s[26:27], v8, s12, v[10:11]
	v_add3_u32 v9, v25, v9, v24
	s_waitcnt lgkmcnt(0)
	v_mul_lo_u32 v24, v22, s13
	v_mul_lo_u32 v23, v23, s12
	v_mad_u64_u32 v[10:11], s[26:27], v22, s12, v[10:11]
	v_add3_u32 v11, v23, v11, v24
	s_mov_b64 s[36:37], s[12:13]
                                        ; implicit-def: $sgpr26_sgpr27
                                        ; implicit-def: $sgpr30_sgpr31
                                        ; implicit-def: $sgpr34_sgpr35
                                        ; implicit-def: $sgpr38_sgpr39
                                        ; implicit-def: $sgpr40_sgpr41
	s_branch .LBB11_468
.LBB11_467:                             ;   in Loop: Header=BB11_468 Depth=2
	s_or_b64 exec, exec, s[42:43]
	s_and_b64 s[42:43], exec, s[30:31]
	s_or_b64 s[28:29], s[42:43], s[28:29]
	s_andn2_b64 s[40:41], s[40:41], exec
	s_and_b64 s[42:43], s[34:35], exec
	s_or_b64 s[40:41], s[40:41], s[42:43]
	s_andn2_b64 s[26:27], s[26:27], exec
	s_and_b64 s[42:43], s[38:39], exec
	s_or_b64 s[26:27], s[26:27], s[42:43]
	s_andn2_b64 exec, exec, s[28:29]
	s_cbranch_execz .LBB11_463
.LBB11_468:                             ;   Parent Loop BB11_465 Depth=1
                                        ; =>  This Inner Loop Header: Depth=2
	global_load_ubyte v22, v[8:9], off
	global_load_ubyte v23, v[10:11], off
	s_andn2_b64 s[38:39], s[38:39], exec
	s_andn2_b64 s[34:35], s[34:35], exec
	s_or_b64 s[30:31], s[30:31], exec
	s_waitcnt vmcnt(0)
	v_cmp_le_u16_sdwa s[44:45], v22, v23 src0_sel:BYTE_0 src1_sel:BYTE_0
	v_cmp_lt_u16_sdwa s[42:43], v22, v23 src0_sel:BYTE_0 src1_sel:BYTE_0
	s_and_b64 s[44:45], s[44:45], s[40:41]
	s_or_b64 s[44:45], s[42:43], s[44:45]
	s_and_b64 s[42:43], s[44:45], exec
	v_cmp_eq_u16_sdwa s[46:47], v22, v23 src0_sel:BYTE_0 src1_sel:BYTE_0
	s_or_b64 s[38:39], s[38:39], s[42:43]
	s_and_saveexec_b64 s[42:43], s[46:47]
	s_cbranch_execz .LBB11_467
; %bb.469:                              ;   in Loop: Header=BB11_468 Depth=2
	s_add_u32 s36, s36, -1
	s_addc_u32 s37, s37, -1
	v_add_co_u32_e32 v8, vcc, 1, v8
	s_cmp_eq_u64 s[36:37], 0
	v_addc_co_u32_e32 v9, vcc, 0, v9, vcc
	s_cselect_b64 s[40:41], -1, 0
	v_add_co_u32_e32 v10, vcc, 1, v10
	s_andn2_b64 s[34:35], s[34:35], exec
	s_and_b64 s[44:45], s[44:45], exec
	s_andn2_b64 s[30:31], s[30:31], exec
	s_and_b64 s[40:41], s[40:41], exec
	v_addc_co_u32_e32 v11, vcc, 0, v11, vcc
	s_andn2_b64 s[38:39], s[38:39], exec
	s_or_b64 s[34:35], s[34:35], s[44:45]
	s_or_b64 s[30:31], s[30:31], s[40:41]
                                        ; implicit-def: $sgpr40_sgpr41
	s_branch .LBB11_467
.LBB11_470:
	s_or_b64 exec, exec, s[24:25]
.LBB11_471:
	s_or_b64 exec, exec, s[22:23]
	v_sub_u32_e32 v8, v17, v18
	v_add_u32_e32 v16, v18, v16
	v_add_u32_e32 v17, v8, v14
	s_movk_i32 s0, 0x401
	v_cmp_le_u32_e32 vcc, v16, v14
	v_cmp_gt_u32_e64 s[0:1], s0, v17
	s_or_b64 s[0:1], vcc, s[0:1]
	s_and_saveexec_b64 s[22:23], s[0:1]
	s_cbranch_execz .LBB11_518
; %bb.472:
	v_cmp_ge_u32_e32 vcc, v16, v14
	v_cmp_lt_u32_e64 s[0:1], v16, v14
                                        ; implicit-def: $vgpr0_vgpr1
	s_and_saveexec_b64 s[24:25], s[0:1]
	s_cbranch_execz .LBB11_474
; %bb.473:
	v_lshl_add_u32 v0, v18, 3, v15
	ds_read_b64 v[0:1], v0
.LBB11_474:
	s_or_b64 exec, exec, s[24:25]
	s_movk_i32 s0, 0x3ff
	v_cmp_lt_u32_e64 s[24:25], s0, v17
	s_movk_i32 s0, 0x400
	v_cmp_gt_u32_e64 s[0:1], s0, v17
                                        ; implicit-def: $vgpr4_vgpr5
	s_and_saveexec_b64 s[26:27], s[0:1]
	s_cbranch_execz .LBB11_476
; %bb.475:
	v_lshlrev_b32_e32 v2, 3, v17
	ds_read_b64 v[4:5], v2
.LBB11_476:
	s_or_b64 exec, exec, s[26:27]
	s_or_b64 s[26:27], vcc, s[24:25]
	s_mov_b64 s[0:1], -1
	s_xor_b64 s[28:29], s[26:27], -1
	s_and_saveexec_b64 s[26:27], s[28:29]
	s_cbranch_execz .LBB11_485
; %bb.477:
	s_andn2_b64 vcc, exec, s[4:5]
	s_cbranch_vccnz .LBB11_483
; %bb.478:
	v_pk_mov_b32 v[6:7], s[14:15], s[14:15] op_sel:[0,1]
	s_waitcnt lgkmcnt(0)
	v_mad_u64_u32 v[2:3], s[28:29], v4, s12, v[6:7]
	v_mul_lo_u32 v8, v4, s13
	v_mul_lo_u32 v9, v5, s12
	v_add3_u32 v3, v9, v3, v8
	v_mad_u64_u32 v[6:7], s[28:29], v0, s12, v[6:7]
	v_mul_lo_u32 v8, v0, s13
	v_mul_lo_u32 v9, v1, s12
	v_add3_u32 v7, v9, v7, v8
	s_mov_b64 s[28:29], 0
	s_mov_b64 s[38:39], s[12:13]
                                        ; implicit-def: $sgpr30_sgpr31
                                        ; implicit-def: $sgpr34_sgpr35
                                        ; implicit-def: $sgpr40_sgpr41
                                        ; implicit-def: $sgpr36_sgpr37
                                        ; implicit-def: $sgpr42_sgpr43
	s_branch .LBB11_480
.LBB11_479:                             ;   in Loop: Header=BB11_480 Depth=1
	s_or_b64 exec, exec, s[44:45]
	s_and_b64 s[44:45], exec, s[34:35]
	s_or_b64 s[28:29], s[44:45], s[28:29]
	s_andn2_b64 s[42:43], s[42:43], exec
	s_and_b64 s[44:45], s[36:37], exec
	s_or_b64 s[42:43], s[42:43], s[44:45]
	s_andn2_b64 s[30:31], s[30:31], exec
	s_and_b64 s[44:45], s[40:41], exec
	s_or_b64 s[30:31], s[30:31], s[44:45]
	s_andn2_b64 exec, exec, s[28:29]
	s_cbranch_execz .LBB11_482
.LBB11_480:                             ; =>This Inner Loop Header: Depth=1
	global_load_ubyte v8, v[2:3], off
	global_load_ubyte v9, v[6:7], off
	s_andn2_b64 s[40:41], s[40:41], exec
	s_andn2_b64 s[36:37], s[36:37], exec
	s_or_b64 s[34:35], s[34:35], exec
	s_waitcnt vmcnt(0)
	v_cmp_le_u16_sdwa s[46:47], v8, v9 src0_sel:BYTE_0 src1_sel:BYTE_0
	v_cmp_lt_u16_sdwa s[44:45], v8, v9 src0_sel:BYTE_0 src1_sel:BYTE_0
	s_and_b64 s[46:47], s[46:47], s[42:43]
	s_or_b64 s[46:47], s[44:45], s[46:47]
	s_and_b64 s[44:45], s[46:47], exec
	v_cmp_eq_u16_sdwa s[48:49], v8, v9 src0_sel:BYTE_0 src1_sel:BYTE_0
	s_or_b64 s[40:41], s[40:41], s[44:45]
	s_and_saveexec_b64 s[44:45], s[48:49]
	s_cbranch_execz .LBB11_479
; %bb.481:                              ;   in Loop: Header=BB11_480 Depth=1
	s_add_u32 s38, s38, -1
	s_addc_u32 s39, s39, -1
	v_add_co_u32_e32 v2, vcc, 1, v2
	s_cmp_eq_u64 s[38:39], 0
	v_addc_co_u32_e32 v3, vcc, 0, v3, vcc
	s_cselect_b64 s[42:43], -1, 0
	v_add_co_u32_e32 v6, vcc, 1, v6
	s_andn2_b64 s[36:37], s[36:37], exec
	s_and_b64 s[46:47], s[46:47], exec
	s_andn2_b64 s[34:35], s[34:35], exec
	s_and_b64 s[42:43], s[42:43], exec
	v_addc_co_u32_e32 v7, vcc, 0, v7, vcc
	s_or_b64 s[36:37], s[36:37], s[46:47]
	s_andn2_b64 s[40:41], s[40:41], exec
	s_or_b64 s[34:35], s[34:35], s[42:43]
                                        ; implicit-def: $sgpr42_sgpr43
	s_branch .LBB11_479
.LBB11_482:
	s_or_b64 exec, exec, s[28:29]
	s_xor_b64 s[28:29], s[30:31], -1
	s_branch .LBB11_484
.LBB11_483:
	s_mov_b64 s[28:29], -1
.LBB11_484:
	s_andn2_b64 s[24:25], s[24:25], exec
	s_and_b64 s[28:29], s[28:29], exec
	s_or_b64 s[24:25], s[24:25], s[28:29]
.LBB11_485:
	s_or_b64 exec, exec, s[26:27]
	v_cndmask_b32_e64 v2, v17, v16, s[24:25]
	v_add_u32_e32 v8, -1, v14
	v_mov_b32_e32 v18, 0x3ff
	v_add_u32_e32 v6, 1, v2
	v_cndmask_b32_e64 v2, v18, v8, s[24:25]
	v_min_u32_e32 v2, v6, v2
	v_lshlrev_b32_e32 v2, 3, v2
	ds_read_b64 v[2:3], v2
	v_cndmask_b32_e64 v19, v6, v17, s[24:25]
	s_movk_i32 s7, 0x400
	v_cndmask_b32_e64 v22, v16, v6, s[24:25]
	v_cmp_gt_u32_e32 vcc, s7, v19
	s_waitcnt lgkmcnt(0)
	v_cndmask_b32_e64 v9, v3, v5, s[24:25]
	v_cndmask_b32_e64 v10, v2, v4, s[24:25]
	v_cndmask_b32_e64 v11, v1, v3, s[24:25]
	v_cndmask_b32_e64 v15, v0, v2, s[24:25]
	s_and_saveexec_b64 s[26:27], vcc
	s_cbranch_execz .LBB11_496
; %bb.486:
	v_cmp_lt_u32_e32 vcc, v22, v14
	s_mov_b64 s[28:29], 0
	s_and_saveexec_b64 s[0:1], vcc
	s_cbranch_execz .LBB11_495
; %bb.487:
	s_andn2_b64 vcc, exec, s[4:5]
	s_cbranch_vccnz .LBB11_493
; %bb.488:
	v_pk_mov_b32 v[6:7], s[14:15], s[14:15] op_sel:[0,1]
	v_mad_u64_u32 v[2:3], s[28:29], v10, s12, v[6:7]
	v_mul_lo_u32 v16, v10, s13
	v_mul_lo_u32 v17, v9, s12
	v_add3_u32 v3, v17, v3, v16
	v_mad_u64_u32 v[6:7], s[28:29], v15, s12, v[6:7]
	v_mul_lo_u32 v16, v15, s13
	v_mul_lo_u32 v17, v11, s12
	v_add3_u32 v7, v17, v7, v16
	s_mov_b64 s[28:29], 0
	s_mov_b64 s[38:39], s[12:13]
                                        ; implicit-def: $sgpr30_sgpr31
                                        ; implicit-def: $sgpr34_sgpr35
                                        ; implicit-def: $sgpr40_sgpr41
                                        ; implicit-def: $sgpr36_sgpr37
                                        ; implicit-def: $sgpr42_sgpr43
	s_branch .LBB11_490
.LBB11_489:                             ;   in Loop: Header=BB11_490 Depth=1
	s_or_b64 exec, exec, s[44:45]
	s_and_b64 s[44:45], exec, s[34:35]
	s_or_b64 s[28:29], s[44:45], s[28:29]
	s_andn2_b64 s[42:43], s[42:43], exec
	s_and_b64 s[44:45], s[36:37], exec
	s_or_b64 s[42:43], s[42:43], s[44:45]
	s_andn2_b64 s[30:31], s[30:31], exec
	s_and_b64 s[44:45], s[40:41], exec
	s_or_b64 s[30:31], s[30:31], s[44:45]
	s_andn2_b64 exec, exec, s[28:29]
	s_cbranch_execz .LBB11_492
.LBB11_490:                             ; =>This Inner Loop Header: Depth=1
	global_load_ubyte v16, v[2:3], off
	global_load_ubyte v17, v[6:7], off
	s_andn2_b64 s[40:41], s[40:41], exec
	s_andn2_b64 s[36:37], s[36:37], exec
	s_or_b64 s[34:35], s[34:35], exec
	s_waitcnt vmcnt(0)
	v_cmp_le_u16_sdwa s[46:47], v16, v17 src0_sel:BYTE_0 src1_sel:BYTE_0
	v_cmp_lt_u16_sdwa s[44:45], v16, v17 src0_sel:BYTE_0 src1_sel:BYTE_0
	s_and_b64 s[46:47], s[46:47], s[42:43]
	s_or_b64 s[46:47], s[44:45], s[46:47]
	s_and_b64 s[44:45], s[46:47], exec
	v_cmp_eq_u16_sdwa s[48:49], v16, v17 src0_sel:BYTE_0 src1_sel:BYTE_0
	s_or_b64 s[40:41], s[40:41], s[44:45]
	s_and_saveexec_b64 s[44:45], s[48:49]
	s_cbranch_execz .LBB11_489
; %bb.491:                              ;   in Loop: Header=BB11_490 Depth=1
	s_add_u32 s38, s38, -1
	s_addc_u32 s39, s39, -1
	v_add_co_u32_e32 v2, vcc, 1, v2
	s_cmp_eq_u64 s[38:39], 0
	v_addc_co_u32_e32 v3, vcc, 0, v3, vcc
	s_cselect_b64 s[42:43], -1, 0
	v_add_co_u32_e32 v6, vcc, 1, v6
	s_andn2_b64 s[36:37], s[36:37], exec
	s_and_b64 s[46:47], s[46:47], exec
	s_andn2_b64 s[34:35], s[34:35], exec
	s_and_b64 s[42:43], s[42:43], exec
	v_addc_co_u32_e32 v7, vcc, 0, v7, vcc
	s_or_b64 s[36:37], s[36:37], s[46:47]
	s_andn2_b64 s[40:41], s[40:41], exec
	s_or_b64 s[34:35], s[34:35], s[42:43]
                                        ; implicit-def: $sgpr42_sgpr43
	s_branch .LBB11_489
.LBB11_492:
	s_or_b64 exec, exec, s[28:29]
	s_xor_b64 s[28:29], s[30:31], -1
	s_branch .LBB11_494
.LBB11_493:
	s_mov_b64 s[28:29], -1
.LBB11_494:
	s_and_b64 s[28:29], s[28:29], exec
.LBB11_495:
	s_or_b64 exec, exec, s[0:1]
	s_orn2_b64 s[0:1], s[28:29], exec
.LBB11_496:
	s_or_b64 exec, exec, s[26:27]
	v_cndmask_b32_e64 v2, v19, v22, s[0:1]
	v_add_u32_e32 v6, 1, v2
	v_cndmask_b32_e64 v2, v18, v8, s[0:1]
	v_min_u32_e32 v2, v6, v2
	v_lshlrev_b32_e32 v2, 3, v2
	ds_read_b64 v[2:3], v2
	v_cndmask_b32_e64 v19, v6, v19, s[0:1]
	v_cndmask_b32_e64 v18, v22, v6, s[0:1]
	v_cmp_gt_u32_e32 vcc, s7, v19
	s_mov_b64 s[28:29], -1
	s_waitcnt lgkmcnt(0)
	v_cndmask_b32_e64 v16, v3, v9, s[0:1]
	v_cndmask_b32_e64 v17, v2, v10, s[0:1]
	;; [unrolled: 1-line block ×4, first 2 shown]
	s_and_saveexec_b64 s[26:27], vcc
	s_cbranch_execz .LBB11_507
; %bb.497:
	v_cmp_lt_u32_e32 vcc, v18, v14
	s_mov_b64 s[30:31], 0
	s_and_saveexec_b64 s[28:29], vcc
	s_cbranch_execz .LBB11_506
; %bb.498:
	s_andn2_b64 vcc, exec, s[4:5]
	s_cbranch_vccnz .LBB11_504
; %bb.499:
	v_pk_mov_b32 v[6:7], s[14:15], s[14:15] op_sel:[0,1]
	v_mad_u64_u32 v[2:3], s[30:31], v17, s12, v[6:7]
	v_mul_lo_u32 v22, v17, s13
	v_mul_lo_u32 v23, v16, s12
	v_add3_u32 v3, v23, v3, v22
	v_mad_u64_u32 v[6:7], s[30:31], v21, s12, v[6:7]
	v_mul_lo_u32 v22, v21, s13
	v_mul_lo_u32 v23, v20, s12
	v_add3_u32 v7, v23, v7, v22
	s_mov_b64 s[30:31], 0
	s_mov_b64 s[40:41], s[12:13]
                                        ; implicit-def: $sgpr34_sgpr35
                                        ; implicit-def: $sgpr36_sgpr37
                                        ; implicit-def: $sgpr42_sgpr43
                                        ; implicit-def: $sgpr38_sgpr39
                                        ; implicit-def: $sgpr44_sgpr45
	s_branch .LBB11_501
.LBB11_500:                             ;   in Loop: Header=BB11_501 Depth=1
	s_or_b64 exec, exec, s[46:47]
	s_and_b64 s[46:47], exec, s[36:37]
	s_or_b64 s[30:31], s[46:47], s[30:31]
	s_andn2_b64 s[44:45], s[44:45], exec
	s_and_b64 s[46:47], s[38:39], exec
	s_or_b64 s[44:45], s[44:45], s[46:47]
	s_andn2_b64 s[34:35], s[34:35], exec
	s_and_b64 s[46:47], s[42:43], exec
	s_or_b64 s[34:35], s[34:35], s[46:47]
	s_andn2_b64 exec, exec, s[30:31]
	s_cbranch_execz .LBB11_503
.LBB11_501:                             ; =>This Inner Loop Header: Depth=1
	global_load_ubyte v22, v[2:3], off
	global_load_ubyte v23, v[6:7], off
	s_andn2_b64 s[42:43], s[42:43], exec
	s_andn2_b64 s[38:39], s[38:39], exec
	s_or_b64 s[36:37], s[36:37], exec
	s_waitcnt vmcnt(0)
	v_cmp_le_u16_sdwa s[48:49], v22, v23 src0_sel:BYTE_0 src1_sel:BYTE_0
	v_cmp_lt_u16_sdwa s[46:47], v22, v23 src0_sel:BYTE_0 src1_sel:BYTE_0
	s_and_b64 s[48:49], s[48:49], s[44:45]
	s_or_b64 s[48:49], s[46:47], s[48:49]
	s_and_b64 s[46:47], s[48:49], exec
	v_cmp_eq_u16_sdwa s[50:51], v22, v23 src0_sel:BYTE_0 src1_sel:BYTE_0
	s_or_b64 s[42:43], s[42:43], s[46:47]
	s_and_saveexec_b64 s[46:47], s[50:51]
	s_cbranch_execz .LBB11_500
; %bb.502:                              ;   in Loop: Header=BB11_501 Depth=1
	s_add_u32 s40, s40, -1
	s_addc_u32 s41, s41, -1
	v_add_co_u32_e32 v2, vcc, 1, v2
	s_cmp_eq_u64 s[40:41], 0
	v_addc_co_u32_e32 v3, vcc, 0, v3, vcc
	s_cselect_b64 s[44:45], -1, 0
	v_add_co_u32_e32 v6, vcc, 1, v6
	s_andn2_b64 s[38:39], s[38:39], exec
	s_and_b64 s[48:49], s[48:49], exec
	s_andn2_b64 s[36:37], s[36:37], exec
	s_and_b64 s[44:45], s[44:45], exec
	v_addc_co_u32_e32 v7, vcc, 0, v7, vcc
	s_or_b64 s[38:39], s[38:39], s[48:49]
	s_andn2_b64 s[42:43], s[42:43], exec
	s_or_b64 s[36:37], s[36:37], s[44:45]
                                        ; implicit-def: $sgpr44_sgpr45
	s_branch .LBB11_500
.LBB11_503:
	s_or_b64 exec, exec, s[30:31]
	s_xor_b64 s[30:31], s[34:35], -1
	s_branch .LBB11_505
.LBB11_504:
	s_mov_b64 s[30:31], -1
.LBB11_505:
	s_and_b64 s[30:31], s[30:31], exec
.LBB11_506:
	s_or_b64 exec, exec, s[28:29]
	s_orn2_b64 s[28:29], s[30:31], exec
.LBB11_507:
	s_or_b64 exec, exec, s[26:27]
	v_cndmask_b32_e64 v6, v19, v18, s[28:29]
	v_cndmask_b32_e64 v2, v10, v15, s[0:1]
	v_add_u32_e32 v10, 1, v6
	v_mov_b32_e32 v6, 0x3ff
	v_cndmask_b32_e64 v6, v6, v8, s[28:29]
	v_min_u32_e32 v6, v10, v6
	v_lshlrev_b32_e32 v6, 3, v6
	v_cndmask_b32_e64 v3, v9, v11, s[0:1]
	ds_read_b64 v[8:9], v6
	v_cndmask_b32_e64 v11, v10, v19, s[28:29]
	s_movk_i32 s0, 0x400
	v_cndmask_b32_e64 v1, v5, v1, s[24:25]
	v_cndmask_b32_e64 v0, v4, v0, s[24:25]
	;; [unrolled: 1-line block ×4, first 2 shown]
	s_waitcnt lgkmcnt(0)
	v_cndmask_b32_e64 v7, v20, v9, s[28:29]
	v_cndmask_b32_e64 v6, v21, v8, s[28:29]
	v_cmp_gt_u32_e32 vcc, s0, v11
	s_and_saveexec_b64 s[0:1], vcc
	s_cbranch_execz .LBB11_517
; %bb.508:
	v_cndmask_b32_e64 v10, v18, v10, s[28:29]
	v_cndmask_b32_e64 v9, v9, v16, s[28:29]
	;; [unrolled: 1-line block ×3, first 2 shown]
	v_cmp_lt_u32_e32 vcc, v10, v14
	s_and_saveexec_b64 s[24:25], vcc
	s_cbranch_execz .LBB11_516
; %bb.509:
	s_andn2_b64 vcc, exec, s[4:5]
	s_cbranch_vccnz .LBB11_515
; %bb.510:
	v_pk_mov_b32 v[14:15], s[14:15], s[14:15] op_sel:[0,1]
	v_mad_u64_u32 v[10:11], s[4:5], v8, s12, v[14:15]
	v_mul_lo_u32 v16, v8, s13
	v_mul_lo_u32 v17, v9, s12
	v_add3_u32 v11, v17, v11, v16
	v_mad_u64_u32 v[14:15], s[4:5], v6, s12, v[14:15]
	v_mul_lo_u32 v16, v6, s13
	v_mul_lo_u32 v17, v7, s12
	v_add3_u32 v15, v17, v15, v16
	s_mov_b64 s[4:5], 0
	s_mov_b64 s[34:35], s[12:13]
                                        ; implicit-def: $sgpr26_sgpr27
                                        ; implicit-def: $sgpr28_sgpr29
                                        ; implicit-def: $sgpr36_sgpr37
                                        ; implicit-def: $sgpr30_sgpr31
                                        ; implicit-def: $sgpr38_sgpr39
	s_branch .LBB11_512
.LBB11_511:                             ;   in Loop: Header=BB11_512 Depth=1
	s_or_b64 exec, exec, s[40:41]
	s_and_b64 s[40:41], exec, s[28:29]
	s_or_b64 s[4:5], s[40:41], s[4:5]
	s_andn2_b64 s[38:39], s[38:39], exec
	s_and_b64 s[40:41], s[30:31], exec
	s_or_b64 s[38:39], s[38:39], s[40:41]
	s_andn2_b64 s[26:27], s[26:27], exec
	s_and_b64 s[40:41], s[36:37], exec
	s_or_b64 s[26:27], s[26:27], s[40:41]
	s_andn2_b64 exec, exec, s[4:5]
	s_cbranch_execz .LBB11_514
.LBB11_512:                             ; =>This Inner Loop Header: Depth=1
	global_load_ubyte v16, v[10:11], off
	global_load_ubyte v17, v[14:15], off
	s_andn2_b64 s[36:37], s[36:37], exec
	s_andn2_b64 s[30:31], s[30:31], exec
	s_or_b64 s[28:29], s[28:29], exec
	s_waitcnt vmcnt(0)
	v_cmp_le_u16_sdwa s[42:43], v16, v17 src0_sel:BYTE_0 src1_sel:BYTE_0
	v_cmp_lt_u16_sdwa s[40:41], v16, v17 src0_sel:BYTE_0 src1_sel:BYTE_0
	s_and_b64 s[42:43], s[42:43], s[38:39]
	s_or_b64 s[42:43], s[40:41], s[42:43]
	s_and_b64 s[40:41], s[42:43], exec
	v_cmp_eq_u16_sdwa s[44:45], v16, v17 src0_sel:BYTE_0 src1_sel:BYTE_0
	s_or_b64 s[36:37], s[36:37], s[40:41]
	s_and_saveexec_b64 s[40:41], s[44:45]
	s_cbranch_execz .LBB11_511
; %bb.513:                              ;   in Loop: Header=BB11_512 Depth=1
	s_add_u32 s34, s34, -1
	s_addc_u32 s35, s35, -1
	v_add_co_u32_e32 v10, vcc, 1, v10
	s_cmp_eq_u64 s[34:35], 0
	v_addc_co_u32_e32 v11, vcc, 0, v11, vcc
	s_cselect_b64 s[38:39], -1, 0
	v_add_co_u32_e32 v14, vcc, 1, v14
	s_andn2_b64 s[30:31], s[30:31], exec
	s_and_b64 s[42:43], s[42:43], exec
	s_andn2_b64 s[28:29], s[28:29], exec
	s_and_b64 s[38:39], s[38:39], exec
	v_addc_co_u32_e32 v15, vcc, 0, v15, vcc
	s_or_b64 s[30:31], s[30:31], s[42:43]
	s_andn2_b64 s[36:37], s[36:37], exec
	s_or_b64 s[28:29], s[28:29], s[38:39]
                                        ; implicit-def: $sgpr38_sgpr39
	s_branch .LBB11_511
.LBB11_514:
	s_or_b64 exec, exec, s[4:5]
	v_cndmask_b32_e64 v7, v7, v9, s[26:27]
	v_cndmask_b32_e64 v6, v6, v8, s[26:27]
.LBB11_515:
	v_pk_mov_b32 v[8:9], v[6:7], v[6:7] op_sel:[0,1]
.LBB11_516:
	s_or_b64 exec, exec, s[24:25]
	v_pk_mov_b32 v[6:7], v[8:9], v[8:9] op_sel:[0,1]
.LBB11_517:
	s_or_b64 exec, exec, s[0:1]
.LBB11_518:
	s_or_b64 exec, exec, s[22:23]
	s_barrier
	s_barrier
	ds_write2_b64 v33, v[0:1], v[2:3] offset1:1
	ds_write2_b64 v33, v[4:5], v[6:7] offset0:2 offset1:3
	s_waitcnt lgkmcnt(0)
	s_barrier
	ds_read_b64 v[2:3], v32
	ds_read_b64 v[4:5], v34 offset:2048
	ds_read_b64 v[6:7], v35 offset:4096
	;; [unrolled: 1-line block ×3, first 2 shown]
	v_mov_b32_e32 v8, s17
	v_add_co_u32_e32 v9, vcc, s16, v26
	v_addc_co_u32_e32 v8, vcc, 0, v8, vcc
	s_waitcnt lgkmcnt(3)
	global_store_dwordx2 v26, v[2:3], s[16:17]
	s_waitcnt lgkmcnt(2)
	global_store_dwordx2 v26, v[4:5], s[16:17] offset:2048
	v_add_co_u32_e32 v2, vcc, 0x1000, v9
	v_addc_co_u32_e32 v3, vcc, 0, v8, vcc
	s_waitcnt lgkmcnt(1)
	global_store_dwordx2 v[2:3], v[6:7], off
	s_mov_b64 s[22:23], -1
	s_branch .LBB11_874
.LBB11_519:
	s_lshl_b64 s[0:1], s[2:3], 10
	s_sub_i32 s33, s20, s0
	v_cmp_gt_u32_e64 s[0:1], s33, v12
                                        ; implicit-def: $vgpr0_vgpr1_vgpr2_vgpr3_vgpr4_vgpr5_vgpr6_vgpr7
	s_and_saveexec_b64 s[2:3], s[0:1]
	s_cbranch_execz .LBB11_521
; %bb.520:
	s_waitcnt lgkmcnt(0)
	global_load_dwordx2 v[0:1], v26, s[8:9]
.LBB11_521:
	s_or_b64 exec, exec, s[2:3]
	v_add_u32_e32 v8, 0x100, v12
	v_cmp_gt_u32_e64 s[2:3], s33, v8
	s_and_saveexec_b64 s[4:5], s[2:3]
	s_cbranch_execz .LBB11_523
; %bb.522:
	global_load_dwordx2 v[2:3], v26, s[8:9] offset:2048
.LBB11_523:
	s_or_b64 exec, exec, s[4:5]
	v_add_u32_e32 v9, 0x200, v12
	v_cmp_gt_u32_e64 s[4:5], s33, v9
	s_and_saveexec_b64 s[20:21], s[4:5]
	s_cbranch_execz .LBB11_525
; %bb.524:
	v_lshlrev_b32_e32 v4, 3, v9
	global_load_dwordx2 v[4:5], v4, s[8:9]
.LBB11_525:
	s_or_b64 exec, exec, s[20:21]
	v_add_u32_e32 v10, 0x300, v12
	v_cmp_gt_u32_e64 s[22:23], s33, v10
	s_and_saveexec_b64 s[20:21], s[22:23]
	s_cbranch_execz .LBB11_527
; %bb.526:
	v_lshlrev_b32_e32 v6, 3, v10
	global_load_dwordx2 v[6:7], v6, s[8:9]
.LBB11_527:
	s_or_b64 exec, exec, s[20:21]
	v_and_b32_e32 v11, 0xf8, v31
	v_add_u32_e32 v14, v11, v26
	s_waitcnt vmcnt(0) lgkmcnt(0)
	ds_write_b64 v14, v[0:1]
	v_lshrrev_b32_e32 v0, 2, v8
	v_and_b32_e32 v0, 0x1f8, v0
	v_add_u32_e32 v13, v0, v26
	v_lshrrev_b32_e32 v0, 2, v9
	v_and_b32_e32 v0, 0x1f8, v0
	v_add_u32_e32 v15, v0, v26
	;; [unrolled: 3-line block ×3, first 2 shown]
	v_add_lshl_u32 v17, v30, v27, 3
	ds_write_b64 v13, v[2:3] offset:2048
	ds_write_b64 v15, v[4:5] offset:4096
	;; [unrolled: 1-line block ×3, first 2 shown]
	s_waitcnt lgkmcnt(0)
	s_barrier
	ds_read2_b64 v[0:3], v17 offset1:1
	ds_read2_b64 v[4:7], v17 offset0:2 offset1:3
	s_waitcnt lgkmcnt(0)
	s_barrier
	s_load_dword s7, s[10:11], 0xc
	v_mov_b32_e32 v8, 0
	s_waitcnt lgkmcnt(0)
	s_lshr_b32 s8, s7, 16
	s_cmp_lt_u32 s6, s18
	s_cselect_b32 s6, 12, 18
	s_add_u32 s6, s10, s6
	s_addc_u32 s7, s11, 0
	global_load_ushort v8, v8, s[6:7]
	v_mad_u32_u24 v9, v29, s8, v28
	v_cmp_gt_i64_e64 s[18:19], s[12:13], 0
	s_waitcnt vmcnt(0)
	v_mul_lo_u32 v8, v9, v8
	v_add_lshl_u32 v18, v8, v12, 2
	v_sub_u32_e64 v19, s33, v18 clamp
	v_cmp_lt_u32_e64 s[6:7], 1, v19
	s_and_saveexec_b64 s[8:9], s[6:7]
	s_cbranch_execz .LBB11_536
; %bb.528:
	s_andn2_b64 vcc, exec, s[18:19]
	s_cbranch_vccnz .LBB11_536
; %bb.529:
	v_pk_mov_b32 v[10:11], s[14:15], s[14:15] op_sel:[0,1]
	v_mad_u64_u32 v[8:9], s[10:11], v2, s12, v[10:11]
	v_mul_lo_u32 v20, v2, s13
	v_mul_lo_u32 v21, v3, s12
	v_add3_u32 v9, v21, v9, v20
	v_mad_u64_u32 v[10:11], s[10:11], v0, s12, v[10:11]
	v_mul_lo_u32 v20, v0, s13
	v_mul_lo_u32 v21, v1, s12
	v_add3_u32 v11, v21, v11, v20
	s_mov_b64 s[20:21], 0
	s_mov_b64 s[34:35], s[12:13]
                                        ; implicit-def: $sgpr10_sgpr11
                                        ; implicit-def: $sgpr24_sgpr25
                                        ; implicit-def: $sgpr28_sgpr29
                                        ; implicit-def: $sgpr26_sgpr27
                                        ; implicit-def: $sgpr30_sgpr31
                                        ; implicit-def: $sgpr36_sgpr37
	s_branch .LBB11_531
.LBB11_530:                             ;   in Loop: Header=BB11_531 Depth=1
	s_or_b64 exec, exec, s[40:41]
	s_and_b64 s[40:41], exec, s[28:29]
	s_or_b64 s[20:21], s[40:41], s[20:21]
	s_andn2_b64 s[36:37], s[36:37], exec
	s_and_b64 s[40:41], s[30:31], exec
	s_or_b64 s[36:37], s[36:37], s[40:41]
	s_andn2_b64 s[24:25], s[24:25], exec
	s_and_b64 s[40:41], s[26:27], exec
	s_andn2_b64 s[10:11], s[10:11], exec
	s_and_b64 s[38:39], s[38:39], exec
	s_or_b64 s[24:25], s[24:25], s[40:41]
	s_or_b64 s[10:11], s[10:11], s[38:39]
	s_andn2_b64 exec, exec, s[20:21]
	s_cbranch_execz .LBB11_533
.LBB11_531:                             ; =>This Inner Loop Header: Depth=1
	global_load_ubyte v20, v[8:9], off
	global_load_ubyte v21, v[10:11], off
	s_andn2_b64 s[30:31], s[30:31], exec
	s_or_b64 s[26:27], s[26:27], exec
	s_or_b64 s[28:29], s[28:29], exec
	s_waitcnt vmcnt(0)
	v_cmp_le_u16_sdwa s[40:41], v20, v21 src0_sel:BYTE_0 src1_sel:BYTE_0
	v_cmp_lt_u16_sdwa s[38:39], v20, v21 src0_sel:BYTE_0 src1_sel:BYTE_0
	s_and_b64 s[40:41], s[40:41], s[36:37]
	v_cmp_eq_u16_sdwa s[42:43], v20, v21 src0_sel:BYTE_0 src1_sel:BYTE_0
	s_or_b64 s[38:39], s[38:39], s[40:41]
	s_and_saveexec_b64 s[40:41], s[42:43]
	s_cbranch_execz .LBB11_530
; %bb.532:                              ;   in Loop: Header=BB11_531 Depth=1
	s_add_u32 s34, s34, -1
	s_addc_u32 s35, s35, -1
	v_add_co_u32_e32 v8, vcc, 1, v8
	s_cmp_eq_u64 s[34:35], 0
	v_addc_co_u32_e32 v9, vcc, 0, v9, vcc
	s_cselect_b64 s[36:37], -1, 0
	v_add_co_u32_e32 v10, vcc, 1, v10
	s_andn2_b64 s[30:31], s[30:31], exec
	s_and_b64 s[42:43], s[38:39], exec
	s_andn2_b64 s[28:29], s[28:29], exec
	s_and_b64 s[36:37], s[36:37], exec
	v_addc_co_u32_e32 v11, vcc, 0, v11, vcc
	s_or_b64 s[30:31], s[30:31], s[42:43]
	s_andn2_b64 s[26:27], s[26:27], exec
	s_or_b64 s[28:29], s[28:29], s[36:37]
                                        ; implicit-def: $sgpr36_sgpr37
	s_branch .LBB11_530
.LBB11_533:
	s_or_b64 exec, exec, s[20:21]
	s_and_saveexec_b64 s[20:21], s[24:25]
	s_xor_b64 s[20:21], exec, s[20:21]
	s_cbranch_execz .LBB11_535
; %bb.534:
	v_cndmask_b32_e64 v29, v1, v3, s[10:11]
	v_cndmask_b32_e64 v28, v0, v2, s[10:11]
	;; [unrolled: 1-line block ×4, first 2 shown]
	v_mov_b32_e32 v32, v4
	v_mov_b32_e32 v33, v5
	;; [unrolled: 1-line block ×4, first 2 shown]
	v_pk_mov_b32 v[0:1], v[28:29], v[28:29] op_sel:[0,1]
	v_pk_mov_b32 v[2:3], v[30:31], v[30:31] op_sel:[0,1]
	;; [unrolled: 1-line block ×4, first 2 shown]
.LBB11_535:
	s_or_b64 exec, exec, s[20:21]
.LBB11_536:
	s_or_b64 exec, exec, s[8:9]
	v_cmp_lt_u32_e64 s[8:9], 3, v19
	s_and_saveexec_b64 s[10:11], s[8:9]
	s_cbranch_execz .LBB11_545
; %bb.537:
	s_andn2_b64 vcc, exec, s[18:19]
	s_cbranch_vccnz .LBB11_545
; %bb.538:
	v_pk_mov_b32 v[10:11], s[14:15], s[14:15] op_sel:[0,1]
	v_mad_u64_u32 v[8:9], s[20:21], v6, s12, v[10:11]
	v_mul_lo_u32 v20, v6, s13
	v_mul_lo_u32 v21, v7, s12
	v_add3_u32 v9, v21, v9, v20
	v_mad_u64_u32 v[10:11], s[20:21], v4, s12, v[10:11]
	v_mul_lo_u32 v20, v4, s13
	v_mul_lo_u32 v21, v5, s12
	v_add3_u32 v11, v21, v11, v20
	s_mov_b64 s[24:25], 0
	s_mov_b64 s[36:37], s[12:13]
                                        ; implicit-def: $sgpr20_sgpr21
                                        ; implicit-def: $sgpr26_sgpr27
                                        ; implicit-def: $sgpr30_sgpr31
                                        ; implicit-def: $sgpr28_sgpr29
                                        ; implicit-def: $sgpr34_sgpr35
                                        ; implicit-def: $sgpr38_sgpr39
	s_branch .LBB11_540
.LBB11_539:                             ;   in Loop: Header=BB11_540 Depth=1
	s_or_b64 exec, exec, s[42:43]
	s_and_b64 s[42:43], exec, s[30:31]
	s_or_b64 s[24:25], s[42:43], s[24:25]
	s_andn2_b64 s[38:39], s[38:39], exec
	s_and_b64 s[42:43], s[34:35], exec
	s_or_b64 s[38:39], s[38:39], s[42:43]
	s_andn2_b64 s[26:27], s[26:27], exec
	s_and_b64 s[42:43], s[28:29], exec
	s_andn2_b64 s[20:21], s[20:21], exec
	s_and_b64 s[40:41], s[40:41], exec
	s_or_b64 s[26:27], s[26:27], s[42:43]
	s_or_b64 s[20:21], s[20:21], s[40:41]
	s_andn2_b64 exec, exec, s[24:25]
	s_cbranch_execz .LBB11_542
.LBB11_540:                             ; =>This Inner Loop Header: Depth=1
	global_load_ubyte v20, v[8:9], off
	global_load_ubyte v21, v[10:11], off
	s_andn2_b64 s[34:35], s[34:35], exec
	s_or_b64 s[28:29], s[28:29], exec
	s_or_b64 s[30:31], s[30:31], exec
	s_waitcnt vmcnt(0)
	v_cmp_le_u16_sdwa s[42:43], v20, v21 src0_sel:BYTE_0 src1_sel:BYTE_0
	v_cmp_lt_u16_sdwa s[40:41], v20, v21 src0_sel:BYTE_0 src1_sel:BYTE_0
	s_and_b64 s[42:43], s[42:43], s[38:39]
	v_cmp_eq_u16_sdwa s[44:45], v20, v21 src0_sel:BYTE_0 src1_sel:BYTE_0
	s_or_b64 s[40:41], s[40:41], s[42:43]
	s_and_saveexec_b64 s[42:43], s[44:45]
	s_cbranch_execz .LBB11_539
; %bb.541:                              ;   in Loop: Header=BB11_540 Depth=1
	s_add_u32 s36, s36, -1
	s_addc_u32 s37, s37, -1
	v_add_co_u32_e32 v8, vcc, 1, v8
	s_cmp_eq_u64 s[36:37], 0
	v_addc_co_u32_e32 v9, vcc, 0, v9, vcc
	s_cselect_b64 s[38:39], -1, 0
	v_add_co_u32_e32 v10, vcc, 1, v10
	s_andn2_b64 s[34:35], s[34:35], exec
	s_and_b64 s[44:45], s[40:41], exec
	s_andn2_b64 s[30:31], s[30:31], exec
	s_and_b64 s[38:39], s[38:39], exec
	v_addc_co_u32_e32 v11, vcc, 0, v11, vcc
	s_or_b64 s[34:35], s[34:35], s[44:45]
	s_andn2_b64 s[28:29], s[28:29], exec
	s_or_b64 s[30:31], s[30:31], s[38:39]
                                        ; implicit-def: $sgpr38_sgpr39
	s_branch .LBB11_539
.LBB11_542:
	s_or_b64 exec, exec, s[24:25]
	s_and_saveexec_b64 s[24:25], s[26:27]
	s_xor_b64 s[24:25], exec, s[24:25]
; %bb.543:
	v_cndmask_b32_e64 v8, v7, v5, s[20:21]
	v_cndmask_b32_e64 v9, v6, v4, s[20:21]
	;; [unrolled: 1-line block ×4, first 2 shown]
	v_mov_b32_e32 v6, v9
	v_mov_b32_e32 v7, v8
; %bb.544:
	s_or_b64 exec, exec, s[24:25]
.LBB11_545:
	s_or_b64 exec, exec, s[10:11]
	v_cmp_lt_u32_e64 s[10:11], 2, v19
	s_and_saveexec_b64 s[20:21], s[10:11]
	s_xor_b64 s[20:21], exec, s[20:21]
	s_cbranch_execz .LBB11_554
; %bb.546:
	s_andn2_b64 vcc, exec, s[18:19]
	s_cbranch_vccnz .LBB11_554
; %bb.547:
	v_pk_mov_b32 v[10:11], s[14:15], s[14:15] op_sel:[0,1]
	v_mad_u64_u32 v[8:9], s[24:25], v4, s12, v[10:11]
	v_mul_lo_u32 v19, v4, s13
	v_mul_lo_u32 v20, v5, s12
	v_add3_u32 v9, v20, v9, v19
	v_mad_u64_u32 v[10:11], s[24:25], v2, s12, v[10:11]
	v_mul_lo_u32 v19, v2, s13
	v_mul_lo_u32 v20, v3, s12
	v_add3_u32 v11, v20, v11, v19
	s_mov_b64 s[26:27], 0
	s_mov_b64 s[38:39], s[12:13]
                                        ; implicit-def: $sgpr24_sgpr25
                                        ; implicit-def: $sgpr28_sgpr29
                                        ; implicit-def: $sgpr34_sgpr35
                                        ; implicit-def: $sgpr30_sgpr31
                                        ; implicit-def: $sgpr36_sgpr37
                                        ; implicit-def: $sgpr40_sgpr41
	s_branch .LBB11_549
.LBB11_548:                             ;   in Loop: Header=BB11_549 Depth=1
	s_or_b64 exec, exec, s[44:45]
	s_and_b64 s[44:45], exec, s[34:35]
	s_or_b64 s[26:27], s[44:45], s[26:27]
	s_andn2_b64 s[40:41], s[40:41], exec
	s_and_b64 s[44:45], s[36:37], exec
	s_or_b64 s[40:41], s[40:41], s[44:45]
	s_andn2_b64 s[28:29], s[28:29], exec
	s_and_b64 s[44:45], s[30:31], exec
	s_andn2_b64 s[24:25], s[24:25], exec
	s_and_b64 s[42:43], s[42:43], exec
	s_or_b64 s[28:29], s[28:29], s[44:45]
	s_or_b64 s[24:25], s[24:25], s[42:43]
	s_andn2_b64 exec, exec, s[26:27]
	s_cbranch_execz .LBB11_551
.LBB11_549:                             ; =>This Inner Loop Header: Depth=1
	global_load_ubyte v19, v[8:9], off
	global_load_ubyte v20, v[10:11], off
	s_andn2_b64 s[36:37], s[36:37], exec
	s_or_b64 s[30:31], s[30:31], exec
	s_or_b64 s[34:35], s[34:35], exec
	s_waitcnt vmcnt(0)
	v_cmp_le_u16_sdwa s[44:45], v19, v20 src0_sel:BYTE_0 src1_sel:BYTE_0
	v_cmp_lt_u16_sdwa s[42:43], v19, v20 src0_sel:BYTE_0 src1_sel:BYTE_0
	s_and_b64 s[44:45], s[44:45], s[40:41]
	v_cmp_eq_u16_sdwa s[46:47], v19, v20 src0_sel:BYTE_0 src1_sel:BYTE_0
	s_or_b64 s[42:43], s[42:43], s[44:45]
	s_and_saveexec_b64 s[44:45], s[46:47]
	s_cbranch_execz .LBB11_548
; %bb.550:                              ;   in Loop: Header=BB11_549 Depth=1
	s_add_u32 s38, s38, -1
	s_addc_u32 s39, s39, -1
	v_add_co_u32_e32 v8, vcc, 1, v8
	s_cmp_eq_u64 s[38:39], 0
	v_addc_co_u32_e32 v9, vcc, 0, v9, vcc
	s_cselect_b64 s[40:41], -1, 0
	v_add_co_u32_e32 v10, vcc, 1, v10
	s_andn2_b64 s[36:37], s[36:37], exec
	s_and_b64 s[46:47], s[42:43], exec
	s_andn2_b64 s[34:35], s[34:35], exec
	s_and_b64 s[40:41], s[40:41], exec
	v_addc_co_u32_e32 v11, vcc, 0, v11, vcc
	s_or_b64 s[36:37], s[36:37], s[46:47]
	s_andn2_b64 s[30:31], s[30:31], exec
	s_or_b64 s[34:35], s[34:35], s[40:41]
                                        ; implicit-def: $sgpr40_sgpr41
	s_branch .LBB11_548
.LBB11_551:
	s_or_b64 exec, exec, s[26:27]
	s_and_saveexec_b64 s[26:27], s[28:29]
	s_xor_b64 s[26:27], exec, s[26:27]
; %bb.552:
	v_cndmask_b32_e64 v8, v5, v3, s[24:25]
	v_cndmask_b32_e64 v9, v4, v2, s[24:25]
	;; [unrolled: 1-line block ×4, first 2 shown]
	v_mov_b32_e32 v4, v9
	v_mov_b32_e32 v5, v8
; %bb.553:
	s_or_b64 exec, exec, s[26:27]
.LBB11_554:
	s_or_b64 exec, exec, s[20:21]
	s_and_saveexec_b64 s[20:21], s[6:7]
	s_cbranch_execz .LBB11_563
; %bb.555:
	s_andn2_b64 vcc, exec, s[18:19]
	s_cbranch_vccnz .LBB11_563
; %bb.556:
	v_pk_mov_b32 v[10:11], s[14:15], s[14:15] op_sel:[0,1]
	v_mad_u64_u32 v[8:9], s[6:7], v2, s12, v[10:11]
	v_mul_lo_u32 v19, v2, s13
	v_mul_lo_u32 v20, v3, s12
	v_add3_u32 v9, v20, v9, v19
	v_mad_u64_u32 v[10:11], s[6:7], v0, s12, v[10:11]
	v_mul_lo_u32 v19, v0, s13
	v_mul_lo_u32 v20, v1, s12
	v_add3_u32 v11, v20, v11, v19
	s_mov_b64 s[24:25], 0
	s_mov_b64 s[36:37], s[12:13]
                                        ; implicit-def: $sgpr6_sgpr7
                                        ; implicit-def: $sgpr26_sgpr27
                                        ; implicit-def: $sgpr30_sgpr31
                                        ; implicit-def: $sgpr28_sgpr29
                                        ; implicit-def: $sgpr34_sgpr35
                                        ; implicit-def: $sgpr38_sgpr39
	s_branch .LBB11_558
.LBB11_557:                             ;   in Loop: Header=BB11_558 Depth=1
	s_or_b64 exec, exec, s[42:43]
	s_and_b64 s[42:43], exec, s[30:31]
	s_or_b64 s[24:25], s[42:43], s[24:25]
	s_andn2_b64 s[38:39], s[38:39], exec
	s_and_b64 s[42:43], s[34:35], exec
	s_or_b64 s[38:39], s[38:39], s[42:43]
	s_andn2_b64 s[26:27], s[26:27], exec
	s_and_b64 s[42:43], s[28:29], exec
	s_andn2_b64 s[6:7], s[6:7], exec
	s_and_b64 s[40:41], s[40:41], exec
	s_or_b64 s[26:27], s[26:27], s[42:43]
	s_or_b64 s[6:7], s[6:7], s[40:41]
	s_andn2_b64 exec, exec, s[24:25]
	s_cbranch_execz .LBB11_560
.LBB11_558:                             ; =>This Inner Loop Header: Depth=1
	global_load_ubyte v19, v[8:9], off
	global_load_ubyte v20, v[10:11], off
	s_andn2_b64 s[34:35], s[34:35], exec
	s_or_b64 s[28:29], s[28:29], exec
	s_or_b64 s[30:31], s[30:31], exec
	s_waitcnt vmcnt(0)
	v_cmp_le_u16_sdwa s[42:43], v19, v20 src0_sel:BYTE_0 src1_sel:BYTE_0
	v_cmp_lt_u16_sdwa s[40:41], v19, v20 src0_sel:BYTE_0 src1_sel:BYTE_0
	s_and_b64 s[42:43], s[42:43], s[38:39]
	v_cmp_eq_u16_sdwa s[44:45], v19, v20 src0_sel:BYTE_0 src1_sel:BYTE_0
	s_or_b64 s[40:41], s[40:41], s[42:43]
	s_and_saveexec_b64 s[42:43], s[44:45]
	s_cbranch_execz .LBB11_557
; %bb.559:                              ;   in Loop: Header=BB11_558 Depth=1
	s_add_u32 s36, s36, -1
	s_addc_u32 s37, s37, -1
	v_add_co_u32_e32 v8, vcc, 1, v8
	s_cmp_eq_u64 s[36:37], 0
	v_addc_co_u32_e32 v9, vcc, 0, v9, vcc
	s_cselect_b64 s[38:39], -1, 0
	v_add_co_u32_e32 v10, vcc, 1, v10
	s_andn2_b64 s[34:35], s[34:35], exec
	s_and_b64 s[44:45], s[40:41], exec
	s_andn2_b64 s[30:31], s[30:31], exec
	s_and_b64 s[38:39], s[38:39], exec
	v_addc_co_u32_e32 v11, vcc, 0, v11, vcc
	s_or_b64 s[34:35], s[34:35], s[44:45]
	s_andn2_b64 s[28:29], s[28:29], exec
	s_or_b64 s[30:31], s[30:31], s[38:39]
                                        ; implicit-def: $sgpr38_sgpr39
	s_branch .LBB11_557
.LBB11_560:
	s_or_b64 exec, exec, s[24:25]
	s_and_saveexec_b64 s[24:25], s[26:27]
	s_xor_b64 s[24:25], exec, s[24:25]
	s_cbranch_execz .LBB11_562
; %bb.561:
	v_cndmask_b32_e64 v29, v1, v3, s[6:7]
	v_cndmask_b32_e64 v28, v0, v2, s[6:7]
	;; [unrolled: 1-line block ×4, first 2 shown]
	v_mov_b32_e32 v32, v4
	v_mov_b32_e32 v33, v5
	;; [unrolled: 1-line block ×4, first 2 shown]
	v_pk_mov_b32 v[0:1], v[28:29], v[28:29] op_sel:[0,1]
	v_pk_mov_b32 v[2:3], v[30:31], v[30:31] op_sel:[0,1]
	;; [unrolled: 1-line block ×4, first 2 shown]
.LBB11_562:
	s_or_b64 exec, exec, s[24:25]
.LBB11_563:
	s_or_b64 exec, exec, s[20:21]
	s_and_saveexec_b64 s[6:7], s[8:9]
	s_cbranch_execz .LBB11_572
; %bb.564:
	s_andn2_b64 vcc, exec, s[18:19]
	s_cbranch_vccnz .LBB11_572
; %bb.565:
	v_pk_mov_b32 v[10:11], s[14:15], s[14:15] op_sel:[0,1]
	v_mad_u64_u32 v[8:9], s[8:9], v6, s12, v[10:11]
	v_mul_lo_u32 v19, v6, s13
	v_mul_lo_u32 v20, v7, s12
	v_add3_u32 v9, v20, v9, v19
	v_mad_u64_u32 v[10:11], s[8:9], v4, s12, v[10:11]
	v_mul_lo_u32 v19, v4, s13
	v_mul_lo_u32 v20, v5, s12
	v_add3_u32 v11, v20, v11, v19
	s_mov_b64 s[20:21], 0
	s_mov_b64 s[34:35], s[12:13]
                                        ; implicit-def: $sgpr8_sgpr9
                                        ; implicit-def: $sgpr24_sgpr25
                                        ; implicit-def: $sgpr28_sgpr29
                                        ; implicit-def: $sgpr26_sgpr27
                                        ; implicit-def: $sgpr30_sgpr31
                                        ; implicit-def: $sgpr36_sgpr37
	s_branch .LBB11_567
.LBB11_566:                             ;   in Loop: Header=BB11_567 Depth=1
	s_or_b64 exec, exec, s[40:41]
	s_and_b64 s[40:41], exec, s[28:29]
	s_or_b64 s[20:21], s[40:41], s[20:21]
	s_andn2_b64 s[36:37], s[36:37], exec
	s_and_b64 s[40:41], s[30:31], exec
	s_or_b64 s[36:37], s[36:37], s[40:41]
	s_andn2_b64 s[24:25], s[24:25], exec
	s_and_b64 s[40:41], s[26:27], exec
	s_andn2_b64 s[8:9], s[8:9], exec
	s_and_b64 s[38:39], s[38:39], exec
	s_or_b64 s[24:25], s[24:25], s[40:41]
	s_or_b64 s[8:9], s[8:9], s[38:39]
	s_andn2_b64 exec, exec, s[20:21]
	s_cbranch_execz .LBB11_569
.LBB11_567:                             ; =>This Inner Loop Header: Depth=1
	global_load_ubyte v19, v[8:9], off
	global_load_ubyte v20, v[10:11], off
	s_andn2_b64 s[30:31], s[30:31], exec
	s_or_b64 s[26:27], s[26:27], exec
	s_or_b64 s[28:29], s[28:29], exec
	s_waitcnt vmcnt(0)
	v_cmp_le_u16_sdwa s[40:41], v19, v20 src0_sel:BYTE_0 src1_sel:BYTE_0
	v_cmp_lt_u16_sdwa s[38:39], v19, v20 src0_sel:BYTE_0 src1_sel:BYTE_0
	s_and_b64 s[40:41], s[40:41], s[36:37]
	v_cmp_eq_u16_sdwa s[42:43], v19, v20 src0_sel:BYTE_0 src1_sel:BYTE_0
	s_or_b64 s[38:39], s[38:39], s[40:41]
	s_and_saveexec_b64 s[40:41], s[42:43]
	s_cbranch_execz .LBB11_566
; %bb.568:                              ;   in Loop: Header=BB11_567 Depth=1
	s_add_u32 s34, s34, -1
	s_addc_u32 s35, s35, -1
	v_add_co_u32_e32 v8, vcc, 1, v8
	s_cmp_eq_u64 s[34:35], 0
	v_addc_co_u32_e32 v9, vcc, 0, v9, vcc
	s_cselect_b64 s[36:37], -1, 0
	v_add_co_u32_e32 v10, vcc, 1, v10
	s_andn2_b64 s[30:31], s[30:31], exec
	s_and_b64 s[42:43], s[38:39], exec
	s_andn2_b64 s[28:29], s[28:29], exec
	s_and_b64 s[36:37], s[36:37], exec
	v_addc_co_u32_e32 v11, vcc, 0, v11, vcc
	s_or_b64 s[30:31], s[30:31], s[42:43]
	s_andn2_b64 s[26:27], s[26:27], exec
	s_or_b64 s[28:29], s[28:29], s[36:37]
                                        ; implicit-def: $sgpr36_sgpr37
	s_branch .LBB11_566
.LBB11_569:
	s_or_b64 exec, exec, s[20:21]
	s_and_saveexec_b64 s[20:21], s[24:25]
	s_xor_b64 s[20:21], exec, s[20:21]
; %bb.570:
	v_cndmask_b32_e64 v8, v7, v5, s[8:9]
	v_cndmask_b32_e64 v9, v6, v4, s[8:9]
	;; [unrolled: 1-line block ×4, first 2 shown]
	v_mov_b32_e32 v6, v9
	v_mov_b32_e32 v7, v8
; %bb.571:
	s_or_b64 exec, exec, s[20:21]
.LBB11_572:
	s_or_b64 exec, exec, s[6:7]
	s_and_saveexec_b64 s[6:7], s[10:11]
	s_cbranch_execz .LBB11_581
; %bb.573:
	s_andn2_b64 vcc, exec, s[18:19]
	s_cbranch_vccnz .LBB11_581
; %bb.574:
	v_pk_mov_b32 v[10:11], s[14:15], s[14:15] op_sel:[0,1]
	v_mad_u64_u32 v[8:9], s[8:9], v4, s12, v[10:11]
	v_mul_lo_u32 v19, v4, s13
	v_mul_lo_u32 v20, v5, s12
	v_add3_u32 v9, v20, v9, v19
	v_mad_u64_u32 v[10:11], s[8:9], v2, s12, v[10:11]
	v_mul_lo_u32 v19, v2, s13
	v_mul_lo_u32 v20, v3, s12
	v_add3_u32 v11, v20, v11, v19
	s_mov_b64 s[10:11], 0
	s_mov_b64 s[30:31], s[12:13]
                                        ; implicit-def: $sgpr8_sgpr9
                                        ; implicit-def: $sgpr20_sgpr21
                                        ; implicit-def: $sgpr26_sgpr27
                                        ; implicit-def: $sgpr24_sgpr25
                                        ; implicit-def: $sgpr28_sgpr29
                                        ; implicit-def: $sgpr34_sgpr35
	s_branch .LBB11_576
.LBB11_575:                             ;   in Loop: Header=BB11_576 Depth=1
	s_or_b64 exec, exec, s[38:39]
	s_and_b64 s[38:39], exec, s[26:27]
	s_or_b64 s[10:11], s[38:39], s[10:11]
	s_andn2_b64 s[34:35], s[34:35], exec
	s_and_b64 s[38:39], s[28:29], exec
	s_or_b64 s[34:35], s[34:35], s[38:39]
	s_andn2_b64 s[20:21], s[20:21], exec
	s_and_b64 s[38:39], s[24:25], exec
	s_andn2_b64 s[8:9], s[8:9], exec
	s_and_b64 s[36:37], s[36:37], exec
	s_or_b64 s[20:21], s[20:21], s[38:39]
	s_or_b64 s[8:9], s[8:9], s[36:37]
	s_andn2_b64 exec, exec, s[10:11]
	s_cbranch_execz .LBB11_578
.LBB11_576:                             ; =>This Inner Loop Header: Depth=1
	global_load_ubyte v19, v[8:9], off
	global_load_ubyte v20, v[10:11], off
	s_andn2_b64 s[28:29], s[28:29], exec
	s_or_b64 s[24:25], s[24:25], exec
	s_or_b64 s[26:27], s[26:27], exec
	s_waitcnt vmcnt(0)
	v_cmp_le_u16_sdwa s[38:39], v19, v20 src0_sel:BYTE_0 src1_sel:BYTE_0
	v_cmp_lt_u16_sdwa s[36:37], v19, v20 src0_sel:BYTE_0 src1_sel:BYTE_0
	s_and_b64 s[38:39], s[38:39], s[34:35]
	v_cmp_eq_u16_sdwa s[40:41], v19, v20 src0_sel:BYTE_0 src1_sel:BYTE_0
	s_or_b64 s[36:37], s[36:37], s[38:39]
	s_and_saveexec_b64 s[38:39], s[40:41]
	s_cbranch_execz .LBB11_575
; %bb.577:                              ;   in Loop: Header=BB11_576 Depth=1
	s_add_u32 s30, s30, -1
	s_addc_u32 s31, s31, -1
	v_add_co_u32_e32 v8, vcc, 1, v8
	s_cmp_eq_u64 s[30:31], 0
	v_addc_co_u32_e32 v9, vcc, 0, v9, vcc
	s_cselect_b64 s[34:35], -1, 0
	v_add_co_u32_e32 v10, vcc, 1, v10
	s_andn2_b64 s[28:29], s[28:29], exec
	s_and_b64 s[40:41], s[36:37], exec
	s_andn2_b64 s[26:27], s[26:27], exec
	s_and_b64 s[34:35], s[34:35], exec
	v_addc_co_u32_e32 v11, vcc, 0, v11, vcc
	s_or_b64 s[28:29], s[28:29], s[40:41]
	s_andn2_b64 s[24:25], s[24:25], exec
	s_or_b64 s[26:27], s[26:27], s[34:35]
                                        ; implicit-def: $sgpr34_sgpr35
	s_branch .LBB11_575
.LBB11_578:
	s_or_b64 exec, exec, s[10:11]
	s_and_saveexec_b64 s[10:11], s[20:21]
	s_xor_b64 s[10:11], exec, s[10:11]
; %bb.579:
	v_cndmask_b32_e64 v8, v5, v3, s[8:9]
	v_cndmask_b32_e64 v9, v4, v2, s[8:9]
	;; [unrolled: 1-line block ×4, first 2 shown]
	v_mov_b32_e32 v4, v9
	v_mov_b32_e32 v5, v8
; %bb.580:
	s_or_b64 exec, exec, s[10:11]
.LBB11_581:
	s_or_b64 exec, exec, s[6:7]
	v_mbcnt_lo_u32_b32 v8, -1, 0
	v_mbcnt_hi_u32_b32 v8, -1, v8
	v_and_b32_e32 v9, 0xffffff00, v18
	v_lshlrev_b32_e32 v18, 3, v9
	v_lshlrev_b32_e32 v20, 2, v8
	v_sub_u32_e64 v19, s33, v9 clamp
	v_lshl_add_u32 v21, v8, 5, v18
	v_or_b32_e32 v8, 4, v20
	v_min_u32_e32 v22, v19, v8
	v_add_u32_e32 v8, 4, v22
	v_and_b32_e32 v28, 0x1f8, v20
	v_min_u32_e32 v23, v19, v8
	v_and_b32_e32 v8, 4, v20
	v_min_u32_e32 v29, v19, v8
	v_sub_u32_e32 v8, v22, v28
	v_sub_u32_e32 v9, v23, v22
	v_sub_u32_e64 v25, v29, v9 clamp
	v_min_u32_e32 v30, v29, v8
	v_lshl_add_u32 v24, v28, 3, v18
	v_cmp_lt_u32_e32 vcc, v25, v30
	ds_write_b128 v21, v[0:3]
	ds_write_b128 v21, v[4:7] offset:16
	; wave barrier
	s_and_saveexec_b64 s[8:9], vcc
	s_cbranch_execz .LBB11_591
; %bb.582:
	v_lshlrev_b32_e32 v8, 3, v22
	v_lshlrev_b32_e32 v9, 3, v29
	v_add3_u32 v31, v18, v8, v9
	v_cndmask_b32_e64 v8, 0, 1, s[18:19]
	s_mov_b64 s[10:11], 0
	v_cmp_ne_u32_e64 s[6:7], 1, v8
	s_branch .LBB11_585
.LBB11_583:                             ;   in Loop: Header=BB11_585 Depth=1
	s_or_b64 exec, exec, s[24:25]
.LBB11_584:                             ;   in Loop: Header=BB11_585 Depth=1
	v_add_u32_e32 v8, 1, v32
	v_cndmask_b32_e64 v30, v30, v32, s[20:21]
	v_cndmask_b32_e64 v25, v8, v25, s[20:21]
	v_cmp_ge_u32_e32 vcc, v25, v30
	s_or_b64 s[10:11], vcc, s[10:11]
	s_andn2_b64 exec, exec, s[10:11]
	s_cbranch_execz .LBB11_590
.LBB11_585:                             ; =>This Loop Header: Depth=1
                                        ;     Child Loop BB11_588 Depth 2
	v_add_u32_e32 v8, v30, v25
	v_lshrrev_b32_e32 v32, 1, v8
	s_and_b64 vcc, exec, s[6:7]
	s_mov_b64 s[20:21], 0
	s_cbranch_vccnz .LBB11_584
; %bb.586:                              ;   in Loop: Header=BB11_585 Depth=1
	v_not_b32_e32 v8, v32
	v_lshl_add_u32 v8, v8, 3, v31
	ds_read_b64 v[8:9], v8
	v_lshl_add_u32 v33, v32, 3, v24
	ds_read_b64 v[34:35], v33
	v_pk_mov_b32 v[10:11], s[14:15], s[14:15] op_sel:[0,1]
	s_mov_b64 s[24:25], 0
	s_waitcnt lgkmcnt(1)
	v_mul_lo_u32 v33, v8, s13
	v_mul_lo_u32 v36, v9, s12
	v_mad_u64_u32 v[8:9], s[20:21], v8, s12, v[10:11]
	v_add3_u32 v9, v36, v9, v33
	s_waitcnt lgkmcnt(0)
	v_mul_lo_u32 v33, v34, s13
	v_mul_lo_u32 v35, v35, s12
	v_mad_u64_u32 v[10:11], s[20:21], v34, s12, v[10:11]
	v_add3_u32 v11, v35, v11, v33
	s_mov_b64 s[30:31], s[12:13]
                                        ; implicit-def: $sgpr20_sgpr21
                                        ; implicit-def: $sgpr26_sgpr27
                                        ; implicit-def: $sgpr28_sgpr29
                                        ; implicit-def: $sgpr34_sgpr35
                                        ; implicit-def: $sgpr36_sgpr37
	s_branch .LBB11_588
.LBB11_587:                             ;   in Loop: Header=BB11_588 Depth=2
	s_or_b64 exec, exec, s[38:39]
	s_and_b64 s[38:39], exec, s[26:27]
	s_or_b64 s[24:25], s[38:39], s[24:25]
	s_andn2_b64 s[36:37], s[36:37], exec
	s_and_b64 s[38:39], s[28:29], exec
	s_or_b64 s[36:37], s[36:37], s[38:39]
	s_andn2_b64 s[20:21], s[20:21], exec
	s_and_b64 s[38:39], s[34:35], exec
	s_or_b64 s[20:21], s[20:21], s[38:39]
	s_andn2_b64 exec, exec, s[24:25]
	s_cbranch_execz .LBB11_583
.LBB11_588:                             ;   Parent Loop BB11_585 Depth=1
                                        ; =>  This Inner Loop Header: Depth=2
	global_load_ubyte v33, v[8:9], off
	global_load_ubyte v34, v[10:11], off
	s_andn2_b64 s[34:35], s[34:35], exec
	s_andn2_b64 s[28:29], s[28:29], exec
	s_or_b64 s[26:27], s[26:27], exec
	s_waitcnt vmcnt(0)
	v_cmp_le_u16_sdwa s[40:41], v33, v34 src0_sel:BYTE_0 src1_sel:BYTE_0
	v_cmp_lt_u16_sdwa s[38:39], v33, v34 src0_sel:BYTE_0 src1_sel:BYTE_0
	s_and_b64 s[40:41], s[40:41], s[36:37]
	s_or_b64 s[40:41], s[38:39], s[40:41]
	s_and_b64 s[38:39], s[40:41], exec
	v_cmp_eq_u16_sdwa s[42:43], v33, v34 src0_sel:BYTE_0 src1_sel:BYTE_0
	s_or_b64 s[34:35], s[34:35], s[38:39]
	s_and_saveexec_b64 s[38:39], s[42:43]
	s_cbranch_execz .LBB11_587
; %bb.589:                              ;   in Loop: Header=BB11_588 Depth=2
	s_add_u32 s30, s30, -1
	s_addc_u32 s31, s31, -1
	v_add_co_u32_e32 v8, vcc, 1, v8
	s_cmp_eq_u64 s[30:31], 0
	v_addc_co_u32_e32 v9, vcc, 0, v9, vcc
	s_cselect_b64 s[36:37], -1, 0
	v_add_co_u32_e32 v10, vcc, 1, v10
	s_andn2_b64 s[28:29], s[28:29], exec
	s_and_b64 s[40:41], s[40:41], exec
	s_andn2_b64 s[26:27], s[26:27], exec
	s_and_b64 s[36:37], s[36:37], exec
	v_addc_co_u32_e32 v11, vcc, 0, v11, vcc
	s_andn2_b64 s[34:35], s[34:35], exec
	s_or_b64 s[28:29], s[28:29], s[40:41]
	s_or_b64 s[26:27], s[26:27], s[36:37]
                                        ; implicit-def: $sgpr36_sgpr37
	s_branch .LBB11_587
.LBB11_590:
	s_or_b64 exec, exec, s[10:11]
.LBB11_591:
	s_or_b64 exec, exec, s[8:9]
	v_add_u32_e32 v9, v22, v29
	v_add_u32_e32 v8, v25, v28
	v_sub_u32_e32 v9, v9, v25
	v_cmp_le_u32_e32 vcc, v8, v22
	v_cmp_le_u32_e64 s[6:7], v9, v23
	s_or_b64 s[6:7], vcc, s[6:7]
	s_and_saveexec_b64 s[8:9], s[6:7]
	s_cbranch_execz .LBB11_638
; %bb.592:
	v_cmp_ge_u32_e32 vcc, v8, v22
	v_cmp_lt_u32_e64 s[6:7], v8, v22
                                        ; implicit-def: $vgpr0_vgpr1
	s_and_saveexec_b64 s[10:11], s[6:7]
	s_cbranch_execz .LBB11_594
; %bb.593:
	v_lshl_add_u32 v0, v25, 3, v24
	ds_read_b64 v[0:1], v0
.LBB11_594:
	s_or_b64 exec, exec, s[10:11]
	v_cmp_ge_u32_e64 s[10:11], v9, v23
	v_cmp_lt_u32_e64 s[6:7], v9, v23
                                        ; implicit-def: $vgpr2_vgpr3
	s_and_saveexec_b64 s[20:21], s[6:7]
	s_cbranch_execz .LBB11_596
; %bb.595:
	v_lshl_add_u32 v2, v9, 3, v18
	ds_read_b64 v[2:3], v2
.LBB11_596:
	s_or_b64 exec, exec, s[20:21]
	s_or_b64 s[20:21], vcc, s[10:11]
	s_mov_b64 s[6:7], -1
	s_xor_b64 s[24:25], s[20:21], -1
	s_and_saveexec_b64 s[20:21], s[24:25]
	s_cbranch_execz .LBB11_605
; %bb.597:
	s_andn2_b64 vcc, exec, s[18:19]
	s_cbranch_vccnz .LBB11_603
; %bb.598:
	v_pk_mov_b32 v[6:7], s[14:15], s[14:15] op_sel:[0,1]
	s_waitcnt lgkmcnt(0)
	v_mad_u64_u32 v[4:5], s[24:25], v2, s12, v[6:7]
	v_mul_lo_u32 v10, v2, s13
	v_mul_lo_u32 v11, v3, s12
	v_add3_u32 v5, v11, v5, v10
	v_mad_u64_u32 v[6:7], s[24:25], v0, s12, v[6:7]
	v_mul_lo_u32 v10, v0, s13
	v_mul_lo_u32 v11, v1, s12
	v_add3_u32 v7, v11, v7, v10
	s_mov_b64 s[24:25], 0
	s_mov_b64 s[34:35], s[12:13]
                                        ; implicit-def: $sgpr26_sgpr27
                                        ; implicit-def: $sgpr28_sgpr29
                                        ; implicit-def: $sgpr36_sgpr37
                                        ; implicit-def: $sgpr30_sgpr31
                                        ; implicit-def: $sgpr38_sgpr39
	s_branch .LBB11_600
.LBB11_599:                             ;   in Loop: Header=BB11_600 Depth=1
	s_or_b64 exec, exec, s[40:41]
	s_and_b64 s[40:41], exec, s[28:29]
	s_or_b64 s[24:25], s[40:41], s[24:25]
	s_andn2_b64 s[38:39], s[38:39], exec
	s_and_b64 s[40:41], s[30:31], exec
	s_or_b64 s[38:39], s[38:39], s[40:41]
	s_andn2_b64 s[26:27], s[26:27], exec
	s_and_b64 s[40:41], s[36:37], exec
	s_or_b64 s[26:27], s[26:27], s[40:41]
	s_andn2_b64 exec, exec, s[24:25]
	s_cbranch_execz .LBB11_602
.LBB11_600:                             ; =>This Inner Loop Header: Depth=1
	global_load_ubyte v10, v[4:5], off
	global_load_ubyte v11, v[6:7], off
	s_andn2_b64 s[36:37], s[36:37], exec
	s_andn2_b64 s[30:31], s[30:31], exec
	s_or_b64 s[28:29], s[28:29], exec
	s_waitcnt vmcnt(0)
	v_cmp_le_u16_sdwa s[42:43], v10, v11 src0_sel:BYTE_0 src1_sel:BYTE_0
	v_cmp_lt_u16_sdwa s[40:41], v10, v11 src0_sel:BYTE_0 src1_sel:BYTE_0
	s_and_b64 s[42:43], s[42:43], s[38:39]
	s_or_b64 s[42:43], s[40:41], s[42:43]
	s_and_b64 s[40:41], s[42:43], exec
	v_cmp_eq_u16_sdwa s[44:45], v10, v11 src0_sel:BYTE_0 src1_sel:BYTE_0
	s_or_b64 s[36:37], s[36:37], s[40:41]
	s_and_saveexec_b64 s[40:41], s[44:45]
	s_cbranch_execz .LBB11_599
; %bb.601:                              ;   in Loop: Header=BB11_600 Depth=1
	s_add_u32 s34, s34, -1
	s_addc_u32 s35, s35, -1
	v_add_co_u32_e32 v4, vcc, 1, v4
	s_cmp_eq_u64 s[34:35], 0
	v_addc_co_u32_e32 v5, vcc, 0, v5, vcc
	s_cselect_b64 s[38:39], -1, 0
	v_add_co_u32_e32 v6, vcc, 1, v6
	s_andn2_b64 s[30:31], s[30:31], exec
	s_and_b64 s[42:43], s[42:43], exec
	s_andn2_b64 s[28:29], s[28:29], exec
	s_and_b64 s[38:39], s[38:39], exec
	v_addc_co_u32_e32 v7, vcc, 0, v7, vcc
	s_or_b64 s[30:31], s[30:31], s[42:43]
	s_andn2_b64 s[36:37], s[36:37], exec
	s_or_b64 s[28:29], s[28:29], s[38:39]
                                        ; implicit-def: $sgpr38_sgpr39
	s_branch .LBB11_599
.LBB11_602:
	s_or_b64 exec, exec, s[24:25]
	s_xor_b64 s[24:25], s[26:27], -1
	s_branch .LBB11_604
.LBB11_603:
	s_mov_b64 s[24:25], -1
.LBB11_604:
	s_andn2_b64 s[10:11], s[10:11], exec
	s_and_b64 s[24:25], s[24:25], exec
	s_or_b64 s[10:11], s[10:11], s[24:25]
.LBB11_605:
	s_or_b64 exec, exec, s[20:21]
	v_cndmask_b32_e64 v4, v9, v8, s[10:11]
	v_cndmask_b32_e64 v5, v23, v22, s[10:11]
	v_add_u32_e32 v6, 1, v4
	v_add_u32_e32 v4, -1, v5
	v_min_u32_e32 v4, v6, v4
	v_lshl_add_u32 v4, v4, 3, v18
	ds_read_b64 v[4:5], v4
	v_cndmask_b32_e64 v9, v6, v9, s[10:11]
	v_cndmask_b32_e64 v8, v8, v6, s[10:11]
	v_cmp_lt_u32_e32 vcc, v9, v23
	s_waitcnt lgkmcnt(0)
	v_cndmask_b32_e64 v24, v5, v3, s[10:11]
	v_cndmask_b32_e64 v25, v4, v2, s[10:11]
	;; [unrolled: 1-line block ×4, first 2 shown]
	s_and_saveexec_b64 s[20:21], vcc
	s_cbranch_execz .LBB11_616
; %bb.606:
	v_cmp_lt_u32_e32 vcc, v8, v22
	s_mov_b64 s[24:25], 0
	s_and_saveexec_b64 s[6:7], vcc
	s_cbranch_execz .LBB11_615
; %bb.607:
	s_andn2_b64 vcc, exec, s[18:19]
	s_cbranch_vccnz .LBB11_613
; %bb.608:
	v_pk_mov_b32 v[6:7], s[14:15], s[14:15] op_sel:[0,1]
	v_mad_u64_u32 v[4:5], s[24:25], v25, s12, v[6:7]
	v_mul_lo_u32 v10, v25, s13
	v_mul_lo_u32 v11, v24, s12
	v_add3_u32 v5, v11, v5, v10
	v_mad_u64_u32 v[6:7], s[24:25], v29, s12, v[6:7]
	v_mul_lo_u32 v10, v29, s13
	v_mul_lo_u32 v11, v28, s12
	v_add3_u32 v7, v11, v7, v10
	s_mov_b64 s[24:25], 0
	s_mov_b64 s[34:35], s[12:13]
                                        ; implicit-def: $sgpr26_sgpr27
                                        ; implicit-def: $sgpr28_sgpr29
                                        ; implicit-def: $sgpr36_sgpr37
                                        ; implicit-def: $sgpr30_sgpr31
                                        ; implicit-def: $sgpr38_sgpr39
	s_branch .LBB11_610
.LBB11_609:                             ;   in Loop: Header=BB11_610 Depth=1
	s_or_b64 exec, exec, s[40:41]
	s_and_b64 s[40:41], exec, s[28:29]
	s_or_b64 s[24:25], s[40:41], s[24:25]
	s_andn2_b64 s[38:39], s[38:39], exec
	s_and_b64 s[40:41], s[30:31], exec
	s_or_b64 s[38:39], s[38:39], s[40:41]
	s_andn2_b64 s[26:27], s[26:27], exec
	s_and_b64 s[40:41], s[36:37], exec
	s_or_b64 s[26:27], s[26:27], s[40:41]
	s_andn2_b64 exec, exec, s[24:25]
	s_cbranch_execz .LBB11_612
.LBB11_610:                             ; =>This Inner Loop Header: Depth=1
	global_load_ubyte v10, v[4:5], off
	global_load_ubyte v11, v[6:7], off
	s_andn2_b64 s[36:37], s[36:37], exec
	s_andn2_b64 s[30:31], s[30:31], exec
	s_or_b64 s[28:29], s[28:29], exec
	s_waitcnt vmcnt(0)
	v_cmp_le_u16_sdwa s[42:43], v10, v11 src0_sel:BYTE_0 src1_sel:BYTE_0
	v_cmp_lt_u16_sdwa s[40:41], v10, v11 src0_sel:BYTE_0 src1_sel:BYTE_0
	s_and_b64 s[42:43], s[42:43], s[38:39]
	s_or_b64 s[42:43], s[40:41], s[42:43]
	s_and_b64 s[40:41], s[42:43], exec
	v_cmp_eq_u16_sdwa s[44:45], v10, v11 src0_sel:BYTE_0 src1_sel:BYTE_0
	s_or_b64 s[36:37], s[36:37], s[40:41]
	s_and_saveexec_b64 s[40:41], s[44:45]
	s_cbranch_execz .LBB11_609
; %bb.611:                              ;   in Loop: Header=BB11_610 Depth=1
	s_add_u32 s34, s34, -1
	s_addc_u32 s35, s35, -1
	v_add_co_u32_e32 v4, vcc, 1, v4
	s_cmp_eq_u64 s[34:35], 0
	v_addc_co_u32_e32 v5, vcc, 0, v5, vcc
	s_cselect_b64 s[38:39], -1, 0
	v_add_co_u32_e32 v6, vcc, 1, v6
	s_andn2_b64 s[30:31], s[30:31], exec
	s_and_b64 s[42:43], s[42:43], exec
	s_andn2_b64 s[28:29], s[28:29], exec
	s_and_b64 s[38:39], s[38:39], exec
	v_addc_co_u32_e32 v7, vcc, 0, v7, vcc
	s_or_b64 s[30:31], s[30:31], s[42:43]
	s_andn2_b64 s[36:37], s[36:37], exec
	s_or_b64 s[28:29], s[28:29], s[38:39]
                                        ; implicit-def: $sgpr38_sgpr39
	s_branch .LBB11_609
.LBB11_612:
	s_or_b64 exec, exec, s[24:25]
	s_xor_b64 s[24:25], s[26:27], -1
	s_branch .LBB11_614
.LBB11_613:
	s_mov_b64 s[24:25], -1
.LBB11_614:
	s_and_b64 s[24:25], s[24:25], exec
.LBB11_615:
	s_or_b64 exec, exec, s[6:7]
	s_orn2_b64 s[6:7], s[24:25], exec
.LBB11_616:
	s_or_b64 exec, exec, s[20:21]
	v_cndmask_b32_e64 v4, v9, v8, s[6:7]
	v_cndmask_b32_e64 v5, v23, v22, s[6:7]
	v_add_u32_e32 v6, 1, v4
	v_add_u32_e32 v4, -1, v5
	v_min_u32_e32 v4, v6, v4
	v_lshl_add_u32 v4, v4, 3, v18
	ds_read_b64 v[4:5], v4
	v_cndmask_b32_e64 v9, v6, v9, s[6:7]
	v_cndmask_b32_e64 v8, v8, v6, s[6:7]
	v_cmp_lt_u32_e32 vcc, v9, v23
	s_mov_b64 s[20:21], -1
	s_waitcnt lgkmcnt(0)
	v_cndmask_b32_e64 v30, v5, v24, s[6:7]
	v_cndmask_b32_e64 v31, v4, v25, s[6:7]
	;; [unrolled: 1-line block ×4, first 2 shown]
	s_and_saveexec_b64 s[24:25], vcc
	s_cbranch_execz .LBB11_627
; %bb.617:
	v_cmp_lt_u32_e32 vcc, v8, v22
	s_mov_b64 s[26:27], 0
	s_and_saveexec_b64 s[20:21], vcc
	s_cbranch_execz .LBB11_626
; %bb.618:
	s_andn2_b64 vcc, exec, s[18:19]
	s_cbranch_vccnz .LBB11_624
; %bb.619:
	v_pk_mov_b32 v[6:7], s[14:15], s[14:15] op_sel:[0,1]
	v_mad_u64_u32 v[4:5], s[26:27], v31, s12, v[6:7]
	v_mul_lo_u32 v10, v31, s13
	v_mul_lo_u32 v11, v30, s12
	v_add3_u32 v5, v11, v5, v10
	v_mad_u64_u32 v[6:7], s[26:27], v33, s12, v[6:7]
	v_mul_lo_u32 v10, v33, s13
	v_mul_lo_u32 v11, v32, s12
	v_add3_u32 v7, v11, v7, v10
	s_mov_b64 s[26:27], 0
	s_mov_b64 s[36:37], s[12:13]
                                        ; implicit-def: $sgpr28_sgpr29
                                        ; implicit-def: $sgpr30_sgpr31
                                        ; implicit-def: $sgpr38_sgpr39
                                        ; implicit-def: $sgpr34_sgpr35
                                        ; implicit-def: $sgpr40_sgpr41
	s_branch .LBB11_621
.LBB11_620:                             ;   in Loop: Header=BB11_621 Depth=1
	s_or_b64 exec, exec, s[42:43]
	s_and_b64 s[42:43], exec, s[30:31]
	s_or_b64 s[26:27], s[42:43], s[26:27]
	s_andn2_b64 s[40:41], s[40:41], exec
	s_and_b64 s[42:43], s[34:35], exec
	s_or_b64 s[40:41], s[40:41], s[42:43]
	s_andn2_b64 s[28:29], s[28:29], exec
	s_and_b64 s[42:43], s[38:39], exec
	s_or_b64 s[28:29], s[28:29], s[42:43]
	s_andn2_b64 exec, exec, s[26:27]
	s_cbranch_execz .LBB11_623
.LBB11_621:                             ; =>This Inner Loop Header: Depth=1
	global_load_ubyte v10, v[4:5], off
	global_load_ubyte v11, v[6:7], off
	s_andn2_b64 s[38:39], s[38:39], exec
	s_andn2_b64 s[34:35], s[34:35], exec
	s_or_b64 s[30:31], s[30:31], exec
	s_waitcnt vmcnt(0)
	v_cmp_le_u16_sdwa s[44:45], v10, v11 src0_sel:BYTE_0 src1_sel:BYTE_0
	v_cmp_lt_u16_sdwa s[42:43], v10, v11 src0_sel:BYTE_0 src1_sel:BYTE_0
	s_and_b64 s[44:45], s[44:45], s[40:41]
	s_or_b64 s[44:45], s[42:43], s[44:45]
	s_and_b64 s[42:43], s[44:45], exec
	v_cmp_eq_u16_sdwa s[46:47], v10, v11 src0_sel:BYTE_0 src1_sel:BYTE_0
	s_or_b64 s[38:39], s[38:39], s[42:43]
	s_and_saveexec_b64 s[42:43], s[46:47]
	s_cbranch_execz .LBB11_620
; %bb.622:                              ;   in Loop: Header=BB11_621 Depth=1
	s_add_u32 s36, s36, -1
	s_addc_u32 s37, s37, -1
	v_add_co_u32_e32 v4, vcc, 1, v4
	s_cmp_eq_u64 s[36:37], 0
	v_addc_co_u32_e32 v5, vcc, 0, v5, vcc
	s_cselect_b64 s[40:41], -1, 0
	v_add_co_u32_e32 v6, vcc, 1, v6
	s_andn2_b64 s[34:35], s[34:35], exec
	s_and_b64 s[44:45], s[44:45], exec
	s_andn2_b64 s[30:31], s[30:31], exec
	s_and_b64 s[40:41], s[40:41], exec
	v_addc_co_u32_e32 v7, vcc, 0, v7, vcc
	s_or_b64 s[34:35], s[34:35], s[44:45]
	s_andn2_b64 s[38:39], s[38:39], exec
	s_or_b64 s[30:31], s[30:31], s[40:41]
                                        ; implicit-def: $sgpr40_sgpr41
	s_branch .LBB11_620
.LBB11_623:
	s_or_b64 exec, exec, s[26:27]
	s_xor_b64 s[26:27], s[28:29], -1
	s_branch .LBB11_625
.LBB11_624:
	s_mov_b64 s[26:27], -1
.LBB11_625:
	s_and_b64 s[26:27], s[26:27], exec
.LBB11_626:
	s_or_b64 exec, exec, s[20:21]
	s_orn2_b64 s[20:21], s[26:27], exec
.LBB11_627:
	s_or_b64 exec, exec, s[24:25]
	v_cndmask_b32_e64 v4, v9, v8, s[20:21]
	v_cndmask_b32_e64 v5, v23, v22, s[20:21]
	v_add_u32_e32 v10, 1, v4
	v_add_u32_e32 v4, -1, v5
	v_min_u32_e32 v4, v10, v4
	v_lshl_add_u32 v4, v4, 3, v18
	ds_read_b64 v[4:5], v4
	v_cndmask_b32_e64 v9, v10, v9, s[20:21]
	v_cmp_lt_u32_e32 vcc, v9, v23
	s_waitcnt lgkmcnt(0)
	v_cndmask_b32_e64 v7, v32, v5, s[20:21]
	v_cndmask_b32_e64 v6, v33, v4, s[20:21]
	s_and_saveexec_b64 s[24:25], vcc
	s_cbranch_execz .LBB11_637
; %bb.628:
	v_cndmask_b32_e64 v8, v8, v10, s[20:21]
	v_cndmask_b32_e64 v5, v5, v30, s[20:21]
	;; [unrolled: 1-line block ×3, first 2 shown]
	v_cmp_lt_u32_e32 vcc, v8, v22
	s_and_saveexec_b64 s[26:27], vcc
	s_cbranch_execz .LBB11_636
; %bb.629:
	s_andn2_b64 vcc, exec, s[18:19]
	s_cbranch_vccnz .LBB11_635
; %bb.630:
	v_pk_mov_b32 v[10:11], s[14:15], s[14:15] op_sel:[0,1]
	v_mad_u64_u32 v[8:9], s[28:29], v4, s12, v[10:11]
	v_mul_lo_u32 v22, v4, s13
	v_mul_lo_u32 v23, v5, s12
	v_add3_u32 v9, v23, v9, v22
	v_mad_u64_u32 v[10:11], s[28:29], v6, s12, v[10:11]
	v_mul_lo_u32 v22, v6, s13
	v_mul_lo_u32 v23, v7, s12
	v_add3_u32 v11, v23, v11, v22
	s_mov_b64 s[28:29], 0
	s_mov_b64 s[38:39], s[12:13]
                                        ; implicit-def: $sgpr30_sgpr31
                                        ; implicit-def: $sgpr34_sgpr35
                                        ; implicit-def: $sgpr40_sgpr41
                                        ; implicit-def: $sgpr36_sgpr37
                                        ; implicit-def: $sgpr42_sgpr43
	s_branch .LBB11_632
.LBB11_631:                             ;   in Loop: Header=BB11_632 Depth=1
	s_or_b64 exec, exec, s[44:45]
	s_and_b64 s[44:45], exec, s[34:35]
	s_or_b64 s[28:29], s[44:45], s[28:29]
	s_andn2_b64 s[42:43], s[42:43], exec
	s_and_b64 s[44:45], s[36:37], exec
	s_or_b64 s[42:43], s[42:43], s[44:45]
	s_andn2_b64 s[30:31], s[30:31], exec
	s_and_b64 s[44:45], s[40:41], exec
	s_or_b64 s[30:31], s[30:31], s[44:45]
	s_andn2_b64 exec, exec, s[28:29]
	s_cbranch_execz .LBB11_634
.LBB11_632:                             ; =>This Inner Loop Header: Depth=1
	global_load_ubyte v22, v[8:9], off
	global_load_ubyte v23, v[10:11], off
	s_andn2_b64 s[40:41], s[40:41], exec
	s_andn2_b64 s[36:37], s[36:37], exec
	s_or_b64 s[34:35], s[34:35], exec
	s_waitcnt vmcnt(0)
	v_cmp_le_u16_sdwa s[46:47], v22, v23 src0_sel:BYTE_0 src1_sel:BYTE_0
	v_cmp_lt_u16_sdwa s[44:45], v22, v23 src0_sel:BYTE_0 src1_sel:BYTE_0
	s_and_b64 s[46:47], s[46:47], s[42:43]
	s_or_b64 s[46:47], s[44:45], s[46:47]
	s_and_b64 s[44:45], s[46:47], exec
	v_cmp_eq_u16_sdwa s[48:49], v22, v23 src0_sel:BYTE_0 src1_sel:BYTE_0
	s_or_b64 s[40:41], s[40:41], s[44:45]
	s_and_saveexec_b64 s[44:45], s[48:49]
	s_cbranch_execz .LBB11_631
; %bb.633:                              ;   in Loop: Header=BB11_632 Depth=1
	s_add_u32 s38, s38, -1
	s_addc_u32 s39, s39, -1
	v_add_co_u32_e32 v8, vcc, 1, v8
	s_cmp_eq_u64 s[38:39], 0
	v_addc_co_u32_e32 v9, vcc, 0, v9, vcc
	s_cselect_b64 s[42:43], -1, 0
	v_add_co_u32_e32 v10, vcc, 1, v10
	s_andn2_b64 s[36:37], s[36:37], exec
	s_and_b64 s[46:47], s[46:47], exec
	s_andn2_b64 s[34:35], s[34:35], exec
	s_and_b64 s[42:43], s[42:43], exec
	v_addc_co_u32_e32 v11, vcc, 0, v11, vcc
	s_or_b64 s[36:37], s[36:37], s[46:47]
	s_andn2_b64 s[40:41], s[40:41], exec
	s_or_b64 s[34:35], s[34:35], s[42:43]
                                        ; implicit-def: $sgpr42_sgpr43
	s_branch .LBB11_631
.LBB11_634:
	s_or_b64 exec, exec, s[28:29]
	v_cndmask_b32_e64 v7, v7, v5, s[30:31]
	v_cndmask_b32_e64 v6, v6, v4, s[30:31]
.LBB11_635:
	v_pk_mov_b32 v[4:5], v[6:7], v[6:7] op_sel:[0,1]
.LBB11_636:
	s_or_b64 exec, exec, s[26:27]
	v_pk_mov_b32 v[6:7], v[4:5], v[4:5] op_sel:[0,1]
.LBB11_637:
	s_or_b64 exec, exec, s[24:25]
	v_cndmask_b32_e64 v1, v3, v1, s[10:11]
	v_cndmask_b32_e64 v0, v2, v0, s[10:11]
	;; [unrolled: 1-line block ×6, first 2 shown]
.LBB11_638:
	s_or_b64 exec, exec, s[8:9]
	v_and_b32_e32 v28, 0x1f0, v20
	v_or_b32_e32 v8, 8, v28
	v_min_u32_e32 v22, v19, v8
	v_add_u32_e32 v8, 8, v22
	v_min_u32_e32 v23, v19, v8
	v_and_b32_e32 v8, 12, v20
	v_min_u32_e32 v29, v19, v8
	v_sub_u32_e32 v8, v22, v28
	v_sub_u32_e32 v9, v23, v22
	v_sub_u32_e64 v25, v29, v9 clamp
	v_min_u32_e32 v30, v29, v8
	v_lshl_add_u32 v24, v28, 3, v18
	v_cmp_lt_u32_e32 vcc, v25, v30
	; wave barrier
	ds_write_b128 v21, v[0:3]
	ds_write_b128 v21, v[4:7] offset:16
	; wave barrier
	s_and_saveexec_b64 s[8:9], vcc
	s_cbranch_execz .LBB11_648
; %bb.639:
	v_lshlrev_b32_e32 v8, 3, v22
	v_lshlrev_b32_e32 v9, 3, v29
	v_add3_u32 v31, v18, v8, v9
	v_cndmask_b32_e64 v8, 0, 1, s[18:19]
	s_mov_b64 s[10:11], 0
	v_cmp_ne_u32_e64 s[6:7], 1, v8
	s_branch .LBB11_642
.LBB11_640:                             ;   in Loop: Header=BB11_642 Depth=1
	s_or_b64 exec, exec, s[24:25]
.LBB11_641:                             ;   in Loop: Header=BB11_642 Depth=1
	v_add_u32_e32 v8, 1, v32
	v_cndmask_b32_e64 v30, v30, v32, s[20:21]
	v_cndmask_b32_e64 v25, v8, v25, s[20:21]
	v_cmp_ge_u32_e32 vcc, v25, v30
	s_or_b64 s[10:11], vcc, s[10:11]
	s_andn2_b64 exec, exec, s[10:11]
	s_cbranch_execz .LBB11_647
.LBB11_642:                             ; =>This Loop Header: Depth=1
                                        ;     Child Loop BB11_645 Depth 2
	v_add_u32_e32 v8, v30, v25
	v_lshrrev_b32_e32 v32, 1, v8
	s_and_b64 vcc, exec, s[6:7]
	s_mov_b64 s[20:21], 0
	s_cbranch_vccnz .LBB11_641
; %bb.643:                              ;   in Loop: Header=BB11_642 Depth=1
	v_not_b32_e32 v8, v32
	v_lshl_add_u32 v8, v8, 3, v31
	ds_read_b64 v[8:9], v8
	v_lshl_add_u32 v33, v32, 3, v24
	ds_read_b64 v[34:35], v33
	v_pk_mov_b32 v[10:11], s[14:15], s[14:15] op_sel:[0,1]
	s_mov_b64 s[24:25], 0
	s_waitcnt lgkmcnt(1)
	v_mul_lo_u32 v33, v8, s13
	v_mul_lo_u32 v36, v9, s12
	v_mad_u64_u32 v[8:9], s[20:21], v8, s12, v[10:11]
	v_add3_u32 v9, v36, v9, v33
	s_waitcnt lgkmcnt(0)
	v_mul_lo_u32 v33, v34, s13
	v_mul_lo_u32 v35, v35, s12
	v_mad_u64_u32 v[10:11], s[20:21], v34, s12, v[10:11]
	v_add3_u32 v11, v35, v11, v33
	s_mov_b64 s[30:31], s[12:13]
                                        ; implicit-def: $sgpr20_sgpr21
                                        ; implicit-def: $sgpr26_sgpr27
                                        ; implicit-def: $sgpr28_sgpr29
                                        ; implicit-def: $sgpr34_sgpr35
                                        ; implicit-def: $sgpr36_sgpr37
	s_branch .LBB11_645
.LBB11_644:                             ;   in Loop: Header=BB11_645 Depth=2
	s_or_b64 exec, exec, s[38:39]
	s_and_b64 s[38:39], exec, s[26:27]
	s_or_b64 s[24:25], s[38:39], s[24:25]
	s_andn2_b64 s[36:37], s[36:37], exec
	s_and_b64 s[38:39], s[28:29], exec
	s_or_b64 s[36:37], s[36:37], s[38:39]
	s_andn2_b64 s[20:21], s[20:21], exec
	s_and_b64 s[38:39], s[34:35], exec
	s_or_b64 s[20:21], s[20:21], s[38:39]
	s_andn2_b64 exec, exec, s[24:25]
	s_cbranch_execz .LBB11_640
.LBB11_645:                             ;   Parent Loop BB11_642 Depth=1
                                        ; =>  This Inner Loop Header: Depth=2
	global_load_ubyte v33, v[8:9], off
	global_load_ubyte v34, v[10:11], off
	s_andn2_b64 s[34:35], s[34:35], exec
	s_andn2_b64 s[28:29], s[28:29], exec
	s_or_b64 s[26:27], s[26:27], exec
	s_waitcnt vmcnt(0)
	v_cmp_le_u16_sdwa s[40:41], v33, v34 src0_sel:BYTE_0 src1_sel:BYTE_0
	v_cmp_lt_u16_sdwa s[38:39], v33, v34 src0_sel:BYTE_0 src1_sel:BYTE_0
	s_and_b64 s[40:41], s[40:41], s[36:37]
	s_or_b64 s[40:41], s[38:39], s[40:41]
	s_and_b64 s[38:39], s[40:41], exec
	v_cmp_eq_u16_sdwa s[42:43], v33, v34 src0_sel:BYTE_0 src1_sel:BYTE_0
	s_or_b64 s[34:35], s[34:35], s[38:39]
	s_and_saveexec_b64 s[38:39], s[42:43]
	s_cbranch_execz .LBB11_644
; %bb.646:                              ;   in Loop: Header=BB11_645 Depth=2
	s_add_u32 s30, s30, -1
	s_addc_u32 s31, s31, -1
	v_add_co_u32_e32 v8, vcc, 1, v8
	s_cmp_eq_u64 s[30:31], 0
	v_addc_co_u32_e32 v9, vcc, 0, v9, vcc
	s_cselect_b64 s[36:37], -1, 0
	v_add_co_u32_e32 v10, vcc, 1, v10
	s_andn2_b64 s[28:29], s[28:29], exec
	s_and_b64 s[40:41], s[40:41], exec
	s_andn2_b64 s[26:27], s[26:27], exec
	s_and_b64 s[36:37], s[36:37], exec
	v_addc_co_u32_e32 v11, vcc, 0, v11, vcc
	s_andn2_b64 s[34:35], s[34:35], exec
	s_or_b64 s[28:29], s[28:29], s[40:41]
	s_or_b64 s[26:27], s[26:27], s[36:37]
                                        ; implicit-def: $sgpr36_sgpr37
	s_branch .LBB11_644
.LBB11_647:
	s_or_b64 exec, exec, s[10:11]
.LBB11_648:
	s_or_b64 exec, exec, s[8:9]
	v_add_u32_e32 v9, v22, v29
	v_add_u32_e32 v8, v25, v28
	v_sub_u32_e32 v9, v9, v25
	v_cmp_le_u32_e32 vcc, v8, v22
	v_cmp_le_u32_e64 s[6:7], v9, v23
	s_or_b64 s[6:7], vcc, s[6:7]
	s_and_saveexec_b64 s[8:9], s[6:7]
	s_cbranch_execz .LBB11_695
; %bb.649:
	v_cmp_ge_u32_e32 vcc, v8, v22
	v_cmp_lt_u32_e64 s[6:7], v8, v22
                                        ; implicit-def: $vgpr0_vgpr1
	s_and_saveexec_b64 s[10:11], s[6:7]
	s_cbranch_execz .LBB11_651
; %bb.650:
	v_lshl_add_u32 v0, v25, 3, v24
	ds_read_b64 v[0:1], v0
.LBB11_651:
	s_or_b64 exec, exec, s[10:11]
	v_cmp_ge_u32_e64 s[10:11], v9, v23
	v_cmp_lt_u32_e64 s[6:7], v9, v23
                                        ; implicit-def: $vgpr2_vgpr3
	s_and_saveexec_b64 s[20:21], s[6:7]
	s_cbranch_execz .LBB11_653
; %bb.652:
	v_lshl_add_u32 v2, v9, 3, v18
	ds_read_b64 v[2:3], v2
.LBB11_653:
	s_or_b64 exec, exec, s[20:21]
	s_or_b64 s[20:21], vcc, s[10:11]
	s_mov_b64 s[6:7], -1
	s_xor_b64 s[24:25], s[20:21], -1
	s_and_saveexec_b64 s[20:21], s[24:25]
	s_cbranch_execz .LBB11_662
; %bb.654:
	s_andn2_b64 vcc, exec, s[18:19]
	s_cbranch_vccnz .LBB11_660
; %bb.655:
	v_pk_mov_b32 v[6:7], s[14:15], s[14:15] op_sel:[0,1]
	s_waitcnt lgkmcnt(0)
	v_mad_u64_u32 v[4:5], s[24:25], v2, s12, v[6:7]
	v_mul_lo_u32 v10, v2, s13
	v_mul_lo_u32 v11, v3, s12
	v_add3_u32 v5, v11, v5, v10
	v_mad_u64_u32 v[6:7], s[24:25], v0, s12, v[6:7]
	v_mul_lo_u32 v10, v0, s13
	v_mul_lo_u32 v11, v1, s12
	v_add3_u32 v7, v11, v7, v10
	s_mov_b64 s[24:25], 0
	s_mov_b64 s[34:35], s[12:13]
                                        ; implicit-def: $sgpr26_sgpr27
                                        ; implicit-def: $sgpr28_sgpr29
                                        ; implicit-def: $sgpr36_sgpr37
                                        ; implicit-def: $sgpr30_sgpr31
                                        ; implicit-def: $sgpr38_sgpr39
	s_branch .LBB11_657
.LBB11_656:                             ;   in Loop: Header=BB11_657 Depth=1
	s_or_b64 exec, exec, s[40:41]
	s_and_b64 s[40:41], exec, s[28:29]
	s_or_b64 s[24:25], s[40:41], s[24:25]
	s_andn2_b64 s[38:39], s[38:39], exec
	s_and_b64 s[40:41], s[30:31], exec
	s_or_b64 s[38:39], s[38:39], s[40:41]
	s_andn2_b64 s[26:27], s[26:27], exec
	s_and_b64 s[40:41], s[36:37], exec
	s_or_b64 s[26:27], s[26:27], s[40:41]
	s_andn2_b64 exec, exec, s[24:25]
	s_cbranch_execz .LBB11_659
.LBB11_657:                             ; =>This Inner Loop Header: Depth=1
	global_load_ubyte v10, v[4:5], off
	global_load_ubyte v11, v[6:7], off
	s_andn2_b64 s[36:37], s[36:37], exec
	s_andn2_b64 s[30:31], s[30:31], exec
	s_or_b64 s[28:29], s[28:29], exec
	s_waitcnt vmcnt(0)
	v_cmp_le_u16_sdwa s[42:43], v10, v11 src0_sel:BYTE_0 src1_sel:BYTE_0
	v_cmp_lt_u16_sdwa s[40:41], v10, v11 src0_sel:BYTE_0 src1_sel:BYTE_0
	s_and_b64 s[42:43], s[42:43], s[38:39]
	s_or_b64 s[42:43], s[40:41], s[42:43]
	s_and_b64 s[40:41], s[42:43], exec
	v_cmp_eq_u16_sdwa s[44:45], v10, v11 src0_sel:BYTE_0 src1_sel:BYTE_0
	s_or_b64 s[36:37], s[36:37], s[40:41]
	s_and_saveexec_b64 s[40:41], s[44:45]
	s_cbranch_execz .LBB11_656
; %bb.658:                              ;   in Loop: Header=BB11_657 Depth=1
	s_add_u32 s34, s34, -1
	s_addc_u32 s35, s35, -1
	v_add_co_u32_e32 v4, vcc, 1, v4
	s_cmp_eq_u64 s[34:35], 0
	v_addc_co_u32_e32 v5, vcc, 0, v5, vcc
	s_cselect_b64 s[38:39], -1, 0
	v_add_co_u32_e32 v6, vcc, 1, v6
	s_andn2_b64 s[30:31], s[30:31], exec
	s_and_b64 s[42:43], s[42:43], exec
	s_andn2_b64 s[28:29], s[28:29], exec
	s_and_b64 s[38:39], s[38:39], exec
	v_addc_co_u32_e32 v7, vcc, 0, v7, vcc
	s_or_b64 s[30:31], s[30:31], s[42:43]
	s_andn2_b64 s[36:37], s[36:37], exec
	s_or_b64 s[28:29], s[28:29], s[38:39]
                                        ; implicit-def: $sgpr38_sgpr39
	s_branch .LBB11_656
.LBB11_659:
	s_or_b64 exec, exec, s[24:25]
	s_xor_b64 s[24:25], s[26:27], -1
	s_branch .LBB11_661
.LBB11_660:
	s_mov_b64 s[24:25], -1
.LBB11_661:
	s_andn2_b64 s[10:11], s[10:11], exec
	s_and_b64 s[24:25], s[24:25], exec
	s_or_b64 s[10:11], s[10:11], s[24:25]
.LBB11_662:
	s_or_b64 exec, exec, s[20:21]
	v_cndmask_b32_e64 v4, v9, v8, s[10:11]
	v_cndmask_b32_e64 v5, v23, v22, s[10:11]
	v_add_u32_e32 v6, 1, v4
	v_add_u32_e32 v4, -1, v5
	v_min_u32_e32 v4, v6, v4
	v_lshl_add_u32 v4, v4, 3, v18
	ds_read_b64 v[4:5], v4
	v_cndmask_b32_e64 v9, v6, v9, s[10:11]
	v_cndmask_b32_e64 v8, v8, v6, s[10:11]
	v_cmp_lt_u32_e32 vcc, v9, v23
	s_waitcnt lgkmcnt(0)
	v_cndmask_b32_e64 v24, v5, v3, s[10:11]
	v_cndmask_b32_e64 v25, v4, v2, s[10:11]
	;; [unrolled: 1-line block ×4, first 2 shown]
	s_and_saveexec_b64 s[20:21], vcc
	s_cbranch_execz .LBB11_673
; %bb.663:
	v_cmp_lt_u32_e32 vcc, v8, v22
	s_mov_b64 s[24:25], 0
	s_and_saveexec_b64 s[6:7], vcc
	s_cbranch_execz .LBB11_672
; %bb.664:
	s_andn2_b64 vcc, exec, s[18:19]
	s_cbranch_vccnz .LBB11_670
; %bb.665:
	v_pk_mov_b32 v[6:7], s[14:15], s[14:15] op_sel:[0,1]
	v_mad_u64_u32 v[4:5], s[24:25], v25, s12, v[6:7]
	v_mul_lo_u32 v10, v25, s13
	v_mul_lo_u32 v11, v24, s12
	v_add3_u32 v5, v11, v5, v10
	v_mad_u64_u32 v[6:7], s[24:25], v29, s12, v[6:7]
	v_mul_lo_u32 v10, v29, s13
	v_mul_lo_u32 v11, v28, s12
	v_add3_u32 v7, v11, v7, v10
	s_mov_b64 s[24:25], 0
	s_mov_b64 s[34:35], s[12:13]
                                        ; implicit-def: $sgpr26_sgpr27
                                        ; implicit-def: $sgpr28_sgpr29
                                        ; implicit-def: $sgpr36_sgpr37
                                        ; implicit-def: $sgpr30_sgpr31
                                        ; implicit-def: $sgpr38_sgpr39
	s_branch .LBB11_667
.LBB11_666:                             ;   in Loop: Header=BB11_667 Depth=1
	s_or_b64 exec, exec, s[40:41]
	s_and_b64 s[40:41], exec, s[28:29]
	s_or_b64 s[24:25], s[40:41], s[24:25]
	s_andn2_b64 s[38:39], s[38:39], exec
	s_and_b64 s[40:41], s[30:31], exec
	s_or_b64 s[38:39], s[38:39], s[40:41]
	s_andn2_b64 s[26:27], s[26:27], exec
	s_and_b64 s[40:41], s[36:37], exec
	s_or_b64 s[26:27], s[26:27], s[40:41]
	s_andn2_b64 exec, exec, s[24:25]
	s_cbranch_execz .LBB11_669
.LBB11_667:                             ; =>This Inner Loop Header: Depth=1
	global_load_ubyte v10, v[4:5], off
	global_load_ubyte v11, v[6:7], off
	s_andn2_b64 s[36:37], s[36:37], exec
	s_andn2_b64 s[30:31], s[30:31], exec
	s_or_b64 s[28:29], s[28:29], exec
	s_waitcnt vmcnt(0)
	v_cmp_le_u16_sdwa s[42:43], v10, v11 src0_sel:BYTE_0 src1_sel:BYTE_0
	v_cmp_lt_u16_sdwa s[40:41], v10, v11 src0_sel:BYTE_0 src1_sel:BYTE_0
	s_and_b64 s[42:43], s[42:43], s[38:39]
	s_or_b64 s[42:43], s[40:41], s[42:43]
	s_and_b64 s[40:41], s[42:43], exec
	v_cmp_eq_u16_sdwa s[44:45], v10, v11 src0_sel:BYTE_0 src1_sel:BYTE_0
	s_or_b64 s[36:37], s[36:37], s[40:41]
	s_and_saveexec_b64 s[40:41], s[44:45]
	s_cbranch_execz .LBB11_666
; %bb.668:                              ;   in Loop: Header=BB11_667 Depth=1
	s_add_u32 s34, s34, -1
	s_addc_u32 s35, s35, -1
	v_add_co_u32_e32 v4, vcc, 1, v4
	s_cmp_eq_u64 s[34:35], 0
	v_addc_co_u32_e32 v5, vcc, 0, v5, vcc
	s_cselect_b64 s[38:39], -1, 0
	v_add_co_u32_e32 v6, vcc, 1, v6
	s_andn2_b64 s[30:31], s[30:31], exec
	s_and_b64 s[42:43], s[42:43], exec
	s_andn2_b64 s[28:29], s[28:29], exec
	s_and_b64 s[38:39], s[38:39], exec
	v_addc_co_u32_e32 v7, vcc, 0, v7, vcc
	s_or_b64 s[30:31], s[30:31], s[42:43]
	s_andn2_b64 s[36:37], s[36:37], exec
	s_or_b64 s[28:29], s[28:29], s[38:39]
                                        ; implicit-def: $sgpr38_sgpr39
	s_branch .LBB11_666
.LBB11_669:
	s_or_b64 exec, exec, s[24:25]
	s_xor_b64 s[24:25], s[26:27], -1
	s_branch .LBB11_671
.LBB11_670:
	s_mov_b64 s[24:25], -1
.LBB11_671:
	s_and_b64 s[24:25], s[24:25], exec
.LBB11_672:
	s_or_b64 exec, exec, s[6:7]
	s_orn2_b64 s[6:7], s[24:25], exec
.LBB11_673:
	s_or_b64 exec, exec, s[20:21]
	v_cndmask_b32_e64 v4, v9, v8, s[6:7]
	v_cndmask_b32_e64 v5, v23, v22, s[6:7]
	v_add_u32_e32 v6, 1, v4
	v_add_u32_e32 v4, -1, v5
	v_min_u32_e32 v4, v6, v4
	v_lshl_add_u32 v4, v4, 3, v18
	ds_read_b64 v[4:5], v4
	v_cndmask_b32_e64 v9, v6, v9, s[6:7]
	v_cndmask_b32_e64 v8, v8, v6, s[6:7]
	v_cmp_lt_u32_e32 vcc, v9, v23
	s_mov_b64 s[20:21], -1
	s_waitcnt lgkmcnt(0)
	v_cndmask_b32_e64 v30, v5, v24, s[6:7]
	v_cndmask_b32_e64 v31, v4, v25, s[6:7]
	;; [unrolled: 1-line block ×4, first 2 shown]
	s_and_saveexec_b64 s[24:25], vcc
	s_cbranch_execz .LBB11_684
; %bb.674:
	v_cmp_lt_u32_e32 vcc, v8, v22
	s_mov_b64 s[26:27], 0
	s_and_saveexec_b64 s[20:21], vcc
	s_cbranch_execz .LBB11_683
; %bb.675:
	s_andn2_b64 vcc, exec, s[18:19]
	s_cbranch_vccnz .LBB11_681
; %bb.676:
	v_pk_mov_b32 v[6:7], s[14:15], s[14:15] op_sel:[0,1]
	v_mad_u64_u32 v[4:5], s[26:27], v31, s12, v[6:7]
	v_mul_lo_u32 v10, v31, s13
	v_mul_lo_u32 v11, v30, s12
	v_add3_u32 v5, v11, v5, v10
	v_mad_u64_u32 v[6:7], s[26:27], v33, s12, v[6:7]
	v_mul_lo_u32 v10, v33, s13
	v_mul_lo_u32 v11, v32, s12
	v_add3_u32 v7, v11, v7, v10
	s_mov_b64 s[26:27], 0
	s_mov_b64 s[36:37], s[12:13]
                                        ; implicit-def: $sgpr28_sgpr29
                                        ; implicit-def: $sgpr30_sgpr31
                                        ; implicit-def: $sgpr38_sgpr39
                                        ; implicit-def: $sgpr34_sgpr35
                                        ; implicit-def: $sgpr40_sgpr41
	s_branch .LBB11_678
.LBB11_677:                             ;   in Loop: Header=BB11_678 Depth=1
	s_or_b64 exec, exec, s[42:43]
	s_and_b64 s[42:43], exec, s[30:31]
	s_or_b64 s[26:27], s[42:43], s[26:27]
	s_andn2_b64 s[40:41], s[40:41], exec
	s_and_b64 s[42:43], s[34:35], exec
	s_or_b64 s[40:41], s[40:41], s[42:43]
	s_andn2_b64 s[28:29], s[28:29], exec
	s_and_b64 s[42:43], s[38:39], exec
	s_or_b64 s[28:29], s[28:29], s[42:43]
	s_andn2_b64 exec, exec, s[26:27]
	s_cbranch_execz .LBB11_680
.LBB11_678:                             ; =>This Inner Loop Header: Depth=1
	global_load_ubyte v10, v[4:5], off
	global_load_ubyte v11, v[6:7], off
	s_andn2_b64 s[38:39], s[38:39], exec
	s_andn2_b64 s[34:35], s[34:35], exec
	s_or_b64 s[30:31], s[30:31], exec
	s_waitcnt vmcnt(0)
	v_cmp_le_u16_sdwa s[44:45], v10, v11 src0_sel:BYTE_0 src1_sel:BYTE_0
	v_cmp_lt_u16_sdwa s[42:43], v10, v11 src0_sel:BYTE_0 src1_sel:BYTE_0
	s_and_b64 s[44:45], s[44:45], s[40:41]
	s_or_b64 s[44:45], s[42:43], s[44:45]
	s_and_b64 s[42:43], s[44:45], exec
	v_cmp_eq_u16_sdwa s[46:47], v10, v11 src0_sel:BYTE_0 src1_sel:BYTE_0
	s_or_b64 s[38:39], s[38:39], s[42:43]
	s_and_saveexec_b64 s[42:43], s[46:47]
	s_cbranch_execz .LBB11_677
; %bb.679:                              ;   in Loop: Header=BB11_678 Depth=1
	s_add_u32 s36, s36, -1
	s_addc_u32 s37, s37, -1
	v_add_co_u32_e32 v4, vcc, 1, v4
	s_cmp_eq_u64 s[36:37], 0
	v_addc_co_u32_e32 v5, vcc, 0, v5, vcc
	s_cselect_b64 s[40:41], -1, 0
	v_add_co_u32_e32 v6, vcc, 1, v6
	s_andn2_b64 s[34:35], s[34:35], exec
	s_and_b64 s[44:45], s[44:45], exec
	s_andn2_b64 s[30:31], s[30:31], exec
	s_and_b64 s[40:41], s[40:41], exec
	v_addc_co_u32_e32 v7, vcc, 0, v7, vcc
	s_or_b64 s[34:35], s[34:35], s[44:45]
	s_andn2_b64 s[38:39], s[38:39], exec
	s_or_b64 s[30:31], s[30:31], s[40:41]
                                        ; implicit-def: $sgpr40_sgpr41
	s_branch .LBB11_677
.LBB11_680:
	s_or_b64 exec, exec, s[26:27]
	s_xor_b64 s[26:27], s[28:29], -1
	s_branch .LBB11_682
.LBB11_681:
	s_mov_b64 s[26:27], -1
.LBB11_682:
	s_and_b64 s[26:27], s[26:27], exec
.LBB11_683:
	s_or_b64 exec, exec, s[20:21]
	s_orn2_b64 s[20:21], s[26:27], exec
.LBB11_684:
	s_or_b64 exec, exec, s[24:25]
	v_cndmask_b32_e64 v4, v9, v8, s[20:21]
	v_cndmask_b32_e64 v5, v23, v22, s[20:21]
	v_add_u32_e32 v10, 1, v4
	v_add_u32_e32 v4, -1, v5
	v_min_u32_e32 v4, v10, v4
	v_lshl_add_u32 v4, v4, 3, v18
	ds_read_b64 v[4:5], v4
	v_cndmask_b32_e64 v9, v10, v9, s[20:21]
	v_cmp_lt_u32_e32 vcc, v9, v23
	s_waitcnt lgkmcnt(0)
	v_cndmask_b32_e64 v7, v32, v5, s[20:21]
	v_cndmask_b32_e64 v6, v33, v4, s[20:21]
	s_and_saveexec_b64 s[24:25], vcc
	s_cbranch_execz .LBB11_694
; %bb.685:
	v_cndmask_b32_e64 v8, v8, v10, s[20:21]
	v_cndmask_b32_e64 v5, v5, v30, s[20:21]
	;; [unrolled: 1-line block ×3, first 2 shown]
	v_cmp_lt_u32_e32 vcc, v8, v22
	s_and_saveexec_b64 s[26:27], vcc
	s_cbranch_execz .LBB11_693
; %bb.686:
	s_andn2_b64 vcc, exec, s[18:19]
	s_cbranch_vccnz .LBB11_692
; %bb.687:
	v_pk_mov_b32 v[10:11], s[14:15], s[14:15] op_sel:[0,1]
	v_mad_u64_u32 v[8:9], s[28:29], v4, s12, v[10:11]
	v_mul_lo_u32 v22, v4, s13
	v_mul_lo_u32 v23, v5, s12
	v_add3_u32 v9, v23, v9, v22
	v_mad_u64_u32 v[10:11], s[28:29], v6, s12, v[10:11]
	v_mul_lo_u32 v22, v6, s13
	v_mul_lo_u32 v23, v7, s12
	v_add3_u32 v11, v23, v11, v22
	s_mov_b64 s[28:29], 0
	s_mov_b64 s[38:39], s[12:13]
                                        ; implicit-def: $sgpr30_sgpr31
                                        ; implicit-def: $sgpr34_sgpr35
                                        ; implicit-def: $sgpr40_sgpr41
                                        ; implicit-def: $sgpr36_sgpr37
                                        ; implicit-def: $sgpr42_sgpr43
	s_branch .LBB11_689
.LBB11_688:                             ;   in Loop: Header=BB11_689 Depth=1
	s_or_b64 exec, exec, s[44:45]
	s_and_b64 s[44:45], exec, s[34:35]
	s_or_b64 s[28:29], s[44:45], s[28:29]
	s_andn2_b64 s[42:43], s[42:43], exec
	s_and_b64 s[44:45], s[36:37], exec
	s_or_b64 s[42:43], s[42:43], s[44:45]
	s_andn2_b64 s[30:31], s[30:31], exec
	s_and_b64 s[44:45], s[40:41], exec
	s_or_b64 s[30:31], s[30:31], s[44:45]
	s_andn2_b64 exec, exec, s[28:29]
	s_cbranch_execz .LBB11_691
.LBB11_689:                             ; =>This Inner Loop Header: Depth=1
	global_load_ubyte v22, v[8:9], off
	global_load_ubyte v23, v[10:11], off
	s_andn2_b64 s[40:41], s[40:41], exec
	s_andn2_b64 s[36:37], s[36:37], exec
	s_or_b64 s[34:35], s[34:35], exec
	s_waitcnt vmcnt(0)
	v_cmp_le_u16_sdwa s[46:47], v22, v23 src0_sel:BYTE_0 src1_sel:BYTE_0
	v_cmp_lt_u16_sdwa s[44:45], v22, v23 src0_sel:BYTE_0 src1_sel:BYTE_0
	s_and_b64 s[46:47], s[46:47], s[42:43]
	s_or_b64 s[46:47], s[44:45], s[46:47]
	s_and_b64 s[44:45], s[46:47], exec
	v_cmp_eq_u16_sdwa s[48:49], v22, v23 src0_sel:BYTE_0 src1_sel:BYTE_0
	s_or_b64 s[40:41], s[40:41], s[44:45]
	s_and_saveexec_b64 s[44:45], s[48:49]
	s_cbranch_execz .LBB11_688
; %bb.690:                              ;   in Loop: Header=BB11_689 Depth=1
	s_add_u32 s38, s38, -1
	s_addc_u32 s39, s39, -1
	v_add_co_u32_e32 v8, vcc, 1, v8
	s_cmp_eq_u64 s[38:39], 0
	v_addc_co_u32_e32 v9, vcc, 0, v9, vcc
	s_cselect_b64 s[42:43], -1, 0
	v_add_co_u32_e32 v10, vcc, 1, v10
	s_andn2_b64 s[36:37], s[36:37], exec
	s_and_b64 s[46:47], s[46:47], exec
	s_andn2_b64 s[34:35], s[34:35], exec
	s_and_b64 s[42:43], s[42:43], exec
	v_addc_co_u32_e32 v11, vcc, 0, v11, vcc
	s_or_b64 s[36:37], s[36:37], s[46:47]
	s_andn2_b64 s[40:41], s[40:41], exec
	s_or_b64 s[34:35], s[34:35], s[42:43]
                                        ; implicit-def: $sgpr42_sgpr43
	s_branch .LBB11_688
.LBB11_691:
	s_or_b64 exec, exec, s[28:29]
	v_cndmask_b32_e64 v7, v7, v5, s[30:31]
	v_cndmask_b32_e64 v6, v6, v4, s[30:31]
.LBB11_692:
	v_pk_mov_b32 v[4:5], v[6:7], v[6:7] op_sel:[0,1]
.LBB11_693:
	s_or_b64 exec, exec, s[26:27]
	v_pk_mov_b32 v[6:7], v[4:5], v[4:5] op_sel:[0,1]
.LBB11_694:
	s_or_b64 exec, exec, s[24:25]
	v_cndmask_b32_e64 v1, v3, v1, s[10:11]
	v_cndmask_b32_e64 v0, v2, v0, s[10:11]
	;; [unrolled: 1-line block ×6, first 2 shown]
.LBB11_695:
	s_or_b64 exec, exec, s[8:9]
	v_and_b32_e32 v28, 0x1e0, v20
	v_or_b32_e32 v8, 16, v28
	v_min_u32_e32 v22, v19, v8
	v_add_u32_e32 v8, 16, v22
	v_min_u32_e32 v23, v19, v8
	v_and_b32_e32 v8, 28, v20
	v_min_u32_e32 v29, v19, v8
	v_sub_u32_e32 v8, v22, v28
	v_sub_u32_e32 v9, v23, v22
	v_sub_u32_e64 v25, v29, v9 clamp
	v_min_u32_e32 v30, v29, v8
	v_lshl_add_u32 v24, v28, 3, v18
	v_cmp_lt_u32_e32 vcc, v25, v30
	; wave barrier
	ds_write_b128 v21, v[0:3]
	ds_write_b128 v21, v[4:7] offset:16
	; wave barrier
	s_and_saveexec_b64 s[8:9], vcc
	s_cbranch_execz .LBB11_705
; %bb.696:
	v_lshlrev_b32_e32 v8, 3, v22
	v_lshlrev_b32_e32 v9, 3, v29
	v_add3_u32 v31, v18, v8, v9
	v_cndmask_b32_e64 v8, 0, 1, s[18:19]
	s_mov_b64 s[10:11], 0
	v_cmp_ne_u32_e64 s[6:7], 1, v8
	s_branch .LBB11_699
.LBB11_697:                             ;   in Loop: Header=BB11_699 Depth=1
	s_or_b64 exec, exec, s[24:25]
.LBB11_698:                             ;   in Loop: Header=BB11_699 Depth=1
	v_add_u32_e32 v8, 1, v32
	v_cndmask_b32_e64 v30, v30, v32, s[20:21]
	v_cndmask_b32_e64 v25, v8, v25, s[20:21]
	v_cmp_ge_u32_e32 vcc, v25, v30
	s_or_b64 s[10:11], vcc, s[10:11]
	s_andn2_b64 exec, exec, s[10:11]
	s_cbranch_execz .LBB11_704
.LBB11_699:                             ; =>This Loop Header: Depth=1
                                        ;     Child Loop BB11_702 Depth 2
	v_add_u32_e32 v8, v30, v25
	v_lshrrev_b32_e32 v32, 1, v8
	s_and_b64 vcc, exec, s[6:7]
	s_mov_b64 s[20:21], 0
	s_cbranch_vccnz .LBB11_698
; %bb.700:                              ;   in Loop: Header=BB11_699 Depth=1
	v_not_b32_e32 v8, v32
	v_lshl_add_u32 v8, v8, 3, v31
	ds_read_b64 v[8:9], v8
	v_lshl_add_u32 v33, v32, 3, v24
	ds_read_b64 v[34:35], v33
	v_pk_mov_b32 v[10:11], s[14:15], s[14:15] op_sel:[0,1]
	s_mov_b64 s[24:25], 0
	s_waitcnt lgkmcnt(1)
	v_mul_lo_u32 v33, v8, s13
	v_mul_lo_u32 v36, v9, s12
	v_mad_u64_u32 v[8:9], s[20:21], v8, s12, v[10:11]
	v_add3_u32 v9, v36, v9, v33
	s_waitcnt lgkmcnt(0)
	v_mul_lo_u32 v33, v34, s13
	v_mul_lo_u32 v35, v35, s12
	v_mad_u64_u32 v[10:11], s[20:21], v34, s12, v[10:11]
	v_add3_u32 v11, v35, v11, v33
	s_mov_b64 s[30:31], s[12:13]
                                        ; implicit-def: $sgpr20_sgpr21
                                        ; implicit-def: $sgpr26_sgpr27
                                        ; implicit-def: $sgpr28_sgpr29
                                        ; implicit-def: $sgpr34_sgpr35
                                        ; implicit-def: $sgpr36_sgpr37
	s_branch .LBB11_702
.LBB11_701:                             ;   in Loop: Header=BB11_702 Depth=2
	s_or_b64 exec, exec, s[38:39]
	s_and_b64 s[38:39], exec, s[26:27]
	s_or_b64 s[24:25], s[38:39], s[24:25]
	s_andn2_b64 s[36:37], s[36:37], exec
	s_and_b64 s[38:39], s[28:29], exec
	s_or_b64 s[36:37], s[36:37], s[38:39]
	s_andn2_b64 s[20:21], s[20:21], exec
	s_and_b64 s[38:39], s[34:35], exec
	s_or_b64 s[20:21], s[20:21], s[38:39]
	s_andn2_b64 exec, exec, s[24:25]
	s_cbranch_execz .LBB11_697
.LBB11_702:                             ;   Parent Loop BB11_699 Depth=1
                                        ; =>  This Inner Loop Header: Depth=2
	global_load_ubyte v33, v[8:9], off
	global_load_ubyte v34, v[10:11], off
	s_andn2_b64 s[34:35], s[34:35], exec
	s_andn2_b64 s[28:29], s[28:29], exec
	s_or_b64 s[26:27], s[26:27], exec
	s_waitcnt vmcnt(0)
	v_cmp_le_u16_sdwa s[40:41], v33, v34 src0_sel:BYTE_0 src1_sel:BYTE_0
	v_cmp_lt_u16_sdwa s[38:39], v33, v34 src0_sel:BYTE_0 src1_sel:BYTE_0
	s_and_b64 s[40:41], s[40:41], s[36:37]
	s_or_b64 s[40:41], s[38:39], s[40:41]
	s_and_b64 s[38:39], s[40:41], exec
	v_cmp_eq_u16_sdwa s[42:43], v33, v34 src0_sel:BYTE_0 src1_sel:BYTE_0
	s_or_b64 s[34:35], s[34:35], s[38:39]
	s_and_saveexec_b64 s[38:39], s[42:43]
	s_cbranch_execz .LBB11_701
; %bb.703:                              ;   in Loop: Header=BB11_702 Depth=2
	s_add_u32 s30, s30, -1
	s_addc_u32 s31, s31, -1
	v_add_co_u32_e32 v8, vcc, 1, v8
	s_cmp_eq_u64 s[30:31], 0
	v_addc_co_u32_e32 v9, vcc, 0, v9, vcc
	s_cselect_b64 s[36:37], -1, 0
	v_add_co_u32_e32 v10, vcc, 1, v10
	s_andn2_b64 s[28:29], s[28:29], exec
	s_and_b64 s[40:41], s[40:41], exec
	s_andn2_b64 s[26:27], s[26:27], exec
	s_and_b64 s[36:37], s[36:37], exec
	v_addc_co_u32_e32 v11, vcc, 0, v11, vcc
	s_andn2_b64 s[34:35], s[34:35], exec
	s_or_b64 s[28:29], s[28:29], s[40:41]
	s_or_b64 s[26:27], s[26:27], s[36:37]
                                        ; implicit-def: $sgpr36_sgpr37
	s_branch .LBB11_701
.LBB11_704:
	s_or_b64 exec, exec, s[10:11]
.LBB11_705:
	s_or_b64 exec, exec, s[8:9]
	v_add_u32_e32 v9, v22, v29
	v_add_u32_e32 v8, v25, v28
	v_sub_u32_e32 v9, v9, v25
	v_cmp_le_u32_e32 vcc, v8, v22
	v_cmp_le_u32_e64 s[6:7], v9, v23
	s_or_b64 s[6:7], vcc, s[6:7]
	s_and_saveexec_b64 s[8:9], s[6:7]
	s_cbranch_execz .LBB11_752
; %bb.706:
	v_cmp_ge_u32_e32 vcc, v8, v22
	v_cmp_lt_u32_e64 s[6:7], v8, v22
                                        ; implicit-def: $vgpr0_vgpr1
	s_and_saveexec_b64 s[10:11], s[6:7]
	s_cbranch_execz .LBB11_708
; %bb.707:
	v_lshl_add_u32 v0, v25, 3, v24
	ds_read_b64 v[0:1], v0
.LBB11_708:
	s_or_b64 exec, exec, s[10:11]
	v_cmp_ge_u32_e64 s[10:11], v9, v23
	v_cmp_lt_u32_e64 s[6:7], v9, v23
                                        ; implicit-def: $vgpr2_vgpr3
	s_and_saveexec_b64 s[20:21], s[6:7]
	s_cbranch_execz .LBB11_710
; %bb.709:
	v_lshl_add_u32 v2, v9, 3, v18
	ds_read_b64 v[2:3], v2
.LBB11_710:
	s_or_b64 exec, exec, s[20:21]
	s_or_b64 s[20:21], vcc, s[10:11]
	s_mov_b64 s[6:7], -1
	s_xor_b64 s[24:25], s[20:21], -1
	s_and_saveexec_b64 s[20:21], s[24:25]
	s_cbranch_execz .LBB11_719
; %bb.711:
	s_andn2_b64 vcc, exec, s[18:19]
	s_cbranch_vccnz .LBB11_717
; %bb.712:
	v_pk_mov_b32 v[6:7], s[14:15], s[14:15] op_sel:[0,1]
	s_waitcnt lgkmcnt(0)
	v_mad_u64_u32 v[4:5], s[24:25], v2, s12, v[6:7]
	v_mul_lo_u32 v10, v2, s13
	v_mul_lo_u32 v11, v3, s12
	v_add3_u32 v5, v11, v5, v10
	v_mad_u64_u32 v[6:7], s[24:25], v0, s12, v[6:7]
	v_mul_lo_u32 v10, v0, s13
	v_mul_lo_u32 v11, v1, s12
	v_add3_u32 v7, v11, v7, v10
	s_mov_b64 s[24:25], 0
	s_mov_b64 s[34:35], s[12:13]
                                        ; implicit-def: $sgpr26_sgpr27
                                        ; implicit-def: $sgpr28_sgpr29
                                        ; implicit-def: $sgpr36_sgpr37
                                        ; implicit-def: $sgpr30_sgpr31
                                        ; implicit-def: $sgpr38_sgpr39
	s_branch .LBB11_714
.LBB11_713:                             ;   in Loop: Header=BB11_714 Depth=1
	s_or_b64 exec, exec, s[40:41]
	s_and_b64 s[40:41], exec, s[28:29]
	s_or_b64 s[24:25], s[40:41], s[24:25]
	s_andn2_b64 s[38:39], s[38:39], exec
	s_and_b64 s[40:41], s[30:31], exec
	s_or_b64 s[38:39], s[38:39], s[40:41]
	s_andn2_b64 s[26:27], s[26:27], exec
	s_and_b64 s[40:41], s[36:37], exec
	s_or_b64 s[26:27], s[26:27], s[40:41]
	s_andn2_b64 exec, exec, s[24:25]
	s_cbranch_execz .LBB11_716
.LBB11_714:                             ; =>This Inner Loop Header: Depth=1
	global_load_ubyte v10, v[4:5], off
	global_load_ubyte v11, v[6:7], off
	s_andn2_b64 s[36:37], s[36:37], exec
	s_andn2_b64 s[30:31], s[30:31], exec
	s_or_b64 s[28:29], s[28:29], exec
	s_waitcnt vmcnt(0)
	v_cmp_le_u16_sdwa s[42:43], v10, v11 src0_sel:BYTE_0 src1_sel:BYTE_0
	v_cmp_lt_u16_sdwa s[40:41], v10, v11 src0_sel:BYTE_0 src1_sel:BYTE_0
	s_and_b64 s[42:43], s[42:43], s[38:39]
	s_or_b64 s[42:43], s[40:41], s[42:43]
	s_and_b64 s[40:41], s[42:43], exec
	v_cmp_eq_u16_sdwa s[44:45], v10, v11 src0_sel:BYTE_0 src1_sel:BYTE_0
	s_or_b64 s[36:37], s[36:37], s[40:41]
	s_and_saveexec_b64 s[40:41], s[44:45]
	s_cbranch_execz .LBB11_713
; %bb.715:                              ;   in Loop: Header=BB11_714 Depth=1
	s_add_u32 s34, s34, -1
	s_addc_u32 s35, s35, -1
	v_add_co_u32_e32 v4, vcc, 1, v4
	s_cmp_eq_u64 s[34:35], 0
	v_addc_co_u32_e32 v5, vcc, 0, v5, vcc
	s_cselect_b64 s[38:39], -1, 0
	v_add_co_u32_e32 v6, vcc, 1, v6
	s_andn2_b64 s[30:31], s[30:31], exec
	s_and_b64 s[42:43], s[42:43], exec
	s_andn2_b64 s[28:29], s[28:29], exec
	s_and_b64 s[38:39], s[38:39], exec
	v_addc_co_u32_e32 v7, vcc, 0, v7, vcc
	s_or_b64 s[30:31], s[30:31], s[42:43]
	s_andn2_b64 s[36:37], s[36:37], exec
	s_or_b64 s[28:29], s[28:29], s[38:39]
                                        ; implicit-def: $sgpr38_sgpr39
	s_branch .LBB11_713
.LBB11_716:
	s_or_b64 exec, exec, s[24:25]
	s_xor_b64 s[24:25], s[26:27], -1
	s_branch .LBB11_718
.LBB11_717:
	s_mov_b64 s[24:25], -1
.LBB11_718:
	s_andn2_b64 s[10:11], s[10:11], exec
	s_and_b64 s[24:25], s[24:25], exec
	s_or_b64 s[10:11], s[10:11], s[24:25]
.LBB11_719:
	s_or_b64 exec, exec, s[20:21]
	v_cndmask_b32_e64 v4, v9, v8, s[10:11]
	v_cndmask_b32_e64 v5, v23, v22, s[10:11]
	v_add_u32_e32 v6, 1, v4
	v_add_u32_e32 v4, -1, v5
	v_min_u32_e32 v4, v6, v4
	v_lshl_add_u32 v4, v4, 3, v18
	ds_read_b64 v[4:5], v4
	v_cndmask_b32_e64 v9, v6, v9, s[10:11]
	v_cndmask_b32_e64 v8, v8, v6, s[10:11]
	v_cmp_lt_u32_e32 vcc, v9, v23
	s_waitcnt lgkmcnt(0)
	v_cndmask_b32_e64 v24, v5, v3, s[10:11]
	v_cndmask_b32_e64 v25, v4, v2, s[10:11]
	v_cndmask_b32_e64 v28, v1, v5, s[10:11]
	v_cndmask_b32_e64 v29, v0, v4, s[10:11]
	s_and_saveexec_b64 s[20:21], vcc
	s_cbranch_execz .LBB11_730
; %bb.720:
	v_cmp_lt_u32_e32 vcc, v8, v22
	s_mov_b64 s[24:25], 0
	s_and_saveexec_b64 s[6:7], vcc
	s_cbranch_execz .LBB11_729
; %bb.721:
	s_andn2_b64 vcc, exec, s[18:19]
	s_cbranch_vccnz .LBB11_727
; %bb.722:
	v_pk_mov_b32 v[6:7], s[14:15], s[14:15] op_sel:[0,1]
	v_mad_u64_u32 v[4:5], s[24:25], v25, s12, v[6:7]
	v_mul_lo_u32 v10, v25, s13
	v_mul_lo_u32 v11, v24, s12
	v_add3_u32 v5, v11, v5, v10
	v_mad_u64_u32 v[6:7], s[24:25], v29, s12, v[6:7]
	v_mul_lo_u32 v10, v29, s13
	v_mul_lo_u32 v11, v28, s12
	v_add3_u32 v7, v11, v7, v10
	s_mov_b64 s[24:25], 0
	s_mov_b64 s[34:35], s[12:13]
                                        ; implicit-def: $sgpr26_sgpr27
                                        ; implicit-def: $sgpr28_sgpr29
                                        ; implicit-def: $sgpr36_sgpr37
                                        ; implicit-def: $sgpr30_sgpr31
                                        ; implicit-def: $sgpr38_sgpr39
	s_branch .LBB11_724
.LBB11_723:                             ;   in Loop: Header=BB11_724 Depth=1
	s_or_b64 exec, exec, s[40:41]
	s_and_b64 s[40:41], exec, s[28:29]
	s_or_b64 s[24:25], s[40:41], s[24:25]
	s_andn2_b64 s[38:39], s[38:39], exec
	s_and_b64 s[40:41], s[30:31], exec
	s_or_b64 s[38:39], s[38:39], s[40:41]
	s_andn2_b64 s[26:27], s[26:27], exec
	s_and_b64 s[40:41], s[36:37], exec
	s_or_b64 s[26:27], s[26:27], s[40:41]
	s_andn2_b64 exec, exec, s[24:25]
	s_cbranch_execz .LBB11_726
.LBB11_724:                             ; =>This Inner Loop Header: Depth=1
	global_load_ubyte v10, v[4:5], off
	global_load_ubyte v11, v[6:7], off
	s_andn2_b64 s[36:37], s[36:37], exec
	s_andn2_b64 s[30:31], s[30:31], exec
	s_or_b64 s[28:29], s[28:29], exec
	s_waitcnt vmcnt(0)
	v_cmp_le_u16_sdwa s[42:43], v10, v11 src0_sel:BYTE_0 src1_sel:BYTE_0
	v_cmp_lt_u16_sdwa s[40:41], v10, v11 src0_sel:BYTE_0 src1_sel:BYTE_0
	s_and_b64 s[42:43], s[42:43], s[38:39]
	s_or_b64 s[42:43], s[40:41], s[42:43]
	s_and_b64 s[40:41], s[42:43], exec
	v_cmp_eq_u16_sdwa s[44:45], v10, v11 src0_sel:BYTE_0 src1_sel:BYTE_0
	s_or_b64 s[36:37], s[36:37], s[40:41]
	s_and_saveexec_b64 s[40:41], s[44:45]
	s_cbranch_execz .LBB11_723
; %bb.725:                              ;   in Loop: Header=BB11_724 Depth=1
	s_add_u32 s34, s34, -1
	s_addc_u32 s35, s35, -1
	v_add_co_u32_e32 v4, vcc, 1, v4
	s_cmp_eq_u64 s[34:35], 0
	v_addc_co_u32_e32 v5, vcc, 0, v5, vcc
	s_cselect_b64 s[38:39], -1, 0
	v_add_co_u32_e32 v6, vcc, 1, v6
	s_andn2_b64 s[30:31], s[30:31], exec
	s_and_b64 s[42:43], s[42:43], exec
	s_andn2_b64 s[28:29], s[28:29], exec
	s_and_b64 s[38:39], s[38:39], exec
	v_addc_co_u32_e32 v7, vcc, 0, v7, vcc
	s_or_b64 s[30:31], s[30:31], s[42:43]
	s_andn2_b64 s[36:37], s[36:37], exec
	s_or_b64 s[28:29], s[28:29], s[38:39]
                                        ; implicit-def: $sgpr38_sgpr39
	s_branch .LBB11_723
.LBB11_726:
	s_or_b64 exec, exec, s[24:25]
	s_xor_b64 s[24:25], s[26:27], -1
	s_branch .LBB11_728
.LBB11_727:
	s_mov_b64 s[24:25], -1
.LBB11_728:
	s_and_b64 s[24:25], s[24:25], exec
.LBB11_729:
	s_or_b64 exec, exec, s[6:7]
	s_orn2_b64 s[6:7], s[24:25], exec
.LBB11_730:
	s_or_b64 exec, exec, s[20:21]
	v_cndmask_b32_e64 v4, v9, v8, s[6:7]
	v_cndmask_b32_e64 v5, v23, v22, s[6:7]
	v_add_u32_e32 v6, 1, v4
	v_add_u32_e32 v4, -1, v5
	v_min_u32_e32 v4, v6, v4
	v_lshl_add_u32 v4, v4, 3, v18
	ds_read_b64 v[4:5], v4
	v_cndmask_b32_e64 v9, v6, v9, s[6:7]
	v_cndmask_b32_e64 v8, v8, v6, s[6:7]
	v_cmp_lt_u32_e32 vcc, v9, v23
	s_mov_b64 s[20:21], -1
	s_waitcnt lgkmcnt(0)
	v_cndmask_b32_e64 v30, v5, v24, s[6:7]
	v_cndmask_b32_e64 v31, v4, v25, s[6:7]
	v_cndmask_b32_e64 v32, v28, v5, s[6:7]
	v_cndmask_b32_e64 v33, v29, v4, s[6:7]
	s_and_saveexec_b64 s[24:25], vcc
	s_cbranch_execz .LBB11_741
; %bb.731:
	v_cmp_lt_u32_e32 vcc, v8, v22
	s_mov_b64 s[26:27], 0
	s_and_saveexec_b64 s[20:21], vcc
	s_cbranch_execz .LBB11_740
; %bb.732:
	s_andn2_b64 vcc, exec, s[18:19]
	s_cbranch_vccnz .LBB11_738
; %bb.733:
	v_pk_mov_b32 v[6:7], s[14:15], s[14:15] op_sel:[0,1]
	v_mad_u64_u32 v[4:5], s[26:27], v31, s12, v[6:7]
	v_mul_lo_u32 v10, v31, s13
	v_mul_lo_u32 v11, v30, s12
	v_add3_u32 v5, v11, v5, v10
	v_mad_u64_u32 v[6:7], s[26:27], v33, s12, v[6:7]
	v_mul_lo_u32 v10, v33, s13
	v_mul_lo_u32 v11, v32, s12
	v_add3_u32 v7, v11, v7, v10
	s_mov_b64 s[26:27], 0
	s_mov_b64 s[36:37], s[12:13]
                                        ; implicit-def: $sgpr28_sgpr29
                                        ; implicit-def: $sgpr30_sgpr31
                                        ; implicit-def: $sgpr38_sgpr39
                                        ; implicit-def: $sgpr34_sgpr35
                                        ; implicit-def: $sgpr40_sgpr41
	s_branch .LBB11_735
.LBB11_734:                             ;   in Loop: Header=BB11_735 Depth=1
	s_or_b64 exec, exec, s[42:43]
	s_and_b64 s[42:43], exec, s[30:31]
	s_or_b64 s[26:27], s[42:43], s[26:27]
	s_andn2_b64 s[40:41], s[40:41], exec
	s_and_b64 s[42:43], s[34:35], exec
	s_or_b64 s[40:41], s[40:41], s[42:43]
	s_andn2_b64 s[28:29], s[28:29], exec
	s_and_b64 s[42:43], s[38:39], exec
	s_or_b64 s[28:29], s[28:29], s[42:43]
	s_andn2_b64 exec, exec, s[26:27]
	s_cbranch_execz .LBB11_737
.LBB11_735:                             ; =>This Inner Loop Header: Depth=1
	global_load_ubyte v10, v[4:5], off
	global_load_ubyte v11, v[6:7], off
	s_andn2_b64 s[38:39], s[38:39], exec
	s_andn2_b64 s[34:35], s[34:35], exec
	s_or_b64 s[30:31], s[30:31], exec
	s_waitcnt vmcnt(0)
	v_cmp_le_u16_sdwa s[44:45], v10, v11 src0_sel:BYTE_0 src1_sel:BYTE_0
	v_cmp_lt_u16_sdwa s[42:43], v10, v11 src0_sel:BYTE_0 src1_sel:BYTE_0
	s_and_b64 s[44:45], s[44:45], s[40:41]
	s_or_b64 s[44:45], s[42:43], s[44:45]
	s_and_b64 s[42:43], s[44:45], exec
	v_cmp_eq_u16_sdwa s[46:47], v10, v11 src0_sel:BYTE_0 src1_sel:BYTE_0
	s_or_b64 s[38:39], s[38:39], s[42:43]
	s_and_saveexec_b64 s[42:43], s[46:47]
	s_cbranch_execz .LBB11_734
; %bb.736:                              ;   in Loop: Header=BB11_735 Depth=1
	s_add_u32 s36, s36, -1
	s_addc_u32 s37, s37, -1
	v_add_co_u32_e32 v4, vcc, 1, v4
	s_cmp_eq_u64 s[36:37], 0
	v_addc_co_u32_e32 v5, vcc, 0, v5, vcc
	s_cselect_b64 s[40:41], -1, 0
	v_add_co_u32_e32 v6, vcc, 1, v6
	s_andn2_b64 s[34:35], s[34:35], exec
	s_and_b64 s[44:45], s[44:45], exec
	s_andn2_b64 s[30:31], s[30:31], exec
	s_and_b64 s[40:41], s[40:41], exec
	v_addc_co_u32_e32 v7, vcc, 0, v7, vcc
	s_or_b64 s[34:35], s[34:35], s[44:45]
	s_andn2_b64 s[38:39], s[38:39], exec
	s_or_b64 s[30:31], s[30:31], s[40:41]
                                        ; implicit-def: $sgpr40_sgpr41
	s_branch .LBB11_734
.LBB11_737:
	s_or_b64 exec, exec, s[26:27]
	s_xor_b64 s[26:27], s[28:29], -1
	s_branch .LBB11_739
.LBB11_738:
	s_mov_b64 s[26:27], -1
.LBB11_739:
	s_and_b64 s[26:27], s[26:27], exec
.LBB11_740:
	s_or_b64 exec, exec, s[20:21]
	s_orn2_b64 s[20:21], s[26:27], exec
.LBB11_741:
	s_or_b64 exec, exec, s[24:25]
	v_cndmask_b32_e64 v4, v9, v8, s[20:21]
	v_cndmask_b32_e64 v5, v23, v22, s[20:21]
	v_add_u32_e32 v10, 1, v4
	v_add_u32_e32 v4, -1, v5
	v_min_u32_e32 v4, v10, v4
	v_lshl_add_u32 v4, v4, 3, v18
	ds_read_b64 v[4:5], v4
	v_cndmask_b32_e64 v9, v10, v9, s[20:21]
	v_cmp_lt_u32_e32 vcc, v9, v23
	s_waitcnt lgkmcnt(0)
	v_cndmask_b32_e64 v7, v32, v5, s[20:21]
	v_cndmask_b32_e64 v6, v33, v4, s[20:21]
	s_and_saveexec_b64 s[24:25], vcc
	s_cbranch_execz .LBB11_751
; %bb.742:
	v_cndmask_b32_e64 v8, v8, v10, s[20:21]
	v_cndmask_b32_e64 v5, v5, v30, s[20:21]
	v_cndmask_b32_e64 v4, v4, v31, s[20:21]
	v_cmp_lt_u32_e32 vcc, v8, v22
	s_and_saveexec_b64 s[26:27], vcc
	s_cbranch_execz .LBB11_750
; %bb.743:
	s_andn2_b64 vcc, exec, s[18:19]
	s_cbranch_vccnz .LBB11_749
; %bb.744:
	v_pk_mov_b32 v[10:11], s[14:15], s[14:15] op_sel:[0,1]
	v_mad_u64_u32 v[8:9], s[28:29], v4, s12, v[10:11]
	v_mul_lo_u32 v22, v4, s13
	v_mul_lo_u32 v23, v5, s12
	v_add3_u32 v9, v23, v9, v22
	v_mad_u64_u32 v[10:11], s[28:29], v6, s12, v[10:11]
	v_mul_lo_u32 v22, v6, s13
	v_mul_lo_u32 v23, v7, s12
	v_add3_u32 v11, v23, v11, v22
	s_mov_b64 s[28:29], 0
	s_mov_b64 s[38:39], s[12:13]
                                        ; implicit-def: $sgpr30_sgpr31
                                        ; implicit-def: $sgpr34_sgpr35
                                        ; implicit-def: $sgpr40_sgpr41
                                        ; implicit-def: $sgpr36_sgpr37
                                        ; implicit-def: $sgpr42_sgpr43
	s_branch .LBB11_746
.LBB11_745:                             ;   in Loop: Header=BB11_746 Depth=1
	s_or_b64 exec, exec, s[44:45]
	s_and_b64 s[44:45], exec, s[34:35]
	s_or_b64 s[28:29], s[44:45], s[28:29]
	s_andn2_b64 s[42:43], s[42:43], exec
	s_and_b64 s[44:45], s[36:37], exec
	s_or_b64 s[42:43], s[42:43], s[44:45]
	s_andn2_b64 s[30:31], s[30:31], exec
	s_and_b64 s[44:45], s[40:41], exec
	s_or_b64 s[30:31], s[30:31], s[44:45]
	s_andn2_b64 exec, exec, s[28:29]
	s_cbranch_execz .LBB11_748
.LBB11_746:                             ; =>This Inner Loop Header: Depth=1
	global_load_ubyte v22, v[8:9], off
	global_load_ubyte v23, v[10:11], off
	s_andn2_b64 s[40:41], s[40:41], exec
	s_andn2_b64 s[36:37], s[36:37], exec
	s_or_b64 s[34:35], s[34:35], exec
	s_waitcnt vmcnt(0)
	v_cmp_le_u16_sdwa s[46:47], v22, v23 src0_sel:BYTE_0 src1_sel:BYTE_0
	v_cmp_lt_u16_sdwa s[44:45], v22, v23 src0_sel:BYTE_0 src1_sel:BYTE_0
	s_and_b64 s[46:47], s[46:47], s[42:43]
	s_or_b64 s[46:47], s[44:45], s[46:47]
	s_and_b64 s[44:45], s[46:47], exec
	v_cmp_eq_u16_sdwa s[48:49], v22, v23 src0_sel:BYTE_0 src1_sel:BYTE_0
	s_or_b64 s[40:41], s[40:41], s[44:45]
	s_and_saveexec_b64 s[44:45], s[48:49]
	s_cbranch_execz .LBB11_745
; %bb.747:                              ;   in Loop: Header=BB11_746 Depth=1
	s_add_u32 s38, s38, -1
	s_addc_u32 s39, s39, -1
	v_add_co_u32_e32 v8, vcc, 1, v8
	s_cmp_eq_u64 s[38:39], 0
	v_addc_co_u32_e32 v9, vcc, 0, v9, vcc
	s_cselect_b64 s[42:43], -1, 0
	v_add_co_u32_e32 v10, vcc, 1, v10
	s_andn2_b64 s[36:37], s[36:37], exec
	s_and_b64 s[46:47], s[46:47], exec
	s_andn2_b64 s[34:35], s[34:35], exec
	s_and_b64 s[42:43], s[42:43], exec
	v_addc_co_u32_e32 v11, vcc, 0, v11, vcc
	s_or_b64 s[36:37], s[36:37], s[46:47]
	s_andn2_b64 s[40:41], s[40:41], exec
	s_or_b64 s[34:35], s[34:35], s[42:43]
                                        ; implicit-def: $sgpr42_sgpr43
	s_branch .LBB11_745
.LBB11_748:
	s_or_b64 exec, exec, s[28:29]
	v_cndmask_b32_e64 v7, v7, v5, s[30:31]
	v_cndmask_b32_e64 v6, v6, v4, s[30:31]
.LBB11_749:
	v_pk_mov_b32 v[4:5], v[6:7], v[6:7] op_sel:[0,1]
.LBB11_750:
	s_or_b64 exec, exec, s[26:27]
	v_pk_mov_b32 v[6:7], v[4:5], v[4:5] op_sel:[0,1]
.LBB11_751:
	s_or_b64 exec, exec, s[24:25]
	v_cndmask_b32_e64 v1, v3, v1, s[10:11]
	v_cndmask_b32_e64 v0, v2, v0, s[10:11]
	v_cndmask_b32_e64 v3, v24, v28, s[6:7]
	v_cndmask_b32_e64 v2, v25, v29, s[6:7]
	v_cndmask_b32_e64 v5, v30, v32, s[20:21]
	v_cndmask_b32_e64 v4, v31, v33, s[20:21]
.LBB11_752:
	s_or_b64 exec, exec, s[8:9]
	v_and_b32_e32 v23, 0x1c0, v20
	v_or_b32_e32 v8, 32, v23
	; wave barrier
	ds_write_b128 v21, v[0:3]
	ds_write_b128 v21, v[4:7] offset:16
	v_min_u32_e32 v21, v19, v8
	v_add_u32_e32 v8, 32, v21
	v_min_u32_e32 v22, v19, v8
	v_and_b32_e32 v8, 60, v20
	v_min_u32_e32 v24, v19, v8
	v_sub_u32_e32 v8, v21, v23
	v_sub_u32_e32 v9, v22, v21
	v_sub_u32_e64 v20, v24, v9 clamp
	v_min_u32_e32 v25, v24, v8
	v_lshl_add_u32 v19, v23, 3, v18
	v_cmp_lt_u32_e32 vcc, v20, v25
	; wave barrier
	s_and_saveexec_b64 s[8:9], vcc
	s_cbranch_execz .LBB11_762
; %bb.753:
	v_lshlrev_b32_e32 v8, 3, v21
	v_lshlrev_b32_e32 v9, 3, v24
	v_add3_u32 v28, v18, v8, v9
	v_cndmask_b32_e64 v8, 0, 1, s[18:19]
	s_mov_b64 s[10:11], 0
	v_cmp_ne_u32_e64 s[6:7], 1, v8
	s_branch .LBB11_756
.LBB11_754:                             ;   in Loop: Header=BB11_756 Depth=1
	s_or_b64 exec, exec, s[24:25]
.LBB11_755:                             ;   in Loop: Header=BB11_756 Depth=1
	v_add_u32_e32 v8, 1, v29
	v_cndmask_b32_e64 v25, v25, v29, s[20:21]
	v_cndmask_b32_e64 v20, v8, v20, s[20:21]
	v_cmp_ge_u32_e32 vcc, v20, v25
	s_or_b64 s[10:11], vcc, s[10:11]
	s_andn2_b64 exec, exec, s[10:11]
	s_cbranch_execz .LBB11_761
.LBB11_756:                             ; =>This Loop Header: Depth=1
                                        ;     Child Loop BB11_759 Depth 2
	v_add_u32_e32 v8, v25, v20
	v_lshrrev_b32_e32 v29, 1, v8
	s_and_b64 vcc, exec, s[6:7]
	s_mov_b64 s[20:21], 0
	s_cbranch_vccnz .LBB11_755
; %bb.757:                              ;   in Loop: Header=BB11_756 Depth=1
	v_not_b32_e32 v8, v29
	v_lshl_add_u32 v8, v8, 3, v28
	ds_read_b64 v[8:9], v8
	v_lshl_add_u32 v30, v29, 3, v19
	ds_read_b64 v[30:31], v30
	v_pk_mov_b32 v[10:11], s[14:15], s[14:15] op_sel:[0,1]
	s_mov_b64 s[24:25], 0
	s_waitcnt lgkmcnt(1)
	v_mul_lo_u32 v32, v8, s13
	v_mul_lo_u32 v33, v9, s12
	v_mad_u64_u32 v[8:9], s[20:21], v8, s12, v[10:11]
	v_add3_u32 v9, v33, v9, v32
	s_waitcnt lgkmcnt(0)
	v_mul_lo_u32 v32, v30, s13
	v_mul_lo_u32 v31, v31, s12
	v_mad_u64_u32 v[10:11], s[20:21], v30, s12, v[10:11]
	v_add3_u32 v11, v31, v11, v32
	s_mov_b64 s[30:31], s[12:13]
                                        ; implicit-def: $sgpr20_sgpr21
                                        ; implicit-def: $sgpr26_sgpr27
                                        ; implicit-def: $sgpr28_sgpr29
                                        ; implicit-def: $sgpr34_sgpr35
                                        ; implicit-def: $sgpr36_sgpr37
	s_branch .LBB11_759
.LBB11_758:                             ;   in Loop: Header=BB11_759 Depth=2
	s_or_b64 exec, exec, s[38:39]
	s_and_b64 s[38:39], exec, s[26:27]
	s_or_b64 s[24:25], s[38:39], s[24:25]
	s_andn2_b64 s[36:37], s[36:37], exec
	s_and_b64 s[38:39], s[28:29], exec
	s_or_b64 s[36:37], s[36:37], s[38:39]
	s_andn2_b64 s[20:21], s[20:21], exec
	s_and_b64 s[38:39], s[34:35], exec
	s_or_b64 s[20:21], s[20:21], s[38:39]
	s_andn2_b64 exec, exec, s[24:25]
	s_cbranch_execz .LBB11_754
.LBB11_759:                             ;   Parent Loop BB11_756 Depth=1
                                        ; =>  This Inner Loop Header: Depth=2
	global_load_ubyte v30, v[8:9], off
	global_load_ubyte v31, v[10:11], off
	s_andn2_b64 s[34:35], s[34:35], exec
	s_andn2_b64 s[28:29], s[28:29], exec
	s_or_b64 s[26:27], s[26:27], exec
	s_waitcnt vmcnt(0)
	v_cmp_le_u16_sdwa s[40:41], v30, v31 src0_sel:BYTE_0 src1_sel:BYTE_0
	v_cmp_lt_u16_sdwa s[38:39], v30, v31 src0_sel:BYTE_0 src1_sel:BYTE_0
	s_and_b64 s[40:41], s[40:41], s[36:37]
	s_or_b64 s[40:41], s[38:39], s[40:41]
	s_and_b64 s[38:39], s[40:41], exec
	v_cmp_eq_u16_sdwa s[42:43], v30, v31 src0_sel:BYTE_0 src1_sel:BYTE_0
	s_or_b64 s[34:35], s[34:35], s[38:39]
	s_and_saveexec_b64 s[38:39], s[42:43]
	s_cbranch_execz .LBB11_758
; %bb.760:                              ;   in Loop: Header=BB11_759 Depth=2
	s_add_u32 s30, s30, -1
	s_addc_u32 s31, s31, -1
	v_add_co_u32_e32 v8, vcc, 1, v8
	s_cmp_eq_u64 s[30:31], 0
	v_addc_co_u32_e32 v9, vcc, 0, v9, vcc
	s_cselect_b64 s[36:37], -1, 0
	v_add_co_u32_e32 v10, vcc, 1, v10
	s_andn2_b64 s[28:29], s[28:29], exec
	s_and_b64 s[40:41], s[40:41], exec
	s_andn2_b64 s[26:27], s[26:27], exec
	s_and_b64 s[36:37], s[36:37], exec
	v_addc_co_u32_e32 v11, vcc, 0, v11, vcc
	s_andn2_b64 s[34:35], s[34:35], exec
	s_or_b64 s[28:29], s[28:29], s[40:41]
	s_or_b64 s[26:27], s[26:27], s[36:37]
                                        ; implicit-def: $sgpr36_sgpr37
	s_branch .LBB11_758
.LBB11_761:
	s_or_b64 exec, exec, s[10:11]
.LBB11_762:
	s_or_b64 exec, exec, s[8:9]
	v_add_u32_e32 v9, v21, v24
	v_add_u32_e32 v8, v20, v23
	v_sub_u32_e32 v9, v9, v20
	v_cmp_le_u32_e32 vcc, v8, v21
	v_cmp_le_u32_e64 s[6:7], v9, v22
	s_or_b64 s[6:7], vcc, s[6:7]
	s_and_saveexec_b64 s[8:9], s[6:7]
	s_cbranch_execz .LBB11_809
; %bb.763:
	v_cmp_ge_u32_e32 vcc, v8, v21
	v_cmp_lt_u32_e64 s[6:7], v8, v21
                                        ; implicit-def: $vgpr0_vgpr1
	s_and_saveexec_b64 s[10:11], s[6:7]
	s_cbranch_execz .LBB11_765
; %bb.764:
	v_lshl_add_u32 v0, v20, 3, v19
	ds_read_b64 v[0:1], v0
.LBB11_765:
	s_or_b64 exec, exec, s[10:11]
	v_cmp_ge_u32_e64 s[10:11], v9, v22
	v_cmp_lt_u32_e64 s[6:7], v9, v22
                                        ; implicit-def: $vgpr2_vgpr3
	s_and_saveexec_b64 s[20:21], s[6:7]
	s_cbranch_execz .LBB11_767
; %bb.766:
	v_lshl_add_u32 v2, v9, 3, v18
	ds_read_b64 v[2:3], v2
.LBB11_767:
	s_or_b64 exec, exec, s[20:21]
	s_or_b64 s[20:21], vcc, s[10:11]
	s_mov_b64 s[6:7], -1
	s_xor_b64 s[24:25], s[20:21], -1
	s_and_saveexec_b64 s[20:21], s[24:25]
	s_cbranch_execz .LBB11_776
; %bb.768:
	s_andn2_b64 vcc, exec, s[18:19]
	s_cbranch_vccnz .LBB11_774
; %bb.769:
	v_pk_mov_b32 v[6:7], s[14:15], s[14:15] op_sel:[0,1]
	s_waitcnt lgkmcnt(0)
	v_mad_u64_u32 v[4:5], s[24:25], v2, s12, v[6:7]
	v_mul_lo_u32 v10, v2, s13
	v_mul_lo_u32 v11, v3, s12
	v_add3_u32 v5, v11, v5, v10
	v_mad_u64_u32 v[6:7], s[24:25], v0, s12, v[6:7]
	v_mul_lo_u32 v10, v0, s13
	v_mul_lo_u32 v11, v1, s12
	v_add3_u32 v7, v11, v7, v10
	s_mov_b64 s[24:25], 0
	s_mov_b64 s[34:35], s[12:13]
                                        ; implicit-def: $sgpr26_sgpr27
                                        ; implicit-def: $sgpr28_sgpr29
                                        ; implicit-def: $sgpr36_sgpr37
                                        ; implicit-def: $sgpr30_sgpr31
                                        ; implicit-def: $sgpr38_sgpr39
	s_branch .LBB11_771
.LBB11_770:                             ;   in Loop: Header=BB11_771 Depth=1
	s_or_b64 exec, exec, s[40:41]
	s_and_b64 s[40:41], exec, s[28:29]
	s_or_b64 s[24:25], s[40:41], s[24:25]
	s_andn2_b64 s[38:39], s[38:39], exec
	s_and_b64 s[40:41], s[30:31], exec
	s_or_b64 s[38:39], s[38:39], s[40:41]
	s_andn2_b64 s[26:27], s[26:27], exec
	s_and_b64 s[40:41], s[36:37], exec
	s_or_b64 s[26:27], s[26:27], s[40:41]
	s_andn2_b64 exec, exec, s[24:25]
	s_cbranch_execz .LBB11_773
.LBB11_771:                             ; =>This Inner Loop Header: Depth=1
	global_load_ubyte v10, v[4:5], off
	global_load_ubyte v11, v[6:7], off
	s_andn2_b64 s[36:37], s[36:37], exec
	s_andn2_b64 s[30:31], s[30:31], exec
	s_or_b64 s[28:29], s[28:29], exec
	s_waitcnt vmcnt(0)
	v_cmp_le_u16_sdwa s[42:43], v10, v11 src0_sel:BYTE_0 src1_sel:BYTE_0
	v_cmp_lt_u16_sdwa s[40:41], v10, v11 src0_sel:BYTE_0 src1_sel:BYTE_0
	s_and_b64 s[42:43], s[42:43], s[38:39]
	s_or_b64 s[42:43], s[40:41], s[42:43]
	s_and_b64 s[40:41], s[42:43], exec
	v_cmp_eq_u16_sdwa s[44:45], v10, v11 src0_sel:BYTE_0 src1_sel:BYTE_0
	s_or_b64 s[36:37], s[36:37], s[40:41]
	s_and_saveexec_b64 s[40:41], s[44:45]
	s_cbranch_execz .LBB11_770
; %bb.772:                              ;   in Loop: Header=BB11_771 Depth=1
	s_add_u32 s34, s34, -1
	s_addc_u32 s35, s35, -1
	v_add_co_u32_e32 v4, vcc, 1, v4
	s_cmp_eq_u64 s[34:35], 0
	v_addc_co_u32_e32 v5, vcc, 0, v5, vcc
	s_cselect_b64 s[38:39], -1, 0
	v_add_co_u32_e32 v6, vcc, 1, v6
	s_andn2_b64 s[30:31], s[30:31], exec
	s_and_b64 s[42:43], s[42:43], exec
	s_andn2_b64 s[28:29], s[28:29], exec
	s_and_b64 s[38:39], s[38:39], exec
	v_addc_co_u32_e32 v7, vcc, 0, v7, vcc
	s_or_b64 s[30:31], s[30:31], s[42:43]
	s_andn2_b64 s[36:37], s[36:37], exec
	s_or_b64 s[28:29], s[28:29], s[38:39]
                                        ; implicit-def: $sgpr38_sgpr39
	s_branch .LBB11_770
.LBB11_773:
	s_or_b64 exec, exec, s[24:25]
	s_xor_b64 s[24:25], s[26:27], -1
	s_branch .LBB11_775
.LBB11_774:
	s_mov_b64 s[24:25], -1
.LBB11_775:
	s_andn2_b64 s[10:11], s[10:11], exec
	s_and_b64 s[24:25], s[24:25], exec
	s_or_b64 s[10:11], s[10:11], s[24:25]
.LBB11_776:
	s_or_b64 exec, exec, s[20:21]
	v_cndmask_b32_e64 v4, v9, v8, s[10:11]
	v_cndmask_b32_e64 v5, v22, v21, s[10:11]
	v_add_u32_e32 v6, 1, v4
	v_add_u32_e32 v4, -1, v5
	v_min_u32_e32 v4, v6, v4
	v_lshl_add_u32 v4, v4, 3, v18
	ds_read_b64 v[4:5], v4
	v_cndmask_b32_e64 v9, v6, v9, s[10:11]
	v_cndmask_b32_e64 v8, v8, v6, s[10:11]
	v_cmp_lt_u32_e32 vcc, v9, v22
	s_waitcnt lgkmcnt(0)
	v_cndmask_b32_e64 v19, v5, v3, s[10:11]
	v_cndmask_b32_e64 v20, v4, v2, s[10:11]
	;; [unrolled: 1-line block ×4, first 2 shown]
	s_and_saveexec_b64 s[20:21], vcc
	s_cbranch_execz .LBB11_787
; %bb.777:
	v_cmp_lt_u32_e32 vcc, v8, v21
	s_mov_b64 s[24:25], 0
	s_and_saveexec_b64 s[6:7], vcc
	s_cbranch_execz .LBB11_786
; %bb.778:
	s_andn2_b64 vcc, exec, s[18:19]
	s_cbranch_vccnz .LBB11_784
; %bb.779:
	v_pk_mov_b32 v[6:7], s[14:15], s[14:15] op_sel:[0,1]
	v_mad_u64_u32 v[4:5], s[24:25], v20, s12, v[6:7]
	v_mul_lo_u32 v10, v20, s13
	v_mul_lo_u32 v11, v19, s12
	v_add3_u32 v5, v11, v5, v10
	v_mad_u64_u32 v[6:7], s[24:25], v24, s12, v[6:7]
	v_mul_lo_u32 v10, v24, s13
	v_mul_lo_u32 v11, v23, s12
	v_add3_u32 v7, v11, v7, v10
	s_mov_b64 s[24:25], 0
	s_mov_b64 s[34:35], s[12:13]
                                        ; implicit-def: $sgpr26_sgpr27
                                        ; implicit-def: $sgpr28_sgpr29
                                        ; implicit-def: $sgpr36_sgpr37
                                        ; implicit-def: $sgpr30_sgpr31
                                        ; implicit-def: $sgpr38_sgpr39
	s_branch .LBB11_781
.LBB11_780:                             ;   in Loop: Header=BB11_781 Depth=1
	s_or_b64 exec, exec, s[40:41]
	s_and_b64 s[40:41], exec, s[28:29]
	s_or_b64 s[24:25], s[40:41], s[24:25]
	s_andn2_b64 s[38:39], s[38:39], exec
	s_and_b64 s[40:41], s[30:31], exec
	s_or_b64 s[38:39], s[38:39], s[40:41]
	s_andn2_b64 s[26:27], s[26:27], exec
	s_and_b64 s[40:41], s[36:37], exec
	s_or_b64 s[26:27], s[26:27], s[40:41]
	s_andn2_b64 exec, exec, s[24:25]
	s_cbranch_execz .LBB11_783
.LBB11_781:                             ; =>This Inner Loop Header: Depth=1
	global_load_ubyte v10, v[4:5], off
	global_load_ubyte v11, v[6:7], off
	s_andn2_b64 s[36:37], s[36:37], exec
	s_andn2_b64 s[30:31], s[30:31], exec
	s_or_b64 s[28:29], s[28:29], exec
	s_waitcnt vmcnt(0)
	v_cmp_le_u16_sdwa s[42:43], v10, v11 src0_sel:BYTE_0 src1_sel:BYTE_0
	v_cmp_lt_u16_sdwa s[40:41], v10, v11 src0_sel:BYTE_0 src1_sel:BYTE_0
	s_and_b64 s[42:43], s[42:43], s[38:39]
	s_or_b64 s[42:43], s[40:41], s[42:43]
	s_and_b64 s[40:41], s[42:43], exec
	v_cmp_eq_u16_sdwa s[44:45], v10, v11 src0_sel:BYTE_0 src1_sel:BYTE_0
	s_or_b64 s[36:37], s[36:37], s[40:41]
	s_and_saveexec_b64 s[40:41], s[44:45]
	s_cbranch_execz .LBB11_780
; %bb.782:                              ;   in Loop: Header=BB11_781 Depth=1
	s_add_u32 s34, s34, -1
	s_addc_u32 s35, s35, -1
	v_add_co_u32_e32 v4, vcc, 1, v4
	s_cmp_eq_u64 s[34:35], 0
	v_addc_co_u32_e32 v5, vcc, 0, v5, vcc
	s_cselect_b64 s[38:39], -1, 0
	v_add_co_u32_e32 v6, vcc, 1, v6
	s_andn2_b64 s[30:31], s[30:31], exec
	s_and_b64 s[42:43], s[42:43], exec
	s_andn2_b64 s[28:29], s[28:29], exec
	s_and_b64 s[38:39], s[38:39], exec
	v_addc_co_u32_e32 v7, vcc, 0, v7, vcc
	s_or_b64 s[30:31], s[30:31], s[42:43]
	s_andn2_b64 s[36:37], s[36:37], exec
	s_or_b64 s[28:29], s[28:29], s[38:39]
                                        ; implicit-def: $sgpr38_sgpr39
	s_branch .LBB11_780
.LBB11_783:
	s_or_b64 exec, exec, s[24:25]
	s_xor_b64 s[24:25], s[26:27], -1
	s_branch .LBB11_785
.LBB11_784:
	s_mov_b64 s[24:25], -1
.LBB11_785:
	s_and_b64 s[24:25], s[24:25], exec
.LBB11_786:
	s_or_b64 exec, exec, s[6:7]
	s_orn2_b64 s[6:7], s[24:25], exec
.LBB11_787:
	s_or_b64 exec, exec, s[20:21]
	v_cndmask_b32_e64 v4, v9, v8, s[6:7]
	v_cndmask_b32_e64 v5, v22, v21, s[6:7]
	v_add_u32_e32 v6, 1, v4
	v_add_u32_e32 v4, -1, v5
	v_min_u32_e32 v4, v6, v4
	v_lshl_add_u32 v4, v4, 3, v18
	ds_read_b64 v[4:5], v4
	v_cndmask_b32_e64 v9, v6, v9, s[6:7]
	v_cndmask_b32_e64 v8, v8, v6, s[6:7]
	v_cmp_lt_u32_e32 vcc, v9, v22
	s_mov_b64 s[20:21], -1
	s_waitcnt lgkmcnt(0)
	v_cndmask_b32_e64 v25, v5, v19, s[6:7]
	v_cndmask_b32_e64 v28, v4, v20, s[6:7]
	;; [unrolled: 1-line block ×4, first 2 shown]
	s_and_saveexec_b64 s[24:25], vcc
	s_cbranch_execz .LBB11_798
; %bb.788:
	v_cmp_lt_u32_e32 vcc, v8, v21
	s_mov_b64 s[26:27], 0
	s_and_saveexec_b64 s[20:21], vcc
	s_cbranch_execz .LBB11_797
; %bb.789:
	s_andn2_b64 vcc, exec, s[18:19]
	s_cbranch_vccnz .LBB11_795
; %bb.790:
	v_pk_mov_b32 v[6:7], s[14:15], s[14:15] op_sel:[0,1]
	v_mad_u64_u32 v[4:5], s[26:27], v28, s12, v[6:7]
	v_mul_lo_u32 v10, v28, s13
	v_mul_lo_u32 v11, v25, s12
	v_add3_u32 v5, v11, v5, v10
	v_mad_u64_u32 v[6:7], s[26:27], v30, s12, v[6:7]
	v_mul_lo_u32 v10, v30, s13
	v_mul_lo_u32 v11, v29, s12
	v_add3_u32 v7, v11, v7, v10
	s_mov_b64 s[26:27], 0
	s_mov_b64 s[36:37], s[12:13]
                                        ; implicit-def: $sgpr28_sgpr29
                                        ; implicit-def: $sgpr30_sgpr31
                                        ; implicit-def: $sgpr38_sgpr39
                                        ; implicit-def: $sgpr34_sgpr35
                                        ; implicit-def: $sgpr40_sgpr41
	s_branch .LBB11_792
.LBB11_791:                             ;   in Loop: Header=BB11_792 Depth=1
	s_or_b64 exec, exec, s[42:43]
	s_and_b64 s[42:43], exec, s[30:31]
	s_or_b64 s[26:27], s[42:43], s[26:27]
	s_andn2_b64 s[40:41], s[40:41], exec
	s_and_b64 s[42:43], s[34:35], exec
	s_or_b64 s[40:41], s[40:41], s[42:43]
	s_andn2_b64 s[28:29], s[28:29], exec
	s_and_b64 s[42:43], s[38:39], exec
	s_or_b64 s[28:29], s[28:29], s[42:43]
	s_andn2_b64 exec, exec, s[26:27]
	s_cbranch_execz .LBB11_794
.LBB11_792:                             ; =>This Inner Loop Header: Depth=1
	global_load_ubyte v10, v[4:5], off
	global_load_ubyte v11, v[6:7], off
	s_andn2_b64 s[38:39], s[38:39], exec
	s_andn2_b64 s[34:35], s[34:35], exec
	s_or_b64 s[30:31], s[30:31], exec
	s_waitcnt vmcnt(0)
	v_cmp_le_u16_sdwa s[44:45], v10, v11 src0_sel:BYTE_0 src1_sel:BYTE_0
	v_cmp_lt_u16_sdwa s[42:43], v10, v11 src0_sel:BYTE_0 src1_sel:BYTE_0
	s_and_b64 s[44:45], s[44:45], s[40:41]
	s_or_b64 s[44:45], s[42:43], s[44:45]
	s_and_b64 s[42:43], s[44:45], exec
	v_cmp_eq_u16_sdwa s[46:47], v10, v11 src0_sel:BYTE_0 src1_sel:BYTE_0
	s_or_b64 s[38:39], s[38:39], s[42:43]
	s_and_saveexec_b64 s[42:43], s[46:47]
	s_cbranch_execz .LBB11_791
; %bb.793:                              ;   in Loop: Header=BB11_792 Depth=1
	s_add_u32 s36, s36, -1
	s_addc_u32 s37, s37, -1
	v_add_co_u32_e32 v4, vcc, 1, v4
	s_cmp_eq_u64 s[36:37], 0
	v_addc_co_u32_e32 v5, vcc, 0, v5, vcc
	s_cselect_b64 s[40:41], -1, 0
	v_add_co_u32_e32 v6, vcc, 1, v6
	s_andn2_b64 s[34:35], s[34:35], exec
	s_and_b64 s[44:45], s[44:45], exec
	s_andn2_b64 s[30:31], s[30:31], exec
	s_and_b64 s[40:41], s[40:41], exec
	v_addc_co_u32_e32 v7, vcc, 0, v7, vcc
	s_or_b64 s[34:35], s[34:35], s[44:45]
	s_andn2_b64 s[38:39], s[38:39], exec
	s_or_b64 s[30:31], s[30:31], s[40:41]
                                        ; implicit-def: $sgpr40_sgpr41
	s_branch .LBB11_791
.LBB11_794:
	s_or_b64 exec, exec, s[26:27]
	s_xor_b64 s[26:27], s[28:29], -1
	s_branch .LBB11_796
.LBB11_795:
	s_mov_b64 s[26:27], -1
.LBB11_796:
	s_and_b64 s[26:27], s[26:27], exec
.LBB11_797:
	s_or_b64 exec, exec, s[20:21]
	s_orn2_b64 s[20:21], s[26:27], exec
.LBB11_798:
	s_or_b64 exec, exec, s[24:25]
	v_cndmask_b32_e64 v4, v9, v8, s[20:21]
	v_cndmask_b32_e64 v5, v22, v21, s[20:21]
	v_add_u32_e32 v10, 1, v4
	v_add_u32_e32 v4, -1, v5
	v_min_u32_e32 v4, v10, v4
	v_lshl_add_u32 v4, v4, 3, v18
	ds_read_b64 v[4:5], v4
	v_cndmask_b32_e64 v9, v10, v9, s[20:21]
	v_cmp_lt_u32_e32 vcc, v9, v22
	s_waitcnt lgkmcnt(0)
	v_cndmask_b32_e64 v7, v29, v5, s[20:21]
	v_cndmask_b32_e64 v6, v30, v4, s[20:21]
	s_and_saveexec_b64 s[24:25], vcc
	s_cbranch_execz .LBB11_808
; %bb.799:
	v_cndmask_b32_e64 v8, v8, v10, s[20:21]
	v_cndmask_b32_e64 v5, v5, v25, s[20:21]
	;; [unrolled: 1-line block ×3, first 2 shown]
	v_cmp_lt_u32_e32 vcc, v8, v21
	s_and_saveexec_b64 s[26:27], vcc
	s_cbranch_execz .LBB11_807
; %bb.800:
	s_andn2_b64 vcc, exec, s[18:19]
	s_cbranch_vccnz .LBB11_806
; %bb.801:
	v_pk_mov_b32 v[10:11], s[14:15], s[14:15] op_sel:[0,1]
	v_mad_u64_u32 v[8:9], s[28:29], v4, s12, v[10:11]
	v_mul_lo_u32 v18, v4, s13
	v_mul_lo_u32 v21, v5, s12
	v_add3_u32 v9, v21, v9, v18
	v_mad_u64_u32 v[10:11], s[28:29], v6, s12, v[10:11]
	v_mul_lo_u32 v18, v6, s13
	v_mul_lo_u32 v21, v7, s12
	v_add3_u32 v11, v21, v11, v18
	s_mov_b64 s[28:29], 0
	s_mov_b64 s[38:39], s[12:13]
                                        ; implicit-def: $sgpr30_sgpr31
                                        ; implicit-def: $sgpr34_sgpr35
                                        ; implicit-def: $sgpr40_sgpr41
                                        ; implicit-def: $sgpr36_sgpr37
                                        ; implicit-def: $sgpr42_sgpr43
	s_branch .LBB11_803
.LBB11_802:                             ;   in Loop: Header=BB11_803 Depth=1
	s_or_b64 exec, exec, s[44:45]
	s_and_b64 s[44:45], exec, s[34:35]
	s_or_b64 s[28:29], s[44:45], s[28:29]
	s_andn2_b64 s[42:43], s[42:43], exec
	s_and_b64 s[44:45], s[36:37], exec
	s_or_b64 s[42:43], s[42:43], s[44:45]
	s_andn2_b64 s[30:31], s[30:31], exec
	s_and_b64 s[44:45], s[40:41], exec
	s_or_b64 s[30:31], s[30:31], s[44:45]
	s_andn2_b64 exec, exec, s[28:29]
	s_cbranch_execz .LBB11_805
.LBB11_803:                             ; =>This Inner Loop Header: Depth=1
	global_load_ubyte v18, v[8:9], off
	global_load_ubyte v21, v[10:11], off
	s_andn2_b64 s[40:41], s[40:41], exec
	s_andn2_b64 s[36:37], s[36:37], exec
	s_or_b64 s[34:35], s[34:35], exec
	s_waitcnt vmcnt(0)
	v_cmp_le_u16_sdwa s[46:47], v18, v21 src0_sel:BYTE_0 src1_sel:BYTE_0
	v_cmp_lt_u16_sdwa s[44:45], v18, v21 src0_sel:BYTE_0 src1_sel:BYTE_0
	s_and_b64 s[46:47], s[46:47], s[42:43]
	s_or_b64 s[46:47], s[44:45], s[46:47]
	s_and_b64 s[44:45], s[46:47], exec
	v_cmp_eq_u16_sdwa s[48:49], v18, v21 src0_sel:BYTE_0 src1_sel:BYTE_0
	s_or_b64 s[40:41], s[40:41], s[44:45]
	s_and_saveexec_b64 s[44:45], s[48:49]
	s_cbranch_execz .LBB11_802
; %bb.804:                              ;   in Loop: Header=BB11_803 Depth=1
	s_add_u32 s38, s38, -1
	s_addc_u32 s39, s39, -1
	v_add_co_u32_e32 v8, vcc, 1, v8
	s_cmp_eq_u64 s[38:39], 0
	v_addc_co_u32_e32 v9, vcc, 0, v9, vcc
	s_cselect_b64 s[42:43], -1, 0
	v_add_co_u32_e32 v10, vcc, 1, v10
	s_andn2_b64 s[36:37], s[36:37], exec
	s_and_b64 s[46:47], s[46:47], exec
	s_andn2_b64 s[34:35], s[34:35], exec
	s_and_b64 s[42:43], s[42:43], exec
	v_addc_co_u32_e32 v11, vcc, 0, v11, vcc
	s_or_b64 s[36:37], s[36:37], s[46:47]
	s_andn2_b64 s[40:41], s[40:41], exec
	s_or_b64 s[34:35], s[34:35], s[42:43]
                                        ; implicit-def: $sgpr42_sgpr43
	s_branch .LBB11_802
.LBB11_805:
	s_or_b64 exec, exec, s[28:29]
	v_cndmask_b32_e64 v7, v7, v5, s[30:31]
	v_cndmask_b32_e64 v6, v6, v4, s[30:31]
.LBB11_806:
	v_pk_mov_b32 v[4:5], v[6:7], v[6:7] op_sel:[0,1]
.LBB11_807:
	s_or_b64 exec, exec, s[26:27]
	v_pk_mov_b32 v[6:7], v[4:5], v[4:5] op_sel:[0,1]
.LBB11_808:
	s_or_b64 exec, exec, s[24:25]
	v_cndmask_b32_e64 v1, v3, v1, s[10:11]
	v_cndmask_b32_e64 v0, v2, v0, s[10:11]
	;; [unrolled: 1-line block ×6, first 2 shown]
.LBB11_809:
	s_or_b64 exec, exec, s[8:9]
	s_cmpk_lt_u32 s33, 0x41
	; wave barrier
	s_waitcnt lgkmcnt(0)
	s_barrier
	s_cbranch_scc1 .LBB11_869
; %bb.810:
	v_cndmask_b32_e64 v8, 0, 1, s[18:19]
	v_lshlrev_b32_e32 v18, 3, v27
	s_mov_b32 s48, 64
	v_cmp_ne_u32_e64 s[6:7], 1, v8
	s_branch .LBB11_816
.LBB11_811:                             ;   in Loop: Header=BB11_816 Depth=1
	s_or_b64 exec, exec, s[28:29]
	v_cndmask_b32_e64 v7, v7, v5, s[30:31]
	v_cndmask_b32_e64 v6, v6, v4, s[30:31]
.LBB11_812:                             ;   in Loop: Header=BB11_816 Depth=1
	v_pk_mov_b32 v[4:5], v[6:7], v[6:7] op_sel:[0,1]
.LBB11_813:                             ;   in Loop: Header=BB11_816 Depth=1
	s_or_b64 exec, exec, s[26:27]
	v_pk_mov_b32 v[6:7], v[4:5], v[4:5] op_sel:[0,1]
.LBB11_814:                             ;   in Loop: Header=BB11_816 Depth=1
	s_or_b64 exec, exec, s[24:25]
	v_cndmask_b32_e64 v1, v3, v1, s[18:19]
	v_cndmask_b32_e64 v0, v2, v0, s[18:19]
	;; [unrolled: 1-line block ×6, first 2 shown]
.LBB11_815:                             ;   in Loop: Header=BB11_816 Depth=1
	s_or_b64 exec, exec, s[10:11]
	s_cmp_lt_u32 s48, s33
	s_barrier
	s_cbranch_scc0 .LBB11_869
.LBB11_816:                             ; =>This Loop Header: Depth=1
                                        ;     Child Loop BB11_820 Depth 2
                                        ;       Child Loop BB11_823 Depth 3
                                        ;     Child Loop BB11_835 Depth 2
                                        ;     Child Loop BB11_845 Depth 2
	;; [unrolled: 1-line block ×4, first 2 shown]
	s_mov_b32 s8, s48
	s_lshl_b32 s48, s48, 1
	s_sub_i32 s10, 0, s48
	v_and_b32_e32 v23, s10, v27
	v_add_u32_e32 v8, s8, v23
	v_min_u32_e32 v19, s33, v8
	s_add_i32 s9, s48, -1
	v_add_u32_e32 v8, s8, v19
	v_min_u32_e32 v20, s33, v8
	v_and_b32_e32 v8, s9, v27
	v_min_u32_e32 v24, s33, v8
	v_sub_u32_e32 v8, v19, v23
	v_sub_u32_e32 v9, v20, v19
	v_sub_u32_e64 v22, v24, v9 clamp
	v_min_u32_e32 v25, v24, v8
	v_lshlrev_b32_e32 v21, 3, v23
	v_cmp_lt_u32_e32 vcc, v22, v25
	ds_write_b128 v18, v[0:3]
	ds_write_b128 v18, v[4:7] offset:16
	s_waitcnt lgkmcnt(0)
	s_barrier
	s_and_saveexec_b64 s[8:9], vcc
	s_cbranch_execz .LBB11_826
; %bb.817:                              ;   in Loop: Header=BB11_816 Depth=1
	v_lshlrev_b32_e32 v8, 3, v24
	v_lshl_add_u32 v28, v19, 3, v8
	s_mov_b64 s[10:11], 0
	s_branch .LBB11_820
.LBB11_818:                             ;   in Loop: Header=BB11_820 Depth=2
	s_or_b64 exec, exec, s[20:21]
.LBB11_819:                             ;   in Loop: Header=BB11_820 Depth=2
	v_add_u32_e32 v8, 1, v29
	v_cndmask_b32_e64 v25, v25, v29, s[18:19]
	v_cndmask_b32_e64 v22, v8, v22, s[18:19]
	v_cmp_ge_u32_e32 vcc, v22, v25
	s_or_b64 s[10:11], vcc, s[10:11]
	s_andn2_b64 exec, exec, s[10:11]
	s_cbranch_execz .LBB11_825
.LBB11_820:                             ;   Parent Loop BB11_816 Depth=1
                                        ; =>  This Loop Header: Depth=2
                                        ;       Child Loop BB11_823 Depth 3
	v_add_u32_e32 v8, v25, v22
	v_lshrrev_b32_e32 v29, 1, v8
	s_and_b64 vcc, exec, s[6:7]
	s_mov_b64 s[18:19], 0
	s_cbranch_vccnz .LBB11_819
; %bb.821:                              ;   in Loop: Header=BB11_820 Depth=2
	v_not_b32_e32 v8, v29
	v_lshl_add_u32 v8, v8, 3, v28
	ds_read_b64 v[8:9], v8
	v_lshl_add_u32 v30, v29, 3, v21
	ds_read_b64 v[30:31], v30
	v_pk_mov_b32 v[10:11], s[14:15], s[14:15] op_sel:[0,1]
	s_mov_b64 s[20:21], 0
	s_waitcnt lgkmcnt(1)
	v_mul_lo_u32 v32, v8, s13
	v_mul_lo_u32 v33, v9, s12
	v_mad_u64_u32 v[8:9], s[18:19], v8, s12, v[10:11]
	v_add3_u32 v9, v33, v9, v32
	s_waitcnt lgkmcnt(0)
	v_mul_lo_u32 v32, v30, s13
	v_mul_lo_u32 v31, v31, s12
	v_mad_u64_u32 v[10:11], s[18:19], v30, s12, v[10:11]
	v_add3_u32 v11, v31, v11, v32
	s_mov_b64 s[28:29], s[12:13]
                                        ; implicit-def: $sgpr18_sgpr19
                                        ; implicit-def: $sgpr24_sgpr25
                                        ; implicit-def: $sgpr26_sgpr27
                                        ; implicit-def: $sgpr30_sgpr31
                                        ; implicit-def: $sgpr34_sgpr35
	s_branch .LBB11_823
.LBB11_822:                             ;   in Loop: Header=BB11_823 Depth=3
	s_or_b64 exec, exec, s[36:37]
	s_and_b64 s[36:37], exec, s[24:25]
	s_or_b64 s[20:21], s[36:37], s[20:21]
	s_andn2_b64 s[34:35], s[34:35], exec
	s_and_b64 s[36:37], s[26:27], exec
	s_or_b64 s[34:35], s[34:35], s[36:37]
	s_andn2_b64 s[18:19], s[18:19], exec
	s_and_b64 s[36:37], s[30:31], exec
	s_or_b64 s[18:19], s[18:19], s[36:37]
	s_andn2_b64 exec, exec, s[20:21]
	s_cbranch_execz .LBB11_818
.LBB11_823:                             ;   Parent Loop BB11_816 Depth=1
                                        ;     Parent Loop BB11_820 Depth=2
                                        ; =>    This Inner Loop Header: Depth=3
	global_load_ubyte v30, v[8:9], off
	global_load_ubyte v31, v[10:11], off
	s_andn2_b64 s[30:31], s[30:31], exec
	s_andn2_b64 s[26:27], s[26:27], exec
	s_or_b64 s[24:25], s[24:25], exec
	s_waitcnt vmcnt(0)
	v_cmp_le_u16_sdwa s[38:39], v30, v31 src0_sel:BYTE_0 src1_sel:BYTE_0
	v_cmp_lt_u16_sdwa s[36:37], v30, v31 src0_sel:BYTE_0 src1_sel:BYTE_0
	s_and_b64 s[38:39], s[38:39], s[34:35]
	s_or_b64 s[38:39], s[36:37], s[38:39]
	s_and_b64 s[36:37], s[38:39], exec
	v_cmp_eq_u16_sdwa s[40:41], v30, v31 src0_sel:BYTE_0 src1_sel:BYTE_0
	s_or_b64 s[30:31], s[30:31], s[36:37]
	s_and_saveexec_b64 s[36:37], s[40:41]
	s_cbranch_execz .LBB11_822
; %bb.824:                              ;   in Loop: Header=BB11_823 Depth=3
	s_add_u32 s28, s28, -1
	s_addc_u32 s29, s29, -1
	v_add_co_u32_e32 v8, vcc, 1, v8
	s_cmp_eq_u64 s[28:29], 0
	v_addc_co_u32_e32 v9, vcc, 0, v9, vcc
	s_cselect_b64 s[34:35], -1, 0
	v_add_co_u32_e32 v10, vcc, 1, v10
	s_andn2_b64 s[26:27], s[26:27], exec
	s_and_b64 s[38:39], s[38:39], exec
	s_andn2_b64 s[24:25], s[24:25], exec
	s_and_b64 s[34:35], s[34:35], exec
	v_addc_co_u32_e32 v11, vcc, 0, v11, vcc
	s_andn2_b64 s[30:31], s[30:31], exec
	s_or_b64 s[26:27], s[26:27], s[38:39]
	s_or_b64 s[24:25], s[24:25], s[34:35]
                                        ; implicit-def: $sgpr34_sgpr35
	s_branch .LBB11_822
.LBB11_825:                             ;   in Loop: Header=BB11_816 Depth=1
	s_or_b64 exec, exec, s[10:11]
.LBB11_826:                             ;   in Loop: Header=BB11_816 Depth=1
	s_or_b64 exec, exec, s[8:9]
	v_sub_u32_e32 v9, v24, v22
	v_add_u32_e32 v8, v22, v23
	v_add_u32_e32 v9, v9, v19
	v_cmp_le_u32_e32 vcc, v8, v19
	v_cmp_le_u32_e64 s[8:9], v9, v20
	s_or_b64 s[8:9], vcc, s[8:9]
	s_and_saveexec_b64 s[10:11], s[8:9]
	s_cbranch_execz .LBB11_815
; %bb.827:                              ;   in Loop: Header=BB11_816 Depth=1
	v_cmp_ge_u32_e32 vcc, v8, v19
	v_cmp_lt_u32_e64 s[8:9], v8, v19
                                        ; implicit-def: $vgpr0_vgpr1
	s_and_saveexec_b64 s[18:19], s[8:9]
	s_cbranch_execz .LBB11_829
; %bb.828:                              ;   in Loop: Header=BB11_816 Depth=1
	v_lshl_add_u32 v0, v22, 3, v21
	ds_read_b64 v[0:1], v0
.LBB11_829:                             ;   in Loop: Header=BB11_816 Depth=1
	s_or_b64 exec, exec, s[18:19]
	v_cmp_ge_u32_e64 s[18:19], v9, v20
	v_cmp_lt_u32_e64 s[8:9], v9, v20
                                        ; implicit-def: $vgpr2_vgpr3
	s_and_saveexec_b64 s[20:21], s[8:9]
	s_cbranch_execz .LBB11_831
; %bb.830:                              ;   in Loop: Header=BB11_816 Depth=1
	v_lshlrev_b32_e32 v2, 3, v9
	ds_read_b64 v[2:3], v2
.LBB11_831:                             ;   in Loop: Header=BB11_816 Depth=1
	s_or_b64 exec, exec, s[20:21]
	s_or_b64 s[8:9], vcc, s[18:19]
	s_xor_b64 s[20:21], s[8:9], -1
	s_and_saveexec_b64 s[8:9], s[20:21]
	s_cbranch_execz .LBB11_840
; %bb.832:                              ;   in Loop: Header=BB11_816 Depth=1
	s_and_b64 vcc, exec, s[6:7]
	s_cbranch_vccnz .LBB11_838
; %bb.833:                              ;   in Loop: Header=BB11_816 Depth=1
	v_pk_mov_b32 v[6:7], s[14:15], s[14:15] op_sel:[0,1]
	s_waitcnt lgkmcnt(0)
	v_mad_u64_u32 v[4:5], s[20:21], v2, s12, v[6:7]
	v_mul_lo_u32 v10, v2, s13
	v_mul_lo_u32 v11, v3, s12
	v_add3_u32 v5, v11, v5, v10
	v_mad_u64_u32 v[6:7], s[20:21], v0, s12, v[6:7]
	v_mul_lo_u32 v10, v0, s13
	v_mul_lo_u32 v11, v1, s12
	v_add3_u32 v7, v11, v7, v10
	s_mov_b64 s[20:21], 0
	s_mov_b64 s[30:31], s[12:13]
                                        ; implicit-def: $sgpr24_sgpr25
                                        ; implicit-def: $sgpr26_sgpr27
                                        ; implicit-def: $sgpr34_sgpr35
                                        ; implicit-def: $sgpr28_sgpr29
                                        ; implicit-def: $sgpr36_sgpr37
	s_branch .LBB11_835
.LBB11_834:                             ;   in Loop: Header=BB11_835 Depth=2
	s_or_b64 exec, exec, s[38:39]
	s_and_b64 s[38:39], exec, s[26:27]
	s_or_b64 s[20:21], s[38:39], s[20:21]
	s_andn2_b64 s[36:37], s[36:37], exec
	s_and_b64 s[38:39], s[28:29], exec
	s_or_b64 s[36:37], s[36:37], s[38:39]
	s_andn2_b64 s[24:25], s[24:25], exec
	s_and_b64 s[38:39], s[34:35], exec
	s_or_b64 s[24:25], s[24:25], s[38:39]
	s_andn2_b64 exec, exec, s[20:21]
	s_cbranch_execz .LBB11_837
.LBB11_835:                             ;   Parent Loop BB11_816 Depth=1
                                        ; =>  This Inner Loop Header: Depth=2
	global_load_ubyte v10, v[4:5], off
	global_load_ubyte v11, v[6:7], off
	s_andn2_b64 s[34:35], s[34:35], exec
	s_andn2_b64 s[28:29], s[28:29], exec
	s_or_b64 s[26:27], s[26:27], exec
	s_waitcnt vmcnt(0)
	v_cmp_le_u16_sdwa s[40:41], v10, v11 src0_sel:BYTE_0 src1_sel:BYTE_0
	v_cmp_lt_u16_sdwa s[38:39], v10, v11 src0_sel:BYTE_0 src1_sel:BYTE_0
	s_and_b64 s[40:41], s[40:41], s[36:37]
	s_or_b64 s[40:41], s[38:39], s[40:41]
	s_and_b64 s[38:39], s[40:41], exec
	v_cmp_eq_u16_sdwa s[42:43], v10, v11 src0_sel:BYTE_0 src1_sel:BYTE_0
	s_or_b64 s[34:35], s[34:35], s[38:39]
	s_and_saveexec_b64 s[38:39], s[42:43]
	s_cbranch_execz .LBB11_834
; %bb.836:                              ;   in Loop: Header=BB11_835 Depth=2
	s_add_u32 s30, s30, -1
	s_addc_u32 s31, s31, -1
	v_add_co_u32_e32 v4, vcc, 1, v4
	s_cmp_eq_u64 s[30:31], 0
	v_addc_co_u32_e32 v5, vcc, 0, v5, vcc
	s_cselect_b64 s[36:37], -1, 0
	v_add_co_u32_e32 v6, vcc, 1, v6
	s_andn2_b64 s[28:29], s[28:29], exec
	s_and_b64 s[40:41], s[40:41], exec
	s_andn2_b64 s[26:27], s[26:27], exec
	s_and_b64 s[36:37], s[36:37], exec
	v_addc_co_u32_e32 v7, vcc, 0, v7, vcc
	s_or_b64 s[28:29], s[28:29], s[40:41]
	s_andn2_b64 s[34:35], s[34:35], exec
	s_or_b64 s[26:27], s[26:27], s[36:37]
                                        ; implicit-def: $sgpr36_sgpr37
	s_branch .LBB11_834
.LBB11_837:                             ;   in Loop: Header=BB11_816 Depth=1
	s_or_b64 exec, exec, s[20:21]
	s_xor_b64 s[20:21], s[24:25], -1
	s_branch .LBB11_839
.LBB11_838:                             ;   in Loop: Header=BB11_816 Depth=1
	s_mov_b64 s[20:21], -1
.LBB11_839:                             ;   in Loop: Header=BB11_816 Depth=1
	s_andn2_b64 s[18:19], s[18:19], exec
	s_and_b64 s[20:21], s[20:21], exec
	s_or_b64 s[18:19], s[18:19], s[20:21]
.LBB11_840:                             ;   in Loop: Header=BB11_816 Depth=1
	s_or_b64 exec, exec, s[8:9]
	v_cndmask_b32_e64 v4, v9, v8, s[18:19]
	v_cndmask_b32_e64 v5, v20, v19, s[18:19]
	v_add_u32_e32 v6, 1, v4
	v_add_u32_e32 v4, -1, v5
	v_min_u32_e32 v4, v6, v4
	v_lshlrev_b32_e32 v4, 3, v4
	ds_read_b64 v[4:5], v4
	v_cndmask_b32_e64 v9, v6, v9, s[18:19]
	v_cndmask_b32_e64 v8, v8, v6, s[18:19]
	v_cmp_lt_u32_e32 vcc, v9, v20
	s_mov_b64 s[8:9], -1
	s_waitcnt lgkmcnt(0)
	v_cndmask_b32_e64 v21, v5, v3, s[18:19]
	v_cndmask_b32_e64 v22, v4, v2, s[18:19]
	;; [unrolled: 1-line block ×4, first 2 shown]
	s_mov_b64 s[20:21], -1
	s_and_saveexec_b64 s[24:25], vcc
	s_cbranch_execz .LBB11_851
; %bb.841:                              ;   in Loop: Header=BB11_816 Depth=1
	v_cmp_lt_u32_e32 vcc, v8, v19
	s_mov_b64 s[26:27], 0
	s_and_saveexec_b64 s[20:21], vcc
	s_cbranch_execz .LBB11_850
; %bb.842:                              ;   in Loop: Header=BB11_816 Depth=1
	s_and_b64 vcc, exec, s[6:7]
	s_cbranch_vccnz .LBB11_848
; %bb.843:                              ;   in Loop: Header=BB11_816 Depth=1
	v_pk_mov_b32 v[6:7], s[14:15], s[14:15] op_sel:[0,1]
	v_mad_u64_u32 v[4:5], s[26:27], v22, s12, v[6:7]
	v_mul_lo_u32 v10, v22, s13
	v_mul_lo_u32 v11, v21, s12
	v_add3_u32 v5, v11, v5, v10
	v_mad_u64_u32 v[6:7], s[26:27], v24, s12, v[6:7]
	v_mul_lo_u32 v10, v24, s13
	v_mul_lo_u32 v11, v23, s12
	v_add3_u32 v7, v11, v7, v10
	s_mov_b64 s[26:27], 0
	s_mov_b64 s[36:37], s[12:13]
                                        ; implicit-def: $sgpr28_sgpr29
                                        ; implicit-def: $sgpr30_sgpr31
                                        ; implicit-def: $sgpr38_sgpr39
                                        ; implicit-def: $sgpr34_sgpr35
                                        ; implicit-def: $sgpr40_sgpr41
	s_branch .LBB11_845
.LBB11_844:                             ;   in Loop: Header=BB11_845 Depth=2
	s_or_b64 exec, exec, s[42:43]
	s_and_b64 s[42:43], exec, s[30:31]
	s_or_b64 s[26:27], s[42:43], s[26:27]
	s_andn2_b64 s[40:41], s[40:41], exec
	s_and_b64 s[42:43], s[34:35], exec
	s_or_b64 s[40:41], s[40:41], s[42:43]
	s_andn2_b64 s[28:29], s[28:29], exec
	s_and_b64 s[42:43], s[38:39], exec
	s_or_b64 s[28:29], s[28:29], s[42:43]
	s_andn2_b64 exec, exec, s[26:27]
	s_cbranch_execz .LBB11_847
.LBB11_845:                             ;   Parent Loop BB11_816 Depth=1
                                        ; =>  This Inner Loop Header: Depth=2
	global_load_ubyte v10, v[4:5], off
	global_load_ubyte v11, v[6:7], off
	s_andn2_b64 s[38:39], s[38:39], exec
	s_andn2_b64 s[34:35], s[34:35], exec
	s_or_b64 s[30:31], s[30:31], exec
	s_waitcnt vmcnt(0)
	v_cmp_le_u16_sdwa s[44:45], v10, v11 src0_sel:BYTE_0 src1_sel:BYTE_0
	v_cmp_lt_u16_sdwa s[42:43], v10, v11 src0_sel:BYTE_0 src1_sel:BYTE_0
	s_and_b64 s[44:45], s[44:45], s[40:41]
	s_or_b64 s[44:45], s[42:43], s[44:45]
	s_and_b64 s[42:43], s[44:45], exec
	v_cmp_eq_u16_sdwa s[46:47], v10, v11 src0_sel:BYTE_0 src1_sel:BYTE_0
	s_or_b64 s[38:39], s[38:39], s[42:43]
	s_and_saveexec_b64 s[42:43], s[46:47]
	s_cbranch_execz .LBB11_844
; %bb.846:                              ;   in Loop: Header=BB11_845 Depth=2
	s_add_u32 s36, s36, -1
	s_addc_u32 s37, s37, -1
	v_add_co_u32_e32 v4, vcc, 1, v4
	s_cmp_eq_u64 s[36:37], 0
	v_addc_co_u32_e32 v5, vcc, 0, v5, vcc
	s_cselect_b64 s[40:41], -1, 0
	v_add_co_u32_e32 v6, vcc, 1, v6
	s_andn2_b64 s[34:35], s[34:35], exec
	s_and_b64 s[44:45], s[44:45], exec
	s_andn2_b64 s[30:31], s[30:31], exec
	s_and_b64 s[40:41], s[40:41], exec
	v_addc_co_u32_e32 v7, vcc, 0, v7, vcc
	s_or_b64 s[34:35], s[34:35], s[44:45]
	s_andn2_b64 s[38:39], s[38:39], exec
	s_or_b64 s[30:31], s[30:31], s[40:41]
                                        ; implicit-def: $sgpr40_sgpr41
	s_branch .LBB11_844
.LBB11_847:                             ;   in Loop: Header=BB11_816 Depth=1
	s_or_b64 exec, exec, s[26:27]
	s_xor_b64 s[26:27], s[28:29], -1
	s_branch .LBB11_849
.LBB11_848:                             ;   in Loop: Header=BB11_816 Depth=1
	s_mov_b64 s[26:27], -1
.LBB11_849:                             ;   in Loop: Header=BB11_816 Depth=1
	s_and_b64 s[26:27], s[26:27], exec
.LBB11_850:                             ;   in Loop: Header=BB11_816 Depth=1
	s_or_b64 exec, exec, s[20:21]
	s_orn2_b64 s[20:21], s[26:27], exec
.LBB11_851:                             ;   in Loop: Header=BB11_816 Depth=1
	s_or_b64 exec, exec, s[24:25]
	v_cndmask_b32_e64 v4, v9, v8, s[20:21]
	v_cndmask_b32_e64 v5, v20, v19, s[20:21]
	v_add_u32_e32 v6, 1, v4
	v_add_u32_e32 v4, -1, v5
	v_min_u32_e32 v4, v6, v4
	v_lshlrev_b32_e32 v4, 3, v4
	ds_read_b64 v[4:5], v4
	v_cndmask_b32_e64 v9, v6, v9, s[20:21]
	v_cndmask_b32_e64 v8, v8, v6, s[20:21]
	v_cmp_lt_u32_e32 vcc, v9, v20
	s_waitcnt lgkmcnt(0)
	v_cndmask_b32_e64 v25, v5, v21, s[20:21]
	v_cndmask_b32_e64 v28, v4, v22, s[20:21]
	;; [unrolled: 1-line block ×4, first 2 shown]
	s_and_saveexec_b64 s[24:25], vcc
	s_cbranch_execz .LBB11_862
; %bb.852:                              ;   in Loop: Header=BB11_816 Depth=1
	v_cmp_lt_u32_e32 vcc, v8, v19
	s_mov_b64 s[26:27], 0
	s_and_saveexec_b64 s[8:9], vcc
	s_cbranch_execz .LBB11_861
; %bb.853:                              ;   in Loop: Header=BB11_816 Depth=1
	s_and_b64 vcc, exec, s[6:7]
	s_cbranch_vccnz .LBB11_859
; %bb.854:                              ;   in Loop: Header=BB11_816 Depth=1
	v_pk_mov_b32 v[6:7], s[14:15], s[14:15] op_sel:[0,1]
	v_mad_u64_u32 v[4:5], s[26:27], v28, s12, v[6:7]
	v_mul_lo_u32 v10, v28, s13
	v_mul_lo_u32 v11, v25, s12
	v_add3_u32 v5, v11, v5, v10
	v_mad_u64_u32 v[6:7], s[26:27], v30, s12, v[6:7]
	v_mul_lo_u32 v10, v30, s13
	v_mul_lo_u32 v11, v29, s12
	v_add3_u32 v7, v11, v7, v10
	s_mov_b64 s[26:27], 0
	s_mov_b64 s[36:37], s[12:13]
                                        ; implicit-def: $sgpr28_sgpr29
                                        ; implicit-def: $sgpr30_sgpr31
                                        ; implicit-def: $sgpr38_sgpr39
                                        ; implicit-def: $sgpr34_sgpr35
                                        ; implicit-def: $sgpr40_sgpr41
	s_branch .LBB11_856
.LBB11_855:                             ;   in Loop: Header=BB11_856 Depth=2
	s_or_b64 exec, exec, s[42:43]
	s_and_b64 s[42:43], exec, s[30:31]
	s_or_b64 s[26:27], s[42:43], s[26:27]
	s_andn2_b64 s[40:41], s[40:41], exec
	s_and_b64 s[42:43], s[34:35], exec
	s_or_b64 s[40:41], s[40:41], s[42:43]
	s_andn2_b64 s[28:29], s[28:29], exec
	s_and_b64 s[42:43], s[38:39], exec
	s_or_b64 s[28:29], s[28:29], s[42:43]
	s_andn2_b64 exec, exec, s[26:27]
	s_cbranch_execz .LBB11_858
.LBB11_856:                             ;   Parent Loop BB11_816 Depth=1
                                        ; =>  This Inner Loop Header: Depth=2
	global_load_ubyte v10, v[4:5], off
	global_load_ubyte v11, v[6:7], off
	s_andn2_b64 s[38:39], s[38:39], exec
	s_andn2_b64 s[34:35], s[34:35], exec
	s_or_b64 s[30:31], s[30:31], exec
	s_waitcnt vmcnt(0)
	v_cmp_le_u16_sdwa s[44:45], v10, v11 src0_sel:BYTE_0 src1_sel:BYTE_0
	v_cmp_lt_u16_sdwa s[42:43], v10, v11 src0_sel:BYTE_0 src1_sel:BYTE_0
	s_and_b64 s[44:45], s[44:45], s[40:41]
	s_or_b64 s[44:45], s[42:43], s[44:45]
	s_and_b64 s[42:43], s[44:45], exec
	v_cmp_eq_u16_sdwa s[46:47], v10, v11 src0_sel:BYTE_0 src1_sel:BYTE_0
	s_or_b64 s[38:39], s[38:39], s[42:43]
	s_and_saveexec_b64 s[42:43], s[46:47]
	s_cbranch_execz .LBB11_855
; %bb.857:                              ;   in Loop: Header=BB11_856 Depth=2
	s_add_u32 s36, s36, -1
	s_addc_u32 s37, s37, -1
	v_add_co_u32_e32 v4, vcc, 1, v4
	s_cmp_eq_u64 s[36:37], 0
	v_addc_co_u32_e32 v5, vcc, 0, v5, vcc
	s_cselect_b64 s[40:41], -1, 0
	v_add_co_u32_e32 v6, vcc, 1, v6
	s_andn2_b64 s[34:35], s[34:35], exec
	s_and_b64 s[44:45], s[44:45], exec
	s_andn2_b64 s[30:31], s[30:31], exec
	s_and_b64 s[40:41], s[40:41], exec
	v_addc_co_u32_e32 v7, vcc, 0, v7, vcc
	s_or_b64 s[34:35], s[34:35], s[44:45]
	s_andn2_b64 s[38:39], s[38:39], exec
	s_or_b64 s[30:31], s[30:31], s[40:41]
                                        ; implicit-def: $sgpr40_sgpr41
	s_branch .LBB11_855
.LBB11_858:                             ;   in Loop: Header=BB11_816 Depth=1
	s_or_b64 exec, exec, s[26:27]
	s_xor_b64 s[26:27], s[28:29], -1
	s_branch .LBB11_860
.LBB11_859:                             ;   in Loop: Header=BB11_816 Depth=1
	s_mov_b64 s[26:27], -1
.LBB11_860:                             ;   in Loop: Header=BB11_816 Depth=1
	s_and_b64 s[26:27], s[26:27], exec
.LBB11_861:                             ;   in Loop: Header=BB11_816 Depth=1
	s_or_b64 exec, exec, s[8:9]
	s_orn2_b64 s[8:9], s[26:27], exec
.LBB11_862:                             ;   in Loop: Header=BB11_816 Depth=1
	s_or_b64 exec, exec, s[24:25]
	v_cndmask_b32_e64 v4, v9, v8, s[8:9]
	v_cndmask_b32_e64 v5, v20, v19, s[8:9]
	v_add_u32_e32 v10, 1, v4
	v_add_u32_e32 v4, -1, v5
	v_min_u32_e32 v4, v10, v4
	v_lshlrev_b32_e32 v4, 3, v4
	ds_read_b64 v[4:5], v4
	v_cndmask_b32_e64 v9, v10, v9, s[8:9]
	v_cmp_lt_u32_e32 vcc, v9, v20
	s_waitcnt lgkmcnt(0)
	v_cndmask_b32_e64 v7, v29, v5, s[8:9]
	v_cndmask_b32_e64 v6, v30, v4, s[8:9]
	s_and_saveexec_b64 s[24:25], vcc
	s_cbranch_execz .LBB11_814
; %bb.863:                              ;   in Loop: Header=BB11_816 Depth=1
	v_cndmask_b32_e64 v8, v8, v10, s[8:9]
	v_cndmask_b32_e64 v5, v5, v25, s[8:9]
	;; [unrolled: 1-line block ×3, first 2 shown]
	v_cmp_lt_u32_e32 vcc, v8, v19
	s_and_saveexec_b64 s[26:27], vcc
	s_cbranch_execz .LBB11_813
; %bb.864:                              ;   in Loop: Header=BB11_816 Depth=1
	s_and_b64 vcc, exec, s[6:7]
	s_cbranch_vccnz .LBB11_812
; %bb.865:                              ;   in Loop: Header=BB11_816 Depth=1
	v_pk_mov_b32 v[10:11], s[14:15], s[14:15] op_sel:[0,1]
	v_mad_u64_u32 v[8:9], s[28:29], v4, s12, v[10:11]
	v_mul_lo_u32 v19, v4, s13
	v_mul_lo_u32 v20, v5, s12
	v_add3_u32 v9, v20, v9, v19
	v_mad_u64_u32 v[10:11], s[28:29], v6, s12, v[10:11]
	v_mul_lo_u32 v19, v6, s13
	v_mul_lo_u32 v20, v7, s12
	v_add3_u32 v11, v20, v11, v19
	s_mov_b64 s[28:29], 0
	s_mov_b64 s[38:39], s[12:13]
                                        ; implicit-def: $sgpr30_sgpr31
                                        ; implicit-def: $sgpr34_sgpr35
                                        ; implicit-def: $sgpr40_sgpr41
                                        ; implicit-def: $sgpr36_sgpr37
                                        ; implicit-def: $sgpr42_sgpr43
	s_branch .LBB11_867
.LBB11_866:                             ;   in Loop: Header=BB11_867 Depth=2
	s_or_b64 exec, exec, s[44:45]
	s_and_b64 s[44:45], exec, s[34:35]
	s_or_b64 s[28:29], s[44:45], s[28:29]
	s_andn2_b64 s[42:43], s[42:43], exec
	s_and_b64 s[44:45], s[36:37], exec
	s_or_b64 s[42:43], s[42:43], s[44:45]
	s_andn2_b64 s[30:31], s[30:31], exec
	s_and_b64 s[44:45], s[40:41], exec
	s_or_b64 s[30:31], s[30:31], s[44:45]
	s_andn2_b64 exec, exec, s[28:29]
	s_cbranch_execz .LBB11_811
.LBB11_867:                             ;   Parent Loop BB11_816 Depth=1
                                        ; =>  This Inner Loop Header: Depth=2
	global_load_ubyte v19, v[8:9], off
	global_load_ubyte v20, v[10:11], off
	s_andn2_b64 s[40:41], s[40:41], exec
	s_andn2_b64 s[36:37], s[36:37], exec
	s_or_b64 s[34:35], s[34:35], exec
	s_waitcnt vmcnt(0)
	v_cmp_le_u16_sdwa s[46:47], v19, v20 src0_sel:BYTE_0 src1_sel:BYTE_0
	v_cmp_lt_u16_sdwa s[44:45], v19, v20 src0_sel:BYTE_0 src1_sel:BYTE_0
	s_and_b64 s[46:47], s[46:47], s[42:43]
	s_or_b64 s[46:47], s[44:45], s[46:47]
	s_and_b64 s[44:45], s[46:47], exec
	v_cmp_eq_u16_sdwa s[50:51], v19, v20 src0_sel:BYTE_0 src1_sel:BYTE_0
	s_or_b64 s[40:41], s[40:41], s[44:45]
	s_and_saveexec_b64 s[44:45], s[50:51]
	s_cbranch_execz .LBB11_866
; %bb.868:                              ;   in Loop: Header=BB11_867 Depth=2
	s_add_u32 s38, s38, -1
	s_addc_u32 s39, s39, -1
	v_add_co_u32_e32 v8, vcc, 1, v8
	s_cmp_eq_u64 s[38:39], 0
	v_addc_co_u32_e32 v9, vcc, 0, v9, vcc
	s_cselect_b64 s[42:43], -1, 0
	v_add_co_u32_e32 v10, vcc, 1, v10
	s_andn2_b64 s[36:37], s[36:37], exec
	s_and_b64 s[46:47], s[46:47], exec
	s_andn2_b64 s[34:35], s[34:35], exec
	s_and_b64 s[42:43], s[42:43], exec
	v_addc_co_u32_e32 v11, vcc, 0, v11, vcc
	s_or_b64 s[36:37], s[36:37], s[46:47]
	s_andn2_b64 s[40:41], s[40:41], exec
	s_or_b64 s[34:35], s[34:35], s[42:43]
                                        ; implicit-def: $sgpr42_sgpr43
	s_branch .LBB11_866
.LBB11_869:
	s_barrier
	ds_write2_b64 v17, v[0:1], v[2:3] offset1:1
	ds_write2_b64 v17, v[4:5], v[6:7] offset0:2 offset1:3
	s_waitcnt lgkmcnt(0)
	s_barrier
	ds_read_b64 v[6:7], v13 offset:2048
	ds_read_b64 v[2:3], v15 offset:4096
	;; [unrolled: 1-line block ×3, first 2 shown]
	v_mov_b32_e32 v5, s17
	v_add_co_u32_e32 v4, vcc, s16, v26
	v_mov_b32_e32 v13, 0
	v_addc_co_u32_e32 v5, vcc, 0, v5, vcc
	s_and_saveexec_b64 s[6:7], s[0:1]
	s_cbranch_execnz .LBB11_877
; %bb.870:
	s_or_b64 exec, exec, s[6:7]
	s_and_saveexec_b64 s[0:1], s[2:3]
	s_cbranch_execnz .LBB11_878
.LBB11_871:
	s_or_b64 exec, exec, s[0:1]
	s_and_saveexec_b64 s[0:1], s[4:5]
	s_cbranch_execz .LBB11_873
.LBB11_872:
	v_add_co_u32_e32 v4, vcc, 0x1000, v4
	v_addc_co_u32_e32 v5, vcc, 0, v5, vcc
	s_waitcnt lgkmcnt(1)
	global_store_dwordx2 v[4:5], v[2:3], off
.LBB11_873:
	s_or_b64 exec, exec, s[0:1]
.LBB11_874:
	s_and_saveexec_b64 s[0:1], s[22:23]
	s_cbranch_execz .LBB11_876
; %bb.875:
	s_waitcnt lgkmcnt(1)
	v_lshlrev_b64 v[2:3], 3, v[12:13]
	v_mov_b32_e32 v4, s17
	v_add_co_u32_e32 v2, vcc, s16, v2
	v_addc_co_u32_e32 v3, vcc, v4, v3, vcc
	v_add_co_u32_e32 v2, vcc, 0x1000, v2
	v_addc_co_u32_e32 v3, vcc, 0, v3, vcc
	s_waitcnt lgkmcnt(0)
	global_store_dwordx2 v[2:3], v[0:1], off offset:2048
.LBB11_876:
	s_endpgm
.LBB11_877:
	ds_read_b64 v[8:9], v14
	s_waitcnt lgkmcnt(0)
	global_store_dwordx2 v[4:5], v[8:9], off
	s_or_b64 exec, exec, s[6:7]
	s_and_saveexec_b64 s[0:1], s[2:3]
	s_cbranch_execz .LBB11_871
.LBB11_878:
	s_waitcnt lgkmcnt(2)
	global_store_dwordx2 v[4:5], v[6:7], off offset:2048
	s_or_b64 exec, exec, s[0:1]
	s_and_saveexec_b64 s[0:1], s[4:5]
	s_cbranch_execnz .LBB11_872
	s_branch .LBB11_873
	.section	.rodata,"a",@progbits
	.p2align	6, 0x0
	.amdhsa_kernel _ZN7rocprim17ROCPRIM_400000_NS6detail17trampoline_kernelINS0_14default_configENS1_37merge_sort_block_sort_config_selectorIlNS0_10empty_typeEEEZNS1_21merge_sort_block_sortIS3_PlS8_PS5_S9_ZN2at6native12_GLOBAL__N_124unique_dim_cuda_templateIhEESt5tupleIJNSA_6TensorESF_SF_EERKSF_lbbbEUlllE_EE10hipError_tT0_T1_T2_T3_mRjT4_P12ihipStream_tbNS1_7vsmem_tEEUlT_E_NS1_11comp_targetILNS1_3genE4ELNS1_11target_archE910ELNS1_3gpuE8ELNS1_3repE0EEENS1_30default_config_static_selectorELNS0_4arch9wavefront6targetE1EEEvSM_
		.amdhsa_group_segment_fixed_size 8448
		.amdhsa_private_segment_fixed_size 0
		.amdhsa_kernarg_size 328
		.amdhsa_user_sgpr_count 6
		.amdhsa_user_sgpr_private_segment_buffer 1
		.amdhsa_user_sgpr_dispatch_ptr 0
		.amdhsa_user_sgpr_queue_ptr 0
		.amdhsa_user_sgpr_kernarg_segment_ptr 1
		.amdhsa_user_sgpr_dispatch_id 0
		.amdhsa_user_sgpr_flat_scratch_init 0
		.amdhsa_user_sgpr_kernarg_preload_length 0
		.amdhsa_user_sgpr_kernarg_preload_offset 0
		.amdhsa_user_sgpr_private_segment_size 0
		.amdhsa_uses_dynamic_stack 0
		.amdhsa_system_sgpr_private_segment_wavefront_offset 0
		.amdhsa_system_sgpr_workgroup_id_x 1
		.amdhsa_system_sgpr_workgroup_id_y 1
		.amdhsa_system_sgpr_workgroup_id_z 1
		.amdhsa_system_sgpr_workgroup_info 0
		.amdhsa_system_vgpr_workitem_id 2
		.amdhsa_next_free_vgpr 46
		.amdhsa_next_free_sgpr 54
		.amdhsa_accum_offset 48
		.amdhsa_reserve_vcc 1
		.amdhsa_reserve_flat_scratch 0
		.amdhsa_float_round_mode_32 0
		.amdhsa_float_round_mode_16_64 0
		.amdhsa_float_denorm_mode_32 3
		.amdhsa_float_denorm_mode_16_64 3
		.amdhsa_dx10_clamp 1
		.amdhsa_ieee_mode 1
		.amdhsa_fp16_overflow 0
		.amdhsa_tg_split 0
		.amdhsa_exception_fp_ieee_invalid_op 0
		.amdhsa_exception_fp_denorm_src 0
		.amdhsa_exception_fp_ieee_div_zero 0
		.amdhsa_exception_fp_ieee_overflow 0
		.amdhsa_exception_fp_ieee_underflow 0
		.amdhsa_exception_fp_ieee_inexact 0
		.amdhsa_exception_int_div_zero 0
	.end_amdhsa_kernel
	.section	.text._ZN7rocprim17ROCPRIM_400000_NS6detail17trampoline_kernelINS0_14default_configENS1_37merge_sort_block_sort_config_selectorIlNS0_10empty_typeEEEZNS1_21merge_sort_block_sortIS3_PlS8_PS5_S9_ZN2at6native12_GLOBAL__N_124unique_dim_cuda_templateIhEESt5tupleIJNSA_6TensorESF_SF_EERKSF_lbbbEUlllE_EE10hipError_tT0_T1_T2_T3_mRjT4_P12ihipStream_tbNS1_7vsmem_tEEUlT_E_NS1_11comp_targetILNS1_3genE4ELNS1_11target_archE910ELNS1_3gpuE8ELNS1_3repE0EEENS1_30default_config_static_selectorELNS0_4arch9wavefront6targetE1EEEvSM_,"axG",@progbits,_ZN7rocprim17ROCPRIM_400000_NS6detail17trampoline_kernelINS0_14default_configENS1_37merge_sort_block_sort_config_selectorIlNS0_10empty_typeEEEZNS1_21merge_sort_block_sortIS3_PlS8_PS5_S9_ZN2at6native12_GLOBAL__N_124unique_dim_cuda_templateIhEESt5tupleIJNSA_6TensorESF_SF_EERKSF_lbbbEUlllE_EE10hipError_tT0_T1_T2_T3_mRjT4_P12ihipStream_tbNS1_7vsmem_tEEUlT_E_NS1_11comp_targetILNS1_3genE4ELNS1_11target_archE910ELNS1_3gpuE8ELNS1_3repE0EEENS1_30default_config_static_selectorELNS0_4arch9wavefront6targetE1EEEvSM_,comdat
.Lfunc_end11:
	.size	_ZN7rocprim17ROCPRIM_400000_NS6detail17trampoline_kernelINS0_14default_configENS1_37merge_sort_block_sort_config_selectorIlNS0_10empty_typeEEEZNS1_21merge_sort_block_sortIS3_PlS8_PS5_S9_ZN2at6native12_GLOBAL__N_124unique_dim_cuda_templateIhEESt5tupleIJNSA_6TensorESF_SF_EERKSF_lbbbEUlllE_EE10hipError_tT0_T1_T2_T3_mRjT4_P12ihipStream_tbNS1_7vsmem_tEEUlT_E_NS1_11comp_targetILNS1_3genE4ELNS1_11target_archE910ELNS1_3gpuE8ELNS1_3repE0EEENS1_30default_config_static_selectorELNS0_4arch9wavefront6targetE1EEEvSM_, .Lfunc_end11-_ZN7rocprim17ROCPRIM_400000_NS6detail17trampoline_kernelINS0_14default_configENS1_37merge_sort_block_sort_config_selectorIlNS0_10empty_typeEEEZNS1_21merge_sort_block_sortIS3_PlS8_PS5_S9_ZN2at6native12_GLOBAL__N_124unique_dim_cuda_templateIhEESt5tupleIJNSA_6TensorESF_SF_EERKSF_lbbbEUlllE_EE10hipError_tT0_T1_T2_T3_mRjT4_P12ihipStream_tbNS1_7vsmem_tEEUlT_E_NS1_11comp_targetILNS1_3genE4ELNS1_11target_archE910ELNS1_3gpuE8ELNS1_3repE0EEENS1_30default_config_static_selectorELNS0_4arch9wavefront6targetE1EEEvSM_
                                        ; -- End function
	.section	.AMDGPU.csdata,"",@progbits
; Kernel info:
; codeLenInByte = 36300
; NumSgprs: 58
; NumVgprs: 46
; NumAgprs: 0
; TotalNumVgprs: 46
; ScratchSize: 0
; MemoryBound: 0
; FloatMode: 240
; IeeeMode: 1
; LDSByteSize: 8448 bytes/workgroup (compile time only)
; SGPRBlocks: 7
; VGPRBlocks: 5
; NumSGPRsForWavesPerEU: 58
; NumVGPRsForWavesPerEU: 46
; AccumOffset: 48
; Occupancy: 7
; WaveLimiterHint : 1
; COMPUTE_PGM_RSRC2:SCRATCH_EN: 0
; COMPUTE_PGM_RSRC2:USER_SGPR: 6
; COMPUTE_PGM_RSRC2:TRAP_HANDLER: 0
; COMPUTE_PGM_RSRC2:TGID_X_EN: 1
; COMPUTE_PGM_RSRC2:TGID_Y_EN: 1
; COMPUTE_PGM_RSRC2:TGID_Z_EN: 1
; COMPUTE_PGM_RSRC2:TIDIG_COMP_CNT: 2
; COMPUTE_PGM_RSRC3_GFX90A:ACCUM_OFFSET: 11
; COMPUTE_PGM_RSRC3_GFX90A:TG_SPLIT: 0
	.section	.text._ZN7rocprim17ROCPRIM_400000_NS6detail17trampoline_kernelINS0_14default_configENS1_37merge_sort_block_sort_config_selectorIlNS0_10empty_typeEEEZNS1_21merge_sort_block_sortIS3_PlS8_PS5_S9_ZN2at6native12_GLOBAL__N_124unique_dim_cuda_templateIhEESt5tupleIJNSA_6TensorESF_SF_EERKSF_lbbbEUlllE_EE10hipError_tT0_T1_T2_T3_mRjT4_P12ihipStream_tbNS1_7vsmem_tEEUlT_E_NS1_11comp_targetILNS1_3genE3ELNS1_11target_archE908ELNS1_3gpuE7ELNS1_3repE0EEENS1_30default_config_static_selectorELNS0_4arch9wavefront6targetE1EEEvSM_,"axG",@progbits,_ZN7rocprim17ROCPRIM_400000_NS6detail17trampoline_kernelINS0_14default_configENS1_37merge_sort_block_sort_config_selectorIlNS0_10empty_typeEEEZNS1_21merge_sort_block_sortIS3_PlS8_PS5_S9_ZN2at6native12_GLOBAL__N_124unique_dim_cuda_templateIhEESt5tupleIJNSA_6TensorESF_SF_EERKSF_lbbbEUlllE_EE10hipError_tT0_T1_T2_T3_mRjT4_P12ihipStream_tbNS1_7vsmem_tEEUlT_E_NS1_11comp_targetILNS1_3genE3ELNS1_11target_archE908ELNS1_3gpuE7ELNS1_3repE0EEENS1_30default_config_static_selectorELNS0_4arch9wavefront6targetE1EEEvSM_,comdat
	.globl	_ZN7rocprim17ROCPRIM_400000_NS6detail17trampoline_kernelINS0_14default_configENS1_37merge_sort_block_sort_config_selectorIlNS0_10empty_typeEEEZNS1_21merge_sort_block_sortIS3_PlS8_PS5_S9_ZN2at6native12_GLOBAL__N_124unique_dim_cuda_templateIhEESt5tupleIJNSA_6TensorESF_SF_EERKSF_lbbbEUlllE_EE10hipError_tT0_T1_T2_T3_mRjT4_P12ihipStream_tbNS1_7vsmem_tEEUlT_E_NS1_11comp_targetILNS1_3genE3ELNS1_11target_archE908ELNS1_3gpuE7ELNS1_3repE0EEENS1_30default_config_static_selectorELNS0_4arch9wavefront6targetE1EEEvSM_ ; -- Begin function _ZN7rocprim17ROCPRIM_400000_NS6detail17trampoline_kernelINS0_14default_configENS1_37merge_sort_block_sort_config_selectorIlNS0_10empty_typeEEEZNS1_21merge_sort_block_sortIS3_PlS8_PS5_S9_ZN2at6native12_GLOBAL__N_124unique_dim_cuda_templateIhEESt5tupleIJNSA_6TensorESF_SF_EERKSF_lbbbEUlllE_EE10hipError_tT0_T1_T2_T3_mRjT4_P12ihipStream_tbNS1_7vsmem_tEEUlT_E_NS1_11comp_targetILNS1_3genE3ELNS1_11target_archE908ELNS1_3gpuE7ELNS1_3repE0EEENS1_30default_config_static_selectorELNS0_4arch9wavefront6targetE1EEEvSM_
	.p2align	8
	.type	_ZN7rocprim17ROCPRIM_400000_NS6detail17trampoline_kernelINS0_14default_configENS1_37merge_sort_block_sort_config_selectorIlNS0_10empty_typeEEEZNS1_21merge_sort_block_sortIS3_PlS8_PS5_S9_ZN2at6native12_GLOBAL__N_124unique_dim_cuda_templateIhEESt5tupleIJNSA_6TensorESF_SF_EERKSF_lbbbEUlllE_EE10hipError_tT0_T1_T2_T3_mRjT4_P12ihipStream_tbNS1_7vsmem_tEEUlT_E_NS1_11comp_targetILNS1_3genE3ELNS1_11target_archE908ELNS1_3gpuE7ELNS1_3repE0EEENS1_30default_config_static_selectorELNS0_4arch9wavefront6targetE1EEEvSM_,@function
_ZN7rocprim17ROCPRIM_400000_NS6detail17trampoline_kernelINS0_14default_configENS1_37merge_sort_block_sort_config_selectorIlNS0_10empty_typeEEEZNS1_21merge_sort_block_sortIS3_PlS8_PS5_S9_ZN2at6native12_GLOBAL__N_124unique_dim_cuda_templateIhEESt5tupleIJNSA_6TensorESF_SF_EERKSF_lbbbEUlllE_EE10hipError_tT0_T1_T2_T3_mRjT4_P12ihipStream_tbNS1_7vsmem_tEEUlT_E_NS1_11comp_targetILNS1_3genE3ELNS1_11target_archE908ELNS1_3gpuE7ELNS1_3repE0EEENS1_30default_config_static_selectorELNS0_4arch9wavefront6targetE1EEEvSM_: ; @_ZN7rocprim17ROCPRIM_400000_NS6detail17trampoline_kernelINS0_14default_configENS1_37merge_sort_block_sort_config_selectorIlNS0_10empty_typeEEEZNS1_21merge_sort_block_sortIS3_PlS8_PS5_S9_ZN2at6native12_GLOBAL__N_124unique_dim_cuda_templateIhEESt5tupleIJNSA_6TensorESF_SF_EERKSF_lbbbEUlllE_EE10hipError_tT0_T1_T2_T3_mRjT4_P12ihipStream_tbNS1_7vsmem_tEEUlT_E_NS1_11comp_targetILNS1_3genE3ELNS1_11target_archE908ELNS1_3gpuE7ELNS1_3repE0EEENS1_30default_config_static_selectorELNS0_4arch9wavefront6targetE1EEEvSM_
; %bb.0:
	.section	.rodata,"a",@progbits
	.p2align	6, 0x0
	.amdhsa_kernel _ZN7rocprim17ROCPRIM_400000_NS6detail17trampoline_kernelINS0_14default_configENS1_37merge_sort_block_sort_config_selectorIlNS0_10empty_typeEEEZNS1_21merge_sort_block_sortIS3_PlS8_PS5_S9_ZN2at6native12_GLOBAL__N_124unique_dim_cuda_templateIhEESt5tupleIJNSA_6TensorESF_SF_EERKSF_lbbbEUlllE_EE10hipError_tT0_T1_T2_T3_mRjT4_P12ihipStream_tbNS1_7vsmem_tEEUlT_E_NS1_11comp_targetILNS1_3genE3ELNS1_11target_archE908ELNS1_3gpuE7ELNS1_3repE0EEENS1_30default_config_static_selectorELNS0_4arch9wavefront6targetE1EEEvSM_
		.amdhsa_group_segment_fixed_size 0
		.amdhsa_private_segment_fixed_size 0
		.amdhsa_kernarg_size 72
		.amdhsa_user_sgpr_count 6
		.amdhsa_user_sgpr_private_segment_buffer 1
		.amdhsa_user_sgpr_dispatch_ptr 0
		.amdhsa_user_sgpr_queue_ptr 0
		.amdhsa_user_sgpr_kernarg_segment_ptr 1
		.amdhsa_user_sgpr_dispatch_id 0
		.amdhsa_user_sgpr_flat_scratch_init 0
		.amdhsa_user_sgpr_kernarg_preload_length 0
		.amdhsa_user_sgpr_kernarg_preload_offset 0
		.amdhsa_user_sgpr_private_segment_size 0
		.amdhsa_uses_dynamic_stack 0
		.amdhsa_system_sgpr_private_segment_wavefront_offset 0
		.amdhsa_system_sgpr_workgroup_id_x 1
		.amdhsa_system_sgpr_workgroup_id_y 0
		.amdhsa_system_sgpr_workgroup_id_z 0
		.amdhsa_system_sgpr_workgroup_info 0
		.amdhsa_system_vgpr_workitem_id 0
		.amdhsa_next_free_vgpr 1
		.amdhsa_next_free_sgpr 0
		.amdhsa_accum_offset 4
		.amdhsa_reserve_vcc 0
		.amdhsa_reserve_flat_scratch 0
		.amdhsa_float_round_mode_32 0
		.amdhsa_float_round_mode_16_64 0
		.amdhsa_float_denorm_mode_32 3
		.amdhsa_float_denorm_mode_16_64 3
		.amdhsa_dx10_clamp 1
		.amdhsa_ieee_mode 1
		.amdhsa_fp16_overflow 0
		.amdhsa_tg_split 0
		.amdhsa_exception_fp_ieee_invalid_op 0
		.amdhsa_exception_fp_denorm_src 0
		.amdhsa_exception_fp_ieee_div_zero 0
		.amdhsa_exception_fp_ieee_overflow 0
		.amdhsa_exception_fp_ieee_underflow 0
		.amdhsa_exception_fp_ieee_inexact 0
		.amdhsa_exception_int_div_zero 0
	.end_amdhsa_kernel
	.section	.text._ZN7rocprim17ROCPRIM_400000_NS6detail17trampoline_kernelINS0_14default_configENS1_37merge_sort_block_sort_config_selectorIlNS0_10empty_typeEEEZNS1_21merge_sort_block_sortIS3_PlS8_PS5_S9_ZN2at6native12_GLOBAL__N_124unique_dim_cuda_templateIhEESt5tupleIJNSA_6TensorESF_SF_EERKSF_lbbbEUlllE_EE10hipError_tT0_T1_T2_T3_mRjT4_P12ihipStream_tbNS1_7vsmem_tEEUlT_E_NS1_11comp_targetILNS1_3genE3ELNS1_11target_archE908ELNS1_3gpuE7ELNS1_3repE0EEENS1_30default_config_static_selectorELNS0_4arch9wavefront6targetE1EEEvSM_,"axG",@progbits,_ZN7rocprim17ROCPRIM_400000_NS6detail17trampoline_kernelINS0_14default_configENS1_37merge_sort_block_sort_config_selectorIlNS0_10empty_typeEEEZNS1_21merge_sort_block_sortIS3_PlS8_PS5_S9_ZN2at6native12_GLOBAL__N_124unique_dim_cuda_templateIhEESt5tupleIJNSA_6TensorESF_SF_EERKSF_lbbbEUlllE_EE10hipError_tT0_T1_T2_T3_mRjT4_P12ihipStream_tbNS1_7vsmem_tEEUlT_E_NS1_11comp_targetILNS1_3genE3ELNS1_11target_archE908ELNS1_3gpuE7ELNS1_3repE0EEENS1_30default_config_static_selectorELNS0_4arch9wavefront6targetE1EEEvSM_,comdat
.Lfunc_end12:
	.size	_ZN7rocprim17ROCPRIM_400000_NS6detail17trampoline_kernelINS0_14default_configENS1_37merge_sort_block_sort_config_selectorIlNS0_10empty_typeEEEZNS1_21merge_sort_block_sortIS3_PlS8_PS5_S9_ZN2at6native12_GLOBAL__N_124unique_dim_cuda_templateIhEESt5tupleIJNSA_6TensorESF_SF_EERKSF_lbbbEUlllE_EE10hipError_tT0_T1_T2_T3_mRjT4_P12ihipStream_tbNS1_7vsmem_tEEUlT_E_NS1_11comp_targetILNS1_3genE3ELNS1_11target_archE908ELNS1_3gpuE7ELNS1_3repE0EEENS1_30default_config_static_selectorELNS0_4arch9wavefront6targetE1EEEvSM_, .Lfunc_end12-_ZN7rocprim17ROCPRIM_400000_NS6detail17trampoline_kernelINS0_14default_configENS1_37merge_sort_block_sort_config_selectorIlNS0_10empty_typeEEEZNS1_21merge_sort_block_sortIS3_PlS8_PS5_S9_ZN2at6native12_GLOBAL__N_124unique_dim_cuda_templateIhEESt5tupleIJNSA_6TensorESF_SF_EERKSF_lbbbEUlllE_EE10hipError_tT0_T1_T2_T3_mRjT4_P12ihipStream_tbNS1_7vsmem_tEEUlT_E_NS1_11comp_targetILNS1_3genE3ELNS1_11target_archE908ELNS1_3gpuE7ELNS1_3repE0EEENS1_30default_config_static_selectorELNS0_4arch9wavefront6targetE1EEEvSM_
                                        ; -- End function
	.section	.AMDGPU.csdata,"",@progbits
; Kernel info:
; codeLenInByte = 0
; NumSgprs: 4
; NumVgprs: 0
; NumAgprs: 0
; TotalNumVgprs: 0
; ScratchSize: 0
; MemoryBound: 0
; FloatMode: 240
; IeeeMode: 1
; LDSByteSize: 0 bytes/workgroup (compile time only)
; SGPRBlocks: 0
; VGPRBlocks: 0
; NumSGPRsForWavesPerEU: 4
; NumVGPRsForWavesPerEU: 1
; AccumOffset: 4
; Occupancy: 8
; WaveLimiterHint : 0
; COMPUTE_PGM_RSRC2:SCRATCH_EN: 0
; COMPUTE_PGM_RSRC2:USER_SGPR: 6
; COMPUTE_PGM_RSRC2:TRAP_HANDLER: 0
; COMPUTE_PGM_RSRC2:TGID_X_EN: 1
; COMPUTE_PGM_RSRC2:TGID_Y_EN: 0
; COMPUTE_PGM_RSRC2:TGID_Z_EN: 0
; COMPUTE_PGM_RSRC2:TIDIG_COMP_CNT: 0
; COMPUTE_PGM_RSRC3_GFX90A:ACCUM_OFFSET: 0
; COMPUTE_PGM_RSRC3_GFX90A:TG_SPLIT: 0
	.section	.text._ZN7rocprim17ROCPRIM_400000_NS6detail17trampoline_kernelINS0_14default_configENS1_37merge_sort_block_sort_config_selectorIlNS0_10empty_typeEEEZNS1_21merge_sort_block_sortIS3_PlS8_PS5_S9_ZN2at6native12_GLOBAL__N_124unique_dim_cuda_templateIhEESt5tupleIJNSA_6TensorESF_SF_EERKSF_lbbbEUlllE_EE10hipError_tT0_T1_T2_T3_mRjT4_P12ihipStream_tbNS1_7vsmem_tEEUlT_E_NS1_11comp_targetILNS1_3genE2ELNS1_11target_archE906ELNS1_3gpuE6ELNS1_3repE0EEENS1_30default_config_static_selectorELNS0_4arch9wavefront6targetE1EEEvSM_,"axG",@progbits,_ZN7rocprim17ROCPRIM_400000_NS6detail17trampoline_kernelINS0_14default_configENS1_37merge_sort_block_sort_config_selectorIlNS0_10empty_typeEEEZNS1_21merge_sort_block_sortIS3_PlS8_PS5_S9_ZN2at6native12_GLOBAL__N_124unique_dim_cuda_templateIhEESt5tupleIJNSA_6TensorESF_SF_EERKSF_lbbbEUlllE_EE10hipError_tT0_T1_T2_T3_mRjT4_P12ihipStream_tbNS1_7vsmem_tEEUlT_E_NS1_11comp_targetILNS1_3genE2ELNS1_11target_archE906ELNS1_3gpuE6ELNS1_3repE0EEENS1_30default_config_static_selectorELNS0_4arch9wavefront6targetE1EEEvSM_,comdat
	.globl	_ZN7rocprim17ROCPRIM_400000_NS6detail17trampoline_kernelINS0_14default_configENS1_37merge_sort_block_sort_config_selectorIlNS0_10empty_typeEEEZNS1_21merge_sort_block_sortIS3_PlS8_PS5_S9_ZN2at6native12_GLOBAL__N_124unique_dim_cuda_templateIhEESt5tupleIJNSA_6TensorESF_SF_EERKSF_lbbbEUlllE_EE10hipError_tT0_T1_T2_T3_mRjT4_P12ihipStream_tbNS1_7vsmem_tEEUlT_E_NS1_11comp_targetILNS1_3genE2ELNS1_11target_archE906ELNS1_3gpuE6ELNS1_3repE0EEENS1_30default_config_static_selectorELNS0_4arch9wavefront6targetE1EEEvSM_ ; -- Begin function _ZN7rocprim17ROCPRIM_400000_NS6detail17trampoline_kernelINS0_14default_configENS1_37merge_sort_block_sort_config_selectorIlNS0_10empty_typeEEEZNS1_21merge_sort_block_sortIS3_PlS8_PS5_S9_ZN2at6native12_GLOBAL__N_124unique_dim_cuda_templateIhEESt5tupleIJNSA_6TensorESF_SF_EERKSF_lbbbEUlllE_EE10hipError_tT0_T1_T2_T3_mRjT4_P12ihipStream_tbNS1_7vsmem_tEEUlT_E_NS1_11comp_targetILNS1_3genE2ELNS1_11target_archE906ELNS1_3gpuE6ELNS1_3repE0EEENS1_30default_config_static_selectorELNS0_4arch9wavefront6targetE1EEEvSM_
	.p2align	8
	.type	_ZN7rocprim17ROCPRIM_400000_NS6detail17trampoline_kernelINS0_14default_configENS1_37merge_sort_block_sort_config_selectorIlNS0_10empty_typeEEEZNS1_21merge_sort_block_sortIS3_PlS8_PS5_S9_ZN2at6native12_GLOBAL__N_124unique_dim_cuda_templateIhEESt5tupleIJNSA_6TensorESF_SF_EERKSF_lbbbEUlllE_EE10hipError_tT0_T1_T2_T3_mRjT4_P12ihipStream_tbNS1_7vsmem_tEEUlT_E_NS1_11comp_targetILNS1_3genE2ELNS1_11target_archE906ELNS1_3gpuE6ELNS1_3repE0EEENS1_30default_config_static_selectorELNS0_4arch9wavefront6targetE1EEEvSM_,@function
_ZN7rocprim17ROCPRIM_400000_NS6detail17trampoline_kernelINS0_14default_configENS1_37merge_sort_block_sort_config_selectorIlNS0_10empty_typeEEEZNS1_21merge_sort_block_sortIS3_PlS8_PS5_S9_ZN2at6native12_GLOBAL__N_124unique_dim_cuda_templateIhEESt5tupleIJNSA_6TensorESF_SF_EERKSF_lbbbEUlllE_EE10hipError_tT0_T1_T2_T3_mRjT4_P12ihipStream_tbNS1_7vsmem_tEEUlT_E_NS1_11comp_targetILNS1_3genE2ELNS1_11target_archE906ELNS1_3gpuE6ELNS1_3repE0EEENS1_30default_config_static_selectorELNS0_4arch9wavefront6targetE1EEEvSM_: ; @_ZN7rocprim17ROCPRIM_400000_NS6detail17trampoline_kernelINS0_14default_configENS1_37merge_sort_block_sort_config_selectorIlNS0_10empty_typeEEEZNS1_21merge_sort_block_sortIS3_PlS8_PS5_S9_ZN2at6native12_GLOBAL__N_124unique_dim_cuda_templateIhEESt5tupleIJNSA_6TensorESF_SF_EERKSF_lbbbEUlllE_EE10hipError_tT0_T1_T2_T3_mRjT4_P12ihipStream_tbNS1_7vsmem_tEEUlT_E_NS1_11comp_targetILNS1_3genE2ELNS1_11target_archE906ELNS1_3gpuE6ELNS1_3repE0EEENS1_30default_config_static_selectorELNS0_4arch9wavefront6targetE1EEEvSM_
; %bb.0:
	.section	.rodata,"a",@progbits
	.p2align	6, 0x0
	.amdhsa_kernel _ZN7rocprim17ROCPRIM_400000_NS6detail17trampoline_kernelINS0_14default_configENS1_37merge_sort_block_sort_config_selectorIlNS0_10empty_typeEEEZNS1_21merge_sort_block_sortIS3_PlS8_PS5_S9_ZN2at6native12_GLOBAL__N_124unique_dim_cuda_templateIhEESt5tupleIJNSA_6TensorESF_SF_EERKSF_lbbbEUlllE_EE10hipError_tT0_T1_T2_T3_mRjT4_P12ihipStream_tbNS1_7vsmem_tEEUlT_E_NS1_11comp_targetILNS1_3genE2ELNS1_11target_archE906ELNS1_3gpuE6ELNS1_3repE0EEENS1_30default_config_static_selectorELNS0_4arch9wavefront6targetE1EEEvSM_
		.amdhsa_group_segment_fixed_size 0
		.amdhsa_private_segment_fixed_size 0
		.amdhsa_kernarg_size 72
		.amdhsa_user_sgpr_count 6
		.amdhsa_user_sgpr_private_segment_buffer 1
		.amdhsa_user_sgpr_dispatch_ptr 0
		.amdhsa_user_sgpr_queue_ptr 0
		.amdhsa_user_sgpr_kernarg_segment_ptr 1
		.amdhsa_user_sgpr_dispatch_id 0
		.amdhsa_user_sgpr_flat_scratch_init 0
		.amdhsa_user_sgpr_kernarg_preload_length 0
		.amdhsa_user_sgpr_kernarg_preload_offset 0
		.amdhsa_user_sgpr_private_segment_size 0
		.amdhsa_uses_dynamic_stack 0
		.amdhsa_system_sgpr_private_segment_wavefront_offset 0
		.amdhsa_system_sgpr_workgroup_id_x 1
		.amdhsa_system_sgpr_workgroup_id_y 0
		.amdhsa_system_sgpr_workgroup_id_z 0
		.amdhsa_system_sgpr_workgroup_info 0
		.amdhsa_system_vgpr_workitem_id 0
		.amdhsa_next_free_vgpr 1
		.amdhsa_next_free_sgpr 0
		.amdhsa_accum_offset 4
		.amdhsa_reserve_vcc 0
		.amdhsa_reserve_flat_scratch 0
		.amdhsa_float_round_mode_32 0
		.amdhsa_float_round_mode_16_64 0
		.amdhsa_float_denorm_mode_32 3
		.amdhsa_float_denorm_mode_16_64 3
		.amdhsa_dx10_clamp 1
		.amdhsa_ieee_mode 1
		.amdhsa_fp16_overflow 0
		.amdhsa_tg_split 0
		.amdhsa_exception_fp_ieee_invalid_op 0
		.amdhsa_exception_fp_denorm_src 0
		.amdhsa_exception_fp_ieee_div_zero 0
		.amdhsa_exception_fp_ieee_overflow 0
		.amdhsa_exception_fp_ieee_underflow 0
		.amdhsa_exception_fp_ieee_inexact 0
		.amdhsa_exception_int_div_zero 0
	.end_amdhsa_kernel
	.section	.text._ZN7rocprim17ROCPRIM_400000_NS6detail17trampoline_kernelINS0_14default_configENS1_37merge_sort_block_sort_config_selectorIlNS0_10empty_typeEEEZNS1_21merge_sort_block_sortIS3_PlS8_PS5_S9_ZN2at6native12_GLOBAL__N_124unique_dim_cuda_templateIhEESt5tupleIJNSA_6TensorESF_SF_EERKSF_lbbbEUlllE_EE10hipError_tT0_T1_T2_T3_mRjT4_P12ihipStream_tbNS1_7vsmem_tEEUlT_E_NS1_11comp_targetILNS1_3genE2ELNS1_11target_archE906ELNS1_3gpuE6ELNS1_3repE0EEENS1_30default_config_static_selectorELNS0_4arch9wavefront6targetE1EEEvSM_,"axG",@progbits,_ZN7rocprim17ROCPRIM_400000_NS6detail17trampoline_kernelINS0_14default_configENS1_37merge_sort_block_sort_config_selectorIlNS0_10empty_typeEEEZNS1_21merge_sort_block_sortIS3_PlS8_PS5_S9_ZN2at6native12_GLOBAL__N_124unique_dim_cuda_templateIhEESt5tupleIJNSA_6TensorESF_SF_EERKSF_lbbbEUlllE_EE10hipError_tT0_T1_T2_T3_mRjT4_P12ihipStream_tbNS1_7vsmem_tEEUlT_E_NS1_11comp_targetILNS1_3genE2ELNS1_11target_archE906ELNS1_3gpuE6ELNS1_3repE0EEENS1_30default_config_static_selectorELNS0_4arch9wavefront6targetE1EEEvSM_,comdat
.Lfunc_end13:
	.size	_ZN7rocprim17ROCPRIM_400000_NS6detail17trampoline_kernelINS0_14default_configENS1_37merge_sort_block_sort_config_selectorIlNS0_10empty_typeEEEZNS1_21merge_sort_block_sortIS3_PlS8_PS5_S9_ZN2at6native12_GLOBAL__N_124unique_dim_cuda_templateIhEESt5tupleIJNSA_6TensorESF_SF_EERKSF_lbbbEUlllE_EE10hipError_tT0_T1_T2_T3_mRjT4_P12ihipStream_tbNS1_7vsmem_tEEUlT_E_NS1_11comp_targetILNS1_3genE2ELNS1_11target_archE906ELNS1_3gpuE6ELNS1_3repE0EEENS1_30default_config_static_selectorELNS0_4arch9wavefront6targetE1EEEvSM_, .Lfunc_end13-_ZN7rocprim17ROCPRIM_400000_NS6detail17trampoline_kernelINS0_14default_configENS1_37merge_sort_block_sort_config_selectorIlNS0_10empty_typeEEEZNS1_21merge_sort_block_sortIS3_PlS8_PS5_S9_ZN2at6native12_GLOBAL__N_124unique_dim_cuda_templateIhEESt5tupleIJNSA_6TensorESF_SF_EERKSF_lbbbEUlllE_EE10hipError_tT0_T1_T2_T3_mRjT4_P12ihipStream_tbNS1_7vsmem_tEEUlT_E_NS1_11comp_targetILNS1_3genE2ELNS1_11target_archE906ELNS1_3gpuE6ELNS1_3repE0EEENS1_30default_config_static_selectorELNS0_4arch9wavefront6targetE1EEEvSM_
                                        ; -- End function
	.section	.AMDGPU.csdata,"",@progbits
; Kernel info:
; codeLenInByte = 0
; NumSgprs: 4
; NumVgprs: 0
; NumAgprs: 0
; TotalNumVgprs: 0
; ScratchSize: 0
; MemoryBound: 0
; FloatMode: 240
; IeeeMode: 1
; LDSByteSize: 0 bytes/workgroup (compile time only)
; SGPRBlocks: 0
; VGPRBlocks: 0
; NumSGPRsForWavesPerEU: 4
; NumVGPRsForWavesPerEU: 1
; AccumOffset: 4
; Occupancy: 8
; WaveLimiterHint : 0
; COMPUTE_PGM_RSRC2:SCRATCH_EN: 0
; COMPUTE_PGM_RSRC2:USER_SGPR: 6
; COMPUTE_PGM_RSRC2:TRAP_HANDLER: 0
; COMPUTE_PGM_RSRC2:TGID_X_EN: 1
; COMPUTE_PGM_RSRC2:TGID_Y_EN: 0
; COMPUTE_PGM_RSRC2:TGID_Z_EN: 0
; COMPUTE_PGM_RSRC2:TIDIG_COMP_CNT: 0
; COMPUTE_PGM_RSRC3_GFX90A:ACCUM_OFFSET: 0
; COMPUTE_PGM_RSRC3_GFX90A:TG_SPLIT: 0
	.section	.text._ZN7rocprim17ROCPRIM_400000_NS6detail17trampoline_kernelINS0_14default_configENS1_37merge_sort_block_sort_config_selectorIlNS0_10empty_typeEEEZNS1_21merge_sort_block_sortIS3_PlS8_PS5_S9_ZN2at6native12_GLOBAL__N_124unique_dim_cuda_templateIhEESt5tupleIJNSA_6TensorESF_SF_EERKSF_lbbbEUlllE_EE10hipError_tT0_T1_T2_T3_mRjT4_P12ihipStream_tbNS1_7vsmem_tEEUlT_E_NS1_11comp_targetILNS1_3genE10ELNS1_11target_archE1201ELNS1_3gpuE5ELNS1_3repE0EEENS1_30default_config_static_selectorELNS0_4arch9wavefront6targetE1EEEvSM_,"axG",@progbits,_ZN7rocprim17ROCPRIM_400000_NS6detail17trampoline_kernelINS0_14default_configENS1_37merge_sort_block_sort_config_selectorIlNS0_10empty_typeEEEZNS1_21merge_sort_block_sortIS3_PlS8_PS5_S9_ZN2at6native12_GLOBAL__N_124unique_dim_cuda_templateIhEESt5tupleIJNSA_6TensorESF_SF_EERKSF_lbbbEUlllE_EE10hipError_tT0_T1_T2_T3_mRjT4_P12ihipStream_tbNS1_7vsmem_tEEUlT_E_NS1_11comp_targetILNS1_3genE10ELNS1_11target_archE1201ELNS1_3gpuE5ELNS1_3repE0EEENS1_30default_config_static_selectorELNS0_4arch9wavefront6targetE1EEEvSM_,comdat
	.globl	_ZN7rocprim17ROCPRIM_400000_NS6detail17trampoline_kernelINS0_14default_configENS1_37merge_sort_block_sort_config_selectorIlNS0_10empty_typeEEEZNS1_21merge_sort_block_sortIS3_PlS8_PS5_S9_ZN2at6native12_GLOBAL__N_124unique_dim_cuda_templateIhEESt5tupleIJNSA_6TensorESF_SF_EERKSF_lbbbEUlllE_EE10hipError_tT0_T1_T2_T3_mRjT4_P12ihipStream_tbNS1_7vsmem_tEEUlT_E_NS1_11comp_targetILNS1_3genE10ELNS1_11target_archE1201ELNS1_3gpuE5ELNS1_3repE0EEENS1_30default_config_static_selectorELNS0_4arch9wavefront6targetE1EEEvSM_ ; -- Begin function _ZN7rocprim17ROCPRIM_400000_NS6detail17trampoline_kernelINS0_14default_configENS1_37merge_sort_block_sort_config_selectorIlNS0_10empty_typeEEEZNS1_21merge_sort_block_sortIS3_PlS8_PS5_S9_ZN2at6native12_GLOBAL__N_124unique_dim_cuda_templateIhEESt5tupleIJNSA_6TensorESF_SF_EERKSF_lbbbEUlllE_EE10hipError_tT0_T1_T2_T3_mRjT4_P12ihipStream_tbNS1_7vsmem_tEEUlT_E_NS1_11comp_targetILNS1_3genE10ELNS1_11target_archE1201ELNS1_3gpuE5ELNS1_3repE0EEENS1_30default_config_static_selectorELNS0_4arch9wavefront6targetE1EEEvSM_
	.p2align	8
	.type	_ZN7rocprim17ROCPRIM_400000_NS6detail17trampoline_kernelINS0_14default_configENS1_37merge_sort_block_sort_config_selectorIlNS0_10empty_typeEEEZNS1_21merge_sort_block_sortIS3_PlS8_PS5_S9_ZN2at6native12_GLOBAL__N_124unique_dim_cuda_templateIhEESt5tupleIJNSA_6TensorESF_SF_EERKSF_lbbbEUlllE_EE10hipError_tT0_T1_T2_T3_mRjT4_P12ihipStream_tbNS1_7vsmem_tEEUlT_E_NS1_11comp_targetILNS1_3genE10ELNS1_11target_archE1201ELNS1_3gpuE5ELNS1_3repE0EEENS1_30default_config_static_selectorELNS0_4arch9wavefront6targetE1EEEvSM_,@function
_ZN7rocprim17ROCPRIM_400000_NS6detail17trampoline_kernelINS0_14default_configENS1_37merge_sort_block_sort_config_selectorIlNS0_10empty_typeEEEZNS1_21merge_sort_block_sortIS3_PlS8_PS5_S9_ZN2at6native12_GLOBAL__N_124unique_dim_cuda_templateIhEESt5tupleIJNSA_6TensorESF_SF_EERKSF_lbbbEUlllE_EE10hipError_tT0_T1_T2_T3_mRjT4_P12ihipStream_tbNS1_7vsmem_tEEUlT_E_NS1_11comp_targetILNS1_3genE10ELNS1_11target_archE1201ELNS1_3gpuE5ELNS1_3repE0EEENS1_30default_config_static_selectorELNS0_4arch9wavefront6targetE1EEEvSM_: ; @_ZN7rocprim17ROCPRIM_400000_NS6detail17trampoline_kernelINS0_14default_configENS1_37merge_sort_block_sort_config_selectorIlNS0_10empty_typeEEEZNS1_21merge_sort_block_sortIS3_PlS8_PS5_S9_ZN2at6native12_GLOBAL__N_124unique_dim_cuda_templateIhEESt5tupleIJNSA_6TensorESF_SF_EERKSF_lbbbEUlllE_EE10hipError_tT0_T1_T2_T3_mRjT4_P12ihipStream_tbNS1_7vsmem_tEEUlT_E_NS1_11comp_targetILNS1_3genE10ELNS1_11target_archE1201ELNS1_3gpuE5ELNS1_3repE0EEENS1_30default_config_static_selectorELNS0_4arch9wavefront6targetE1EEEvSM_
; %bb.0:
	.section	.rodata,"a",@progbits
	.p2align	6, 0x0
	.amdhsa_kernel _ZN7rocprim17ROCPRIM_400000_NS6detail17trampoline_kernelINS0_14default_configENS1_37merge_sort_block_sort_config_selectorIlNS0_10empty_typeEEEZNS1_21merge_sort_block_sortIS3_PlS8_PS5_S9_ZN2at6native12_GLOBAL__N_124unique_dim_cuda_templateIhEESt5tupleIJNSA_6TensorESF_SF_EERKSF_lbbbEUlllE_EE10hipError_tT0_T1_T2_T3_mRjT4_P12ihipStream_tbNS1_7vsmem_tEEUlT_E_NS1_11comp_targetILNS1_3genE10ELNS1_11target_archE1201ELNS1_3gpuE5ELNS1_3repE0EEENS1_30default_config_static_selectorELNS0_4arch9wavefront6targetE1EEEvSM_
		.amdhsa_group_segment_fixed_size 0
		.amdhsa_private_segment_fixed_size 0
		.amdhsa_kernarg_size 72
		.amdhsa_user_sgpr_count 6
		.amdhsa_user_sgpr_private_segment_buffer 1
		.amdhsa_user_sgpr_dispatch_ptr 0
		.amdhsa_user_sgpr_queue_ptr 0
		.amdhsa_user_sgpr_kernarg_segment_ptr 1
		.amdhsa_user_sgpr_dispatch_id 0
		.amdhsa_user_sgpr_flat_scratch_init 0
		.amdhsa_user_sgpr_kernarg_preload_length 0
		.amdhsa_user_sgpr_kernarg_preload_offset 0
		.amdhsa_user_sgpr_private_segment_size 0
		.amdhsa_uses_dynamic_stack 0
		.amdhsa_system_sgpr_private_segment_wavefront_offset 0
		.amdhsa_system_sgpr_workgroup_id_x 1
		.amdhsa_system_sgpr_workgroup_id_y 0
		.amdhsa_system_sgpr_workgroup_id_z 0
		.amdhsa_system_sgpr_workgroup_info 0
		.amdhsa_system_vgpr_workitem_id 0
		.amdhsa_next_free_vgpr 1
		.amdhsa_next_free_sgpr 0
		.amdhsa_accum_offset 4
		.amdhsa_reserve_vcc 0
		.amdhsa_reserve_flat_scratch 0
		.amdhsa_float_round_mode_32 0
		.amdhsa_float_round_mode_16_64 0
		.amdhsa_float_denorm_mode_32 3
		.amdhsa_float_denorm_mode_16_64 3
		.amdhsa_dx10_clamp 1
		.amdhsa_ieee_mode 1
		.amdhsa_fp16_overflow 0
		.amdhsa_tg_split 0
		.amdhsa_exception_fp_ieee_invalid_op 0
		.amdhsa_exception_fp_denorm_src 0
		.amdhsa_exception_fp_ieee_div_zero 0
		.amdhsa_exception_fp_ieee_overflow 0
		.amdhsa_exception_fp_ieee_underflow 0
		.amdhsa_exception_fp_ieee_inexact 0
		.amdhsa_exception_int_div_zero 0
	.end_amdhsa_kernel
	.section	.text._ZN7rocprim17ROCPRIM_400000_NS6detail17trampoline_kernelINS0_14default_configENS1_37merge_sort_block_sort_config_selectorIlNS0_10empty_typeEEEZNS1_21merge_sort_block_sortIS3_PlS8_PS5_S9_ZN2at6native12_GLOBAL__N_124unique_dim_cuda_templateIhEESt5tupleIJNSA_6TensorESF_SF_EERKSF_lbbbEUlllE_EE10hipError_tT0_T1_T2_T3_mRjT4_P12ihipStream_tbNS1_7vsmem_tEEUlT_E_NS1_11comp_targetILNS1_3genE10ELNS1_11target_archE1201ELNS1_3gpuE5ELNS1_3repE0EEENS1_30default_config_static_selectorELNS0_4arch9wavefront6targetE1EEEvSM_,"axG",@progbits,_ZN7rocprim17ROCPRIM_400000_NS6detail17trampoline_kernelINS0_14default_configENS1_37merge_sort_block_sort_config_selectorIlNS0_10empty_typeEEEZNS1_21merge_sort_block_sortIS3_PlS8_PS5_S9_ZN2at6native12_GLOBAL__N_124unique_dim_cuda_templateIhEESt5tupleIJNSA_6TensorESF_SF_EERKSF_lbbbEUlllE_EE10hipError_tT0_T1_T2_T3_mRjT4_P12ihipStream_tbNS1_7vsmem_tEEUlT_E_NS1_11comp_targetILNS1_3genE10ELNS1_11target_archE1201ELNS1_3gpuE5ELNS1_3repE0EEENS1_30default_config_static_selectorELNS0_4arch9wavefront6targetE1EEEvSM_,comdat
.Lfunc_end14:
	.size	_ZN7rocprim17ROCPRIM_400000_NS6detail17trampoline_kernelINS0_14default_configENS1_37merge_sort_block_sort_config_selectorIlNS0_10empty_typeEEEZNS1_21merge_sort_block_sortIS3_PlS8_PS5_S9_ZN2at6native12_GLOBAL__N_124unique_dim_cuda_templateIhEESt5tupleIJNSA_6TensorESF_SF_EERKSF_lbbbEUlllE_EE10hipError_tT0_T1_T2_T3_mRjT4_P12ihipStream_tbNS1_7vsmem_tEEUlT_E_NS1_11comp_targetILNS1_3genE10ELNS1_11target_archE1201ELNS1_3gpuE5ELNS1_3repE0EEENS1_30default_config_static_selectorELNS0_4arch9wavefront6targetE1EEEvSM_, .Lfunc_end14-_ZN7rocprim17ROCPRIM_400000_NS6detail17trampoline_kernelINS0_14default_configENS1_37merge_sort_block_sort_config_selectorIlNS0_10empty_typeEEEZNS1_21merge_sort_block_sortIS3_PlS8_PS5_S9_ZN2at6native12_GLOBAL__N_124unique_dim_cuda_templateIhEESt5tupleIJNSA_6TensorESF_SF_EERKSF_lbbbEUlllE_EE10hipError_tT0_T1_T2_T3_mRjT4_P12ihipStream_tbNS1_7vsmem_tEEUlT_E_NS1_11comp_targetILNS1_3genE10ELNS1_11target_archE1201ELNS1_3gpuE5ELNS1_3repE0EEENS1_30default_config_static_selectorELNS0_4arch9wavefront6targetE1EEEvSM_
                                        ; -- End function
	.section	.AMDGPU.csdata,"",@progbits
; Kernel info:
; codeLenInByte = 0
; NumSgprs: 4
; NumVgprs: 0
; NumAgprs: 0
; TotalNumVgprs: 0
; ScratchSize: 0
; MemoryBound: 0
; FloatMode: 240
; IeeeMode: 1
; LDSByteSize: 0 bytes/workgroup (compile time only)
; SGPRBlocks: 0
; VGPRBlocks: 0
; NumSGPRsForWavesPerEU: 4
; NumVGPRsForWavesPerEU: 1
; AccumOffset: 4
; Occupancy: 8
; WaveLimiterHint : 0
; COMPUTE_PGM_RSRC2:SCRATCH_EN: 0
; COMPUTE_PGM_RSRC2:USER_SGPR: 6
; COMPUTE_PGM_RSRC2:TRAP_HANDLER: 0
; COMPUTE_PGM_RSRC2:TGID_X_EN: 1
; COMPUTE_PGM_RSRC2:TGID_Y_EN: 0
; COMPUTE_PGM_RSRC2:TGID_Z_EN: 0
; COMPUTE_PGM_RSRC2:TIDIG_COMP_CNT: 0
; COMPUTE_PGM_RSRC3_GFX90A:ACCUM_OFFSET: 0
; COMPUTE_PGM_RSRC3_GFX90A:TG_SPLIT: 0
	.section	.text._ZN7rocprim17ROCPRIM_400000_NS6detail17trampoline_kernelINS0_14default_configENS1_37merge_sort_block_sort_config_selectorIlNS0_10empty_typeEEEZNS1_21merge_sort_block_sortIS3_PlS8_PS5_S9_ZN2at6native12_GLOBAL__N_124unique_dim_cuda_templateIhEESt5tupleIJNSA_6TensorESF_SF_EERKSF_lbbbEUlllE_EE10hipError_tT0_T1_T2_T3_mRjT4_P12ihipStream_tbNS1_7vsmem_tEEUlT_E_NS1_11comp_targetILNS1_3genE10ELNS1_11target_archE1200ELNS1_3gpuE4ELNS1_3repE0EEENS1_30default_config_static_selectorELNS0_4arch9wavefront6targetE1EEEvSM_,"axG",@progbits,_ZN7rocprim17ROCPRIM_400000_NS6detail17trampoline_kernelINS0_14default_configENS1_37merge_sort_block_sort_config_selectorIlNS0_10empty_typeEEEZNS1_21merge_sort_block_sortIS3_PlS8_PS5_S9_ZN2at6native12_GLOBAL__N_124unique_dim_cuda_templateIhEESt5tupleIJNSA_6TensorESF_SF_EERKSF_lbbbEUlllE_EE10hipError_tT0_T1_T2_T3_mRjT4_P12ihipStream_tbNS1_7vsmem_tEEUlT_E_NS1_11comp_targetILNS1_3genE10ELNS1_11target_archE1200ELNS1_3gpuE4ELNS1_3repE0EEENS1_30default_config_static_selectorELNS0_4arch9wavefront6targetE1EEEvSM_,comdat
	.globl	_ZN7rocprim17ROCPRIM_400000_NS6detail17trampoline_kernelINS0_14default_configENS1_37merge_sort_block_sort_config_selectorIlNS0_10empty_typeEEEZNS1_21merge_sort_block_sortIS3_PlS8_PS5_S9_ZN2at6native12_GLOBAL__N_124unique_dim_cuda_templateIhEESt5tupleIJNSA_6TensorESF_SF_EERKSF_lbbbEUlllE_EE10hipError_tT0_T1_T2_T3_mRjT4_P12ihipStream_tbNS1_7vsmem_tEEUlT_E_NS1_11comp_targetILNS1_3genE10ELNS1_11target_archE1200ELNS1_3gpuE4ELNS1_3repE0EEENS1_30default_config_static_selectorELNS0_4arch9wavefront6targetE1EEEvSM_ ; -- Begin function _ZN7rocprim17ROCPRIM_400000_NS6detail17trampoline_kernelINS0_14default_configENS1_37merge_sort_block_sort_config_selectorIlNS0_10empty_typeEEEZNS1_21merge_sort_block_sortIS3_PlS8_PS5_S9_ZN2at6native12_GLOBAL__N_124unique_dim_cuda_templateIhEESt5tupleIJNSA_6TensorESF_SF_EERKSF_lbbbEUlllE_EE10hipError_tT0_T1_T2_T3_mRjT4_P12ihipStream_tbNS1_7vsmem_tEEUlT_E_NS1_11comp_targetILNS1_3genE10ELNS1_11target_archE1200ELNS1_3gpuE4ELNS1_3repE0EEENS1_30default_config_static_selectorELNS0_4arch9wavefront6targetE1EEEvSM_
	.p2align	8
	.type	_ZN7rocprim17ROCPRIM_400000_NS6detail17trampoline_kernelINS0_14default_configENS1_37merge_sort_block_sort_config_selectorIlNS0_10empty_typeEEEZNS1_21merge_sort_block_sortIS3_PlS8_PS5_S9_ZN2at6native12_GLOBAL__N_124unique_dim_cuda_templateIhEESt5tupleIJNSA_6TensorESF_SF_EERKSF_lbbbEUlllE_EE10hipError_tT0_T1_T2_T3_mRjT4_P12ihipStream_tbNS1_7vsmem_tEEUlT_E_NS1_11comp_targetILNS1_3genE10ELNS1_11target_archE1200ELNS1_3gpuE4ELNS1_3repE0EEENS1_30default_config_static_selectorELNS0_4arch9wavefront6targetE1EEEvSM_,@function
_ZN7rocprim17ROCPRIM_400000_NS6detail17trampoline_kernelINS0_14default_configENS1_37merge_sort_block_sort_config_selectorIlNS0_10empty_typeEEEZNS1_21merge_sort_block_sortIS3_PlS8_PS5_S9_ZN2at6native12_GLOBAL__N_124unique_dim_cuda_templateIhEESt5tupleIJNSA_6TensorESF_SF_EERKSF_lbbbEUlllE_EE10hipError_tT0_T1_T2_T3_mRjT4_P12ihipStream_tbNS1_7vsmem_tEEUlT_E_NS1_11comp_targetILNS1_3genE10ELNS1_11target_archE1200ELNS1_3gpuE4ELNS1_3repE0EEENS1_30default_config_static_selectorELNS0_4arch9wavefront6targetE1EEEvSM_: ; @_ZN7rocprim17ROCPRIM_400000_NS6detail17trampoline_kernelINS0_14default_configENS1_37merge_sort_block_sort_config_selectorIlNS0_10empty_typeEEEZNS1_21merge_sort_block_sortIS3_PlS8_PS5_S9_ZN2at6native12_GLOBAL__N_124unique_dim_cuda_templateIhEESt5tupleIJNSA_6TensorESF_SF_EERKSF_lbbbEUlllE_EE10hipError_tT0_T1_T2_T3_mRjT4_P12ihipStream_tbNS1_7vsmem_tEEUlT_E_NS1_11comp_targetILNS1_3genE10ELNS1_11target_archE1200ELNS1_3gpuE4ELNS1_3repE0EEENS1_30default_config_static_selectorELNS0_4arch9wavefront6targetE1EEEvSM_
; %bb.0:
	.section	.rodata,"a",@progbits
	.p2align	6, 0x0
	.amdhsa_kernel _ZN7rocprim17ROCPRIM_400000_NS6detail17trampoline_kernelINS0_14default_configENS1_37merge_sort_block_sort_config_selectorIlNS0_10empty_typeEEEZNS1_21merge_sort_block_sortIS3_PlS8_PS5_S9_ZN2at6native12_GLOBAL__N_124unique_dim_cuda_templateIhEESt5tupleIJNSA_6TensorESF_SF_EERKSF_lbbbEUlllE_EE10hipError_tT0_T1_T2_T3_mRjT4_P12ihipStream_tbNS1_7vsmem_tEEUlT_E_NS1_11comp_targetILNS1_3genE10ELNS1_11target_archE1200ELNS1_3gpuE4ELNS1_3repE0EEENS1_30default_config_static_selectorELNS0_4arch9wavefront6targetE1EEEvSM_
		.amdhsa_group_segment_fixed_size 0
		.amdhsa_private_segment_fixed_size 0
		.amdhsa_kernarg_size 72
		.amdhsa_user_sgpr_count 6
		.amdhsa_user_sgpr_private_segment_buffer 1
		.amdhsa_user_sgpr_dispatch_ptr 0
		.amdhsa_user_sgpr_queue_ptr 0
		.amdhsa_user_sgpr_kernarg_segment_ptr 1
		.amdhsa_user_sgpr_dispatch_id 0
		.amdhsa_user_sgpr_flat_scratch_init 0
		.amdhsa_user_sgpr_kernarg_preload_length 0
		.amdhsa_user_sgpr_kernarg_preload_offset 0
		.amdhsa_user_sgpr_private_segment_size 0
		.amdhsa_uses_dynamic_stack 0
		.amdhsa_system_sgpr_private_segment_wavefront_offset 0
		.amdhsa_system_sgpr_workgroup_id_x 1
		.amdhsa_system_sgpr_workgroup_id_y 0
		.amdhsa_system_sgpr_workgroup_id_z 0
		.amdhsa_system_sgpr_workgroup_info 0
		.amdhsa_system_vgpr_workitem_id 0
		.amdhsa_next_free_vgpr 1
		.amdhsa_next_free_sgpr 0
		.amdhsa_accum_offset 4
		.amdhsa_reserve_vcc 0
		.amdhsa_reserve_flat_scratch 0
		.amdhsa_float_round_mode_32 0
		.amdhsa_float_round_mode_16_64 0
		.amdhsa_float_denorm_mode_32 3
		.amdhsa_float_denorm_mode_16_64 3
		.amdhsa_dx10_clamp 1
		.amdhsa_ieee_mode 1
		.amdhsa_fp16_overflow 0
		.amdhsa_tg_split 0
		.amdhsa_exception_fp_ieee_invalid_op 0
		.amdhsa_exception_fp_denorm_src 0
		.amdhsa_exception_fp_ieee_div_zero 0
		.amdhsa_exception_fp_ieee_overflow 0
		.amdhsa_exception_fp_ieee_underflow 0
		.amdhsa_exception_fp_ieee_inexact 0
		.amdhsa_exception_int_div_zero 0
	.end_amdhsa_kernel
	.section	.text._ZN7rocprim17ROCPRIM_400000_NS6detail17trampoline_kernelINS0_14default_configENS1_37merge_sort_block_sort_config_selectorIlNS0_10empty_typeEEEZNS1_21merge_sort_block_sortIS3_PlS8_PS5_S9_ZN2at6native12_GLOBAL__N_124unique_dim_cuda_templateIhEESt5tupleIJNSA_6TensorESF_SF_EERKSF_lbbbEUlllE_EE10hipError_tT0_T1_T2_T3_mRjT4_P12ihipStream_tbNS1_7vsmem_tEEUlT_E_NS1_11comp_targetILNS1_3genE10ELNS1_11target_archE1200ELNS1_3gpuE4ELNS1_3repE0EEENS1_30default_config_static_selectorELNS0_4arch9wavefront6targetE1EEEvSM_,"axG",@progbits,_ZN7rocprim17ROCPRIM_400000_NS6detail17trampoline_kernelINS0_14default_configENS1_37merge_sort_block_sort_config_selectorIlNS0_10empty_typeEEEZNS1_21merge_sort_block_sortIS3_PlS8_PS5_S9_ZN2at6native12_GLOBAL__N_124unique_dim_cuda_templateIhEESt5tupleIJNSA_6TensorESF_SF_EERKSF_lbbbEUlllE_EE10hipError_tT0_T1_T2_T3_mRjT4_P12ihipStream_tbNS1_7vsmem_tEEUlT_E_NS1_11comp_targetILNS1_3genE10ELNS1_11target_archE1200ELNS1_3gpuE4ELNS1_3repE0EEENS1_30default_config_static_selectorELNS0_4arch9wavefront6targetE1EEEvSM_,comdat
.Lfunc_end15:
	.size	_ZN7rocprim17ROCPRIM_400000_NS6detail17trampoline_kernelINS0_14default_configENS1_37merge_sort_block_sort_config_selectorIlNS0_10empty_typeEEEZNS1_21merge_sort_block_sortIS3_PlS8_PS5_S9_ZN2at6native12_GLOBAL__N_124unique_dim_cuda_templateIhEESt5tupleIJNSA_6TensorESF_SF_EERKSF_lbbbEUlllE_EE10hipError_tT0_T1_T2_T3_mRjT4_P12ihipStream_tbNS1_7vsmem_tEEUlT_E_NS1_11comp_targetILNS1_3genE10ELNS1_11target_archE1200ELNS1_3gpuE4ELNS1_3repE0EEENS1_30default_config_static_selectorELNS0_4arch9wavefront6targetE1EEEvSM_, .Lfunc_end15-_ZN7rocprim17ROCPRIM_400000_NS6detail17trampoline_kernelINS0_14default_configENS1_37merge_sort_block_sort_config_selectorIlNS0_10empty_typeEEEZNS1_21merge_sort_block_sortIS3_PlS8_PS5_S9_ZN2at6native12_GLOBAL__N_124unique_dim_cuda_templateIhEESt5tupleIJNSA_6TensorESF_SF_EERKSF_lbbbEUlllE_EE10hipError_tT0_T1_T2_T3_mRjT4_P12ihipStream_tbNS1_7vsmem_tEEUlT_E_NS1_11comp_targetILNS1_3genE10ELNS1_11target_archE1200ELNS1_3gpuE4ELNS1_3repE0EEENS1_30default_config_static_selectorELNS0_4arch9wavefront6targetE1EEEvSM_
                                        ; -- End function
	.section	.AMDGPU.csdata,"",@progbits
; Kernel info:
; codeLenInByte = 0
; NumSgprs: 4
; NumVgprs: 0
; NumAgprs: 0
; TotalNumVgprs: 0
; ScratchSize: 0
; MemoryBound: 0
; FloatMode: 240
; IeeeMode: 1
; LDSByteSize: 0 bytes/workgroup (compile time only)
; SGPRBlocks: 0
; VGPRBlocks: 0
; NumSGPRsForWavesPerEU: 4
; NumVGPRsForWavesPerEU: 1
; AccumOffset: 4
; Occupancy: 8
; WaveLimiterHint : 0
; COMPUTE_PGM_RSRC2:SCRATCH_EN: 0
; COMPUTE_PGM_RSRC2:USER_SGPR: 6
; COMPUTE_PGM_RSRC2:TRAP_HANDLER: 0
; COMPUTE_PGM_RSRC2:TGID_X_EN: 1
; COMPUTE_PGM_RSRC2:TGID_Y_EN: 0
; COMPUTE_PGM_RSRC2:TGID_Z_EN: 0
; COMPUTE_PGM_RSRC2:TIDIG_COMP_CNT: 0
; COMPUTE_PGM_RSRC3_GFX90A:ACCUM_OFFSET: 0
; COMPUTE_PGM_RSRC3_GFX90A:TG_SPLIT: 0
	.section	.text._ZN7rocprim17ROCPRIM_400000_NS6detail17trampoline_kernelINS0_14default_configENS1_37merge_sort_block_sort_config_selectorIlNS0_10empty_typeEEEZNS1_21merge_sort_block_sortIS3_PlS8_PS5_S9_ZN2at6native12_GLOBAL__N_124unique_dim_cuda_templateIhEESt5tupleIJNSA_6TensorESF_SF_EERKSF_lbbbEUlllE_EE10hipError_tT0_T1_T2_T3_mRjT4_P12ihipStream_tbNS1_7vsmem_tEEUlT_E_NS1_11comp_targetILNS1_3genE9ELNS1_11target_archE1100ELNS1_3gpuE3ELNS1_3repE0EEENS1_30default_config_static_selectorELNS0_4arch9wavefront6targetE1EEEvSM_,"axG",@progbits,_ZN7rocprim17ROCPRIM_400000_NS6detail17trampoline_kernelINS0_14default_configENS1_37merge_sort_block_sort_config_selectorIlNS0_10empty_typeEEEZNS1_21merge_sort_block_sortIS3_PlS8_PS5_S9_ZN2at6native12_GLOBAL__N_124unique_dim_cuda_templateIhEESt5tupleIJNSA_6TensorESF_SF_EERKSF_lbbbEUlllE_EE10hipError_tT0_T1_T2_T3_mRjT4_P12ihipStream_tbNS1_7vsmem_tEEUlT_E_NS1_11comp_targetILNS1_3genE9ELNS1_11target_archE1100ELNS1_3gpuE3ELNS1_3repE0EEENS1_30default_config_static_selectorELNS0_4arch9wavefront6targetE1EEEvSM_,comdat
	.globl	_ZN7rocprim17ROCPRIM_400000_NS6detail17trampoline_kernelINS0_14default_configENS1_37merge_sort_block_sort_config_selectorIlNS0_10empty_typeEEEZNS1_21merge_sort_block_sortIS3_PlS8_PS5_S9_ZN2at6native12_GLOBAL__N_124unique_dim_cuda_templateIhEESt5tupleIJNSA_6TensorESF_SF_EERKSF_lbbbEUlllE_EE10hipError_tT0_T1_T2_T3_mRjT4_P12ihipStream_tbNS1_7vsmem_tEEUlT_E_NS1_11comp_targetILNS1_3genE9ELNS1_11target_archE1100ELNS1_3gpuE3ELNS1_3repE0EEENS1_30default_config_static_selectorELNS0_4arch9wavefront6targetE1EEEvSM_ ; -- Begin function _ZN7rocprim17ROCPRIM_400000_NS6detail17trampoline_kernelINS0_14default_configENS1_37merge_sort_block_sort_config_selectorIlNS0_10empty_typeEEEZNS1_21merge_sort_block_sortIS3_PlS8_PS5_S9_ZN2at6native12_GLOBAL__N_124unique_dim_cuda_templateIhEESt5tupleIJNSA_6TensorESF_SF_EERKSF_lbbbEUlllE_EE10hipError_tT0_T1_T2_T3_mRjT4_P12ihipStream_tbNS1_7vsmem_tEEUlT_E_NS1_11comp_targetILNS1_3genE9ELNS1_11target_archE1100ELNS1_3gpuE3ELNS1_3repE0EEENS1_30default_config_static_selectorELNS0_4arch9wavefront6targetE1EEEvSM_
	.p2align	8
	.type	_ZN7rocprim17ROCPRIM_400000_NS6detail17trampoline_kernelINS0_14default_configENS1_37merge_sort_block_sort_config_selectorIlNS0_10empty_typeEEEZNS1_21merge_sort_block_sortIS3_PlS8_PS5_S9_ZN2at6native12_GLOBAL__N_124unique_dim_cuda_templateIhEESt5tupleIJNSA_6TensorESF_SF_EERKSF_lbbbEUlllE_EE10hipError_tT0_T1_T2_T3_mRjT4_P12ihipStream_tbNS1_7vsmem_tEEUlT_E_NS1_11comp_targetILNS1_3genE9ELNS1_11target_archE1100ELNS1_3gpuE3ELNS1_3repE0EEENS1_30default_config_static_selectorELNS0_4arch9wavefront6targetE1EEEvSM_,@function
_ZN7rocprim17ROCPRIM_400000_NS6detail17trampoline_kernelINS0_14default_configENS1_37merge_sort_block_sort_config_selectorIlNS0_10empty_typeEEEZNS1_21merge_sort_block_sortIS3_PlS8_PS5_S9_ZN2at6native12_GLOBAL__N_124unique_dim_cuda_templateIhEESt5tupleIJNSA_6TensorESF_SF_EERKSF_lbbbEUlllE_EE10hipError_tT0_T1_T2_T3_mRjT4_P12ihipStream_tbNS1_7vsmem_tEEUlT_E_NS1_11comp_targetILNS1_3genE9ELNS1_11target_archE1100ELNS1_3gpuE3ELNS1_3repE0EEENS1_30default_config_static_selectorELNS0_4arch9wavefront6targetE1EEEvSM_: ; @_ZN7rocprim17ROCPRIM_400000_NS6detail17trampoline_kernelINS0_14default_configENS1_37merge_sort_block_sort_config_selectorIlNS0_10empty_typeEEEZNS1_21merge_sort_block_sortIS3_PlS8_PS5_S9_ZN2at6native12_GLOBAL__N_124unique_dim_cuda_templateIhEESt5tupleIJNSA_6TensorESF_SF_EERKSF_lbbbEUlllE_EE10hipError_tT0_T1_T2_T3_mRjT4_P12ihipStream_tbNS1_7vsmem_tEEUlT_E_NS1_11comp_targetILNS1_3genE9ELNS1_11target_archE1100ELNS1_3gpuE3ELNS1_3repE0EEENS1_30default_config_static_selectorELNS0_4arch9wavefront6targetE1EEEvSM_
; %bb.0:
	.section	.rodata,"a",@progbits
	.p2align	6, 0x0
	.amdhsa_kernel _ZN7rocprim17ROCPRIM_400000_NS6detail17trampoline_kernelINS0_14default_configENS1_37merge_sort_block_sort_config_selectorIlNS0_10empty_typeEEEZNS1_21merge_sort_block_sortIS3_PlS8_PS5_S9_ZN2at6native12_GLOBAL__N_124unique_dim_cuda_templateIhEESt5tupleIJNSA_6TensorESF_SF_EERKSF_lbbbEUlllE_EE10hipError_tT0_T1_T2_T3_mRjT4_P12ihipStream_tbNS1_7vsmem_tEEUlT_E_NS1_11comp_targetILNS1_3genE9ELNS1_11target_archE1100ELNS1_3gpuE3ELNS1_3repE0EEENS1_30default_config_static_selectorELNS0_4arch9wavefront6targetE1EEEvSM_
		.amdhsa_group_segment_fixed_size 0
		.amdhsa_private_segment_fixed_size 0
		.amdhsa_kernarg_size 72
		.amdhsa_user_sgpr_count 6
		.amdhsa_user_sgpr_private_segment_buffer 1
		.amdhsa_user_sgpr_dispatch_ptr 0
		.amdhsa_user_sgpr_queue_ptr 0
		.amdhsa_user_sgpr_kernarg_segment_ptr 1
		.amdhsa_user_sgpr_dispatch_id 0
		.amdhsa_user_sgpr_flat_scratch_init 0
		.amdhsa_user_sgpr_kernarg_preload_length 0
		.amdhsa_user_sgpr_kernarg_preload_offset 0
		.amdhsa_user_sgpr_private_segment_size 0
		.amdhsa_uses_dynamic_stack 0
		.amdhsa_system_sgpr_private_segment_wavefront_offset 0
		.amdhsa_system_sgpr_workgroup_id_x 1
		.amdhsa_system_sgpr_workgroup_id_y 0
		.amdhsa_system_sgpr_workgroup_id_z 0
		.amdhsa_system_sgpr_workgroup_info 0
		.amdhsa_system_vgpr_workitem_id 0
		.amdhsa_next_free_vgpr 1
		.amdhsa_next_free_sgpr 0
		.amdhsa_accum_offset 4
		.amdhsa_reserve_vcc 0
		.amdhsa_reserve_flat_scratch 0
		.amdhsa_float_round_mode_32 0
		.amdhsa_float_round_mode_16_64 0
		.amdhsa_float_denorm_mode_32 3
		.amdhsa_float_denorm_mode_16_64 3
		.amdhsa_dx10_clamp 1
		.amdhsa_ieee_mode 1
		.amdhsa_fp16_overflow 0
		.amdhsa_tg_split 0
		.amdhsa_exception_fp_ieee_invalid_op 0
		.amdhsa_exception_fp_denorm_src 0
		.amdhsa_exception_fp_ieee_div_zero 0
		.amdhsa_exception_fp_ieee_overflow 0
		.amdhsa_exception_fp_ieee_underflow 0
		.amdhsa_exception_fp_ieee_inexact 0
		.amdhsa_exception_int_div_zero 0
	.end_amdhsa_kernel
	.section	.text._ZN7rocprim17ROCPRIM_400000_NS6detail17trampoline_kernelINS0_14default_configENS1_37merge_sort_block_sort_config_selectorIlNS0_10empty_typeEEEZNS1_21merge_sort_block_sortIS3_PlS8_PS5_S9_ZN2at6native12_GLOBAL__N_124unique_dim_cuda_templateIhEESt5tupleIJNSA_6TensorESF_SF_EERKSF_lbbbEUlllE_EE10hipError_tT0_T1_T2_T3_mRjT4_P12ihipStream_tbNS1_7vsmem_tEEUlT_E_NS1_11comp_targetILNS1_3genE9ELNS1_11target_archE1100ELNS1_3gpuE3ELNS1_3repE0EEENS1_30default_config_static_selectorELNS0_4arch9wavefront6targetE1EEEvSM_,"axG",@progbits,_ZN7rocprim17ROCPRIM_400000_NS6detail17trampoline_kernelINS0_14default_configENS1_37merge_sort_block_sort_config_selectorIlNS0_10empty_typeEEEZNS1_21merge_sort_block_sortIS3_PlS8_PS5_S9_ZN2at6native12_GLOBAL__N_124unique_dim_cuda_templateIhEESt5tupleIJNSA_6TensorESF_SF_EERKSF_lbbbEUlllE_EE10hipError_tT0_T1_T2_T3_mRjT4_P12ihipStream_tbNS1_7vsmem_tEEUlT_E_NS1_11comp_targetILNS1_3genE9ELNS1_11target_archE1100ELNS1_3gpuE3ELNS1_3repE0EEENS1_30default_config_static_selectorELNS0_4arch9wavefront6targetE1EEEvSM_,comdat
.Lfunc_end16:
	.size	_ZN7rocprim17ROCPRIM_400000_NS6detail17trampoline_kernelINS0_14default_configENS1_37merge_sort_block_sort_config_selectorIlNS0_10empty_typeEEEZNS1_21merge_sort_block_sortIS3_PlS8_PS5_S9_ZN2at6native12_GLOBAL__N_124unique_dim_cuda_templateIhEESt5tupleIJNSA_6TensorESF_SF_EERKSF_lbbbEUlllE_EE10hipError_tT0_T1_T2_T3_mRjT4_P12ihipStream_tbNS1_7vsmem_tEEUlT_E_NS1_11comp_targetILNS1_3genE9ELNS1_11target_archE1100ELNS1_3gpuE3ELNS1_3repE0EEENS1_30default_config_static_selectorELNS0_4arch9wavefront6targetE1EEEvSM_, .Lfunc_end16-_ZN7rocprim17ROCPRIM_400000_NS6detail17trampoline_kernelINS0_14default_configENS1_37merge_sort_block_sort_config_selectorIlNS0_10empty_typeEEEZNS1_21merge_sort_block_sortIS3_PlS8_PS5_S9_ZN2at6native12_GLOBAL__N_124unique_dim_cuda_templateIhEESt5tupleIJNSA_6TensorESF_SF_EERKSF_lbbbEUlllE_EE10hipError_tT0_T1_T2_T3_mRjT4_P12ihipStream_tbNS1_7vsmem_tEEUlT_E_NS1_11comp_targetILNS1_3genE9ELNS1_11target_archE1100ELNS1_3gpuE3ELNS1_3repE0EEENS1_30default_config_static_selectorELNS0_4arch9wavefront6targetE1EEEvSM_
                                        ; -- End function
	.section	.AMDGPU.csdata,"",@progbits
; Kernel info:
; codeLenInByte = 0
; NumSgprs: 4
; NumVgprs: 0
; NumAgprs: 0
; TotalNumVgprs: 0
; ScratchSize: 0
; MemoryBound: 0
; FloatMode: 240
; IeeeMode: 1
; LDSByteSize: 0 bytes/workgroup (compile time only)
; SGPRBlocks: 0
; VGPRBlocks: 0
; NumSGPRsForWavesPerEU: 4
; NumVGPRsForWavesPerEU: 1
; AccumOffset: 4
; Occupancy: 8
; WaveLimiterHint : 0
; COMPUTE_PGM_RSRC2:SCRATCH_EN: 0
; COMPUTE_PGM_RSRC2:USER_SGPR: 6
; COMPUTE_PGM_RSRC2:TRAP_HANDLER: 0
; COMPUTE_PGM_RSRC2:TGID_X_EN: 1
; COMPUTE_PGM_RSRC2:TGID_Y_EN: 0
; COMPUTE_PGM_RSRC2:TGID_Z_EN: 0
; COMPUTE_PGM_RSRC2:TIDIG_COMP_CNT: 0
; COMPUTE_PGM_RSRC3_GFX90A:ACCUM_OFFSET: 0
; COMPUTE_PGM_RSRC3_GFX90A:TG_SPLIT: 0
	.section	.text._ZN7rocprim17ROCPRIM_400000_NS6detail17trampoline_kernelINS0_14default_configENS1_37merge_sort_block_sort_config_selectorIlNS0_10empty_typeEEEZNS1_21merge_sort_block_sortIS3_PlS8_PS5_S9_ZN2at6native12_GLOBAL__N_124unique_dim_cuda_templateIhEESt5tupleIJNSA_6TensorESF_SF_EERKSF_lbbbEUlllE_EE10hipError_tT0_T1_T2_T3_mRjT4_P12ihipStream_tbNS1_7vsmem_tEEUlT_E_NS1_11comp_targetILNS1_3genE8ELNS1_11target_archE1030ELNS1_3gpuE2ELNS1_3repE0EEENS1_30default_config_static_selectorELNS0_4arch9wavefront6targetE1EEEvSM_,"axG",@progbits,_ZN7rocprim17ROCPRIM_400000_NS6detail17trampoline_kernelINS0_14default_configENS1_37merge_sort_block_sort_config_selectorIlNS0_10empty_typeEEEZNS1_21merge_sort_block_sortIS3_PlS8_PS5_S9_ZN2at6native12_GLOBAL__N_124unique_dim_cuda_templateIhEESt5tupleIJNSA_6TensorESF_SF_EERKSF_lbbbEUlllE_EE10hipError_tT0_T1_T2_T3_mRjT4_P12ihipStream_tbNS1_7vsmem_tEEUlT_E_NS1_11comp_targetILNS1_3genE8ELNS1_11target_archE1030ELNS1_3gpuE2ELNS1_3repE0EEENS1_30default_config_static_selectorELNS0_4arch9wavefront6targetE1EEEvSM_,comdat
	.globl	_ZN7rocprim17ROCPRIM_400000_NS6detail17trampoline_kernelINS0_14default_configENS1_37merge_sort_block_sort_config_selectorIlNS0_10empty_typeEEEZNS1_21merge_sort_block_sortIS3_PlS8_PS5_S9_ZN2at6native12_GLOBAL__N_124unique_dim_cuda_templateIhEESt5tupleIJNSA_6TensorESF_SF_EERKSF_lbbbEUlllE_EE10hipError_tT0_T1_T2_T3_mRjT4_P12ihipStream_tbNS1_7vsmem_tEEUlT_E_NS1_11comp_targetILNS1_3genE8ELNS1_11target_archE1030ELNS1_3gpuE2ELNS1_3repE0EEENS1_30default_config_static_selectorELNS0_4arch9wavefront6targetE1EEEvSM_ ; -- Begin function _ZN7rocprim17ROCPRIM_400000_NS6detail17trampoline_kernelINS0_14default_configENS1_37merge_sort_block_sort_config_selectorIlNS0_10empty_typeEEEZNS1_21merge_sort_block_sortIS3_PlS8_PS5_S9_ZN2at6native12_GLOBAL__N_124unique_dim_cuda_templateIhEESt5tupleIJNSA_6TensorESF_SF_EERKSF_lbbbEUlllE_EE10hipError_tT0_T1_T2_T3_mRjT4_P12ihipStream_tbNS1_7vsmem_tEEUlT_E_NS1_11comp_targetILNS1_3genE8ELNS1_11target_archE1030ELNS1_3gpuE2ELNS1_3repE0EEENS1_30default_config_static_selectorELNS0_4arch9wavefront6targetE1EEEvSM_
	.p2align	8
	.type	_ZN7rocprim17ROCPRIM_400000_NS6detail17trampoline_kernelINS0_14default_configENS1_37merge_sort_block_sort_config_selectorIlNS0_10empty_typeEEEZNS1_21merge_sort_block_sortIS3_PlS8_PS5_S9_ZN2at6native12_GLOBAL__N_124unique_dim_cuda_templateIhEESt5tupleIJNSA_6TensorESF_SF_EERKSF_lbbbEUlllE_EE10hipError_tT0_T1_T2_T3_mRjT4_P12ihipStream_tbNS1_7vsmem_tEEUlT_E_NS1_11comp_targetILNS1_3genE8ELNS1_11target_archE1030ELNS1_3gpuE2ELNS1_3repE0EEENS1_30default_config_static_selectorELNS0_4arch9wavefront6targetE1EEEvSM_,@function
_ZN7rocprim17ROCPRIM_400000_NS6detail17trampoline_kernelINS0_14default_configENS1_37merge_sort_block_sort_config_selectorIlNS0_10empty_typeEEEZNS1_21merge_sort_block_sortIS3_PlS8_PS5_S9_ZN2at6native12_GLOBAL__N_124unique_dim_cuda_templateIhEESt5tupleIJNSA_6TensorESF_SF_EERKSF_lbbbEUlllE_EE10hipError_tT0_T1_T2_T3_mRjT4_P12ihipStream_tbNS1_7vsmem_tEEUlT_E_NS1_11comp_targetILNS1_3genE8ELNS1_11target_archE1030ELNS1_3gpuE2ELNS1_3repE0EEENS1_30default_config_static_selectorELNS0_4arch9wavefront6targetE1EEEvSM_: ; @_ZN7rocprim17ROCPRIM_400000_NS6detail17trampoline_kernelINS0_14default_configENS1_37merge_sort_block_sort_config_selectorIlNS0_10empty_typeEEEZNS1_21merge_sort_block_sortIS3_PlS8_PS5_S9_ZN2at6native12_GLOBAL__N_124unique_dim_cuda_templateIhEESt5tupleIJNSA_6TensorESF_SF_EERKSF_lbbbEUlllE_EE10hipError_tT0_T1_T2_T3_mRjT4_P12ihipStream_tbNS1_7vsmem_tEEUlT_E_NS1_11comp_targetILNS1_3genE8ELNS1_11target_archE1030ELNS1_3gpuE2ELNS1_3repE0EEENS1_30default_config_static_selectorELNS0_4arch9wavefront6targetE1EEEvSM_
; %bb.0:
	.section	.rodata,"a",@progbits
	.p2align	6, 0x0
	.amdhsa_kernel _ZN7rocprim17ROCPRIM_400000_NS6detail17trampoline_kernelINS0_14default_configENS1_37merge_sort_block_sort_config_selectorIlNS0_10empty_typeEEEZNS1_21merge_sort_block_sortIS3_PlS8_PS5_S9_ZN2at6native12_GLOBAL__N_124unique_dim_cuda_templateIhEESt5tupleIJNSA_6TensorESF_SF_EERKSF_lbbbEUlllE_EE10hipError_tT0_T1_T2_T3_mRjT4_P12ihipStream_tbNS1_7vsmem_tEEUlT_E_NS1_11comp_targetILNS1_3genE8ELNS1_11target_archE1030ELNS1_3gpuE2ELNS1_3repE0EEENS1_30default_config_static_selectorELNS0_4arch9wavefront6targetE1EEEvSM_
		.amdhsa_group_segment_fixed_size 0
		.amdhsa_private_segment_fixed_size 0
		.amdhsa_kernarg_size 72
		.amdhsa_user_sgpr_count 6
		.amdhsa_user_sgpr_private_segment_buffer 1
		.amdhsa_user_sgpr_dispatch_ptr 0
		.amdhsa_user_sgpr_queue_ptr 0
		.amdhsa_user_sgpr_kernarg_segment_ptr 1
		.amdhsa_user_sgpr_dispatch_id 0
		.amdhsa_user_sgpr_flat_scratch_init 0
		.amdhsa_user_sgpr_kernarg_preload_length 0
		.amdhsa_user_sgpr_kernarg_preload_offset 0
		.amdhsa_user_sgpr_private_segment_size 0
		.amdhsa_uses_dynamic_stack 0
		.amdhsa_system_sgpr_private_segment_wavefront_offset 0
		.amdhsa_system_sgpr_workgroup_id_x 1
		.amdhsa_system_sgpr_workgroup_id_y 0
		.amdhsa_system_sgpr_workgroup_id_z 0
		.amdhsa_system_sgpr_workgroup_info 0
		.amdhsa_system_vgpr_workitem_id 0
		.amdhsa_next_free_vgpr 1
		.amdhsa_next_free_sgpr 0
		.amdhsa_accum_offset 4
		.amdhsa_reserve_vcc 0
		.amdhsa_reserve_flat_scratch 0
		.amdhsa_float_round_mode_32 0
		.amdhsa_float_round_mode_16_64 0
		.amdhsa_float_denorm_mode_32 3
		.amdhsa_float_denorm_mode_16_64 3
		.amdhsa_dx10_clamp 1
		.amdhsa_ieee_mode 1
		.amdhsa_fp16_overflow 0
		.amdhsa_tg_split 0
		.amdhsa_exception_fp_ieee_invalid_op 0
		.amdhsa_exception_fp_denorm_src 0
		.amdhsa_exception_fp_ieee_div_zero 0
		.amdhsa_exception_fp_ieee_overflow 0
		.amdhsa_exception_fp_ieee_underflow 0
		.amdhsa_exception_fp_ieee_inexact 0
		.amdhsa_exception_int_div_zero 0
	.end_amdhsa_kernel
	.section	.text._ZN7rocprim17ROCPRIM_400000_NS6detail17trampoline_kernelINS0_14default_configENS1_37merge_sort_block_sort_config_selectorIlNS0_10empty_typeEEEZNS1_21merge_sort_block_sortIS3_PlS8_PS5_S9_ZN2at6native12_GLOBAL__N_124unique_dim_cuda_templateIhEESt5tupleIJNSA_6TensorESF_SF_EERKSF_lbbbEUlllE_EE10hipError_tT0_T1_T2_T3_mRjT4_P12ihipStream_tbNS1_7vsmem_tEEUlT_E_NS1_11comp_targetILNS1_3genE8ELNS1_11target_archE1030ELNS1_3gpuE2ELNS1_3repE0EEENS1_30default_config_static_selectorELNS0_4arch9wavefront6targetE1EEEvSM_,"axG",@progbits,_ZN7rocprim17ROCPRIM_400000_NS6detail17trampoline_kernelINS0_14default_configENS1_37merge_sort_block_sort_config_selectorIlNS0_10empty_typeEEEZNS1_21merge_sort_block_sortIS3_PlS8_PS5_S9_ZN2at6native12_GLOBAL__N_124unique_dim_cuda_templateIhEESt5tupleIJNSA_6TensorESF_SF_EERKSF_lbbbEUlllE_EE10hipError_tT0_T1_T2_T3_mRjT4_P12ihipStream_tbNS1_7vsmem_tEEUlT_E_NS1_11comp_targetILNS1_3genE8ELNS1_11target_archE1030ELNS1_3gpuE2ELNS1_3repE0EEENS1_30default_config_static_selectorELNS0_4arch9wavefront6targetE1EEEvSM_,comdat
.Lfunc_end17:
	.size	_ZN7rocprim17ROCPRIM_400000_NS6detail17trampoline_kernelINS0_14default_configENS1_37merge_sort_block_sort_config_selectorIlNS0_10empty_typeEEEZNS1_21merge_sort_block_sortIS3_PlS8_PS5_S9_ZN2at6native12_GLOBAL__N_124unique_dim_cuda_templateIhEESt5tupleIJNSA_6TensorESF_SF_EERKSF_lbbbEUlllE_EE10hipError_tT0_T1_T2_T3_mRjT4_P12ihipStream_tbNS1_7vsmem_tEEUlT_E_NS1_11comp_targetILNS1_3genE8ELNS1_11target_archE1030ELNS1_3gpuE2ELNS1_3repE0EEENS1_30default_config_static_selectorELNS0_4arch9wavefront6targetE1EEEvSM_, .Lfunc_end17-_ZN7rocprim17ROCPRIM_400000_NS6detail17trampoline_kernelINS0_14default_configENS1_37merge_sort_block_sort_config_selectorIlNS0_10empty_typeEEEZNS1_21merge_sort_block_sortIS3_PlS8_PS5_S9_ZN2at6native12_GLOBAL__N_124unique_dim_cuda_templateIhEESt5tupleIJNSA_6TensorESF_SF_EERKSF_lbbbEUlllE_EE10hipError_tT0_T1_T2_T3_mRjT4_P12ihipStream_tbNS1_7vsmem_tEEUlT_E_NS1_11comp_targetILNS1_3genE8ELNS1_11target_archE1030ELNS1_3gpuE2ELNS1_3repE0EEENS1_30default_config_static_selectorELNS0_4arch9wavefront6targetE1EEEvSM_
                                        ; -- End function
	.section	.AMDGPU.csdata,"",@progbits
; Kernel info:
; codeLenInByte = 0
; NumSgprs: 4
; NumVgprs: 0
; NumAgprs: 0
; TotalNumVgprs: 0
; ScratchSize: 0
; MemoryBound: 0
; FloatMode: 240
; IeeeMode: 1
; LDSByteSize: 0 bytes/workgroup (compile time only)
; SGPRBlocks: 0
; VGPRBlocks: 0
; NumSGPRsForWavesPerEU: 4
; NumVGPRsForWavesPerEU: 1
; AccumOffset: 4
; Occupancy: 8
; WaveLimiterHint : 0
; COMPUTE_PGM_RSRC2:SCRATCH_EN: 0
; COMPUTE_PGM_RSRC2:USER_SGPR: 6
; COMPUTE_PGM_RSRC2:TRAP_HANDLER: 0
; COMPUTE_PGM_RSRC2:TGID_X_EN: 1
; COMPUTE_PGM_RSRC2:TGID_Y_EN: 0
; COMPUTE_PGM_RSRC2:TGID_Z_EN: 0
; COMPUTE_PGM_RSRC2:TIDIG_COMP_CNT: 0
; COMPUTE_PGM_RSRC3_GFX90A:ACCUM_OFFSET: 0
; COMPUTE_PGM_RSRC3_GFX90A:TG_SPLIT: 0
	.section	.text._ZN7rocprim17ROCPRIM_400000_NS6detail17trampoline_kernelINS0_14default_configENS1_38merge_sort_block_merge_config_selectorIlNS0_10empty_typeEEEZZNS1_27merge_sort_block_merge_implIS3_PlPS5_mZN2at6native12_GLOBAL__N_124unique_dim_cuda_templateIhEESt5tupleIJNSA_6TensorESF_SF_EERKSF_lbbbEUlllE_EE10hipError_tT0_T1_T2_jT3_P12ihipStream_tbPNSt15iterator_traitsISL_E10value_typeEPNSR_ISM_E10value_typeEPSN_NS1_7vsmem_tEENKUlT_SL_SM_SN_E_clIS8_S8_S9_S9_EESK_S10_SL_SM_SN_EUlS10_E_NS1_11comp_targetILNS1_3genE0ELNS1_11target_archE4294967295ELNS1_3gpuE0ELNS1_3repE0EEENS1_48merge_mergepath_partition_config_static_selectorELNS0_4arch9wavefront6targetE1EEEvSM_,"axG",@progbits,_ZN7rocprim17ROCPRIM_400000_NS6detail17trampoline_kernelINS0_14default_configENS1_38merge_sort_block_merge_config_selectorIlNS0_10empty_typeEEEZZNS1_27merge_sort_block_merge_implIS3_PlPS5_mZN2at6native12_GLOBAL__N_124unique_dim_cuda_templateIhEESt5tupleIJNSA_6TensorESF_SF_EERKSF_lbbbEUlllE_EE10hipError_tT0_T1_T2_jT3_P12ihipStream_tbPNSt15iterator_traitsISL_E10value_typeEPNSR_ISM_E10value_typeEPSN_NS1_7vsmem_tEENKUlT_SL_SM_SN_E_clIS8_S8_S9_S9_EESK_S10_SL_SM_SN_EUlS10_E_NS1_11comp_targetILNS1_3genE0ELNS1_11target_archE4294967295ELNS1_3gpuE0ELNS1_3repE0EEENS1_48merge_mergepath_partition_config_static_selectorELNS0_4arch9wavefront6targetE1EEEvSM_,comdat
	.globl	_ZN7rocprim17ROCPRIM_400000_NS6detail17trampoline_kernelINS0_14default_configENS1_38merge_sort_block_merge_config_selectorIlNS0_10empty_typeEEEZZNS1_27merge_sort_block_merge_implIS3_PlPS5_mZN2at6native12_GLOBAL__N_124unique_dim_cuda_templateIhEESt5tupleIJNSA_6TensorESF_SF_EERKSF_lbbbEUlllE_EE10hipError_tT0_T1_T2_jT3_P12ihipStream_tbPNSt15iterator_traitsISL_E10value_typeEPNSR_ISM_E10value_typeEPSN_NS1_7vsmem_tEENKUlT_SL_SM_SN_E_clIS8_S8_S9_S9_EESK_S10_SL_SM_SN_EUlS10_E_NS1_11comp_targetILNS1_3genE0ELNS1_11target_archE4294967295ELNS1_3gpuE0ELNS1_3repE0EEENS1_48merge_mergepath_partition_config_static_selectorELNS0_4arch9wavefront6targetE1EEEvSM_ ; -- Begin function _ZN7rocprim17ROCPRIM_400000_NS6detail17trampoline_kernelINS0_14default_configENS1_38merge_sort_block_merge_config_selectorIlNS0_10empty_typeEEEZZNS1_27merge_sort_block_merge_implIS3_PlPS5_mZN2at6native12_GLOBAL__N_124unique_dim_cuda_templateIhEESt5tupleIJNSA_6TensorESF_SF_EERKSF_lbbbEUlllE_EE10hipError_tT0_T1_T2_jT3_P12ihipStream_tbPNSt15iterator_traitsISL_E10value_typeEPNSR_ISM_E10value_typeEPSN_NS1_7vsmem_tEENKUlT_SL_SM_SN_E_clIS8_S8_S9_S9_EESK_S10_SL_SM_SN_EUlS10_E_NS1_11comp_targetILNS1_3genE0ELNS1_11target_archE4294967295ELNS1_3gpuE0ELNS1_3repE0EEENS1_48merge_mergepath_partition_config_static_selectorELNS0_4arch9wavefront6targetE1EEEvSM_
	.p2align	8
	.type	_ZN7rocprim17ROCPRIM_400000_NS6detail17trampoline_kernelINS0_14default_configENS1_38merge_sort_block_merge_config_selectorIlNS0_10empty_typeEEEZZNS1_27merge_sort_block_merge_implIS3_PlPS5_mZN2at6native12_GLOBAL__N_124unique_dim_cuda_templateIhEESt5tupleIJNSA_6TensorESF_SF_EERKSF_lbbbEUlllE_EE10hipError_tT0_T1_T2_jT3_P12ihipStream_tbPNSt15iterator_traitsISL_E10value_typeEPNSR_ISM_E10value_typeEPSN_NS1_7vsmem_tEENKUlT_SL_SM_SN_E_clIS8_S8_S9_S9_EESK_S10_SL_SM_SN_EUlS10_E_NS1_11comp_targetILNS1_3genE0ELNS1_11target_archE4294967295ELNS1_3gpuE0ELNS1_3repE0EEENS1_48merge_mergepath_partition_config_static_selectorELNS0_4arch9wavefront6targetE1EEEvSM_,@function
_ZN7rocprim17ROCPRIM_400000_NS6detail17trampoline_kernelINS0_14default_configENS1_38merge_sort_block_merge_config_selectorIlNS0_10empty_typeEEEZZNS1_27merge_sort_block_merge_implIS3_PlPS5_mZN2at6native12_GLOBAL__N_124unique_dim_cuda_templateIhEESt5tupleIJNSA_6TensorESF_SF_EERKSF_lbbbEUlllE_EE10hipError_tT0_T1_T2_jT3_P12ihipStream_tbPNSt15iterator_traitsISL_E10value_typeEPNSR_ISM_E10value_typeEPSN_NS1_7vsmem_tEENKUlT_SL_SM_SN_E_clIS8_S8_S9_S9_EESK_S10_SL_SM_SN_EUlS10_E_NS1_11comp_targetILNS1_3genE0ELNS1_11target_archE4294967295ELNS1_3gpuE0ELNS1_3repE0EEENS1_48merge_mergepath_partition_config_static_selectorELNS0_4arch9wavefront6targetE1EEEvSM_: ; @_ZN7rocprim17ROCPRIM_400000_NS6detail17trampoline_kernelINS0_14default_configENS1_38merge_sort_block_merge_config_selectorIlNS0_10empty_typeEEEZZNS1_27merge_sort_block_merge_implIS3_PlPS5_mZN2at6native12_GLOBAL__N_124unique_dim_cuda_templateIhEESt5tupleIJNSA_6TensorESF_SF_EERKSF_lbbbEUlllE_EE10hipError_tT0_T1_T2_jT3_P12ihipStream_tbPNSt15iterator_traitsISL_E10value_typeEPNSR_ISM_E10value_typeEPSN_NS1_7vsmem_tEENKUlT_SL_SM_SN_E_clIS8_S8_S9_S9_EESK_S10_SL_SM_SN_EUlS10_E_NS1_11comp_targetILNS1_3genE0ELNS1_11target_archE4294967295ELNS1_3gpuE0ELNS1_3repE0EEENS1_48merge_mergepath_partition_config_static_selectorELNS0_4arch9wavefront6targetE1EEEvSM_
; %bb.0:
	.section	.rodata,"a",@progbits
	.p2align	6, 0x0
	.amdhsa_kernel _ZN7rocprim17ROCPRIM_400000_NS6detail17trampoline_kernelINS0_14default_configENS1_38merge_sort_block_merge_config_selectorIlNS0_10empty_typeEEEZZNS1_27merge_sort_block_merge_implIS3_PlPS5_mZN2at6native12_GLOBAL__N_124unique_dim_cuda_templateIhEESt5tupleIJNSA_6TensorESF_SF_EERKSF_lbbbEUlllE_EE10hipError_tT0_T1_T2_jT3_P12ihipStream_tbPNSt15iterator_traitsISL_E10value_typeEPNSR_ISM_E10value_typeEPSN_NS1_7vsmem_tEENKUlT_SL_SM_SN_E_clIS8_S8_S9_S9_EESK_S10_SL_SM_SN_EUlS10_E_NS1_11comp_targetILNS1_3genE0ELNS1_11target_archE4294967295ELNS1_3gpuE0ELNS1_3repE0EEENS1_48merge_mergepath_partition_config_static_selectorELNS0_4arch9wavefront6targetE1EEEvSM_
		.amdhsa_group_segment_fixed_size 0
		.amdhsa_private_segment_fixed_size 0
		.amdhsa_kernarg_size 56
		.amdhsa_user_sgpr_count 6
		.amdhsa_user_sgpr_private_segment_buffer 1
		.amdhsa_user_sgpr_dispatch_ptr 0
		.amdhsa_user_sgpr_queue_ptr 0
		.amdhsa_user_sgpr_kernarg_segment_ptr 1
		.amdhsa_user_sgpr_dispatch_id 0
		.amdhsa_user_sgpr_flat_scratch_init 0
		.amdhsa_user_sgpr_kernarg_preload_length 0
		.amdhsa_user_sgpr_kernarg_preload_offset 0
		.amdhsa_user_sgpr_private_segment_size 0
		.amdhsa_uses_dynamic_stack 0
		.amdhsa_system_sgpr_private_segment_wavefront_offset 0
		.amdhsa_system_sgpr_workgroup_id_x 1
		.amdhsa_system_sgpr_workgroup_id_y 0
		.amdhsa_system_sgpr_workgroup_id_z 0
		.amdhsa_system_sgpr_workgroup_info 0
		.amdhsa_system_vgpr_workitem_id 0
		.amdhsa_next_free_vgpr 1
		.amdhsa_next_free_sgpr 0
		.amdhsa_accum_offset 4
		.amdhsa_reserve_vcc 0
		.amdhsa_reserve_flat_scratch 0
		.amdhsa_float_round_mode_32 0
		.amdhsa_float_round_mode_16_64 0
		.amdhsa_float_denorm_mode_32 3
		.amdhsa_float_denorm_mode_16_64 3
		.amdhsa_dx10_clamp 1
		.amdhsa_ieee_mode 1
		.amdhsa_fp16_overflow 0
		.amdhsa_tg_split 0
		.amdhsa_exception_fp_ieee_invalid_op 0
		.amdhsa_exception_fp_denorm_src 0
		.amdhsa_exception_fp_ieee_div_zero 0
		.amdhsa_exception_fp_ieee_overflow 0
		.amdhsa_exception_fp_ieee_underflow 0
		.amdhsa_exception_fp_ieee_inexact 0
		.amdhsa_exception_int_div_zero 0
	.end_amdhsa_kernel
	.section	.text._ZN7rocprim17ROCPRIM_400000_NS6detail17trampoline_kernelINS0_14default_configENS1_38merge_sort_block_merge_config_selectorIlNS0_10empty_typeEEEZZNS1_27merge_sort_block_merge_implIS3_PlPS5_mZN2at6native12_GLOBAL__N_124unique_dim_cuda_templateIhEESt5tupleIJNSA_6TensorESF_SF_EERKSF_lbbbEUlllE_EE10hipError_tT0_T1_T2_jT3_P12ihipStream_tbPNSt15iterator_traitsISL_E10value_typeEPNSR_ISM_E10value_typeEPSN_NS1_7vsmem_tEENKUlT_SL_SM_SN_E_clIS8_S8_S9_S9_EESK_S10_SL_SM_SN_EUlS10_E_NS1_11comp_targetILNS1_3genE0ELNS1_11target_archE4294967295ELNS1_3gpuE0ELNS1_3repE0EEENS1_48merge_mergepath_partition_config_static_selectorELNS0_4arch9wavefront6targetE1EEEvSM_,"axG",@progbits,_ZN7rocprim17ROCPRIM_400000_NS6detail17trampoline_kernelINS0_14default_configENS1_38merge_sort_block_merge_config_selectorIlNS0_10empty_typeEEEZZNS1_27merge_sort_block_merge_implIS3_PlPS5_mZN2at6native12_GLOBAL__N_124unique_dim_cuda_templateIhEESt5tupleIJNSA_6TensorESF_SF_EERKSF_lbbbEUlllE_EE10hipError_tT0_T1_T2_jT3_P12ihipStream_tbPNSt15iterator_traitsISL_E10value_typeEPNSR_ISM_E10value_typeEPSN_NS1_7vsmem_tEENKUlT_SL_SM_SN_E_clIS8_S8_S9_S9_EESK_S10_SL_SM_SN_EUlS10_E_NS1_11comp_targetILNS1_3genE0ELNS1_11target_archE4294967295ELNS1_3gpuE0ELNS1_3repE0EEENS1_48merge_mergepath_partition_config_static_selectorELNS0_4arch9wavefront6targetE1EEEvSM_,comdat
.Lfunc_end18:
	.size	_ZN7rocprim17ROCPRIM_400000_NS6detail17trampoline_kernelINS0_14default_configENS1_38merge_sort_block_merge_config_selectorIlNS0_10empty_typeEEEZZNS1_27merge_sort_block_merge_implIS3_PlPS5_mZN2at6native12_GLOBAL__N_124unique_dim_cuda_templateIhEESt5tupleIJNSA_6TensorESF_SF_EERKSF_lbbbEUlllE_EE10hipError_tT0_T1_T2_jT3_P12ihipStream_tbPNSt15iterator_traitsISL_E10value_typeEPNSR_ISM_E10value_typeEPSN_NS1_7vsmem_tEENKUlT_SL_SM_SN_E_clIS8_S8_S9_S9_EESK_S10_SL_SM_SN_EUlS10_E_NS1_11comp_targetILNS1_3genE0ELNS1_11target_archE4294967295ELNS1_3gpuE0ELNS1_3repE0EEENS1_48merge_mergepath_partition_config_static_selectorELNS0_4arch9wavefront6targetE1EEEvSM_, .Lfunc_end18-_ZN7rocprim17ROCPRIM_400000_NS6detail17trampoline_kernelINS0_14default_configENS1_38merge_sort_block_merge_config_selectorIlNS0_10empty_typeEEEZZNS1_27merge_sort_block_merge_implIS3_PlPS5_mZN2at6native12_GLOBAL__N_124unique_dim_cuda_templateIhEESt5tupleIJNSA_6TensorESF_SF_EERKSF_lbbbEUlllE_EE10hipError_tT0_T1_T2_jT3_P12ihipStream_tbPNSt15iterator_traitsISL_E10value_typeEPNSR_ISM_E10value_typeEPSN_NS1_7vsmem_tEENKUlT_SL_SM_SN_E_clIS8_S8_S9_S9_EESK_S10_SL_SM_SN_EUlS10_E_NS1_11comp_targetILNS1_3genE0ELNS1_11target_archE4294967295ELNS1_3gpuE0ELNS1_3repE0EEENS1_48merge_mergepath_partition_config_static_selectorELNS0_4arch9wavefront6targetE1EEEvSM_
                                        ; -- End function
	.section	.AMDGPU.csdata,"",@progbits
; Kernel info:
; codeLenInByte = 0
; NumSgprs: 4
; NumVgprs: 0
; NumAgprs: 0
; TotalNumVgprs: 0
; ScratchSize: 0
; MemoryBound: 0
; FloatMode: 240
; IeeeMode: 1
; LDSByteSize: 0 bytes/workgroup (compile time only)
; SGPRBlocks: 0
; VGPRBlocks: 0
; NumSGPRsForWavesPerEU: 4
; NumVGPRsForWavesPerEU: 1
; AccumOffset: 4
; Occupancy: 8
; WaveLimiterHint : 0
; COMPUTE_PGM_RSRC2:SCRATCH_EN: 0
; COMPUTE_PGM_RSRC2:USER_SGPR: 6
; COMPUTE_PGM_RSRC2:TRAP_HANDLER: 0
; COMPUTE_PGM_RSRC2:TGID_X_EN: 1
; COMPUTE_PGM_RSRC2:TGID_Y_EN: 0
; COMPUTE_PGM_RSRC2:TGID_Z_EN: 0
; COMPUTE_PGM_RSRC2:TIDIG_COMP_CNT: 0
; COMPUTE_PGM_RSRC3_GFX90A:ACCUM_OFFSET: 0
; COMPUTE_PGM_RSRC3_GFX90A:TG_SPLIT: 0
	.section	.text._ZN7rocprim17ROCPRIM_400000_NS6detail17trampoline_kernelINS0_14default_configENS1_38merge_sort_block_merge_config_selectorIlNS0_10empty_typeEEEZZNS1_27merge_sort_block_merge_implIS3_PlPS5_mZN2at6native12_GLOBAL__N_124unique_dim_cuda_templateIhEESt5tupleIJNSA_6TensorESF_SF_EERKSF_lbbbEUlllE_EE10hipError_tT0_T1_T2_jT3_P12ihipStream_tbPNSt15iterator_traitsISL_E10value_typeEPNSR_ISM_E10value_typeEPSN_NS1_7vsmem_tEENKUlT_SL_SM_SN_E_clIS8_S8_S9_S9_EESK_S10_SL_SM_SN_EUlS10_E_NS1_11comp_targetILNS1_3genE10ELNS1_11target_archE1201ELNS1_3gpuE5ELNS1_3repE0EEENS1_48merge_mergepath_partition_config_static_selectorELNS0_4arch9wavefront6targetE1EEEvSM_,"axG",@progbits,_ZN7rocprim17ROCPRIM_400000_NS6detail17trampoline_kernelINS0_14default_configENS1_38merge_sort_block_merge_config_selectorIlNS0_10empty_typeEEEZZNS1_27merge_sort_block_merge_implIS3_PlPS5_mZN2at6native12_GLOBAL__N_124unique_dim_cuda_templateIhEESt5tupleIJNSA_6TensorESF_SF_EERKSF_lbbbEUlllE_EE10hipError_tT0_T1_T2_jT3_P12ihipStream_tbPNSt15iterator_traitsISL_E10value_typeEPNSR_ISM_E10value_typeEPSN_NS1_7vsmem_tEENKUlT_SL_SM_SN_E_clIS8_S8_S9_S9_EESK_S10_SL_SM_SN_EUlS10_E_NS1_11comp_targetILNS1_3genE10ELNS1_11target_archE1201ELNS1_3gpuE5ELNS1_3repE0EEENS1_48merge_mergepath_partition_config_static_selectorELNS0_4arch9wavefront6targetE1EEEvSM_,comdat
	.globl	_ZN7rocprim17ROCPRIM_400000_NS6detail17trampoline_kernelINS0_14default_configENS1_38merge_sort_block_merge_config_selectorIlNS0_10empty_typeEEEZZNS1_27merge_sort_block_merge_implIS3_PlPS5_mZN2at6native12_GLOBAL__N_124unique_dim_cuda_templateIhEESt5tupleIJNSA_6TensorESF_SF_EERKSF_lbbbEUlllE_EE10hipError_tT0_T1_T2_jT3_P12ihipStream_tbPNSt15iterator_traitsISL_E10value_typeEPNSR_ISM_E10value_typeEPSN_NS1_7vsmem_tEENKUlT_SL_SM_SN_E_clIS8_S8_S9_S9_EESK_S10_SL_SM_SN_EUlS10_E_NS1_11comp_targetILNS1_3genE10ELNS1_11target_archE1201ELNS1_3gpuE5ELNS1_3repE0EEENS1_48merge_mergepath_partition_config_static_selectorELNS0_4arch9wavefront6targetE1EEEvSM_ ; -- Begin function _ZN7rocprim17ROCPRIM_400000_NS6detail17trampoline_kernelINS0_14default_configENS1_38merge_sort_block_merge_config_selectorIlNS0_10empty_typeEEEZZNS1_27merge_sort_block_merge_implIS3_PlPS5_mZN2at6native12_GLOBAL__N_124unique_dim_cuda_templateIhEESt5tupleIJNSA_6TensorESF_SF_EERKSF_lbbbEUlllE_EE10hipError_tT0_T1_T2_jT3_P12ihipStream_tbPNSt15iterator_traitsISL_E10value_typeEPNSR_ISM_E10value_typeEPSN_NS1_7vsmem_tEENKUlT_SL_SM_SN_E_clIS8_S8_S9_S9_EESK_S10_SL_SM_SN_EUlS10_E_NS1_11comp_targetILNS1_3genE10ELNS1_11target_archE1201ELNS1_3gpuE5ELNS1_3repE0EEENS1_48merge_mergepath_partition_config_static_selectorELNS0_4arch9wavefront6targetE1EEEvSM_
	.p2align	8
	.type	_ZN7rocprim17ROCPRIM_400000_NS6detail17trampoline_kernelINS0_14default_configENS1_38merge_sort_block_merge_config_selectorIlNS0_10empty_typeEEEZZNS1_27merge_sort_block_merge_implIS3_PlPS5_mZN2at6native12_GLOBAL__N_124unique_dim_cuda_templateIhEESt5tupleIJNSA_6TensorESF_SF_EERKSF_lbbbEUlllE_EE10hipError_tT0_T1_T2_jT3_P12ihipStream_tbPNSt15iterator_traitsISL_E10value_typeEPNSR_ISM_E10value_typeEPSN_NS1_7vsmem_tEENKUlT_SL_SM_SN_E_clIS8_S8_S9_S9_EESK_S10_SL_SM_SN_EUlS10_E_NS1_11comp_targetILNS1_3genE10ELNS1_11target_archE1201ELNS1_3gpuE5ELNS1_3repE0EEENS1_48merge_mergepath_partition_config_static_selectorELNS0_4arch9wavefront6targetE1EEEvSM_,@function
_ZN7rocprim17ROCPRIM_400000_NS6detail17trampoline_kernelINS0_14default_configENS1_38merge_sort_block_merge_config_selectorIlNS0_10empty_typeEEEZZNS1_27merge_sort_block_merge_implIS3_PlPS5_mZN2at6native12_GLOBAL__N_124unique_dim_cuda_templateIhEESt5tupleIJNSA_6TensorESF_SF_EERKSF_lbbbEUlllE_EE10hipError_tT0_T1_T2_jT3_P12ihipStream_tbPNSt15iterator_traitsISL_E10value_typeEPNSR_ISM_E10value_typeEPSN_NS1_7vsmem_tEENKUlT_SL_SM_SN_E_clIS8_S8_S9_S9_EESK_S10_SL_SM_SN_EUlS10_E_NS1_11comp_targetILNS1_3genE10ELNS1_11target_archE1201ELNS1_3gpuE5ELNS1_3repE0EEENS1_48merge_mergepath_partition_config_static_selectorELNS0_4arch9wavefront6targetE1EEEvSM_: ; @_ZN7rocprim17ROCPRIM_400000_NS6detail17trampoline_kernelINS0_14default_configENS1_38merge_sort_block_merge_config_selectorIlNS0_10empty_typeEEEZZNS1_27merge_sort_block_merge_implIS3_PlPS5_mZN2at6native12_GLOBAL__N_124unique_dim_cuda_templateIhEESt5tupleIJNSA_6TensorESF_SF_EERKSF_lbbbEUlllE_EE10hipError_tT0_T1_T2_jT3_P12ihipStream_tbPNSt15iterator_traitsISL_E10value_typeEPNSR_ISM_E10value_typeEPSN_NS1_7vsmem_tEENKUlT_SL_SM_SN_E_clIS8_S8_S9_S9_EESK_S10_SL_SM_SN_EUlS10_E_NS1_11comp_targetILNS1_3genE10ELNS1_11target_archE1201ELNS1_3gpuE5ELNS1_3repE0EEENS1_48merge_mergepath_partition_config_static_selectorELNS0_4arch9wavefront6targetE1EEEvSM_
; %bb.0:
	.section	.rodata,"a",@progbits
	.p2align	6, 0x0
	.amdhsa_kernel _ZN7rocprim17ROCPRIM_400000_NS6detail17trampoline_kernelINS0_14default_configENS1_38merge_sort_block_merge_config_selectorIlNS0_10empty_typeEEEZZNS1_27merge_sort_block_merge_implIS3_PlPS5_mZN2at6native12_GLOBAL__N_124unique_dim_cuda_templateIhEESt5tupleIJNSA_6TensorESF_SF_EERKSF_lbbbEUlllE_EE10hipError_tT0_T1_T2_jT3_P12ihipStream_tbPNSt15iterator_traitsISL_E10value_typeEPNSR_ISM_E10value_typeEPSN_NS1_7vsmem_tEENKUlT_SL_SM_SN_E_clIS8_S8_S9_S9_EESK_S10_SL_SM_SN_EUlS10_E_NS1_11comp_targetILNS1_3genE10ELNS1_11target_archE1201ELNS1_3gpuE5ELNS1_3repE0EEENS1_48merge_mergepath_partition_config_static_selectorELNS0_4arch9wavefront6targetE1EEEvSM_
		.amdhsa_group_segment_fixed_size 0
		.amdhsa_private_segment_fixed_size 0
		.amdhsa_kernarg_size 56
		.amdhsa_user_sgpr_count 6
		.amdhsa_user_sgpr_private_segment_buffer 1
		.amdhsa_user_sgpr_dispatch_ptr 0
		.amdhsa_user_sgpr_queue_ptr 0
		.amdhsa_user_sgpr_kernarg_segment_ptr 1
		.amdhsa_user_sgpr_dispatch_id 0
		.amdhsa_user_sgpr_flat_scratch_init 0
		.amdhsa_user_sgpr_kernarg_preload_length 0
		.amdhsa_user_sgpr_kernarg_preload_offset 0
		.amdhsa_user_sgpr_private_segment_size 0
		.amdhsa_uses_dynamic_stack 0
		.amdhsa_system_sgpr_private_segment_wavefront_offset 0
		.amdhsa_system_sgpr_workgroup_id_x 1
		.amdhsa_system_sgpr_workgroup_id_y 0
		.amdhsa_system_sgpr_workgroup_id_z 0
		.amdhsa_system_sgpr_workgroup_info 0
		.amdhsa_system_vgpr_workitem_id 0
		.amdhsa_next_free_vgpr 1
		.amdhsa_next_free_sgpr 0
		.amdhsa_accum_offset 4
		.amdhsa_reserve_vcc 0
		.amdhsa_reserve_flat_scratch 0
		.amdhsa_float_round_mode_32 0
		.amdhsa_float_round_mode_16_64 0
		.amdhsa_float_denorm_mode_32 3
		.amdhsa_float_denorm_mode_16_64 3
		.amdhsa_dx10_clamp 1
		.amdhsa_ieee_mode 1
		.amdhsa_fp16_overflow 0
		.amdhsa_tg_split 0
		.amdhsa_exception_fp_ieee_invalid_op 0
		.amdhsa_exception_fp_denorm_src 0
		.amdhsa_exception_fp_ieee_div_zero 0
		.amdhsa_exception_fp_ieee_overflow 0
		.amdhsa_exception_fp_ieee_underflow 0
		.amdhsa_exception_fp_ieee_inexact 0
		.amdhsa_exception_int_div_zero 0
	.end_amdhsa_kernel
	.section	.text._ZN7rocprim17ROCPRIM_400000_NS6detail17trampoline_kernelINS0_14default_configENS1_38merge_sort_block_merge_config_selectorIlNS0_10empty_typeEEEZZNS1_27merge_sort_block_merge_implIS3_PlPS5_mZN2at6native12_GLOBAL__N_124unique_dim_cuda_templateIhEESt5tupleIJNSA_6TensorESF_SF_EERKSF_lbbbEUlllE_EE10hipError_tT0_T1_T2_jT3_P12ihipStream_tbPNSt15iterator_traitsISL_E10value_typeEPNSR_ISM_E10value_typeEPSN_NS1_7vsmem_tEENKUlT_SL_SM_SN_E_clIS8_S8_S9_S9_EESK_S10_SL_SM_SN_EUlS10_E_NS1_11comp_targetILNS1_3genE10ELNS1_11target_archE1201ELNS1_3gpuE5ELNS1_3repE0EEENS1_48merge_mergepath_partition_config_static_selectorELNS0_4arch9wavefront6targetE1EEEvSM_,"axG",@progbits,_ZN7rocprim17ROCPRIM_400000_NS6detail17trampoline_kernelINS0_14default_configENS1_38merge_sort_block_merge_config_selectorIlNS0_10empty_typeEEEZZNS1_27merge_sort_block_merge_implIS3_PlPS5_mZN2at6native12_GLOBAL__N_124unique_dim_cuda_templateIhEESt5tupleIJNSA_6TensorESF_SF_EERKSF_lbbbEUlllE_EE10hipError_tT0_T1_T2_jT3_P12ihipStream_tbPNSt15iterator_traitsISL_E10value_typeEPNSR_ISM_E10value_typeEPSN_NS1_7vsmem_tEENKUlT_SL_SM_SN_E_clIS8_S8_S9_S9_EESK_S10_SL_SM_SN_EUlS10_E_NS1_11comp_targetILNS1_3genE10ELNS1_11target_archE1201ELNS1_3gpuE5ELNS1_3repE0EEENS1_48merge_mergepath_partition_config_static_selectorELNS0_4arch9wavefront6targetE1EEEvSM_,comdat
.Lfunc_end19:
	.size	_ZN7rocprim17ROCPRIM_400000_NS6detail17trampoline_kernelINS0_14default_configENS1_38merge_sort_block_merge_config_selectorIlNS0_10empty_typeEEEZZNS1_27merge_sort_block_merge_implIS3_PlPS5_mZN2at6native12_GLOBAL__N_124unique_dim_cuda_templateIhEESt5tupleIJNSA_6TensorESF_SF_EERKSF_lbbbEUlllE_EE10hipError_tT0_T1_T2_jT3_P12ihipStream_tbPNSt15iterator_traitsISL_E10value_typeEPNSR_ISM_E10value_typeEPSN_NS1_7vsmem_tEENKUlT_SL_SM_SN_E_clIS8_S8_S9_S9_EESK_S10_SL_SM_SN_EUlS10_E_NS1_11comp_targetILNS1_3genE10ELNS1_11target_archE1201ELNS1_3gpuE5ELNS1_3repE0EEENS1_48merge_mergepath_partition_config_static_selectorELNS0_4arch9wavefront6targetE1EEEvSM_, .Lfunc_end19-_ZN7rocprim17ROCPRIM_400000_NS6detail17trampoline_kernelINS0_14default_configENS1_38merge_sort_block_merge_config_selectorIlNS0_10empty_typeEEEZZNS1_27merge_sort_block_merge_implIS3_PlPS5_mZN2at6native12_GLOBAL__N_124unique_dim_cuda_templateIhEESt5tupleIJNSA_6TensorESF_SF_EERKSF_lbbbEUlllE_EE10hipError_tT0_T1_T2_jT3_P12ihipStream_tbPNSt15iterator_traitsISL_E10value_typeEPNSR_ISM_E10value_typeEPSN_NS1_7vsmem_tEENKUlT_SL_SM_SN_E_clIS8_S8_S9_S9_EESK_S10_SL_SM_SN_EUlS10_E_NS1_11comp_targetILNS1_3genE10ELNS1_11target_archE1201ELNS1_3gpuE5ELNS1_3repE0EEENS1_48merge_mergepath_partition_config_static_selectorELNS0_4arch9wavefront6targetE1EEEvSM_
                                        ; -- End function
	.section	.AMDGPU.csdata,"",@progbits
; Kernel info:
; codeLenInByte = 0
; NumSgprs: 4
; NumVgprs: 0
; NumAgprs: 0
; TotalNumVgprs: 0
; ScratchSize: 0
; MemoryBound: 0
; FloatMode: 240
; IeeeMode: 1
; LDSByteSize: 0 bytes/workgroup (compile time only)
; SGPRBlocks: 0
; VGPRBlocks: 0
; NumSGPRsForWavesPerEU: 4
; NumVGPRsForWavesPerEU: 1
; AccumOffset: 4
; Occupancy: 8
; WaveLimiterHint : 0
; COMPUTE_PGM_RSRC2:SCRATCH_EN: 0
; COMPUTE_PGM_RSRC2:USER_SGPR: 6
; COMPUTE_PGM_RSRC2:TRAP_HANDLER: 0
; COMPUTE_PGM_RSRC2:TGID_X_EN: 1
; COMPUTE_PGM_RSRC2:TGID_Y_EN: 0
; COMPUTE_PGM_RSRC2:TGID_Z_EN: 0
; COMPUTE_PGM_RSRC2:TIDIG_COMP_CNT: 0
; COMPUTE_PGM_RSRC3_GFX90A:ACCUM_OFFSET: 0
; COMPUTE_PGM_RSRC3_GFX90A:TG_SPLIT: 0
	.section	.text._ZN7rocprim17ROCPRIM_400000_NS6detail17trampoline_kernelINS0_14default_configENS1_38merge_sort_block_merge_config_selectorIlNS0_10empty_typeEEEZZNS1_27merge_sort_block_merge_implIS3_PlPS5_mZN2at6native12_GLOBAL__N_124unique_dim_cuda_templateIhEESt5tupleIJNSA_6TensorESF_SF_EERKSF_lbbbEUlllE_EE10hipError_tT0_T1_T2_jT3_P12ihipStream_tbPNSt15iterator_traitsISL_E10value_typeEPNSR_ISM_E10value_typeEPSN_NS1_7vsmem_tEENKUlT_SL_SM_SN_E_clIS8_S8_S9_S9_EESK_S10_SL_SM_SN_EUlS10_E_NS1_11comp_targetILNS1_3genE5ELNS1_11target_archE942ELNS1_3gpuE9ELNS1_3repE0EEENS1_48merge_mergepath_partition_config_static_selectorELNS0_4arch9wavefront6targetE1EEEvSM_,"axG",@progbits,_ZN7rocprim17ROCPRIM_400000_NS6detail17trampoline_kernelINS0_14default_configENS1_38merge_sort_block_merge_config_selectorIlNS0_10empty_typeEEEZZNS1_27merge_sort_block_merge_implIS3_PlPS5_mZN2at6native12_GLOBAL__N_124unique_dim_cuda_templateIhEESt5tupleIJNSA_6TensorESF_SF_EERKSF_lbbbEUlllE_EE10hipError_tT0_T1_T2_jT3_P12ihipStream_tbPNSt15iterator_traitsISL_E10value_typeEPNSR_ISM_E10value_typeEPSN_NS1_7vsmem_tEENKUlT_SL_SM_SN_E_clIS8_S8_S9_S9_EESK_S10_SL_SM_SN_EUlS10_E_NS1_11comp_targetILNS1_3genE5ELNS1_11target_archE942ELNS1_3gpuE9ELNS1_3repE0EEENS1_48merge_mergepath_partition_config_static_selectorELNS0_4arch9wavefront6targetE1EEEvSM_,comdat
	.globl	_ZN7rocprim17ROCPRIM_400000_NS6detail17trampoline_kernelINS0_14default_configENS1_38merge_sort_block_merge_config_selectorIlNS0_10empty_typeEEEZZNS1_27merge_sort_block_merge_implIS3_PlPS5_mZN2at6native12_GLOBAL__N_124unique_dim_cuda_templateIhEESt5tupleIJNSA_6TensorESF_SF_EERKSF_lbbbEUlllE_EE10hipError_tT0_T1_T2_jT3_P12ihipStream_tbPNSt15iterator_traitsISL_E10value_typeEPNSR_ISM_E10value_typeEPSN_NS1_7vsmem_tEENKUlT_SL_SM_SN_E_clIS8_S8_S9_S9_EESK_S10_SL_SM_SN_EUlS10_E_NS1_11comp_targetILNS1_3genE5ELNS1_11target_archE942ELNS1_3gpuE9ELNS1_3repE0EEENS1_48merge_mergepath_partition_config_static_selectorELNS0_4arch9wavefront6targetE1EEEvSM_ ; -- Begin function _ZN7rocprim17ROCPRIM_400000_NS6detail17trampoline_kernelINS0_14default_configENS1_38merge_sort_block_merge_config_selectorIlNS0_10empty_typeEEEZZNS1_27merge_sort_block_merge_implIS3_PlPS5_mZN2at6native12_GLOBAL__N_124unique_dim_cuda_templateIhEESt5tupleIJNSA_6TensorESF_SF_EERKSF_lbbbEUlllE_EE10hipError_tT0_T1_T2_jT3_P12ihipStream_tbPNSt15iterator_traitsISL_E10value_typeEPNSR_ISM_E10value_typeEPSN_NS1_7vsmem_tEENKUlT_SL_SM_SN_E_clIS8_S8_S9_S9_EESK_S10_SL_SM_SN_EUlS10_E_NS1_11comp_targetILNS1_3genE5ELNS1_11target_archE942ELNS1_3gpuE9ELNS1_3repE0EEENS1_48merge_mergepath_partition_config_static_selectorELNS0_4arch9wavefront6targetE1EEEvSM_
	.p2align	8
	.type	_ZN7rocprim17ROCPRIM_400000_NS6detail17trampoline_kernelINS0_14default_configENS1_38merge_sort_block_merge_config_selectorIlNS0_10empty_typeEEEZZNS1_27merge_sort_block_merge_implIS3_PlPS5_mZN2at6native12_GLOBAL__N_124unique_dim_cuda_templateIhEESt5tupleIJNSA_6TensorESF_SF_EERKSF_lbbbEUlllE_EE10hipError_tT0_T1_T2_jT3_P12ihipStream_tbPNSt15iterator_traitsISL_E10value_typeEPNSR_ISM_E10value_typeEPSN_NS1_7vsmem_tEENKUlT_SL_SM_SN_E_clIS8_S8_S9_S9_EESK_S10_SL_SM_SN_EUlS10_E_NS1_11comp_targetILNS1_3genE5ELNS1_11target_archE942ELNS1_3gpuE9ELNS1_3repE0EEENS1_48merge_mergepath_partition_config_static_selectorELNS0_4arch9wavefront6targetE1EEEvSM_,@function
_ZN7rocprim17ROCPRIM_400000_NS6detail17trampoline_kernelINS0_14default_configENS1_38merge_sort_block_merge_config_selectorIlNS0_10empty_typeEEEZZNS1_27merge_sort_block_merge_implIS3_PlPS5_mZN2at6native12_GLOBAL__N_124unique_dim_cuda_templateIhEESt5tupleIJNSA_6TensorESF_SF_EERKSF_lbbbEUlllE_EE10hipError_tT0_T1_T2_jT3_P12ihipStream_tbPNSt15iterator_traitsISL_E10value_typeEPNSR_ISM_E10value_typeEPSN_NS1_7vsmem_tEENKUlT_SL_SM_SN_E_clIS8_S8_S9_S9_EESK_S10_SL_SM_SN_EUlS10_E_NS1_11comp_targetILNS1_3genE5ELNS1_11target_archE942ELNS1_3gpuE9ELNS1_3repE0EEENS1_48merge_mergepath_partition_config_static_selectorELNS0_4arch9wavefront6targetE1EEEvSM_: ; @_ZN7rocprim17ROCPRIM_400000_NS6detail17trampoline_kernelINS0_14default_configENS1_38merge_sort_block_merge_config_selectorIlNS0_10empty_typeEEEZZNS1_27merge_sort_block_merge_implIS3_PlPS5_mZN2at6native12_GLOBAL__N_124unique_dim_cuda_templateIhEESt5tupleIJNSA_6TensorESF_SF_EERKSF_lbbbEUlllE_EE10hipError_tT0_T1_T2_jT3_P12ihipStream_tbPNSt15iterator_traitsISL_E10value_typeEPNSR_ISM_E10value_typeEPSN_NS1_7vsmem_tEENKUlT_SL_SM_SN_E_clIS8_S8_S9_S9_EESK_S10_SL_SM_SN_EUlS10_E_NS1_11comp_targetILNS1_3genE5ELNS1_11target_archE942ELNS1_3gpuE9ELNS1_3repE0EEENS1_48merge_mergepath_partition_config_static_selectorELNS0_4arch9wavefront6targetE1EEEvSM_
; %bb.0:
	.section	.rodata,"a",@progbits
	.p2align	6, 0x0
	.amdhsa_kernel _ZN7rocprim17ROCPRIM_400000_NS6detail17trampoline_kernelINS0_14default_configENS1_38merge_sort_block_merge_config_selectorIlNS0_10empty_typeEEEZZNS1_27merge_sort_block_merge_implIS3_PlPS5_mZN2at6native12_GLOBAL__N_124unique_dim_cuda_templateIhEESt5tupleIJNSA_6TensorESF_SF_EERKSF_lbbbEUlllE_EE10hipError_tT0_T1_T2_jT3_P12ihipStream_tbPNSt15iterator_traitsISL_E10value_typeEPNSR_ISM_E10value_typeEPSN_NS1_7vsmem_tEENKUlT_SL_SM_SN_E_clIS8_S8_S9_S9_EESK_S10_SL_SM_SN_EUlS10_E_NS1_11comp_targetILNS1_3genE5ELNS1_11target_archE942ELNS1_3gpuE9ELNS1_3repE0EEENS1_48merge_mergepath_partition_config_static_selectorELNS0_4arch9wavefront6targetE1EEEvSM_
		.amdhsa_group_segment_fixed_size 0
		.amdhsa_private_segment_fixed_size 0
		.amdhsa_kernarg_size 56
		.amdhsa_user_sgpr_count 6
		.amdhsa_user_sgpr_private_segment_buffer 1
		.amdhsa_user_sgpr_dispatch_ptr 0
		.amdhsa_user_sgpr_queue_ptr 0
		.amdhsa_user_sgpr_kernarg_segment_ptr 1
		.amdhsa_user_sgpr_dispatch_id 0
		.amdhsa_user_sgpr_flat_scratch_init 0
		.amdhsa_user_sgpr_kernarg_preload_length 0
		.amdhsa_user_sgpr_kernarg_preload_offset 0
		.amdhsa_user_sgpr_private_segment_size 0
		.amdhsa_uses_dynamic_stack 0
		.amdhsa_system_sgpr_private_segment_wavefront_offset 0
		.amdhsa_system_sgpr_workgroup_id_x 1
		.amdhsa_system_sgpr_workgroup_id_y 0
		.amdhsa_system_sgpr_workgroup_id_z 0
		.amdhsa_system_sgpr_workgroup_info 0
		.amdhsa_system_vgpr_workitem_id 0
		.amdhsa_next_free_vgpr 1
		.amdhsa_next_free_sgpr 0
		.amdhsa_accum_offset 4
		.amdhsa_reserve_vcc 0
		.amdhsa_reserve_flat_scratch 0
		.amdhsa_float_round_mode_32 0
		.amdhsa_float_round_mode_16_64 0
		.amdhsa_float_denorm_mode_32 3
		.amdhsa_float_denorm_mode_16_64 3
		.amdhsa_dx10_clamp 1
		.amdhsa_ieee_mode 1
		.amdhsa_fp16_overflow 0
		.amdhsa_tg_split 0
		.amdhsa_exception_fp_ieee_invalid_op 0
		.amdhsa_exception_fp_denorm_src 0
		.amdhsa_exception_fp_ieee_div_zero 0
		.amdhsa_exception_fp_ieee_overflow 0
		.amdhsa_exception_fp_ieee_underflow 0
		.amdhsa_exception_fp_ieee_inexact 0
		.amdhsa_exception_int_div_zero 0
	.end_amdhsa_kernel
	.section	.text._ZN7rocprim17ROCPRIM_400000_NS6detail17trampoline_kernelINS0_14default_configENS1_38merge_sort_block_merge_config_selectorIlNS0_10empty_typeEEEZZNS1_27merge_sort_block_merge_implIS3_PlPS5_mZN2at6native12_GLOBAL__N_124unique_dim_cuda_templateIhEESt5tupleIJNSA_6TensorESF_SF_EERKSF_lbbbEUlllE_EE10hipError_tT0_T1_T2_jT3_P12ihipStream_tbPNSt15iterator_traitsISL_E10value_typeEPNSR_ISM_E10value_typeEPSN_NS1_7vsmem_tEENKUlT_SL_SM_SN_E_clIS8_S8_S9_S9_EESK_S10_SL_SM_SN_EUlS10_E_NS1_11comp_targetILNS1_3genE5ELNS1_11target_archE942ELNS1_3gpuE9ELNS1_3repE0EEENS1_48merge_mergepath_partition_config_static_selectorELNS0_4arch9wavefront6targetE1EEEvSM_,"axG",@progbits,_ZN7rocprim17ROCPRIM_400000_NS6detail17trampoline_kernelINS0_14default_configENS1_38merge_sort_block_merge_config_selectorIlNS0_10empty_typeEEEZZNS1_27merge_sort_block_merge_implIS3_PlPS5_mZN2at6native12_GLOBAL__N_124unique_dim_cuda_templateIhEESt5tupleIJNSA_6TensorESF_SF_EERKSF_lbbbEUlllE_EE10hipError_tT0_T1_T2_jT3_P12ihipStream_tbPNSt15iterator_traitsISL_E10value_typeEPNSR_ISM_E10value_typeEPSN_NS1_7vsmem_tEENKUlT_SL_SM_SN_E_clIS8_S8_S9_S9_EESK_S10_SL_SM_SN_EUlS10_E_NS1_11comp_targetILNS1_3genE5ELNS1_11target_archE942ELNS1_3gpuE9ELNS1_3repE0EEENS1_48merge_mergepath_partition_config_static_selectorELNS0_4arch9wavefront6targetE1EEEvSM_,comdat
.Lfunc_end20:
	.size	_ZN7rocprim17ROCPRIM_400000_NS6detail17trampoline_kernelINS0_14default_configENS1_38merge_sort_block_merge_config_selectorIlNS0_10empty_typeEEEZZNS1_27merge_sort_block_merge_implIS3_PlPS5_mZN2at6native12_GLOBAL__N_124unique_dim_cuda_templateIhEESt5tupleIJNSA_6TensorESF_SF_EERKSF_lbbbEUlllE_EE10hipError_tT0_T1_T2_jT3_P12ihipStream_tbPNSt15iterator_traitsISL_E10value_typeEPNSR_ISM_E10value_typeEPSN_NS1_7vsmem_tEENKUlT_SL_SM_SN_E_clIS8_S8_S9_S9_EESK_S10_SL_SM_SN_EUlS10_E_NS1_11comp_targetILNS1_3genE5ELNS1_11target_archE942ELNS1_3gpuE9ELNS1_3repE0EEENS1_48merge_mergepath_partition_config_static_selectorELNS0_4arch9wavefront6targetE1EEEvSM_, .Lfunc_end20-_ZN7rocprim17ROCPRIM_400000_NS6detail17trampoline_kernelINS0_14default_configENS1_38merge_sort_block_merge_config_selectorIlNS0_10empty_typeEEEZZNS1_27merge_sort_block_merge_implIS3_PlPS5_mZN2at6native12_GLOBAL__N_124unique_dim_cuda_templateIhEESt5tupleIJNSA_6TensorESF_SF_EERKSF_lbbbEUlllE_EE10hipError_tT0_T1_T2_jT3_P12ihipStream_tbPNSt15iterator_traitsISL_E10value_typeEPNSR_ISM_E10value_typeEPSN_NS1_7vsmem_tEENKUlT_SL_SM_SN_E_clIS8_S8_S9_S9_EESK_S10_SL_SM_SN_EUlS10_E_NS1_11comp_targetILNS1_3genE5ELNS1_11target_archE942ELNS1_3gpuE9ELNS1_3repE0EEENS1_48merge_mergepath_partition_config_static_selectorELNS0_4arch9wavefront6targetE1EEEvSM_
                                        ; -- End function
	.section	.AMDGPU.csdata,"",@progbits
; Kernel info:
; codeLenInByte = 0
; NumSgprs: 4
; NumVgprs: 0
; NumAgprs: 0
; TotalNumVgprs: 0
; ScratchSize: 0
; MemoryBound: 0
; FloatMode: 240
; IeeeMode: 1
; LDSByteSize: 0 bytes/workgroup (compile time only)
; SGPRBlocks: 0
; VGPRBlocks: 0
; NumSGPRsForWavesPerEU: 4
; NumVGPRsForWavesPerEU: 1
; AccumOffset: 4
; Occupancy: 8
; WaveLimiterHint : 0
; COMPUTE_PGM_RSRC2:SCRATCH_EN: 0
; COMPUTE_PGM_RSRC2:USER_SGPR: 6
; COMPUTE_PGM_RSRC2:TRAP_HANDLER: 0
; COMPUTE_PGM_RSRC2:TGID_X_EN: 1
; COMPUTE_PGM_RSRC2:TGID_Y_EN: 0
; COMPUTE_PGM_RSRC2:TGID_Z_EN: 0
; COMPUTE_PGM_RSRC2:TIDIG_COMP_CNT: 0
; COMPUTE_PGM_RSRC3_GFX90A:ACCUM_OFFSET: 0
; COMPUTE_PGM_RSRC3_GFX90A:TG_SPLIT: 0
	.section	.text._ZN7rocprim17ROCPRIM_400000_NS6detail17trampoline_kernelINS0_14default_configENS1_38merge_sort_block_merge_config_selectorIlNS0_10empty_typeEEEZZNS1_27merge_sort_block_merge_implIS3_PlPS5_mZN2at6native12_GLOBAL__N_124unique_dim_cuda_templateIhEESt5tupleIJNSA_6TensorESF_SF_EERKSF_lbbbEUlllE_EE10hipError_tT0_T1_T2_jT3_P12ihipStream_tbPNSt15iterator_traitsISL_E10value_typeEPNSR_ISM_E10value_typeEPSN_NS1_7vsmem_tEENKUlT_SL_SM_SN_E_clIS8_S8_S9_S9_EESK_S10_SL_SM_SN_EUlS10_E_NS1_11comp_targetILNS1_3genE4ELNS1_11target_archE910ELNS1_3gpuE8ELNS1_3repE0EEENS1_48merge_mergepath_partition_config_static_selectorELNS0_4arch9wavefront6targetE1EEEvSM_,"axG",@progbits,_ZN7rocprim17ROCPRIM_400000_NS6detail17trampoline_kernelINS0_14default_configENS1_38merge_sort_block_merge_config_selectorIlNS0_10empty_typeEEEZZNS1_27merge_sort_block_merge_implIS3_PlPS5_mZN2at6native12_GLOBAL__N_124unique_dim_cuda_templateIhEESt5tupleIJNSA_6TensorESF_SF_EERKSF_lbbbEUlllE_EE10hipError_tT0_T1_T2_jT3_P12ihipStream_tbPNSt15iterator_traitsISL_E10value_typeEPNSR_ISM_E10value_typeEPSN_NS1_7vsmem_tEENKUlT_SL_SM_SN_E_clIS8_S8_S9_S9_EESK_S10_SL_SM_SN_EUlS10_E_NS1_11comp_targetILNS1_3genE4ELNS1_11target_archE910ELNS1_3gpuE8ELNS1_3repE0EEENS1_48merge_mergepath_partition_config_static_selectorELNS0_4arch9wavefront6targetE1EEEvSM_,comdat
	.globl	_ZN7rocprim17ROCPRIM_400000_NS6detail17trampoline_kernelINS0_14default_configENS1_38merge_sort_block_merge_config_selectorIlNS0_10empty_typeEEEZZNS1_27merge_sort_block_merge_implIS3_PlPS5_mZN2at6native12_GLOBAL__N_124unique_dim_cuda_templateIhEESt5tupleIJNSA_6TensorESF_SF_EERKSF_lbbbEUlllE_EE10hipError_tT0_T1_T2_jT3_P12ihipStream_tbPNSt15iterator_traitsISL_E10value_typeEPNSR_ISM_E10value_typeEPSN_NS1_7vsmem_tEENKUlT_SL_SM_SN_E_clIS8_S8_S9_S9_EESK_S10_SL_SM_SN_EUlS10_E_NS1_11comp_targetILNS1_3genE4ELNS1_11target_archE910ELNS1_3gpuE8ELNS1_3repE0EEENS1_48merge_mergepath_partition_config_static_selectorELNS0_4arch9wavefront6targetE1EEEvSM_ ; -- Begin function _ZN7rocprim17ROCPRIM_400000_NS6detail17trampoline_kernelINS0_14default_configENS1_38merge_sort_block_merge_config_selectorIlNS0_10empty_typeEEEZZNS1_27merge_sort_block_merge_implIS3_PlPS5_mZN2at6native12_GLOBAL__N_124unique_dim_cuda_templateIhEESt5tupleIJNSA_6TensorESF_SF_EERKSF_lbbbEUlllE_EE10hipError_tT0_T1_T2_jT3_P12ihipStream_tbPNSt15iterator_traitsISL_E10value_typeEPNSR_ISM_E10value_typeEPSN_NS1_7vsmem_tEENKUlT_SL_SM_SN_E_clIS8_S8_S9_S9_EESK_S10_SL_SM_SN_EUlS10_E_NS1_11comp_targetILNS1_3genE4ELNS1_11target_archE910ELNS1_3gpuE8ELNS1_3repE0EEENS1_48merge_mergepath_partition_config_static_selectorELNS0_4arch9wavefront6targetE1EEEvSM_
	.p2align	8
	.type	_ZN7rocprim17ROCPRIM_400000_NS6detail17trampoline_kernelINS0_14default_configENS1_38merge_sort_block_merge_config_selectorIlNS0_10empty_typeEEEZZNS1_27merge_sort_block_merge_implIS3_PlPS5_mZN2at6native12_GLOBAL__N_124unique_dim_cuda_templateIhEESt5tupleIJNSA_6TensorESF_SF_EERKSF_lbbbEUlllE_EE10hipError_tT0_T1_T2_jT3_P12ihipStream_tbPNSt15iterator_traitsISL_E10value_typeEPNSR_ISM_E10value_typeEPSN_NS1_7vsmem_tEENKUlT_SL_SM_SN_E_clIS8_S8_S9_S9_EESK_S10_SL_SM_SN_EUlS10_E_NS1_11comp_targetILNS1_3genE4ELNS1_11target_archE910ELNS1_3gpuE8ELNS1_3repE0EEENS1_48merge_mergepath_partition_config_static_selectorELNS0_4arch9wavefront6targetE1EEEvSM_,@function
_ZN7rocprim17ROCPRIM_400000_NS6detail17trampoline_kernelINS0_14default_configENS1_38merge_sort_block_merge_config_selectorIlNS0_10empty_typeEEEZZNS1_27merge_sort_block_merge_implIS3_PlPS5_mZN2at6native12_GLOBAL__N_124unique_dim_cuda_templateIhEESt5tupleIJNSA_6TensorESF_SF_EERKSF_lbbbEUlllE_EE10hipError_tT0_T1_T2_jT3_P12ihipStream_tbPNSt15iterator_traitsISL_E10value_typeEPNSR_ISM_E10value_typeEPSN_NS1_7vsmem_tEENKUlT_SL_SM_SN_E_clIS8_S8_S9_S9_EESK_S10_SL_SM_SN_EUlS10_E_NS1_11comp_targetILNS1_3genE4ELNS1_11target_archE910ELNS1_3gpuE8ELNS1_3repE0EEENS1_48merge_mergepath_partition_config_static_selectorELNS0_4arch9wavefront6targetE1EEEvSM_: ; @_ZN7rocprim17ROCPRIM_400000_NS6detail17trampoline_kernelINS0_14default_configENS1_38merge_sort_block_merge_config_selectorIlNS0_10empty_typeEEEZZNS1_27merge_sort_block_merge_implIS3_PlPS5_mZN2at6native12_GLOBAL__N_124unique_dim_cuda_templateIhEESt5tupleIJNSA_6TensorESF_SF_EERKSF_lbbbEUlllE_EE10hipError_tT0_T1_T2_jT3_P12ihipStream_tbPNSt15iterator_traitsISL_E10value_typeEPNSR_ISM_E10value_typeEPSN_NS1_7vsmem_tEENKUlT_SL_SM_SN_E_clIS8_S8_S9_S9_EESK_S10_SL_SM_SN_EUlS10_E_NS1_11comp_targetILNS1_3genE4ELNS1_11target_archE910ELNS1_3gpuE8ELNS1_3repE0EEENS1_48merge_mergepath_partition_config_static_selectorELNS0_4arch9wavefront6targetE1EEEvSM_
; %bb.0:
	s_load_dword s0, s[4:5], 0x0
	v_lshl_or_b32 v0, s6, 7, v0
	s_waitcnt lgkmcnt(0)
	v_cmp_gt_u32_e32 vcc, s0, v0
	s_and_saveexec_b64 s[0:1], vcc
	s_cbranch_execz .LBB21_12
; %bb.1:
	s_load_dwordx4 s[0:3], s[4:5], 0x8
	s_load_dwordx8 s[8:15], s[4:5], 0x18
	v_mov_b32_e32 v5, 0
	s_waitcnt lgkmcnt(0)
	v_mov_b32_e32 v1, s0
	v_alignbit_b32 v1, s1, v1, 9
	v_and_b32_e32 v1, -2, v1
	v_add_u32_e32 v2, -1, v1
	v_sub_u32_e32 v1, 0, v1
	v_and_b32_e32 v4, v0, v1
	v_lshlrev_b64 v[8:9], 10, v[4:5]
	v_mov_b32_e32 v1, s3
	v_cmp_lt_u64_e32 vcc, s[2:3], v[8:9]
	v_mov_b32_e32 v4, s2
	v_and_b32_e32 v6, v2, v0
	v_cndmask_b32_e32 v3, v9, v1, vcc
	v_cndmask_b32_e32 v2, v8, v4, vcc
	v_mov_b32_e32 v7, s1
	v_add_co_u32_e32 v8, vcc, s0, v8
	v_addc_co_u32_e32 v9, vcc, v9, v7, vcc
	v_cmp_lt_u64_e32 vcc, s[2:3], v[8:9]
	v_cndmask_b32_e32 v8, v8, v4, vcc
	v_cndmask_b32_e32 v9, v9, v1, vcc
	v_add_co_u32_e32 v10, vcc, s0, v8
	v_addc_co_u32_e32 v11, vcc, v9, v7, vcc
	v_cmp_lt_u64_e32 vcc, s[2:3], v[10:11]
	v_cndmask_b32_e32 v12, v10, v4, vcc
	v_cndmask_b32_e32 v1, v11, v1, vcc
	v_sub_co_u32_e32 v10, vcc, v12, v2
	v_mov_b32_e32 v7, v5
	v_subb_co_u32_e32 v11, vcc, v1, v3, vcc
	v_lshlrev_b64 v[4:5], 10, v[6:7]
	v_cmp_lt_u64_e32 vcc, v[10:11], v[4:5]
	v_cndmask_b32_e32 v11, v5, v11, vcc
	v_cndmask_b32_e32 v10, v4, v10, vcc
	v_sub_co_u32_e32 v6, vcc, v8, v2
	v_subb_co_u32_e32 v7, vcc, v9, v3, vcc
	v_sub_co_u32_e32 v4, vcc, v8, v12
	v_subb_co_u32_e32 v1, vcc, v9, v1, vcc
	v_add_co_u32_e32 v4, vcc, v10, v4
	v_addc_co_u32_e32 v5, vcc, v11, v1, vcc
	v_cmp_gt_u64_e32 vcc, v[4:5], v[10:11]
	v_cndmask_b32_e64 v5, v5, 0, vcc
	v_cndmask_b32_e64 v4, v4, 0, vcc
	v_cmp_lt_u64_e32 vcc, v[10:11], v[6:7]
	v_cndmask_b32_e32 v7, v7, v11, vcc
	v_cndmask_b32_e32 v6, v6, v10, vcc
	v_cmp_lt_u64_e32 vcc, v[4:5], v[6:7]
	s_and_saveexec_b64 s[2:3], vcc
	s_cbranch_execz .LBB21_11
; %bb.2:
	v_lshlrev_b64 v[12:13], 3, v[2:3]
	v_mov_b32_e32 v14, s9
	v_add_co_u32_e32 v1, vcc, s8, v12
	v_addc_co_u32_e32 v14, vcc, v14, v13, vcc
	v_lshlrev_b64 v[8:9], 3, v[8:9]
	v_mov_b32_e32 v12, s9
	v_add_co_u32_e32 v13, vcc, s8, v8
	v_addc_co_u32_e32 v12, vcc, v12, v9, vcc
	v_lshlrev_b64 v[8:9], 3, v[10:11]
	v_cmp_gt_i64_e64 s[0:1], s[10:11], 0
	v_add_co_u32_e32 v15, vcc, v13, v8
	v_cndmask_b32_e64 v8, 0, 1, s[0:1]
	v_addc_co_u32_e32 v16, vcc, v12, v9, vcc
	s_mov_b64 s[4:5], 0
	v_cmp_ne_u32_e64 s[0:1], 1, v8
	s_branch .LBB21_5
.LBB21_3:                               ;   in Loop: Header=BB21_5 Depth=1
	s_or_b64 exec, exec, s[8:9]
.LBB21_4:                               ;   in Loop: Header=BB21_5 Depth=1
	v_add_co_u32_e32 v10, vcc, 1, v8
	v_addc_co_u32_e32 v11, vcc, 0, v9, vcc
	v_cndmask_b32_e64 v7, v7, v9, s[6:7]
	v_cndmask_b32_e64 v6, v6, v8, s[6:7]
	;; [unrolled: 1-line block ×4, first 2 shown]
	v_cmp_ge_u64_e32 vcc, v[4:5], v[6:7]
	s_or_b64 s[4:5], vcc, s[4:5]
	s_andn2_b64 exec, exec, s[4:5]
	s_cbranch_execz .LBB21_10
.LBB21_5:                               ; =>This Loop Header: Depth=1
                                        ;     Child Loop BB21_8 Depth 2
	v_add_co_u32_e32 v8, vcc, v6, v4
	v_addc_co_u32_e32 v9, vcc, v7, v5, vcc
	v_lshrrev_b64 v[8:9], 1, v[8:9]
	s_and_b64 vcc, exec, s[0:1]
	s_mov_b64 s[6:7], 0
	s_cbranch_vccnz .LBB21_4
; %bb.6:                                ;   in Loop: Header=BB21_5 Depth=1
	v_not_b32_e32 v11, v9
	v_not_b32_e32 v10, v8
	v_lshlrev_b64 v[10:11], 3, v[10:11]
	v_add_co_u32_e32 v10, vcc, v15, v10
	v_addc_co_u32_e32 v11, vcc, v16, v11, vcc
	v_lshlrev_b64 v[12:13], 3, v[8:9]
	v_add_co_u32_e32 v12, vcc, v1, v12
	v_addc_co_u32_e32 v13, vcc, v14, v13, vcc
	global_load_dwordx2 v[10:11], v[10:11], off
	v_pk_mov_b32 v[18:19], s[12:13], s[12:13] op_sel:[0,1]
	global_load_dwordx2 v[12:13], v[12:13], off
	s_mov_b64 s[8:9], 0
                                        ; implicit-def: $sgpr6_sgpr7
                                        ; implicit-def: $sgpr16_sgpr17
                                        ; implicit-def: $sgpr18_sgpr19
                                        ; implicit-def: $sgpr20_sgpr21
                                        ; implicit-def: $sgpr24_sgpr25
	s_waitcnt vmcnt(1)
	v_mul_lo_u32 v17, v10, s11
	v_mul_lo_u32 v20, v11, s10
	v_mad_u64_u32 v[10:11], s[22:23], v10, s10, v[18:19]
	s_waitcnt vmcnt(0)
	v_mul_lo_u32 v21, v12, s11
	v_mul_lo_u32 v22, v13, s10
	v_mad_u64_u32 v[12:13], s[22:23], v12, s10, v[18:19]
	v_add3_u32 v11, v20, v11, v17
	v_add3_u32 v13, v22, v13, v21
	s_mov_b64 s[22:23], s[10:11]
	s_branch .LBB21_8
.LBB21_7:                               ;   in Loop: Header=BB21_8 Depth=2
	s_or_b64 exec, exec, s[26:27]
	s_and_b64 s[26:27], exec, s[16:17]
	s_or_b64 s[8:9], s[26:27], s[8:9]
	s_andn2_b64 s[24:25], s[24:25], exec
	s_and_b64 s[26:27], s[18:19], exec
	s_or_b64 s[24:25], s[24:25], s[26:27]
	s_andn2_b64 s[6:7], s[6:7], exec
	s_and_b64 s[26:27], s[20:21], exec
	s_or_b64 s[6:7], s[6:7], s[26:27]
	s_andn2_b64 exec, exec, s[8:9]
	s_cbranch_execz .LBB21_3
.LBB21_8:                               ;   Parent Loop BB21_5 Depth=1
                                        ; =>  This Inner Loop Header: Depth=2
	global_load_ubyte v17, v[10:11], off
	global_load_ubyte v18, v[12:13], off
	s_andn2_b64 s[20:21], s[20:21], exec
	s_andn2_b64 s[18:19], s[18:19], exec
	s_or_b64 s[16:17], s[16:17], exec
	s_waitcnt vmcnt(0)
	v_cmp_le_u16_sdwa s[28:29], v17, v18 src0_sel:BYTE_0 src1_sel:BYTE_0
	v_cmp_lt_u16_sdwa s[26:27], v17, v18 src0_sel:BYTE_0 src1_sel:BYTE_0
	s_and_b64 s[28:29], s[28:29], s[24:25]
	s_or_b64 s[28:29], s[26:27], s[28:29]
	s_and_b64 s[26:27], s[28:29], exec
	v_cmp_eq_u16_sdwa s[30:31], v17, v18 src0_sel:BYTE_0 src1_sel:BYTE_0
	s_or_b64 s[20:21], s[20:21], s[26:27]
	s_and_saveexec_b64 s[26:27], s[30:31]
	s_cbranch_execz .LBB21_7
; %bb.9:                                ;   in Loop: Header=BB21_8 Depth=2
	s_add_u32 s22, s22, -1
	s_addc_u32 s23, s23, -1
	v_add_co_u32_e32 v10, vcc, 1, v10
	s_cmp_eq_u64 s[22:23], 0
	v_addc_co_u32_e32 v11, vcc, 0, v11, vcc
	s_cselect_b64 s[24:25], -1, 0
	v_add_co_u32_e32 v12, vcc, 1, v12
	s_andn2_b64 s[18:19], s[18:19], exec
	s_and_b64 s[28:29], s[28:29], exec
	s_andn2_b64 s[16:17], s[16:17], exec
	s_and_b64 s[24:25], s[24:25], exec
	v_addc_co_u32_e32 v13, vcc, 0, v13, vcc
	s_andn2_b64 s[20:21], s[20:21], exec
	s_or_b64 s[18:19], s[18:19], s[28:29]
	s_or_b64 s[16:17], s[16:17], s[24:25]
                                        ; implicit-def: $sgpr24_sgpr25
	s_branch .LBB21_7
.LBB21_10:
	s_or_b64 exec, exec, s[4:5]
.LBB21_11:
	s_or_b64 exec, exec, s[2:3]
	v_add_co_u32_e32 v2, vcc, v4, v2
	v_mov_b32_e32 v1, 0
	v_addc_co_u32_e32 v3, vcc, v5, v3, vcc
	v_lshlrev_b64 v[0:1], 3, v[0:1]
	v_mov_b32_e32 v4, s15
	v_add_co_u32_e32 v0, vcc, s14, v0
	v_addc_co_u32_e32 v1, vcc, v4, v1, vcc
	global_store_dwordx2 v[0:1], v[2:3], off
.LBB21_12:
	s_endpgm
	.section	.rodata,"a",@progbits
	.p2align	6, 0x0
	.amdhsa_kernel _ZN7rocprim17ROCPRIM_400000_NS6detail17trampoline_kernelINS0_14default_configENS1_38merge_sort_block_merge_config_selectorIlNS0_10empty_typeEEEZZNS1_27merge_sort_block_merge_implIS3_PlPS5_mZN2at6native12_GLOBAL__N_124unique_dim_cuda_templateIhEESt5tupleIJNSA_6TensorESF_SF_EERKSF_lbbbEUlllE_EE10hipError_tT0_T1_T2_jT3_P12ihipStream_tbPNSt15iterator_traitsISL_E10value_typeEPNSR_ISM_E10value_typeEPSN_NS1_7vsmem_tEENKUlT_SL_SM_SN_E_clIS8_S8_S9_S9_EESK_S10_SL_SM_SN_EUlS10_E_NS1_11comp_targetILNS1_3genE4ELNS1_11target_archE910ELNS1_3gpuE8ELNS1_3repE0EEENS1_48merge_mergepath_partition_config_static_selectorELNS0_4arch9wavefront6targetE1EEEvSM_
		.amdhsa_group_segment_fixed_size 0
		.amdhsa_private_segment_fixed_size 0
		.amdhsa_kernarg_size 56
		.amdhsa_user_sgpr_count 6
		.amdhsa_user_sgpr_private_segment_buffer 1
		.amdhsa_user_sgpr_dispatch_ptr 0
		.amdhsa_user_sgpr_queue_ptr 0
		.amdhsa_user_sgpr_kernarg_segment_ptr 1
		.amdhsa_user_sgpr_dispatch_id 0
		.amdhsa_user_sgpr_flat_scratch_init 0
		.amdhsa_user_sgpr_kernarg_preload_length 0
		.amdhsa_user_sgpr_kernarg_preload_offset 0
		.amdhsa_user_sgpr_private_segment_size 0
		.amdhsa_uses_dynamic_stack 0
		.amdhsa_system_sgpr_private_segment_wavefront_offset 0
		.amdhsa_system_sgpr_workgroup_id_x 1
		.amdhsa_system_sgpr_workgroup_id_y 0
		.amdhsa_system_sgpr_workgroup_id_z 0
		.amdhsa_system_sgpr_workgroup_info 0
		.amdhsa_system_vgpr_workitem_id 0
		.amdhsa_next_free_vgpr 23
		.amdhsa_next_free_sgpr 32
		.amdhsa_accum_offset 24
		.amdhsa_reserve_vcc 1
		.amdhsa_reserve_flat_scratch 0
		.amdhsa_float_round_mode_32 0
		.amdhsa_float_round_mode_16_64 0
		.amdhsa_float_denorm_mode_32 3
		.amdhsa_float_denorm_mode_16_64 3
		.amdhsa_dx10_clamp 1
		.amdhsa_ieee_mode 1
		.amdhsa_fp16_overflow 0
		.amdhsa_tg_split 0
		.amdhsa_exception_fp_ieee_invalid_op 0
		.amdhsa_exception_fp_denorm_src 0
		.amdhsa_exception_fp_ieee_div_zero 0
		.amdhsa_exception_fp_ieee_overflow 0
		.amdhsa_exception_fp_ieee_underflow 0
		.amdhsa_exception_fp_ieee_inexact 0
		.amdhsa_exception_int_div_zero 0
	.end_amdhsa_kernel
	.section	.text._ZN7rocprim17ROCPRIM_400000_NS6detail17trampoline_kernelINS0_14default_configENS1_38merge_sort_block_merge_config_selectorIlNS0_10empty_typeEEEZZNS1_27merge_sort_block_merge_implIS3_PlPS5_mZN2at6native12_GLOBAL__N_124unique_dim_cuda_templateIhEESt5tupleIJNSA_6TensorESF_SF_EERKSF_lbbbEUlllE_EE10hipError_tT0_T1_T2_jT3_P12ihipStream_tbPNSt15iterator_traitsISL_E10value_typeEPNSR_ISM_E10value_typeEPSN_NS1_7vsmem_tEENKUlT_SL_SM_SN_E_clIS8_S8_S9_S9_EESK_S10_SL_SM_SN_EUlS10_E_NS1_11comp_targetILNS1_3genE4ELNS1_11target_archE910ELNS1_3gpuE8ELNS1_3repE0EEENS1_48merge_mergepath_partition_config_static_selectorELNS0_4arch9wavefront6targetE1EEEvSM_,"axG",@progbits,_ZN7rocprim17ROCPRIM_400000_NS6detail17trampoline_kernelINS0_14default_configENS1_38merge_sort_block_merge_config_selectorIlNS0_10empty_typeEEEZZNS1_27merge_sort_block_merge_implIS3_PlPS5_mZN2at6native12_GLOBAL__N_124unique_dim_cuda_templateIhEESt5tupleIJNSA_6TensorESF_SF_EERKSF_lbbbEUlllE_EE10hipError_tT0_T1_T2_jT3_P12ihipStream_tbPNSt15iterator_traitsISL_E10value_typeEPNSR_ISM_E10value_typeEPSN_NS1_7vsmem_tEENKUlT_SL_SM_SN_E_clIS8_S8_S9_S9_EESK_S10_SL_SM_SN_EUlS10_E_NS1_11comp_targetILNS1_3genE4ELNS1_11target_archE910ELNS1_3gpuE8ELNS1_3repE0EEENS1_48merge_mergepath_partition_config_static_selectorELNS0_4arch9wavefront6targetE1EEEvSM_,comdat
.Lfunc_end21:
	.size	_ZN7rocprim17ROCPRIM_400000_NS6detail17trampoline_kernelINS0_14default_configENS1_38merge_sort_block_merge_config_selectorIlNS0_10empty_typeEEEZZNS1_27merge_sort_block_merge_implIS3_PlPS5_mZN2at6native12_GLOBAL__N_124unique_dim_cuda_templateIhEESt5tupleIJNSA_6TensorESF_SF_EERKSF_lbbbEUlllE_EE10hipError_tT0_T1_T2_jT3_P12ihipStream_tbPNSt15iterator_traitsISL_E10value_typeEPNSR_ISM_E10value_typeEPSN_NS1_7vsmem_tEENKUlT_SL_SM_SN_E_clIS8_S8_S9_S9_EESK_S10_SL_SM_SN_EUlS10_E_NS1_11comp_targetILNS1_3genE4ELNS1_11target_archE910ELNS1_3gpuE8ELNS1_3repE0EEENS1_48merge_mergepath_partition_config_static_selectorELNS0_4arch9wavefront6targetE1EEEvSM_, .Lfunc_end21-_ZN7rocprim17ROCPRIM_400000_NS6detail17trampoline_kernelINS0_14default_configENS1_38merge_sort_block_merge_config_selectorIlNS0_10empty_typeEEEZZNS1_27merge_sort_block_merge_implIS3_PlPS5_mZN2at6native12_GLOBAL__N_124unique_dim_cuda_templateIhEESt5tupleIJNSA_6TensorESF_SF_EERKSF_lbbbEUlllE_EE10hipError_tT0_T1_T2_jT3_P12ihipStream_tbPNSt15iterator_traitsISL_E10value_typeEPNSR_ISM_E10value_typeEPSN_NS1_7vsmem_tEENKUlT_SL_SM_SN_E_clIS8_S8_S9_S9_EESK_S10_SL_SM_SN_EUlS10_E_NS1_11comp_targetILNS1_3genE4ELNS1_11target_archE910ELNS1_3gpuE8ELNS1_3repE0EEENS1_48merge_mergepath_partition_config_static_selectorELNS0_4arch9wavefront6targetE1EEEvSM_
                                        ; -- End function
	.section	.AMDGPU.csdata,"",@progbits
; Kernel info:
; codeLenInByte = 824
; NumSgprs: 36
; NumVgprs: 23
; NumAgprs: 0
; TotalNumVgprs: 23
; ScratchSize: 0
; MemoryBound: 0
; FloatMode: 240
; IeeeMode: 1
; LDSByteSize: 0 bytes/workgroup (compile time only)
; SGPRBlocks: 4
; VGPRBlocks: 2
; NumSGPRsForWavesPerEU: 36
; NumVGPRsForWavesPerEU: 23
; AccumOffset: 24
; Occupancy: 8
; WaveLimiterHint : 0
; COMPUTE_PGM_RSRC2:SCRATCH_EN: 0
; COMPUTE_PGM_RSRC2:USER_SGPR: 6
; COMPUTE_PGM_RSRC2:TRAP_HANDLER: 0
; COMPUTE_PGM_RSRC2:TGID_X_EN: 1
; COMPUTE_PGM_RSRC2:TGID_Y_EN: 0
; COMPUTE_PGM_RSRC2:TGID_Z_EN: 0
; COMPUTE_PGM_RSRC2:TIDIG_COMP_CNT: 0
; COMPUTE_PGM_RSRC3_GFX90A:ACCUM_OFFSET: 5
; COMPUTE_PGM_RSRC3_GFX90A:TG_SPLIT: 0
	.section	.text._ZN7rocprim17ROCPRIM_400000_NS6detail17trampoline_kernelINS0_14default_configENS1_38merge_sort_block_merge_config_selectorIlNS0_10empty_typeEEEZZNS1_27merge_sort_block_merge_implIS3_PlPS5_mZN2at6native12_GLOBAL__N_124unique_dim_cuda_templateIhEESt5tupleIJNSA_6TensorESF_SF_EERKSF_lbbbEUlllE_EE10hipError_tT0_T1_T2_jT3_P12ihipStream_tbPNSt15iterator_traitsISL_E10value_typeEPNSR_ISM_E10value_typeEPSN_NS1_7vsmem_tEENKUlT_SL_SM_SN_E_clIS8_S8_S9_S9_EESK_S10_SL_SM_SN_EUlS10_E_NS1_11comp_targetILNS1_3genE3ELNS1_11target_archE908ELNS1_3gpuE7ELNS1_3repE0EEENS1_48merge_mergepath_partition_config_static_selectorELNS0_4arch9wavefront6targetE1EEEvSM_,"axG",@progbits,_ZN7rocprim17ROCPRIM_400000_NS6detail17trampoline_kernelINS0_14default_configENS1_38merge_sort_block_merge_config_selectorIlNS0_10empty_typeEEEZZNS1_27merge_sort_block_merge_implIS3_PlPS5_mZN2at6native12_GLOBAL__N_124unique_dim_cuda_templateIhEESt5tupleIJNSA_6TensorESF_SF_EERKSF_lbbbEUlllE_EE10hipError_tT0_T1_T2_jT3_P12ihipStream_tbPNSt15iterator_traitsISL_E10value_typeEPNSR_ISM_E10value_typeEPSN_NS1_7vsmem_tEENKUlT_SL_SM_SN_E_clIS8_S8_S9_S9_EESK_S10_SL_SM_SN_EUlS10_E_NS1_11comp_targetILNS1_3genE3ELNS1_11target_archE908ELNS1_3gpuE7ELNS1_3repE0EEENS1_48merge_mergepath_partition_config_static_selectorELNS0_4arch9wavefront6targetE1EEEvSM_,comdat
	.globl	_ZN7rocprim17ROCPRIM_400000_NS6detail17trampoline_kernelINS0_14default_configENS1_38merge_sort_block_merge_config_selectorIlNS0_10empty_typeEEEZZNS1_27merge_sort_block_merge_implIS3_PlPS5_mZN2at6native12_GLOBAL__N_124unique_dim_cuda_templateIhEESt5tupleIJNSA_6TensorESF_SF_EERKSF_lbbbEUlllE_EE10hipError_tT0_T1_T2_jT3_P12ihipStream_tbPNSt15iterator_traitsISL_E10value_typeEPNSR_ISM_E10value_typeEPSN_NS1_7vsmem_tEENKUlT_SL_SM_SN_E_clIS8_S8_S9_S9_EESK_S10_SL_SM_SN_EUlS10_E_NS1_11comp_targetILNS1_3genE3ELNS1_11target_archE908ELNS1_3gpuE7ELNS1_3repE0EEENS1_48merge_mergepath_partition_config_static_selectorELNS0_4arch9wavefront6targetE1EEEvSM_ ; -- Begin function _ZN7rocprim17ROCPRIM_400000_NS6detail17trampoline_kernelINS0_14default_configENS1_38merge_sort_block_merge_config_selectorIlNS0_10empty_typeEEEZZNS1_27merge_sort_block_merge_implIS3_PlPS5_mZN2at6native12_GLOBAL__N_124unique_dim_cuda_templateIhEESt5tupleIJNSA_6TensorESF_SF_EERKSF_lbbbEUlllE_EE10hipError_tT0_T1_T2_jT3_P12ihipStream_tbPNSt15iterator_traitsISL_E10value_typeEPNSR_ISM_E10value_typeEPSN_NS1_7vsmem_tEENKUlT_SL_SM_SN_E_clIS8_S8_S9_S9_EESK_S10_SL_SM_SN_EUlS10_E_NS1_11comp_targetILNS1_3genE3ELNS1_11target_archE908ELNS1_3gpuE7ELNS1_3repE0EEENS1_48merge_mergepath_partition_config_static_selectorELNS0_4arch9wavefront6targetE1EEEvSM_
	.p2align	8
	.type	_ZN7rocprim17ROCPRIM_400000_NS6detail17trampoline_kernelINS0_14default_configENS1_38merge_sort_block_merge_config_selectorIlNS0_10empty_typeEEEZZNS1_27merge_sort_block_merge_implIS3_PlPS5_mZN2at6native12_GLOBAL__N_124unique_dim_cuda_templateIhEESt5tupleIJNSA_6TensorESF_SF_EERKSF_lbbbEUlllE_EE10hipError_tT0_T1_T2_jT3_P12ihipStream_tbPNSt15iterator_traitsISL_E10value_typeEPNSR_ISM_E10value_typeEPSN_NS1_7vsmem_tEENKUlT_SL_SM_SN_E_clIS8_S8_S9_S9_EESK_S10_SL_SM_SN_EUlS10_E_NS1_11comp_targetILNS1_3genE3ELNS1_11target_archE908ELNS1_3gpuE7ELNS1_3repE0EEENS1_48merge_mergepath_partition_config_static_selectorELNS0_4arch9wavefront6targetE1EEEvSM_,@function
_ZN7rocprim17ROCPRIM_400000_NS6detail17trampoline_kernelINS0_14default_configENS1_38merge_sort_block_merge_config_selectorIlNS0_10empty_typeEEEZZNS1_27merge_sort_block_merge_implIS3_PlPS5_mZN2at6native12_GLOBAL__N_124unique_dim_cuda_templateIhEESt5tupleIJNSA_6TensorESF_SF_EERKSF_lbbbEUlllE_EE10hipError_tT0_T1_T2_jT3_P12ihipStream_tbPNSt15iterator_traitsISL_E10value_typeEPNSR_ISM_E10value_typeEPSN_NS1_7vsmem_tEENKUlT_SL_SM_SN_E_clIS8_S8_S9_S9_EESK_S10_SL_SM_SN_EUlS10_E_NS1_11comp_targetILNS1_3genE3ELNS1_11target_archE908ELNS1_3gpuE7ELNS1_3repE0EEENS1_48merge_mergepath_partition_config_static_selectorELNS0_4arch9wavefront6targetE1EEEvSM_: ; @_ZN7rocprim17ROCPRIM_400000_NS6detail17trampoline_kernelINS0_14default_configENS1_38merge_sort_block_merge_config_selectorIlNS0_10empty_typeEEEZZNS1_27merge_sort_block_merge_implIS3_PlPS5_mZN2at6native12_GLOBAL__N_124unique_dim_cuda_templateIhEESt5tupleIJNSA_6TensorESF_SF_EERKSF_lbbbEUlllE_EE10hipError_tT0_T1_T2_jT3_P12ihipStream_tbPNSt15iterator_traitsISL_E10value_typeEPNSR_ISM_E10value_typeEPSN_NS1_7vsmem_tEENKUlT_SL_SM_SN_E_clIS8_S8_S9_S9_EESK_S10_SL_SM_SN_EUlS10_E_NS1_11comp_targetILNS1_3genE3ELNS1_11target_archE908ELNS1_3gpuE7ELNS1_3repE0EEENS1_48merge_mergepath_partition_config_static_selectorELNS0_4arch9wavefront6targetE1EEEvSM_
; %bb.0:
	.section	.rodata,"a",@progbits
	.p2align	6, 0x0
	.amdhsa_kernel _ZN7rocprim17ROCPRIM_400000_NS6detail17trampoline_kernelINS0_14default_configENS1_38merge_sort_block_merge_config_selectorIlNS0_10empty_typeEEEZZNS1_27merge_sort_block_merge_implIS3_PlPS5_mZN2at6native12_GLOBAL__N_124unique_dim_cuda_templateIhEESt5tupleIJNSA_6TensorESF_SF_EERKSF_lbbbEUlllE_EE10hipError_tT0_T1_T2_jT3_P12ihipStream_tbPNSt15iterator_traitsISL_E10value_typeEPNSR_ISM_E10value_typeEPSN_NS1_7vsmem_tEENKUlT_SL_SM_SN_E_clIS8_S8_S9_S9_EESK_S10_SL_SM_SN_EUlS10_E_NS1_11comp_targetILNS1_3genE3ELNS1_11target_archE908ELNS1_3gpuE7ELNS1_3repE0EEENS1_48merge_mergepath_partition_config_static_selectorELNS0_4arch9wavefront6targetE1EEEvSM_
		.amdhsa_group_segment_fixed_size 0
		.amdhsa_private_segment_fixed_size 0
		.amdhsa_kernarg_size 56
		.amdhsa_user_sgpr_count 6
		.amdhsa_user_sgpr_private_segment_buffer 1
		.amdhsa_user_sgpr_dispatch_ptr 0
		.amdhsa_user_sgpr_queue_ptr 0
		.amdhsa_user_sgpr_kernarg_segment_ptr 1
		.amdhsa_user_sgpr_dispatch_id 0
		.amdhsa_user_sgpr_flat_scratch_init 0
		.amdhsa_user_sgpr_kernarg_preload_length 0
		.amdhsa_user_sgpr_kernarg_preload_offset 0
		.amdhsa_user_sgpr_private_segment_size 0
		.amdhsa_uses_dynamic_stack 0
		.amdhsa_system_sgpr_private_segment_wavefront_offset 0
		.amdhsa_system_sgpr_workgroup_id_x 1
		.amdhsa_system_sgpr_workgroup_id_y 0
		.amdhsa_system_sgpr_workgroup_id_z 0
		.amdhsa_system_sgpr_workgroup_info 0
		.amdhsa_system_vgpr_workitem_id 0
		.amdhsa_next_free_vgpr 1
		.amdhsa_next_free_sgpr 0
		.amdhsa_accum_offset 4
		.amdhsa_reserve_vcc 0
		.amdhsa_reserve_flat_scratch 0
		.amdhsa_float_round_mode_32 0
		.amdhsa_float_round_mode_16_64 0
		.amdhsa_float_denorm_mode_32 3
		.amdhsa_float_denorm_mode_16_64 3
		.amdhsa_dx10_clamp 1
		.amdhsa_ieee_mode 1
		.amdhsa_fp16_overflow 0
		.amdhsa_tg_split 0
		.amdhsa_exception_fp_ieee_invalid_op 0
		.amdhsa_exception_fp_denorm_src 0
		.amdhsa_exception_fp_ieee_div_zero 0
		.amdhsa_exception_fp_ieee_overflow 0
		.amdhsa_exception_fp_ieee_underflow 0
		.amdhsa_exception_fp_ieee_inexact 0
		.amdhsa_exception_int_div_zero 0
	.end_amdhsa_kernel
	.section	.text._ZN7rocprim17ROCPRIM_400000_NS6detail17trampoline_kernelINS0_14default_configENS1_38merge_sort_block_merge_config_selectorIlNS0_10empty_typeEEEZZNS1_27merge_sort_block_merge_implIS3_PlPS5_mZN2at6native12_GLOBAL__N_124unique_dim_cuda_templateIhEESt5tupleIJNSA_6TensorESF_SF_EERKSF_lbbbEUlllE_EE10hipError_tT0_T1_T2_jT3_P12ihipStream_tbPNSt15iterator_traitsISL_E10value_typeEPNSR_ISM_E10value_typeEPSN_NS1_7vsmem_tEENKUlT_SL_SM_SN_E_clIS8_S8_S9_S9_EESK_S10_SL_SM_SN_EUlS10_E_NS1_11comp_targetILNS1_3genE3ELNS1_11target_archE908ELNS1_3gpuE7ELNS1_3repE0EEENS1_48merge_mergepath_partition_config_static_selectorELNS0_4arch9wavefront6targetE1EEEvSM_,"axG",@progbits,_ZN7rocprim17ROCPRIM_400000_NS6detail17trampoline_kernelINS0_14default_configENS1_38merge_sort_block_merge_config_selectorIlNS0_10empty_typeEEEZZNS1_27merge_sort_block_merge_implIS3_PlPS5_mZN2at6native12_GLOBAL__N_124unique_dim_cuda_templateIhEESt5tupleIJNSA_6TensorESF_SF_EERKSF_lbbbEUlllE_EE10hipError_tT0_T1_T2_jT3_P12ihipStream_tbPNSt15iterator_traitsISL_E10value_typeEPNSR_ISM_E10value_typeEPSN_NS1_7vsmem_tEENKUlT_SL_SM_SN_E_clIS8_S8_S9_S9_EESK_S10_SL_SM_SN_EUlS10_E_NS1_11comp_targetILNS1_3genE3ELNS1_11target_archE908ELNS1_3gpuE7ELNS1_3repE0EEENS1_48merge_mergepath_partition_config_static_selectorELNS0_4arch9wavefront6targetE1EEEvSM_,comdat
.Lfunc_end22:
	.size	_ZN7rocprim17ROCPRIM_400000_NS6detail17trampoline_kernelINS0_14default_configENS1_38merge_sort_block_merge_config_selectorIlNS0_10empty_typeEEEZZNS1_27merge_sort_block_merge_implIS3_PlPS5_mZN2at6native12_GLOBAL__N_124unique_dim_cuda_templateIhEESt5tupleIJNSA_6TensorESF_SF_EERKSF_lbbbEUlllE_EE10hipError_tT0_T1_T2_jT3_P12ihipStream_tbPNSt15iterator_traitsISL_E10value_typeEPNSR_ISM_E10value_typeEPSN_NS1_7vsmem_tEENKUlT_SL_SM_SN_E_clIS8_S8_S9_S9_EESK_S10_SL_SM_SN_EUlS10_E_NS1_11comp_targetILNS1_3genE3ELNS1_11target_archE908ELNS1_3gpuE7ELNS1_3repE0EEENS1_48merge_mergepath_partition_config_static_selectorELNS0_4arch9wavefront6targetE1EEEvSM_, .Lfunc_end22-_ZN7rocprim17ROCPRIM_400000_NS6detail17trampoline_kernelINS0_14default_configENS1_38merge_sort_block_merge_config_selectorIlNS0_10empty_typeEEEZZNS1_27merge_sort_block_merge_implIS3_PlPS5_mZN2at6native12_GLOBAL__N_124unique_dim_cuda_templateIhEESt5tupleIJNSA_6TensorESF_SF_EERKSF_lbbbEUlllE_EE10hipError_tT0_T1_T2_jT3_P12ihipStream_tbPNSt15iterator_traitsISL_E10value_typeEPNSR_ISM_E10value_typeEPSN_NS1_7vsmem_tEENKUlT_SL_SM_SN_E_clIS8_S8_S9_S9_EESK_S10_SL_SM_SN_EUlS10_E_NS1_11comp_targetILNS1_3genE3ELNS1_11target_archE908ELNS1_3gpuE7ELNS1_3repE0EEENS1_48merge_mergepath_partition_config_static_selectorELNS0_4arch9wavefront6targetE1EEEvSM_
                                        ; -- End function
	.section	.AMDGPU.csdata,"",@progbits
; Kernel info:
; codeLenInByte = 0
; NumSgprs: 4
; NumVgprs: 0
; NumAgprs: 0
; TotalNumVgprs: 0
; ScratchSize: 0
; MemoryBound: 0
; FloatMode: 240
; IeeeMode: 1
; LDSByteSize: 0 bytes/workgroup (compile time only)
; SGPRBlocks: 0
; VGPRBlocks: 0
; NumSGPRsForWavesPerEU: 4
; NumVGPRsForWavesPerEU: 1
; AccumOffset: 4
; Occupancy: 8
; WaveLimiterHint : 0
; COMPUTE_PGM_RSRC2:SCRATCH_EN: 0
; COMPUTE_PGM_RSRC2:USER_SGPR: 6
; COMPUTE_PGM_RSRC2:TRAP_HANDLER: 0
; COMPUTE_PGM_RSRC2:TGID_X_EN: 1
; COMPUTE_PGM_RSRC2:TGID_Y_EN: 0
; COMPUTE_PGM_RSRC2:TGID_Z_EN: 0
; COMPUTE_PGM_RSRC2:TIDIG_COMP_CNT: 0
; COMPUTE_PGM_RSRC3_GFX90A:ACCUM_OFFSET: 0
; COMPUTE_PGM_RSRC3_GFX90A:TG_SPLIT: 0
	.section	.text._ZN7rocprim17ROCPRIM_400000_NS6detail17trampoline_kernelINS0_14default_configENS1_38merge_sort_block_merge_config_selectorIlNS0_10empty_typeEEEZZNS1_27merge_sort_block_merge_implIS3_PlPS5_mZN2at6native12_GLOBAL__N_124unique_dim_cuda_templateIhEESt5tupleIJNSA_6TensorESF_SF_EERKSF_lbbbEUlllE_EE10hipError_tT0_T1_T2_jT3_P12ihipStream_tbPNSt15iterator_traitsISL_E10value_typeEPNSR_ISM_E10value_typeEPSN_NS1_7vsmem_tEENKUlT_SL_SM_SN_E_clIS8_S8_S9_S9_EESK_S10_SL_SM_SN_EUlS10_E_NS1_11comp_targetILNS1_3genE2ELNS1_11target_archE906ELNS1_3gpuE6ELNS1_3repE0EEENS1_48merge_mergepath_partition_config_static_selectorELNS0_4arch9wavefront6targetE1EEEvSM_,"axG",@progbits,_ZN7rocprim17ROCPRIM_400000_NS6detail17trampoline_kernelINS0_14default_configENS1_38merge_sort_block_merge_config_selectorIlNS0_10empty_typeEEEZZNS1_27merge_sort_block_merge_implIS3_PlPS5_mZN2at6native12_GLOBAL__N_124unique_dim_cuda_templateIhEESt5tupleIJNSA_6TensorESF_SF_EERKSF_lbbbEUlllE_EE10hipError_tT0_T1_T2_jT3_P12ihipStream_tbPNSt15iterator_traitsISL_E10value_typeEPNSR_ISM_E10value_typeEPSN_NS1_7vsmem_tEENKUlT_SL_SM_SN_E_clIS8_S8_S9_S9_EESK_S10_SL_SM_SN_EUlS10_E_NS1_11comp_targetILNS1_3genE2ELNS1_11target_archE906ELNS1_3gpuE6ELNS1_3repE0EEENS1_48merge_mergepath_partition_config_static_selectorELNS0_4arch9wavefront6targetE1EEEvSM_,comdat
	.globl	_ZN7rocprim17ROCPRIM_400000_NS6detail17trampoline_kernelINS0_14default_configENS1_38merge_sort_block_merge_config_selectorIlNS0_10empty_typeEEEZZNS1_27merge_sort_block_merge_implIS3_PlPS5_mZN2at6native12_GLOBAL__N_124unique_dim_cuda_templateIhEESt5tupleIJNSA_6TensorESF_SF_EERKSF_lbbbEUlllE_EE10hipError_tT0_T1_T2_jT3_P12ihipStream_tbPNSt15iterator_traitsISL_E10value_typeEPNSR_ISM_E10value_typeEPSN_NS1_7vsmem_tEENKUlT_SL_SM_SN_E_clIS8_S8_S9_S9_EESK_S10_SL_SM_SN_EUlS10_E_NS1_11comp_targetILNS1_3genE2ELNS1_11target_archE906ELNS1_3gpuE6ELNS1_3repE0EEENS1_48merge_mergepath_partition_config_static_selectorELNS0_4arch9wavefront6targetE1EEEvSM_ ; -- Begin function _ZN7rocprim17ROCPRIM_400000_NS6detail17trampoline_kernelINS0_14default_configENS1_38merge_sort_block_merge_config_selectorIlNS0_10empty_typeEEEZZNS1_27merge_sort_block_merge_implIS3_PlPS5_mZN2at6native12_GLOBAL__N_124unique_dim_cuda_templateIhEESt5tupleIJNSA_6TensorESF_SF_EERKSF_lbbbEUlllE_EE10hipError_tT0_T1_T2_jT3_P12ihipStream_tbPNSt15iterator_traitsISL_E10value_typeEPNSR_ISM_E10value_typeEPSN_NS1_7vsmem_tEENKUlT_SL_SM_SN_E_clIS8_S8_S9_S9_EESK_S10_SL_SM_SN_EUlS10_E_NS1_11comp_targetILNS1_3genE2ELNS1_11target_archE906ELNS1_3gpuE6ELNS1_3repE0EEENS1_48merge_mergepath_partition_config_static_selectorELNS0_4arch9wavefront6targetE1EEEvSM_
	.p2align	8
	.type	_ZN7rocprim17ROCPRIM_400000_NS6detail17trampoline_kernelINS0_14default_configENS1_38merge_sort_block_merge_config_selectorIlNS0_10empty_typeEEEZZNS1_27merge_sort_block_merge_implIS3_PlPS5_mZN2at6native12_GLOBAL__N_124unique_dim_cuda_templateIhEESt5tupleIJNSA_6TensorESF_SF_EERKSF_lbbbEUlllE_EE10hipError_tT0_T1_T2_jT3_P12ihipStream_tbPNSt15iterator_traitsISL_E10value_typeEPNSR_ISM_E10value_typeEPSN_NS1_7vsmem_tEENKUlT_SL_SM_SN_E_clIS8_S8_S9_S9_EESK_S10_SL_SM_SN_EUlS10_E_NS1_11comp_targetILNS1_3genE2ELNS1_11target_archE906ELNS1_3gpuE6ELNS1_3repE0EEENS1_48merge_mergepath_partition_config_static_selectorELNS0_4arch9wavefront6targetE1EEEvSM_,@function
_ZN7rocprim17ROCPRIM_400000_NS6detail17trampoline_kernelINS0_14default_configENS1_38merge_sort_block_merge_config_selectorIlNS0_10empty_typeEEEZZNS1_27merge_sort_block_merge_implIS3_PlPS5_mZN2at6native12_GLOBAL__N_124unique_dim_cuda_templateIhEESt5tupleIJNSA_6TensorESF_SF_EERKSF_lbbbEUlllE_EE10hipError_tT0_T1_T2_jT3_P12ihipStream_tbPNSt15iterator_traitsISL_E10value_typeEPNSR_ISM_E10value_typeEPSN_NS1_7vsmem_tEENKUlT_SL_SM_SN_E_clIS8_S8_S9_S9_EESK_S10_SL_SM_SN_EUlS10_E_NS1_11comp_targetILNS1_3genE2ELNS1_11target_archE906ELNS1_3gpuE6ELNS1_3repE0EEENS1_48merge_mergepath_partition_config_static_selectorELNS0_4arch9wavefront6targetE1EEEvSM_: ; @_ZN7rocprim17ROCPRIM_400000_NS6detail17trampoline_kernelINS0_14default_configENS1_38merge_sort_block_merge_config_selectorIlNS0_10empty_typeEEEZZNS1_27merge_sort_block_merge_implIS3_PlPS5_mZN2at6native12_GLOBAL__N_124unique_dim_cuda_templateIhEESt5tupleIJNSA_6TensorESF_SF_EERKSF_lbbbEUlllE_EE10hipError_tT0_T1_T2_jT3_P12ihipStream_tbPNSt15iterator_traitsISL_E10value_typeEPNSR_ISM_E10value_typeEPSN_NS1_7vsmem_tEENKUlT_SL_SM_SN_E_clIS8_S8_S9_S9_EESK_S10_SL_SM_SN_EUlS10_E_NS1_11comp_targetILNS1_3genE2ELNS1_11target_archE906ELNS1_3gpuE6ELNS1_3repE0EEENS1_48merge_mergepath_partition_config_static_selectorELNS0_4arch9wavefront6targetE1EEEvSM_
; %bb.0:
	.section	.rodata,"a",@progbits
	.p2align	6, 0x0
	.amdhsa_kernel _ZN7rocprim17ROCPRIM_400000_NS6detail17trampoline_kernelINS0_14default_configENS1_38merge_sort_block_merge_config_selectorIlNS0_10empty_typeEEEZZNS1_27merge_sort_block_merge_implIS3_PlPS5_mZN2at6native12_GLOBAL__N_124unique_dim_cuda_templateIhEESt5tupleIJNSA_6TensorESF_SF_EERKSF_lbbbEUlllE_EE10hipError_tT0_T1_T2_jT3_P12ihipStream_tbPNSt15iterator_traitsISL_E10value_typeEPNSR_ISM_E10value_typeEPSN_NS1_7vsmem_tEENKUlT_SL_SM_SN_E_clIS8_S8_S9_S9_EESK_S10_SL_SM_SN_EUlS10_E_NS1_11comp_targetILNS1_3genE2ELNS1_11target_archE906ELNS1_3gpuE6ELNS1_3repE0EEENS1_48merge_mergepath_partition_config_static_selectorELNS0_4arch9wavefront6targetE1EEEvSM_
		.amdhsa_group_segment_fixed_size 0
		.amdhsa_private_segment_fixed_size 0
		.amdhsa_kernarg_size 56
		.amdhsa_user_sgpr_count 6
		.amdhsa_user_sgpr_private_segment_buffer 1
		.amdhsa_user_sgpr_dispatch_ptr 0
		.amdhsa_user_sgpr_queue_ptr 0
		.amdhsa_user_sgpr_kernarg_segment_ptr 1
		.amdhsa_user_sgpr_dispatch_id 0
		.amdhsa_user_sgpr_flat_scratch_init 0
		.amdhsa_user_sgpr_kernarg_preload_length 0
		.amdhsa_user_sgpr_kernarg_preload_offset 0
		.amdhsa_user_sgpr_private_segment_size 0
		.amdhsa_uses_dynamic_stack 0
		.amdhsa_system_sgpr_private_segment_wavefront_offset 0
		.amdhsa_system_sgpr_workgroup_id_x 1
		.amdhsa_system_sgpr_workgroup_id_y 0
		.amdhsa_system_sgpr_workgroup_id_z 0
		.amdhsa_system_sgpr_workgroup_info 0
		.amdhsa_system_vgpr_workitem_id 0
		.amdhsa_next_free_vgpr 1
		.amdhsa_next_free_sgpr 0
		.amdhsa_accum_offset 4
		.amdhsa_reserve_vcc 0
		.amdhsa_reserve_flat_scratch 0
		.amdhsa_float_round_mode_32 0
		.amdhsa_float_round_mode_16_64 0
		.amdhsa_float_denorm_mode_32 3
		.amdhsa_float_denorm_mode_16_64 3
		.amdhsa_dx10_clamp 1
		.amdhsa_ieee_mode 1
		.amdhsa_fp16_overflow 0
		.amdhsa_tg_split 0
		.amdhsa_exception_fp_ieee_invalid_op 0
		.amdhsa_exception_fp_denorm_src 0
		.amdhsa_exception_fp_ieee_div_zero 0
		.amdhsa_exception_fp_ieee_overflow 0
		.amdhsa_exception_fp_ieee_underflow 0
		.amdhsa_exception_fp_ieee_inexact 0
		.amdhsa_exception_int_div_zero 0
	.end_amdhsa_kernel
	.section	.text._ZN7rocprim17ROCPRIM_400000_NS6detail17trampoline_kernelINS0_14default_configENS1_38merge_sort_block_merge_config_selectorIlNS0_10empty_typeEEEZZNS1_27merge_sort_block_merge_implIS3_PlPS5_mZN2at6native12_GLOBAL__N_124unique_dim_cuda_templateIhEESt5tupleIJNSA_6TensorESF_SF_EERKSF_lbbbEUlllE_EE10hipError_tT0_T1_T2_jT3_P12ihipStream_tbPNSt15iterator_traitsISL_E10value_typeEPNSR_ISM_E10value_typeEPSN_NS1_7vsmem_tEENKUlT_SL_SM_SN_E_clIS8_S8_S9_S9_EESK_S10_SL_SM_SN_EUlS10_E_NS1_11comp_targetILNS1_3genE2ELNS1_11target_archE906ELNS1_3gpuE6ELNS1_3repE0EEENS1_48merge_mergepath_partition_config_static_selectorELNS0_4arch9wavefront6targetE1EEEvSM_,"axG",@progbits,_ZN7rocprim17ROCPRIM_400000_NS6detail17trampoline_kernelINS0_14default_configENS1_38merge_sort_block_merge_config_selectorIlNS0_10empty_typeEEEZZNS1_27merge_sort_block_merge_implIS3_PlPS5_mZN2at6native12_GLOBAL__N_124unique_dim_cuda_templateIhEESt5tupleIJNSA_6TensorESF_SF_EERKSF_lbbbEUlllE_EE10hipError_tT0_T1_T2_jT3_P12ihipStream_tbPNSt15iterator_traitsISL_E10value_typeEPNSR_ISM_E10value_typeEPSN_NS1_7vsmem_tEENKUlT_SL_SM_SN_E_clIS8_S8_S9_S9_EESK_S10_SL_SM_SN_EUlS10_E_NS1_11comp_targetILNS1_3genE2ELNS1_11target_archE906ELNS1_3gpuE6ELNS1_3repE0EEENS1_48merge_mergepath_partition_config_static_selectorELNS0_4arch9wavefront6targetE1EEEvSM_,comdat
.Lfunc_end23:
	.size	_ZN7rocprim17ROCPRIM_400000_NS6detail17trampoline_kernelINS0_14default_configENS1_38merge_sort_block_merge_config_selectorIlNS0_10empty_typeEEEZZNS1_27merge_sort_block_merge_implIS3_PlPS5_mZN2at6native12_GLOBAL__N_124unique_dim_cuda_templateIhEESt5tupleIJNSA_6TensorESF_SF_EERKSF_lbbbEUlllE_EE10hipError_tT0_T1_T2_jT3_P12ihipStream_tbPNSt15iterator_traitsISL_E10value_typeEPNSR_ISM_E10value_typeEPSN_NS1_7vsmem_tEENKUlT_SL_SM_SN_E_clIS8_S8_S9_S9_EESK_S10_SL_SM_SN_EUlS10_E_NS1_11comp_targetILNS1_3genE2ELNS1_11target_archE906ELNS1_3gpuE6ELNS1_3repE0EEENS1_48merge_mergepath_partition_config_static_selectorELNS0_4arch9wavefront6targetE1EEEvSM_, .Lfunc_end23-_ZN7rocprim17ROCPRIM_400000_NS6detail17trampoline_kernelINS0_14default_configENS1_38merge_sort_block_merge_config_selectorIlNS0_10empty_typeEEEZZNS1_27merge_sort_block_merge_implIS3_PlPS5_mZN2at6native12_GLOBAL__N_124unique_dim_cuda_templateIhEESt5tupleIJNSA_6TensorESF_SF_EERKSF_lbbbEUlllE_EE10hipError_tT0_T1_T2_jT3_P12ihipStream_tbPNSt15iterator_traitsISL_E10value_typeEPNSR_ISM_E10value_typeEPSN_NS1_7vsmem_tEENKUlT_SL_SM_SN_E_clIS8_S8_S9_S9_EESK_S10_SL_SM_SN_EUlS10_E_NS1_11comp_targetILNS1_3genE2ELNS1_11target_archE906ELNS1_3gpuE6ELNS1_3repE0EEENS1_48merge_mergepath_partition_config_static_selectorELNS0_4arch9wavefront6targetE1EEEvSM_
                                        ; -- End function
	.section	.AMDGPU.csdata,"",@progbits
; Kernel info:
; codeLenInByte = 0
; NumSgprs: 4
; NumVgprs: 0
; NumAgprs: 0
; TotalNumVgprs: 0
; ScratchSize: 0
; MemoryBound: 0
; FloatMode: 240
; IeeeMode: 1
; LDSByteSize: 0 bytes/workgroup (compile time only)
; SGPRBlocks: 0
; VGPRBlocks: 0
; NumSGPRsForWavesPerEU: 4
; NumVGPRsForWavesPerEU: 1
; AccumOffset: 4
; Occupancy: 8
; WaveLimiterHint : 0
; COMPUTE_PGM_RSRC2:SCRATCH_EN: 0
; COMPUTE_PGM_RSRC2:USER_SGPR: 6
; COMPUTE_PGM_RSRC2:TRAP_HANDLER: 0
; COMPUTE_PGM_RSRC2:TGID_X_EN: 1
; COMPUTE_PGM_RSRC2:TGID_Y_EN: 0
; COMPUTE_PGM_RSRC2:TGID_Z_EN: 0
; COMPUTE_PGM_RSRC2:TIDIG_COMP_CNT: 0
; COMPUTE_PGM_RSRC3_GFX90A:ACCUM_OFFSET: 0
; COMPUTE_PGM_RSRC3_GFX90A:TG_SPLIT: 0
	.section	.text._ZN7rocprim17ROCPRIM_400000_NS6detail17trampoline_kernelINS0_14default_configENS1_38merge_sort_block_merge_config_selectorIlNS0_10empty_typeEEEZZNS1_27merge_sort_block_merge_implIS3_PlPS5_mZN2at6native12_GLOBAL__N_124unique_dim_cuda_templateIhEESt5tupleIJNSA_6TensorESF_SF_EERKSF_lbbbEUlllE_EE10hipError_tT0_T1_T2_jT3_P12ihipStream_tbPNSt15iterator_traitsISL_E10value_typeEPNSR_ISM_E10value_typeEPSN_NS1_7vsmem_tEENKUlT_SL_SM_SN_E_clIS8_S8_S9_S9_EESK_S10_SL_SM_SN_EUlS10_E_NS1_11comp_targetILNS1_3genE9ELNS1_11target_archE1100ELNS1_3gpuE3ELNS1_3repE0EEENS1_48merge_mergepath_partition_config_static_selectorELNS0_4arch9wavefront6targetE1EEEvSM_,"axG",@progbits,_ZN7rocprim17ROCPRIM_400000_NS6detail17trampoline_kernelINS0_14default_configENS1_38merge_sort_block_merge_config_selectorIlNS0_10empty_typeEEEZZNS1_27merge_sort_block_merge_implIS3_PlPS5_mZN2at6native12_GLOBAL__N_124unique_dim_cuda_templateIhEESt5tupleIJNSA_6TensorESF_SF_EERKSF_lbbbEUlllE_EE10hipError_tT0_T1_T2_jT3_P12ihipStream_tbPNSt15iterator_traitsISL_E10value_typeEPNSR_ISM_E10value_typeEPSN_NS1_7vsmem_tEENKUlT_SL_SM_SN_E_clIS8_S8_S9_S9_EESK_S10_SL_SM_SN_EUlS10_E_NS1_11comp_targetILNS1_3genE9ELNS1_11target_archE1100ELNS1_3gpuE3ELNS1_3repE0EEENS1_48merge_mergepath_partition_config_static_selectorELNS0_4arch9wavefront6targetE1EEEvSM_,comdat
	.globl	_ZN7rocprim17ROCPRIM_400000_NS6detail17trampoline_kernelINS0_14default_configENS1_38merge_sort_block_merge_config_selectorIlNS0_10empty_typeEEEZZNS1_27merge_sort_block_merge_implIS3_PlPS5_mZN2at6native12_GLOBAL__N_124unique_dim_cuda_templateIhEESt5tupleIJNSA_6TensorESF_SF_EERKSF_lbbbEUlllE_EE10hipError_tT0_T1_T2_jT3_P12ihipStream_tbPNSt15iterator_traitsISL_E10value_typeEPNSR_ISM_E10value_typeEPSN_NS1_7vsmem_tEENKUlT_SL_SM_SN_E_clIS8_S8_S9_S9_EESK_S10_SL_SM_SN_EUlS10_E_NS1_11comp_targetILNS1_3genE9ELNS1_11target_archE1100ELNS1_3gpuE3ELNS1_3repE0EEENS1_48merge_mergepath_partition_config_static_selectorELNS0_4arch9wavefront6targetE1EEEvSM_ ; -- Begin function _ZN7rocprim17ROCPRIM_400000_NS6detail17trampoline_kernelINS0_14default_configENS1_38merge_sort_block_merge_config_selectorIlNS0_10empty_typeEEEZZNS1_27merge_sort_block_merge_implIS3_PlPS5_mZN2at6native12_GLOBAL__N_124unique_dim_cuda_templateIhEESt5tupleIJNSA_6TensorESF_SF_EERKSF_lbbbEUlllE_EE10hipError_tT0_T1_T2_jT3_P12ihipStream_tbPNSt15iterator_traitsISL_E10value_typeEPNSR_ISM_E10value_typeEPSN_NS1_7vsmem_tEENKUlT_SL_SM_SN_E_clIS8_S8_S9_S9_EESK_S10_SL_SM_SN_EUlS10_E_NS1_11comp_targetILNS1_3genE9ELNS1_11target_archE1100ELNS1_3gpuE3ELNS1_3repE0EEENS1_48merge_mergepath_partition_config_static_selectorELNS0_4arch9wavefront6targetE1EEEvSM_
	.p2align	8
	.type	_ZN7rocprim17ROCPRIM_400000_NS6detail17trampoline_kernelINS0_14default_configENS1_38merge_sort_block_merge_config_selectorIlNS0_10empty_typeEEEZZNS1_27merge_sort_block_merge_implIS3_PlPS5_mZN2at6native12_GLOBAL__N_124unique_dim_cuda_templateIhEESt5tupleIJNSA_6TensorESF_SF_EERKSF_lbbbEUlllE_EE10hipError_tT0_T1_T2_jT3_P12ihipStream_tbPNSt15iterator_traitsISL_E10value_typeEPNSR_ISM_E10value_typeEPSN_NS1_7vsmem_tEENKUlT_SL_SM_SN_E_clIS8_S8_S9_S9_EESK_S10_SL_SM_SN_EUlS10_E_NS1_11comp_targetILNS1_3genE9ELNS1_11target_archE1100ELNS1_3gpuE3ELNS1_3repE0EEENS1_48merge_mergepath_partition_config_static_selectorELNS0_4arch9wavefront6targetE1EEEvSM_,@function
_ZN7rocprim17ROCPRIM_400000_NS6detail17trampoline_kernelINS0_14default_configENS1_38merge_sort_block_merge_config_selectorIlNS0_10empty_typeEEEZZNS1_27merge_sort_block_merge_implIS3_PlPS5_mZN2at6native12_GLOBAL__N_124unique_dim_cuda_templateIhEESt5tupleIJNSA_6TensorESF_SF_EERKSF_lbbbEUlllE_EE10hipError_tT0_T1_T2_jT3_P12ihipStream_tbPNSt15iterator_traitsISL_E10value_typeEPNSR_ISM_E10value_typeEPSN_NS1_7vsmem_tEENKUlT_SL_SM_SN_E_clIS8_S8_S9_S9_EESK_S10_SL_SM_SN_EUlS10_E_NS1_11comp_targetILNS1_3genE9ELNS1_11target_archE1100ELNS1_3gpuE3ELNS1_3repE0EEENS1_48merge_mergepath_partition_config_static_selectorELNS0_4arch9wavefront6targetE1EEEvSM_: ; @_ZN7rocprim17ROCPRIM_400000_NS6detail17trampoline_kernelINS0_14default_configENS1_38merge_sort_block_merge_config_selectorIlNS0_10empty_typeEEEZZNS1_27merge_sort_block_merge_implIS3_PlPS5_mZN2at6native12_GLOBAL__N_124unique_dim_cuda_templateIhEESt5tupleIJNSA_6TensorESF_SF_EERKSF_lbbbEUlllE_EE10hipError_tT0_T1_T2_jT3_P12ihipStream_tbPNSt15iterator_traitsISL_E10value_typeEPNSR_ISM_E10value_typeEPSN_NS1_7vsmem_tEENKUlT_SL_SM_SN_E_clIS8_S8_S9_S9_EESK_S10_SL_SM_SN_EUlS10_E_NS1_11comp_targetILNS1_3genE9ELNS1_11target_archE1100ELNS1_3gpuE3ELNS1_3repE0EEENS1_48merge_mergepath_partition_config_static_selectorELNS0_4arch9wavefront6targetE1EEEvSM_
; %bb.0:
	.section	.rodata,"a",@progbits
	.p2align	6, 0x0
	.amdhsa_kernel _ZN7rocprim17ROCPRIM_400000_NS6detail17trampoline_kernelINS0_14default_configENS1_38merge_sort_block_merge_config_selectorIlNS0_10empty_typeEEEZZNS1_27merge_sort_block_merge_implIS3_PlPS5_mZN2at6native12_GLOBAL__N_124unique_dim_cuda_templateIhEESt5tupleIJNSA_6TensorESF_SF_EERKSF_lbbbEUlllE_EE10hipError_tT0_T1_T2_jT3_P12ihipStream_tbPNSt15iterator_traitsISL_E10value_typeEPNSR_ISM_E10value_typeEPSN_NS1_7vsmem_tEENKUlT_SL_SM_SN_E_clIS8_S8_S9_S9_EESK_S10_SL_SM_SN_EUlS10_E_NS1_11comp_targetILNS1_3genE9ELNS1_11target_archE1100ELNS1_3gpuE3ELNS1_3repE0EEENS1_48merge_mergepath_partition_config_static_selectorELNS0_4arch9wavefront6targetE1EEEvSM_
		.amdhsa_group_segment_fixed_size 0
		.amdhsa_private_segment_fixed_size 0
		.amdhsa_kernarg_size 56
		.amdhsa_user_sgpr_count 6
		.amdhsa_user_sgpr_private_segment_buffer 1
		.amdhsa_user_sgpr_dispatch_ptr 0
		.amdhsa_user_sgpr_queue_ptr 0
		.amdhsa_user_sgpr_kernarg_segment_ptr 1
		.amdhsa_user_sgpr_dispatch_id 0
		.amdhsa_user_sgpr_flat_scratch_init 0
		.amdhsa_user_sgpr_kernarg_preload_length 0
		.amdhsa_user_sgpr_kernarg_preload_offset 0
		.amdhsa_user_sgpr_private_segment_size 0
		.amdhsa_uses_dynamic_stack 0
		.amdhsa_system_sgpr_private_segment_wavefront_offset 0
		.amdhsa_system_sgpr_workgroup_id_x 1
		.amdhsa_system_sgpr_workgroup_id_y 0
		.amdhsa_system_sgpr_workgroup_id_z 0
		.amdhsa_system_sgpr_workgroup_info 0
		.amdhsa_system_vgpr_workitem_id 0
		.amdhsa_next_free_vgpr 1
		.amdhsa_next_free_sgpr 0
		.amdhsa_accum_offset 4
		.amdhsa_reserve_vcc 0
		.amdhsa_reserve_flat_scratch 0
		.amdhsa_float_round_mode_32 0
		.amdhsa_float_round_mode_16_64 0
		.amdhsa_float_denorm_mode_32 3
		.amdhsa_float_denorm_mode_16_64 3
		.amdhsa_dx10_clamp 1
		.amdhsa_ieee_mode 1
		.amdhsa_fp16_overflow 0
		.amdhsa_tg_split 0
		.amdhsa_exception_fp_ieee_invalid_op 0
		.amdhsa_exception_fp_denorm_src 0
		.amdhsa_exception_fp_ieee_div_zero 0
		.amdhsa_exception_fp_ieee_overflow 0
		.amdhsa_exception_fp_ieee_underflow 0
		.amdhsa_exception_fp_ieee_inexact 0
		.amdhsa_exception_int_div_zero 0
	.end_amdhsa_kernel
	.section	.text._ZN7rocprim17ROCPRIM_400000_NS6detail17trampoline_kernelINS0_14default_configENS1_38merge_sort_block_merge_config_selectorIlNS0_10empty_typeEEEZZNS1_27merge_sort_block_merge_implIS3_PlPS5_mZN2at6native12_GLOBAL__N_124unique_dim_cuda_templateIhEESt5tupleIJNSA_6TensorESF_SF_EERKSF_lbbbEUlllE_EE10hipError_tT0_T1_T2_jT3_P12ihipStream_tbPNSt15iterator_traitsISL_E10value_typeEPNSR_ISM_E10value_typeEPSN_NS1_7vsmem_tEENKUlT_SL_SM_SN_E_clIS8_S8_S9_S9_EESK_S10_SL_SM_SN_EUlS10_E_NS1_11comp_targetILNS1_3genE9ELNS1_11target_archE1100ELNS1_3gpuE3ELNS1_3repE0EEENS1_48merge_mergepath_partition_config_static_selectorELNS0_4arch9wavefront6targetE1EEEvSM_,"axG",@progbits,_ZN7rocprim17ROCPRIM_400000_NS6detail17trampoline_kernelINS0_14default_configENS1_38merge_sort_block_merge_config_selectorIlNS0_10empty_typeEEEZZNS1_27merge_sort_block_merge_implIS3_PlPS5_mZN2at6native12_GLOBAL__N_124unique_dim_cuda_templateIhEESt5tupleIJNSA_6TensorESF_SF_EERKSF_lbbbEUlllE_EE10hipError_tT0_T1_T2_jT3_P12ihipStream_tbPNSt15iterator_traitsISL_E10value_typeEPNSR_ISM_E10value_typeEPSN_NS1_7vsmem_tEENKUlT_SL_SM_SN_E_clIS8_S8_S9_S9_EESK_S10_SL_SM_SN_EUlS10_E_NS1_11comp_targetILNS1_3genE9ELNS1_11target_archE1100ELNS1_3gpuE3ELNS1_3repE0EEENS1_48merge_mergepath_partition_config_static_selectorELNS0_4arch9wavefront6targetE1EEEvSM_,comdat
.Lfunc_end24:
	.size	_ZN7rocprim17ROCPRIM_400000_NS6detail17trampoline_kernelINS0_14default_configENS1_38merge_sort_block_merge_config_selectorIlNS0_10empty_typeEEEZZNS1_27merge_sort_block_merge_implIS3_PlPS5_mZN2at6native12_GLOBAL__N_124unique_dim_cuda_templateIhEESt5tupleIJNSA_6TensorESF_SF_EERKSF_lbbbEUlllE_EE10hipError_tT0_T1_T2_jT3_P12ihipStream_tbPNSt15iterator_traitsISL_E10value_typeEPNSR_ISM_E10value_typeEPSN_NS1_7vsmem_tEENKUlT_SL_SM_SN_E_clIS8_S8_S9_S9_EESK_S10_SL_SM_SN_EUlS10_E_NS1_11comp_targetILNS1_3genE9ELNS1_11target_archE1100ELNS1_3gpuE3ELNS1_3repE0EEENS1_48merge_mergepath_partition_config_static_selectorELNS0_4arch9wavefront6targetE1EEEvSM_, .Lfunc_end24-_ZN7rocprim17ROCPRIM_400000_NS6detail17trampoline_kernelINS0_14default_configENS1_38merge_sort_block_merge_config_selectorIlNS0_10empty_typeEEEZZNS1_27merge_sort_block_merge_implIS3_PlPS5_mZN2at6native12_GLOBAL__N_124unique_dim_cuda_templateIhEESt5tupleIJNSA_6TensorESF_SF_EERKSF_lbbbEUlllE_EE10hipError_tT0_T1_T2_jT3_P12ihipStream_tbPNSt15iterator_traitsISL_E10value_typeEPNSR_ISM_E10value_typeEPSN_NS1_7vsmem_tEENKUlT_SL_SM_SN_E_clIS8_S8_S9_S9_EESK_S10_SL_SM_SN_EUlS10_E_NS1_11comp_targetILNS1_3genE9ELNS1_11target_archE1100ELNS1_3gpuE3ELNS1_3repE0EEENS1_48merge_mergepath_partition_config_static_selectorELNS0_4arch9wavefront6targetE1EEEvSM_
                                        ; -- End function
	.section	.AMDGPU.csdata,"",@progbits
; Kernel info:
; codeLenInByte = 0
; NumSgprs: 4
; NumVgprs: 0
; NumAgprs: 0
; TotalNumVgprs: 0
; ScratchSize: 0
; MemoryBound: 0
; FloatMode: 240
; IeeeMode: 1
; LDSByteSize: 0 bytes/workgroup (compile time only)
; SGPRBlocks: 0
; VGPRBlocks: 0
; NumSGPRsForWavesPerEU: 4
; NumVGPRsForWavesPerEU: 1
; AccumOffset: 4
; Occupancy: 8
; WaveLimiterHint : 0
; COMPUTE_PGM_RSRC2:SCRATCH_EN: 0
; COMPUTE_PGM_RSRC2:USER_SGPR: 6
; COMPUTE_PGM_RSRC2:TRAP_HANDLER: 0
; COMPUTE_PGM_RSRC2:TGID_X_EN: 1
; COMPUTE_PGM_RSRC2:TGID_Y_EN: 0
; COMPUTE_PGM_RSRC2:TGID_Z_EN: 0
; COMPUTE_PGM_RSRC2:TIDIG_COMP_CNT: 0
; COMPUTE_PGM_RSRC3_GFX90A:ACCUM_OFFSET: 0
; COMPUTE_PGM_RSRC3_GFX90A:TG_SPLIT: 0
	.section	.text._ZN7rocprim17ROCPRIM_400000_NS6detail17trampoline_kernelINS0_14default_configENS1_38merge_sort_block_merge_config_selectorIlNS0_10empty_typeEEEZZNS1_27merge_sort_block_merge_implIS3_PlPS5_mZN2at6native12_GLOBAL__N_124unique_dim_cuda_templateIhEESt5tupleIJNSA_6TensorESF_SF_EERKSF_lbbbEUlllE_EE10hipError_tT0_T1_T2_jT3_P12ihipStream_tbPNSt15iterator_traitsISL_E10value_typeEPNSR_ISM_E10value_typeEPSN_NS1_7vsmem_tEENKUlT_SL_SM_SN_E_clIS8_S8_S9_S9_EESK_S10_SL_SM_SN_EUlS10_E_NS1_11comp_targetILNS1_3genE8ELNS1_11target_archE1030ELNS1_3gpuE2ELNS1_3repE0EEENS1_48merge_mergepath_partition_config_static_selectorELNS0_4arch9wavefront6targetE1EEEvSM_,"axG",@progbits,_ZN7rocprim17ROCPRIM_400000_NS6detail17trampoline_kernelINS0_14default_configENS1_38merge_sort_block_merge_config_selectorIlNS0_10empty_typeEEEZZNS1_27merge_sort_block_merge_implIS3_PlPS5_mZN2at6native12_GLOBAL__N_124unique_dim_cuda_templateIhEESt5tupleIJNSA_6TensorESF_SF_EERKSF_lbbbEUlllE_EE10hipError_tT0_T1_T2_jT3_P12ihipStream_tbPNSt15iterator_traitsISL_E10value_typeEPNSR_ISM_E10value_typeEPSN_NS1_7vsmem_tEENKUlT_SL_SM_SN_E_clIS8_S8_S9_S9_EESK_S10_SL_SM_SN_EUlS10_E_NS1_11comp_targetILNS1_3genE8ELNS1_11target_archE1030ELNS1_3gpuE2ELNS1_3repE0EEENS1_48merge_mergepath_partition_config_static_selectorELNS0_4arch9wavefront6targetE1EEEvSM_,comdat
	.globl	_ZN7rocprim17ROCPRIM_400000_NS6detail17trampoline_kernelINS0_14default_configENS1_38merge_sort_block_merge_config_selectorIlNS0_10empty_typeEEEZZNS1_27merge_sort_block_merge_implIS3_PlPS5_mZN2at6native12_GLOBAL__N_124unique_dim_cuda_templateIhEESt5tupleIJNSA_6TensorESF_SF_EERKSF_lbbbEUlllE_EE10hipError_tT0_T1_T2_jT3_P12ihipStream_tbPNSt15iterator_traitsISL_E10value_typeEPNSR_ISM_E10value_typeEPSN_NS1_7vsmem_tEENKUlT_SL_SM_SN_E_clIS8_S8_S9_S9_EESK_S10_SL_SM_SN_EUlS10_E_NS1_11comp_targetILNS1_3genE8ELNS1_11target_archE1030ELNS1_3gpuE2ELNS1_3repE0EEENS1_48merge_mergepath_partition_config_static_selectorELNS0_4arch9wavefront6targetE1EEEvSM_ ; -- Begin function _ZN7rocprim17ROCPRIM_400000_NS6detail17trampoline_kernelINS0_14default_configENS1_38merge_sort_block_merge_config_selectorIlNS0_10empty_typeEEEZZNS1_27merge_sort_block_merge_implIS3_PlPS5_mZN2at6native12_GLOBAL__N_124unique_dim_cuda_templateIhEESt5tupleIJNSA_6TensorESF_SF_EERKSF_lbbbEUlllE_EE10hipError_tT0_T1_T2_jT3_P12ihipStream_tbPNSt15iterator_traitsISL_E10value_typeEPNSR_ISM_E10value_typeEPSN_NS1_7vsmem_tEENKUlT_SL_SM_SN_E_clIS8_S8_S9_S9_EESK_S10_SL_SM_SN_EUlS10_E_NS1_11comp_targetILNS1_3genE8ELNS1_11target_archE1030ELNS1_3gpuE2ELNS1_3repE0EEENS1_48merge_mergepath_partition_config_static_selectorELNS0_4arch9wavefront6targetE1EEEvSM_
	.p2align	8
	.type	_ZN7rocprim17ROCPRIM_400000_NS6detail17trampoline_kernelINS0_14default_configENS1_38merge_sort_block_merge_config_selectorIlNS0_10empty_typeEEEZZNS1_27merge_sort_block_merge_implIS3_PlPS5_mZN2at6native12_GLOBAL__N_124unique_dim_cuda_templateIhEESt5tupleIJNSA_6TensorESF_SF_EERKSF_lbbbEUlllE_EE10hipError_tT0_T1_T2_jT3_P12ihipStream_tbPNSt15iterator_traitsISL_E10value_typeEPNSR_ISM_E10value_typeEPSN_NS1_7vsmem_tEENKUlT_SL_SM_SN_E_clIS8_S8_S9_S9_EESK_S10_SL_SM_SN_EUlS10_E_NS1_11comp_targetILNS1_3genE8ELNS1_11target_archE1030ELNS1_3gpuE2ELNS1_3repE0EEENS1_48merge_mergepath_partition_config_static_selectorELNS0_4arch9wavefront6targetE1EEEvSM_,@function
_ZN7rocprim17ROCPRIM_400000_NS6detail17trampoline_kernelINS0_14default_configENS1_38merge_sort_block_merge_config_selectorIlNS0_10empty_typeEEEZZNS1_27merge_sort_block_merge_implIS3_PlPS5_mZN2at6native12_GLOBAL__N_124unique_dim_cuda_templateIhEESt5tupleIJNSA_6TensorESF_SF_EERKSF_lbbbEUlllE_EE10hipError_tT0_T1_T2_jT3_P12ihipStream_tbPNSt15iterator_traitsISL_E10value_typeEPNSR_ISM_E10value_typeEPSN_NS1_7vsmem_tEENKUlT_SL_SM_SN_E_clIS8_S8_S9_S9_EESK_S10_SL_SM_SN_EUlS10_E_NS1_11comp_targetILNS1_3genE8ELNS1_11target_archE1030ELNS1_3gpuE2ELNS1_3repE0EEENS1_48merge_mergepath_partition_config_static_selectorELNS0_4arch9wavefront6targetE1EEEvSM_: ; @_ZN7rocprim17ROCPRIM_400000_NS6detail17trampoline_kernelINS0_14default_configENS1_38merge_sort_block_merge_config_selectorIlNS0_10empty_typeEEEZZNS1_27merge_sort_block_merge_implIS3_PlPS5_mZN2at6native12_GLOBAL__N_124unique_dim_cuda_templateIhEESt5tupleIJNSA_6TensorESF_SF_EERKSF_lbbbEUlllE_EE10hipError_tT0_T1_T2_jT3_P12ihipStream_tbPNSt15iterator_traitsISL_E10value_typeEPNSR_ISM_E10value_typeEPSN_NS1_7vsmem_tEENKUlT_SL_SM_SN_E_clIS8_S8_S9_S9_EESK_S10_SL_SM_SN_EUlS10_E_NS1_11comp_targetILNS1_3genE8ELNS1_11target_archE1030ELNS1_3gpuE2ELNS1_3repE0EEENS1_48merge_mergepath_partition_config_static_selectorELNS0_4arch9wavefront6targetE1EEEvSM_
; %bb.0:
	.section	.rodata,"a",@progbits
	.p2align	6, 0x0
	.amdhsa_kernel _ZN7rocprim17ROCPRIM_400000_NS6detail17trampoline_kernelINS0_14default_configENS1_38merge_sort_block_merge_config_selectorIlNS0_10empty_typeEEEZZNS1_27merge_sort_block_merge_implIS3_PlPS5_mZN2at6native12_GLOBAL__N_124unique_dim_cuda_templateIhEESt5tupleIJNSA_6TensorESF_SF_EERKSF_lbbbEUlllE_EE10hipError_tT0_T1_T2_jT3_P12ihipStream_tbPNSt15iterator_traitsISL_E10value_typeEPNSR_ISM_E10value_typeEPSN_NS1_7vsmem_tEENKUlT_SL_SM_SN_E_clIS8_S8_S9_S9_EESK_S10_SL_SM_SN_EUlS10_E_NS1_11comp_targetILNS1_3genE8ELNS1_11target_archE1030ELNS1_3gpuE2ELNS1_3repE0EEENS1_48merge_mergepath_partition_config_static_selectorELNS0_4arch9wavefront6targetE1EEEvSM_
		.amdhsa_group_segment_fixed_size 0
		.amdhsa_private_segment_fixed_size 0
		.amdhsa_kernarg_size 56
		.amdhsa_user_sgpr_count 6
		.amdhsa_user_sgpr_private_segment_buffer 1
		.amdhsa_user_sgpr_dispatch_ptr 0
		.amdhsa_user_sgpr_queue_ptr 0
		.amdhsa_user_sgpr_kernarg_segment_ptr 1
		.amdhsa_user_sgpr_dispatch_id 0
		.amdhsa_user_sgpr_flat_scratch_init 0
		.amdhsa_user_sgpr_kernarg_preload_length 0
		.amdhsa_user_sgpr_kernarg_preload_offset 0
		.amdhsa_user_sgpr_private_segment_size 0
		.amdhsa_uses_dynamic_stack 0
		.amdhsa_system_sgpr_private_segment_wavefront_offset 0
		.amdhsa_system_sgpr_workgroup_id_x 1
		.amdhsa_system_sgpr_workgroup_id_y 0
		.amdhsa_system_sgpr_workgroup_id_z 0
		.amdhsa_system_sgpr_workgroup_info 0
		.amdhsa_system_vgpr_workitem_id 0
		.amdhsa_next_free_vgpr 1
		.amdhsa_next_free_sgpr 0
		.amdhsa_accum_offset 4
		.amdhsa_reserve_vcc 0
		.amdhsa_reserve_flat_scratch 0
		.amdhsa_float_round_mode_32 0
		.amdhsa_float_round_mode_16_64 0
		.amdhsa_float_denorm_mode_32 3
		.amdhsa_float_denorm_mode_16_64 3
		.amdhsa_dx10_clamp 1
		.amdhsa_ieee_mode 1
		.amdhsa_fp16_overflow 0
		.amdhsa_tg_split 0
		.amdhsa_exception_fp_ieee_invalid_op 0
		.amdhsa_exception_fp_denorm_src 0
		.amdhsa_exception_fp_ieee_div_zero 0
		.amdhsa_exception_fp_ieee_overflow 0
		.amdhsa_exception_fp_ieee_underflow 0
		.amdhsa_exception_fp_ieee_inexact 0
		.amdhsa_exception_int_div_zero 0
	.end_amdhsa_kernel
	.section	.text._ZN7rocprim17ROCPRIM_400000_NS6detail17trampoline_kernelINS0_14default_configENS1_38merge_sort_block_merge_config_selectorIlNS0_10empty_typeEEEZZNS1_27merge_sort_block_merge_implIS3_PlPS5_mZN2at6native12_GLOBAL__N_124unique_dim_cuda_templateIhEESt5tupleIJNSA_6TensorESF_SF_EERKSF_lbbbEUlllE_EE10hipError_tT0_T1_T2_jT3_P12ihipStream_tbPNSt15iterator_traitsISL_E10value_typeEPNSR_ISM_E10value_typeEPSN_NS1_7vsmem_tEENKUlT_SL_SM_SN_E_clIS8_S8_S9_S9_EESK_S10_SL_SM_SN_EUlS10_E_NS1_11comp_targetILNS1_3genE8ELNS1_11target_archE1030ELNS1_3gpuE2ELNS1_3repE0EEENS1_48merge_mergepath_partition_config_static_selectorELNS0_4arch9wavefront6targetE1EEEvSM_,"axG",@progbits,_ZN7rocprim17ROCPRIM_400000_NS6detail17trampoline_kernelINS0_14default_configENS1_38merge_sort_block_merge_config_selectorIlNS0_10empty_typeEEEZZNS1_27merge_sort_block_merge_implIS3_PlPS5_mZN2at6native12_GLOBAL__N_124unique_dim_cuda_templateIhEESt5tupleIJNSA_6TensorESF_SF_EERKSF_lbbbEUlllE_EE10hipError_tT0_T1_T2_jT3_P12ihipStream_tbPNSt15iterator_traitsISL_E10value_typeEPNSR_ISM_E10value_typeEPSN_NS1_7vsmem_tEENKUlT_SL_SM_SN_E_clIS8_S8_S9_S9_EESK_S10_SL_SM_SN_EUlS10_E_NS1_11comp_targetILNS1_3genE8ELNS1_11target_archE1030ELNS1_3gpuE2ELNS1_3repE0EEENS1_48merge_mergepath_partition_config_static_selectorELNS0_4arch9wavefront6targetE1EEEvSM_,comdat
.Lfunc_end25:
	.size	_ZN7rocprim17ROCPRIM_400000_NS6detail17trampoline_kernelINS0_14default_configENS1_38merge_sort_block_merge_config_selectorIlNS0_10empty_typeEEEZZNS1_27merge_sort_block_merge_implIS3_PlPS5_mZN2at6native12_GLOBAL__N_124unique_dim_cuda_templateIhEESt5tupleIJNSA_6TensorESF_SF_EERKSF_lbbbEUlllE_EE10hipError_tT0_T1_T2_jT3_P12ihipStream_tbPNSt15iterator_traitsISL_E10value_typeEPNSR_ISM_E10value_typeEPSN_NS1_7vsmem_tEENKUlT_SL_SM_SN_E_clIS8_S8_S9_S9_EESK_S10_SL_SM_SN_EUlS10_E_NS1_11comp_targetILNS1_3genE8ELNS1_11target_archE1030ELNS1_3gpuE2ELNS1_3repE0EEENS1_48merge_mergepath_partition_config_static_selectorELNS0_4arch9wavefront6targetE1EEEvSM_, .Lfunc_end25-_ZN7rocprim17ROCPRIM_400000_NS6detail17trampoline_kernelINS0_14default_configENS1_38merge_sort_block_merge_config_selectorIlNS0_10empty_typeEEEZZNS1_27merge_sort_block_merge_implIS3_PlPS5_mZN2at6native12_GLOBAL__N_124unique_dim_cuda_templateIhEESt5tupleIJNSA_6TensorESF_SF_EERKSF_lbbbEUlllE_EE10hipError_tT0_T1_T2_jT3_P12ihipStream_tbPNSt15iterator_traitsISL_E10value_typeEPNSR_ISM_E10value_typeEPSN_NS1_7vsmem_tEENKUlT_SL_SM_SN_E_clIS8_S8_S9_S9_EESK_S10_SL_SM_SN_EUlS10_E_NS1_11comp_targetILNS1_3genE8ELNS1_11target_archE1030ELNS1_3gpuE2ELNS1_3repE0EEENS1_48merge_mergepath_partition_config_static_selectorELNS0_4arch9wavefront6targetE1EEEvSM_
                                        ; -- End function
	.section	.AMDGPU.csdata,"",@progbits
; Kernel info:
; codeLenInByte = 0
; NumSgprs: 4
; NumVgprs: 0
; NumAgprs: 0
; TotalNumVgprs: 0
; ScratchSize: 0
; MemoryBound: 0
; FloatMode: 240
; IeeeMode: 1
; LDSByteSize: 0 bytes/workgroup (compile time only)
; SGPRBlocks: 0
; VGPRBlocks: 0
; NumSGPRsForWavesPerEU: 4
; NumVGPRsForWavesPerEU: 1
; AccumOffset: 4
; Occupancy: 8
; WaveLimiterHint : 0
; COMPUTE_PGM_RSRC2:SCRATCH_EN: 0
; COMPUTE_PGM_RSRC2:USER_SGPR: 6
; COMPUTE_PGM_RSRC2:TRAP_HANDLER: 0
; COMPUTE_PGM_RSRC2:TGID_X_EN: 1
; COMPUTE_PGM_RSRC2:TGID_Y_EN: 0
; COMPUTE_PGM_RSRC2:TGID_Z_EN: 0
; COMPUTE_PGM_RSRC2:TIDIG_COMP_CNT: 0
; COMPUTE_PGM_RSRC3_GFX90A:ACCUM_OFFSET: 0
; COMPUTE_PGM_RSRC3_GFX90A:TG_SPLIT: 0
	.section	.text._ZN7rocprim17ROCPRIM_400000_NS6detail17trampoline_kernelINS0_14default_configENS1_38merge_sort_block_merge_config_selectorIlNS0_10empty_typeEEEZZNS1_27merge_sort_block_merge_implIS3_PlPS5_mZN2at6native12_GLOBAL__N_124unique_dim_cuda_templateIhEESt5tupleIJNSA_6TensorESF_SF_EERKSF_lbbbEUlllE_EE10hipError_tT0_T1_T2_jT3_P12ihipStream_tbPNSt15iterator_traitsISL_E10value_typeEPNSR_ISM_E10value_typeEPSN_NS1_7vsmem_tEENKUlT_SL_SM_SN_E_clIS8_S8_S9_S9_EESK_S10_SL_SM_SN_EUlS10_E0_NS1_11comp_targetILNS1_3genE0ELNS1_11target_archE4294967295ELNS1_3gpuE0ELNS1_3repE0EEENS1_38merge_mergepath_config_static_selectorELNS0_4arch9wavefront6targetE1EEEvSM_,"axG",@progbits,_ZN7rocprim17ROCPRIM_400000_NS6detail17trampoline_kernelINS0_14default_configENS1_38merge_sort_block_merge_config_selectorIlNS0_10empty_typeEEEZZNS1_27merge_sort_block_merge_implIS3_PlPS5_mZN2at6native12_GLOBAL__N_124unique_dim_cuda_templateIhEESt5tupleIJNSA_6TensorESF_SF_EERKSF_lbbbEUlllE_EE10hipError_tT0_T1_T2_jT3_P12ihipStream_tbPNSt15iterator_traitsISL_E10value_typeEPNSR_ISM_E10value_typeEPSN_NS1_7vsmem_tEENKUlT_SL_SM_SN_E_clIS8_S8_S9_S9_EESK_S10_SL_SM_SN_EUlS10_E0_NS1_11comp_targetILNS1_3genE0ELNS1_11target_archE4294967295ELNS1_3gpuE0ELNS1_3repE0EEENS1_38merge_mergepath_config_static_selectorELNS0_4arch9wavefront6targetE1EEEvSM_,comdat
	.globl	_ZN7rocprim17ROCPRIM_400000_NS6detail17trampoline_kernelINS0_14default_configENS1_38merge_sort_block_merge_config_selectorIlNS0_10empty_typeEEEZZNS1_27merge_sort_block_merge_implIS3_PlPS5_mZN2at6native12_GLOBAL__N_124unique_dim_cuda_templateIhEESt5tupleIJNSA_6TensorESF_SF_EERKSF_lbbbEUlllE_EE10hipError_tT0_T1_T2_jT3_P12ihipStream_tbPNSt15iterator_traitsISL_E10value_typeEPNSR_ISM_E10value_typeEPSN_NS1_7vsmem_tEENKUlT_SL_SM_SN_E_clIS8_S8_S9_S9_EESK_S10_SL_SM_SN_EUlS10_E0_NS1_11comp_targetILNS1_3genE0ELNS1_11target_archE4294967295ELNS1_3gpuE0ELNS1_3repE0EEENS1_38merge_mergepath_config_static_selectorELNS0_4arch9wavefront6targetE1EEEvSM_ ; -- Begin function _ZN7rocprim17ROCPRIM_400000_NS6detail17trampoline_kernelINS0_14default_configENS1_38merge_sort_block_merge_config_selectorIlNS0_10empty_typeEEEZZNS1_27merge_sort_block_merge_implIS3_PlPS5_mZN2at6native12_GLOBAL__N_124unique_dim_cuda_templateIhEESt5tupleIJNSA_6TensorESF_SF_EERKSF_lbbbEUlllE_EE10hipError_tT0_T1_T2_jT3_P12ihipStream_tbPNSt15iterator_traitsISL_E10value_typeEPNSR_ISM_E10value_typeEPSN_NS1_7vsmem_tEENKUlT_SL_SM_SN_E_clIS8_S8_S9_S9_EESK_S10_SL_SM_SN_EUlS10_E0_NS1_11comp_targetILNS1_3genE0ELNS1_11target_archE4294967295ELNS1_3gpuE0ELNS1_3repE0EEENS1_38merge_mergepath_config_static_selectorELNS0_4arch9wavefront6targetE1EEEvSM_
	.p2align	8
	.type	_ZN7rocprim17ROCPRIM_400000_NS6detail17trampoline_kernelINS0_14default_configENS1_38merge_sort_block_merge_config_selectorIlNS0_10empty_typeEEEZZNS1_27merge_sort_block_merge_implIS3_PlPS5_mZN2at6native12_GLOBAL__N_124unique_dim_cuda_templateIhEESt5tupleIJNSA_6TensorESF_SF_EERKSF_lbbbEUlllE_EE10hipError_tT0_T1_T2_jT3_P12ihipStream_tbPNSt15iterator_traitsISL_E10value_typeEPNSR_ISM_E10value_typeEPSN_NS1_7vsmem_tEENKUlT_SL_SM_SN_E_clIS8_S8_S9_S9_EESK_S10_SL_SM_SN_EUlS10_E0_NS1_11comp_targetILNS1_3genE0ELNS1_11target_archE4294967295ELNS1_3gpuE0ELNS1_3repE0EEENS1_38merge_mergepath_config_static_selectorELNS0_4arch9wavefront6targetE1EEEvSM_,@function
_ZN7rocprim17ROCPRIM_400000_NS6detail17trampoline_kernelINS0_14default_configENS1_38merge_sort_block_merge_config_selectorIlNS0_10empty_typeEEEZZNS1_27merge_sort_block_merge_implIS3_PlPS5_mZN2at6native12_GLOBAL__N_124unique_dim_cuda_templateIhEESt5tupleIJNSA_6TensorESF_SF_EERKSF_lbbbEUlllE_EE10hipError_tT0_T1_T2_jT3_P12ihipStream_tbPNSt15iterator_traitsISL_E10value_typeEPNSR_ISM_E10value_typeEPSN_NS1_7vsmem_tEENKUlT_SL_SM_SN_E_clIS8_S8_S9_S9_EESK_S10_SL_SM_SN_EUlS10_E0_NS1_11comp_targetILNS1_3genE0ELNS1_11target_archE4294967295ELNS1_3gpuE0ELNS1_3repE0EEENS1_38merge_mergepath_config_static_selectorELNS0_4arch9wavefront6targetE1EEEvSM_: ; @_ZN7rocprim17ROCPRIM_400000_NS6detail17trampoline_kernelINS0_14default_configENS1_38merge_sort_block_merge_config_selectorIlNS0_10empty_typeEEEZZNS1_27merge_sort_block_merge_implIS3_PlPS5_mZN2at6native12_GLOBAL__N_124unique_dim_cuda_templateIhEESt5tupleIJNSA_6TensorESF_SF_EERKSF_lbbbEUlllE_EE10hipError_tT0_T1_T2_jT3_P12ihipStream_tbPNSt15iterator_traitsISL_E10value_typeEPNSR_ISM_E10value_typeEPSN_NS1_7vsmem_tEENKUlT_SL_SM_SN_E_clIS8_S8_S9_S9_EESK_S10_SL_SM_SN_EUlS10_E0_NS1_11comp_targetILNS1_3genE0ELNS1_11target_archE4294967295ELNS1_3gpuE0ELNS1_3repE0EEENS1_38merge_mergepath_config_static_selectorELNS0_4arch9wavefront6targetE1EEEvSM_
; %bb.0:
	.section	.rodata,"a",@progbits
	.p2align	6, 0x0
	.amdhsa_kernel _ZN7rocprim17ROCPRIM_400000_NS6detail17trampoline_kernelINS0_14default_configENS1_38merge_sort_block_merge_config_selectorIlNS0_10empty_typeEEEZZNS1_27merge_sort_block_merge_implIS3_PlPS5_mZN2at6native12_GLOBAL__N_124unique_dim_cuda_templateIhEESt5tupleIJNSA_6TensorESF_SF_EERKSF_lbbbEUlllE_EE10hipError_tT0_T1_T2_jT3_P12ihipStream_tbPNSt15iterator_traitsISL_E10value_typeEPNSR_ISM_E10value_typeEPSN_NS1_7vsmem_tEENKUlT_SL_SM_SN_E_clIS8_S8_S9_S9_EESK_S10_SL_SM_SN_EUlS10_E0_NS1_11comp_targetILNS1_3genE0ELNS1_11target_archE4294967295ELNS1_3gpuE0ELNS1_3repE0EEENS1_38merge_mergepath_config_static_selectorELNS0_4arch9wavefront6targetE1EEEvSM_
		.amdhsa_group_segment_fixed_size 0
		.amdhsa_private_segment_fixed_size 0
		.amdhsa_kernarg_size 88
		.amdhsa_user_sgpr_count 6
		.amdhsa_user_sgpr_private_segment_buffer 1
		.amdhsa_user_sgpr_dispatch_ptr 0
		.amdhsa_user_sgpr_queue_ptr 0
		.amdhsa_user_sgpr_kernarg_segment_ptr 1
		.amdhsa_user_sgpr_dispatch_id 0
		.amdhsa_user_sgpr_flat_scratch_init 0
		.amdhsa_user_sgpr_kernarg_preload_length 0
		.amdhsa_user_sgpr_kernarg_preload_offset 0
		.amdhsa_user_sgpr_private_segment_size 0
		.amdhsa_uses_dynamic_stack 0
		.amdhsa_system_sgpr_private_segment_wavefront_offset 0
		.amdhsa_system_sgpr_workgroup_id_x 1
		.amdhsa_system_sgpr_workgroup_id_y 0
		.amdhsa_system_sgpr_workgroup_id_z 0
		.amdhsa_system_sgpr_workgroup_info 0
		.amdhsa_system_vgpr_workitem_id 0
		.amdhsa_next_free_vgpr 1
		.amdhsa_next_free_sgpr 0
		.amdhsa_accum_offset 4
		.amdhsa_reserve_vcc 0
		.amdhsa_reserve_flat_scratch 0
		.amdhsa_float_round_mode_32 0
		.amdhsa_float_round_mode_16_64 0
		.amdhsa_float_denorm_mode_32 3
		.amdhsa_float_denorm_mode_16_64 3
		.amdhsa_dx10_clamp 1
		.amdhsa_ieee_mode 1
		.amdhsa_fp16_overflow 0
		.amdhsa_tg_split 0
		.amdhsa_exception_fp_ieee_invalid_op 0
		.amdhsa_exception_fp_denorm_src 0
		.amdhsa_exception_fp_ieee_div_zero 0
		.amdhsa_exception_fp_ieee_overflow 0
		.amdhsa_exception_fp_ieee_underflow 0
		.amdhsa_exception_fp_ieee_inexact 0
		.amdhsa_exception_int_div_zero 0
	.end_amdhsa_kernel
	.section	.text._ZN7rocprim17ROCPRIM_400000_NS6detail17trampoline_kernelINS0_14default_configENS1_38merge_sort_block_merge_config_selectorIlNS0_10empty_typeEEEZZNS1_27merge_sort_block_merge_implIS3_PlPS5_mZN2at6native12_GLOBAL__N_124unique_dim_cuda_templateIhEESt5tupleIJNSA_6TensorESF_SF_EERKSF_lbbbEUlllE_EE10hipError_tT0_T1_T2_jT3_P12ihipStream_tbPNSt15iterator_traitsISL_E10value_typeEPNSR_ISM_E10value_typeEPSN_NS1_7vsmem_tEENKUlT_SL_SM_SN_E_clIS8_S8_S9_S9_EESK_S10_SL_SM_SN_EUlS10_E0_NS1_11comp_targetILNS1_3genE0ELNS1_11target_archE4294967295ELNS1_3gpuE0ELNS1_3repE0EEENS1_38merge_mergepath_config_static_selectorELNS0_4arch9wavefront6targetE1EEEvSM_,"axG",@progbits,_ZN7rocprim17ROCPRIM_400000_NS6detail17trampoline_kernelINS0_14default_configENS1_38merge_sort_block_merge_config_selectorIlNS0_10empty_typeEEEZZNS1_27merge_sort_block_merge_implIS3_PlPS5_mZN2at6native12_GLOBAL__N_124unique_dim_cuda_templateIhEESt5tupleIJNSA_6TensorESF_SF_EERKSF_lbbbEUlllE_EE10hipError_tT0_T1_T2_jT3_P12ihipStream_tbPNSt15iterator_traitsISL_E10value_typeEPNSR_ISM_E10value_typeEPSN_NS1_7vsmem_tEENKUlT_SL_SM_SN_E_clIS8_S8_S9_S9_EESK_S10_SL_SM_SN_EUlS10_E0_NS1_11comp_targetILNS1_3genE0ELNS1_11target_archE4294967295ELNS1_3gpuE0ELNS1_3repE0EEENS1_38merge_mergepath_config_static_selectorELNS0_4arch9wavefront6targetE1EEEvSM_,comdat
.Lfunc_end26:
	.size	_ZN7rocprim17ROCPRIM_400000_NS6detail17trampoline_kernelINS0_14default_configENS1_38merge_sort_block_merge_config_selectorIlNS0_10empty_typeEEEZZNS1_27merge_sort_block_merge_implIS3_PlPS5_mZN2at6native12_GLOBAL__N_124unique_dim_cuda_templateIhEESt5tupleIJNSA_6TensorESF_SF_EERKSF_lbbbEUlllE_EE10hipError_tT0_T1_T2_jT3_P12ihipStream_tbPNSt15iterator_traitsISL_E10value_typeEPNSR_ISM_E10value_typeEPSN_NS1_7vsmem_tEENKUlT_SL_SM_SN_E_clIS8_S8_S9_S9_EESK_S10_SL_SM_SN_EUlS10_E0_NS1_11comp_targetILNS1_3genE0ELNS1_11target_archE4294967295ELNS1_3gpuE0ELNS1_3repE0EEENS1_38merge_mergepath_config_static_selectorELNS0_4arch9wavefront6targetE1EEEvSM_, .Lfunc_end26-_ZN7rocprim17ROCPRIM_400000_NS6detail17trampoline_kernelINS0_14default_configENS1_38merge_sort_block_merge_config_selectorIlNS0_10empty_typeEEEZZNS1_27merge_sort_block_merge_implIS3_PlPS5_mZN2at6native12_GLOBAL__N_124unique_dim_cuda_templateIhEESt5tupleIJNSA_6TensorESF_SF_EERKSF_lbbbEUlllE_EE10hipError_tT0_T1_T2_jT3_P12ihipStream_tbPNSt15iterator_traitsISL_E10value_typeEPNSR_ISM_E10value_typeEPSN_NS1_7vsmem_tEENKUlT_SL_SM_SN_E_clIS8_S8_S9_S9_EESK_S10_SL_SM_SN_EUlS10_E0_NS1_11comp_targetILNS1_3genE0ELNS1_11target_archE4294967295ELNS1_3gpuE0ELNS1_3repE0EEENS1_38merge_mergepath_config_static_selectorELNS0_4arch9wavefront6targetE1EEEvSM_
                                        ; -- End function
	.section	.AMDGPU.csdata,"",@progbits
; Kernel info:
; codeLenInByte = 0
; NumSgprs: 4
; NumVgprs: 0
; NumAgprs: 0
; TotalNumVgprs: 0
; ScratchSize: 0
; MemoryBound: 0
; FloatMode: 240
; IeeeMode: 1
; LDSByteSize: 0 bytes/workgroup (compile time only)
; SGPRBlocks: 0
; VGPRBlocks: 0
; NumSGPRsForWavesPerEU: 4
; NumVGPRsForWavesPerEU: 1
; AccumOffset: 4
; Occupancy: 8
; WaveLimiterHint : 0
; COMPUTE_PGM_RSRC2:SCRATCH_EN: 0
; COMPUTE_PGM_RSRC2:USER_SGPR: 6
; COMPUTE_PGM_RSRC2:TRAP_HANDLER: 0
; COMPUTE_PGM_RSRC2:TGID_X_EN: 1
; COMPUTE_PGM_RSRC2:TGID_Y_EN: 0
; COMPUTE_PGM_RSRC2:TGID_Z_EN: 0
; COMPUTE_PGM_RSRC2:TIDIG_COMP_CNT: 0
; COMPUTE_PGM_RSRC3_GFX90A:ACCUM_OFFSET: 0
; COMPUTE_PGM_RSRC3_GFX90A:TG_SPLIT: 0
	.section	.text._ZN7rocprim17ROCPRIM_400000_NS6detail17trampoline_kernelINS0_14default_configENS1_38merge_sort_block_merge_config_selectorIlNS0_10empty_typeEEEZZNS1_27merge_sort_block_merge_implIS3_PlPS5_mZN2at6native12_GLOBAL__N_124unique_dim_cuda_templateIhEESt5tupleIJNSA_6TensorESF_SF_EERKSF_lbbbEUlllE_EE10hipError_tT0_T1_T2_jT3_P12ihipStream_tbPNSt15iterator_traitsISL_E10value_typeEPNSR_ISM_E10value_typeEPSN_NS1_7vsmem_tEENKUlT_SL_SM_SN_E_clIS8_S8_S9_S9_EESK_S10_SL_SM_SN_EUlS10_E0_NS1_11comp_targetILNS1_3genE10ELNS1_11target_archE1201ELNS1_3gpuE5ELNS1_3repE0EEENS1_38merge_mergepath_config_static_selectorELNS0_4arch9wavefront6targetE1EEEvSM_,"axG",@progbits,_ZN7rocprim17ROCPRIM_400000_NS6detail17trampoline_kernelINS0_14default_configENS1_38merge_sort_block_merge_config_selectorIlNS0_10empty_typeEEEZZNS1_27merge_sort_block_merge_implIS3_PlPS5_mZN2at6native12_GLOBAL__N_124unique_dim_cuda_templateIhEESt5tupleIJNSA_6TensorESF_SF_EERKSF_lbbbEUlllE_EE10hipError_tT0_T1_T2_jT3_P12ihipStream_tbPNSt15iterator_traitsISL_E10value_typeEPNSR_ISM_E10value_typeEPSN_NS1_7vsmem_tEENKUlT_SL_SM_SN_E_clIS8_S8_S9_S9_EESK_S10_SL_SM_SN_EUlS10_E0_NS1_11comp_targetILNS1_3genE10ELNS1_11target_archE1201ELNS1_3gpuE5ELNS1_3repE0EEENS1_38merge_mergepath_config_static_selectorELNS0_4arch9wavefront6targetE1EEEvSM_,comdat
	.globl	_ZN7rocprim17ROCPRIM_400000_NS6detail17trampoline_kernelINS0_14default_configENS1_38merge_sort_block_merge_config_selectorIlNS0_10empty_typeEEEZZNS1_27merge_sort_block_merge_implIS3_PlPS5_mZN2at6native12_GLOBAL__N_124unique_dim_cuda_templateIhEESt5tupleIJNSA_6TensorESF_SF_EERKSF_lbbbEUlllE_EE10hipError_tT0_T1_T2_jT3_P12ihipStream_tbPNSt15iterator_traitsISL_E10value_typeEPNSR_ISM_E10value_typeEPSN_NS1_7vsmem_tEENKUlT_SL_SM_SN_E_clIS8_S8_S9_S9_EESK_S10_SL_SM_SN_EUlS10_E0_NS1_11comp_targetILNS1_3genE10ELNS1_11target_archE1201ELNS1_3gpuE5ELNS1_3repE0EEENS1_38merge_mergepath_config_static_selectorELNS0_4arch9wavefront6targetE1EEEvSM_ ; -- Begin function _ZN7rocprim17ROCPRIM_400000_NS6detail17trampoline_kernelINS0_14default_configENS1_38merge_sort_block_merge_config_selectorIlNS0_10empty_typeEEEZZNS1_27merge_sort_block_merge_implIS3_PlPS5_mZN2at6native12_GLOBAL__N_124unique_dim_cuda_templateIhEESt5tupleIJNSA_6TensorESF_SF_EERKSF_lbbbEUlllE_EE10hipError_tT0_T1_T2_jT3_P12ihipStream_tbPNSt15iterator_traitsISL_E10value_typeEPNSR_ISM_E10value_typeEPSN_NS1_7vsmem_tEENKUlT_SL_SM_SN_E_clIS8_S8_S9_S9_EESK_S10_SL_SM_SN_EUlS10_E0_NS1_11comp_targetILNS1_3genE10ELNS1_11target_archE1201ELNS1_3gpuE5ELNS1_3repE0EEENS1_38merge_mergepath_config_static_selectorELNS0_4arch9wavefront6targetE1EEEvSM_
	.p2align	8
	.type	_ZN7rocprim17ROCPRIM_400000_NS6detail17trampoline_kernelINS0_14default_configENS1_38merge_sort_block_merge_config_selectorIlNS0_10empty_typeEEEZZNS1_27merge_sort_block_merge_implIS3_PlPS5_mZN2at6native12_GLOBAL__N_124unique_dim_cuda_templateIhEESt5tupleIJNSA_6TensorESF_SF_EERKSF_lbbbEUlllE_EE10hipError_tT0_T1_T2_jT3_P12ihipStream_tbPNSt15iterator_traitsISL_E10value_typeEPNSR_ISM_E10value_typeEPSN_NS1_7vsmem_tEENKUlT_SL_SM_SN_E_clIS8_S8_S9_S9_EESK_S10_SL_SM_SN_EUlS10_E0_NS1_11comp_targetILNS1_3genE10ELNS1_11target_archE1201ELNS1_3gpuE5ELNS1_3repE0EEENS1_38merge_mergepath_config_static_selectorELNS0_4arch9wavefront6targetE1EEEvSM_,@function
_ZN7rocprim17ROCPRIM_400000_NS6detail17trampoline_kernelINS0_14default_configENS1_38merge_sort_block_merge_config_selectorIlNS0_10empty_typeEEEZZNS1_27merge_sort_block_merge_implIS3_PlPS5_mZN2at6native12_GLOBAL__N_124unique_dim_cuda_templateIhEESt5tupleIJNSA_6TensorESF_SF_EERKSF_lbbbEUlllE_EE10hipError_tT0_T1_T2_jT3_P12ihipStream_tbPNSt15iterator_traitsISL_E10value_typeEPNSR_ISM_E10value_typeEPSN_NS1_7vsmem_tEENKUlT_SL_SM_SN_E_clIS8_S8_S9_S9_EESK_S10_SL_SM_SN_EUlS10_E0_NS1_11comp_targetILNS1_3genE10ELNS1_11target_archE1201ELNS1_3gpuE5ELNS1_3repE0EEENS1_38merge_mergepath_config_static_selectorELNS0_4arch9wavefront6targetE1EEEvSM_: ; @_ZN7rocprim17ROCPRIM_400000_NS6detail17trampoline_kernelINS0_14default_configENS1_38merge_sort_block_merge_config_selectorIlNS0_10empty_typeEEEZZNS1_27merge_sort_block_merge_implIS3_PlPS5_mZN2at6native12_GLOBAL__N_124unique_dim_cuda_templateIhEESt5tupleIJNSA_6TensorESF_SF_EERKSF_lbbbEUlllE_EE10hipError_tT0_T1_T2_jT3_P12ihipStream_tbPNSt15iterator_traitsISL_E10value_typeEPNSR_ISM_E10value_typeEPSN_NS1_7vsmem_tEENKUlT_SL_SM_SN_E_clIS8_S8_S9_S9_EESK_S10_SL_SM_SN_EUlS10_E0_NS1_11comp_targetILNS1_3genE10ELNS1_11target_archE1201ELNS1_3gpuE5ELNS1_3repE0EEENS1_38merge_mergepath_config_static_selectorELNS0_4arch9wavefront6targetE1EEEvSM_
; %bb.0:
	.section	.rodata,"a",@progbits
	.p2align	6, 0x0
	.amdhsa_kernel _ZN7rocprim17ROCPRIM_400000_NS6detail17trampoline_kernelINS0_14default_configENS1_38merge_sort_block_merge_config_selectorIlNS0_10empty_typeEEEZZNS1_27merge_sort_block_merge_implIS3_PlPS5_mZN2at6native12_GLOBAL__N_124unique_dim_cuda_templateIhEESt5tupleIJNSA_6TensorESF_SF_EERKSF_lbbbEUlllE_EE10hipError_tT0_T1_T2_jT3_P12ihipStream_tbPNSt15iterator_traitsISL_E10value_typeEPNSR_ISM_E10value_typeEPSN_NS1_7vsmem_tEENKUlT_SL_SM_SN_E_clIS8_S8_S9_S9_EESK_S10_SL_SM_SN_EUlS10_E0_NS1_11comp_targetILNS1_3genE10ELNS1_11target_archE1201ELNS1_3gpuE5ELNS1_3repE0EEENS1_38merge_mergepath_config_static_selectorELNS0_4arch9wavefront6targetE1EEEvSM_
		.amdhsa_group_segment_fixed_size 0
		.amdhsa_private_segment_fixed_size 0
		.amdhsa_kernarg_size 88
		.amdhsa_user_sgpr_count 6
		.amdhsa_user_sgpr_private_segment_buffer 1
		.amdhsa_user_sgpr_dispatch_ptr 0
		.amdhsa_user_sgpr_queue_ptr 0
		.amdhsa_user_sgpr_kernarg_segment_ptr 1
		.amdhsa_user_sgpr_dispatch_id 0
		.amdhsa_user_sgpr_flat_scratch_init 0
		.amdhsa_user_sgpr_kernarg_preload_length 0
		.amdhsa_user_sgpr_kernarg_preload_offset 0
		.amdhsa_user_sgpr_private_segment_size 0
		.amdhsa_uses_dynamic_stack 0
		.amdhsa_system_sgpr_private_segment_wavefront_offset 0
		.amdhsa_system_sgpr_workgroup_id_x 1
		.amdhsa_system_sgpr_workgroup_id_y 0
		.amdhsa_system_sgpr_workgroup_id_z 0
		.amdhsa_system_sgpr_workgroup_info 0
		.amdhsa_system_vgpr_workitem_id 0
		.amdhsa_next_free_vgpr 1
		.amdhsa_next_free_sgpr 0
		.amdhsa_accum_offset 4
		.amdhsa_reserve_vcc 0
		.amdhsa_reserve_flat_scratch 0
		.amdhsa_float_round_mode_32 0
		.amdhsa_float_round_mode_16_64 0
		.amdhsa_float_denorm_mode_32 3
		.amdhsa_float_denorm_mode_16_64 3
		.amdhsa_dx10_clamp 1
		.amdhsa_ieee_mode 1
		.amdhsa_fp16_overflow 0
		.amdhsa_tg_split 0
		.amdhsa_exception_fp_ieee_invalid_op 0
		.amdhsa_exception_fp_denorm_src 0
		.amdhsa_exception_fp_ieee_div_zero 0
		.amdhsa_exception_fp_ieee_overflow 0
		.amdhsa_exception_fp_ieee_underflow 0
		.amdhsa_exception_fp_ieee_inexact 0
		.amdhsa_exception_int_div_zero 0
	.end_amdhsa_kernel
	.section	.text._ZN7rocprim17ROCPRIM_400000_NS6detail17trampoline_kernelINS0_14default_configENS1_38merge_sort_block_merge_config_selectorIlNS0_10empty_typeEEEZZNS1_27merge_sort_block_merge_implIS3_PlPS5_mZN2at6native12_GLOBAL__N_124unique_dim_cuda_templateIhEESt5tupleIJNSA_6TensorESF_SF_EERKSF_lbbbEUlllE_EE10hipError_tT0_T1_T2_jT3_P12ihipStream_tbPNSt15iterator_traitsISL_E10value_typeEPNSR_ISM_E10value_typeEPSN_NS1_7vsmem_tEENKUlT_SL_SM_SN_E_clIS8_S8_S9_S9_EESK_S10_SL_SM_SN_EUlS10_E0_NS1_11comp_targetILNS1_3genE10ELNS1_11target_archE1201ELNS1_3gpuE5ELNS1_3repE0EEENS1_38merge_mergepath_config_static_selectorELNS0_4arch9wavefront6targetE1EEEvSM_,"axG",@progbits,_ZN7rocprim17ROCPRIM_400000_NS6detail17trampoline_kernelINS0_14default_configENS1_38merge_sort_block_merge_config_selectorIlNS0_10empty_typeEEEZZNS1_27merge_sort_block_merge_implIS3_PlPS5_mZN2at6native12_GLOBAL__N_124unique_dim_cuda_templateIhEESt5tupleIJNSA_6TensorESF_SF_EERKSF_lbbbEUlllE_EE10hipError_tT0_T1_T2_jT3_P12ihipStream_tbPNSt15iterator_traitsISL_E10value_typeEPNSR_ISM_E10value_typeEPSN_NS1_7vsmem_tEENKUlT_SL_SM_SN_E_clIS8_S8_S9_S9_EESK_S10_SL_SM_SN_EUlS10_E0_NS1_11comp_targetILNS1_3genE10ELNS1_11target_archE1201ELNS1_3gpuE5ELNS1_3repE0EEENS1_38merge_mergepath_config_static_selectorELNS0_4arch9wavefront6targetE1EEEvSM_,comdat
.Lfunc_end27:
	.size	_ZN7rocprim17ROCPRIM_400000_NS6detail17trampoline_kernelINS0_14default_configENS1_38merge_sort_block_merge_config_selectorIlNS0_10empty_typeEEEZZNS1_27merge_sort_block_merge_implIS3_PlPS5_mZN2at6native12_GLOBAL__N_124unique_dim_cuda_templateIhEESt5tupleIJNSA_6TensorESF_SF_EERKSF_lbbbEUlllE_EE10hipError_tT0_T1_T2_jT3_P12ihipStream_tbPNSt15iterator_traitsISL_E10value_typeEPNSR_ISM_E10value_typeEPSN_NS1_7vsmem_tEENKUlT_SL_SM_SN_E_clIS8_S8_S9_S9_EESK_S10_SL_SM_SN_EUlS10_E0_NS1_11comp_targetILNS1_3genE10ELNS1_11target_archE1201ELNS1_3gpuE5ELNS1_3repE0EEENS1_38merge_mergepath_config_static_selectorELNS0_4arch9wavefront6targetE1EEEvSM_, .Lfunc_end27-_ZN7rocprim17ROCPRIM_400000_NS6detail17trampoline_kernelINS0_14default_configENS1_38merge_sort_block_merge_config_selectorIlNS0_10empty_typeEEEZZNS1_27merge_sort_block_merge_implIS3_PlPS5_mZN2at6native12_GLOBAL__N_124unique_dim_cuda_templateIhEESt5tupleIJNSA_6TensorESF_SF_EERKSF_lbbbEUlllE_EE10hipError_tT0_T1_T2_jT3_P12ihipStream_tbPNSt15iterator_traitsISL_E10value_typeEPNSR_ISM_E10value_typeEPSN_NS1_7vsmem_tEENKUlT_SL_SM_SN_E_clIS8_S8_S9_S9_EESK_S10_SL_SM_SN_EUlS10_E0_NS1_11comp_targetILNS1_3genE10ELNS1_11target_archE1201ELNS1_3gpuE5ELNS1_3repE0EEENS1_38merge_mergepath_config_static_selectorELNS0_4arch9wavefront6targetE1EEEvSM_
                                        ; -- End function
	.section	.AMDGPU.csdata,"",@progbits
; Kernel info:
; codeLenInByte = 0
; NumSgprs: 4
; NumVgprs: 0
; NumAgprs: 0
; TotalNumVgprs: 0
; ScratchSize: 0
; MemoryBound: 0
; FloatMode: 240
; IeeeMode: 1
; LDSByteSize: 0 bytes/workgroup (compile time only)
; SGPRBlocks: 0
; VGPRBlocks: 0
; NumSGPRsForWavesPerEU: 4
; NumVGPRsForWavesPerEU: 1
; AccumOffset: 4
; Occupancy: 8
; WaveLimiterHint : 0
; COMPUTE_PGM_RSRC2:SCRATCH_EN: 0
; COMPUTE_PGM_RSRC2:USER_SGPR: 6
; COMPUTE_PGM_RSRC2:TRAP_HANDLER: 0
; COMPUTE_PGM_RSRC2:TGID_X_EN: 1
; COMPUTE_PGM_RSRC2:TGID_Y_EN: 0
; COMPUTE_PGM_RSRC2:TGID_Z_EN: 0
; COMPUTE_PGM_RSRC2:TIDIG_COMP_CNT: 0
; COMPUTE_PGM_RSRC3_GFX90A:ACCUM_OFFSET: 0
; COMPUTE_PGM_RSRC3_GFX90A:TG_SPLIT: 0
	.section	.text._ZN7rocprim17ROCPRIM_400000_NS6detail17trampoline_kernelINS0_14default_configENS1_38merge_sort_block_merge_config_selectorIlNS0_10empty_typeEEEZZNS1_27merge_sort_block_merge_implIS3_PlPS5_mZN2at6native12_GLOBAL__N_124unique_dim_cuda_templateIhEESt5tupleIJNSA_6TensorESF_SF_EERKSF_lbbbEUlllE_EE10hipError_tT0_T1_T2_jT3_P12ihipStream_tbPNSt15iterator_traitsISL_E10value_typeEPNSR_ISM_E10value_typeEPSN_NS1_7vsmem_tEENKUlT_SL_SM_SN_E_clIS8_S8_S9_S9_EESK_S10_SL_SM_SN_EUlS10_E0_NS1_11comp_targetILNS1_3genE5ELNS1_11target_archE942ELNS1_3gpuE9ELNS1_3repE0EEENS1_38merge_mergepath_config_static_selectorELNS0_4arch9wavefront6targetE1EEEvSM_,"axG",@progbits,_ZN7rocprim17ROCPRIM_400000_NS6detail17trampoline_kernelINS0_14default_configENS1_38merge_sort_block_merge_config_selectorIlNS0_10empty_typeEEEZZNS1_27merge_sort_block_merge_implIS3_PlPS5_mZN2at6native12_GLOBAL__N_124unique_dim_cuda_templateIhEESt5tupleIJNSA_6TensorESF_SF_EERKSF_lbbbEUlllE_EE10hipError_tT0_T1_T2_jT3_P12ihipStream_tbPNSt15iterator_traitsISL_E10value_typeEPNSR_ISM_E10value_typeEPSN_NS1_7vsmem_tEENKUlT_SL_SM_SN_E_clIS8_S8_S9_S9_EESK_S10_SL_SM_SN_EUlS10_E0_NS1_11comp_targetILNS1_3genE5ELNS1_11target_archE942ELNS1_3gpuE9ELNS1_3repE0EEENS1_38merge_mergepath_config_static_selectorELNS0_4arch9wavefront6targetE1EEEvSM_,comdat
	.globl	_ZN7rocprim17ROCPRIM_400000_NS6detail17trampoline_kernelINS0_14default_configENS1_38merge_sort_block_merge_config_selectorIlNS0_10empty_typeEEEZZNS1_27merge_sort_block_merge_implIS3_PlPS5_mZN2at6native12_GLOBAL__N_124unique_dim_cuda_templateIhEESt5tupleIJNSA_6TensorESF_SF_EERKSF_lbbbEUlllE_EE10hipError_tT0_T1_T2_jT3_P12ihipStream_tbPNSt15iterator_traitsISL_E10value_typeEPNSR_ISM_E10value_typeEPSN_NS1_7vsmem_tEENKUlT_SL_SM_SN_E_clIS8_S8_S9_S9_EESK_S10_SL_SM_SN_EUlS10_E0_NS1_11comp_targetILNS1_3genE5ELNS1_11target_archE942ELNS1_3gpuE9ELNS1_3repE0EEENS1_38merge_mergepath_config_static_selectorELNS0_4arch9wavefront6targetE1EEEvSM_ ; -- Begin function _ZN7rocprim17ROCPRIM_400000_NS6detail17trampoline_kernelINS0_14default_configENS1_38merge_sort_block_merge_config_selectorIlNS0_10empty_typeEEEZZNS1_27merge_sort_block_merge_implIS3_PlPS5_mZN2at6native12_GLOBAL__N_124unique_dim_cuda_templateIhEESt5tupleIJNSA_6TensorESF_SF_EERKSF_lbbbEUlllE_EE10hipError_tT0_T1_T2_jT3_P12ihipStream_tbPNSt15iterator_traitsISL_E10value_typeEPNSR_ISM_E10value_typeEPSN_NS1_7vsmem_tEENKUlT_SL_SM_SN_E_clIS8_S8_S9_S9_EESK_S10_SL_SM_SN_EUlS10_E0_NS1_11comp_targetILNS1_3genE5ELNS1_11target_archE942ELNS1_3gpuE9ELNS1_3repE0EEENS1_38merge_mergepath_config_static_selectorELNS0_4arch9wavefront6targetE1EEEvSM_
	.p2align	8
	.type	_ZN7rocprim17ROCPRIM_400000_NS6detail17trampoline_kernelINS0_14default_configENS1_38merge_sort_block_merge_config_selectorIlNS0_10empty_typeEEEZZNS1_27merge_sort_block_merge_implIS3_PlPS5_mZN2at6native12_GLOBAL__N_124unique_dim_cuda_templateIhEESt5tupleIJNSA_6TensorESF_SF_EERKSF_lbbbEUlllE_EE10hipError_tT0_T1_T2_jT3_P12ihipStream_tbPNSt15iterator_traitsISL_E10value_typeEPNSR_ISM_E10value_typeEPSN_NS1_7vsmem_tEENKUlT_SL_SM_SN_E_clIS8_S8_S9_S9_EESK_S10_SL_SM_SN_EUlS10_E0_NS1_11comp_targetILNS1_3genE5ELNS1_11target_archE942ELNS1_3gpuE9ELNS1_3repE0EEENS1_38merge_mergepath_config_static_selectorELNS0_4arch9wavefront6targetE1EEEvSM_,@function
_ZN7rocprim17ROCPRIM_400000_NS6detail17trampoline_kernelINS0_14default_configENS1_38merge_sort_block_merge_config_selectorIlNS0_10empty_typeEEEZZNS1_27merge_sort_block_merge_implIS3_PlPS5_mZN2at6native12_GLOBAL__N_124unique_dim_cuda_templateIhEESt5tupleIJNSA_6TensorESF_SF_EERKSF_lbbbEUlllE_EE10hipError_tT0_T1_T2_jT3_P12ihipStream_tbPNSt15iterator_traitsISL_E10value_typeEPNSR_ISM_E10value_typeEPSN_NS1_7vsmem_tEENKUlT_SL_SM_SN_E_clIS8_S8_S9_S9_EESK_S10_SL_SM_SN_EUlS10_E0_NS1_11comp_targetILNS1_3genE5ELNS1_11target_archE942ELNS1_3gpuE9ELNS1_3repE0EEENS1_38merge_mergepath_config_static_selectorELNS0_4arch9wavefront6targetE1EEEvSM_: ; @_ZN7rocprim17ROCPRIM_400000_NS6detail17trampoline_kernelINS0_14default_configENS1_38merge_sort_block_merge_config_selectorIlNS0_10empty_typeEEEZZNS1_27merge_sort_block_merge_implIS3_PlPS5_mZN2at6native12_GLOBAL__N_124unique_dim_cuda_templateIhEESt5tupleIJNSA_6TensorESF_SF_EERKSF_lbbbEUlllE_EE10hipError_tT0_T1_T2_jT3_P12ihipStream_tbPNSt15iterator_traitsISL_E10value_typeEPNSR_ISM_E10value_typeEPSN_NS1_7vsmem_tEENKUlT_SL_SM_SN_E_clIS8_S8_S9_S9_EESK_S10_SL_SM_SN_EUlS10_E0_NS1_11comp_targetILNS1_3genE5ELNS1_11target_archE942ELNS1_3gpuE9ELNS1_3repE0EEENS1_38merge_mergepath_config_static_selectorELNS0_4arch9wavefront6targetE1EEEvSM_
; %bb.0:
	.section	.rodata,"a",@progbits
	.p2align	6, 0x0
	.amdhsa_kernel _ZN7rocprim17ROCPRIM_400000_NS6detail17trampoline_kernelINS0_14default_configENS1_38merge_sort_block_merge_config_selectorIlNS0_10empty_typeEEEZZNS1_27merge_sort_block_merge_implIS3_PlPS5_mZN2at6native12_GLOBAL__N_124unique_dim_cuda_templateIhEESt5tupleIJNSA_6TensorESF_SF_EERKSF_lbbbEUlllE_EE10hipError_tT0_T1_T2_jT3_P12ihipStream_tbPNSt15iterator_traitsISL_E10value_typeEPNSR_ISM_E10value_typeEPSN_NS1_7vsmem_tEENKUlT_SL_SM_SN_E_clIS8_S8_S9_S9_EESK_S10_SL_SM_SN_EUlS10_E0_NS1_11comp_targetILNS1_3genE5ELNS1_11target_archE942ELNS1_3gpuE9ELNS1_3repE0EEENS1_38merge_mergepath_config_static_selectorELNS0_4arch9wavefront6targetE1EEEvSM_
		.amdhsa_group_segment_fixed_size 0
		.amdhsa_private_segment_fixed_size 0
		.amdhsa_kernarg_size 88
		.amdhsa_user_sgpr_count 6
		.amdhsa_user_sgpr_private_segment_buffer 1
		.amdhsa_user_sgpr_dispatch_ptr 0
		.amdhsa_user_sgpr_queue_ptr 0
		.amdhsa_user_sgpr_kernarg_segment_ptr 1
		.amdhsa_user_sgpr_dispatch_id 0
		.amdhsa_user_sgpr_flat_scratch_init 0
		.amdhsa_user_sgpr_kernarg_preload_length 0
		.amdhsa_user_sgpr_kernarg_preload_offset 0
		.amdhsa_user_sgpr_private_segment_size 0
		.amdhsa_uses_dynamic_stack 0
		.amdhsa_system_sgpr_private_segment_wavefront_offset 0
		.amdhsa_system_sgpr_workgroup_id_x 1
		.amdhsa_system_sgpr_workgroup_id_y 0
		.amdhsa_system_sgpr_workgroup_id_z 0
		.amdhsa_system_sgpr_workgroup_info 0
		.amdhsa_system_vgpr_workitem_id 0
		.amdhsa_next_free_vgpr 1
		.amdhsa_next_free_sgpr 0
		.amdhsa_accum_offset 4
		.amdhsa_reserve_vcc 0
		.amdhsa_reserve_flat_scratch 0
		.amdhsa_float_round_mode_32 0
		.amdhsa_float_round_mode_16_64 0
		.amdhsa_float_denorm_mode_32 3
		.amdhsa_float_denorm_mode_16_64 3
		.amdhsa_dx10_clamp 1
		.amdhsa_ieee_mode 1
		.amdhsa_fp16_overflow 0
		.amdhsa_tg_split 0
		.amdhsa_exception_fp_ieee_invalid_op 0
		.amdhsa_exception_fp_denorm_src 0
		.amdhsa_exception_fp_ieee_div_zero 0
		.amdhsa_exception_fp_ieee_overflow 0
		.amdhsa_exception_fp_ieee_underflow 0
		.amdhsa_exception_fp_ieee_inexact 0
		.amdhsa_exception_int_div_zero 0
	.end_amdhsa_kernel
	.section	.text._ZN7rocprim17ROCPRIM_400000_NS6detail17trampoline_kernelINS0_14default_configENS1_38merge_sort_block_merge_config_selectorIlNS0_10empty_typeEEEZZNS1_27merge_sort_block_merge_implIS3_PlPS5_mZN2at6native12_GLOBAL__N_124unique_dim_cuda_templateIhEESt5tupleIJNSA_6TensorESF_SF_EERKSF_lbbbEUlllE_EE10hipError_tT0_T1_T2_jT3_P12ihipStream_tbPNSt15iterator_traitsISL_E10value_typeEPNSR_ISM_E10value_typeEPSN_NS1_7vsmem_tEENKUlT_SL_SM_SN_E_clIS8_S8_S9_S9_EESK_S10_SL_SM_SN_EUlS10_E0_NS1_11comp_targetILNS1_3genE5ELNS1_11target_archE942ELNS1_3gpuE9ELNS1_3repE0EEENS1_38merge_mergepath_config_static_selectorELNS0_4arch9wavefront6targetE1EEEvSM_,"axG",@progbits,_ZN7rocprim17ROCPRIM_400000_NS6detail17trampoline_kernelINS0_14default_configENS1_38merge_sort_block_merge_config_selectorIlNS0_10empty_typeEEEZZNS1_27merge_sort_block_merge_implIS3_PlPS5_mZN2at6native12_GLOBAL__N_124unique_dim_cuda_templateIhEESt5tupleIJNSA_6TensorESF_SF_EERKSF_lbbbEUlllE_EE10hipError_tT0_T1_T2_jT3_P12ihipStream_tbPNSt15iterator_traitsISL_E10value_typeEPNSR_ISM_E10value_typeEPSN_NS1_7vsmem_tEENKUlT_SL_SM_SN_E_clIS8_S8_S9_S9_EESK_S10_SL_SM_SN_EUlS10_E0_NS1_11comp_targetILNS1_3genE5ELNS1_11target_archE942ELNS1_3gpuE9ELNS1_3repE0EEENS1_38merge_mergepath_config_static_selectorELNS0_4arch9wavefront6targetE1EEEvSM_,comdat
.Lfunc_end28:
	.size	_ZN7rocprim17ROCPRIM_400000_NS6detail17trampoline_kernelINS0_14default_configENS1_38merge_sort_block_merge_config_selectorIlNS0_10empty_typeEEEZZNS1_27merge_sort_block_merge_implIS3_PlPS5_mZN2at6native12_GLOBAL__N_124unique_dim_cuda_templateIhEESt5tupleIJNSA_6TensorESF_SF_EERKSF_lbbbEUlllE_EE10hipError_tT0_T1_T2_jT3_P12ihipStream_tbPNSt15iterator_traitsISL_E10value_typeEPNSR_ISM_E10value_typeEPSN_NS1_7vsmem_tEENKUlT_SL_SM_SN_E_clIS8_S8_S9_S9_EESK_S10_SL_SM_SN_EUlS10_E0_NS1_11comp_targetILNS1_3genE5ELNS1_11target_archE942ELNS1_3gpuE9ELNS1_3repE0EEENS1_38merge_mergepath_config_static_selectorELNS0_4arch9wavefront6targetE1EEEvSM_, .Lfunc_end28-_ZN7rocprim17ROCPRIM_400000_NS6detail17trampoline_kernelINS0_14default_configENS1_38merge_sort_block_merge_config_selectorIlNS0_10empty_typeEEEZZNS1_27merge_sort_block_merge_implIS3_PlPS5_mZN2at6native12_GLOBAL__N_124unique_dim_cuda_templateIhEESt5tupleIJNSA_6TensorESF_SF_EERKSF_lbbbEUlllE_EE10hipError_tT0_T1_T2_jT3_P12ihipStream_tbPNSt15iterator_traitsISL_E10value_typeEPNSR_ISM_E10value_typeEPSN_NS1_7vsmem_tEENKUlT_SL_SM_SN_E_clIS8_S8_S9_S9_EESK_S10_SL_SM_SN_EUlS10_E0_NS1_11comp_targetILNS1_3genE5ELNS1_11target_archE942ELNS1_3gpuE9ELNS1_3repE0EEENS1_38merge_mergepath_config_static_selectorELNS0_4arch9wavefront6targetE1EEEvSM_
                                        ; -- End function
	.section	.AMDGPU.csdata,"",@progbits
; Kernel info:
; codeLenInByte = 0
; NumSgprs: 4
; NumVgprs: 0
; NumAgprs: 0
; TotalNumVgprs: 0
; ScratchSize: 0
; MemoryBound: 0
; FloatMode: 240
; IeeeMode: 1
; LDSByteSize: 0 bytes/workgroup (compile time only)
; SGPRBlocks: 0
; VGPRBlocks: 0
; NumSGPRsForWavesPerEU: 4
; NumVGPRsForWavesPerEU: 1
; AccumOffset: 4
; Occupancy: 8
; WaveLimiterHint : 0
; COMPUTE_PGM_RSRC2:SCRATCH_EN: 0
; COMPUTE_PGM_RSRC2:USER_SGPR: 6
; COMPUTE_PGM_RSRC2:TRAP_HANDLER: 0
; COMPUTE_PGM_RSRC2:TGID_X_EN: 1
; COMPUTE_PGM_RSRC2:TGID_Y_EN: 0
; COMPUTE_PGM_RSRC2:TGID_Z_EN: 0
; COMPUTE_PGM_RSRC2:TIDIG_COMP_CNT: 0
; COMPUTE_PGM_RSRC3_GFX90A:ACCUM_OFFSET: 0
; COMPUTE_PGM_RSRC3_GFX90A:TG_SPLIT: 0
	.section	.text._ZN7rocprim17ROCPRIM_400000_NS6detail17trampoline_kernelINS0_14default_configENS1_38merge_sort_block_merge_config_selectorIlNS0_10empty_typeEEEZZNS1_27merge_sort_block_merge_implIS3_PlPS5_mZN2at6native12_GLOBAL__N_124unique_dim_cuda_templateIhEESt5tupleIJNSA_6TensorESF_SF_EERKSF_lbbbEUlllE_EE10hipError_tT0_T1_T2_jT3_P12ihipStream_tbPNSt15iterator_traitsISL_E10value_typeEPNSR_ISM_E10value_typeEPSN_NS1_7vsmem_tEENKUlT_SL_SM_SN_E_clIS8_S8_S9_S9_EESK_S10_SL_SM_SN_EUlS10_E0_NS1_11comp_targetILNS1_3genE4ELNS1_11target_archE910ELNS1_3gpuE8ELNS1_3repE0EEENS1_38merge_mergepath_config_static_selectorELNS0_4arch9wavefront6targetE1EEEvSM_,"axG",@progbits,_ZN7rocprim17ROCPRIM_400000_NS6detail17trampoline_kernelINS0_14default_configENS1_38merge_sort_block_merge_config_selectorIlNS0_10empty_typeEEEZZNS1_27merge_sort_block_merge_implIS3_PlPS5_mZN2at6native12_GLOBAL__N_124unique_dim_cuda_templateIhEESt5tupleIJNSA_6TensorESF_SF_EERKSF_lbbbEUlllE_EE10hipError_tT0_T1_T2_jT3_P12ihipStream_tbPNSt15iterator_traitsISL_E10value_typeEPNSR_ISM_E10value_typeEPSN_NS1_7vsmem_tEENKUlT_SL_SM_SN_E_clIS8_S8_S9_S9_EESK_S10_SL_SM_SN_EUlS10_E0_NS1_11comp_targetILNS1_3genE4ELNS1_11target_archE910ELNS1_3gpuE8ELNS1_3repE0EEENS1_38merge_mergepath_config_static_selectorELNS0_4arch9wavefront6targetE1EEEvSM_,comdat
	.globl	_ZN7rocprim17ROCPRIM_400000_NS6detail17trampoline_kernelINS0_14default_configENS1_38merge_sort_block_merge_config_selectorIlNS0_10empty_typeEEEZZNS1_27merge_sort_block_merge_implIS3_PlPS5_mZN2at6native12_GLOBAL__N_124unique_dim_cuda_templateIhEESt5tupleIJNSA_6TensorESF_SF_EERKSF_lbbbEUlllE_EE10hipError_tT0_T1_T2_jT3_P12ihipStream_tbPNSt15iterator_traitsISL_E10value_typeEPNSR_ISM_E10value_typeEPSN_NS1_7vsmem_tEENKUlT_SL_SM_SN_E_clIS8_S8_S9_S9_EESK_S10_SL_SM_SN_EUlS10_E0_NS1_11comp_targetILNS1_3genE4ELNS1_11target_archE910ELNS1_3gpuE8ELNS1_3repE0EEENS1_38merge_mergepath_config_static_selectorELNS0_4arch9wavefront6targetE1EEEvSM_ ; -- Begin function _ZN7rocprim17ROCPRIM_400000_NS6detail17trampoline_kernelINS0_14default_configENS1_38merge_sort_block_merge_config_selectorIlNS0_10empty_typeEEEZZNS1_27merge_sort_block_merge_implIS3_PlPS5_mZN2at6native12_GLOBAL__N_124unique_dim_cuda_templateIhEESt5tupleIJNSA_6TensorESF_SF_EERKSF_lbbbEUlllE_EE10hipError_tT0_T1_T2_jT3_P12ihipStream_tbPNSt15iterator_traitsISL_E10value_typeEPNSR_ISM_E10value_typeEPSN_NS1_7vsmem_tEENKUlT_SL_SM_SN_E_clIS8_S8_S9_S9_EESK_S10_SL_SM_SN_EUlS10_E0_NS1_11comp_targetILNS1_3genE4ELNS1_11target_archE910ELNS1_3gpuE8ELNS1_3repE0EEENS1_38merge_mergepath_config_static_selectorELNS0_4arch9wavefront6targetE1EEEvSM_
	.p2align	8
	.type	_ZN7rocprim17ROCPRIM_400000_NS6detail17trampoline_kernelINS0_14default_configENS1_38merge_sort_block_merge_config_selectorIlNS0_10empty_typeEEEZZNS1_27merge_sort_block_merge_implIS3_PlPS5_mZN2at6native12_GLOBAL__N_124unique_dim_cuda_templateIhEESt5tupleIJNSA_6TensorESF_SF_EERKSF_lbbbEUlllE_EE10hipError_tT0_T1_T2_jT3_P12ihipStream_tbPNSt15iterator_traitsISL_E10value_typeEPNSR_ISM_E10value_typeEPSN_NS1_7vsmem_tEENKUlT_SL_SM_SN_E_clIS8_S8_S9_S9_EESK_S10_SL_SM_SN_EUlS10_E0_NS1_11comp_targetILNS1_3genE4ELNS1_11target_archE910ELNS1_3gpuE8ELNS1_3repE0EEENS1_38merge_mergepath_config_static_selectorELNS0_4arch9wavefront6targetE1EEEvSM_,@function
_ZN7rocprim17ROCPRIM_400000_NS6detail17trampoline_kernelINS0_14default_configENS1_38merge_sort_block_merge_config_selectorIlNS0_10empty_typeEEEZZNS1_27merge_sort_block_merge_implIS3_PlPS5_mZN2at6native12_GLOBAL__N_124unique_dim_cuda_templateIhEESt5tupleIJNSA_6TensorESF_SF_EERKSF_lbbbEUlllE_EE10hipError_tT0_T1_T2_jT3_P12ihipStream_tbPNSt15iterator_traitsISL_E10value_typeEPNSR_ISM_E10value_typeEPSN_NS1_7vsmem_tEENKUlT_SL_SM_SN_E_clIS8_S8_S9_S9_EESK_S10_SL_SM_SN_EUlS10_E0_NS1_11comp_targetILNS1_3genE4ELNS1_11target_archE910ELNS1_3gpuE8ELNS1_3repE0EEENS1_38merge_mergepath_config_static_selectorELNS0_4arch9wavefront6targetE1EEEvSM_: ; @_ZN7rocprim17ROCPRIM_400000_NS6detail17trampoline_kernelINS0_14default_configENS1_38merge_sort_block_merge_config_selectorIlNS0_10empty_typeEEEZZNS1_27merge_sort_block_merge_implIS3_PlPS5_mZN2at6native12_GLOBAL__N_124unique_dim_cuda_templateIhEESt5tupleIJNSA_6TensorESF_SF_EERKSF_lbbbEUlllE_EE10hipError_tT0_T1_T2_jT3_P12ihipStream_tbPNSt15iterator_traitsISL_E10value_typeEPNSR_ISM_E10value_typeEPSN_NS1_7vsmem_tEENKUlT_SL_SM_SN_E_clIS8_S8_S9_S9_EESK_S10_SL_SM_SN_EUlS10_E0_NS1_11comp_targetILNS1_3genE4ELNS1_11target_archE910ELNS1_3gpuE8ELNS1_3repE0EEENS1_38merge_mergepath_config_static_selectorELNS0_4arch9wavefront6targetE1EEEvSM_
; %bb.0:
	s_load_dwordx2 s[22:23], s[4:5], 0x58
	s_load_dword s0, s[4:5], 0x38
	s_add_u32 s18, s4, 0x58
	s_addc_u32 s19, s5, 0
	s_waitcnt lgkmcnt(0)
	s_mul_i32 s1, s23, s8
	s_add_i32 s1, s1, s7
	s_mul_i32 s1, s1, s22
	s_add_i32 s20, s1, s6
	s_cmp_ge_u32 s20, s0
	s_cbranch_scc1 .LBB29_82
; %bb.1:
	s_load_dwordx2 s[12:13], s[4:5], 0x50
	s_load_dwordx4 s[0:3], s[4:5], 0x8
	s_load_dwordx4 s[8:11], s[4:5], 0x28
	s_mov_b32 s21, 0
	s_lshl_b64 s[14:15], s[20:21], 3
	s_waitcnt lgkmcnt(0)
	s_add_u32 s12, s12, s14
	s_addc_u32 s13, s13, s15
	v_mov_b32_e32 v1, s10
	v_alignbit_b32 v1, s11, v1, 9
	v_readfirstlane_b32 s7, v1
	s_and_b32 s7, s7, -2
	s_sub_i32 s33, 0, s7
	s_and_b32 s26, s20, s33
	s_mov_b32 s27, s21
	s_lshl_b64 s[24:25], s[26:27], 10
	s_lshl_b64 s[16:17], s[20:21], 10
	s_sub_u32 s7, s16, s24
	s_load_dwordx4 s[12:15], s[12:13], 0x0
	s_subb_u32 s23, s17, s25
	s_lshl_b64 s[26:27], s[26:27], 11
	s_add_u32 s26, s26, s10
	s_addc_u32 s27, s27, s11
	s_add_u32 s7, s26, s7
	s_addc_u32 s23, s27, s23
	s_waitcnt lgkmcnt(0)
	s_sub_u32 s28, s7, s14
	s_subb_u32 s15, s23, s15
	s_add_u32 s28, s28, 0x400
	s_addc_u32 s29, s15, 0
	v_pk_mov_b32 v[2:3], s[28:29], s[28:29] op_sel:[0,1]
	v_cmp_lt_u64_e32 vcc, s[8:9], v[2:3]
	s_and_b64 s[30:31], vcc, exec
	s_cselect_b32 s15, s8, s28
	s_or_b32 s28, s20, s33
	s_cmp_lg_u32 s28, -1
	s_cbranch_scc1 .LBB29_3
; %bb.2:
	s_sub_u32 s24, s26, s24
	s_subb_u32 s25, s27, s25
	v_pk_mov_b32 v[2:3], s[24:25], s[24:25] op_sel:[0,1]
	v_cmp_lt_u64_e32 vcc, s[8:9], v[2:3]
	s_and_b64 s[14:15], vcc, exec
	s_cselect_b32 s14, s8, s24
	s_add_u32 s10, s24, s10
	s_addc_u32 s11, s25, s11
	v_pk_mov_b32 v[2:3], s[10:11], s[10:11] op_sel:[0,1]
	v_cmp_lt_u64_e32 vcc, s[8:9], v[2:3]
	s_and_b64 s[24:25], vcc, exec
	s_cselect_b32 s15, s8, s10
.LBB29_3:
	s_lshr_b64 s[24:25], s[8:9], 10
	s_cmp_lg_u64 s[24:25], s[20:21]
	s_cselect_b64 s[10:11], -1, 0
	s_sub_u32 s26, s7, s12
	s_subb_u32 s27, s23, s13
	v_pk_mov_b32 v[2:3], s[26:27], s[26:27] op_sel:[0,1]
	v_cmp_lt_u64_e32 vcc, s[8:9], v[2:3]
	s_and_b64 s[28:29], vcc, exec
	s_cselect_b32 s26, s8, s26
	s_cselect_b32 s27, s9, s27
	s_sub_i32 s9, s14, s12
	s_sub_i32 s14, s15, s26
	s_lshl_b64 s[12:13], s[12:13], 3
	s_add_u32 s15, s0, s12
	s_addc_u32 s23, s1, s13
	s_lshl_b64 s[12:13], s[26:27], 3
	s_add_u32 s12, s0, s12
	s_addc_u32 s13, s1, s13
	s_cmp_lt_u32 s6, s22
	v_mov_b32_e32 v9, 0
	s_cselect_b32 s0, 12, 18
	global_load_dword v1, v9, s[18:19] offset:14
	s_add_u32 s0, s18, s0
	s_addc_u32 s1, s19, 0
	global_load_ushort v2, v9, s[0:1]
	s_cmp_eq_u64 s[24:25], s[20:21]
	s_waitcnt vmcnt(1)
	v_lshrrev_b32_e32 v3, 16, v1
	v_and_b32_e32 v1, 0xffff, v1
	v_mul_lo_u32 v1, v1, v3
	s_waitcnt vmcnt(0)
	v_mul_lo_u32 v12, v1, v2
	v_lshlrev_b32_e32 v1, 3, v0
	s_cbranch_scc1 .LBB29_5
; %bb.4:
	v_mov_b32_e32 v2, s23
	v_add_co_u32_e32 v4, vcc, s15, v1
	v_subrev_u32_e32 v8, s9, v0
	v_addc_co_u32_e32 v5, vcc, 0, v2, vcc
	v_lshlrev_b64 v[2:3], 3, v[8:9]
	v_mov_b32_e32 v6, s13
	v_add_co_u32_e32 v2, vcc, s12, v2
	v_addc_co_u32_e32 v3, vcc, v6, v3, vcc
	v_cmp_gt_u32_e32 vcc, s9, v0
	v_add_u32_e32 v8, v12, v0
	v_cndmask_b32_e32 v3, v3, v5, vcc
	v_cndmask_b32_e32 v2, v2, v4, vcc
	v_lshlrev_b64 v[4:5], 3, v[8:9]
	v_mov_b32_e32 v6, s23
	v_add_co_u32_e32 v7, vcc, s15, v4
	v_addc_co_u32_e32 v6, vcc, v6, v5, vcc
	v_subrev_u32_e32 v4, s9, v8
	v_mov_b32_e32 v5, v9
	v_lshlrev_b64 v[4:5], 3, v[4:5]
	v_mov_b32_e32 v10, s13
	v_add_co_u32_e32 v4, vcc, s12, v4
	v_addc_co_u32_e32 v5, vcc, v10, v5, vcc
	v_cmp_gt_u32_e32 vcc, s9, v8
	v_add_u32_e32 v8, v8, v12
	v_cndmask_b32_e32 v5, v5, v6, vcc
	v_cndmask_b32_e32 v4, v4, v7, vcc
	v_lshlrev_b64 v[6:7], 3, v[8:9]
	v_mov_b32_e32 v10, s23
	v_add_co_u32_e32 v11, vcc, s15, v6
	v_addc_co_u32_e32 v10, vcc, v10, v7, vcc
	v_subrev_u32_e32 v6, s9, v8
	v_mov_b32_e32 v7, v9
	v_lshlrev_b64 v[6:7], 3, v[6:7]
	v_mov_b32_e32 v13, s13
	v_add_co_u32_e32 v6, vcc, s12, v6
	v_addc_co_u32_e32 v7, vcc, v13, v7, vcc
	v_cmp_gt_u32_e32 vcc, s9, v8
	v_add_u32_e32 v8, v8, v12
	v_cndmask_b32_e32 v7, v7, v10, vcc
	v_cndmask_b32_e32 v6, v6, v11, vcc
	v_lshlrev_b64 v[10:11], 3, v[8:9]
	v_mov_b32_e32 v13, s23
	v_add_co_u32_e32 v10, vcc, s15, v10
	v_addc_co_u32_e32 v11, vcc, v13, v11, vcc
	v_cmp_gt_u32_e32 vcc, s9, v8
	v_subrev_u32_e32 v8, s9, v8
	v_lshlrev_b64 v[8:9], 3, v[8:9]
	v_mov_b32_e32 v13, s13
	v_add_co_u32_e64 v8, s[0:1], s12, v8
	v_addc_co_u32_e64 v9, s[0:1], v13, v9, s[0:1]
	v_cndmask_b32_e32 v9, v9, v11, vcc
	v_cndmask_b32_e32 v8, v8, v10, vcc
	global_load_dwordx2 v[2:3], v[2:3], off
	s_add_i32 s33, s9, s14
	global_load_dwordx2 v[4:5], v[4:5], off
	s_nop 0
	global_load_dwordx2 v[6:7], v[6:7], off
	s_nop 0
	global_load_dwordx2 v[8:9], v[8:9], off
	s_cbranch_execz .LBB29_6
	s_branch .LBB29_15
.LBB29_5:
                                        ; implicit-def: $vgpr2_vgpr3_vgpr4_vgpr5_vgpr6_vgpr7_vgpr8_vgpr9
                                        ; implicit-def: $sgpr33
.LBB29_6:
	s_add_i32 s33, s9, s14
	v_cmp_gt_u32_e32 vcc, s33, v0
                                        ; implicit-def: $vgpr2_vgpr3_vgpr4_vgpr5_vgpr6_vgpr7_vgpr8_vgpr9
	s_and_saveexec_b64 s[0:1], vcc
	s_cbranch_execz .LBB29_8
; %bb.7:
	s_waitcnt vmcnt(3)
	v_mov_b32_e32 v2, s23
	s_waitcnt vmcnt(2)
	v_add_co_u32_e32 v4, vcc, s15, v1
	v_mov_b32_e32 v3, 0
	v_addc_co_u32_e32 v5, vcc, 0, v2, vcc
	v_subrev_u32_e32 v2, s9, v0
	v_lshlrev_b64 v[2:3], 3, v[2:3]
	s_waitcnt vmcnt(1)
	v_mov_b32_e32 v6, s13
	v_add_co_u32_e32 v2, vcc, s12, v2
	v_addc_co_u32_e32 v3, vcc, v6, v3, vcc
	v_cmp_gt_u32_e32 vcc, s9, v0
	v_cndmask_b32_e32 v3, v3, v5, vcc
	v_cndmask_b32_e32 v2, v2, v4, vcc
	global_load_dwordx2 v[2:3], v[2:3], off
.LBB29_8:
	s_or_b64 exec, exec, s[0:1]
	v_add_u32_e32 v10, v12, v0
	v_cmp_gt_u32_e32 vcc, s33, v10
	s_and_saveexec_b64 s[0:1], vcc
	s_cbranch_execz .LBB29_10
; %bb.9:
	v_mov_b32_e32 v11, 0
	s_waitcnt vmcnt(2)
	v_lshlrev_b64 v[4:5], 3, v[10:11]
	v_mov_b32_e32 v13, s23
	v_add_co_u32_e32 v14, vcc, s15, v4
	v_addc_co_u32_e32 v13, vcc, v13, v5, vcc
	v_subrev_u32_e32 v4, s9, v10
	v_mov_b32_e32 v5, v11
	v_lshlrev_b64 v[4:5], 3, v[4:5]
	v_mov_b32_e32 v11, s13
	v_add_co_u32_e32 v4, vcc, s12, v4
	v_addc_co_u32_e32 v5, vcc, v11, v5, vcc
	v_cmp_gt_u32_e32 vcc, s9, v10
	v_cndmask_b32_e32 v5, v5, v13, vcc
	v_cndmask_b32_e32 v4, v4, v14, vcc
	global_load_dwordx2 v[4:5], v[4:5], off
.LBB29_10:
	s_or_b64 exec, exec, s[0:1]
	v_add_u32_e32 v10, v10, v12
	v_cmp_gt_u32_e32 vcc, s33, v10
	s_and_saveexec_b64 s[0:1], vcc
	s_cbranch_execz .LBB29_12
; %bb.11:
	v_mov_b32_e32 v11, 0
	s_waitcnt vmcnt(1)
	v_lshlrev_b64 v[6:7], 3, v[10:11]
	v_mov_b32_e32 v13, s23
	v_add_co_u32_e32 v14, vcc, s15, v6
	v_addc_co_u32_e32 v13, vcc, v13, v7, vcc
	v_subrev_u32_e32 v6, s9, v10
	v_mov_b32_e32 v7, v11
	v_lshlrev_b64 v[6:7], 3, v[6:7]
	v_mov_b32_e32 v11, s13
	v_add_co_u32_e32 v6, vcc, s12, v6
	v_addc_co_u32_e32 v7, vcc, v11, v7, vcc
	v_cmp_gt_u32_e32 vcc, s9, v10
	v_cndmask_b32_e32 v7, v7, v13, vcc
	v_cndmask_b32_e32 v6, v6, v14, vcc
	global_load_dwordx2 v[6:7], v[6:7], off
.LBB29_12:
	s_or_b64 exec, exec, s[0:1]
	v_add_u32_e32 v10, v10, v12
	v_cmp_gt_u32_e32 vcc, s33, v10
	s_and_saveexec_b64 s[6:7], vcc
	s_cbranch_execz .LBB29_14
; %bb.13:
	v_mov_b32_e32 v11, 0
	s_waitcnt vmcnt(0)
	v_lshlrev_b64 v[8:9], 3, v[10:11]
	v_mov_b32_e32 v12, s23
	v_add_co_u32_e32 v13, vcc, s15, v8
	v_addc_co_u32_e32 v12, vcc, v12, v9, vcc
	v_cmp_gt_u32_e32 vcc, s9, v10
	v_subrev_u32_e32 v10, s9, v10
	v_lshlrev_b64 v[8:9], 3, v[10:11]
	v_mov_b32_e32 v10, s13
	v_add_co_u32_e64 v8, s[0:1], s12, v8
	v_addc_co_u32_e64 v9, s[0:1], v10, v9, s[0:1]
	v_cndmask_b32_e32 v9, v9, v12, vcc
	v_cndmask_b32_e32 v8, v8, v13, vcc
	global_load_dwordx2 v[8:9], v[8:9], off
.LBB29_14:
	s_or_b64 exec, exec, s[6:7]
.LBB29_15:
	s_load_dwordx4 s[4:7], s[4:5], 0x40
	v_lshlrev_b32_e32 v16, 2, v0
	v_min_u32_e32 v15, s33, v16
	v_sub_u32_e64 v14, v15, s14 clamp
	v_min_u32_e32 v17, s9, v15
	v_cmp_lt_u32_e32 vcc, v14, v17
	s_waitcnt vmcnt(0)
	ds_write2st64_b64 v1, v[2:3], v[4:5] offset1:4
	ds_write2st64_b64 v1, v[6:7], v[8:9] offset0:8 offset1:12
	s_waitcnt lgkmcnt(0)
	s_barrier
	s_and_saveexec_b64 s[12:13], vcc
	s_cbranch_execz .LBB29_25
; %bb.16:
	v_lshlrev_b32_e32 v10, 3, v15
	v_cmp_gt_i64_e64 s[0:1], s[4:5], 0
	v_lshl_add_u32 v18, s9, 3, v10
	v_cndmask_b32_e64 v10, 0, 1, s[0:1]
	s_mov_b64 s[14:15], 0
	v_cmp_ne_u32_e64 s[0:1], 1, v10
	s_branch .LBB29_19
.LBB29_17:                              ;   in Loop: Header=BB29_19 Depth=1
	s_or_b64 exec, exec, s[20:21]
.LBB29_18:                              ;   in Loop: Header=BB29_19 Depth=1
	v_add_u32_e32 v10, 1, v19
	v_cndmask_b32_e64 v17, v17, v19, s[18:19]
	v_cndmask_b32_e64 v14, v10, v14, s[18:19]
	v_cmp_ge_u32_e32 vcc, v14, v17
	s_or_b64 s[14:15], vcc, s[14:15]
	s_andn2_b64 exec, exec, s[14:15]
	s_cbranch_execz .LBB29_24
.LBB29_19:                              ; =>This Loop Header: Depth=1
                                        ;     Child Loop BB29_22 Depth 2
	v_add_u32_e32 v10, v17, v14
	v_lshrrev_b32_e32 v19, 1, v10
	s_and_b64 vcc, exec, s[0:1]
	s_mov_b64 s[18:19], 0
	s_cbranch_vccnz .LBB29_18
; %bb.20:                               ;   in Loop: Header=BB29_19 Depth=1
	v_not_b32_e32 v10, v19
	v_lshl_add_u32 v10, v10, 3, v18
	ds_read_b64 v[10:11], v10
	v_lshlrev_b32_e32 v20, 3, v19
	ds_read_b64 v[20:21], v20
	v_pk_mov_b32 v[12:13], s[6:7], s[6:7] op_sel:[0,1]
	s_mov_b64 s[20:21], 0
	s_waitcnt lgkmcnt(1)
	v_mul_lo_u32 v22, v10, s5
	v_mul_lo_u32 v23, v11, s4
	v_mad_u64_u32 v[10:11], s[18:19], v10, s4, v[12:13]
	v_add3_u32 v11, v23, v11, v22
	s_waitcnt lgkmcnt(0)
	v_mul_lo_u32 v22, v20, s5
	v_mul_lo_u32 v21, v21, s4
	v_mad_u64_u32 v[12:13], s[18:19], v20, s4, v[12:13]
	v_add3_u32 v13, v21, v13, v22
	s_mov_b64 s[26:27], s[4:5]
                                        ; implicit-def: $sgpr18_sgpr19
                                        ; implicit-def: $sgpr22_sgpr23
                                        ; implicit-def: $sgpr24_sgpr25
                                        ; implicit-def: $sgpr28_sgpr29
                                        ; implicit-def: $sgpr30_sgpr31
	s_branch .LBB29_22
.LBB29_21:                              ;   in Loop: Header=BB29_22 Depth=2
	s_or_b64 exec, exec, s[34:35]
	s_and_b64 s[34:35], exec, s[22:23]
	s_or_b64 s[20:21], s[34:35], s[20:21]
	s_andn2_b64 s[30:31], s[30:31], exec
	s_and_b64 s[34:35], s[24:25], exec
	s_or_b64 s[30:31], s[30:31], s[34:35]
	s_andn2_b64 s[18:19], s[18:19], exec
	s_and_b64 s[34:35], s[28:29], exec
	s_or_b64 s[18:19], s[18:19], s[34:35]
	s_andn2_b64 exec, exec, s[20:21]
	s_cbranch_execz .LBB29_17
.LBB29_22:                              ;   Parent Loop BB29_19 Depth=1
                                        ; =>  This Inner Loop Header: Depth=2
	global_load_ubyte v20, v[10:11], off
	global_load_ubyte v21, v[12:13], off
	s_andn2_b64 s[28:29], s[28:29], exec
	s_andn2_b64 s[24:25], s[24:25], exec
	s_or_b64 s[22:23], s[22:23], exec
	s_waitcnt vmcnt(0)
	v_cmp_le_u16_sdwa s[36:37], v20, v21 src0_sel:BYTE_0 src1_sel:BYTE_0
	v_cmp_lt_u16_sdwa s[34:35], v20, v21 src0_sel:BYTE_0 src1_sel:BYTE_0
	s_and_b64 s[36:37], s[36:37], s[30:31]
	s_or_b64 s[36:37], s[34:35], s[36:37]
	s_and_b64 s[34:35], s[36:37], exec
	v_cmp_eq_u16_sdwa s[38:39], v20, v21 src0_sel:BYTE_0 src1_sel:BYTE_0
	s_or_b64 s[28:29], s[28:29], s[34:35]
	s_and_saveexec_b64 s[34:35], s[38:39]
	s_cbranch_execz .LBB29_21
; %bb.23:                               ;   in Loop: Header=BB29_22 Depth=2
	s_add_u32 s26, s26, -1
	s_addc_u32 s27, s27, -1
	v_add_co_u32_e32 v10, vcc, 1, v10
	s_cmp_eq_u64 s[26:27], 0
	v_addc_co_u32_e32 v11, vcc, 0, v11, vcc
	s_cselect_b64 s[30:31], -1, 0
	v_add_co_u32_e32 v12, vcc, 1, v12
	s_andn2_b64 s[24:25], s[24:25], exec
	s_and_b64 s[36:37], s[36:37], exec
	s_andn2_b64 s[22:23], s[22:23], exec
	s_and_b64 s[30:31], s[30:31], exec
	v_addc_co_u32_e32 v13, vcc, 0, v13, vcc
	s_andn2_b64 s[28:29], s[28:29], exec
	s_or_b64 s[24:25], s[24:25], s[36:37]
	s_or_b64 s[22:23], s[22:23], s[30:31]
                                        ; implicit-def: $sgpr30_sgpr31
	s_branch .LBB29_21
.LBB29_24:
	s_or_b64 exec, exec, s[14:15]
.LBB29_25:
	s_or_b64 exec, exec, s[12:13]
	v_sub_u32_e32 v10, v15, v14
	v_add_u32_e32 v15, s9, v10
	v_cmp_ge_u32_e32 vcc, s9, v14
	v_cmp_ge_u32_e64 s[0:1], s33, v15
	s_or_b64 s[0:1], vcc, s[0:1]
	s_and_saveexec_b64 s[12:13], s[0:1]
	s_cbranch_execz .LBB29_72
; %bb.26:
	v_cmp_le_u32_e32 vcc, s9, v14
	v_cmp_gt_u32_e64 s[0:1], s9, v14
                                        ; implicit-def: $vgpr2_vgpr3
	s_and_saveexec_b64 s[14:15], s[0:1]
	s_cbranch_execz .LBB29_28
; %bb.27:
	v_lshlrev_b32_e32 v2, 3, v14
	ds_read_b64 v[2:3], v2
.LBB29_28:
	s_or_b64 exec, exec, s[14:15]
	v_cmp_le_u32_e64 s[14:15], s33, v15
	v_cmp_gt_u32_e64 s[0:1], s33, v15
                                        ; implicit-def: $vgpr6_vgpr7
	s_and_saveexec_b64 s[18:19], s[0:1]
	s_cbranch_execz .LBB29_30
; %bb.29:
	v_lshlrev_b32_e32 v4, 3, v15
	ds_read_b64 v[6:7], v4
.LBB29_30:
	s_or_b64 exec, exec, s[18:19]
	s_or_b64 s[20:21], vcc, s[14:15]
	v_cmp_gt_i64_e64 s[0:1], s[4:5], 0
	s_mov_b64 s[18:19], -1
	s_xor_b64 s[22:23], s[20:21], -1
	s_and_saveexec_b64 s[20:21], s[22:23]
	s_cbranch_execz .LBB29_39
; %bb.31:
	s_andn2_b64 vcc, exec, s[0:1]
	s_cbranch_vccnz .LBB29_37
; %bb.32:
	v_pk_mov_b32 v[8:9], s[6:7], s[6:7] op_sel:[0,1]
	s_waitcnt lgkmcnt(0)
	v_mad_u64_u32 v[4:5], s[22:23], v6, s4, v[8:9]
	v_mul_lo_u32 v10, v6, s5
	v_mul_lo_u32 v11, v7, s4
	v_add3_u32 v5, v11, v5, v10
	v_mad_u64_u32 v[8:9], s[22:23], v2, s4, v[8:9]
	v_mul_lo_u32 v10, v2, s5
	v_mul_lo_u32 v11, v3, s4
	v_add3_u32 v9, v11, v9, v10
	s_mov_b64 s[22:23], 0
	s_mov_b64 s[30:31], s[4:5]
                                        ; implicit-def: $sgpr24_sgpr25
                                        ; implicit-def: $sgpr26_sgpr27
                                        ; implicit-def: $sgpr34_sgpr35
                                        ; implicit-def: $sgpr28_sgpr29
                                        ; implicit-def: $sgpr36_sgpr37
	s_branch .LBB29_34
.LBB29_33:                              ;   in Loop: Header=BB29_34 Depth=1
	s_or_b64 exec, exec, s[38:39]
	s_and_b64 s[38:39], exec, s[26:27]
	s_or_b64 s[22:23], s[38:39], s[22:23]
	s_andn2_b64 s[36:37], s[36:37], exec
	s_and_b64 s[38:39], s[28:29], exec
	s_or_b64 s[36:37], s[36:37], s[38:39]
	s_andn2_b64 s[24:25], s[24:25], exec
	s_and_b64 s[38:39], s[34:35], exec
	s_or_b64 s[24:25], s[24:25], s[38:39]
	s_andn2_b64 exec, exec, s[22:23]
	s_cbranch_execz .LBB29_36
.LBB29_34:                              ; =>This Inner Loop Header: Depth=1
	global_load_ubyte v10, v[4:5], off
	global_load_ubyte v11, v[8:9], off
	s_andn2_b64 s[34:35], s[34:35], exec
	s_andn2_b64 s[28:29], s[28:29], exec
	s_or_b64 s[26:27], s[26:27], exec
	s_waitcnt vmcnt(0)
	v_cmp_le_u16_sdwa s[40:41], v10, v11 src0_sel:BYTE_0 src1_sel:BYTE_0
	v_cmp_lt_u16_sdwa s[38:39], v10, v11 src0_sel:BYTE_0 src1_sel:BYTE_0
	s_and_b64 s[40:41], s[40:41], s[36:37]
	s_or_b64 s[40:41], s[38:39], s[40:41]
	s_and_b64 s[38:39], s[40:41], exec
	v_cmp_eq_u16_sdwa s[42:43], v10, v11 src0_sel:BYTE_0 src1_sel:BYTE_0
	s_or_b64 s[34:35], s[34:35], s[38:39]
	s_and_saveexec_b64 s[38:39], s[42:43]
	s_cbranch_execz .LBB29_33
; %bb.35:                               ;   in Loop: Header=BB29_34 Depth=1
	s_add_u32 s30, s30, -1
	s_addc_u32 s31, s31, -1
	v_add_co_u32_e32 v4, vcc, 1, v4
	s_cmp_eq_u64 s[30:31], 0
	v_addc_co_u32_e32 v5, vcc, 0, v5, vcc
	s_cselect_b64 s[36:37], -1, 0
	v_add_co_u32_e32 v8, vcc, 1, v8
	s_andn2_b64 s[28:29], s[28:29], exec
	s_and_b64 s[40:41], s[40:41], exec
	s_andn2_b64 s[26:27], s[26:27], exec
	s_and_b64 s[36:37], s[36:37], exec
	v_addc_co_u32_e32 v9, vcc, 0, v9, vcc
	s_or_b64 s[28:29], s[28:29], s[40:41]
	s_andn2_b64 s[34:35], s[34:35], exec
	s_or_b64 s[26:27], s[26:27], s[36:37]
                                        ; implicit-def: $sgpr36_sgpr37
	s_branch .LBB29_33
.LBB29_36:
	s_or_b64 exec, exec, s[22:23]
	s_xor_b64 s[22:23], s[24:25], -1
	s_branch .LBB29_38
.LBB29_37:
	s_mov_b64 s[22:23], -1
.LBB29_38:
	s_andn2_b64 s[14:15], s[14:15], exec
	s_and_b64 s[22:23], s[22:23], exec
	s_or_b64 s[14:15], s[14:15], s[22:23]
.LBB29_39:
	s_or_b64 exec, exec, s[20:21]
	v_mov_b32_e32 v5, s33
	v_mov_b32_e32 v8, s9
	v_cndmask_b32_e64 v4, v15, v14, s[14:15]
	v_cndmask_b32_e64 v5, v5, v8, s[14:15]
	v_add_u32_e32 v8, 1, v4
	v_add_u32_e32 v4, -1, v5
	v_min_u32_e32 v4, v8, v4
	v_lshlrev_b32_e32 v4, 3, v4
	ds_read_b64 v[4:5], v4
	v_cndmask_b32_e64 v17, v8, v15, s[14:15]
	v_cndmask_b32_e64 v21, v14, v8, s[14:15]
	v_cmp_gt_u32_e32 vcc, s33, v17
	s_waitcnt lgkmcnt(0)
	v_cndmask_b32_e64 v10, v5, v7, s[14:15]
	v_cndmask_b32_e64 v11, v4, v6, s[14:15]
	;; [unrolled: 1-line block ×4, first 2 shown]
	s_and_saveexec_b64 s[20:21], vcc
	s_cbranch_execz .LBB29_50
; %bb.40:
	v_cmp_gt_u32_e32 vcc, s9, v21
	s_mov_b64 s[22:23], 0
	s_and_saveexec_b64 s[18:19], vcc
	s_cbranch_execz .LBB29_49
; %bb.41:
	s_andn2_b64 vcc, exec, s[0:1]
	s_cbranch_vccnz .LBB29_47
; %bb.42:
	v_pk_mov_b32 v[8:9], s[6:7], s[6:7] op_sel:[0,1]
	v_mad_u64_u32 v[4:5], s[22:23], v11, s4, v[8:9]
	v_mul_lo_u32 v14, v11, s5
	v_mul_lo_u32 v15, v10, s4
	v_add3_u32 v5, v15, v5, v14
	v_mad_u64_u32 v[8:9], s[22:23], v13, s4, v[8:9]
	v_mul_lo_u32 v14, v13, s5
	v_mul_lo_u32 v15, v12, s4
	v_add3_u32 v9, v15, v9, v14
	s_mov_b64 s[22:23], 0
	s_mov_b64 s[30:31], s[4:5]
                                        ; implicit-def: $sgpr24_sgpr25
                                        ; implicit-def: $sgpr26_sgpr27
                                        ; implicit-def: $sgpr34_sgpr35
                                        ; implicit-def: $sgpr28_sgpr29
                                        ; implicit-def: $sgpr36_sgpr37
	s_branch .LBB29_44
.LBB29_43:                              ;   in Loop: Header=BB29_44 Depth=1
	s_or_b64 exec, exec, s[38:39]
	s_and_b64 s[38:39], exec, s[26:27]
	s_or_b64 s[22:23], s[38:39], s[22:23]
	s_andn2_b64 s[36:37], s[36:37], exec
	s_and_b64 s[38:39], s[28:29], exec
	s_or_b64 s[36:37], s[36:37], s[38:39]
	s_andn2_b64 s[24:25], s[24:25], exec
	s_and_b64 s[38:39], s[34:35], exec
	s_or_b64 s[24:25], s[24:25], s[38:39]
	s_andn2_b64 exec, exec, s[22:23]
	s_cbranch_execz .LBB29_46
.LBB29_44:                              ; =>This Inner Loop Header: Depth=1
	global_load_ubyte v14, v[4:5], off
	global_load_ubyte v15, v[8:9], off
	s_andn2_b64 s[34:35], s[34:35], exec
	s_andn2_b64 s[28:29], s[28:29], exec
	s_or_b64 s[26:27], s[26:27], exec
	s_waitcnt vmcnt(0)
	v_cmp_le_u16_sdwa s[40:41], v14, v15 src0_sel:BYTE_0 src1_sel:BYTE_0
	v_cmp_lt_u16_sdwa s[38:39], v14, v15 src0_sel:BYTE_0 src1_sel:BYTE_0
	s_and_b64 s[40:41], s[40:41], s[36:37]
	s_or_b64 s[40:41], s[38:39], s[40:41]
	s_and_b64 s[38:39], s[40:41], exec
	v_cmp_eq_u16_sdwa s[42:43], v14, v15 src0_sel:BYTE_0 src1_sel:BYTE_0
	s_or_b64 s[34:35], s[34:35], s[38:39]
	s_and_saveexec_b64 s[38:39], s[42:43]
	s_cbranch_execz .LBB29_43
; %bb.45:                               ;   in Loop: Header=BB29_44 Depth=1
	s_add_u32 s30, s30, -1
	s_addc_u32 s31, s31, -1
	v_add_co_u32_e32 v4, vcc, 1, v4
	s_cmp_eq_u64 s[30:31], 0
	v_addc_co_u32_e32 v5, vcc, 0, v5, vcc
	s_cselect_b64 s[36:37], -1, 0
	v_add_co_u32_e32 v8, vcc, 1, v8
	s_andn2_b64 s[28:29], s[28:29], exec
	s_and_b64 s[40:41], s[40:41], exec
	s_andn2_b64 s[26:27], s[26:27], exec
	s_and_b64 s[36:37], s[36:37], exec
	v_addc_co_u32_e32 v9, vcc, 0, v9, vcc
	s_or_b64 s[28:29], s[28:29], s[40:41]
	s_andn2_b64 s[34:35], s[34:35], exec
	s_or_b64 s[26:27], s[26:27], s[36:37]
                                        ; implicit-def: $sgpr36_sgpr37
	s_branch .LBB29_43
.LBB29_46:
	s_or_b64 exec, exec, s[22:23]
	s_xor_b64 s[22:23], s[24:25], -1
	s_branch .LBB29_48
.LBB29_47:
	s_mov_b64 s[22:23], -1
.LBB29_48:
	s_and_b64 s[22:23], s[22:23], exec
.LBB29_49:
	s_or_b64 exec, exec, s[18:19]
	s_orn2_b64 s[18:19], s[22:23], exec
.LBB29_50:
	s_or_b64 exec, exec, s[20:21]
	v_mov_b32_e32 v5, s33
	v_mov_b32_e32 v8, s9
	v_cndmask_b32_e64 v4, v17, v21, s[18:19]
	v_cndmask_b32_e64 v5, v5, v8, s[18:19]
	v_add_u32_e32 v8, 1, v4
	v_add_u32_e32 v4, -1, v5
	v_min_u32_e32 v4, v8, v4
	v_lshlrev_b32_e32 v4, 3, v4
	ds_read_b64 v[4:5], v4
	v_cndmask_b32_e64 v18, v8, v17, s[18:19]
	v_cndmask_b32_e64 v17, v21, v8, s[18:19]
	v_cmp_gt_u32_e32 vcc, s33, v18
	s_mov_b64 s[22:23], -1
	s_waitcnt lgkmcnt(0)
	v_cndmask_b32_e64 v14, v5, v10, s[18:19]
	v_cndmask_b32_e64 v15, v4, v11, s[18:19]
	;; [unrolled: 1-line block ×4, first 2 shown]
	s_and_saveexec_b64 s[20:21], vcc
	s_cbranch_execz .LBB29_61
; %bb.51:
	v_cmp_gt_u32_e32 vcc, s9, v17
	s_mov_b64 s[24:25], 0
	s_and_saveexec_b64 s[22:23], vcc
	s_cbranch_execz .LBB29_60
; %bb.52:
	s_andn2_b64 vcc, exec, s[0:1]
	s_cbranch_vccnz .LBB29_58
; %bb.53:
	v_pk_mov_b32 v[8:9], s[6:7], s[6:7] op_sel:[0,1]
	v_mad_u64_u32 v[4:5], s[24:25], v15, s4, v[8:9]
	v_mul_lo_u32 v21, v15, s5
	v_mul_lo_u32 v22, v14, s4
	v_add3_u32 v5, v22, v5, v21
	v_mad_u64_u32 v[8:9], s[24:25], v20, s4, v[8:9]
	v_mul_lo_u32 v21, v20, s5
	v_mul_lo_u32 v22, v19, s4
	v_add3_u32 v9, v22, v9, v21
	s_mov_b64 s[24:25], 0
	s_mov_b64 s[34:35], s[4:5]
                                        ; implicit-def: $sgpr26_sgpr27
                                        ; implicit-def: $sgpr28_sgpr29
                                        ; implicit-def: $sgpr36_sgpr37
                                        ; implicit-def: $sgpr30_sgpr31
                                        ; implicit-def: $sgpr38_sgpr39
	s_branch .LBB29_55
.LBB29_54:                              ;   in Loop: Header=BB29_55 Depth=1
	s_or_b64 exec, exec, s[40:41]
	s_and_b64 s[40:41], exec, s[28:29]
	s_or_b64 s[24:25], s[40:41], s[24:25]
	s_andn2_b64 s[38:39], s[38:39], exec
	s_and_b64 s[40:41], s[30:31], exec
	s_or_b64 s[38:39], s[38:39], s[40:41]
	s_andn2_b64 s[26:27], s[26:27], exec
	s_and_b64 s[40:41], s[36:37], exec
	s_or_b64 s[26:27], s[26:27], s[40:41]
	s_andn2_b64 exec, exec, s[24:25]
	s_cbranch_execz .LBB29_57
.LBB29_55:                              ; =>This Inner Loop Header: Depth=1
	global_load_ubyte v21, v[4:5], off
	global_load_ubyte v22, v[8:9], off
	s_andn2_b64 s[36:37], s[36:37], exec
	s_andn2_b64 s[30:31], s[30:31], exec
	s_or_b64 s[28:29], s[28:29], exec
	s_waitcnt vmcnt(0)
	v_cmp_le_u16_sdwa s[42:43], v21, v22 src0_sel:BYTE_0 src1_sel:BYTE_0
	v_cmp_lt_u16_sdwa s[40:41], v21, v22 src0_sel:BYTE_0 src1_sel:BYTE_0
	s_and_b64 s[42:43], s[42:43], s[38:39]
	s_or_b64 s[42:43], s[40:41], s[42:43]
	s_and_b64 s[40:41], s[42:43], exec
	v_cmp_eq_u16_sdwa s[44:45], v21, v22 src0_sel:BYTE_0 src1_sel:BYTE_0
	s_or_b64 s[36:37], s[36:37], s[40:41]
	s_and_saveexec_b64 s[40:41], s[44:45]
	s_cbranch_execz .LBB29_54
; %bb.56:                               ;   in Loop: Header=BB29_55 Depth=1
	s_add_u32 s34, s34, -1
	s_addc_u32 s35, s35, -1
	v_add_co_u32_e32 v4, vcc, 1, v4
	s_cmp_eq_u64 s[34:35], 0
	v_addc_co_u32_e32 v5, vcc, 0, v5, vcc
	s_cselect_b64 s[38:39], -1, 0
	v_add_co_u32_e32 v8, vcc, 1, v8
	s_andn2_b64 s[30:31], s[30:31], exec
	s_and_b64 s[42:43], s[42:43], exec
	s_andn2_b64 s[28:29], s[28:29], exec
	s_and_b64 s[38:39], s[38:39], exec
	v_addc_co_u32_e32 v9, vcc, 0, v9, vcc
	s_or_b64 s[30:31], s[30:31], s[42:43]
	s_andn2_b64 s[36:37], s[36:37], exec
	s_or_b64 s[28:29], s[28:29], s[38:39]
                                        ; implicit-def: $sgpr38_sgpr39
	s_branch .LBB29_54
.LBB29_57:
	s_or_b64 exec, exec, s[24:25]
	s_xor_b64 s[24:25], s[26:27], -1
	s_branch .LBB29_59
.LBB29_58:
	s_mov_b64 s[24:25], -1
.LBB29_59:
	s_and_b64 s[24:25], s[24:25], exec
.LBB29_60:
	s_or_b64 exec, exec, s[22:23]
	s_orn2_b64 s[22:23], s[24:25], exec
.LBB29_61:
	s_or_b64 exec, exec, s[20:21]
	v_cndmask_b32_e64 v5, v10, v12, s[18:19]
	v_mov_b32_e32 v9, s33
	v_mov_b32_e32 v10, s9
	v_cndmask_b32_e64 v8, v18, v17, s[22:23]
	v_cndmask_b32_e64 v9, v9, v10, s[22:23]
	v_add_u32_e32 v12, 1, v8
	v_add_u32_e32 v8, -1, v9
	v_min_u32_e32 v8, v12, v8
	v_lshlrev_b32_e32 v8, 3, v8
	v_cndmask_b32_e64 v4, v11, v13, s[18:19]
	ds_read_b64 v[10:11], v8
	v_cndmask_b32_e64 v13, v12, v18, s[22:23]
	v_cndmask_b32_e64 v3, v7, v3, s[14:15]
	;; [unrolled: 1-line block ×5, first 2 shown]
	s_waitcnt lgkmcnt(0)
	v_cndmask_b32_e64 v9, v19, v11, s[22:23]
	v_cndmask_b32_e64 v8, v20, v10, s[22:23]
	v_cmp_gt_u32_e32 vcc, s33, v13
	s_and_saveexec_b64 s[14:15], vcc
	s_cbranch_execz .LBB29_71
; %bb.62:
	v_cndmask_b32_e64 v12, v17, v12, s[22:23]
	v_cndmask_b32_e64 v11, v11, v14, s[22:23]
	;; [unrolled: 1-line block ×3, first 2 shown]
	v_cmp_gt_u32_e32 vcc, s9, v12
	s_and_saveexec_b64 s[18:19], vcc
	s_cbranch_execz .LBB29_70
; %bb.63:
	s_andn2_b64 vcc, exec, s[0:1]
	s_cbranch_vccnz .LBB29_69
; %bb.64:
	v_pk_mov_b32 v[14:15], s[6:7], s[6:7] op_sel:[0,1]
	v_mad_u64_u32 v[12:13], s[0:1], v10, s4, v[14:15]
	v_mul_lo_u32 v17, v10, s5
	v_mul_lo_u32 v18, v11, s4
	v_add3_u32 v13, v18, v13, v17
	v_mad_u64_u32 v[14:15], s[0:1], v8, s4, v[14:15]
	v_mul_lo_u32 v17, v8, s5
	v_mul_lo_u32 v18, v9, s4
	v_add3_u32 v15, v18, v15, v17
	s_mov_b64 s[0:1], 0
                                        ; implicit-def: $sgpr6_sgpr7
                                        ; implicit-def: $sgpr20_sgpr21
                                        ; implicit-def: $sgpr24_sgpr25
                                        ; implicit-def: $sgpr22_sgpr23
                                        ; implicit-def: $sgpr26_sgpr27
	s_branch .LBB29_66
.LBB29_65:                              ;   in Loop: Header=BB29_66 Depth=1
	s_or_b64 exec, exec, s[28:29]
	s_and_b64 s[28:29], exec, s[20:21]
	s_or_b64 s[0:1], s[28:29], s[0:1]
	s_andn2_b64 s[26:27], s[26:27], exec
	s_and_b64 s[28:29], s[22:23], exec
	s_or_b64 s[26:27], s[26:27], s[28:29]
	s_andn2_b64 s[6:7], s[6:7], exec
	s_and_b64 s[28:29], s[24:25], exec
	s_or_b64 s[6:7], s[6:7], s[28:29]
	s_andn2_b64 exec, exec, s[0:1]
	s_cbranch_execz .LBB29_68
.LBB29_66:                              ; =>This Inner Loop Header: Depth=1
	global_load_ubyte v17, v[12:13], off
	global_load_ubyte v18, v[14:15], off
	s_andn2_b64 s[24:25], s[24:25], exec
	s_andn2_b64 s[22:23], s[22:23], exec
	s_or_b64 s[20:21], s[20:21], exec
	s_waitcnt vmcnt(0)
	v_cmp_le_u16_sdwa s[30:31], v17, v18 src0_sel:BYTE_0 src1_sel:BYTE_0
	v_cmp_lt_u16_sdwa s[28:29], v17, v18 src0_sel:BYTE_0 src1_sel:BYTE_0
	s_and_b64 s[30:31], s[30:31], s[26:27]
	s_or_b64 s[30:31], s[28:29], s[30:31]
	s_and_b64 s[28:29], s[30:31], exec
	v_cmp_eq_u16_sdwa s[34:35], v17, v18 src0_sel:BYTE_0 src1_sel:BYTE_0
	s_or_b64 s[24:25], s[24:25], s[28:29]
	s_and_saveexec_b64 s[28:29], s[34:35]
	s_cbranch_execz .LBB29_65
; %bb.67:                               ;   in Loop: Header=BB29_66 Depth=1
	s_add_u32 s4, s4, -1
	s_addc_u32 s5, s5, -1
	v_add_co_u32_e32 v12, vcc, 1, v12
	s_cmp_eq_u64 s[4:5], 0
	v_addc_co_u32_e32 v13, vcc, 0, v13, vcc
	s_cselect_b64 s[26:27], -1, 0
	v_add_co_u32_e32 v14, vcc, 1, v14
	s_andn2_b64 s[22:23], s[22:23], exec
	s_and_b64 s[30:31], s[30:31], exec
	s_andn2_b64 s[20:21], s[20:21], exec
	s_and_b64 s[26:27], s[26:27], exec
	v_addc_co_u32_e32 v15, vcc, 0, v15, vcc
	s_or_b64 s[22:23], s[22:23], s[30:31]
	s_andn2_b64 s[24:25], s[24:25], exec
	s_or_b64 s[20:21], s[20:21], s[26:27]
                                        ; implicit-def: $sgpr26_sgpr27
	s_branch .LBB29_65
.LBB29_68:
	s_or_b64 exec, exec, s[0:1]
	v_cndmask_b32_e64 v9, v9, v11, s[6:7]
	v_cndmask_b32_e64 v8, v8, v10, s[6:7]
.LBB29_69:
	v_pk_mov_b32 v[10:11], v[8:9], v[8:9] op_sel:[0,1]
.LBB29_70:
	s_or_b64 exec, exec, s[18:19]
	v_pk_mov_b32 v[8:9], v[10:11], v[10:11] op_sel:[0,1]
.LBB29_71:
	s_or_b64 exec, exec, s[14:15]
.LBB29_72:
	s_or_b64 exec, exec, s[12:13]
	v_and_b32_e32 v10, 0xf8, v0
	v_lshl_add_u32 v10, v16, 3, v10
	s_barrier
	s_barrier
	ds_write2_b64 v10, v[2:3], v[4:5] offset1:1
	ds_write2_b64 v10, v[6:7], v[8:9] offset0:2 offset1:3
	v_lshrrev_b32_e32 v2, 2, v0
	v_and_b32_e32 v2, 56, v2
	v_or_b32_e32 v12, 0x100, v0
	v_add_u32_e32 v13, v1, v2
	v_lshrrev_b32_e32 v2, 2, v12
	v_and_b32_e32 v2, 0x78, v2
	v_or_b32_e32 v11, 0x200, v0
	v_add_u32_e32 v6, v1, v2
	v_lshrrev_b32_e32 v2, 2, v11
	s_lshl_b64 s[0:1], s[16:17], 3
	v_and_b32_e32 v2, 0xb8, v2
	v_or_b32_e32 v10, 0x300, v0
	s_add_u32 s0, s2, s0
	v_add_u32_e32 v7, v1, v2
	v_lshrrev_b32_e32 v2, 2, v10
	s_addc_u32 s1, s3, s1
	v_and_b32_e32 v2, 0xf8, v2
	v_add_u32_e32 v14, v1, v2
	v_mov_b32_e32 v3, s1
	v_add_co_u32_e32 v2, vcc, s0, v1
	v_addc_co_u32_e32 v3, vcc, 0, v3, vcc
	s_and_b64 vcc, exec, s[10:11]
	s_waitcnt lgkmcnt(0)
	s_cbranch_vccz .LBB29_74
; %bb.73:
	s_barrier
	ds_read_b64 v[8:9], v13
	ds_read_b64 v[16:17], v6 offset:2048
	ds_read_b64 v[18:19], v7 offset:4096
	;; [unrolled: 1-line block ×3, first 2 shown]
	s_waitcnt lgkmcnt(3)
	global_store_dwordx2 v[2:3], v[8:9], off
	s_waitcnt lgkmcnt(2)
	global_store_dwordx2 v[2:3], v[16:17], off offset:2048
	v_add_co_u32_e32 v8, vcc, 0x1000, v2
	v_addc_co_u32_e32 v9, vcc, 0, v3, vcc
	s_waitcnt lgkmcnt(1)
	global_store_dwordx2 v[8:9], v[18:19], off
	s_mov_b64 s[0:1], -1
	s_cbranch_execz .LBB29_75
	s_branch .LBB29_80
.LBB29_74:
	s_mov_b64 s[0:1], 0
                                        ; implicit-def: $vgpr4_vgpr5
.LBB29_75:
	s_barrier
	s_waitcnt lgkmcnt(0)
	ds_read_b64 v[8:9], v6 offset:2048
	ds_read_b64 v[6:7], v7 offset:4096
	;; [unrolled: 1-line block ×3, first 2 shown]
	s_sub_i32 s2, s8, s16
	v_cmp_gt_u32_e32 vcc, s2, v0
	s_and_saveexec_b64 s[0:1], vcc
	s_cbranch_execnz .LBB29_83
; %bb.76:
	s_or_b64 exec, exec, s[0:1]
	v_cmp_gt_u32_e32 vcc, s2, v12
	s_and_saveexec_b64 s[0:1], vcc
	s_cbranch_execnz .LBB29_84
.LBB29_77:
	s_or_b64 exec, exec, s[0:1]
	v_cmp_gt_u32_e32 vcc, s2, v11
	s_and_saveexec_b64 s[0:1], vcc
	s_cbranch_execz .LBB29_79
.LBB29_78:
	v_add_co_u32_e32 v0, vcc, 0x1000, v2
	v_addc_co_u32_e32 v1, vcc, 0, v3, vcc
	s_waitcnt lgkmcnt(1)
	global_store_dwordx2 v[0:1], v[6:7], off
.LBB29_79:
	s_or_b64 exec, exec, s[0:1]
	v_cmp_gt_u32_e64 s[0:1], s2, v10
.LBB29_80:
	s_and_saveexec_b64 s[2:3], s[0:1]
	s_cbranch_execz .LBB29_82
; %bb.81:
	v_add_co_u32_e32 v0, vcc, 0x1000, v2
	v_addc_co_u32_e32 v1, vcc, 0, v3, vcc
	s_waitcnt lgkmcnt(0)
	global_store_dwordx2 v[0:1], v[4:5], off offset:2048
.LBB29_82:
	s_endpgm
.LBB29_83:
	ds_read_b64 v[0:1], v13
	s_waitcnt lgkmcnt(0)
	global_store_dwordx2 v[2:3], v[0:1], off
	s_or_b64 exec, exec, s[0:1]
	v_cmp_gt_u32_e32 vcc, s2, v12
	s_and_saveexec_b64 s[0:1], vcc
	s_cbranch_execz .LBB29_77
.LBB29_84:
	s_waitcnt lgkmcnt(2)
	global_store_dwordx2 v[2:3], v[8:9], off offset:2048
	s_or_b64 exec, exec, s[0:1]
	v_cmp_gt_u32_e32 vcc, s2, v11
	s_and_saveexec_b64 s[0:1], vcc
	s_cbranch_execnz .LBB29_78
	s_branch .LBB29_79
	.section	.rodata,"a",@progbits
	.p2align	6, 0x0
	.amdhsa_kernel _ZN7rocprim17ROCPRIM_400000_NS6detail17trampoline_kernelINS0_14default_configENS1_38merge_sort_block_merge_config_selectorIlNS0_10empty_typeEEEZZNS1_27merge_sort_block_merge_implIS3_PlPS5_mZN2at6native12_GLOBAL__N_124unique_dim_cuda_templateIhEESt5tupleIJNSA_6TensorESF_SF_EERKSF_lbbbEUlllE_EE10hipError_tT0_T1_T2_jT3_P12ihipStream_tbPNSt15iterator_traitsISL_E10value_typeEPNSR_ISM_E10value_typeEPSN_NS1_7vsmem_tEENKUlT_SL_SM_SN_E_clIS8_S8_S9_S9_EESK_S10_SL_SM_SN_EUlS10_E0_NS1_11comp_targetILNS1_3genE4ELNS1_11target_archE910ELNS1_3gpuE8ELNS1_3repE0EEENS1_38merge_mergepath_config_static_selectorELNS0_4arch9wavefront6targetE1EEEvSM_
		.amdhsa_group_segment_fixed_size 8448
		.amdhsa_private_segment_fixed_size 0
		.amdhsa_kernarg_size 344
		.amdhsa_user_sgpr_count 6
		.amdhsa_user_sgpr_private_segment_buffer 1
		.amdhsa_user_sgpr_dispatch_ptr 0
		.amdhsa_user_sgpr_queue_ptr 0
		.amdhsa_user_sgpr_kernarg_segment_ptr 1
		.amdhsa_user_sgpr_dispatch_id 0
		.amdhsa_user_sgpr_flat_scratch_init 0
		.amdhsa_user_sgpr_kernarg_preload_length 0
		.amdhsa_user_sgpr_kernarg_preload_offset 0
		.amdhsa_user_sgpr_private_segment_size 0
		.amdhsa_uses_dynamic_stack 0
		.amdhsa_system_sgpr_private_segment_wavefront_offset 0
		.amdhsa_system_sgpr_workgroup_id_x 1
		.amdhsa_system_sgpr_workgroup_id_y 1
		.amdhsa_system_sgpr_workgroup_id_z 1
		.amdhsa_system_sgpr_workgroup_info 0
		.amdhsa_system_vgpr_workitem_id 0
		.amdhsa_next_free_vgpr 24
		.amdhsa_next_free_sgpr 46
		.amdhsa_accum_offset 24
		.amdhsa_reserve_vcc 1
		.amdhsa_reserve_flat_scratch 0
		.amdhsa_float_round_mode_32 0
		.amdhsa_float_round_mode_16_64 0
		.amdhsa_float_denorm_mode_32 3
		.amdhsa_float_denorm_mode_16_64 3
		.amdhsa_dx10_clamp 1
		.amdhsa_ieee_mode 1
		.amdhsa_fp16_overflow 0
		.amdhsa_tg_split 0
		.amdhsa_exception_fp_ieee_invalid_op 0
		.amdhsa_exception_fp_denorm_src 0
		.amdhsa_exception_fp_ieee_div_zero 0
		.amdhsa_exception_fp_ieee_overflow 0
		.amdhsa_exception_fp_ieee_underflow 0
		.amdhsa_exception_fp_ieee_inexact 0
		.amdhsa_exception_int_div_zero 0
	.end_amdhsa_kernel
	.section	.text._ZN7rocprim17ROCPRIM_400000_NS6detail17trampoline_kernelINS0_14default_configENS1_38merge_sort_block_merge_config_selectorIlNS0_10empty_typeEEEZZNS1_27merge_sort_block_merge_implIS3_PlPS5_mZN2at6native12_GLOBAL__N_124unique_dim_cuda_templateIhEESt5tupleIJNSA_6TensorESF_SF_EERKSF_lbbbEUlllE_EE10hipError_tT0_T1_T2_jT3_P12ihipStream_tbPNSt15iterator_traitsISL_E10value_typeEPNSR_ISM_E10value_typeEPSN_NS1_7vsmem_tEENKUlT_SL_SM_SN_E_clIS8_S8_S9_S9_EESK_S10_SL_SM_SN_EUlS10_E0_NS1_11comp_targetILNS1_3genE4ELNS1_11target_archE910ELNS1_3gpuE8ELNS1_3repE0EEENS1_38merge_mergepath_config_static_selectorELNS0_4arch9wavefront6targetE1EEEvSM_,"axG",@progbits,_ZN7rocprim17ROCPRIM_400000_NS6detail17trampoline_kernelINS0_14default_configENS1_38merge_sort_block_merge_config_selectorIlNS0_10empty_typeEEEZZNS1_27merge_sort_block_merge_implIS3_PlPS5_mZN2at6native12_GLOBAL__N_124unique_dim_cuda_templateIhEESt5tupleIJNSA_6TensorESF_SF_EERKSF_lbbbEUlllE_EE10hipError_tT0_T1_T2_jT3_P12ihipStream_tbPNSt15iterator_traitsISL_E10value_typeEPNSR_ISM_E10value_typeEPSN_NS1_7vsmem_tEENKUlT_SL_SM_SN_E_clIS8_S8_S9_S9_EESK_S10_SL_SM_SN_EUlS10_E0_NS1_11comp_targetILNS1_3genE4ELNS1_11target_archE910ELNS1_3gpuE8ELNS1_3repE0EEENS1_38merge_mergepath_config_static_selectorELNS0_4arch9wavefront6targetE1EEEvSM_,comdat
.Lfunc_end29:
	.size	_ZN7rocprim17ROCPRIM_400000_NS6detail17trampoline_kernelINS0_14default_configENS1_38merge_sort_block_merge_config_selectorIlNS0_10empty_typeEEEZZNS1_27merge_sort_block_merge_implIS3_PlPS5_mZN2at6native12_GLOBAL__N_124unique_dim_cuda_templateIhEESt5tupleIJNSA_6TensorESF_SF_EERKSF_lbbbEUlllE_EE10hipError_tT0_T1_T2_jT3_P12ihipStream_tbPNSt15iterator_traitsISL_E10value_typeEPNSR_ISM_E10value_typeEPSN_NS1_7vsmem_tEENKUlT_SL_SM_SN_E_clIS8_S8_S9_S9_EESK_S10_SL_SM_SN_EUlS10_E0_NS1_11comp_targetILNS1_3genE4ELNS1_11target_archE910ELNS1_3gpuE8ELNS1_3repE0EEENS1_38merge_mergepath_config_static_selectorELNS0_4arch9wavefront6targetE1EEEvSM_, .Lfunc_end29-_ZN7rocprim17ROCPRIM_400000_NS6detail17trampoline_kernelINS0_14default_configENS1_38merge_sort_block_merge_config_selectorIlNS0_10empty_typeEEEZZNS1_27merge_sort_block_merge_implIS3_PlPS5_mZN2at6native12_GLOBAL__N_124unique_dim_cuda_templateIhEESt5tupleIJNSA_6TensorESF_SF_EERKSF_lbbbEUlllE_EE10hipError_tT0_T1_T2_jT3_P12ihipStream_tbPNSt15iterator_traitsISL_E10value_typeEPNSR_ISM_E10value_typeEPSN_NS1_7vsmem_tEENKUlT_SL_SM_SN_E_clIS8_S8_S9_S9_EESK_S10_SL_SM_SN_EUlS10_E0_NS1_11comp_targetILNS1_3genE4ELNS1_11target_archE910ELNS1_3gpuE8ELNS1_3repE0EEENS1_38merge_mergepath_config_static_selectorELNS0_4arch9wavefront6targetE1EEEvSM_
                                        ; -- End function
	.section	.AMDGPU.csdata,"",@progbits
; Kernel info:
; codeLenInByte = 3932
; NumSgprs: 50
; NumVgprs: 24
; NumAgprs: 0
; TotalNumVgprs: 24
; ScratchSize: 0
; MemoryBound: 0
; FloatMode: 240
; IeeeMode: 1
; LDSByteSize: 8448 bytes/workgroup (compile time only)
; SGPRBlocks: 6
; VGPRBlocks: 2
; NumSGPRsForWavesPerEU: 50
; NumVGPRsForWavesPerEU: 24
; AccumOffset: 24
; Occupancy: 7
; WaveLimiterHint : 1
; COMPUTE_PGM_RSRC2:SCRATCH_EN: 0
; COMPUTE_PGM_RSRC2:USER_SGPR: 6
; COMPUTE_PGM_RSRC2:TRAP_HANDLER: 0
; COMPUTE_PGM_RSRC2:TGID_X_EN: 1
; COMPUTE_PGM_RSRC2:TGID_Y_EN: 1
; COMPUTE_PGM_RSRC2:TGID_Z_EN: 1
; COMPUTE_PGM_RSRC2:TIDIG_COMP_CNT: 0
; COMPUTE_PGM_RSRC3_GFX90A:ACCUM_OFFSET: 5
; COMPUTE_PGM_RSRC3_GFX90A:TG_SPLIT: 0
	.section	.text._ZN7rocprim17ROCPRIM_400000_NS6detail17trampoline_kernelINS0_14default_configENS1_38merge_sort_block_merge_config_selectorIlNS0_10empty_typeEEEZZNS1_27merge_sort_block_merge_implIS3_PlPS5_mZN2at6native12_GLOBAL__N_124unique_dim_cuda_templateIhEESt5tupleIJNSA_6TensorESF_SF_EERKSF_lbbbEUlllE_EE10hipError_tT0_T1_T2_jT3_P12ihipStream_tbPNSt15iterator_traitsISL_E10value_typeEPNSR_ISM_E10value_typeEPSN_NS1_7vsmem_tEENKUlT_SL_SM_SN_E_clIS8_S8_S9_S9_EESK_S10_SL_SM_SN_EUlS10_E0_NS1_11comp_targetILNS1_3genE3ELNS1_11target_archE908ELNS1_3gpuE7ELNS1_3repE0EEENS1_38merge_mergepath_config_static_selectorELNS0_4arch9wavefront6targetE1EEEvSM_,"axG",@progbits,_ZN7rocprim17ROCPRIM_400000_NS6detail17trampoline_kernelINS0_14default_configENS1_38merge_sort_block_merge_config_selectorIlNS0_10empty_typeEEEZZNS1_27merge_sort_block_merge_implIS3_PlPS5_mZN2at6native12_GLOBAL__N_124unique_dim_cuda_templateIhEESt5tupleIJNSA_6TensorESF_SF_EERKSF_lbbbEUlllE_EE10hipError_tT0_T1_T2_jT3_P12ihipStream_tbPNSt15iterator_traitsISL_E10value_typeEPNSR_ISM_E10value_typeEPSN_NS1_7vsmem_tEENKUlT_SL_SM_SN_E_clIS8_S8_S9_S9_EESK_S10_SL_SM_SN_EUlS10_E0_NS1_11comp_targetILNS1_3genE3ELNS1_11target_archE908ELNS1_3gpuE7ELNS1_3repE0EEENS1_38merge_mergepath_config_static_selectorELNS0_4arch9wavefront6targetE1EEEvSM_,comdat
	.globl	_ZN7rocprim17ROCPRIM_400000_NS6detail17trampoline_kernelINS0_14default_configENS1_38merge_sort_block_merge_config_selectorIlNS0_10empty_typeEEEZZNS1_27merge_sort_block_merge_implIS3_PlPS5_mZN2at6native12_GLOBAL__N_124unique_dim_cuda_templateIhEESt5tupleIJNSA_6TensorESF_SF_EERKSF_lbbbEUlllE_EE10hipError_tT0_T1_T2_jT3_P12ihipStream_tbPNSt15iterator_traitsISL_E10value_typeEPNSR_ISM_E10value_typeEPSN_NS1_7vsmem_tEENKUlT_SL_SM_SN_E_clIS8_S8_S9_S9_EESK_S10_SL_SM_SN_EUlS10_E0_NS1_11comp_targetILNS1_3genE3ELNS1_11target_archE908ELNS1_3gpuE7ELNS1_3repE0EEENS1_38merge_mergepath_config_static_selectorELNS0_4arch9wavefront6targetE1EEEvSM_ ; -- Begin function _ZN7rocprim17ROCPRIM_400000_NS6detail17trampoline_kernelINS0_14default_configENS1_38merge_sort_block_merge_config_selectorIlNS0_10empty_typeEEEZZNS1_27merge_sort_block_merge_implIS3_PlPS5_mZN2at6native12_GLOBAL__N_124unique_dim_cuda_templateIhEESt5tupleIJNSA_6TensorESF_SF_EERKSF_lbbbEUlllE_EE10hipError_tT0_T1_T2_jT3_P12ihipStream_tbPNSt15iterator_traitsISL_E10value_typeEPNSR_ISM_E10value_typeEPSN_NS1_7vsmem_tEENKUlT_SL_SM_SN_E_clIS8_S8_S9_S9_EESK_S10_SL_SM_SN_EUlS10_E0_NS1_11comp_targetILNS1_3genE3ELNS1_11target_archE908ELNS1_3gpuE7ELNS1_3repE0EEENS1_38merge_mergepath_config_static_selectorELNS0_4arch9wavefront6targetE1EEEvSM_
	.p2align	8
	.type	_ZN7rocprim17ROCPRIM_400000_NS6detail17trampoline_kernelINS0_14default_configENS1_38merge_sort_block_merge_config_selectorIlNS0_10empty_typeEEEZZNS1_27merge_sort_block_merge_implIS3_PlPS5_mZN2at6native12_GLOBAL__N_124unique_dim_cuda_templateIhEESt5tupleIJNSA_6TensorESF_SF_EERKSF_lbbbEUlllE_EE10hipError_tT0_T1_T2_jT3_P12ihipStream_tbPNSt15iterator_traitsISL_E10value_typeEPNSR_ISM_E10value_typeEPSN_NS1_7vsmem_tEENKUlT_SL_SM_SN_E_clIS8_S8_S9_S9_EESK_S10_SL_SM_SN_EUlS10_E0_NS1_11comp_targetILNS1_3genE3ELNS1_11target_archE908ELNS1_3gpuE7ELNS1_3repE0EEENS1_38merge_mergepath_config_static_selectorELNS0_4arch9wavefront6targetE1EEEvSM_,@function
_ZN7rocprim17ROCPRIM_400000_NS6detail17trampoline_kernelINS0_14default_configENS1_38merge_sort_block_merge_config_selectorIlNS0_10empty_typeEEEZZNS1_27merge_sort_block_merge_implIS3_PlPS5_mZN2at6native12_GLOBAL__N_124unique_dim_cuda_templateIhEESt5tupleIJNSA_6TensorESF_SF_EERKSF_lbbbEUlllE_EE10hipError_tT0_T1_T2_jT3_P12ihipStream_tbPNSt15iterator_traitsISL_E10value_typeEPNSR_ISM_E10value_typeEPSN_NS1_7vsmem_tEENKUlT_SL_SM_SN_E_clIS8_S8_S9_S9_EESK_S10_SL_SM_SN_EUlS10_E0_NS1_11comp_targetILNS1_3genE3ELNS1_11target_archE908ELNS1_3gpuE7ELNS1_3repE0EEENS1_38merge_mergepath_config_static_selectorELNS0_4arch9wavefront6targetE1EEEvSM_: ; @_ZN7rocprim17ROCPRIM_400000_NS6detail17trampoline_kernelINS0_14default_configENS1_38merge_sort_block_merge_config_selectorIlNS0_10empty_typeEEEZZNS1_27merge_sort_block_merge_implIS3_PlPS5_mZN2at6native12_GLOBAL__N_124unique_dim_cuda_templateIhEESt5tupleIJNSA_6TensorESF_SF_EERKSF_lbbbEUlllE_EE10hipError_tT0_T1_T2_jT3_P12ihipStream_tbPNSt15iterator_traitsISL_E10value_typeEPNSR_ISM_E10value_typeEPSN_NS1_7vsmem_tEENKUlT_SL_SM_SN_E_clIS8_S8_S9_S9_EESK_S10_SL_SM_SN_EUlS10_E0_NS1_11comp_targetILNS1_3genE3ELNS1_11target_archE908ELNS1_3gpuE7ELNS1_3repE0EEENS1_38merge_mergepath_config_static_selectorELNS0_4arch9wavefront6targetE1EEEvSM_
; %bb.0:
	.section	.rodata,"a",@progbits
	.p2align	6, 0x0
	.amdhsa_kernel _ZN7rocprim17ROCPRIM_400000_NS6detail17trampoline_kernelINS0_14default_configENS1_38merge_sort_block_merge_config_selectorIlNS0_10empty_typeEEEZZNS1_27merge_sort_block_merge_implIS3_PlPS5_mZN2at6native12_GLOBAL__N_124unique_dim_cuda_templateIhEESt5tupleIJNSA_6TensorESF_SF_EERKSF_lbbbEUlllE_EE10hipError_tT0_T1_T2_jT3_P12ihipStream_tbPNSt15iterator_traitsISL_E10value_typeEPNSR_ISM_E10value_typeEPSN_NS1_7vsmem_tEENKUlT_SL_SM_SN_E_clIS8_S8_S9_S9_EESK_S10_SL_SM_SN_EUlS10_E0_NS1_11comp_targetILNS1_3genE3ELNS1_11target_archE908ELNS1_3gpuE7ELNS1_3repE0EEENS1_38merge_mergepath_config_static_selectorELNS0_4arch9wavefront6targetE1EEEvSM_
		.amdhsa_group_segment_fixed_size 0
		.amdhsa_private_segment_fixed_size 0
		.amdhsa_kernarg_size 88
		.amdhsa_user_sgpr_count 6
		.amdhsa_user_sgpr_private_segment_buffer 1
		.amdhsa_user_sgpr_dispatch_ptr 0
		.amdhsa_user_sgpr_queue_ptr 0
		.amdhsa_user_sgpr_kernarg_segment_ptr 1
		.amdhsa_user_sgpr_dispatch_id 0
		.amdhsa_user_sgpr_flat_scratch_init 0
		.amdhsa_user_sgpr_kernarg_preload_length 0
		.amdhsa_user_sgpr_kernarg_preload_offset 0
		.amdhsa_user_sgpr_private_segment_size 0
		.amdhsa_uses_dynamic_stack 0
		.amdhsa_system_sgpr_private_segment_wavefront_offset 0
		.amdhsa_system_sgpr_workgroup_id_x 1
		.amdhsa_system_sgpr_workgroup_id_y 0
		.amdhsa_system_sgpr_workgroup_id_z 0
		.amdhsa_system_sgpr_workgroup_info 0
		.amdhsa_system_vgpr_workitem_id 0
		.amdhsa_next_free_vgpr 1
		.amdhsa_next_free_sgpr 0
		.amdhsa_accum_offset 4
		.amdhsa_reserve_vcc 0
		.amdhsa_reserve_flat_scratch 0
		.amdhsa_float_round_mode_32 0
		.amdhsa_float_round_mode_16_64 0
		.amdhsa_float_denorm_mode_32 3
		.amdhsa_float_denorm_mode_16_64 3
		.amdhsa_dx10_clamp 1
		.amdhsa_ieee_mode 1
		.amdhsa_fp16_overflow 0
		.amdhsa_tg_split 0
		.amdhsa_exception_fp_ieee_invalid_op 0
		.amdhsa_exception_fp_denorm_src 0
		.amdhsa_exception_fp_ieee_div_zero 0
		.amdhsa_exception_fp_ieee_overflow 0
		.amdhsa_exception_fp_ieee_underflow 0
		.amdhsa_exception_fp_ieee_inexact 0
		.amdhsa_exception_int_div_zero 0
	.end_amdhsa_kernel
	.section	.text._ZN7rocprim17ROCPRIM_400000_NS6detail17trampoline_kernelINS0_14default_configENS1_38merge_sort_block_merge_config_selectorIlNS0_10empty_typeEEEZZNS1_27merge_sort_block_merge_implIS3_PlPS5_mZN2at6native12_GLOBAL__N_124unique_dim_cuda_templateIhEESt5tupleIJNSA_6TensorESF_SF_EERKSF_lbbbEUlllE_EE10hipError_tT0_T1_T2_jT3_P12ihipStream_tbPNSt15iterator_traitsISL_E10value_typeEPNSR_ISM_E10value_typeEPSN_NS1_7vsmem_tEENKUlT_SL_SM_SN_E_clIS8_S8_S9_S9_EESK_S10_SL_SM_SN_EUlS10_E0_NS1_11comp_targetILNS1_3genE3ELNS1_11target_archE908ELNS1_3gpuE7ELNS1_3repE0EEENS1_38merge_mergepath_config_static_selectorELNS0_4arch9wavefront6targetE1EEEvSM_,"axG",@progbits,_ZN7rocprim17ROCPRIM_400000_NS6detail17trampoline_kernelINS0_14default_configENS1_38merge_sort_block_merge_config_selectorIlNS0_10empty_typeEEEZZNS1_27merge_sort_block_merge_implIS3_PlPS5_mZN2at6native12_GLOBAL__N_124unique_dim_cuda_templateIhEESt5tupleIJNSA_6TensorESF_SF_EERKSF_lbbbEUlllE_EE10hipError_tT0_T1_T2_jT3_P12ihipStream_tbPNSt15iterator_traitsISL_E10value_typeEPNSR_ISM_E10value_typeEPSN_NS1_7vsmem_tEENKUlT_SL_SM_SN_E_clIS8_S8_S9_S9_EESK_S10_SL_SM_SN_EUlS10_E0_NS1_11comp_targetILNS1_3genE3ELNS1_11target_archE908ELNS1_3gpuE7ELNS1_3repE0EEENS1_38merge_mergepath_config_static_selectorELNS0_4arch9wavefront6targetE1EEEvSM_,comdat
.Lfunc_end30:
	.size	_ZN7rocprim17ROCPRIM_400000_NS6detail17trampoline_kernelINS0_14default_configENS1_38merge_sort_block_merge_config_selectorIlNS0_10empty_typeEEEZZNS1_27merge_sort_block_merge_implIS3_PlPS5_mZN2at6native12_GLOBAL__N_124unique_dim_cuda_templateIhEESt5tupleIJNSA_6TensorESF_SF_EERKSF_lbbbEUlllE_EE10hipError_tT0_T1_T2_jT3_P12ihipStream_tbPNSt15iterator_traitsISL_E10value_typeEPNSR_ISM_E10value_typeEPSN_NS1_7vsmem_tEENKUlT_SL_SM_SN_E_clIS8_S8_S9_S9_EESK_S10_SL_SM_SN_EUlS10_E0_NS1_11comp_targetILNS1_3genE3ELNS1_11target_archE908ELNS1_3gpuE7ELNS1_3repE0EEENS1_38merge_mergepath_config_static_selectorELNS0_4arch9wavefront6targetE1EEEvSM_, .Lfunc_end30-_ZN7rocprim17ROCPRIM_400000_NS6detail17trampoline_kernelINS0_14default_configENS1_38merge_sort_block_merge_config_selectorIlNS0_10empty_typeEEEZZNS1_27merge_sort_block_merge_implIS3_PlPS5_mZN2at6native12_GLOBAL__N_124unique_dim_cuda_templateIhEESt5tupleIJNSA_6TensorESF_SF_EERKSF_lbbbEUlllE_EE10hipError_tT0_T1_T2_jT3_P12ihipStream_tbPNSt15iterator_traitsISL_E10value_typeEPNSR_ISM_E10value_typeEPSN_NS1_7vsmem_tEENKUlT_SL_SM_SN_E_clIS8_S8_S9_S9_EESK_S10_SL_SM_SN_EUlS10_E0_NS1_11comp_targetILNS1_3genE3ELNS1_11target_archE908ELNS1_3gpuE7ELNS1_3repE0EEENS1_38merge_mergepath_config_static_selectorELNS0_4arch9wavefront6targetE1EEEvSM_
                                        ; -- End function
	.section	.AMDGPU.csdata,"",@progbits
; Kernel info:
; codeLenInByte = 0
; NumSgprs: 4
; NumVgprs: 0
; NumAgprs: 0
; TotalNumVgprs: 0
; ScratchSize: 0
; MemoryBound: 0
; FloatMode: 240
; IeeeMode: 1
; LDSByteSize: 0 bytes/workgroup (compile time only)
; SGPRBlocks: 0
; VGPRBlocks: 0
; NumSGPRsForWavesPerEU: 4
; NumVGPRsForWavesPerEU: 1
; AccumOffset: 4
; Occupancy: 8
; WaveLimiterHint : 0
; COMPUTE_PGM_RSRC2:SCRATCH_EN: 0
; COMPUTE_PGM_RSRC2:USER_SGPR: 6
; COMPUTE_PGM_RSRC2:TRAP_HANDLER: 0
; COMPUTE_PGM_RSRC2:TGID_X_EN: 1
; COMPUTE_PGM_RSRC2:TGID_Y_EN: 0
; COMPUTE_PGM_RSRC2:TGID_Z_EN: 0
; COMPUTE_PGM_RSRC2:TIDIG_COMP_CNT: 0
; COMPUTE_PGM_RSRC3_GFX90A:ACCUM_OFFSET: 0
; COMPUTE_PGM_RSRC3_GFX90A:TG_SPLIT: 0
	.section	.text._ZN7rocprim17ROCPRIM_400000_NS6detail17trampoline_kernelINS0_14default_configENS1_38merge_sort_block_merge_config_selectorIlNS0_10empty_typeEEEZZNS1_27merge_sort_block_merge_implIS3_PlPS5_mZN2at6native12_GLOBAL__N_124unique_dim_cuda_templateIhEESt5tupleIJNSA_6TensorESF_SF_EERKSF_lbbbEUlllE_EE10hipError_tT0_T1_T2_jT3_P12ihipStream_tbPNSt15iterator_traitsISL_E10value_typeEPNSR_ISM_E10value_typeEPSN_NS1_7vsmem_tEENKUlT_SL_SM_SN_E_clIS8_S8_S9_S9_EESK_S10_SL_SM_SN_EUlS10_E0_NS1_11comp_targetILNS1_3genE2ELNS1_11target_archE906ELNS1_3gpuE6ELNS1_3repE0EEENS1_38merge_mergepath_config_static_selectorELNS0_4arch9wavefront6targetE1EEEvSM_,"axG",@progbits,_ZN7rocprim17ROCPRIM_400000_NS6detail17trampoline_kernelINS0_14default_configENS1_38merge_sort_block_merge_config_selectorIlNS0_10empty_typeEEEZZNS1_27merge_sort_block_merge_implIS3_PlPS5_mZN2at6native12_GLOBAL__N_124unique_dim_cuda_templateIhEESt5tupleIJNSA_6TensorESF_SF_EERKSF_lbbbEUlllE_EE10hipError_tT0_T1_T2_jT3_P12ihipStream_tbPNSt15iterator_traitsISL_E10value_typeEPNSR_ISM_E10value_typeEPSN_NS1_7vsmem_tEENKUlT_SL_SM_SN_E_clIS8_S8_S9_S9_EESK_S10_SL_SM_SN_EUlS10_E0_NS1_11comp_targetILNS1_3genE2ELNS1_11target_archE906ELNS1_3gpuE6ELNS1_3repE0EEENS1_38merge_mergepath_config_static_selectorELNS0_4arch9wavefront6targetE1EEEvSM_,comdat
	.globl	_ZN7rocprim17ROCPRIM_400000_NS6detail17trampoline_kernelINS0_14default_configENS1_38merge_sort_block_merge_config_selectorIlNS0_10empty_typeEEEZZNS1_27merge_sort_block_merge_implIS3_PlPS5_mZN2at6native12_GLOBAL__N_124unique_dim_cuda_templateIhEESt5tupleIJNSA_6TensorESF_SF_EERKSF_lbbbEUlllE_EE10hipError_tT0_T1_T2_jT3_P12ihipStream_tbPNSt15iterator_traitsISL_E10value_typeEPNSR_ISM_E10value_typeEPSN_NS1_7vsmem_tEENKUlT_SL_SM_SN_E_clIS8_S8_S9_S9_EESK_S10_SL_SM_SN_EUlS10_E0_NS1_11comp_targetILNS1_3genE2ELNS1_11target_archE906ELNS1_3gpuE6ELNS1_3repE0EEENS1_38merge_mergepath_config_static_selectorELNS0_4arch9wavefront6targetE1EEEvSM_ ; -- Begin function _ZN7rocprim17ROCPRIM_400000_NS6detail17trampoline_kernelINS0_14default_configENS1_38merge_sort_block_merge_config_selectorIlNS0_10empty_typeEEEZZNS1_27merge_sort_block_merge_implIS3_PlPS5_mZN2at6native12_GLOBAL__N_124unique_dim_cuda_templateIhEESt5tupleIJNSA_6TensorESF_SF_EERKSF_lbbbEUlllE_EE10hipError_tT0_T1_T2_jT3_P12ihipStream_tbPNSt15iterator_traitsISL_E10value_typeEPNSR_ISM_E10value_typeEPSN_NS1_7vsmem_tEENKUlT_SL_SM_SN_E_clIS8_S8_S9_S9_EESK_S10_SL_SM_SN_EUlS10_E0_NS1_11comp_targetILNS1_3genE2ELNS1_11target_archE906ELNS1_3gpuE6ELNS1_3repE0EEENS1_38merge_mergepath_config_static_selectorELNS0_4arch9wavefront6targetE1EEEvSM_
	.p2align	8
	.type	_ZN7rocprim17ROCPRIM_400000_NS6detail17trampoline_kernelINS0_14default_configENS1_38merge_sort_block_merge_config_selectorIlNS0_10empty_typeEEEZZNS1_27merge_sort_block_merge_implIS3_PlPS5_mZN2at6native12_GLOBAL__N_124unique_dim_cuda_templateIhEESt5tupleIJNSA_6TensorESF_SF_EERKSF_lbbbEUlllE_EE10hipError_tT0_T1_T2_jT3_P12ihipStream_tbPNSt15iterator_traitsISL_E10value_typeEPNSR_ISM_E10value_typeEPSN_NS1_7vsmem_tEENKUlT_SL_SM_SN_E_clIS8_S8_S9_S9_EESK_S10_SL_SM_SN_EUlS10_E0_NS1_11comp_targetILNS1_3genE2ELNS1_11target_archE906ELNS1_3gpuE6ELNS1_3repE0EEENS1_38merge_mergepath_config_static_selectorELNS0_4arch9wavefront6targetE1EEEvSM_,@function
_ZN7rocprim17ROCPRIM_400000_NS6detail17trampoline_kernelINS0_14default_configENS1_38merge_sort_block_merge_config_selectorIlNS0_10empty_typeEEEZZNS1_27merge_sort_block_merge_implIS3_PlPS5_mZN2at6native12_GLOBAL__N_124unique_dim_cuda_templateIhEESt5tupleIJNSA_6TensorESF_SF_EERKSF_lbbbEUlllE_EE10hipError_tT0_T1_T2_jT3_P12ihipStream_tbPNSt15iterator_traitsISL_E10value_typeEPNSR_ISM_E10value_typeEPSN_NS1_7vsmem_tEENKUlT_SL_SM_SN_E_clIS8_S8_S9_S9_EESK_S10_SL_SM_SN_EUlS10_E0_NS1_11comp_targetILNS1_3genE2ELNS1_11target_archE906ELNS1_3gpuE6ELNS1_3repE0EEENS1_38merge_mergepath_config_static_selectorELNS0_4arch9wavefront6targetE1EEEvSM_: ; @_ZN7rocprim17ROCPRIM_400000_NS6detail17trampoline_kernelINS0_14default_configENS1_38merge_sort_block_merge_config_selectorIlNS0_10empty_typeEEEZZNS1_27merge_sort_block_merge_implIS3_PlPS5_mZN2at6native12_GLOBAL__N_124unique_dim_cuda_templateIhEESt5tupleIJNSA_6TensorESF_SF_EERKSF_lbbbEUlllE_EE10hipError_tT0_T1_T2_jT3_P12ihipStream_tbPNSt15iterator_traitsISL_E10value_typeEPNSR_ISM_E10value_typeEPSN_NS1_7vsmem_tEENKUlT_SL_SM_SN_E_clIS8_S8_S9_S9_EESK_S10_SL_SM_SN_EUlS10_E0_NS1_11comp_targetILNS1_3genE2ELNS1_11target_archE906ELNS1_3gpuE6ELNS1_3repE0EEENS1_38merge_mergepath_config_static_selectorELNS0_4arch9wavefront6targetE1EEEvSM_
; %bb.0:
	.section	.rodata,"a",@progbits
	.p2align	6, 0x0
	.amdhsa_kernel _ZN7rocprim17ROCPRIM_400000_NS6detail17trampoline_kernelINS0_14default_configENS1_38merge_sort_block_merge_config_selectorIlNS0_10empty_typeEEEZZNS1_27merge_sort_block_merge_implIS3_PlPS5_mZN2at6native12_GLOBAL__N_124unique_dim_cuda_templateIhEESt5tupleIJNSA_6TensorESF_SF_EERKSF_lbbbEUlllE_EE10hipError_tT0_T1_T2_jT3_P12ihipStream_tbPNSt15iterator_traitsISL_E10value_typeEPNSR_ISM_E10value_typeEPSN_NS1_7vsmem_tEENKUlT_SL_SM_SN_E_clIS8_S8_S9_S9_EESK_S10_SL_SM_SN_EUlS10_E0_NS1_11comp_targetILNS1_3genE2ELNS1_11target_archE906ELNS1_3gpuE6ELNS1_3repE0EEENS1_38merge_mergepath_config_static_selectorELNS0_4arch9wavefront6targetE1EEEvSM_
		.amdhsa_group_segment_fixed_size 0
		.amdhsa_private_segment_fixed_size 0
		.amdhsa_kernarg_size 88
		.amdhsa_user_sgpr_count 6
		.amdhsa_user_sgpr_private_segment_buffer 1
		.amdhsa_user_sgpr_dispatch_ptr 0
		.amdhsa_user_sgpr_queue_ptr 0
		.amdhsa_user_sgpr_kernarg_segment_ptr 1
		.amdhsa_user_sgpr_dispatch_id 0
		.amdhsa_user_sgpr_flat_scratch_init 0
		.amdhsa_user_sgpr_kernarg_preload_length 0
		.amdhsa_user_sgpr_kernarg_preload_offset 0
		.amdhsa_user_sgpr_private_segment_size 0
		.amdhsa_uses_dynamic_stack 0
		.amdhsa_system_sgpr_private_segment_wavefront_offset 0
		.amdhsa_system_sgpr_workgroup_id_x 1
		.amdhsa_system_sgpr_workgroup_id_y 0
		.amdhsa_system_sgpr_workgroup_id_z 0
		.amdhsa_system_sgpr_workgroup_info 0
		.amdhsa_system_vgpr_workitem_id 0
		.amdhsa_next_free_vgpr 1
		.amdhsa_next_free_sgpr 0
		.amdhsa_accum_offset 4
		.amdhsa_reserve_vcc 0
		.amdhsa_reserve_flat_scratch 0
		.amdhsa_float_round_mode_32 0
		.amdhsa_float_round_mode_16_64 0
		.amdhsa_float_denorm_mode_32 3
		.amdhsa_float_denorm_mode_16_64 3
		.amdhsa_dx10_clamp 1
		.amdhsa_ieee_mode 1
		.amdhsa_fp16_overflow 0
		.amdhsa_tg_split 0
		.amdhsa_exception_fp_ieee_invalid_op 0
		.amdhsa_exception_fp_denorm_src 0
		.amdhsa_exception_fp_ieee_div_zero 0
		.amdhsa_exception_fp_ieee_overflow 0
		.amdhsa_exception_fp_ieee_underflow 0
		.amdhsa_exception_fp_ieee_inexact 0
		.amdhsa_exception_int_div_zero 0
	.end_amdhsa_kernel
	.section	.text._ZN7rocprim17ROCPRIM_400000_NS6detail17trampoline_kernelINS0_14default_configENS1_38merge_sort_block_merge_config_selectorIlNS0_10empty_typeEEEZZNS1_27merge_sort_block_merge_implIS3_PlPS5_mZN2at6native12_GLOBAL__N_124unique_dim_cuda_templateIhEESt5tupleIJNSA_6TensorESF_SF_EERKSF_lbbbEUlllE_EE10hipError_tT0_T1_T2_jT3_P12ihipStream_tbPNSt15iterator_traitsISL_E10value_typeEPNSR_ISM_E10value_typeEPSN_NS1_7vsmem_tEENKUlT_SL_SM_SN_E_clIS8_S8_S9_S9_EESK_S10_SL_SM_SN_EUlS10_E0_NS1_11comp_targetILNS1_3genE2ELNS1_11target_archE906ELNS1_3gpuE6ELNS1_3repE0EEENS1_38merge_mergepath_config_static_selectorELNS0_4arch9wavefront6targetE1EEEvSM_,"axG",@progbits,_ZN7rocprim17ROCPRIM_400000_NS6detail17trampoline_kernelINS0_14default_configENS1_38merge_sort_block_merge_config_selectorIlNS0_10empty_typeEEEZZNS1_27merge_sort_block_merge_implIS3_PlPS5_mZN2at6native12_GLOBAL__N_124unique_dim_cuda_templateIhEESt5tupleIJNSA_6TensorESF_SF_EERKSF_lbbbEUlllE_EE10hipError_tT0_T1_T2_jT3_P12ihipStream_tbPNSt15iterator_traitsISL_E10value_typeEPNSR_ISM_E10value_typeEPSN_NS1_7vsmem_tEENKUlT_SL_SM_SN_E_clIS8_S8_S9_S9_EESK_S10_SL_SM_SN_EUlS10_E0_NS1_11comp_targetILNS1_3genE2ELNS1_11target_archE906ELNS1_3gpuE6ELNS1_3repE0EEENS1_38merge_mergepath_config_static_selectorELNS0_4arch9wavefront6targetE1EEEvSM_,comdat
.Lfunc_end31:
	.size	_ZN7rocprim17ROCPRIM_400000_NS6detail17trampoline_kernelINS0_14default_configENS1_38merge_sort_block_merge_config_selectorIlNS0_10empty_typeEEEZZNS1_27merge_sort_block_merge_implIS3_PlPS5_mZN2at6native12_GLOBAL__N_124unique_dim_cuda_templateIhEESt5tupleIJNSA_6TensorESF_SF_EERKSF_lbbbEUlllE_EE10hipError_tT0_T1_T2_jT3_P12ihipStream_tbPNSt15iterator_traitsISL_E10value_typeEPNSR_ISM_E10value_typeEPSN_NS1_7vsmem_tEENKUlT_SL_SM_SN_E_clIS8_S8_S9_S9_EESK_S10_SL_SM_SN_EUlS10_E0_NS1_11comp_targetILNS1_3genE2ELNS1_11target_archE906ELNS1_3gpuE6ELNS1_3repE0EEENS1_38merge_mergepath_config_static_selectorELNS0_4arch9wavefront6targetE1EEEvSM_, .Lfunc_end31-_ZN7rocprim17ROCPRIM_400000_NS6detail17trampoline_kernelINS0_14default_configENS1_38merge_sort_block_merge_config_selectorIlNS0_10empty_typeEEEZZNS1_27merge_sort_block_merge_implIS3_PlPS5_mZN2at6native12_GLOBAL__N_124unique_dim_cuda_templateIhEESt5tupleIJNSA_6TensorESF_SF_EERKSF_lbbbEUlllE_EE10hipError_tT0_T1_T2_jT3_P12ihipStream_tbPNSt15iterator_traitsISL_E10value_typeEPNSR_ISM_E10value_typeEPSN_NS1_7vsmem_tEENKUlT_SL_SM_SN_E_clIS8_S8_S9_S9_EESK_S10_SL_SM_SN_EUlS10_E0_NS1_11comp_targetILNS1_3genE2ELNS1_11target_archE906ELNS1_3gpuE6ELNS1_3repE0EEENS1_38merge_mergepath_config_static_selectorELNS0_4arch9wavefront6targetE1EEEvSM_
                                        ; -- End function
	.section	.AMDGPU.csdata,"",@progbits
; Kernel info:
; codeLenInByte = 0
; NumSgprs: 4
; NumVgprs: 0
; NumAgprs: 0
; TotalNumVgprs: 0
; ScratchSize: 0
; MemoryBound: 0
; FloatMode: 240
; IeeeMode: 1
; LDSByteSize: 0 bytes/workgroup (compile time only)
; SGPRBlocks: 0
; VGPRBlocks: 0
; NumSGPRsForWavesPerEU: 4
; NumVGPRsForWavesPerEU: 1
; AccumOffset: 4
; Occupancy: 8
; WaveLimiterHint : 0
; COMPUTE_PGM_RSRC2:SCRATCH_EN: 0
; COMPUTE_PGM_RSRC2:USER_SGPR: 6
; COMPUTE_PGM_RSRC2:TRAP_HANDLER: 0
; COMPUTE_PGM_RSRC2:TGID_X_EN: 1
; COMPUTE_PGM_RSRC2:TGID_Y_EN: 0
; COMPUTE_PGM_RSRC2:TGID_Z_EN: 0
; COMPUTE_PGM_RSRC2:TIDIG_COMP_CNT: 0
; COMPUTE_PGM_RSRC3_GFX90A:ACCUM_OFFSET: 0
; COMPUTE_PGM_RSRC3_GFX90A:TG_SPLIT: 0
	.section	.text._ZN7rocprim17ROCPRIM_400000_NS6detail17trampoline_kernelINS0_14default_configENS1_38merge_sort_block_merge_config_selectorIlNS0_10empty_typeEEEZZNS1_27merge_sort_block_merge_implIS3_PlPS5_mZN2at6native12_GLOBAL__N_124unique_dim_cuda_templateIhEESt5tupleIJNSA_6TensorESF_SF_EERKSF_lbbbEUlllE_EE10hipError_tT0_T1_T2_jT3_P12ihipStream_tbPNSt15iterator_traitsISL_E10value_typeEPNSR_ISM_E10value_typeEPSN_NS1_7vsmem_tEENKUlT_SL_SM_SN_E_clIS8_S8_S9_S9_EESK_S10_SL_SM_SN_EUlS10_E0_NS1_11comp_targetILNS1_3genE9ELNS1_11target_archE1100ELNS1_3gpuE3ELNS1_3repE0EEENS1_38merge_mergepath_config_static_selectorELNS0_4arch9wavefront6targetE1EEEvSM_,"axG",@progbits,_ZN7rocprim17ROCPRIM_400000_NS6detail17trampoline_kernelINS0_14default_configENS1_38merge_sort_block_merge_config_selectorIlNS0_10empty_typeEEEZZNS1_27merge_sort_block_merge_implIS3_PlPS5_mZN2at6native12_GLOBAL__N_124unique_dim_cuda_templateIhEESt5tupleIJNSA_6TensorESF_SF_EERKSF_lbbbEUlllE_EE10hipError_tT0_T1_T2_jT3_P12ihipStream_tbPNSt15iterator_traitsISL_E10value_typeEPNSR_ISM_E10value_typeEPSN_NS1_7vsmem_tEENKUlT_SL_SM_SN_E_clIS8_S8_S9_S9_EESK_S10_SL_SM_SN_EUlS10_E0_NS1_11comp_targetILNS1_3genE9ELNS1_11target_archE1100ELNS1_3gpuE3ELNS1_3repE0EEENS1_38merge_mergepath_config_static_selectorELNS0_4arch9wavefront6targetE1EEEvSM_,comdat
	.globl	_ZN7rocprim17ROCPRIM_400000_NS6detail17trampoline_kernelINS0_14default_configENS1_38merge_sort_block_merge_config_selectorIlNS0_10empty_typeEEEZZNS1_27merge_sort_block_merge_implIS3_PlPS5_mZN2at6native12_GLOBAL__N_124unique_dim_cuda_templateIhEESt5tupleIJNSA_6TensorESF_SF_EERKSF_lbbbEUlllE_EE10hipError_tT0_T1_T2_jT3_P12ihipStream_tbPNSt15iterator_traitsISL_E10value_typeEPNSR_ISM_E10value_typeEPSN_NS1_7vsmem_tEENKUlT_SL_SM_SN_E_clIS8_S8_S9_S9_EESK_S10_SL_SM_SN_EUlS10_E0_NS1_11comp_targetILNS1_3genE9ELNS1_11target_archE1100ELNS1_3gpuE3ELNS1_3repE0EEENS1_38merge_mergepath_config_static_selectorELNS0_4arch9wavefront6targetE1EEEvSM_ ; -- Begin function _ZN7rocprim17ROCPRIM_400000_NS6detail17trampoline_kernelINS0_14default_configENS1_38merge_sort_block_merge_config_selectorIlNS0_10empty_typeEEEZZNS1_27merge_sort_block_merge_implIS3_PlPS5_mZN2at6native12_GLOBAL__N_124unique_dim_cuda_templateIhEESt5tupleIJNSA_6TensorESF_SF_EERKSF_lbbbEUlllE_EE10hipError_tT0_T1_T2_jT3_P12ihipStream_tbPNSt15iterator_traitsISL_E10value_typeEPNSR_ISM_E10value_typeEPSN_NS1_7vsmem_tEENKUlT_SL_SM_SN_E_clIS8_S8_S9_S9_EESK_S10_SL_SM_SN_EUlS10_E0_NS1_11comp_targetILNS1_3genE9ELNS1_11target_archE1100ELNS1_3gpuE3ELNS1_3repE0EEENS1_38merge_mergepath_config_static_selectorELNS0_4arch9wavefront6targetE1EEEvSM_
	.p2align	8
	.type	_ZN7rocprim17ROCPRIM_400000_NS6detail17trampoline_kernelINS0_14default_configENS1_38merge_sort_block_merge_config_selectorIlNS0_10empty_typeEEEZZNS1_27merge_sort_block_merge_implIS3_PlPS5_mZN2at6native12_GLOBAL__N_124unique_dim_cuda_templateIhEESt5tupleIJNSA_6TensorESF_SF_EERKSF_lbbbEUlllE_EE10hipError_tT0_T1_T2_jT3_P12ihipStream_tbPNSt15iterator_traitsISL_E10value_typeEPNSR_ISM_E10value_typeEPSN_NS1_7vsmem_tEENKUlT_SL_SM_SN_E_clIS8_S8_S9_S9_EESK_S10_SL_SM_SN_EUlS10_E0_NS1_11comp_targetILNS1_3genE9ELNS1_11target_archE1100ELNS1_3gpuE3ELNS1_3repE0EEENS1_38merge_mergepath_config_static_selectorELNS0_4arch9wavefront6targetE1EEEvSM_,@function
_ZN7rocprim17ROCPRIM_400000_NS6detail17trampoline_kernelINS0_14default_configENS1_38merge_sort_block_merge_config_selectorIlNS0_10empty_typeEEEZZNS1_27merge_sort_block_merge_implIS3_PlPS5_mZN2at6native12_GLOBAL__N_124unique_dim_cuda_templateIhEESt5tupleIJNSA_6TensorESF_SF_EERKSF_lbbbEUlllE_EE10hipError_tT0_T1_T2_jT3_P12ihipStream_tbPNSt15iterator_traitsISL_E10value_typeEPNSR_ISM_E10value_typeEPSN_NS1_7vsmem_tEENKUlT_SL_SM_SN_E_clIS8_S8_S9_S9_EESK_S10_SL_SM_SN_EUlS10_E0_NS1_11comp_targetILNS1_3genE9ELNS1_11target_archE1100ELNS1_3gpuE3ELNS1_3repE0EEENS1_38merge_mergepath_config_static_selectorELNS0_4arch9wavefront6targetE1EEEvSM_: ; @_ZN7rocprim17ROCPRIM_400000_NS6detail17trampoline_kernelINS0_14default_configENS1_38merge_sort_block_merge_config_selectorIlNS0_10empty_typeEEEZZNS1_27merge_sort_block_merge_implIS3_PlPS5_mZN2at6native12_GLOBAL__N_124unique_dim_cuda_templateIhEESt5tupleIJNSA_6TensorESF_SF_EERKSF_lbbbEUlllE_EE10hipError_tT0_T1_T2_jT3_P12ihipStream_tbPNSt15iterator_traitsISL_E10value_typeEPNSR_ISM_E10value_typeEPSN_NS1_7vsmem_tEENKUlT_SL_SM_SN_E_clIS8_S8_S9_S9_EESK_S10_SL_SM_SN_EUlS10_E0_NS1_11comp_targetILNS1_3genE9ELNS1_11target_archE1100ELNS1_3gpuE3ELNS1_3repE0EEENS1_38merge_mergepath_config_static_selectorELNS0_4arch9wavefront6targetE1EEEvSM_
; %bb.0:
	.section	.rodata,"a",@progbits
	.p2align	6, 0x0
	.amdhsa_kernel _ZN7rocprim17ROCPRIM_400000_NS6detail17trampoline_kernelINS0_14default_configENS1_38merge_sort_block_merge_config_selectorIlNS0_10empty_typeEEEZZNS1_27merge_sort_block_merge_implIS3_PlPS5_mZN2at6native12_GLOBAL__N_124unique_dim_cuda_templateIhEESt5tupleIJNSA_6TensorESF_SF_EERKSF_lbbbEUlllE_EE10hipError_tT0_T1_T2_jT3_P12ihipStream_tbPNSt15iterator_traitsISL_E10value_typeEPNSR_ISM_E10value_typeEPSN_NS1_7vsmem_tEENKUlT_SL_SM_SN_E_clIS8_S8_S9_S9_EESK_S10_SL_SM_SN_EUlS10_E0_NS1_11comp_targetILNS1_3genE9ELNS1_11target_archE1100ELNS1_3gpuE3ELNS1_3repE0EEENS1_38merge_mergepath_config_static_selectorELNS0_4arch9wavefront6targetE1EEEvSM_
		.amdhsa_group_segment_fixed_size 0
		.amdhsa_private_segment_fixed_size 0
		.amdhsa_kernarg_size 88
		.amdhsa_user_sgpr_count 6
		.amdhsa_user_sgpr_private_segment_buffer 1
		.amdhsa_user_sgpr_dispatch_ptr 0
		.amdhsa_user_sgpr_queue_ptr 0
		.amdhsa_user_sgpr_kernarg_segment_ptr 1
		.amdhsa_user_sgpr_dispatch_id 0
		.amdhsa_user_sgpr_flat_scratch_init 0
		.amdhsa_user_sgpr_kernarg_preload_length 0
		.amdhsa_user_sgpr_kernarg_preload_offset 0
		.amdhsa_user_sgpr_private_segment_size 0
		.amdhsa_uses_dynamic_stack 0
		.amdhsa_system_sgpr_private_segment_wavefront_offset 0
		.amdhsa_system_sgpr_workgroup_id_x 1
		.amdhsa_system_sgpr_workgroup_id_y 0
		.amdhsa_system_sgpr_workgroup_id_z 0
		.amdhsa_system_sgpr_workgroup_info 0
		.amdhsa_system_vgpr_workitem_id 0
		.amdhsa_next_free_vgpr 1
		.amdhsa_next_free_sgpr 0
		.amdhsa_accum_offset 4
		.amdhsa_reserve_vcc 0
		.amdhsa_reserve_flat_scratch 0
		.amdhsa_float_round_mode_32 0
		.amdhsa_float_round_mode_16_64 0
		.amdhsa_float_denorm_mode_32 3
		.amdhsa_float_denorm_mode_16_64 3
		.amdhsa_dx10_clamp 1
		.amdhsa_ieee_mode 1
		.amdhsa_fp16_overflow 0
		.amdhsa_tg_split 0
		.amdhsa_exception_fp_ieee_invalid_op 0
		.amdhsa_exception_fp_denorm_src 0
		.amdhsa_exception_fp_ieee_div_zero 0
		.amdhsa_exception_fp_ieee_overflow 0
		.amdhsa_exception_fp_ieee_underflow 0
		.amdhsa_exception_fp_ieee_inexact 0
		.amdhsa_exception_int_div_zero 0
	.end_amdhsa_kernel
	.section	.text._ZN7rocprim17ROCPRIM_400000_NS6detail17trampoline_kernelINS0_14default_configENS1_38merge_sort_block_merge_config_selectorIlNS0_10empty_typeEEEZZNS1_27merge_sort_block_merge_implIS3_PlPS5_mZN2at6native12_GLOBAL__N_124unique_dim_cuda_templateIhEESt5tupleIJNSA_6TensorESF_SF_EERKSF_lbbbEUlllE_EE10hipError_tT0_T1_T2_jT3_P12ihipStream_tbPNSt15iterator_traitsISL_E10value_typeEPNSR_ISM_E10value_typeEPSN_NS1_7vsmem_tEENKUlT_SL_SM_SN_E_clIS8_S8_S9_S9_EESK_S10_SL_SM_SN_EUlS10_E0_NS1_11comp_targetILNS1_3genE9ELNS1_11target_archE1100ELNS1_3gpuE3ELNS1_3repE0EEENS1_38merge_mergepath_config_static_selectorELNS0_4arch9wavefront6targetE1EEEvSM_,"axG",@progbits,_ZN7rocprim17ROCPRIM_400000_NS6detail17trampoline_kernelINS0_14default_configENS1_38merge_sort_block_merge_config_selectorIlNS0_10empty_typeEEEZZNS1_27merge_sort_block_merge_implIS3_PlPS5_mZN2at6native12_GLOBAL__N_124unique_dim_cuda_templateIhEESt5tupleIJNSA_6TensorESF_SF_EERKSF_lbbbEUlllE_EE10hipError_tT0_T1_T2_jT3_P12ihipStream_tbPNSt15iterator_traitsISL_E10value_typeEPNSR_ISM_E10value_typeEPSN_NS1_7vsmem_tEENKUlT_SL_SM_SN_E_clIS8_S8_S9_S9_EESK_S10_SL_SM_SN_EUlS10_E0_NS1_11comp_targetILNS1_3genE9ELNS1_11target_archE1100ELNS1_3gpuE3ELNS1_3repE0EEENS1_38merge_mergepath_config_static_selectorELNS0_4arch9wavefront6targetE1EEEvSM_,comdat
.Lfunc_end32:
	.size	_ZN7rocprim17ROCPRIM_400000_NS6detail17trampoline_kernelINS0_14default_configENS1_38merge_sort_block_merge_config_selectorIlNS0_10empty_typeEEEZZNS1_27merge_sort_block_merge_implIS3_PlPS5_mZN2at6native12_GLOBAL__N_124unique_dim_cuda_templateIhEESt5tupleIJNSA_6TensorESF_SF_EERKSF_lbbbEUlllE_EE10hipError_tT0_T1_T2_jT3_P12ihipStream_tbPNSt15iterator_traitsISL_E10value_typeEPNSR_ISM_E10value_typeEPSN_NS1_7vsmem_tEENKUlT_SL_SM_SN_E_clIS8_S8_S9_S9_EESK_S10_SL_SM_SN_EUlS10_E0_NS1_11comp_targetILNS1_3genE9ELNS1_11target_archE1100ELNS1_3gpuE3ELNS1_3repE0EEENS1_38merge_mergepath_config_static_selectorELNS0_4arch9wavefront6targetE1EEEvSM_, .Lfunc_end32-_ZN7rocprim17ROCPRIM_400000_NS6detail17trampoline_kernelINS0_14default_configENS1_38merge_sort_block_merge_config_selectorIlNS0_10empty_typeEEEZZNS1_27merge_sort_block_merge_implIS3_PlPS5_mZN2at6native12_GLOBAL__N_124unique_dim_cuda_templateIhEESt5tupleIJNSA_6TensorESF_SF_EERKSF_lbbbEUlllE_EE10hipError_tT0_T1_T2_jT3_P12ihipStream_tbPNSt15iterator_traitsISL_E10value_typeEPNSR_ISM_E10value_typeEPSN_NS1_7vsmem_tEENKUlT_SL_SM_SN_E_clIS8_S8_S9_S9_EESK_S10_SL_SM_SN_EUlS10_E0_NS1_11comp_targetILNS1_3genE9ELNS1_11target_archE1100ELNS1_3gpuE3ELNS1_3repE0EEENS1_38merge_mergepath_config_static_selectorELNS0_4arch9wavefront6targetE1EEEvSM_
                                        ; -- End function
	.section	.AMDGPU.csdata,"",@progbits
; Kernel info:
; codeLenInByte = 0
; NumSgprs: 4
; NumVgprs: 0
; NumAgprs: 0
; TotalNumVgprs: 0
; ScratchSize: 0
; MemoryBound: 0
; FloatMode: 240
; IeeeMode: 1
; LDSByteSize: 0 bytes/workgroup (compile time only)
; SGPRBlocks: 0
; VGPRBlocks: 0
; NumSGPRsForWavesPerEU: 4
; NumVGPRsForWavesPerEU: 1
; AccumOffset: 4
; Occupancy: 8
; WaveLimiterHint : 0
; COMPUTE_PGM_RSRC2:SCRATCH_EN: 0
; COMPUTE_PGM_RSRC2:USER_SGPR: 6
; COMPUTE_PGM_RSRC2:TRAP_HANDLER: 0
; COMPUTE_PGM_RSRC2:TGID_X_EN: 1
; COMPUTE_PGM_RSRC2:TGID_Y_EN: 0
; COMPUTE_PGM_RSRC2:TGID_Z_EN: 0
; COMPUTE_PGM_RSRC2:TIDIG_COMP_CNT: 0
; COMPUTE_PGM_RSRC3_GFX90A:ACCUM_OFFSET: 0
; COMPUTE_PGM_RSRC3_GFX90A:TG_SPLIT: 0
	.section	.text._ZN7rocprim17ROCPRIM_400000_NS6detail17trampoline_kernelINS0_14default_configENS1_38merge_sort_block_merge_config_selectorIlNS0_10empty_typeEEEZZNS1_27merge_sort_block_merge_implIS3_PlPS5_mZN2at6native12_GLOBAL__N_124unique_dim_cuda_templateIhEESt5tupleIJNSA_6TensorESF_SF_EERKSF_lbbbEUlllE_EE10hipError_tT0_T1_T2_jT3_P12ihipStream_tbPNSt15iterator_traitsISL_E10value_typeEPNSR_ISM_E10value_typeEPSN_NS1_7vsmem_tEENKUlT_SL_SM_SN_E_clIS8_S8_S9_S9_EESK_S10_SL_SM_SN_EUlS10_E0_NS1_11comp_targetILNS1_3genE8ELNS1_11target_archE1030ELNS1_3gpuE2ELNS1_3repE0EEENS1_38merge_mergepath_config_static_selectorELNS0_4arch9wavefront6targetE1EEEvSM_,"axG",@progbits,_ZN7rocprim17ROCPRIM_400000_NS6detail17trampoline_kernelINS0_14default_configENS1_38merge_sort_block_merge_config_selectorIlNS0_10empty_typeEEEZZNS1_27merge_sort_block_merge_implIS3_PlPS5_mZN2at6native12_GLOBAL__N_124unique_dim_cuda_templateIhEESt5tupleIJNSA_6TensorESF_SF_EERKSF_lbbbEUlllE_EE10hipError_tT0_T1_T2_jT3_P12ihipStream_tbPNSt15iterator_traitsISL_E10value_typeEPNSR_ISM_E10value_typeEPSN_NS1_7vsmem_tEENKUlT_SL_SM_SN_E_clIS8_S8_S9_S9_EESK_S10_SL_SM_SN_EUlS10_E0_NS1_11comp_targetILNS1_3genE8ELNS1_11target_archE1030ELNS1_3gpuE2ELNS1_3repE0EEENS1_38merge_mergepath_config_static_selectorELNS0_4arch9wavefront6targetE1EEEvSM_,comdat
	.globl	_ZN7rocprim17ROCPRIM_400000_NS6detail17trampoline_kernelINS0_14default_configENS1_38merge_sort_block_merge_config_selectorIlNS0_10empty_typeEEEZZNS1_27merge_sort_block_merge_implIS3_PlPS5_mZN2at6native12_GLOBAL__N_124unique_dim_cuda_templateIhEESt5tupleIJNSA_6TensorESF_SF_EERKSF_lbbbEUlllE_EE10hipError_tT0_T1_T2_jT3_P12ihipStream_tbPNSt15iterator_traitsISL_E10value_typeEPNSR_ISM_E10value_typeEPSN_NS1_7vsmem_tEENKUlT_SL_SM_SN_E_clIS8_S8_S9_S9_EESK_S10_SL_SM_SN_EUlS10_E0_NS1_11comp_targetILNS1_3genE8ELNS1_11target_archE1030ELNS1_3gpuE2ELNS1_3repE0EEENS1_38merge_mergepath_config_static_selectorELNS0_4arch9wavefront6targetE1EEEvSM_ ; -- Begin function _ZN7rocprim17ROCPRIM_400000_NS6detail17trampoline_kernelINS0_14default_configENS1_38merge_sort_block_merge_config_selectorIlNS0_10empty_typeEEEZZNS1_27merge_sort_block_merge_implIS3_PlPS5_mZN2at6native12_GLOBAL__N_124unique_dim_cuda_templateIhEESt5tupleIJNSA_6TensorESF_SF_EERKSF_lbbbEUlllE_EE10hipError_tT0_T1_T2_jT3_P12ihipStream_tbPNSt15iterator_traitsISL_E10value_typeEPNSR_ISM_E10value_typeEPSN_NS1_7vsmem_tEENKUlT_SL_SM_SN_E_clIS8_S8_S9_S9_EESK_S10_SL_SM_SN_EUlS10_E0_NS1_11comp_targetILNS1_3genE8ELNS1_11target_archE1030ELNS1_3gpuE2ELNS1_3repE0EEENS1_38merge_mergepath_config_static_selectorELNS0_4arch9wavefront6targetE1EEEvSM_
	.p2align	8
	.type	_ZN7rocprim17ROCPRIM_400000_NS6detail17trampoline_kernelINS0_14default_configENS1_38merge_sort_block_merge_config_selectorIlNS0_10empty_typeEEEZZNS1_27merge_sort_block_merge_implIS3_PlPS5_mZN2at6native12_GLOBAL__N_124unique_dim_cuda_templateIhEESt5tupleIJNSA_6TensorESF_SF_EERKSF_lbbbEUlllE_EE10hipError_tT0_T1_T2_jT3_P12ihipStream_tbPNSt15iterator_traitsISL_E10value_typeEPNSR_ISM_E10value_typeEPSN_NS1_7vsmem_tEENKUlT_SL_SM_SN_E_clIS8_S8_S9_S9_EESK_S10_SL_SM_SN_EUlS10_E0_NS1_11comp_targetILNS1_3genE8ELNS1_11target_archE1030ELNS1_3gpuE2ELNS1_3repE0EEENS1_38merge_mergepath_config_static_selectorELNS0_4arch9wavefront6targetE1EEEvSM_,@function
_ZN7rocprim17ROCPRIM_400000_NS6detail17trampoline_kernelINS0_14default_configENS1_38merge_sort_block_merge_config_selectorIlNS0_10empty_typeEEEZZNS1_27merge_sort_block_merge_implIS3_PlPS5_mZN2at6native12_GLOBAL__N_124unique_dim_cuda_templateIhEESt5tupleIJNSA_6TensorESF_SF_EERKSF_lbbbEUlllE_EE10hipError_tT0_T1_T2_jT3_P12ihipStream_tbPNSt15iterator_traitsISL_E10value_typeEPNSR_ISM_E10value_typeEPSN_NS1_7vsmem_tEENKUlT_SL_SM_SN_E_clIS8_S8_S9_S9_EESK_S10_SL_SM_SN_EUlS10_E0_NS1_11comp_targetILNS1_3genE8ELNS1_11target_archE1030ELNS1_3gpuE2ELNS1_3repE0EEENS1_38merge_mergepath_config_static_selectorELNS0_4arch9wavefront6targetE1EEEvSM_: ; @_ZN7rocprim17ROCPRIM_400000_NS6detail17trampoline_kernelINS0_14default_configENS1_38merge_sort_block_merge_config_selectorIlNS0_10empty_typeEEEZZNS1_27merge_sort_block_merge_implIS3_PlPS5_mZN2at6native12_GLOBAL__N_124unique_dim_cuda_templateIhEESt5tupleIJNSA_6TensorESF_SF_EERKSF_lbbbEUlllE_EE10hipError_tT0_T1_T2_jT3_P12ihipStream_tbPNSt15iterator_traitsISL_E10value_typeEPNSR_ISM_E10value_typeEPSN_NS1_7vsmem_tEENKUlT_SL_SM_SN_E_clIS8_S8_S9_S9_EESK_S10_SL_SM_SN_EUlS10_E0_NS1_11comp_targetILNS1_3genE8ELNS1_11target_archE1030ELNS1_3gpuE2ELNS1_3repE0EEENS1_38merge_mergepath_config_static_selectorELNS0_4arch9wavefront6targetE1EEEvSM_
; %bb.0:
	.section	.rodata,"a",@progbits
	.p2align	6, 0x0
	.amdhsa_kernel _ZN7rocprim17ROCPRIM_400000_NS6detail17trampoline_kernelINS0_14default_configENS1_38merge_sort_block_merge_config_selectorIlNS0_10empty_typeEEEZZNS1_27merge_sort_block_merge_implIS3_PlPS5_mZN2at6native12_GLOBAL__N_124unique_dim_cuda_templateIhEESt5tupleIJNSA_6TensorESF_SF_EERKSF_lbbbEUlllE_EE10hipError_tT0_T1_T2_jT3_P12ihipStream_tbPNSt15iterator_traitsISL_E10value_typeEPNSR_ISM_E10value_typeEPSN_NS1_7vsmem_tEENKUlT_SL_SM_SN_E_clIS8_S8_S9_S9_EESK_S10_SL_SM_SN_EUlS10_E0_NS1_11comp_targetILNS1_3genE8ELNS1_11target_archE1030ELNS1_3gpuE2ELNS1_3repE0EEENS1_38merge_mergepath_config_static_selectorELNS0_4arch9wavefront6targetE1EEEvSM_
		.amdhsa_group_segment_fixed_size 0
		.amdhsa_private_segment_fixed_size 0
		.amdhsa_kernarg_size 88
		.amdhsa_user_sgpr_count 6
		.amdhsa_user_sgpr_private_segment_buffer 1
		.amdhsa_user_sgpr_dispatch_ptr 0
		.amdhsa_user_sgpr_queue_ptr 0
		.amdhsa_user_sgpr_kernarg_segment_ptr 1
		.amdhsa_user_sgpr_dispatch_id 0
		.amdhsa_user_sgpr_flat_scratch_init 0
		.amdhsa_user_sgpr_kernarg_preload_length 0
		.amdhsa_user_sgpr_kernarg_preload_offset 0
		.amdhsa_user_sgpr_private_segment_size 0
		.amdhsa_uses_dynamic_stack 0
		.amdhsa_system_sgpr_private_segment_wavefront_offset 0
		.amdhsa_system_sgpr_workgroup_id_x 1
		.amdhsa_system_sgpr_workgroup_id_y 0
		.amdhsa_system_sgpr_workgroup_id_z 0
		.amdhsa_system_sgpr_workgroup_info 0
		.amdhsa_system_vgpr_workitem_id 0
		.amdhsa_next_free_vgpr 1
		.amdhsa_next_free_sgpr 0
		.amdhsa_accum_offset 4
		.amdhsa_reserve_vcc 0
		.amdhsa_reserve_flat_scratch 0
		.amdhsa_float_round_mode_32 0
		.amdhsa_float_round_mode_16_64 0
		.amdhsa_float_denorm_mode_32 3
		.amdhsa_float_denorm_mode_16_64 3
		.amdhsa_dx10_clamp 1
		.amdhsa_ieee_mode 1
		.amdhsa_fp16_overflow 0
		.amdhsa_tg_split 0
		.amdhsa_exception_fp_ieee_invalid_op 0
		.amdhsa_exception_fp_denorm_src 0
		.amdhsa_exception_fp_ieee_div_zero 0
		.amdhsa_exception_fp_ieee_overflow 0
		.amdhsa_exception_fp_ieee_underflow 0
		.amdhsa_exception_fp_ieee_inexact 0
		.amdhsa_exception_int_div_zero 0
	.end_amdhsa_kernel
	.section	.text._ZN7rocprim17ROCPRIM_400000_NS6detail17trampoline_kernelINS0_14default_configENS1_38merge_sort_block_merge_config_selectorIlNS0_10empty_typeEEEZZNS1_27merge_sort_block_merge_implIS3_PlPS5_mZN2at6native12_GLOBAL__N_124unique_dim_cuda_templateIhEESt5tupleIJNSA_6TensorESF_SF_EERKSF_lbbbEUlllE_EE10hipError_tT0_T1_T2_jT3_P12ihipStream_tbPNSt15iterator_traitsISL_E10value_typeEPNSR_ISM_E10value_typeEPSN_NS1_7vsmem_tEENKUlT_SL_SM_SN_E_clIS8_S8_S9_S9_EESK_S10_SL_SM_SN_EUlS10_E0_NS1_11comp_targetILNS1_3genE8ELNS1_11target_archE1030ELNS1_3gpuE2ELNS1_3repE0EEENS1_38merge_mergepath_config_static_selectorELNS0_4arch9wavefront6targetE1EEEvSM_,"axG",@progbits,_ZN7rocprim17ROCPRIM_400000_NS6detail17trampoline_kernelINS0_14default_configENS1_38merge_sort_block_merge_config_selectorIlNS0_10empty_typeEEEZZNS1_27merge_sort_block_merge_implIS3_PlPS5_mZN2at6native12_GLOBAL__N_124unique_dim_cuda_templateIhEESt5tupleIJNSA_6TensorESF_SF_EERKSF_lbbbEUlllE_EE10hipError_tT0_T1_T2_jT3_P12ihipStream_tbPNSt15iterator_traitsISL_E10value_typeEPNSR_ISM_E10value_typeEPSN_NS1_7vsmem_tEENKUlT_SL_SM_SN_E_clIS8_S8_S9_S9_EESK_S10_SL_SM_SN_EUlS10_E0_NS1_11comp_targetILNS1_3genE8ELNS1_11target_archE1030ELNS1_3gpuE2ELNS1_3repE0EEENS1_38merge_mergepath_config_static_selectorELNS0_4arch9wavefront6targetE1EEEvSM_,comdat
.Lfunc_end33:
	.size	_ZN7rocprim17ROCPRIM_400000_NS6detail17trampoline_kernelINS0_14default_configENS1_38merge_sort_block_merge_config_selectorIlNS0_10empty_typeEEEZZNS1_27merge_sort_block_merge_implIS3_PlPS5_mZN2at6native12_GLOBAL__N_124unique_dim_cuda_templateIhEESt5tupleIJNSA_6TensorESF_SF_EERKSF_lbbbEUlllE_EE10hipError_tT0_T1_T2_jT3_P12ihipStream_tbPNSt15iterator_traitsISL_E10value_typeEPNSR_ISM_E10value_typeEPSN_NS1_7vsmem_tEENKUlT_SL_SM_SN_E_clIS8_S8_S9_S9_EESK_S10_SL_SM_SN_EUlS10_E0_NS1_11comp_targetILNS1_3genE8ELNS1_11target_archE1030ELNS1_3gpuE2ELNS1_3repE0EEENS1_38merge_mergepath_config_static_selectorELNS0_4arch9wavefront6targetE1EEEvSM_, .Lfunc_end33-_ZN7rocprim17ROCPRIM_400000_NS6detail17trampoline_kernelINS0_14default_configENS1_38merge_sort_block_merge_config_selectorIlNS0_10empty_typeEEEZZNS1_27merge_sort_block_merge_implIS3_PlPS5_mZN2at6native12_GLOBAL__N_124unique_dim_cuda_templateIhEESt5tupleIJNSA_6TensorESF_SF_EERKSF_lbbbEUlllE_EE10hipError_tT0_T1_T2_jT3_P12ihipStream_tbPNSt15iterator_traitsISL_E10value_typeEPNSR_ISM_E10value_typeEPSN_NS1_7vsmem_tEENKUlT_SL_SM_SN_E_clIS8_S8_S9_S9_EESK_S10_SL_SM_SN_EUlS10_E0_NS1_11comp_targetILNS1_3genE8ELNS1_11target_archE1030ELNS1_3gpuE2ELNS1_3repE0EEENS1_38merge_mergepath_config_static_selectorELNS0_4arch9wavefront6targetE1EEEvSM_
                                        ; -- End function
	.section	.AMDGPU.csdata,"",@progbits
; Kernel info:
; codeLenInByte = 0
; NumSgprs: 4
; NumVgprs: 0
; NumAgprs: 0
; TotalNumVgprs: 0
; ScratchSize: 0
; MemoryBound: 0
; FloatMode: 240
; IeeeMode: 1
; LDSByteSize: 0 bytes/workgroup (compile time only)
; SGPRBlocks: 0
; VGPRBlocks: 0
; NumSGPRsForWavesPerEU: 4
; NumVGPRsForWavesPerEU: 1
; AccumOffset: 4
; Occupancy: 8
; WaveLimiterHint : 0
; COMPUTE_PGM_RSRC2:SCRATCH_EN: 0
; COMPUTE_PGM_RSRC2:USER_SGPR: 6
; COMPUTE_PGM_RSRC2:TRAP_HANDLER: 0
; COMPUTE_PGM_RSRC2:TGID_X_EN: 1
; COMPUTE_PGM_RSRC2:TGID_Y_EN: 0
; COMPUTE_PGM_RSRC2:TGID_Z_EN: 0
; COMPUTE_PGM_RSRC2:TIDIG_COMP_CNT: 0
; COMPUTE_PGM_RSRC3_GFX90A:ACCUM_OFFSET: 0
; COMPUTE_PGM_RSRC3_GFX90A:TG_SPLIT: 0
	.section	.text._ZN7rocprim17ROCPRIM_400000_NS6detail17trampoline_kernelINS0_14default_configENS1_38merge_sort_block_merge_config_selectorIlNS0_10empty_typeEEEZZNS1_27merge_sort_block_merge_implIS3_PlPS5_mZN2at6native12_GLOBAL__N_124unique_dim_cuda_templateIhEESt5tupleIJNSA_6TensorESF_SF_EERKSF_lbbbEUlllE_EE10hipError_tT0_T1_T2_jT3_P12ihipStream_tbPNSt15iterator_traitsISL_E10value_typeEPNSR_ISM_E10value_typeEPSN_NS1_7vsmem_tEENKUlT_SL_SM_SN_E_clIS8_S8_S9_S9_EESK_S10_SL_SM_SN_EUlS10_E1_NS1_11comp_targetILNS1_3genE0ELNS1_11target_archE4294967295ELNS1_3gpuE0ELNS1_3repE0EEENS1_36merge_oddeven_config_static_selectorELNS0_4arch9wavefront6targetE1EEEvSM_,"axG",@progbits,_ZN7rocprim17ROCPRIM_400000_NS6detail17trampoline_kernelINS0_14default_configENS1_38merge_sort_block_merge_config_selectorIlNS0_10empty_typeEEEZZNS1_27merge_sort_block_merge_implIS3_PlPS5_mZN2at6native12_GLOBAL__N_124unique_dim_cuda_templateIhEESt5tupleIJNSA_6TensorESF_SF_EERKSF_lbbbEUlllE_EE10hipError_tT0_T1_T2_jT3_P12ihipStream_tbPNSt15iterator_traitsISL_E10value_typeEPNSR_ISM_E10value_typeEPSN_NS1_7vsmem_tEENKUlT_SL_SM_SN_E_clIS8_S8_S9_S9_EESK_S10_SL_SM_SN_EUlS10_E1_NS1_11comp_targetILNS1_3genE0ELNS1_11target_archE4294967295ELNS1_3gpuE0ELNS1_3repE0EEENS1_36merge_oddeven_config_static_selectorELNS0_4arch9wavefront6targetE1EEEvSM_,comdat
	.globl	_ZN7rocprim17ROCPRIM_400000_NS6detail17trampoline_kernelINS0_14default_configENS1_38merge_sort_block_merge_config_selectorIlNS0_10empty_typeEEEZZNS1_27merge_sort_block_merge_implIS3_PlPS5_mZN2at6native12_GLOBAL__N_124unique_dim_cuda_templateIhEESt5tupleIJNSA_6TensorESF_SF_EERKSF_lbbbEUlllE_EE10hipError_tT0_T1_T2_jT3_P12ihipStream_tbPNSt15iterator_traitsISL_E10value_typeEPNSR_ISM_E10value_typeEPSN_NS1_7vsmem_tEENKUlT_SL_SM_SN_E_clIS8_S8_S9_S9_EESK_S10_SL_SM_SN_EUlS10_E1_NS1_11comp_targetILNS1_3genE0ELNS1_11target_archE4294967295ELNS1_3gpuE0ELNS1_3repE0EEENS1_36merge_oddeven_config_static_selectorELNS0_4arch9wavefront6targetE1EEEvSM_ ; -- Begin function _ZN7rocprim17ROCPRIM_400000_NS6detail17trampoline_kernelINS0_14default_configENS1_38merge_sort_block_merge_config_selectorIlNS0_10empty_typeEEEZZNS1_27merge_sort_block_merge_implIS3_PlPS5_mZN2at6native12_GLOBAL__N_124unique_dim_cuda_templateIhEESt5tupleIJNSA_6TensorESF_SF_EERKSF_lbbbEUlllE_EE10hipError_tT0_T1_T2_jT3_P12ihipStream_tbPNSt15iterator_traitsISL_E10value_typeEPNSR_ISM_E10value_typeEPSN_NS1_7vsmem_tEENKUlT_SL_SM_SN_E_clIS8_S8_S9_S9_EESK_S10_SL_SM_SN_EUlS10_E1_NS1_11comp_targetILNS1_3genE0ELNS1_11target_archE4294967295ELNS1_3gpuE0ELNS1_3repE0EEENS1_36merge_oddeven_config_static_selectorELNS0_4arch9wavefront6targetE1EEEvSM_
	.p2align	8
	.type	_ZN7rocprim17ROCPRIM_400000_NS6detail17trampoline_kernelINS0_14default_configENS1_38merge_sort_block_merge_config_selectorIlNS0_10empty_typeEEEZZNS1_27merge_sort_block_merge_implIS3_PlPS5_mZN2at6native12_GLOBAL__N_124unique_dim_cuda_templateIhEESt5tupleIJNSA_6TensorESF_SF_EERKSF_lbbbEUlllE_EE10hipError_tT0_T1_T2_jT3_P12ihipStream_tbPNSt15iterator_traitsISL_E10value_typeEPNSR_ISM_E10value_typeEPSN_NS1_7vsmem_tEENKUlT_SL_SM_SN_E_clIS8_S8_S9_S9_EESK_S10_SL_SM_SN_EUlS10_E1_NS1_11comp_targetILNS1_3genE0ELNS1_11target_archE4294967295ELNS1_3gpuE0ELNS1_3repE0EEENS1_36merge_oddeven_config_static_selectorELNS0_4arch9wavefront6targetE1EEEvSM_,@function
_ZN7rocprim17ROCPRIM_400000_NS6detail17trampoline_kernelINS0_14default_configENS1_38merge_sort_block_merge_config_selectorIlNS0_10empty_typeEEEZZNS1_27merge_sort_block_merge_implIS3_PlPS5_mZN2at6native12_GLOBAL__N_124unique_dim_cuda_templateIhEESt5tupleIJNSA_6TensorESF_SF_EERKSF_lbbbEUlllE_EE10hipError_tT0_T1_T2_jT3_P12ihipStream_tbPNSt15iterator_traitsISL_E10value_typeEPNSR_ISM_E10value_typeEPSN_NS1_7vsmem_tEENKUlT_SL_SM_SN_E_clIS8_S8_S9_S9_EESK_S10_SL_SM_SN_EUlS10_E1_NS1_11comp_targetILNS1_3genE0ELNS1_11target_archE4294967295ELNS1_3gpuE0ELNS1_3repE0EEENS1_36merge_oddeven_config_static_selectorELNS0_4arch9wavefront6targetE1EEEvSM_: ; @_ZN7rocprim17ROCPRIM_400000_NS6detail17trampoline_kernelINS0_14default_configENS1_38merge_sort_block_merge_config_selectorIlNS0_10empty_typeEEEZZNS1_27merge_sort_block_merge_implIS3_PlPS5_mZN2at6native12_GLOBAL__N_124unique_dim_cuda_templateIhEESt5tupleIJNSA_6TensorESF_SF_EERKSF_lbbbEUlllE_EE10hipError_tT0_T1_T2_jT3_P12ihipStream_tbPNSt15iterator_traitsISL_E10value_typeEPNSR_ISM_E10value_typeEPSN_NS1_7vsmem_tEENKUlT_SL_SM_SN_E_clIS8_S8_S9_S9_EESK_S10_SL_SM_SN_EUlS10_E1_NS1_11comp_targetILNS1_3genE0ELNS1_11target_archE4294967295ELNS1_3gpuE0ELNS1_3repE0EEENS1_36merge_oddeven_config_static_selectorELNS0_4arch9wavefront6targetE1EEEvSM_
; %bb.0:
	.section	.rodata,"a",@progbits
	.p2align	6, 0x0
	.amdhsa_kernel _ZN7rocprim17ROCPRIM_400000_NS6detail17trampoline_kernelINS0_14default_configENS1_38merge_sort_block_merge_config_selectorIlNS0_10empty_typeEEEZZNS1_27merge_sort_block_merge_implIS3_PlPS5_mZN2at6native12_GLOBAL__N_124unique_dim_cuda_templateIhEESt5tupleIJNSA_6TensorESF_SF_EERKSF_lbbbEUlllE_EE10hipError_tT0_T1_T2_jT3_P12ihipStream_tbPNSt15iterator_traitsISL_E10value_typeEPNSR_ISM_E10value_typeEPSN_NS1_7vsmem_tEENKUlT_SL_SM_SN_E_clIS8_S8_S9_S9_EESK_S10_SL_SM_SN_EUlS10_E1_NS1_11comp_targetILNS1_3genE0ELNS1_11target_archE4294967295ELNS1_3gpuE0ELNS1_3repE0EEENS1_36merge_oddeven_config_static_selectorELNS0_4arch9wavefront6targetE1EEEvSM_
		.amdhsa_group_segment_fixed_size 0
		.amdhsa_private_segment_fixed_size 0
		.amdhsa_kernarg_size 64
		.amdhsa_user_sgpr_count 6
		.amdhsa_user_sgpr_private_segment_buffer 1
		.amdhsa_user_sgpr_dispatch_ptr 0
		.amdhsa_user_sgpr_queue_ptr 0
		.amdhsa_user_sgpr_kernarg_segment_ptr 1
		.amdhsa_user_sgpr_dispatch_id 0
		.amdhsa_user_sgpr_flat_scratch_init 0
		.amdhsa_user_sgpr_kernarg_preload_length 0
		.amdhsa_user_sgpr_kernarg_preload_offset 0
		.amdhsa_user_sgpr_private_segment_size 0
		.amdhsa_uses_dynamic_stack 0
		.amdhsa_system_sgpr_private_segment_wavefront_offset 0
		.amdhsa_system_sgpr_workgroup_id_x 1
		.amdhsa_system_sgpr_workgroup_id_y 0
		.amdhsa_system_sgpr_workgroup_id_z 0
		.amdhsa_system_sgpr_workgroup_info 0
		.amdhsa_system_vgpr_workitem_id 0
		.amdhsa_next_free_vgpr 1
		.amdhsa_next_free_sgpr 0
		.amdhsa_accum_offset 4
		.amdhsa_reserve_vcc 0
		.amdhsa_reserve_flat_scratch 0
		.amdhsa_float_round_mode_32 0
		.amdhsa_float_round_mode_16_64 0
		.amdhsa_float_denorm_mode_32 3
		.amdhsa_float_denorm_mode_16_64 3
		.amdhsa_dx10_clamp 1
		.amdhsa_ieee_mode 1
		.amdhsa_fp16_overflow 0
		.amdhsa_tg_split 0
		.amdhsa_exception_fp_ieee_invalid_op 0
		.amdhsa_exception_fp_denorm_src 0
		.amdhsa_exception_fp_ieee_div_zero 0
		.amdhsa_exception_fp_ieee_overflow 0
		.amdhsa_exception_fp_ieee_underflow 0
		.amdhsa_exception_fp_ieee_inexact 0
		.amdhsa_exception_int_div_zero 0
	.end_amdhsa_kernel
	.section	.text._ZN7rocprim17ROCPRIM_400000_NS6detail17trampoline_kernelINS0_14default_configENS1_38merge_sort_block_merge_config_selectorIlNS0_10empty_typeEEEZZNS1_27merge_sort_block_merge_implIS3_PlPS5_mZN2at6native12_GLOBAL__N_124unique_dim_cuda_templateIhEESt5tupleIJNSA_6TensorESF_SF_EERKSF_lbbbEUlllE_EE10hipError_tT0_T1_T2_jT3_P12ihipStream_tbPNSt15iterator_traitsISL_E10value_typeEPNSR_ISM_E10value_typeEPSN_NS1_7vsmem_tEENKUlT_SL_SM_SN_E_clIS8_S8_S9_S9_EESK_S10_SL_SM_SN_EUlS10_E1_NS1_11comp_targetILNS1_3genE0ELNS1_11target_archE4294967295ELNS1_3gpuE0ELNS1_3repE0EEENS1_36merge_oddeven_config_static_selectorELNS0_4arch9wavefront6targetE1EEEvSM_,"axG",@progbits,_ZN7rocprim17ROCPRIM_400000_NS6detail17trampoline_kernelINS0_14default_configENS1_38merge_sort_block_merge_config_selectorIlNS0_10empty_typeEEEZZNS1_27merge_sort_block_merge_implIS3_PlPS5_mZN2at6native12_GLOBAL__N_124unique_dim_cuda_templateIhEESt5tupleIJNSA_6TensorESF_SF_EERKSF_lbbbEUlllE_EE10hipError_tT0_T1_T2_jT3_P12ihipStream_tbPNSt15iterator_traitsISL_E10value_typeEPNSR_ISM_E10value_typeEPSN_NS1_7vsmem_tEENKUlT_SL_SM_SN_E_clIS8_S8_S9_S9_EESK_S10_SL_SM_SN_EUlS10_E1_NS1_11comp_targetILNS1_3genE0ELNS1_11target_archE4294967295ELNS1_3gpuE0ELNS1_3repE0EEENS1_36merge_oddeven_config_static_selectorELNS0_4arch9wavefront6targetE1EEEvSM_,comdat
.Lfunc_end34:
	.size	_ZN7rocprim17ROCPRIM_400000_NS6detail17trampoline_kernelINS0_14default_configENS1_38merge_sort_block_merge_config_selectorIlNS0_10empty_typeEEEZZNS1_27merge_sort_block_merge_implIS3_PlPS5_mZN2at6native12_GLOBAL__N_124unique_dim_cuda_templateIhEESt5tupleIJNSA_6TensorESF_SF_EERKSF_lbbbEUlllE_EE10hipError_tT0_T1_T2_jT3_P12ihipStream_tbPNSt15iterator_traitsISL_E10value_typeEPNSR_ISM_E10value_typeEPSN_NS1_7vsmem_tEENKUlT_SL_SM_SN_E_clIS8_S8_S9_S9_EESK_S10_SL_SM_SN_EUlS10_E1_NS1_11comp_targetILNS1_3genE0ELNS1_11target_archE4294967295ELNS1_3gpuE0ELNS1_3repE0EEENS1_36merge_oddeven_config_static_selectorELNS0_4arch9wavefront6targetE1EEEvSM_, .Lfunc_end34-_ZN7rocprim17ROCPRIM_400000_NS6detail17trampoline_kernelINS0_14default_configENS1_38merge_sort_block_merge_config_selectorIlNS0_10empty_typeEEEZZNS1_27merge_sort_block_merge_implIS3_PlPS5_mZN2at6native12_GLOBAL__N_124unique_dim_cuda_templateIhEESt5tupleIJNSA_6TensorESF_SF_EERKSF_lbbbEUlllE_EE10hipError_tT0_T1_T2_jT3_P12ihipStream_tbPNSt15iterator_traitsISL_E10value_typeEPNSR_ISM_E10value_typeEPSN_NS1_7vsmem_tEENKUlT_SL_SM_SN_E_clIS8_S8_S9_S9_EESK_S10_SL_SM_SN_EUlS10_E1_NS1_11comp_targetILNS1_3genE0ELNS1_11target_archE4294967295ELNS1_3gpuE0ELNS1_3repE0EEENS1_36merge_oddeven_config_static_selectorELNS0_4arch9wavefront6targetE1EEEvSM_
                                        ; -- End function
	.section	.AMDGPU.csdata,"",@progbits
; Kernel info:
; codeLenInByte = 0
; NumSgprs: 4
; NumVgprs: 0
; NumAgprs: 0
; TotalNumVgprs: 0
; ScratchSize: 0
; MemoryBound: 0
; FloatMode: 240
; IeeeMode: 1
; LDSByteSize: 0 bytes/workgroup (compile time only)
; SGPRBlocks: 0
; VGPRBlocks: 0
; NumSGPRsForWavesPerEU: 4
; NumVGPRsForWavesPerEU: 1
; AccumOffset: 4
; Occupancy: 8
; WaveLimiterHint : 0
; COMPUTE_PGM_RSRC2:SCRATCH_EN: 0
; COMPUTE_PGM_RSRC2:USER_SGPR: 6
; COMPUTE_PGM_RSRC2:TRAP_HANDLER: 0
; COMPUTE_PGM_RSRC2:TGID_X_EN: 1
; COMPUTE_PGM_RSRC2:TGID_Y_EN: 0
; COMPUTE_PGM_RSRC2:TGID_Z_EN: 0
; COMPUTE_PGM_RSRC2:TIDIG_COMP_CNT: 0
; COMPUTE_PGM_RSRC3_GFX90A:ACCUM_OFFSET: 0
; COMPUTE_PGM_RSRC3_GFX90A:TG_SPLIT: 0
	.section	.text._ZN7rocprim17ROCPRIM_400000_NS6detail17trampoline_kernelINS0_14default_configENS1_38merge_sort_block_merge_config_selectorIlNS0_10empty_typeEEEZZNS1_27merge_sort_block_merge_implIS3_PlPS5_mZN2at6native12_GLOBAL__N_124unique_dim_cuda_templateIhEESt5tupleIJNSA_6TensorESF_SF_EERKSF_lbbbEUlllE_EE10hipError_tT0_T1_T2_jT3_P12ihipStream_tbPNSt15iterator_traitsISL_E10value_typeEPNSR_ISM_E10value_typeEPSN_NS1_7vsmem_tEENKUlT_SL_SM_SN_E_clIS8_S8_S9_S9_EESK_S10_SL_SM_SN_EUlS10_E1_NS1_11comp_targetILNS1_3genE10ELNS1_11target_archE1201ELNS1_3gpuE5ELNS1_3repE0EEENS1_36merge_oddeven_config_static_selectorELNS0_4arch9wavefront6targetE1EEEvSM_,"axG",@progbits,_ZN7rocprim17ROCPRIM_400000_NS6detail17trampoline_kernelINS0_14default_configENS1_38merge_sort_block_merge_config_selectorIlNS0_10empty_typeEEEZZNS1_27merge_sort_block_merge_implIS3_PlPS5_mZN2at6native12_GLOBAL__N_124unique_dim_cuda_templateIhEESt5tupleIJNSA_6TensorESF_SF_EERKSF_lbbbEUlllE_EE10hipError_tT0_T1_T2_jT3_P12ihipStream_tbPNSt15iterator_traitsISL_E10value_typeEPNSR_ISM_E10value_typeEPSN_NS1_7vsmem_tEENKUlT_SL_SM_SN_E_clIS8_S8_S9_S9_EESK_S10_SL_SM_SN_EUlS10_E1_NS1_11comp_targetILNS1_3genE10ELNS1_11target_archE1201ELNS1_3gpuE5ELNS1_3repE0EEENS1_36merge_oddeven_config_static_selectorELNS0_4arch9wavefront6targetE1EEEvSM_,comdat
	.globl	_ZN7rocprim17ROCPRIM_400000_NS6detail17trampoline_kernelINS0_14default_configENS1_38merge_sort_block_merge_config_selectorIlNS0_10empty_typeEEEZZNS1_27merge_sort_block_merge_implIS3_PlPS5_mZN2at6native12_GLOBAL__N_124unique_dim_cuda_templateIhEESt5tupleIJNSA_6TensorESF_SF_EERKSF_lbbbEUlllE_EE10hipError_tT0_T1_T2_jT3_P12ihipStream_tbPNSt15iterator_traitsISL_E10value_typeEPNSR_ISM_E10value_typeEPSN_NS1_7vsmem_tEENKUlT_SL_SM_SN_E_clIS8_S8_S9_S9_EESK_S10_SL_SM_SN_EUlS10_E1_NS1_11comp_targetILNS1_3genE10ELNS1_11target_archE1201ELNS1_3gpuE5ELNS1_3repE0EEENS1_36merge_oddeven_config_static_selectorELNS0_4arch9wavefront6targetE1EEEvSM_ ; -- Begin function _ZN7rocprim17ROCPRIM_400000_NS6detail17trampoline_kernelINS0_14default_configENS1_38merge_sort_block_merge_config_selectorIlNS0_10empty_typeEEEZZNS1_27merge_sort_block_merge_implIS3_PlPS5_mZN2at6native12_GLOBAL__N_124unique_dim_cuda_templateIhEESt5tupleIJNSA_6TensorESF_SF_EERKSF_lbbbEUlllE_EE10hipError_tT0_T1_T2_jT3_P12ihipStream_tbPNSt15iterator_traitsISL_E10value_typeEPNSR_ISM_E10value_typeEPSN_NS1_7vsmem_tEENKUlT_SL_SM_SN_E_clIS8_S8_S9_S9_EESK_S10_SL_SM_SN_EUlS10_E1_NS1_11comp_targetILNS1_3genE10ELNS1_11target_archE1201ELNS1_3gpuE5ELNS1_3repE0EEENS1_36merge_oddeven_config_static_selectorELNS0_4arch9wavefront6targetE1EEEvSM_
	.p2align	8
	.type	_ZN7rocprim17ROCPRIM_400000_NS6detail17trampoline_kernelINS0_14default_configENS1_38merge_sort_block_merge_config_selectorIlNS0_10empty_typeEEEZZNS1_27merge_sort_block_merge_implIS3_PlPS5_mZN2at6native12_GLOBAL__N_124unique_dim_cuda_templateIhEESt5tupleIJNSA_6TensorESF_SF_EERKSF_lbbbEUlllE_EE10hipError_tT0_T1_T2_jT3_P12ihipStream_tbPNSt15iterator_traitsISL_E10value_typeEPNSR_ISM_E10value_typeEPSN_NS1_7vsmem_tEENKUlT_SL_SM_SN_E_clIS8_S8_S9_S9_EESK_S10_SL_SM_SN_EUlS10_E1_NS1_11comp_targetILNS1_3genE10ELNS1_11target_archE1201ELNS1_3gpuE5ELNS1_3repE0EEENS1_36merge_oddeven_config_static_selectorELNS0_4arch9wavefront6targetE1EEEvSM_,@function
_ZN7rocprim17ROCPRIM_400000_NS6detail17trampoline_kernelINS0_14default_configENS1_38merge_sort_block_merge_config_selectorIlNS0_10empty_typeEEEZZNS1_27merge_sort_block_merge_implIS3_PlPS5_mZN2at6native12_GLOBAL__N_124unique_dim_cuda_templateIhEESt5tupleIJNSA_6TensorESF_SF_EERKSF_lbbbEUlllE_EE10hipError_tT0_T1_T2_jT3_P12ihipStream_tbPNSt15iterator_traitsISL_E10value_typeEPNSR_ISM_E10value_typeEPSN_NS1_7vsmem_tEENKUlT_SL_SM_SN_E_clIS8_S8_S9_S9_EESK_S10_SL_SM_SN_EUlS10_E1_NS1_11comp_targetILNS1_3genE10ELNS1_11target_archE1201ELNS1_3gpuE5ELNS1_3repE0EEENS1_36merge_oddeven_config_static_selectorELNS0_4arch9wavefront6targetE1EEEvSM_: ; @_ZN7rocprim17ROCPRIM_400000_NS6detail17trampoline_kernelINS0_14default_configENS1_38merge_sort_block_merge_config_selectorIlNS0_10empty_typeEEEZZNS1_27merge_sort_block_merge_implIS3_PlPS5_mZN2at6native12_GLOBAL__N_124unique_dim_cuda_templateIhEESt5tupleIJNSA_6TensorESF_SF_EERKSF_lbbbEUlllE_EE10hipError_tT0_T1_T2_jT3_P12ihipStream_tbPNSt15iterator_traitsISL_E10value_typeEPNSR_ISM_E10value_typeEPSN_NS1_7vsmem_tEENKUlT_SL_SM_SN_E_clIS8_S8_S9_S9_EESK_S10_SL_SM_SN_EUlS10_E1_NS1_11comp_targetILNS1_3genE10ELNS1_11target_archE1201ELNS1_3gpuE5ELNS1_3repE0EEENS1_36merge_oddeven_config_static_selectorELNS0_4arch9wavefront6targetE1EEEvSM_
; %bb.0:
	.section	.rodata,"a",@progbits
	.p2align	6, 0x0
	.amdhsa_kernel _ZN7rocprim17ROCPRIM_400000_NS6detail17trampoline_kernelINS0_14default_configENS1_38merge_sort_block_merge_config_selectorIlNS0_10empty_typeEEEZZNS1_27merge_sort_block_merge_implIS3_PlPS5_mZN2at6native12_GLOBAL__N_124unique_dim_cuda_templateIhEESt5tupleIJNSA_6TensorESF_SF_EERKSF_lbbbEUlllE_EE10hipError_tT0_T1_T2_jT3_P12ihipStream_tbPNSt15iterator_traitsISL_E10value_typeEPNSR_ISM_E10value_typeEPSN_NS1_7vsmem_tEENKUlT_SL_SM_SN_E_clIS8_S8_S9_S9_EESK_S10_SL_SM_SN_EUlS10_E1_NS1_11comp_targetILNS1_3genE10ELNS1_11target_archE1201ELNS1_3gpuE5ELNS1_3repE0EEENS1_36merge_oddeven_config_static_selectorELNS0_4arch9wavefront6targetE1EEEvSM_
		.amdhsa_group_segment_fixed_size 0
		.amdhsa_private_segment_fixed_size 0
		.amdhsa_kernarg_size 64
		.amdhsa_user_sgpr_count 6
		.amdhsa_user_sgpr_private_segment_buffer 1
		.amdhsa_user_sgpr_dispatch_ptr 0
		.amdhsa_user_sgpr_queue_ptr 0
		.amdhsa_user_sgpr_kernarg_segment_ptr 1
		.amdhsa_user_sgpr_dispatch_id 0
		.amdhsa_user_sgpr_flat_scratch_init 0
		.amdhsa_user_sgpr_kernarg_preload_length 0
		.amdhsa_user_sgpr_kernarg_preload_offset 0
		.amdhsa_user_sgpr_private_segment_size 0
		.amdhsa_uses_dynamic_stack 0
		.amdhsa_system_sgpr_private_segment_wavefront_offset 0
		.amdhsa_system_sgpr_workgroup_id_x 1
		.amdhsa_system_sgpr_workgroup_id_y 0
		.amdhsa_system_sgpr_workgroup_id_z 0
		.amdhsa_system_sgpr_workgroup_info 0
		.amdhsa_system_vgpr_workitem_id 0
		.amdhsa_next_free_vgpr 1
		.amdhsa_next_free_sgpr 0
		.amdhsa_accum_offset 4
		.amdhsa_reserve_vcc 0
		.amdhsa_reserve_flat_scratch 0
		.amdhsa_float_round_mode_32 0
		.amdhsa_float_round_mode_16_64 0
		.amdhsa_float_denorm_mode_32 3
		.amdhsa_float_denorm_mode_16_64 3
		.amdhsa_dx10_clamp 1
		.amdhsa_ieee_mode 1
		.amdhsa_fp16_overflow 0
		.amdhsa_tg_split 0
		.amdhsa_exception_fp_ieee_invalid_op 0
		.amdhsa_exception_fp_denorm_src 0
		.amdhsa_exception_fp_ieee_div_zero 0
		.amdhsa_exception_fp_ieee_overflow 0
		.amdhsa_exception_fp_ieee_underflow 0
		.amdhsa_exception_fp_ieee_inexact 0
		.amdhsa_exception_int_div_zero 0
	.end_amdhsa_kernel
	.section	.text._ZN7rocprim17ROCPRIM_400000_NS6detail17trampoline_kernelINS0_14default_configENS1_38merge_sort_block_merge_config_selectorIlNS0_10empty_typeEEEZZNS1_27merge_sort_block_merge_implIS3_PlPS5_mZN2at6native12_GLOBAL__N_124unique_dim_cuda_templateIhEESt5tupleIJNSA_6TensorESF_SF_EERKSF_lbbbEUlllE_EE10hipError_tT0_T1_T2_jT3_P12ihipStream_tbPNSt15iterator_traitsISL_E10value_typeEPNSR_ISM_E10value_typeEPSN_NS1_7vsmem_tEENKUlT_SL_SM_SN_E_clIS8_S8_S9_S9_EESK_S10_SL_SM_SN_EUlS10_E1_NS1_11comp_targetILNS1_3genE10ELNS1_11target_archE1201ELNS1_3gpuE5ELNS1_3repE0EEENS1_36merge_oddeven_config_static_selectorELNS0_4arch9wavefront6targetE1EEEvSM_,"axG",@progbits,_ZN7rocprim17ROCPRIM_400000_NS6detail17trampoline_kernelINS0_14default_configENS1_38merge_sort_block_merge_config_selectorIlNS0_10empty_typeEEEZZNS1_27merge_sort_block_merge_implIS3_PlPS5_mZN2at6native12_GLOBAL__N_124unique_dim_cuda_templateIhEESt5tupleIJNSA_6TensorESF_SF_EERKSF_lbbbEUlllE_EE10hipError_tT0_T1_T2_jT3_P12ihipStream_tbPNSt15iterator_traitsISL_E10value_typeEPNSR_ISM_E10value_typeEPSN_NS1_7vsmem_tEENKUlT_SL_SM_SN_E_clIS8_S8_S9_S9_EESK_S10_SL_SM_SN_EUlS10_E1_NS1_11comp_targetILNS1_3genE10ELNS1_11target_archE1201ELNS1_3gpuE5ELNS1_3repE0EEENS1_36merge_oddeven_config_static_selectorELNS0_4arch9wavefront6targetE1EEEvSM_,comdat
.Lfunc_end35:
	.size	_ZN7rocprim17ROCPRIM_400000_NS6detail17trampoline_kernelINS0_14default_configENS1_38merge_sort_block_merge_config_selectorIlNS0_10empty_typeEEEZZNS1_27merge_sort_block_merge_implIS3_PlPS5_mZN2at6native12_GLOBAL__N_124unique_dim_cuda_templateIhEESt5tupleIJNSA_6TensorESF_SF_EERKSF_lbbbEUlllE_EE10hipError_tT0_T1_T2_jT3_P12ihipStream_tbPNSt15iterator_traitsISL_E10value_typeEPNSR_ISM_E10value_typeEPSN_NS1_7vsmem_tEENKUlT_SL_SM_SN_E_clIS8_S8_S9_S9_EESK_S10_SL_SM_SN_EUlS10_E1_NS1_11comp_targetILNS1_3genE10ELNS1_11target_archE1201ELNS1_3gpuE5ELNS1_3repE0EEENS1_36merge_oddeven_config_static_selectorELNS0_4arch9wavefront6targetE1EEEvSM_, .Lfunc_end35-_ZN7rocprim17ROCPRIM_400000_NS6detail17trampoline_kernelINS0_14default_configENS1_38merge_sort_block_merge_config_selectorIlNS0_10empty_typeEEEZZNS1_27merge_sort_block_merge_implIS3_PlPS5_mZN2at6native12_GLOBAL__N_124unique_dim_cuda_templateIhEESt5tupleIJNSA_6TensorESF_SF_EERKSF_lbbbEUlllE_EE10hipError_tT0_T1_T2_jT3_P12ihipStream_tbPNSt15iterator_traitsISL_E10value_typeEPNSR_ISM_E10value_typeEPSN_NS1_7vsmem_tEENKUlT_SL_SM_SN_E_clIS8_S8_S9_S9_EESK_S10_SL_SM_SN_EUlS10_E1_NS1_11comp_targetILNS1_3genE10ELNS1_11target_archE1201ELNS1_3gpuE5ELNS1_3repE0EEENS1_36merge_oddeven_config_static_selectorELNS0_4arch9wavefront6targetE1EEEvSM_
                                        ; -- End function
	.section	.AMDGPU.csdata,"",@progbits
; Kernel info:
; codeLenInByte = 0
; NumSgprs: 4
; NumVgprs: 0
; NumAgprs: 0
; TotalNumVgprs: 0
; ScratchSize: 0
; MemoryBound: 0
; FloatMode: 240
; IeeeMode: 1
; LDSByteSize: 0 bytes/workgroup (compile time only)
; SGPRBlocks: 0
; VGPRBlocks: 0
; NumSGPRsForWavesPerEU: 4
; NumVGPRsForWavesPerEU: 1
; AccumOffset: 4
; Occupancy: 8
; WaveLimiterHint : 0
; COMPUTE_PGM_RSRC2:SCRATCH_EN: 0
; COMPUTE_PGM_RSRC2:USER_SGPR: 6
; COMPUTE_PGM_RSRC2:TRAP_HANDLER: 0
; COMPUTE_PGM_RSRC2:TGID_X_EN: 1
; COMPUTE_PGM_RSRC2:TGID_Y_EN: 0
; COMPUTE_PGM_RSRC2:TGID_Z_EN: 0
; COMPUTE_PGM_RSRC2:TIDIG_COMP_CNT: 0
; COMPUTE_PGM_RSRC3_GFX90A:ACCUM_OFFSET: 0
; COMPUTE_PGM_RSRC3_GFX90A:TG_SPLIT: 0
	.section	.text._ZN7rocprim17ROCPRIM_400000_NS6detail17trampoline_kernelINS0_14default_configENS1_38merge_sort_block_merge_config_selectorIlNS0_10empty_typeEEEZZNS1_27merge_sort_block_merge_implIS3_PlPS5_mZN2at6native12_GLOBAL__N_124unique_dim_cuda_templateIhEESt5tupleIJNSA_6TensorESF_SF_EERKSF_lbbbEUlllE_EE10hipError_tT0_T1_T2_jT3_P12ihipStream_tbPNSt15iterator_traitsISL_E10value_typeEPNSR_ISM_E10value_typeEPSN_NS1_7vsmem_tEENKUlT_SL_SM_SN_E_clIS8_S8_S9_S9_EESK_S10_SL_SM_SN_EUlS10_E1_NS1_11comp_targetILNS1_3genE5ELNS1_11target_archE942ELNS1_3gpuE9ELNS1_3repE0EEENS1_36merge_oddeven_config_static_selectorELNS0_4arch9wavefront6targetE1EEEvSM_,"axG",@progbits,_ZN7rocprim17ROCPRIM_400000_NS6detail17trampoline_kernelINS0_14default_configENS1_38merge_sort_block_merge_config_selectorIlNS0_10empty_typeEEEZZNS1_27merge_sort_block_merge_implIS3_PlPS5_mZN2at6native12_GLOBAL__N_124unique_dim_cuda_templateIhEESt5tupleIJNSA_6TensorESF_SF_EERKSF_lbbbEUlllE_EE10hipError_tT0_T1_T2_jT3_P12ihipStream_tbPNSt15iterator_traitsISL_E10value_typeEPNSR_ISM_E10value_typeEPSN_NS1_7vsmem_tEENKUlT_SL_SM_SN_E_clIS8_S8_S9_S9_EESK_S10_SL_SM_SN_EUlS10_E1_NS1_11comp_targetILNS1_3genE5ELNS1_11target_archE942ELNS1_3gpuE9ELNS1_3repE0EEENS1_36merge_oddeven_config_static_selectorELNS0_4arch9wavefront6targetE1EEEvSM_,comdat
	.globl	_ZN7rocprim17ROCPRIM_400000_NS6detail17trampoline_kernelINS0_14default_configENS1_38merge_sort_block_merge_config_selectorIlNS0_10empty_typeEEEZZNS1_27merge_sort_block_merge_implIS3_PlPS5_mZN2at6native12_GLOBAL__N_124unique_dim_cuda_templateIhEESt5tupleIJNSA_6TensorESF_SF_EERKSF_lbbbEUlllE_EE10hipError_tT0_T1_T2_jT3_P12ihipStream_tbPNSt15iterator_traitsISL_E10value_typeEPNSR_ISM_E10value_typeEPSN_NS1_7vsmem_tEENKUlT_SL_SM_SN_E_clIS8_S8_S9_S9_EESK_S10_SL_SM_SN_EUlS10_E1_NS1_11comp_targetILNS1_3genE5ELNS1_11target_archE942ELNS1_3gpuE9ELNS1_3repE0EEENS1_36merge_oddeven_config_static_selectorELNS0_4arch9wavefront6targetE1EEEvSM_ ; -- Begin function _ZN7rocprim17ROCPRIM_400000_NS6detail17trampoline_kernelINS0_14default_configENS1_38merge_sort_block_merge_config_selectorIlNS0_10empty_typeEEEZZNS1_27merge_sort_block_merge_implIS3_PlPS5_mZN2at6native12_GLOBAL__N_124unique_dim_cuda_templateIhEESt5tupleIJNSA_6TensorESF_SF_EERKSF_lbbbEUlllE_EE10hipError_tT0_T1_T2_jT3_P12ihipStream_tbPNSt15iterator_traitsISL_E10value_typeEPNSR_ISM_E10value_typeEPSN_NS1_7vsmem_tEENKUlT_SL_SM_SN_E_clIS8_S8_S9_S9_EESK_S10_SL_SM_SN_EUlS10_E1_NS1_11comp_targetILNS1_3genE5ELNS1_11target_archE942ELNS1_3gpuE9ELNS1_3repE0EEENS1_36merge_oddeven_config_static_selectorELNS0_4arch9wavefront6targetE1EEEvSM_
	.p2align	8
	.type	_ZN7rocprim17ROCPRIM_400000_NS6detail17trampoline_kernelINS0_14default_configENS1_38merge_sort_block_merge_config_selectorIlNS0_10empty_typeEEEZZNS1_27merge_sort_block_merge_implIS3_PlPS5_mZN2at6native12_GLOBAL__N_124unique_dim_cuda_templateIhEESt5tupleIJNSA_6TensorESF_SF_EERKSF_lbbbEUlllE_EE10hipError_tT0_T1_T2_jT3_P12ihipStream_tbPNSt15iterator_traitsISL_E10value_typeEPNSR_ISM_E10value_typeEPSN_NS1_7vsmem_tEENKUlT_SL_SM_SN_E_clIS8_S8_S9_S9_EESK_S10_SL_SM_SN_EUlS10_E1_NS1_11comp_targetILNS1_3genE5ELNS1_11target_archE942ELNS1_3gpuE9ELNS1_3repE0EEENS1_36merge_oddeven_config_static_selectorELNS0_4arch9wavefront6targetE1EEEvSM_,@function
_ZN7rocprim17ROCPRIM_400000_NS6detail17trampoline_kernelINS0_14default_configENS1_38merge_sort_block_merge_config_selectorIlNS0_10empty_typeEEEZZNS1_27merge_sort_block_merge_implIS3_PlPS5_mZN2at6native12_GLOBAL__N_124unique_dim_cuda_templateIhEESt5tupleIJNSA_6TensorESF_SF_EERKSF_lbbbEUlllE_EE10hipError_tT0_T1_T2_jT3_P12ihipStream_tbPNSt15iterator_traitsISL_E10value_typeEPNSR_ISM_E10value_typeEPSN_NS1_7vsmem_tEENKUlT_SL_SM_SN_E_clIS8_S8_S9_S9_EESK_S10_SL_SM_SN_EUlS10_E1_NS1_11comp_targetILNS1_3genE5ELNS1_11target_archE942ELNS1_3gpuE9ELNS1_3repE0EEENS1_36merge_oddeven_config_static_selectorELNS0_4arch9wavefront6targetE1EEEvSM_: ; @_ZN7rocprim17ROCPRIM_400000_NS6detail17trampoline_kernelINS0_14default_configENS1_38merge_sort_block_merge_config_selectorIlNS0_10empty_typeEEEZZNS1_27merge_sort_block_merge_implIS3_PlPS5_mZN2at6native12_GLOBAL__N_124unique_dim_cuda_templateIhEESt5tupleIJNSA_6TensorESF_SF_EERKSF_lbbbEUlllE_EE10hipError_tT0_T1_T2_jT3_P12ihipStream_tbPNSt15iterator_traitsISL_E10value_typeEPNSR_ISM_E10value_typeEPSN_NS1_7vsmem_tEENKUlT_SL_SM_SN_E_clIS8_S8_S9_S9_EESK_S10_SL_SM_SN_EUlS10_E1_NS1_11comp_targetILNS1_3genE5ELNS1_11target_archE942ELNS1_3gpuE9ELNS1_3repE0EEENS1_36merge_oddeven_config_static_selectorELNS0_4arch9wavefront6targetE1EEEvSM_
; %bb.0:
	.section	.rodata,"a",@progbits
	.p2align	6, 0x0
	.amdhsa_kernel _ZN7rocprim17ROCPRIM_400000_NS6detail17trampoline_kernelINS0_14default_configENS1_38merge_sort_block_merge_config_selectorIlNS0_10empty_typeEEEZZNS1_27merge_sort_block_merge_implIS3_PlPS5_mZN2at6native12_GLOBAL__N_124unique_dim_cuda_templateIhEESt5tupleIJNSA_6TensorESF_SF_EERKSF_lbbbEUlllE_EE10hipError_tT0_T1_T2_jT3_P12ihipStream_tbPNSt15iterator_traitsISL_E10value_typeEPNSR_ISM_E10value_typeEPSN_NS1_7vsmem_tEENKUlT_SL_SM_SN_E_clIS8_S8_S9_S9_EESK_S10_SL_SM_SN_EUlS10_E1_NS1_11comp_targetILNS1_3genE5ELNS1_11target_archE942ELNS1_3gpuE9ELNS1_3repE0EEENS1_36merge_oddeven_config_static_selectorELNS0_4arch9wavefront6targetE1EEEvSM_
		.amdhsa_group_segment_fixed_size 0
		.amdhsa_private_segment_fixed_size 0
		.amdhsa_kernarg_size 64
		.amdhsa_user_sgpr_count 6
		.amdhsa_user_sgpr_private_segment_buffer 1
		.amdhsa_user_sgpr_dispatch_ptr 0
		.amdhsa_user_sgpr_queue_ptr 0
		.amdhsa_user_sgpr_kernarg_segment_ptr 1
		.amdhsa_user_sgpr_dispatch_id 0
		.amdhsa_user_sgpr_flat_scratch_init 0
		.amdhsa_user_sgpr_kernarg_preload_length 0
		.amdhsa_user_sgpr_kernarg_preload_offset 0
		.amdhsa_user_sgpr_private_segment_size 0
		.amdhsa_uses_dynamic_stack 0
		.amdhsa_system_sgpr_private_segment_wavefront_offset 0
		.amdhsa_system_sgpr_workgroup_id_x 1
		.amdhsa_system_sgpr_workgroup_id_y 0
		.amdhsa_system_sgpr_workgroup_id_z 0
		.amdhsa_system_sgpr_workgroup_info 0
		.amdhsa_system_vgpr_workitem_id 0
		.amdhsa_next_free_vgpr 1
		.amdhsa_next_free_sgpr 0
		.amdhsa_accum_offset 4
		.amdhsa_reserve_vcc 0
		.amdhsa_reserve_flat_scratch 0
		.amdhsa_float_round_mode_32 0
		.amdhsa_float_round_mode_16_64 0
		.amdhsa_float_denorm_mode_32 3
		.amdhsa_float_denorm_mode_16_64 3
		.amdhsa_dx10_clamp 1
		.amdhsa_ieee_mode 1
		.amdhsa_fp16_overflow 0
		.amdhsa_tg_split 0
		.amdhsa_exception_fp_ieee_invalid_op 0
		.amdhsa_exception_fp_denorm_src 0
		.amdhsa_exception_fp_ieee_div_zero 0
		.amdhsa_exception_fp_ieee_overflow 0
		.amdhsa_exception_fp_ieee_underflow 0
		.amdhsa_exception_fp_ieee_inexact 0
		.amdhsa_exception_int_div_zero 0
	.end_amdhsa_kernel
	.section	.text._ZN7rocprim17ROCPRIM_400000_NS6detail17trampoline_kernelINS0_14default_configENS1_38merge_sort_block_merge_config_selectorIlNS0_10empty_typeEEEZZNS1_27merge_sort_block_merge_implIS3_PlPS5_mZN2at6native12_GLOBAL__N_124unique_dim_cuda_templateIhEESt5tupleIJNSA_6TensorESF_SF_EERKSF_lbbbEUlllE_EE10hipError_tT0_T1_T2_jT3_P12ihipStream_tbPNSt15iterator_traitsISL_E10value_typeEPNSR_ISM_E10value_typeEPSN_NS1_7vsmem_tEENKUlT_SL_SM_SN_E_clIS8_S8_S9_S9_EESK_S10_SL_SM_SN_EUlS10_E1_NS1_11comp_targetILNS1_3genE5ELNS1_11target_archE942ELNS1_3gpuE9ELNS1_3repE0EEENS1_36merge_oddeven_config_static_selectorELNS0_4arch9wavefront6targetE1EEEvSM_,"axG",@progbits,_ZN7rocprim17ROCPRIM_400000_NS6detail17trampoline_kernelINS0_14default_configENS1_38merge_sort_block_merge_config_selectorIlNS0_10empty_typeEEEZZNS1_27merge_sort_block_merge_implIS3_PlPS5_mZN2at6native12_GLOBAL__N_124unique_dim_cuda_templateIhEESt5tupleIJNSA_6TensorESF_SF_EERKSF_lbbbEUlllE_EE10hipError_tT0_T1_T2_jT3_P12ihipStream_tbPNSt15iterator_traitsISL_E10value_typeEPNSR_ISM_E10value_typeEPSN_NS1_7vsmem_tEENKUlT_SL_SM_SN_E_clIS8_S8_S9_S9_EESK_S10_SL_SM_SN_EUlS10_E1_NS1_11comp_targetILNS1_3genE5ELNS1_11target_archE942ELNS1_3gpuE9ELNS1_3repE0EEENS1_36merge_oddeven_config_static_selectorELNS0_4arch9wavefront6targetE1EEEvSM_,comdat
.Lfunc_end36:
	.size	_ZN7rocprim17ROCPRIM_400000_NS6detail17trampoline_kernelINS0_14default_configENS1_38merge_sort_block_merge_config_selectorIlNS0_10empty_typeEEEZZNS1_27merge_sort_block_merge_implIS3_PlPS5_mZN2at6native12_GLOBAL__N_124unique_dim_cuda_templateIhEESt5tupleIJNSA_6TensorESF_SF_EERKSF_lbbbEUlllE_EE10hipError_tT0_T1_T2_jT3_P12ihipStream_tbPNSt15iterator_traitsISL_E10value_typeEPNSR_ISM_E10value_typeEPSN_NS1_7vsmem_tEENKUlT_SL_SM_SN_E_clIS8_S8_S9_S9_EESK_S10_SL_SM_SN_EUlS10_E1_NS1_11comp_targetILNS1_3genE5ELNS1_11target_archE942ELNS1_3gpuE9ELNS1_3repE0EEENS1_36merge_oddeven_config_static_selectorELNS0_4arch9wavefront6targetE1EEEvSM_, .Lfunc_end36-_ZN7rocprim17ROCPRIM_400000_NS6detail17trampoline_kernelINS0_14default_configENS1_38merge_sort_block_merge_config_selectorIlNS0_10empty_typeEEEZZNS1_27merge_sort_block_merge_implIS3_PlPS5_mZN2at6native12_GLOBAL__N_124unique_dim_cuda_templateIhEESt5tupleIJNSA_6TensorESF_SF_EERKSF_lbbbEUlllE_EE10hipError_tT0_T1_T2_jT3_P12ihipStream_tbPNSt15iterator_traitsISL_E10value_typeEPNSR_ISM_E10value_typeEPSN_NS1_7vsmem_tEENKUlT_SL_SM_SN_E_clIS8_S8_S9_S9_EESK_S10_SL_SM_SN_EUlS10_E1_NS1_11comp_targetILNS1_3genE5ELNS1_11target_archE942ELNS1_3gpuE9ELNS1_3repE0EEENS1_36merge_oddeven_config_static_selectorELNS0_4arch9wavefront6targetE1EEEvSM_
                                        ; -- End function
	.section	.AMDGPU.csdata,"",@progbits
; Kernel info:
; codeLenInByte = 0
; NumSgprs: 4
; NumVgprs: 0
; NumAgprs: 0
; TotalNumVgprs: 0
; ScratchSize: 0
; MemoryBound: 0
; FloatMode: 240
; IeeeMode: 1
; LDSByteSize: 0 bytes/workgroup (compile time only)
; SGPRBlocks: 0
; VGPRBlocks: 0
; NumSGPRsForWavesPerEU: 4
; NumVGPRsForWavesPerEU: 1
; AccumOffset: 4
; Occupancy: 8
; WaveLimiterHint : 0
; COMPUTE_PGM_RSRC2:SCRATCH_EN: 0
; COMPUTE_PGM_RSRC2:USER_SGPR: 6
; COMPUTE_PGM_RSRC2:TRAP_HANDLER: 0
; COMPUTE_PGM_RSRC2:TGID_X_EN: 1
; COMPUTE_PGM_RSRC2:TGID_Y_EN: 0
; COMPUTE_PGM_RSRC2:TGID_Z_EN: 0
; COMPUTE_PGM_RSRC2:TIDIG_COMP_CNT: 0
; COMPUTE_PGM_RSRC3_GFX90A:ACCUM_OFFSET: 0
; COMPUTE_PGM_RSRC3_GFX90A:TG_SPLIT: 0
	.section	.text._ZN7rocprim17ROCPRIM_400000_NS6detail17trampoline_kernelINS0_14default_configENS1_38merge_sort_block_merge_config_selectorIlNS0_10empty_typeEEEZZNS1_27merge_sort_block_merge_implIS3_PlPS5_mZN2at6native12_GLOBAL__N_124unique_dim_cuda_templateIhEESt5tupleIJNSA_6TensorESF_SF_EERKSF_lbbbEUlllE_EE10hipError_tT0_T1_T2_jT3_P12ihipStream_tbPNSt15iterator_traitsISL_E10value_typeEPNSR_ISM_E10value_typeEPSN_NS1_7vsmem_tEENKUlT_SL_SM_SN_E_clIS8_S8_S9_S9_EESK_S10_SL_SM_SN_EUlS10_E1_NS1_11comp_targetILNS1_3genE4ELNS1_11target_archE910ELNS1_3gpuE8ELNS1_3repE0EEENS1_36merge_oddeven_config_static_selectorELNS0_4arch9wavefront6targetE1EEEvSM_,"axG",@progbits,_ZN7rocprim17ROCPRIM_400000_NS6detail17trampoline_kernelINS0_14default_configENS1_38merge_sort_block_merge_config_selectorIlNS0_10empty_typeEEEZZNS1_27merge_sort_block_merge_implIS3_PlPS5_mZN2at6native12_GLOBAL__N_124unique_dim_cuda_templateIhEESt5tupleIJNSA_6TensorESF_SF_EERKSF_lbbbEUlllE_EE10hipError_tT0_T1_T2_jT3_P12ihipStream_tbPNSt15iterator_traitsISL_E10value_typeEPNSR_ISM_E10value_typeEPSN_NS1_7vsmem_tEENKUlT_SL_SM_SN_E_clIS8_S8_S9_S9_EESK_S10_SL_SM_SN_EUlS10_E1_NS1_11comp_targetILNS1_3genE4ELNS1_11target_archE910ELNS1_3gpuE8ELNS1_3repE0EEENS1_36merge_oddeven_config_static_selectorELNS0_4arch9wavefront6targetE1EEEvSM_,comdat
	.globl	_ZN7rocprim17ROCPRIM_400000_NS6detail17trampoline_kernelINS0_14default_configENS1_38merge_sort_block_merge_config_selectorIlNS0_10empty_typeEEEZZNS1_27merge_sort_block_merge_implIS3_PlPS5_mZN2at6native12_GLOBAL__N_124unique_dim_cuda_templateIhEESt5tupleIJNSA_6TensorESF_SF_EERKSF_lbbbEUlllE_EE10hipError_tT0_T1_T2_jT3_P12ihipStream_tbPNSt15iterator_traitsISL_E10value_typeEPNSR_ISM_E10value_typeEPSN_NS1_7vsmem_tEENKUlT_SL_SM_SN_E_clIS8_S8_S9_S9_EESK_S10_SL_SM_SN_EUlS10_E1_NS1_11comp_targetILNS1_3genE4ELNS1_11target_archE910ELNS1_3gpuE8ELNS1_3repE0EEENS1_36merge_oddeven_config_static_selectorELNS0_4arch9wavefront6targetE1EEEvSM_ ; -- Begin function _ZN7rocprim17ROCPRIM_400000_NS6detail17trampoline_kernelINS0_14default_configENS1_38merge_sort_block_merge_config_selectorIlNS0_10empty_typeEEEZZNS1_27merge_sort_block_merge_implIS3_PlPS5_mZN2at6native12_GLOBAL__N_124unique_dim_cuda_templateIhEESt5tupleIJNSA_6TensorESF_SF_EERKSF_lbbbEUlllE_EE10hipError_tT0_T1_T2_jT3_P12ihipStream_tbPNSt15iterator_traitsISL_E10value_typeEPNSR_ISM_E10value_typeEPSN_NS1_7vsmem_tEENKUlT_SL_SM_SN_E_clIS8_S8_S9_S9_EESK_S10_SL_SM_SN_EUlS10_E1_NS1_11comp_targetILNS1_3genE4ELNS1_11target_archE910ELNS1_3gpuE8ELNS1_3repE0EEENS1_36merge_oddeven_config_static_selectorELNS0_4arch9wavefront6targetE1EEEvSM_
	.p2align	8
	.type	_ZN7rocprim17ROCPRIM_400000_NS6detail17trampoline_kernelINS0_14default_configENS1_38merge_sort_block_merge_config_selectorIlNS0_10empty_typeEEEZZNS1_27merge_sort_block_merge_implIS3_PlPS5_mZN2at6native12_GLOBAL__N_124unique_dim_cuda_templateIhEESt5tupleIJNSA_6TensorESF_SF_EERKSF_lbbbEUlllE_EE10hipError_tT0_T1_T2_jT3_P12ihipStream_tbPNSt15iterator_traitsISL_E10value_typeEPNSR_ISM_E10value_typeEPSN_NS1_7vsmem_tEENKUlT_SL_SM_SN_E_clIS8_S8_S9_S9_EESK_S10_SL_SM_SN_EUlS10_E1_NS1_11comp_targetILNS1_3genE4ELNS1_11target_archE910ELNS1_3gpuE8ELNS1_3repE0EEENS1_36merge_oddeven_config_static_selectorELNS0_4arch9wavefront6targetE1EEEvSM_,@function
_ZN7rocprim17ROCPRIM_400000_NS6detail17trampoline_kernelINS0_14default_configENS1_38merge_sort_block_merge_config_selectorIlNS0_10empty_typeEEEZZNS1_27merge_sort_block_merge_implIS3_PlPS5_mZN2at6native12_GLOBAL__N_124unique_dim_cuda_templateIhEESt5tupleIJNSA_6TensorESF_SF_EERKSF_lbbbEUlllE_EE10hipError_tT0_T1_T2_jT3_P12ihipStream_tbPNSt15iterator_traitsISL_E10value_typeEPNSR_ISM_E10value_typeEPSN_NS1_7vsmem_tEENKUlT_SL_SM_SN_E_clIS8_S8_S9_S9_EESK_S10_SL_SM_SN_EUlS10_E1_NS1_11comp_targetILNS1_3genE4ELNS1_11target_archE910ELNS1_3gpuE8ELNS1_3repE0EEENS1_36merge_oddeven_config_static_selectorELNS0_4arch9wavefront6targetE1EEEvSM_: ; @_ZN7rocprim17ROCPRIM_400000_NS6detail17trampoline_kernelINS0_14default_configENS1_38merge_sort_block_merge_config_selectorIlNS0_10empty_typeEEEZZNS1_27merge_sort_block_merge_implIS3_PlPS5_mZN2at6native12_GLOBAL__N_124unique_dim_cuda_templateIhEESt5tupleIJNSA_6TensorESF_SF_EERKSF_lbbbEUlllE_EE10hipError_tT0_T1_T2_jT3_P12ihipStream_tbPNSt15iterator_traitsISL_E10value_typeEPNSR_ISM_E10value_typeEPSN_NS1_7vsmem_tEENKUlT_SL_SM_SN_E_clIS8_S8_S9_S9_EESK_S10_SL_SM_SN_EUlS10_E1_NS1_11comp_targetILNS1_3genE4ELNS1_11target_archE910ELNS1_3gpuE8ELNS1_3repE0EEENS1_36merge_oddeven_config_static_selectorELNS0_4arch9wavefront6targetE1EEEvSM_
; %bb.0:
	s_load_dword s18, s[4:5], 0x20
	s_waitcnt lgkmcnt(0)
	s_lshr_b32 s0, s18, 8
	s_cmp_lg_u32 s6, s0
	s_cselect_b64 s[14:15], -1, 0
	s_cmp_eq_u32 s6, s0
	s_cselect_b64 s[2:3], -1, 0
	s_lshl_b32 s16, s6, 8
	s_sub_i32 s0, s18, s16
	v_cmp_gt_u32_e64 s[0:1], s0, v0
	s_or_b64 s[8:9], s[14:15], s[0:1]
	s_and_saveexec_b64 s[10:11], s[8:9]
	s_cbranch_execz .LBB37_54
; %bb.1:
	s_load_dwordx4 s[8:11], s[4:5], 0x0
	s_load_dword s19, s[4:5], 0x28
	s_mov_b32 s17, 0
	s_lshl_b64 s[12:13], s[16:17], 3
	v_lshlrev_b32_e32 v1, 3, v0
	s_waitcnt lgkmcnt(0)
	s_add_u32 s12, s8, s12
	s_addc_u32 s13, s9, s13
	global_load_dwordx2 v[2:3], v1, s[12:13]
	s_lshr_b32 s7, s19, 8
	s_sub_i32 s12, 0, s7
	s_and_b32 s6, s6, s12
	s_and_b32 s7, s6, s7
	s_cmp_lg_u32 s7, 0
	s_cselect_b64 s[12:13], -1, 0
	s_lshl_b32 s17, s6, 8
	s_sub_i32 s6, 0, s19
	s_cmp_eq_u32 s7, 0
	s_cselect_b32 s33, s19, s6
	s_add_i32 s33, s33, s17
	s_cmp_lt_u32 s33, s18
	s_cbranch_scc1 .LBB37_3
; %bb.2:
	v_add_u32_e32 v4, s16, v0
	v_cmp_gt_u32_e32 vcc, s18, v4
	s_or_b64 s[14:15], vcc, s[14:15]
	s_and_b64 s[14:15], s[14:15], exec
	s_cbranch_execz .LBB37_4
	s_branch .LBB37_52
.LBB37_3:
	s_mov_b64 s[14:15], 0
                                        ; implicit-def: $vgpr4
.LBB37_4:
	s_load_dwordx4 s[4:7], s[4:5], 0x30
	s_min_u32 s40, s33, s18
	s_add_i32 s19, s40, s19
	s_min_u32 s41, s19, s18
	s_min_u32 s18, s17, s40
	v_add_u32_e32 v0, s16, v0
	s_add_i32 s17, s17, s40
	v_subrev_u32_e32 v0, s17, v0
	v_add_u32_e32 v14, s18, v0
	s_and_b64 vcc, exec, s[2:3]
	s_cbranch_vccz .LBB37_26
; %bb.5:
                                        ; implicit-def: $vgpr4
	s_and_saveexec_b64 s[16:17], s[0:1]
	s_cbranch_execz .LBB37_29
; %bb.6:
	s_cmp_ge_u32 s33, s41
	v_mov_b32_e32 v15, s40
	s_cbranch_scc1 .LBB37_28
; %bb.7:
	s_waitcnt lgkmcnt(0)
	v_pk_mov_b32 v[0:1], s[6:7], s[6:7] op_sel:[0,1]
	s_waitcnt vmcnt(0)
	v_mad_u64_u32 v[4:5], s[0:1], v2, s4, v[0:1]
	v_mul_lo_u32 v6, v2, s5
	v_mul_lo_u32 v7, v3, s4
	v_add3_u32 v5, v7, v5, v6
	v_cndmask_b32_e64 v6, 0, 1, s[12:13]
	v_cmp_gt_i64_e64 s[2:3], s[4:5], 0
	v_cmp_ne_u32_e64 s[0:1], 1, v6
	v_cndmask_b32_e64 v6, 0, 1, s[2:3]
	s_mov_b64 s[18:19], 0
	v_mov_b32_e32 v16, s41
	v_mov_b32_e32 v15, s40
	v_mov_b32_e32 v7, 0
	v_mov_b32_e32 v17, s9
	v_cmp_ne_u32_e64 s[2:3], 1, v6
	s_branch .LBB37_10
.LBB37_8:                               ;   in Loop: Header=BB37_10 Depth=1
	s_or_b64 exec, exec, s[22:23]
.LBB37_9:                               ;   in Loop: Header=BB37_10 Depth=1
	s_waitcnt vmcnt(0)
	v_add_u32_e32 v8, 1, v6
	v_cndmask_b32_e64 v16, v6, v16, s[20:21]
	v_cndmask_b32_e64 v15, v15, v8, s[20:21]
	v_cmp_ge_u32_e32 vcc, v15, v16
	s_or_b64 s[18:19], vcc, s[18:19]
	s_andn2_b64 exec, exec, s[18:19]
	s_cbranch_execz .LBB37_27
.LBB37_10:                              ; =>This Loop Header: Depth=1
                                        ;     Child Loop BB37_14 Depth 2
                                        ;     Child Loop BB37_23 Depth 2
	v_add_u32_e32 v6, v15, v16
	v_lshrrev_b32_e32 v6, 1, v6
	v_lshlrev_b64 v[8:9], 3, v[6:7]
	v_add_co_u32_e32 v8, vcc, s8, v8
	v_addc_co_u32_e32 v9, vcc, v17, v9, vcc
	global_load_dwordx2 v[8:9], v[8:9], off
	s_and_b64 vcc, exec, s[0:1]
	s_mov_b64 s[22:23], -1
                                        ; implicit-def: $sgpr20_sgpr21
	s_cbranch_vccnz .LBB37_19
; %bb.11:                               ;   in Loop: Header=BB37_10 Depth=1
	s_and_b64 vcc, exec, s[2:3]
	s_cbranch_vccnz .LBB37_17
; %bb.12:                               ;   in Loop: Header=BB37_10 Depth=1
	s_waitcnt vmcnt(0)
	v_mad_u64_u32 v[10:11], s[20:21], v8, s4, v[0:1]
	v_mul_lo_u32 v12, v8, s5
	v_mul_lo_u32 v13, v9, s4
	v_add3_u32 v11, v13, v11, v12
	s_mov_b64 s[22:23], 0
	s_mov_b64 s[28:29], s[4:5]
	v_pk_mov_b32 v[12:13], v[4:5], v[4:5] op_sel:[0,1]
                                        ; implicit-def: $sgpr20_sgpr21
                                        ; implicit-def: $sgpr24_sgpr25
                                        ; implicit-def: $sgpr26_sgpr27
                                        ; implicit-def: $sgpr30_sgpr31
                                        ; implicit-def: $sgpr34_sgpr35
	s_branch .LBB37_14
.LBB37_13:                              ;   in Loop: Header=BB37_14 Depth=2
	s_or_b64 exec, exec, s[36:37]
	s_and_b64 s[36:37], exec, s[24:25]
	s_or_b64 s[22:23], s[36:37], s[22:23]
	s_andn2_b64 s[34:35], s[34:35], exec
	s_and_b64 s[36:37], s[26:27], exec
	s_or_b64 s[34:35], s[34:35], s[36:37]
	s_andn2_b64 s[20:21], s[20:21], exec
	s_and_b64 s[36:37], s[30:31], exec
	s_or_b64 s[20:21], s[20:21], s[36:37]
	s_andn2_b64 exec, exec, s[22:23]
	s_cbranch_execz .LBB37_16
.LBB37_14:                              ;   Parent Loop BB37_10 Depth=1
                                        ; =>  This Inner Loop Header: Depth=2
	global_load_ubyte v18, v[12:13], off
	global_load_ubyte v19, v[10:11], off
	s_andn2_b64 s[30:31], s[30:31], exec
	s_andn2_b64 s[26:27], s[26:27], exec
	s_or_b64 s[24:25], s[24:25], exec
	s_waitcnt vmcnt(0)
	v_cmp_le_u16_sdwa s[38:39], v18, v19 src0_sel:BYTE_0 src1_sel:BYTE_0
	v_cmp_lt_u16_sdwa s[36:37], v18, v19 src0_sel:BYTE_0 src1_sel:BYTE_0
	s_and_b64 s[38:39], s[38:39], s[34:35]
	s_or_b64 s[38:39], s[36:37], s[38:39]
	s_and_b64 s[36:37], s[38:39], exec
	v_cmp_eq_u16_sdwa s[42:43], v18, v19 src0_sel:BYTE_0 src1_sel:BYTE_0
	s_or_b64 s[30:31], s[30:31], s[36:37]
	s_and_saveexec_b64 s[36:37], s[42:43]
	s_cbranch_execz .LBB37_13
; %bb.15:                               ;   in Loop: Header=BB37_14 Depth=2
	s_add_u32 s28, s28, -1
	s_addc_u32 s29, s29, -1
	v_add_co_u32_e32 v12, vcc, 1, v12
	s_cmp_eq_u64 s[28:29], 0
	v_addc_co_u32_e32 v13, vcc, 0, v13, vcc
	s_cselect_b64 s[34:35], -1, 0
	v_add_co_u32_e32 v10, vcc, 1, v10
	s_andn2_b64 s[26:27], s[26:27], exec
	s_and_b64 s[38:39], s[38:39], exec
	s_andn2_b64 s[24:25], s[24:25], exec
	s_and_b64 s[34:35], s[34:35], exec
	v_addc_co_u32_e32 v11, vcc, 0, v11, vcc
	s_andn2_b64 s[30:31], s[30:31], exec
	s_or_b64 s[26:27], s[26:27], s[38:39]
	s_or_b64 s[24:25], s[24:25], s[34:35]
                                        ; implicit-def: $sgpr34_sgpr35
	s_branch .LBB37_13
.LBB37_16:                              ;   in Loop: Header=BB37_10 Depth=1
	s_or_b64 exec, exec, s[22:23]
	s_branch .LBB37_18
.LBB37_17:                              ;   in Loop: Header=BB37_10 Depth=1
	s_mov_b64 s[20:21], 0
.LBB37_18:                              ;   in Loop: Header=BB37_10 Depth=1
	s_xor_b64 s[20:21], s[20:21], -1
	s_mov_b64 s[22:23], 0
.LBB37_19:                              ;   in Loop: Header=BB37_10 Depth=1
	s_and_b64 vcc, exec, s[22:23]
	s_cbranch_vccz .LBB37_9
; %bb.20:                               ;   in Loop: Header=BB37_10 Depth=1
	s_and_b64 vcc, exec, s[2:3]
	s_cbranch_vccnz .LBB37_25
; %bb.21:                               ;   in Loop: Header=BB37_10 Depth=1
	s_waitcnt vmcnt(0)
	v_mad_u64_u32 v[10:11], s[20:21], v8, s4, v[0:1]
	v_mul_lo_u32 v8, v8, s5
	v_mul_lo_u32 v9, v9, s4
	v_add3_u32 v11, v9, v11, v8
	s_mov_b64 s[22:23], 0
	s_mov_b64 s[28:29], s[4:5]
	v_pk_mov_b32 v[8:9], v[4:5], v[4:5] op_sel:[0,1]
                                        ; implicit-def: $sgpr20_sgpr21
                                        ; implicit-def: $sgpr24_sgpr25
                                        ; implicit-def: $sgpr26_sgpr27
                                        ; implicit-def: $sgpr30_sgpr31
                                        ; implicit-def: $sgpr34_sgpr35
	s_branch .LBB37_23
.LBB37_22:                              ;   in Loop: Header=BB37_23 Depth=2
	s_or_b64 exec, exec, s[36:37]
	s_and_b64 s[36:37], exec, s[24:25]
	s_or_b64 s[22:23], s[36:37], s[22:23]
	s_andn2_b64 s[34:35], s[34:35], exec
	s_and_b64 s[36:37], s[26:27], exec
	s_or_b64 s[34:35], s[34:35], s[36:37]
	s_andn2_b64 s[20:21], s[20:21], exec
	s_and_b64 s[36:37], s[30:31], exec
	s_or_b64 s[20:21], s[20:21], s[36:37]
	s_andn2_b64 exec, exec, s[22:23]
	s_cbranch_execz .LBB37_8
.LBB37_23:                              ;   Parent Loop BB37_10 Depth=1
                                        ; =>  This Inner Loop Header: Depth=2
	global_load_ubyte v12, v[10:11], off
	global_load_ubyte v13, v[8:9], off
	s_andn2_b64 s[30:31], s[30:31], exec
	s_andn2_b64 s[26:27], s[26:27], exec
	s_or_b64 s[24:25], s[24:25], exec
	s_waitcnt vmcnt(0)
	v_cmp_le_u16_sdwa s[38:39], v12, v13 src0_sel:BYTE_0 src1_sel:BYTE_0
	v_cmp_lt_u16_sdwa s[36:37], v12, v13 src0_sel:BYTE_0 src1_sel:BYTE_0
	s_and_b64 s[38:39], s[38:39], s[34:35]
	s_or_b64 s[38:39], s[36:37], s[38:39]
	s_and_b64 s[36:37], s[38:39], exec
	v_cmp_eq_u16_sdwa s[42:43], v12, v13 src0_sel:BYTE_0 src1_sel:BYTE_0
	s_or_b64 s[30:31], s[30:31], s[36:37]
	s_and_saveexec_b64 s[36:37], s[42:43]
	s_cbranch_execz .LBB37_22
; %bb.24:                               ;   in Loop: Header=BB37_23 Depth=2
	s_add_u32 s28, s28, -1
	s_addc_u32 s29, s29, -1
	v_add_co_u32_e32 v10, vcc, 1, v10
	s_cmp_eq_u64 s[28:29], 0
	v_addc_co_u32_e32 v11, vcc, 0, v11, vcc
	s_cselect_b64 s[34:35], -1, 0
	v_add_co_u32_e32 v8, vcc, 1, v8
	s_andn2_b64 s[26:27], s[26:27], exec
	s_and_b64 s[38:39], s[38:39], exec
	s_andn2_b64 s[24:25], s[24:25], exec
	s_and_b64 s[34:35], s[34:35], exec
	v_addc_co_u32_e32 v9, vcc, 0, v9, vcc
	s_andn2_b64 s[30:31], s[30:31], exec
	s_or_b64 s[26:27], s[26:27], s[38:39]
	s_or_b64 s[24:25], s[24:25], s[34:35]
                                        ; implicit-def: $sgpr34_sgpr35
	s_branch .LBB37_22
.LBB37_25:                              ;   in Loop: Header=BB37_10 Depth=1
	s_mov_b64 s[20:21], 0
	s_branch .LBB37_9
.LBB37_26:
                                        ; implicit-def: $vgpr4
	s_cbranch_execnz .LBB37_30
	s_branch .LBB37_52
.LBB37_27:
	s_or_b64 exec, exec, s[18:19]
.LBB37_28:
	v_add_u32_e32 v4, v15, v14
	s_or_b64 s[14:15], s[14:15], exec
.LBB37_29:
	s_or_b64 exec, exec, s[16:17]
	s_branch .LBB37_52
.LBB37_30:
	s_cmp_ge_u32 s33, s41
	v_mov_b32_e32 v15, s40
	s_cbranch_scc1 .LBB37_51
; %bb.31:
	s_waitcnt lgkmcnt(0)
	v_pk_mov_b32 v[0:1], s[6:7], s[6:7] op_sel:[0,1]
	s_waitcnt vmcnt(0)
	v_mad_u64_u32 v[4:5], s[0:1], v2, s4, v[0:1]
	v_mul_lo_u32 v6, v2, s5
	v_mul_lo_u32 v7, v3, s4
	v_add3_u32 v5, v7, v5, v6
	v_cndmask_b32_e64 v6, 0, 1, s[12:13]
	v_cmp_gt_i64_e64 s[2:3], s[4:5], 0
	v_cmp_ne_u32_e64 s[0:1], 1, v6
	v_cndmask_b32_e64 v6, 0, 1, s[2:3]
	s_mov_b64 s[14:15], 0
	v_mov_b32_e32 v16, s41
	v_mov_b32_e32 v15, s40
	;; [unrolled: 1-line block ×4, first 2 shown]
	v_cmp_ne_u32_e64 s[2:3], 1, v6
	s_branch .LBB37_34
.LBB37_32:                              ;   in Loop: Header=BB37_34 Depth=1
	s_or_b64 exec, exec, s[12:13]
.LBB37_33:                              ;   in Loop: Header=BB37_34 Depth=1
	s_waitcnt vmcnt(0)
	v_add_u32_e32 v8, 1, v6
	v_cndmask_b32_e64 v16, v6, v16, s[6:7]
	v_cndmask_b32_e64 v15, v15, v8, s[6:7]
	v_cmp_ge_u32_e32 vcc, v15, v16
	s_or_b64 s[14:15], vcc, s[14:15]
	s_andn2_b64 exec, exec, s[14:15]
	s_cbranch_execz .LBB37_50
.LBB37_34:                              ; =>This Loop Header: Depth=1
                                        ;     Child Loop BB37_38 Depth 2
                                        ;     Child Loop BB37_47 Depth 2
	v_add_u32_e32 v6, v15, v16
	v_lshrrev_b32_e32 v6, 1, v6
	v_lshlrev_b64 v[8:9], 3, v[6:7]
	v_add_co_u32_e32 v8, vcc, s8, v8
	v_addc_co_u32_e32 v9, vcc, v17, v9, vcc
	global_load_dwordx2 v[8:9], v[8:9], off
	s_and_b64 vcc, exec, s[0:1]
	s_mov_b64 s[12:13], -1
                                        ; implicit-def: $sgpr6_sgpr7
	s_cbranch_vccnz .LBB37_43
; %bb.35:                               ;   in Loop: Header=BB37_34 Depth=1
	s_and_b64 vcc, exec, s[2:3]
	s_cbranch_vccnz .LBB37_41
; %bb.36:                               ;   in Loop: Header=BB37_34 Depth=1
	s_waitcnt vmcnt(0)
	v_mad_u64_u32 v[10:11], s[6:7], v8, s4, v[0:1]
	v_mul_lo_u32 v12, v8, s5
	v_mul_lo_u32 v13, v9, s4
	v_add3_u32 v11, v13, v11, v12
	s_mov_b64 s[12:13], 0
	s_mov_b64 s[20:21], s[4:5]
	v_pk_mov_b32 v[12:13], v[4:5], v[4:5] op_sel:[0,1]
                                        ; implicit-def: $sgpr6_sgpr7
                                        ; implicit-def: $sgpr16_sgpr17
                                        ; implicit-def: $sgpr18_sgpr19
                                        ; implicit-def: $sgpr22_sgpr23
                                        ; implicit-def: $sgpr24_sgpr25
	s_branch .LBB37_38
.LBB37_37:                              ;   in Loop: Header=BB37_38 Depth=2
	s_or_b64 exec, exec, s[26:27]
	s_and_b64 s[26:27], exec, s[16:17]
	s_or_b64 s[12:13], s[26:27], s[12:13]
	s_andn2_b64 s[24:25], s[24:25], exec
	s_and_b64 s[26:27], s[18:19], exec
	s_or_b64 s[24:25], s[24:25], s[26:27]
	s_andn2_b64 s[6:7], s[6:7], exec
	s_and_b64 s[26:27], s[22:23], exec
	s_or_b64 s[6:7], s[6:7], s[26:27]
	s_andn2_b64 exec, exec, s[12:13]
	s_cbranch_execz .LBB37_40
.LBB37_38:                              ;   Parent Loop BB37_34 Depth=1
                                        ; =>  This Inner Loop Header: Depth=2
	global_load_ubyte v18, v[12:13], off
	global_load_ubyte v19, v[10:11], off
	s_andn2_b64 s[22:23], s[22:23], exec
	s_andn2_b64 s[18:19], s[18:19], exec
	s_or_b64 s[16:17], s[16:17], exec
	s_waitcnt vmcnt(0)
	v_cmp_le_u16_sdwa s[28:29], v18, v19 src0_sel:BYTE_0 src1_sel:BYTE_0
	v_cmp_lt_u16_sdwa s[26:27], v18, v19 src0_sel:BYTE_0 src1_sel:BYTE_0
	s_and_b64 s[28:29], s[28:29], s[24:25]
	s_or_b64 s[28:29], s[26:27], s[28:29]
	s_and_b64 s[26:27], s[28:29], exec
	v_cmp_eq_u16_sdwa s[30:31], v18, v19 src0_sel:BYTE_0 src1_sel:BYTE_0
	s_or_b64 s[22:23], s[22:23], s[26:27]
	s_and_saveexec_b64 s[26:27], s[30:31]
	s_cbranch_execz .LBB37_37
; %bb.39:                               ;   in Loop: Header=BB37_38 Depth=2
	s_add_u32 s20, s20, -1
	s_addc_u32 s21, s21, -1
	v_add_co_u32_e32 v12, vcc, 1, v12
	s_cmp_eq_u64 s[20:21], 0
	v_addc_co_u32_e32 v13, vcc, 0, v13, vcc
	s_cselect_b64 s[24:25], -1, 0
	v_add_co_u32_e32 v10, vcc, 1, v10
	s_andn2_b64 s[18:19], s[18:19], exec
	s_and_b64 s[28:29], s[28:29], exec
	s_andn2_b64 s[16:17], s[16:17], exec
	s_and_b64 s[24:25], s[24:25], exec
	v_addc_co_u32_e32 v11, vcc, 0, v11, vcc
	s_andn2_b64 s[22:23], s[22:23], exec
	s_or_b64 s[18:19], s[18:19], s[28:29]
	s_or_b64 s[16:17], s[16:17], s[24:25]
                                        ; implicit-def: $sgpr24_sgpr25
	s_branch .LBB37_37
.LBB37_40:                              ;   in Loop: Header=BB37_34 Depth=1
	s_or_b64 exec, exec, s[12:13]
	s_branch .LBB37_42
.LBB37_41:                              ;   in Loop: Header=BB37_34 Depth=1
	s_mov_b64 s[6:7], 0
.LBB37_42:                              ;   in Loop: Header=BB37_34 Depth=1
	s_xor_b64 s[6:7], s[6:7], -1
	s_mov_b64 s[12:13], 0
.LBB37_43:                              ;   in Loop: Header=BB37_34 Depth=1
	s_and_b64 vcc, exec, s[12:13]
	s_cbranch_vccz .LBB37_33
; %bb.44:                               ;   in Loop: Header=BB37_34 Depth=1
	s_and_b64 vcc, exec, s[2:3]
	s_cbranch_vccnz .LBB37_49
; %bb.45:                               ;   in Loop: Header=BB37_34 Depth=1
	s_waitcnt vmcnt(0)
	v_mad_u64_u32 v[10:11], s[6:7], v8, s4, v[0:1]
	v_mul_lo_u32 v8, v8, s5
	v_mul_lo_u32 v9, v9, s4
	v_add3_u32 v11, v9, v11, v8
	s_mov_b64 s[12:13], 0
	s_mov_b64 s[20:21], s[4:5]
	v_pk_mov_b32 v[8:9], v[4:5], v[4:5] op_sel:[0,1]
                                        ; implicit-def: $sgpr6_sgpr7
                                        ; implicit-def: $sgpr16_sgpr17
                                        ; implicit-def: $sgpr18_sgpr19
                                        ; implicit-def: $sgpr22_sgpr23
                                        ; implicit-def: $sgpr24_sgpr25
	s_branch .LBB37_47
.LBB37_46:                              ;   in Loop: Header=BB37_47 Depth=2
	s_or_b64 exec, exec, s[26:27]
	s_and_b64 s[26:27], exec, s[16:17]
	s_or_b64 s[12:13], s[26:27], s[12:13]
	s_andn2_b64 s[24:25], s[24:25], exec
	s_and_b64 s[26:27], s[18:19], exec
	s_or_b64 s[24:25], s[24:25], s[26:27]
	s_andn2_b64 s[6:7], s[6:7], exec
	s_and_b64 s[26:27], s[22:23], exec
	s_or_b64 s[6:7], s[6:7], s[26:27]
	s_andn2_b64 exec, exec, s[12:13]
	s_cbranch_execz .LBB37_32
.LBB37_47:                              ;   Parent Loop BB37_34 Depth=1
                                        ; =>  This Inner Loop Header: Depth=2
	global_load_ubyte v12, v[10:11], off
	global_load_ubyte v13, v[8:9], off
	s_andn2_b64 s[22:23], s[22:23], exec
	s_andn2_b64 s[18:19], s[18:19], exec
	s_or_b64 s[16:17], s[16:17], exec
	s_waitcnt vmcnt(0)
	v_cmp_le_u16_sdwa s[28:29], v12, v13 src0_sel:BYTE_0 src1_sel:BYTE_0
	v_cmp_lt_u16_sdwa s[26:27], v12, v13 src0_sel:BYTE_0 src1_sel:BYTE_0
	s_and_b64 s[28:29], s[28:29], s[24:25]
	s_or_b64 s[28:29], s[26:27], s[28:29]
	s_and_b64 s[26:27], s[28:29], exec
	v_cmp_eq_u16_sdwa s[30:31], v12, v13 src0_sel:BYTE_0 src1_sel:BYTE_0
	s_or_b64 s[22:23], s[22:23], s[26:27]
	s_and_saveexec_b64 s[26:27], s[30:31]
	s_cbranch_execz .LBB37_46
; %bb.48:                               ;   in Loop: Header=BB37_47 Depth=2
	s_add_u32 s20, s20, -1
	s_addc_u32 s21, s21, -1
	v_add_co_u32_e32 v10, vcc, 1, v10
	s_cmp_eq_u64 s[20:21], 0
	v_addc_co_u32_e32 v11, vcc, 0, v11, vcc
	s_cselect_b64 s[24:25], -1, 0
	v_add_co_u32_e32 v8, vcc, 1, v8
	s_andn2_b64 s[18:19], s[18:19], exec
	s_and_b64 s[28:29], s[28:29], exec
	s_andn2_b64 s[16:17], s[16:17], exec
	s_and_b64 s[24:25], s[24:25], exec
	v_addc_co_u32_e32 v9, vcc, 0, v9, vcc
	s_andn2_b64 s[22:23], s[22:23], exec
	s_or_b64 s[18:19], s[18:19], s[28:29]
	s_or_b64 s[16:17], s[16:17], s[24:25]
                                        ; implicit-def: $sgpr24_sgpr25
	s_branch .LBB37_46
.LBB37_49:                              ;   in Loop: Header=BB37_34 Depth=1
	s_mov_b64 s[6:7], 0
	s_branch .LBB37_33
.LBB37_50:
	s_or_b64 exec, exec, s[14:15]
.LBB37_51:
	v_add_u32_e32 v4, v15, v14
	s_mov_b64 s[14:15], -1
.LBB37_52:
	s_and_b64 exec, exec, s[14:15]
	s_cbranch_execz .LBB37_54
; %bb.53:
	v_mov_b32_e32 v5, 0
	v_lshlrev_b64 v[0:1], 3, v[4:5]
	v_mov_b32_e32 v4, s11
	v_add_co_u32_e32 v0, vcc, s10, v0
	v_addc_co_u32_e32 v1, vcc, v4, v1, vcc
	s_waitcnt vmcnt(0)
	global_store_dwordx2 v[0:1], v[2:3], off
.LBB37_54:
	s_endpgm
	.section	.rodata,"a",@progbits
	.p2align	6, 0x0
	.amdhsa_kernel _ZN7rocprim17ROCPRIM_400000_NS6detail17trampoline_kernelINS0_14default_configENS1_38merge_sort_block_merge_config_selectorIlNS0_10empty_typeEEEZZNS1_27merge_sort_block_merge_implIS3_PlPS5_mZN2at6native12_GLOBAL__N_124unique_dim_cuda_templateIhEESt5tupleIJNSA_6TensorESF_SF_EERKSF_lbbbEUlllE_EE10hipError_tT0_T1_T2_jT3_P12ihipStream_tbPNSt15iterator_traitsISL_E10value_typeEPNSR_ISM_E10value_typeEPSN_NS1_7vsmem_tEENKUlT_SL_SM_SN_E_clIS8_S8_S9_S9_EESK_S10_SL_SM_SN_EUlS10_E1_NS1_11comp_targetILNS1_3genE4ELNS1_11target_archE910ELNS1_3gpuE8ELNS1_3repE0EEENS1_36merge_oddeven_config_static_selectorELNS0_4arch9wavefront6targetE1EEEvSM_
		.amdhsa_group_segment_fixed_size 0
		.amdhsa_private_segment_fixed_size 0
		.amdhsa_kernarg_size 64
		.amdhsa_user_sgpr_count 6
		.amdhsa_user_sgpr_private_segment_buffer 1
		.amdhsa_user_sgpr_dispatch_ptr 0
		.amdhsa_user_sgpr_queue_ptr 0
		.amdhsa_user_sgpr_kernarg_segment_ptr 1
		.amdhsa_user_sgpr_dispatch_id 0
		.amdhsa_user_sgpr_flat_scratch_init 0
		.amdhsa_user_sgpr_kernarg_preload_length 0
		.amdhsa_user_sgpr_kernarg_preload_offset 0
		.amdhsa_user_sgpr_private_segment_size 0
		.amdhsa_uses_dynamic_stack 0
		.amdhsa_system_sgpr_private_segment_wavefront_offset 0
		.amdhsa_system_sgpr_workgroup_id_x 1
		.amdhsa_system_sgpr_workgroup_id_y 0
		.amdhsa_system_sgpr_workgroup_id_z 0
		.amdhsa_system_sgpr_workgroup_info 0
		.amdhsa_system_vgpr_workitem_id 0
		.amdhsa_next_free_vgpr 20
		.amdhsa_next_free_sgpr 44
		.amdhsa_accum_offset 20
		.amdhsa_reserve_vcc 1
		.amdhsa_reserve_flat_scratch 0
		.amdhsa_float_round_mode_32 0
		.amdhsa_float_round_mode_16_64 0
		.amdhsa_float_denorm_mode_32 3
		.amdhsa_float_denorm_mode_16_64 3
		.amdhsa_dx10_clamp 1
		.amdhsa_ieee_mode 1
		.amdhsa_fp16_overflow 0
		.amdhsa_tg_split 0
		.amdhsa_exception_fp_ieee_invalid_op 0
		.amdhsa_exception_fp_denorm_src 0
		.amdhsa_exception_fp_ieee_div_zero 0
		.amdhsa_exception_fp_ieee_overflow 0
		.amdhsa_exception_fp_ieee_underflow 0
		.amdhsa_exception_fp_ieee_inexact 0
		.amdhsa_exception_int_div_zero 0
	.end_amdhsa_kernel
	.section	.text._ZN7rocprim17ROCPRIM_400000_NS6detail17trampoline_kernelINS0_14default_configENS1_38merge_sort_block_merge_config_selectorIlNS0_10empty_typeEEEZZNS1_27merge_sort_block_merge_implIS3_PlPS5_mZN2at6native12_GLOBAL__N_124unique_dim_cuda_templateIhEESt5tupleIJNSA_6TensorESF_SF_EERKSF_lbbbEUlllE_EE10hipError_tT0_T1_T2_jT3_P12ihipStream_tbPNSt15iterator_traitsISL_E10value_typeEPNSR_ISM_E10value_typeEPSN_NS1_7vsmem_tEENKUlT_SL_SM_SN_E_clIS8_S8_S9_S9_EESK_S10_SL_SM_SN_EUlS10_E1_NS1_11comp_targetILNS1_3genE4ELNS1_11target_archE910ELNS1_3gpuE8ELNS1_3repE0EEENS1_36merge_oddeven_config_static_selectorELNS0_4arch9wavefront6targetE1EEEvSM_,"axG",@progbits,_ZN7rocprim17ROCPRIM_400000_NS6detail17trampoline_kernelINS0_14default_configENS1_38merge_sort_block_merge_config_selectorIlNS0_10empty_typeEEEZZNS1_27merge_sort_block_merge_implIS3_PlPS5_mZN2at6native12_GLOBAL__N_124unique_dim_cuda_templateIhEESt5tupleIJNSA_6TensorESF_SF_EERKSF_lbbbEUlllE_EE10hipError_tT0_T1_T2_jT3_P12ihipStream_tbPNSt15iterator_traitsISL_E10value_typeEPNSR_ISM_E10value_typeEPSN_NS1_7vsmem_tEENKUlT_SL_SM_SN_E_clIS8_S8_S9_S9_EESK_S10_SL_SM_SN_EUlS10_E1_NS1_11comp_targetILNS1_3genE4ELNS1_11target_archE910ELNS1_3gpuE8ELNS1_3repE0EEENS1_36merge_oddeven_config_static_selectorELNS0_4arch9wavefront6targetE1EEEvSM_,comdat
.Lfunc_end37:
	.size	_ZN7rocprim17ROCPRIM_400000_NS6detail17trampoline_kernelINS0_14default_configENS1_38merge_sort_block_merge_config_selectorIlNS0_10empty_typeEEEZZNS1_27merge_sort_block_merge_implIS3_PlPS5_mZN2at6native12_GLOBAL__N_124unique_dim_cuda_templateIhEESt5tupleIJNSA_6TensorESF_SF_EERKSF_lbbbEUlllE_EE10hipError_tT0_T1_T2_jT3_P12ihipStream_tbPNSt15iterator_traitsISL_E10value_typeEPNSR_ISM_E10value_typeEPSN_NS1_7vsmem_tEENKUlT_SL_SM_SN_E_clIS8_S8_S9_S9_EESK_S10_SL_SM_SN_EUlS10_E1_NS1_11comp_targetILNS1_3genE4ELNS1_11target_archE910ELNS1_3gpuE8ELNS1_3repE0EEENS1_36merge_oddeven_config_static_selectorELNS0_4arch9wavefront6targetE1EEEvSM_, .Lfunc_end37-_ZN7rocprim17ROCPRIM_400000_NS6detail17trampoline_kernelINS0_14default_configENS1_38merge_sort_block_merge_config_selectorIlNS0_10empty_typeEEEZZNS1_27merge_sort_block_merge_implIS3_PlPS5_mZN2at6native12_GLOBAL__N_124unique_dim_cuda_templateIhEESt5tupleIJNSA_6TensorESF_SF_EERKSF_lbbbEUlllE_EE10hipError_tT0_T1_T2_jT3_P12ihipStream_tbPNSt15iterator_traitsISL_E10value_typeEPNSR_ISM_E10value_typeEPSN_NS1_7vsmem_tEENKUlT_SL_SM_SN_E_clIS8_S8_S9_S9_EESK_S10_SL_SM_SN_EUlS10_E1_NS1_11comp_targetILNS1_3genE4ELNS1_11target_archE910ELNS1_3gpuE8ELNS1_3repE0EEENS1_36merge_oddeven_config_static_selectorELNS0_4arch9wavefront6targetE1EEEvSM_
                                        ; -- End function
	.section	.AMDGPU.csdata,"",@progbits
; Kernel info:
; codeLenInByte = 1836
; NumSgprs: 48
; NumVgprs: 20
; NumAgprs: 0
; TotalNumVgprs: 20
; ScratchSize: 0
; MemoryBound: 0
; FloatMode: 240
; IeeeMode: 1
; LDSByteSize: 0 bytes/workgroup (compile time only)
; SGPRBlocks: 5
; VGPRBlocks: 2
; NumSGPRsForWavesPerEU: 48
; NumVGPRsForWavesPerEU: 20
; AccumOffset: 20
; Occupancy: 8
; WaveLimiterHint : 0
; COMPUTE_PGM_RSRC2:SCRATCH_EN: 0
; COMPUTE_PGM_RSRC2:USER_SGPR: 6
; COMPUTE_PGM_RSRC2:TRAP_HANDLER: 0
; COMPUTE_PGM_RSRC2:TGID_X_EN: 1
; COMPUTE_PGM_RSRC2:TGID_Y_EN: 0
; COMPUTE_PGM_RSRC2:TGID_Z_EN: 0
; COMPUTE_PGM_RSRC2:TIDIG_COMP_CNT: 0
; COMPUTE_PGM_RSRC3_GFX90A:ACCUM_OFFSET: 4
; COMPUTE_PGM_RSRC3_GFX90A:TG_SPLIT: 0
	.section	.text._ZN7rocprim17ROCPRIM_400000_NS6detail17trampoline_kernelINS0_14default_configENS1_38merge_sort_block_merge_config_selectorIlNS0_10empty_typeEEEZZNS1_27merge_sort_block_merge_implIS3_PlPS5_mZN2at6native12_GLOBAL__N_124unique_dim_cuda_templateIhEESt5tupleIJNSA_6TensorESF_SF_EERKSF_lbbbEUlllE_EE10hipError_tT0_T1_T2_jT3_P12ihipStream_tbPNSt15iterator_traitsISL_E10value_typeEPNSR_ISM_E10value_typeEPSN_NS1_7vsmem_tEENKUlT_SL_SM_SN_E_clIS8_S8_S9_S9_EESK_S10_SL_SM_SN_EUlS10_E1_NS1_11comp_targetILNS1_3genE3ELNS1_11target_archE908ELNS1_3gpuE7ELNS1_3repE0EEENS1_36merge_oddeven_config_static_selectorELNS0_4arch9wavefront6targetE1EEEvSM_,"axG",@progbits,_ZN7rocprim17ROCPRIM_400000_NS6detail17trampoline_kernelINS0_14default_configENS1_38merge_sort_block_merge_config_selectorIlNS0_10empty_typeEEEZZNS1_27merge_sort_block_merge_implIS3_PlPS5_mZN2at6native12_GLOBAL__N_124unique_dim_cuda_templateIhEESt5tupleIJNSA_6TensorESF_SF_EERKSF_lbbbEUlllE_EE10hipError_tT0_T1_T2_jT3_P12ihipStream_tbPNSt15iterator_traitsISL_E10value_typeEPNSR_ISM_E10value_typeEPSN_NS1_7vsmem_tEENKUlT_SL_SM_SN_E_clIS8_S8_S9_S9_EESK_S10_SL_SM_SN_EUlS10_E1_NS1_11comp_targetILNS1_3genE3ELNS1_11target_archE908ELNS1_3gpuE7ELNS1_3repE0EEENS1_36merge_oddeven_config_static_selectorELNS0_4arch9wavefront6targetE1EEEvSM_,comdat
	.globl	_ZN7rocprim17ROCPRIM_400000_NS6detail17trampoline_kernelINS0_14default_configENS1_38merge_sort_block_merge_config_selectorIlNS0_10empty_typeEEEZZNS1_27merge_sort_block_merge_implIS3_PlPS5_mZN2at6native12_GLOBAL__N_124unique_dim_cuda_templateIhEESt5tupleIJNSA_6TensorESF_SF_EERKSF_lbbbEUlllE_EE10hipError_tT0_T1_T2_jT3_P12ihipStream_tbPNSt15iterator_traitsISL_E10value_typeEPNSR_ISM_E10value_typeEPSN_NS1_7vsmem_tEENKUlT_SL_SM_SN_E_clIS8_S8_S9_S9_EESK_S10_SL_SM_SN_EUlS10_E1_NS1_11comp_targetILNS1_3genE3ELNS1_11target_archE908ELNS1_3gpuE7ELNS1_3repE0EEENS1_36merge_oddeven_config_static_selectorELNS0_4arch9wavefront6targetE1EEEvSM_ ; -- Begin function _ZN7rocprim17ROCPRIM_400000_NS6detail17trampoline_kernelINS0_14default_configENS1_38merge_sort_block_merge_config_selectorIlNS0_10empty_typeEEEZZNS1_27merge_sort_block_merge_implIS3_PlPS5_mZN2at6native12_GLOBAL__N_124unique_dim_cuda_templateIhEESt5tupleIJNSA_6TensorESF_SF_EERKSF_lbbbEUlllE_EE10hipError_tT0_T1_T2_jT3_P12ihipStream_tbPNSt15iterator_traitsISL_E10value_typeEPNSR_ISM_E10value_typeEPSN_NS1_7vsmem_tEENKUlT_SL_SM_SN_E_clIS8_S8_S9_S9_EESK_S10_SL_SM_SN_EUlS10_E1_NS1_11comp_targetILNS1_3genE3ELNS1_11target_archE908ELNS1_3gpuE7ELNS1_3repE0EEENS1_36merge_oddeven_config_static_selectorELNS0_4arch9wavefront6targetE1EEEvSM_
	.p2align	8
	.type	_ZN7rocprim17ROCPRIM_400000_NS6detail17trampoline_kernelINS0_14default_configENS1_38merge_sort_block_merge_config_selectorIlNS0_10empty_typeEEEZZNS1_27merge_sort_block_merge_implIS3_PlPS5_mZN2at6native12_GLOBAL__N_124unique_dim_cuda_templateIhEESt5tupleIJNSA_6TensorESF_SF_EERKSF_lbbbEUlllE_EE10hipError_tT0_T1_T2_jT3_P12ihipStream_tbPNSt15iterator_traitsISL_E10value_typeEPNSR_ISM_E10value_typeEPSN_NS1_7vsmem_tEENKUlT_SL_SM_SN_E_clIS8_S8_S9_S9_EESK_S10_SL_SM_SN_EUlS10_E1_NS1_11comp_targetILNS1_3genE3ELNS1_11target_archE908ELNS1_3gpuE7ELNS1_3repE0EEENS1_36merge_oddeven_config_static_selectorELNS0_4arch9wavefront6targetE1EEEvSM_,@function
_ZN7rocprim17ROCPRIM_400000_NS6detail17trampoline_kernelINS0_14default_configENS1_38merge_sort_block_merge_config_selectorIlNS0_10empty_typeEEEZZNS1_27merge_sort_block_merge_implIS3_PlPS5_mZN2at6native12_GLOBAL__N_124unique_dim_cuda_templateIhEESt5tupleIJNSA_6TensorESF_SF_EERKSF_lbbbEUlllE_EE10hipError_tT0_T1_T2_jT3_P12ihipStream_tbPNSt15iterator_traitsISL_E10value_typeEPNSR_ISM_E10value_typeEPSN_NS1_7vsmem_tEENKUlT_SL_SM_SN_E_clIS8_S8_S9_S9_EESK_S10_SL_SM_SN_EUlS10_E1_NS1_11comp_targetILNS1_3genE3ELNS1_11target_archE908ELNS1_3gpuE7ELNS1_3repE0EEENS1_36merge_oddeven_config_static_selectorELNS0_4arch9wavefront6targetE1EEEvSM_: ; @_ZN7rocprim17ROCPRIM_400000_NS6detail17trampoline_kernelINS0_14default_configENS1_38merge_sort_block_merge_config_selectorIlNS0_10empty_typeEEEZZNS1_27merge_sort_block_merge_implIS3_PlPS5_mZN2at6native12_GLOBAL__N_124unique_dim_cuda_templateIhEESt5tupleIJNSA_6TensorESF_SF_EERKSF_lbbbEUlllE_EE10hipError_tT0_T1_T2_jT3_P12ihipStream_tbPNSt15iterator_traitsISL_E10value_typeEPNSR_ISM_E10value_typeEPSN_NS1_7vsmem_tEENKUlT_SL_SM_SN_E_clIS8_S8_S9_S9_EESK_S10_SL_SM_SN_EUlS10_E1_NS1_11comp_targetILNS1_3genE3ELNS1_11target_archE908ELNS1_3gpuE7ELNS1_3repE0EEENS1_36merge_oddeven_config_static_selectorELNS0_4arch9wavefront6targetE1EEEvSM_
; %bb.0:
	.section	.rodata,"a",@progbits
	.p2align	6, 0x0
	.amdhsa_kernel _ZN7rocprim17ROCPRIM_400000_NS6detail17trampoline_kernelINS0_14default_configENS1_38merge_sort_block_merge_config_selectorIlNS0_10empty_typeEEEZZNS1_27merge_sort_block_merge_implIS3_PlPS5_mZN2at6native12_GLOBAL__N_124unique_dim_cuda_templateIhEESt5tupleIJNSA_6TensorESF_SF_EERKSF_lbbbEUlllE_EE10hipError_tT0_T1_T2_jT3_P12ihipStream_tbPNSt15iterator_traitsISL_E10value_typeEPNSR_ISM_E10value_typeEPSN_NS1_7vsmem_tEENKUlT_SL_SM_SN_E_clIS8_S8_S9_S9_EESK_S10_SL_SM_SN_EUlS10_E1_NS1_11comp_targetILNS1_3genE3ELNS1_11target_archE908ELNS1_3gpuE7ELNS1_3repE0EEENS1_36merge_oddeven_config_static_selectorELNS0_4arch9wavefront6targetE1EEEvSM_
		.amdhsa_group_segment_fixed_size 0
		.amdhsa_private_segment_fixed_size 0
		.amdhsa_kernarg_size 64
		.amdhsa_user_sgpr_count 6
		.amdhsa_user_sgpr_private_segment_buffer 1
		.amdhsa_user_sgpr_dispatch_ptr 0
		.amdhsa_user_sgpr_queue_ptr 0
		.amdhsa_user_sgpr_kernarg_segment_ptr 1
		.amdhsa_user_sgpr_dispatch_id 0
		.amdhsa_user_sgpr_flat_scratch_init 0
		.amdhsa_user_sgpr_kernarg_preload_length 0
		.amdhsa_user_sgpr_kernarg_preload_offset 0
		.amdhsa_user_sgpr_private_segment_size 0
		.amdhsa_uses_dynamic_stack 0
		.amdhsa_system_sgpr_private_segment_wavefront_offset 0
		.amdhsa_system_sgpr_workgroup_id_x 1
		.amdhsa_system_sgpr_workgroup_id_y 0
		.amdhsa_system_sgpr_workgroup_id_z 0
		.amdhsa_system_sgpr_workgroup_info 0
		.amdhsa_system_vgpr_workitem_id 0
		.amdhsa_next_free_vgpr 1
		.amdhsa_next_free_sgpr 0
		.amdhsa_accum_offset 4
		.amdhsa_reserve_vcc 0
		.amdhsa_reserve_flat_scratch 0
		.amdhsa_float_round_mode_32 0
		.amdhsa_float_round_mode_16_64 0
		.amdhsa_float_denorm_mode_32 3
		.amdhsa_float_denorm_mode_16_64 3
		.amdhsa_dx10_clamp 1
		.amdhsa_ieee_mode 1
		.amdhsa_fp16_overflow 0
		.amdhsa_tg_split 0
		.amdhsa_exception_fp_ieee_invalid_op 0
		.amdhsa_exception_fp_denorm_src 0
		.amdhsa_exception_fp_ieee_div_zero 0
		.amdhsa_exception_fp_ieee_overflow 0
		.amdhsa_exception_fp_ieee_underflow 0
		.amdhsa_exception_fp_ieee_inexact 0
		.amdhsa_exception_int_div_zero 0
	.end_amdhsa_kernel
	.section	.text._ZN7rocprim17ROCPRIM_400000_NS6detail17trampoline_kernelINS0_14default_configENS1_38merge_sort_block_merge_config_selectorIlNS0_10empty_typeEEEZZNS1_27merge_sort_block_merge_implIS3_PlPS5_mZN2at6native12_GLOBAL__N_124unique_dim_cuda_templateIhEESt5tupleIJNSA_6TensorESF_SF_EERKSF_lbbbEUlllE_EE10hipError_tT0_T1_T2_jT3_P12ihipStream_tbPNSt15iterator_traitsISL_E10value_typeEPNSR_ISM_E10value_typeEPSN_NS1_7vsmem_tEENKUlT_SL_SM_SN_E_clIS8_S8_S9_S9_EESK_S10_SL_SM_SN_EUlS10_E1_NS1_11comp_targetILNS1_3genE3ELNS1_11target_archE908ELNS1_3gpuE7ELNS1_3repE0EEENS1_36merge_oddeven_config_static_selectorELNS0_4arch9wavefront6targetE1EEEvSM_,"axG",@progbits,_ZN7rocprim17ROCPRIM_400000_NS6detail17trampoline_kernelINS0_14default_configENS1_38merge_sort_block_merge_config_selectorIlNS0_10empty_typeEEEZZNS1_27merge_sort_block_merge_implIS3_PlPS5_mZN2at6native12_GLOBAL__N_124unique_dim_cuda_templateIhEESt5tupleIJNSA_6TensorESF_SF_EERKSF_lbbbEUlllE_EE10hipError_tT0_T1_T2_jT3_P12ihipStream_tbPNSt15iterator_traitsISL_E10value_typeEPNSR_ISM_E10value_typeEPSN_NS1_7vsmem_tEENKUlT_SL_SM_SN_E_clIS8_S8_S9_S9_EESK_S10_SL_SM_SN_EUlS10_E1_NS1_11comp_targetILNS1_3genE3ELNS1_11target_archE908ELNS1_3gpuE7ELNS1_3repE0EEENS1_36merge_oddeven_config_static_selectorELNS0_4arch9wavefront6targetE1EEEvSM_,comdat
.Lfunc_end38:
	.size	_ZN7rocprim17ROCPRIM_400000_NS6detail17trampoline_kernelINS0_14default_configENS1_38merge_sort_block_merge_config_selectorIlNS0_10empty_typeEEEZZNS1_27merge_sort_block_merge_implIS3_PlPS5_mZN2at6native12_GLOBAL__N_124unique_dim_cuda_templateIhEESt5tupleIJNSA_6TensorESF_SF_EERKSF_lbbbEUlllE_EE10hipError_tT0_T1_T2_jT3_P12ihipStream_tbPNSt15iterator_traitsISL_E10value_typeEPNSR_ISM_E10value_typeEPSN_NS1_7vsmem_tEENKUlT_SL_SM_SN_E_clIS8_S8_S9_S9_EESK_S10_SL_SM_SN_EUlS10_E1_NS1_11comp_targetILNS1_3genE3ELNS1_11target_archE908ELNS1_3gpuE7ELNS1_3repE0EEENS1_36merge_oddeven_config_static_selectorELNS0_4arch9wavefront6targetE1EEEvSM_, .Lfunc_end38-_ZN7rocprim17ROCPRIM_400000_NS6detail17trampoline_kernelINS0_14default_configENS1_38merge_sort_block_merge_config_selectorIlNS0_10empty_typeEEEZZNS1_27merge_sort_block_merge_implIS3_PlPS5_mZN2at6native12_GLOBAL__N_124unique_dim_cuda_templateIhEESt5tupleIJNSA_6TensorESF_SF_EERKSF_lbbbEUlllE_EE10hipError_tT0_T1_T2_jT3_P12ihipStream_tbPNSt15iterator_traitsISL_E10value_typeEPNSR_ISM_E10value_typeEPSN_NS1_7vsmem_tEENKUlT_SL_SM_SN_E_clIS8_S8_S9_S9_EESK_S10_SL_SM_SN_EUlS10_E1_NS1_11comp_targetILNS1_3genE3ELNS1_11target_archE908ELNS1_3gpuE7ELNS1_3repE0EEENS1_36merge_oddeven_config_static_selectorELNS0_4arch9wavefront6targetE1EEEvSM_
                                        ; -- End function
	.section	.AMDGPU.csdata,"",@progbits
; Kernel info:
; codeLenInByte = 0
; NumSgprs: 4
; NumVgprs: 0
; NumAgprs: 0
; TotalNumVgprs: 0
; ScratchSize: 0
; MemoryBound: 0
; FloatMode: 240
; IeeeMode: 1
; LDSByteSize: 0 bytes/workgroup (compile time only)
; SGPRBlocks: 0
; VGPRBlocks: 0
; NumSGPRsForWavesPerEU: 4
; NumVGPRsForWavesPerEU: 1
; AccumOffset: 4
; Occupancy: 8
; WaveLimiterHint : 0
; COMPUTE_PGM_RSRC2:SCRATCH_EN: 0
; COMPUTE_PGM_RSRC2:USER_SGPR: 6
; COMPUTE_PGM_RSRC2:TRAP_HANDLER: 0
; COMPUTE_PGM_RSRC2:TGID_X_EN: 1
; COMPUTE_PGM_RSRC2:TGID_Y_EN: 0
; COMPUTE_PGM_RSRC2:TGID_Z_EN: 0
; COMPUTE_PGM_RSRC2:TIDIG_COMP_CNT: 0
; COMPUTE_PGM_RSRC3_GFX90A:ACCUM_OFFSET: 0
; COMPUTE_PGM_RSRC3_GFX90A:TG_SPLIT: 0
	.section	.text._ZN7rocprim17ROCPRIM_400000_NS6detail17trampoline_kernelINS0_14default_configENS1_38merge_sort_block_merge_config_selectorIlNS0_10empty_typeEEEZZNS1_27merge_sort_block_merge_implIS3_PlPS5_mZN2at6native12_GLOBAL__N_124unique_dim_cuda_templateIhEESt5tupleIJNSA_6TensorESF_SF_EERKSF_lbbbEUlllE_EE10hipError_tT0_T1_T2_jT3_P12ihipStream_tbPNSt15iterator_traitsISL_E10value_typeEPNSR_ISM_E10value_typeEPSN_NS1_7vsmem_tEENKUlT_SL_SM_SN_E_clIS8_S8_S9_S9_EESK_S10_SL_SM_SN_EUlS10_E1_NS1_11comp_targetILNS1_3genE2ELNS1_11target_archE906ELNS1_3gpuE6ELNS1_3repE0EEENS1_36merge_oddeven_config_static_selectorELNS0_4arch9wavefront6targetE1EEEvSM_,"axG",@progbits,_ZN7rocprim17ROCPRIM_400000_NS6detail17trampoline_kernelINS0_14default_configENS1_38merge_sort_block_merge_config_selectorIlNS0_10empty_typeEEEZZNS1_27merge_sort_block_merge_implIS3_PlPS5_mZN2at6native12_GLOBAL__N_124unique_dim_cuda_templateIhEESt5tupleIJNSA_6TensorESF_SF_EERKSF_lbbbEUlllE_EE10hipError_tT0_T1_T2_jT3_P12ihipStream_tbPNSt15iterator_traitsISL_E10value_typeEPNSR_ISM_E10value_typeEPSN_NS1_7vsmem_tEENKUlT_SL_SM_SN_E_clIS8_S8_S9_S9_EESK_S10_SL_SM_SN_EUlS10_E1_NS1_11comp_targetILNS1_3genE2ELNS1_11target_archE906ELNS1_3gpuE6ELNS1_3repE0EEENS1_36merge_oddeven_config_static_selectorELNS0_4arch9wavefront6targetE1EEEvSM_,comdat
	.globl	_ZN7rocprim17ROCPRIM_400000_NS6detail17trampoline_kernelINS0_14default_configENS1_38merge_sort_block_merge_config_selectorIlNS0_10empty_typeEEEZZNS1_27merge_sort_block_merge_implIS3_PlPS5_mZN2at6native12_GLOBAL__N_124unique_dim_cuda_templateIhEESt5tupleIJNSA_6TensorESF_SF_EERKSF_lbbbEUlllE_EE10hipError_tT0_T1_T2_jT3_P12ihipStream_tbPNSt15iterator_traitsISL_E10value_typeEPNSR_ISM_E10value_typeEPSN_NS1_7vsmem_tEENKUlT_SL_SM_SN_E_clIS8_S8_S9_S9_EESK_S10_SL_SM_SN_EUlS10_E1_NS1_11comp_targetILNS1_3genE2ELNS1_11target_archE906ELNS1_3gpuE6ELNS1_3repE0EEENS1_36merge_oddeven_config_static_selectorELNS0_4arch9wavefront6targetE1EEEvSM_ ; -- Begin function _ZN7rocprim17ROCPRIM_400000_NS6detail17trampoline_kernelINS0_14default_configENS1_38merge_sort_block_merge_config_selectorIlNS0_10empty_typeEEEZZNS1_27merge_sort_block_merge_implIS3_PlPS5_mZN2at6native12_GLOBAL__N_124unique_dim_cuda_templateIhEESt5tupleIJNSA_6TensorESF_SF_EERKSF_lbbbEUlllE_EE10hipError_tT0_T1_T2_jT3_P12ihipStream_tbPNSt15iterator_traitsISL_E10value_typeEPNSR_ISM_E10value_typeEPSN_NS1_7vsmem_tEENKUlT_SL_SM_SN_E_clIS8_S8_S9_S9_EESK_S10_SL_SM_SN_EUlS10_E1_NS1_11comp_targetILNS1_3genE2ELNS1_11target_archE906ELNS1_3gpuE6ELNS1_3repE0EEENS1_36merge_oddeven_config_static_selectorELNS0_4arch9wavefront6targetE1EEEvSM_
	.p2align	8
	.type	_ZN7rocprim17ROCPRIM_400000_NS6detail17trampoline_kernelINS0_14default_configENS1_38merge_sort_block_merge_config_selectorIlNS0_10empty_typeEEEZZNS1_27merge_sort_block_merge_implIS3_PlPS5_mZN2at6native12_GLOBAL__N_124unique_dim_cuda_templateIhEESt5tupleIJNSA_6TensorESF_SF_EERKSF_lbbbEUlllE_EE10hipError_tT0_T1_T2_jT3_P12ihipStream_tbPNSt15iterator_traitsISL_E10value_typeEPNSR_ISM_E10value_typeEPSN_NS1_7vsmem_tEENKUlT_SL_SM_SN_E_clIS8_S8_S9_S9_EESK_S10_SL_SM_SN_EUlS10_E1_NS1_11comp_targetILNS1_3genE2ELNS1_11target_archE906ELNS1_3gpuE6ELNS1_3repE0EEENS1_36merge_oddeven_config_static_selectorELNS0_4arch9wavefront6targetE1EEEvSM_,@function
_ZN7rocprim17ROCPRIM_400000_NS6detail17trampoline_kernelINS0_14default_configENS1_38merge_sort_block_merge_config_selectorIlNS0_10empty_typeEEEZZNS1_27merge_sort_block_merge_implIS3_PlPS5_mZN2at6native12_GLOBAL__N_124unique_dim_cuda_templateIhEESt5tupleIJNSA_6TensorESF_SF_EERKSF_lbbbEUlllE_EE10hipError_tT0_T1_T2_jT3_P12ihipStream_tbPNSt15iterator_traitsISL_E10value_typeEPNSR_ISM_E10value_typeEPSN_NS1_7vsmem_tEENKUlT_SL_SM_SN_E_clIS8_S8_S9_S9_EESK_S10_SL_SM_SN_EUlS10_E1_NS1_11comp_targetILNS1_3genE2ELNS1_11target_archE906ELNS1_3gpuE6ELNS1_3repE0EEENS1_36merge_oddeven_config_static_selectorELNS0_4arch9wavefront6targetE1EEEvSM_: ; @_ZN7rocprim17ROCPRIM_400000_NS6detail17trampoline_kernelINS0_14default_configENS1_38merge_sort_block_merge_config_selectorIlNS0_10empty_typeEEEZZNS1_27merge_sort_block_merge_implIS3_PlPS5_mZN2at6native12_GLOBAL__N_124unique_dim_cuda_templateIhEESt5tupleIJNSA_6TensorESF_SF_EERKSF_lbbbEUlllE_EE10hipError_tT0_T1_T2_jT3_P12ihipStream_tbPNSt15iterator_traitsISL_E10value_typeEPNSR_ISM_E10value_typeEPSN_NS1_7vsmem_tEENKUlT_SL_SM_SN_E_clIS8_S8_S9_S9_EESK_S10_SL_SM_SN_EUlS10_E1_NS1_11comp_targetILNS1_3genE2ELNS1_11target_archE906ELNS1_3gpuE6ELNS1_3repE0EEENS1_36merge_oddeven_config_static_selectorELNS0_4arch9wavefront6targetE1EEEvSM_
; %bb.0:
	.section	.rodata,"a",@progbits
	.p2align	6, 0x0
	.amdhsa_kernel _ZN7rocprim17ROCPRIM_400000_NS6detail17trampoline_kernelINS0_14default_configENS1_38merge_sort_block_merge_config_selectorIlNS0_10empty_typeEEEZZNS1_27merge_sort_block_merge_implIS3_PlPS5_mZN2at6native12_GLOBAL__N_124unique_dim_cuda_templateIhEESt5tupleIJNSA_6TensorESF_SF_EERKSF_lbbbEUlllE_EE10hipError_tT0_T1_T2_jT3_P12ihipStream_tbPNSt15iterator_traitsISL_E10value_typeEPNSR_ISM_E10value_typeEPSN_NS1_7vsmem_tEENKUlT_SL_SM_SN_E_clIS8_S8_S9_S9_EESK_S10_SL_SM_SN_EUlS10_E1_NS1_11comp_targetILNS1_3genE2ELNS1_11target_archE906ELNS1_3gpuE6ELNS1_3repE0EEENS1_36merge_oddeven_config_static_selectorELNS0_4arch9wavefront6targetE1EEEvSM_
		.amdhsa_group_segment_fixed_size 0
		.amdhsa_private_segment_fixed_size 0
		.amdhsa_kernarg_size 64
		.amdhsa_user_sgpr_count 6
		.amdhsa_user_sgpr_private_segment_buffer 1
		.amdhsa_user_sgpr_dispatch_ptr 0
		.amdhsa_user_sgpr_queue_ptr 0
		.amdhsa_user_sgpr_kernarg_segment_ptr 1
		.amdhsa_user_sgpr_dispatch_id 0
		.amdhsa_user_sgpr_flat_scratch_init 0
		.amdhsa_user_sgpr_kernarg_preload_length 0
		.amdhsa_user_sgpr_kernarg_preload_offset 0
		.amdhsa_user_sgpr_private_segment_size 0
		.amdhsa_uses_dynamic_stack 0
		.amdhsa_system_sgpr_private_segment_wavefront_offset 0
		.amdhsa_system_sgpr_workgroup_id_x 1
		.amdhsa_system_sgpr_workgroup_id_y 0
		.amdhsa_system_sgpr_workgroup_id_z 0
		.amdhsa_system_sgpr_workgroup_info 0
		.amdhsa_system_vgpr_workitem_id 0
		.amdhsa_next_free_vgpr 1
		.amdhsa_next_free_sgpr 0
		.amdhsa_accum_offset 4
		.amdhsa_reserve_vcc 0
		.amdhsa_reserve_flat_scratch 0
		.amdhsa_float_round_mode_32 0
		.amdhsa_float_round_mode_16_64 0
		.amdhsa_float_denorm_mode_32 3
		.amdhsa_float_denorm_mode_16_64 3
		.amdhsa_dx10_clamp 1
		.amdhsa_ieee_mode 1
		.amdhsa_fp16_overflow 0
		.amdhsa_tg_split 0
		.amdhsa_exception_fp_ieee_invalid_op 0
		.amdhsa_exception_fp_denorm_src 0
		.amdhsa_exception_fp_ieee_div_zero 0
		.amdhsa_exception_fp_ieee_overflow 0
		.amdhsa_exception_fp_ieee_underflow 0
		.amdhsa_exception_fp_ieee_inexact 0
		.amdhsa_exception_int_div_zero 0
	.end_amdhsa_kernel
	.section	.text._ZN7rocprim17ROCPRIM_400000_NS6detail17trampoline_kernelINS0_14default_configENS1_38merge_sort_block_merge_config_selectorIlNS0_10empty_typeEEEZZNS1_27merge_sort_block_merge_implIS3_PlPS5_mZN2at6native12_GLOBAL__N_124unique_dim_cuda_templateIhEESt5tupleIJNSA_6TensorESF_SF_EERKSF_lbbbEUlllE_EE10hipError_tT0_T1_T2_jT3_P12ihipStream_tbPNSt15iterator_traitsISL_E10value_typeEPNSR_ISM_E10value_typeEPSN_NS1_7vsmem_tEENKUlT_SL_SM_SN_E_clIS8_S8_S9_S9_EESK_S10_SL_SM_SN_EUlS10_E1_NS1_11comp_targetILNS1_3genE2ELNS1_11target_archE906ELNS1_3gpuE6ELNS1_3repE0EEENS1_36merge_oddeven_config_static_selectorELNS0_4arch9wavefront6targetE1EEEvSM_,"axG",@progbits,_ZN7rocprim17ROCPRIM_400000_NS6detail17trampoline_kernelINS0_14default_configENS1_38merge_sort_block_merge_config_selectorIlNS0_10empty_typeEEEZZNS1_27merge_sort_block_merge_implIS3_PlPS5_mZN2at6native12_GLOBAL__N_124unique_dim_cuda_templateIhEESt5tupleIJNSA_6TensorESF_SF_EERKSF_lbbbEUlllE_EE10hipError_tT0_T1_T2_jT3_P12ihipStream_tbPNSt15iterator_traitsISL_E10value_typeEPNSR_ISM_E10value_typeEPSN_NS1_7vsmem_tEENKUlT_SL_SM_SN_E_clIS8_S8_S9_S9_EESK_S10_SL_SM_SN_EUlS10_E1_NS1_11comp_targetILNS1_3genE2ELNS1_11target_archE906ELNS1_3gpuE6ELNS1_3repE0EEENS1_36merge_oddeven_config_static_selectorELNS0_4arch9wavefront6targetE1EEEvSM_,comdat
.Lfunc_end39:
	.size	_ZN7rocprim17ROCPRIM_400000_NS6detail17trampoline_kernelINS0_14default_configENS1_38merge_sort_block_merge_config_selectorIlNS0_10empty_typeEEEZZNS1_27merge_sort_block_merge_implIS3_PlPS5_mZN2at6native12_GLOBAL__N_124unique_dim_cuda_templateIhEESt5tupleIJNSA_6TensorESF_SF_EERKSF_lbbbEUlllE_EE10hipError_tT0_T1_T2_jT3_P12ihipStream_tbPNSt15iterator_traitsISL_E10value_typeEPNSR_ISM_E10value_typeEPSN_NS1_7vsmem_tEENKUlT_SL_SM_SN_E_clIS8_S8_S9_S9_EESK_S10_SL_SM_SN_EUlS10_E1_NS1_11comp_targetILNS1_3genE2ELNS1_11target_archE906ELNS1_3gpuE6ELNS1_3repE0EEENS1_36merge_oddeven_config_static_selectorELNS0_4arch9wavefront6targetE1EEEvSM_, .Lfunc_end39-_ZN7rocprim17ROCPRIM_400000_NS6detail17trampoline_kernelINS0_14default_configENS1_38merge_sort_block_merge_config_selectorIlNS0_10empty_typeEEEZZNS1_27merge_sort_block_merge_implIS3_PlPS5_mZN2at6native12_GLOBAL__N_124unique_dim_cuda_templateIhEESt5tupleIJNSA_6TensorESF_SF_EERKSF_lbbbEUlllE_EE10hipError_tT0_T1_T2_jT3_P12ihipStream_tbPNSt15iterator_traitsISL_E10value_typeEPNSR_ISM_E10value_typeEPSN_NS1_7vsmem_tEENKUlT_SL_SM_SN_E_clIS8_S8_S9_S9_EESK_S10_SL_SM_SN_EUlS10_E1_NS1_11comp_targetILNS1_3genE2ELNS1_11target_archE906ELNS1_3gpuE6ELNS1_3repE0EEENS1_36merge_oddeven_config_static_selectorELNS0_4arch9wavefront6targetE1EEEvSM_
                                        ; -- End function
	.section	.AMDGPU.csdata,"",@progbits
; Kernel info:
; codeLenInByte = 0
; NumSgprs: 4
; NumVgprs: 0
; NumAgprs: 0
; TotalNumVgprs: 0
; ScratchSize: 0
; MemoryBound: 0
; FloatMode: 240
; IeeeMode: 1
; LDSByteSize: 0 bytes/workgroup (compile time only)
; SGPRBlocks: 0
; VGPRBlocks: 0
; NumSGPRsForWavesPerEU: 4
; NumVGPRsForWavesPerEU: 1
; AccumOffset: 4
; Occupancy: 8
; WaveLimiterHint : 0
; COMPUTE_PGM_RSRC2:SCRATCH_EN: 0
; COMPUTE_PGM_RSRC2:USER_SGPR: 6
; COMPUTE_PGM_RSRC2:TRAP_HANDLER: 0
; COMPUTE_PGM_RSRC2:TGID_X_EN: 1
; COMPUTE_PGM_RSRC2:TGID_Y_EN: 0
; COMPUTE_PGM_RSRC2:TGID_Z_EN: 0
; COMPUTE_PGM_RSRC2:TIDIG_COMP_CNT: 0
; COMPUTE_PGM_RSRC3_GFX90A:ACCUM_OFFSET: 0
; COMPUTE_PGM_RSRC3_GFX90A:TG_SPLIT: 0
	.section	.text._ZN7rocprim17ROCPRIM_400000_NS6detail17trampoline_kernelINS0_14default_configENS1_38merge_sort_block_merge_config_selectorIlNS0_10empty_typeEEEZZNS1_27merge_sort_block_merge_implIS3_PlPS5_mZN2at6native12_GLOBAL__N_124unique_dim_cuda_templateIhEESt5tupleIJNSA_6TensorESF_SF_EERKSF_lbbbEUlllE_EE10hipError_tT0_T1_T2_jT3_P12ihipStream_tbPNSt15iterator_traitsISL_E10value_typeEPNSR_ISM_E10value_typeEPSN_NS1_7vsmem_tEENKUlT_SL_SM_SN_E_clIS8_S8_S9_S9_EESK_S10_SL_SM_SN_EUlS10_E1_NS1_11comp_targetILNS1_3genE9ELNS1_11target_archE1100ELNS1_3gpuE3ELNS1_3repE0EEENS1_36merge_oddeven_config_static_selectorELNS0_4arch9wavefront6targetE1EEEvSM_,"axG",@progbits,_ZN7rocprim17ROCPRIM_400000_NS6detail17trampoline_kernelINS0_14default_configENS1_38merge_sort_block_merge_config_selectorIlNS0_10empty_typeEEEZZNS1_27merge_sort_block_merge_implIS3_PlPS5_mZN2at6native12_GLOBAL__N_124unique_dim_cuda_templateIhEESt5tupleIJNSA_6TensorESF_SF_EERKSF_lbbbEUlllE_EE10hipError_tT0_T1_T2_jT3_P12ihipStream_tbPNSt15iterator_traitsISL_E10value_typeEPNSR_ISM_E10value_typeEPSN_NS1_7vsmem_tEENKUlT_SL_SM_SN_E_clIS8_S8_S9_S9_EESK_S10_SL_SM_SN_EUlS10_E1_NS1_11comp_targetILNS1_3genE9ELNS1_11target_archE1100ELNS1_3gpuE3ELNS1_3repE0EEENS1_36merge_oddeven_config_static_selectorELNS0_4arch9wavefront6targetE1EEEvSM_,comdat
	.globl	_ZN7rocprim17ROCPRIM_400000_NS6detail17trampoline_kernelINS0_14default_configENS1_38merge_sort_block_merge_config_selectorIlNS0_10empty_typeEEEZZNS1_27merge_sort_block_merge_implIS3_PlPS5_mZN2at6native12_GLOBAL__N_124unique_dim_cuda_templateIhEESt5tupleIJNSA_6TensorESF_SF_EERKSF_lbbbEUlllE_EE10hipError_tT0_T1_T2_jT3_P12ihipStream_tbPNSt15iterator_traitsISL_E10value_typeEPNSR_ISM_E10value_typeEPSN_NS1_7vsmem_tEENKUlT_SL_SM_SN_E_clIS8_S8_S9_S9_EESK_S10_SL_SM_SN_EUlS10_E1_NS1_11comp_targetILNS1_3genE9ELNS1_11target_archE1100ELNS1_3gpuE3ELNS1_3repE0EEENS1_36merge_oddeven_config_static_selectorELNS0_4arch9wavefront6targetE1EEEvSM_ ; -- Begin function _ZN7rocprim17ROCPRIM_400000_NS6detail17trampoline_kernelINS0_14default_configENS1_38merge_sort_block_merge_config_selectorIlNS0_10empty_typeEEEZZNS1_27merge_sort_block_merge_implIS3_PlPS5_mZN2at6native12_GLOBAL__N_124unique_dim_cuda_templateIhEESt5tupleIJNSA_6TensorESF_SF_EERKSF_lbbbEUlllE_EE10hipError_tT0_T1_T2_jT3_P12ihipStream_tbPNSt15iterator_traitsISL_E10value_typeEPNSR_ISM_E10value_typeEPSN_NS1_7vsmem_tEENKUlT_SL_SM_SN_E_clIS8_S8_S9_S9_EESK_S10_SL_SM_SN_EUlS10_E1_NS1_11comp_targetILNS1_3genE9ELNS1_11target_archE1100ELNS1_3gpuE3ELNS1_3repE0EEENS1_36merge_oddeven_config_static_selectorELNS0_4arch9wavefront6targetE1EEEvSM_
	.p2align	8
	.type	_ZN7rocprim17ROCPRIM_400000_NS6detail17trampoline_kernelINS0_14default_configENS1_38merge_sort_block_merge_config_selectorIlNS0_10empty_typeEEEZZNS1_27merge_sort_block_merge_implIS3_PlPS5_mZN2at6native12_GLOBAL__N_124unique_dim_cuda_templateIhEESt5tupleIJNSA_6TensorESF_SF_EERKSF_lbbbEUlllE_EE10hipError_tT0_T1_T2_jT3_P12ihipStream_tbPNSt15iterator_traitsISL_E10value_typeEPNSR_ISM_E10value_typeEPSN_NS1_7vsmem_tEENKUlT_SL_SM_SN_E_clIS8_S8_S9_S9_EESK_S10_SL_SM_SN_EUlS10_E1_NS1_11comp_targetILNS1_3genE9ELNS1_11target_archE1100ELNS1_3gpuE3ELNS1_3repE0EEENS1_36merge_oddeven_config_static_selectorELNS0_4arch9wavefront6targetE1EEEvSM_,@function
_ZN7rocprim17ROCPRIM_400000_NS6detail17trampoline_kernelINS0_14default_configENS1_38merge_sort_block_merge_config_selectorIlNS0_10empty_typeEEEZZNS1_27merge_sort_block_merge_implIS3_PlPS5_mZN2at6native12_GLOBAL__N_124unique_dim_cuda_templateIhEESt5tupleIJNSA_6TensorESF_SF_EERKSF_lbbbEUlllE_EE10hipError_tT0_T1_T2_jT3_P12ihipStream_tbPNSt15iterator_traitsISL_E10value_typeEPNSR_ISM_E10value_typeEPSN_NS1_7vsmem_tEENKUlT_SL_SM_SN_E_clIS8_S8_S9_S9_EESK_S10_SL_SM_SN_EUlS10_E1_NS1_11comp_targetILNS1_3genE9ELNS1_11target_archE1100ELNS1_3gpuE3ELNS1_3repE0EEENS1_36merge_oddeven_config_static_selectorELNS0_4arch9wavefront6targetE1EEEvSM_: ; @_ZN7rocprim17ROCPRIM_400000_NS6detail17trampoline_kernelINS0_14default_configENS1_38merge_sort_block_merge_config_selectorIlNS0_10empty_typeEEEZZNS1_27merge_sort_block_merge_implIS3_PlPS5_mZN2at6native12_GLOBAL__N_124unique_dim_cuda_templateIhEESt5tupleIJNSA_6TensorESF_SF_EERKSF_lbbbEUlllE_EE10hipError_tT0_T1_T2_jT3_P12ihipStream_tbPNSt15iterator_traitsISL_E10value_typeEPNSR_ISM_E10value_typeEPSN_NS1_7vsmem_tEENKUlT_SL_SM_SN_E_clIS8_S8_S9_S9_EESK_S10_SL_SM_SN_EUlS10_E1_NS1_11comp_targetILNS1_3genE9ELNS1_11target_archE1100ELNS1_3gpuE3ELNS1_3repE0EEENS1_36merge_oddeven_config_static_selectorELNS0_4arch9wavefront6targetE1EEEvSM_
; %bb.0:
	.section	.rodata,"a",@progbits
	.p2align	6, 0x0
	.amdhsa_kernel _ZN7rocprim17ROCPRIM_400000_NS6detail17trampoline_kernelINS0_14default_configENS1_38merge_sort_block_merge_config_selectorIlNS0_10empty_typeEEEZZNS1_27merge_sort_block_merge_implIS3_PlPS5_mZN2at6native12_GLOBAL__N_124unique_dim_cuda_templateIhEESt5tupleIJNSA_6TensorESF_SF_EERKSF_lbbbEUlllE_EE10hipError_tT0_T1_T2_jT3_P12ihipStream_tbPNSt15iterator_traitsISL_E10value_typeEPNSR_ISM_E10value_typeEPSN_NS1_7vsmem_tEENKUlT_SL_SM_SN_E_clIS8_S8_S9_S9_EESK_S10_SL_SM_SN_EUlS10_E1_NS1_11comp_targetILNS1_3genE9ELNS1_11target_archE1100ELNS1_3gpuE3ELNS1_3repE0EEENS1_36merge_oddeven_config_static_selectorELNS0_4arch9wavefront6targetE1EEEvSM_
		.amdhsa_group_segment_fixed_size 0
		.amdhsa_private_segment_fixed_size 0
		.amdhsa_kernarg_size 64
		.amdhsa_user_sgpr_count 6
		.amdhsa_user_sgpr_private_segment_buffer 1
		.amdhsa_user_sgpr_dispatch_ptr 0
		.amdhsa_user_sgpr_queue_ptr 0
		.amdhsa_user_sgpr_kernarg_segment_ptr 1
		.amdhsa_user_sgpr_dispatch_id 0
		.amdhsa_user_sgpr_flat_scratch_init 0
		.amdhsa_user_sgpr_kernarg_preload_length 0
		.amdhsa_user_sgpr_kernarg_preload_offset 0
		.amdhsa_user_sgpr_private_segment_size 0
		.amdhsa_uses_dynamic_stack 0
		.amdhsa_system_sgpr_private_segment_wavefront_offset 0
		.amdhsa_system_sgpr_workgroup_id_x 1
		.amdhsa_system_sgpr_workgroup_id_y 0
		.amdhsa_system_sgpr_workgroup_id_z 0
		.amdhsa_system_sgpr_workgroup_info 0
		.amdhsa_system_vgpr_workitem_id 0
		.amdhsa_next_free_vgpr 1
		.amdhsa_next_free_sgpr 0
		.amdhsa_accum_offset 4
		.amdhsa_reserve_vcc 0
		.amdhsa_reserve_flat_scratch 0
		.amdhsa_float_round_mode_32 0
		.amdhsa_float_round_mode_16_64 0
		.amdhsa_float_denorm_mode_32 3
		.amdhsa_float_denorm_mode_16_64 3
		.amdhsa_dx10_clamp 1
		.amdhsa_ieee_mode 1
		.amdhsa_fp16_overflow 0
		.amdhsa_tg_split 0
		.amdhsa_exception_fp_ieee_invalid_op 0
		.amdhsa_exception_fp_denorm_src 0
		.amdhsa_exception_fp_ieee_div_zero 0
		.amdhsa_exception_fp_ieee_overflow 0
		.amdhsa_exception_fp_ieee_underflow 0
		.amdhsa_exception_fp_ieee_inexact 0
		.amdhsa_exception_int_div_zero 0
	.end_amdhsa_kernel
	.section	.text._ZN7rocprim17ROCPRIM_400000_NS6detail17trampoline_kernelINS0_14default_configENS1_38merge_sort_block_merge_config_selectorIlNS0_10empty_typeEEEZZNS1_27merge_sort_block_merge_implIS3_PlPS5_mZN2at6native12_GLOBAL__N_124unique_dim_cuda_templateIhEESt5tupleIJNSA_6TensorESF_SF_EERKSF_lbbbEUlllE_EE10hipError_tT0_T1_T2_jT3_P12ihipStream_tbPNSt15iterator_traitsISL_E10value_typeEPNSR_ISM_E10value_typeEPSN_NS1_7vsmem_tEENKUlT_SL_SM_SN_E_clIS8_S8_S9_S9_EESK_S10_SL_SM_SN_EUlS10_E1_NS1_11comp_targetILNS1_3genE9ELNS1_11target_archE1100ELNS1_3gpuE3ELNS1_3repE0EEENS1_36merge_oddeven_config_static_selectorELNS0_4arch9wavefront6targetE1EEEvSM_,"axG",@progbits,_ZN7rocprim17ROCPRIM_400000_NS6detail17trampoline_kernelINS0_14default_configENS1_38merge_sort_block_merge_config_selectorIlNS0_10empty_typeEEEZZNS1_27merge_sort_block_merge_implIS3_PlPS5_mZN2at6native12_GLOBAL__N_124unique_dim_cuda_templateIhEESt5tupleIJNSA_6TensorESF_SF_EERKSF_lbbbEUlllE_EE10hipError_tT0_T1_T2_jT3_P12ihipStream_tbPNSt15iterator_traitsISL_E10value_typeEPNSR_ISM_E10value_typeEPSN_NS1_7vsmem_tEENKUlT_SL_SM_SN_E_clIS8_S8_S9_S9_EESK_S10_SL_SM_SN_EUlS10_E1_NS1_11comp_targetILNS1_3genE9ELNS1_11target_archE1100ELNS1_3gpuE3ELNS1_3repE0EEENS1_36merge_oddeven_config_static_selectorELNS0_4arch9wavefront6targetE1EEEvSM_,comdat
.Lfunc_end40:
	.size	_ZN7rocprim17ROCPRIM_400000_NS6detail17trampoline_kernelINS0_14default_configENS1_38merge_sort_block_merge_config_selectorIlNS0_10empty_typeEEEZZNS1_27merge_sort_block_merge_implIS3_PlPS5_mZN2at6native12_GLOBAL__N_124unique_dim_cuda_templateIhEESt5tupleIJNSA_6TensorESF_SF_EERKSF_lbbbEUlllE_EE10hipError_tT0_T1_T2_jT3_P12ihipStream_tbPNSt15iterator_traitsISL_E10value_typeEPNSR_ISM_E10value_typeEPSN_NS1_7vsmem_tEENKUlT_SL_SM_SN_E_clIS8_S8_S9_S9_EESK_S10_SL_SM_SN_EUlS10_E1_NS1_11comp_targetILNS1_3genE9ELNS1_11target_archE1100ELNS1_3gpuE3ELNS1_3repE0EEENS1_36merge_oddeven_config_static_selectorELNS0_4arch9wavefront6targetE1EEEvSM_, .Lfunc_end40-_ZN7rocprim17ROCPRIM_400000_NS6detail17trampoline_kernelINS0_14default_configENS1_38merge_sort_block_merge_config_selectorIlNS0_10empty_typeEEEZZNS1_27merge_sort_block_merge_implIS3_PlPS5_mZN2at6native12_GLOBAL__N_124unique_dim_cuda_templateIhEESt5tupleIJNSA_6TensorESF_SF_EERKSF_lbbbEUlllE_EE10hipError_tT0_T1_T2_jT3_P12ihipStream_tbPNSt15iterator_traitsISL_E10value_typeEPNSR_ISM_E10value_typeEPSN_NS1_7vsmem_tEENKUlT_SL_SM_SN_E_clIS8_S8_S9_S9_EESK_S10_SL_SM_SN_EUlS10_E1_NS1_11comp_targetILNS1_3genE9ELNS1_11target_archE1100ELNS1_3gpuE3ELNS1_3repE0EEENS1_36merge_oddeven_config_static_selectorELNS0_4arch9wavefront6targetE1EEEvSM_
                                        ; -- End function
	.section	.AMDGPU.csdata,"",@progbits
; Kernel info:
; codeLenInByte = 0
; NumSgprs: 4
; NumVgprs: 0
; NumAgprs: 0
; TotalNumVgprs: 0
; ScratchSize: 0
; MemoryBound: 0
; FloatMode: 240
; IeeeMode: 1
; LDSByteSize: 0 bytes/workgroup (compile time only)
; SGPRBlocks: 0
; VGPRBlocks: 0
; NumSGPRsForWavesPerEU: 4
; NumVGPRsForWavesPerEU: 1
; AccumOffset: 4
; Occupancy: 8
; WaveLimiterHint : 0
; COMPUTE_PGM_RSRC2:SCRATCH_EN: 0
; COMPUTE_PGM_RSRC2:USER_SGPR: 6
; COMPUTE_PGM_RSRC2:TRAP_HANDLER: 0
; COMPUTE_PGM_RSRC2:TGID_X_EN: 1
; COMPUTE_PGM_RSRC2:TGID_Y_EN: 0
; COMPUTE_PGM_RSRC2:TGID_Z_EN: 0
; COMPUTE_PGM_RSRC2:TIDIG_COMP_CNT: 0
; COMPUTE_PGM_RSRC3_GFX90A:ACCUM_OFFSET: 0
; COMPUTE_PGM_RSRC3_GFX90A:TG_SPLIT: 0
	.section	.text._ZN7rocprim17ROCPRIM_400000_NS6detail17trampoline_kernelINS0_14default_configENS1_38merge_sort_block_merge_config_selectorIlNS0_10empty_typeEEEZZNS1_27merge_sort_block_merge_implIS3_PlPS5_mZN2at6native12_GLOBAL__N_124unique_dim_cuda_templateIhEESt5tupleIJNSA_6TensorESF_SF_EERKSF_lbbbEUlllE_EE10hipError_tT0_T1_T2_jT3_P12ihipStream_tbPNSt15iterator_traitsISL_E10value_typeEPNSR_ISM_E10value_typeEPSN_NS1_7vsmem_tEENKUlT_SL_SM_SN_E_clIS8_S8_S9_S9_EESK_S10_SL_SM_SN_EUlS10_E1_NS1_11comp_targetILNS1_3genE8ELNS1_11target_archE1030ELNS1_3gpuE2ELNS1_3repE0EEENS1_36merge_oddeven_config_static_selectorELNS0_4arch9wavefront6targetE1EEEvSM_,"axG",@progbits,_ZN7rocprim17ROCPRIM_400000_NS6detail17trampoline_kernelINS0_14default_configENS1_38merge_sort_block_merge_config_selectorIlNS0_10empty_typeEEEZZNS1_27merge_sort_block_merge_implIS3_PlPS5_mZN2at6native12_GLOBAL__N_124unique_dim_cuda_templateIhEESt5tupleIJNSA_6TensorESF_SF_EERKSF_lbbbEUlllE_EE10hipError_tT0_T1_T2_jT3_P12ihipStream_tbPNSt15iterator_traitsISL_E10value_typeEPNSR_ISM_E10value_typeEPSN_NS1_7vsmem_tEENKUlT_SL_SM_SN_E_clIS8_S8_S9_S9_EESK_S10_SL_SM_SN_EUlS10_E1_NS1_11comp_targetILNS1_3genE8ELNS1_11target_archE1030ELNS1_3gpuE2ELNS1_3repE0EEENS1_36merge_oddeven_config_static_selectorELNS0_4arch9wavefront6targetE1EEEvSM_,comdat
	.globl	_ZN7rocprim17ROCPRIM_400000_NS6detail17trampoline_kernelINS0_14default_configENS1_38merge_sort_block_merge_config_selectorIlNS0_10empty_typeEEEZZNS1_27merge_sort_block_merge_implIS3_PlPS5_mZN2at6native12_GLOBAL__N_124unique_dim_cuda_templateIhEESt5tupleIJNSA_6TensorESF_SF_EERKSF_lbbbEUlllE_EE10hipError_tT0_T1_T2_jT3_P12ihipStream_tbPNSt15iterator_traitsISL_E10value_typeEPNSR_ISM_E10value_typeEPSN_NS1_7vsmem_tEENKUlT_SL_SM_SN_E_clIS8_S8_S9_S9_EESK_S10_SL_SM_SN_EUlS10_E1_NS1_11comp_targetILNS1_3genE8ELNS1_11target_archE1030ELNS1_3gpuE2ELNS1_3repE0EEENS1_36merge_oddeven_config_static_selectorELNS0_4arch9wavefront6targetE1EEEvSM_ ; -- Begin function _ZN7rocprim17ROCPRIM_400000_NS6detail17trampoline_kernelINS0_14default_configENS1_38merge_sort_block_merge_config_selectorIlNS0_10empty_typeEEEZZNS1_27merge_sort_block_merge_implIS3_PlPS5_mZN2at6native12_GLOBAL__N_124unique_dim_cuda_templateIhEESt5tupleIJNSA_6TensorESF_SF_EERKSF_lbbbEUlllE_EE10hipError_tT0_T1_T2_jT3_P12ihipStream_tbPNSt15iterator_traitsISL_E10value_typeEPNSR_ISM_E10value_typeEPSN_NS1_7vsmem_tEENKUlT_SL_SM_SN_E_clIS8_S8_S9_S9_EESK_S10_SL_SM_SN_EUlS10_E1_NS1_11comp_targetILNS1_3genE8ELNS1_11target_archE1030ELNS1_3gpuE2ELNS1_3repE0EEENS1_36merge_oddeven_config_static_selectorELNS0_4arch9wavefront6targetE1EEEvSM_
	.p2align	8
	.type	_ZN7rocprim17ROCPRIM_400000_NS6detail17trampoline_kernelINS0_14default_configENS1_38merge_sort_block_merge_config_selectorIlNS0_10empty_typeEEEZZNS1_27merge_sort_block_merge_implIS3_PlPS5_mZN2at6native12_GLOBAL__N_124unique_dim_cuda_templateIhEESt5tupleIJNSA_6TensorESF_SF_EERKSF_lbbbEUlllE_EE10hipError_tT0_T1_T2_jT3_P12ihipStream_tbPNSt15iterator_traitsISL_E10value_typeEPNSR_ISM_E10value_typeEPSN_NS1_7vsmem_tEENKUlT_SL_SM_SN_E_clIS8_S8_S9_S9_EESK_S10_SL_SM_SN_EUlS10_E1_NS1_11comp_targetILNS1_3genE8ELNS1_11target_archE1030ELNS1_3gpuE2ELNS1_3repE0EEENS1_36merge_oddeven_config_static_selectorELNS0_4arch9wavefront6targetE1EEEvSM_,@function
_ZN7rocprim17ROCPRIM_400000_NS6detail17trampoline_kernelINS0_14default_configENS1_38merge_sort_block_merge_config_selectorIlNS0_10empty_typeEEEZZNS1_27merge_sort_block_merge_implIS3_PlPS5_mZN2at6native12_GLOBAL__N_124unique_dim_cuda_templateIhEESt5tupleIJNSA_6TensorESF_SF_EERKSF_lbbbEUlllE_EE10hipError_tT0_T1_T2_jT3_P12ihipStream_tbPNSt15iterator_traitsISL_E10value_typeEPNSR_ISM_E10value_typeEPSN_NS1_7vsmem_tEENKUlT_SL_SM_SN_E_clIS8_S8_S9_S9_EESK_S10_SL_SM_SN_EUlS10_E1_NS1_11comp_targetILNS1_3genE8ELNS1_11target_archE1030ELNS1_3gpuE2ELNS1_3repE0EEENS1_36merge_oddeven_config_static_selectorELNS0_4arch9wavefront6targetE1EEEvSM_: ; @_ZN7rocprim17ROCPRIM_400000_NS6detail17trampoline_kernelINS0_14default_configENS1_38merge_sort_block_merge_config_selectorIlNS0_10empty_typeEEEZZNS1_27merge_sort_block_merge_implIS3_PlPS5_mZN2at6native12_GLOBAL__N_124unique_dim_cuda_templateIhEESt5tupleIJNSA_6TensorESF_SF_EERKSF_lbbbEUlllE_EE10hipError_tT0_T1_T2_jT3_P12ihipStream_tbPNSt15iterator_traitsISL_E10value_typeEPNSR_ISM_E10value_typeEPSN_NS1_7vsmem_tEENKUlT_SL_SM_SN_E_clIS8_S8_S9_S9_EESK_S10_SL_SM_SN_EUlS10_E1_NS1_11comp_targetILNS1_3genE8ELNS1_11target_archE1030ELNS1_3gpuE2ELNS1_3repE0EEENS1_36merge_oddeven_config_static_selectorELNS0_4arch9wavefront6targetE1EEEvSM_
; %bb.0:
	.section	.rodata,"a",@progbits
	.p2align	6, 0x0
	.amdhsa_kernel _ZN7rocprim17ROCPRIM_400000_NS6detail17trampoline_kernelINS0_14default_configENS1_38merge_sort_block_merge_config_selectorIlNS0_10empty_typeEEEZZNS1_27merge_sort_block_merge_implIS3_PlPS5_mZN2at6native12_GLOBAL__N_124unique_dim_cuda_templateIhEESt5tupleIJNSA_6TensorESF_SF_EERKSF_lbbbEUlllE_EE10hipError_tT0_T1_T2_jT3_P12ihipStream_tbPNSt15iterator_traitsISL_E10value_typeEPNSR_ISM_E10value_typeEPSN_NS1_7vsmem_tEENKUlT_SL_SM_SN_E_clIS8_S8_S9_S9_EESK_S10_SL_SM_SN_EUlS10_E1_NS1_11comp_targetILNS1_3genE8ELNS1_11target_archE1030ELNS1_3gpuE2ELNS1_3repE0EEENS1_36merge_oddeven_config_static_selectorELNS0_4arch9wavefront6targetE1EEEvSM_
		.amdhsa_group_segment_fixed_size 0
		.amdhsa_private_segment_fixed_size 0
		.amdhsa_kernarg_size 64
		.amdhsa_user_sgpr_count 6
		.amdhsa_user_sgpr_private_segment_buffer 1
		.amdhsa_user_sgpr_dispatch_ptr 0
		.amdhsa_user_sgpr_queue_ptr 0
		.amdhsa_user_sgpr_kernarg_segment_ptr 1
		.amdhsa_user_sgpr_dispatch_id 0
		.amdhsa_user_sgpr_flat_scratch_init 0
		.amdhsa_user_sgpr_kernarg_preload_length 0
		.amdhsa_user_sgpr_kernarg_preload_offset 0
		.amdhsa_user_sgpr_private_segment_size 0
		.amdhsa_uses_dynamic_stack 0
		.amdhsa_system_sgpr_private_segment_wavefront_offset 0
		.amdhsa_system_sgpr_workgroup_id_x 1
		.amdhsa_system_sgpr_workgroup_id_y 0
		.amdhsa_system_sgpr_workgroup_id_z 0
		.amdhsa_system_sgpr_workgroup_info 0
		.amdhsa_system_vgpr_workitem_id 0
		.amdhsa_next_free_vgpr 1
		.amdhsa_next_free_sgpr 0
		.amdhsa_accum_offset 4
		.amdhsa_reserve_vcc 0
		.amdhsa_reserve_flat_scratch 0
		.amdhsa_float_round_mode_32 0
		.amdhsa_float_round_mode_16_64 0
		.amdhsa_float_denorm_mode_32 3
		.amdhsa_float_denorm_mode_16_64 3
		.amdhsa_dx10_clamp 1
		.amdhsa_ieee_mode 1
		.amdhsa_fp16_overflow 0
		.amdhsa_tg_split 0
		.amdhsa_exception_fp_ieee_invalid_op 0
		.amdhsa_exception_fp_denorm_src 0
		.amdhsa_exception_fp_ieee_div_zero 0
		.amdhsa_exception_fp_ieee_overflow 0
		.amdhsa_exception_fp_ieee_underflow 0
		.amdhsa_exception_fp_ieee_inexact 0
		.amdhsa_exception_int_div_zero 0
	.end_amdhsa_kernel
	.section	.text._ZN7rocprim17ROCPRIM_400000_NS6detail17trampoline_kernelINS0_14default_configENS1_38merge_sort_block_merge_config_selectorIlNS0_10empty_typeEEEZZNS1_27merge_sort_block_merge_implIS3_PlPS5_mZN2at6native12_GLOBAL__N_124unique_dim_cuda_templateIhEESt5tupleIJNSA_6TensorESF_SF_EERKSF_lbbbEUlllE_EE10hipError_tT0_T1_T2_jT3_P12ihipStream_tbPNSt15iterator_traitsISL_E10value_typeEPNSR_ISM_E10value_typeEPSN_NS1_7vsmem_tEENKUlT_SL_SM_SN_E_clIS8_S8_S9_S9_EESK_S10_SL_SM_SN_EUlS10_E1_NS1_11comp_targetILNS1_3genE8ELNS1_11target_archE1030ELNS1_3gpuE2ELNS1_3repE0EEENS1_36merge_oddeven_config_static_selectorELNS0_4arch9wavefront6targetE1EEEvSM_,"axG",@progbits,_ZN7rocprim17ROCPRIM_400000_NS6detail17trampoline_kernelINS0_14default_configENS1_38merge_sort_block_merge_config_selectorIlNS0_10empty_typeEEEZZNS1_27merge_sort_block_merge_implIS3_PlPS5_mZN2at6native12_GLOBAL__N_124unique_dim_cuda_templateIhEESt5tupleIJNSA_6TensorESF_SF_EERKSF_lbbbEUlllE_EE10hipError_tT0_T1_T2_jT3_P12ihipStream_tbPNSt15iterator_traitsISL_E10value_typeEPNSR_ISM_E10value_typeEPSN_NS1_7vsmem_tEENKUlT_SL_SM_SN_E_clIS8_S8_S9_S9_EESK_S10_SL_SM_SN_EUlS10_E1_NS1_11comp_targetILNS1_3genE8ELNS1_11target_archE1030ELNS1_3gpuE2ELNS1_3repE0EEENS1_36merge_oddeven_config_static_selectorELNS0_4arch9wavefront6targetE1EEEvSM_,comdat
.Lfunc_end41:
	.size	_ZN7rocprim17ROCPRIM_400000_NS6detail17trampoline_kernelINS0_14default_configENS1_38merge_sort_block_merge_config_selectorIlNS0_10empty_typeEEEZZNS1_27merge_sort_block_merge_implIS3_PlPS5_mZN2at6native12_GLOBAL__N_124unique_dim_cuda_templateIhEESt5tupleIJNSA_6TensorESF_SF_EERKSF_lbbbEUlllE_EE10hipError_tT0_T1_T2_jT3_P12ihipStream_tbPNSt15iterator_traitsISL_E10value_typeEPNSR_ISM_E10value_typeEPSN_NS1_7vsmem_tEENKUlT_SL_SM_SN_E_clIS8_S8_S9_S9_EESK_S10_SL_SM_SN_EUlS10_E1_NS1_11comp_targetILNS1_3genE8ELNS1_11target_archE1030ELNS1_3gpuE2ELNS1_3repE0EEENS1_36merge_oddeven_config_static_selectorELNS0_4arch9wavefront6targetE1EEEvSM_, .Lfunc_end41-_ZN7rocprim17ROCPRIM_400000_NS6detail17trampoline_kernelINS0_14default_configENS1_38merge_sort_block_merge_config_selectorIlNS0_10empty_typeEEEZZNS1_27merge_sort_block_merge_implIS3_PlPS5_mZN2at6native12_GLOBAL__N_124unique_dim_cuda_templateIhEESt5tupleIJNSA_6TensorESF_SF_EERKSF_lbbbEUlllE_EE10hipError_tT0_T1_T2_jT3_P12ihipStream_tbPNSt15iterator_traitsISL_E10value_typeEPNSR_ISM_E10value_typeEPSN_NS1_7vsmem_tEENKUlT_SL_SM_SN_E_clIS8_S8_S9_S9_EESK_S10_SL_SM_SN_EUlS10_E1_NS1_11comp_targetILNS1_3genE8ELNS1_11target_archE1030ELNS1_3gpuE2ELNS1_3repE0EEENS1_36merge_oddeven_config_static_selectorELNS0_4arch9wavefront6targetE1EEEvSM_
                                        ; -- End function
	.section	.AMDGPU.csdata,"",@progbits
; Kernel info:
; codeLenInByte = 0
; NumSgprs: 4
; NumVgprs: 0
; NumAgprs: 0
; TotalNumVgprs: 0
; ScratchSize: 0
; MemoryBound: 0
; FloatMode: 240
; IeeeMode: 1
; LDSByteSize: 0 bytes/workgroup (compile time only)
; SGPRBlocks: 0
; VGPRBlocks: 0
; NumSGPRsForWavesPerEU: 4
; NumVGPRsForWavesPerEU: 1
; AccumOffset: 4
; Occupancy: 8
; WaveLimiterHint : 0
; COMPUTE_PGM_RSRC2:SCRATCH_EN: 0
; COMPUTE_PGM_RSRC2:USER_SGPR: 6
; COMPUTE_PGM_RSRC2:TRAP_HANDLER: 0
; COMPUTE_PGM_RSRC2:TGID_X_EN: 1
; COMPUTE_PGM_RSRC2:TGID_Y_EN: 0
; COMPUTE_PGM_RSRC2:TGID_Z_EN: 0
; COMPUTE_PGM_RSRC2:TIDIG_COMP_CNT: 0
; COMPUTE_PGM_RSRC3_GFX90A:ACCUM_OFFSET: 0
; COMPUTE_PGM_RSRC3_GFX90A:TG_SPLIT: 0
	.section	.text._ZN7rocprim17ROCPRIM_400000_NS6detail17trampoline_kernelINS0_14default_configENS1_25transform_config_selectorIlLb1EEEZNS1_14transform_implILb1ES3_S5_PlS7_NS0_8identityIlEEEE10hipError_tT2_T3_mT4_P12ihipStream_tbEUlT_E_NS1_11comp_targetILNS1_3genE0ELNS1_11target_archE4294967295ELNS1_3gpuE0ELNS1_3repE0EEENS1_30default_config_static_selectorELNS0_4arch9wavefront6targetE1EEEvT1_,"axG",@progbits,_ZN7rocprim17ROCPRIM_400000_NS6detail17trampoline_kernelINS0_14default_configENS1_25transform_config_selectorIlLb1EEEZNS1_14transform_implILb1ES3_S5_PlS7_NS0_8identityIlEEEE10hipError_tT2_T3_mT4_P12ihipStream_tbEUlT_E_NS1_11comp_targetILNS1_3genE0ELNS1_11target_archE4294967295ELNS1_3gpuE0ELNS1_3repE0EEENS1_30default_config_static_selectorELNS0_4arch9wavefront6targetE1EEEvT1_,comdat
	.protected	_ZN7rocprim17ROCPRIM_400000_NS6detail17trampoline_kernelINS0_14default_configENS1_25transform_config_selectorIlLb1EEEZNS1_14transform_implILb1ES3_S5_PlS7_NS0_8identityIlEEEE10hipError_tT2_T3_mT4_P12ihipStream_tbEUlT_E_NS1_11comp_targetILNS1_3genE0ELNS1_11target_archE4294967295ELNS1_3gpuE0ELNS1_3repE0EEENS1_30default_config_static_selectorELNS0_4arch9wavefront6targetE1EEEvT1_ ; -- Begin function _ZN7rocprim17ROCPRIM_400000_NS6detail17trampoline_kernelINS0_14default_configENS1_25transform_config_selectorIlLb1EEEZNS1_14transform_implILb1ES3_S5_PlS7_NS0_8identityIlEEEE10hipError_tT2_T3_mT4_P12ihipStream_tbEUlT_E_NS1_11comp_targetILNS1_3genE0ELNS1_11target_archE4294967295ELNS1_3gpuE0ELNS1_3repE0EEENS1_30default_config_static_selectorELNS0_4arch9wavefront6targetE1EEEvT1_
	.globl	_ZN7rocprim17ROCPRIM_400000_NS6detail17trampoline_kernelINS0_14default_configENS1_25transform_config_selectorIlLb1EEEZNS1_14transform_implILb1ES3_S5_PlS7_NS0_8identityIlEEEE10hipError_tT2_T3_mT4_P12ihipStream_tbEUlT_E_NS1_11comp_targetILNS1_3genE0ELNS1_11target_archE4294967295ELNS1_3gpuE0ELNS1_3repE0EEENS1_30default_config_static_selectorELNS0_4arch9wavefront6targetE1EEEvT1_
	.p2align	8
	.type	_ZN7rocprim17ROCPRIM_400000_NS6detail17trampoline_kernelINS0_14default_configENS1_25transform_config_selectorIlLb1EEEZNS1_14transform_implILb1ES3_S5_PlS7_NS0_8identityIlEEEE10hipError_tT2_T3_mT4_P12ihipStream_tbEUlT_E_NS1_11comp_targetILNS1_3genE0ELNS1_11target_archE4294967295ELNS1_3gpuE0ELNS1_3repE0EEENS1_30default_config_static_selectorELNS0_4arch9wavefront6targetE1EEEvT1_,@function
_ZN7rocprim17ROCPRIM_400000_NS6detail17trampoline_kernelINS0_14default_configENS1_25transform_config_selectorIlLb1EEEZNS1_14transform_implILb1ES3_S5_PlS7_NS0_8identityIlEEEE10hipError_tT2_T3_mT4_P12ihipStream_tbEUlT_E_NS1_11comp_targetILNS1_3genE0ELNS1_11target_archE4294967295ELNS1_3gpuE0ELNS1_3repE0EEENS1_30default_config_static_selectorELNS0_4arch9wavefront6targetE1EEEvT1_: ; @_ZN7rocprim17ROCPRIM_400000_NS6detail17trampoline_kernelINS0_14default_configENS1_25transform_config_selectorIlLb1EEEZNS1_14transform_implILb1ES3_S5_PlS7_NS0_8identityIlEEEE10hipError_tT2_T3_mT4_P12ihipStream_tbEUlT_E_NS1_11comp_targetILNS1_3genE0ELNS1_11target_archE4294967295ELNS1_3gpuE0ELNS1_3repE0EEENS1_30default_config_static_selectorELNS0_4arch9wavefront6targetE1EEEvT1_
; %bb.0:
	.section	.rodata,"a",@progbits
	.p2align	6, 0x0
	.amdhsa_kernel _ZN7rocprim17ROCPRIM_400000_NS6detail17trampoline_kernelINS0_14default_configENS1_25transform_config_selectorIlLb1EEEZNS1_14transform_implILb1ES3_S5_PlS7_NS0_8identityIlEEEE10hipError_tT2_T3_mT4_P12ihipStream_tbEUlT_E_NS1_11comp_targetILNS1_3genE0ELNS1_11target_archE4294967295ELNS1_3gpuE0ELNS1_3repE0EEENS1_30default_config_static_selectorELNS0_4arch9wavefront6targetE1EEEvT1_
		.amdhsa_group_segment_fixed_size 0
		.amdhsa_private_segment_fixed_size 0
		.amdhsa_kernarg_size 40
		.amdhsa_user_sgpr_count 6
		.amdhsa_user_sgpr_private_segment_buffer 1
		.amdhsa_user_sgpr_dispatch_ptr 0
		.amdhsa_user_sgpr_queue_ptr 0
		.amdhsa_user_sgpr_kernarg_segment_ptr 1
		.amdhsa_user_sgpr_dispatch_id 0
		.amdhsa_user_sgpr_flat_scratch_init 0
		.amdhsa_user_sgpr_kernarg_preload_length 0
		.amdhsa_user_sgpr_kernarg_preload_offset 0
		.amdhsa_user_sgpr_private_segment_size 0
		.amdhsa_uses_dynamic_stack 0
		.amdhsa_system_sgpr_private_segment_wavefront_offset 0
		.amdhsa_system_sgpr_workgroup_id_x 1
		.amdhsa_system_sgpr_workgroup_id_y 0
		.amdhsa_system_sgpr_workgroup_id_z 0
		.amdhsa_system_sgpr_workgroup_info 0
		.amdhsa_system_vgpr_workitem_id 0
		.amdhsa_next_free_vgpr 1
		.amdhsa_next_free_sgpr 0
		.amdhsa_accum_offset 4
		.amdhsa_reserve_vcc 0
		.amdhsa_reserve_flat_scratch 0
		.amdhsa_float_round_mode_32 0
		.amdhsa_float_round_mode_16_64 0
		.amdhsa_float_denorm_mode_32 3
		.amdhsa_float_denorm_mode_16_64 3
		.amdhsa_dx10_clamp 1
		.amdhsa_ieee_mode 1
		.amdhsa_fp16_overflow 0
		.amdhsa_tg_split 0
		.amdhsa_exception_fp_ieee_invalid_op 0
		.amdhsa_exception_fp_denorm_src 0
		.amdhsa_exception_fp_ieee_div_zero 0
		.amdhsa_exception_fp_ieee_overflow 0
		.amdhsa_exception_fp_ieee_underflow 0
		.amdhsa_exception_fp_ieee_inexact 0
		.amdhsa_exception_int_div_zero 0
	.end_amdhsa_kernel
	.section	.text._ZN7rocprim17ROCPRIM_400000_NS6detail17trampoline_kernelINS0_14default_configENS1_25transform_config_selectorIlLb1EEEZNS1_14transform_implILb1ES3_S5_PlS7_NS0_8identityIlEEEE10hipError_tT2_T3_mT4_P12ihipStream_tbEUlT_E_NS1_11comp_targetILNS1_3genE0ELNS1_11target_archE4294967295ELNS1_3gpuE0ELNS1_3repE0EEENS1_30default_config_static_selectorELNS0_4arch9wavefront6targetE1EEEvT1_,"axG",@progbits,_ZN7rocprim17ROCPRIM_400000_NS6detail17trampoline_kernelINS0_14default_configENS1_25transform_config_selectorIlLb1EEEZNS1_14transform_implILb1ES3_S5_PlS7_NS0_8identityIlEEEE10hipError_tT2_T3_mT4_P12ihipStream_tbEUlT_E_NS1_11comp_targetILNS1_3genE0ELNS1_11target_archE4294967295ELNS1_3gpuE0ELNS1_3repE0EEENS1_30default_config_static_selectorELNS0_4arch9wavefront6targetE1EEEvT1_,comdat
.Lfunc_end42:
	.size	_ZN7rocprim17ROCPRIM_400000_NS6detail17trampoline_kernelINS0_14default_configENS1_25transform_config_selectorIlLb1EEEZNS1_14transform_implILb1ES3_S5_PlS7_NS0_8identityIlEEEE10hipError_tT2_T3_mT4_P12ihipStream_tbEUlT_E_NS1_11comp_targetILNS1_3genE0ELNS1_11target_archE4294967295ELNS1_3gpuE0ELNS1_3repE0EEENS1_30default_config_static_selectorELNS0_4arch9wavefront6targetE1EEEvT1_, .Lfunc_end42-_ZN7rocprim17ROCPRIM_400000_NS6detail17trampoline_kernelINS0_14default_configENS1_25transform_config_selectorIlLb1EEEZNS1_14transform_implILb1ES3_S5_PlS7_NS0_8identityIlEEEE10hipError_tT2_T3_mT4_P12ihipStream_tbEUlT_E_NS1_11comp_targetILNS1_3genE0ELNS1_11target_archE4294967295ELNS1_3gpuE0ELNS1_3repE0EEENS1_30default_config_static_selectorELNS0_4arch9wavefront6targetE1EEEvT1_
                                        ; -- End function
	.section	.AMDGPU.csdata,"",@progbits
; Kernel info:
; codeLenInByte = 0
; NumSgprs: 4
; NumVgprs: 0
; NumAgprs: 0
; TotalNumVgprs: 0
; ScratchSize: 0
; MemoryBound: 0
; FloatMode: 240
; IeeeMode: 1
; LDSByteSize: 0 bytes/workgroup (compile time only)
; SGPRBlocks: 0
; VGPRBlocks: 0
; NumSGPRsForWavesPerEU: 4
; NumVGPRsForWavesPerEU: 1
; AccumOffset: 4
; Occupancy: 8
; WaveLimiterHint : 0
; COMPUTE_PGM_RSRC2:SCRATCH_EN: 0
; COMPUTE_PGM_RSRC2:USER_SGPR: 6
; COMPUTE_PGM_RSRC2:TRAP_HANDLER: 0
; COMPUTE_PGM_RSRC2:TGID_X_EN: 1
; COMPUTE_PGM_RSRC2:TGID_Y_EN: 0
; COMPUTE_PGM_RSRC2:TGID_Z_EN: 0
; COMPUTE_PGM_RSRC2:TIDIG_COMP_CNT: 0
; COMPUTE_PGM_RSRC3_GFX90A:ACCUM_OFFSET: 0
; COMPUTE_PGM_RSRC3_GFX90A:TG_SPLIT: 0
	.section	.text._ZN7rocprim17ROCPRIM_400000_NS6detail17trampoline_kernelINS0_14default_configENS1_25transform_config_selectorIlLb1EEEZNS1_14transform_implILb1ES3_S5_PlS7_NS0_8identityIlEEEE10hipError_tT2_T3_mT4_P12ihipStream_tbEUlT_E_NS1_11comp_targetILNS1_3genE10ELNS1_11target_archE1201ELNS1_3gpuE5ELNS1_3repE0EEENS1_30default_config_static_selectorELNS0_4arch9wavefront6targetE1EEEvT1_,"axG",@progbits,_ZN7rocprim17ROCPRIM_400000_NS6detail17trampoline_kernelINS0_14default_configENS1_25transform_config_selectorIlLb1EEEZNS1_14transform_implILb1ES3_S5_PlS7_NS0_8identityIlEEEE10hipError_tT2_T3_mT4_P12ihipStream_tbEUlT_E_NS1_11comp_targetILNS1_3genE10ELNS1_11target_archE1201ELNS1_3gpuE5ELNS1_3repE0EEENS1_30default_config_static_selectorELNS0_4arch9wavefront6targetE1EEEvT1_,comdat
	.protected	_ZN7rocprim17ROCPRIM_400000_NS6detail17trampoline_kernelINS0_14default_configENS1_25transform_config_selectorIlLb1EEEZNS1_14transform_implILb1ES3_S5_PlS7_NS0_8identityIlEEEE10hipError_tT2_T3_mT4_P12ihipStream_tbEUlT_E_NS1_11comp_targetILNS1_3genE10ELNS1_11target_archE1201ELNS1_3gpuE5ELNS1_3repE0EEENS1_30default_config_static_selectorELNS0_4arch9wavefront6targetE1EEEvT1_ ; -- Begin function _ZN7rocprim17ROCPRIM_400000_NS6detail17trampoline_kernelINS0_14default_configENS1_25transform_config_selectorIlLb1EEEZNS1_14transform_implILb1ES3_S5_PlS7_NS0_8identityIlEEEE10hipError_tT2_T3_mT4_P12ihipStream_tbEUlT_E_NS1_11comp_targetILNS1_3genE10ELNS1_11target_archE1201ELNS1_3gpuE5ELNS1_3repE0EEENS1_30default_config_static_selectorELNS0_4arch9wavefront6targetE1EEEvT1_
	.globl	_ZN7rocprim17ROCPRIM_400000_NS6detail17trampoline_kernelINS0_14default_configENS1_25transform_config_selectorIlLb1EEEZNS1_14transform_implILb1ES3_S5_PlS7_NS0_8identityIlEEEE10hipError_tT2_T3_mT4_P12ihipStream_tbEUlT_E_NS1_11comp_targetILNS1_3genE10ELNS1_11target_archE1201ELNS1_3gpuE5ELNS1_3repE0EEENS1_30default_config_static_selectorELNS0_4arch9wavefront6targetE1EEEvT1_
	.p2align	8
	.type	_ZN7rocprim17ROCPRIM_400000_NS6detail17trampoline_kernelINS0_14default_configENS1_25transform_config_selectorIlLb1EEEZNS1_14transform_implILb1ES3_S5_PlS7_NS0_8identityIlEEEE10hipError_tT2_T3_mT4_P12ihipStream_tbEUlT_E_NS1_11comp_targetILNS1_3genE10ELNS1_11target_archE1201ELNS1_3gpuE5ELNS1_3repE0EEENS1_30default_config_static_selectorELNS0_4arch9wavefront6targetE1EEEvT1_,@function
_ZN7rocprim17ROCPRIM_400000_NS6detail17trampoline_kernelINS0_14default_configENS1_25transform_config_selectorIlLb1EEEZNS1_14transform_implILb1ES3_S5_PlS7_NS0_8identityIlEEEE10hipError_tT2_T3_mT4_P12ihipStream_tbEUlT_E_NS1_11comp_targetILNS1_3genE10ELNS1_11target_archE1201ELNS1_3gpuE5ELNS1_3repE0EEENS1_30default_config_static_selectorELNS0_4arch9wavefront6targetE1EEEvT1_: ; @_ZN7rocprim17ROCPRIM_400000_NS6detail17trampoline_kernelINS0_14default_configENS1_25transform_config_selectorIlLb1EEEZNS1_14transform_implILb1ES3_S5_PlS7_NS0_8identityIlEEEE10hipError_tT2_T3_mT4_P12ihipStream_tbEUlT_E_NS1_11comp_targetILNS1_3genE10ELNS1_11target_archE1201ELNS1_3gpuE5ELNS1_3repE0EEENS1_30default_config_static_selectorELNS0_4arch9wavefront6targetE1EEEvT1_
; %bb.0:
	.section	.rodata,"a",@progbits
	.p2align	6, 0x0
	.amdhsa_kernel _ZN7rocprim17ROCPRIM_400000_NS6detail17trampoline_kernelINS0_14default_configENS1_25transform_config_selectorIlLb1EEEZNS1_14transform_implILb1ES3_S5_PlS7_NS0_8identityIlEEEE10hipError_tT2_T3_mT4_P12ihipStream_tbEUlT_E_NS1_11comp_targetILNS1_3genE10ELNS1_11target_archE1201ELNS1_3gpuE5ELNS1_3repE0EEENS1_30default_config_static_selectorELNS0_4arch9wavefront6targetE1EEEvT1_
		.amdhsa_group_segment_fixed_size 0
		.amdhsa_private_segment_fixed_size 0
		.amdhsa_kernarg_size 40
		.amdhsa_user_sgpr_count 6
		.amdhsa_user_sgpr_private_segment_buffer 1
		.amdhsa_user_sgpr_dispatch_ptr 0
		.amdhsa_user_sgpr_queue_ptr 0
		.amdhsa_user_sgpr_kernarg_segment_ptr 1
		.amdhsa_user_sgpr_dispatch_id 0
		.amdhsa_user_sgpr_flat_scratch_init 0
		.amdhsa_user_sgpr_kernarg_preload_length 0
		.amdhsa_user_sgpr_kernarg_preload_offset 0
		.amdhsa_user_sgpr_private_segment_size 0
		.amdhsa_uses_dynamic_stack 0
		.amdhsa_system_sgpr_private_segment_wavefront_offset 0
		.amdhsa_system_sgpr_workgroup_id_x 1
		.amdhsa_system_sgpr_workgroup_id_y 0
		.amdhsa_system_sgpr_workgroup_id_z 0
		.amdhsa_system_sgpr_workgroup_info 0
		.amdhsa_system_vgpr_workitem_id 0
		.amdhsa_next_free_vgpr 1
		.amdhsa_next_free_sgpr 0
		.amdhsa_accum_offset 4
		.amdhsa_reserve_vcc 0
		.amdhsa_reserve_flat_scratch 0
		.amdhsa_float_round_mode_32 0
		.amdhsa_float_round_mode_16_64 0
		.amdhsa_float_denorm_mode_32 3
		.amdhsa_float_denorm_mode_16_64 3
		.amdhsa_dx10_clamp 1
		.amdhsa_ieee_mode 1
		.amdhsa_fp16_overflow 0
		.amdhsa_tg_split 0
		.amdhsa_exception_fp_ieee_invalid_op 0
		.amdhsa_exception_fp_denorm_src 0
		.amdhsa_exception_fp_ieee_div_zero 0
		.amdhsa_exception_fp_ieee_overflow 0
		.amdhsa_exception_fp_ieee_underflow 0
		.amdhsa_exception_fp_ieee_inexact 0
		.amdhsa_exception_int_div_zero 0
	.end_amdhsa_kernel
	.section	.text._ZN7rocprim17ROCPRIM_400000_NS6detail17trampoline_kernelINS0_14default_configENS1_25transform_config_selectorIlLb1EEEZNS1_14transform_implILb1ES3_S5_PlS7_NS0_8identityIlEEEE10hipError_tT2_T3_mT4_P12ihipStream_tbEUlT_E_NS1_11comp_targetILNS1_3genE10ELNS1_11target_archE1201ELNS1_3gpuE5ELNS1_3repE0EEENS1_30default_config_static_selectorELNS0_4arch9wavefront6targetE1EEEvT1_,"axG",@progbits,_ZN7rocprim17ROCPRIM_400000_NS6detail17trampoline_kernelINS0_14default_configENS1_25transform_config_selectorIlLb1EEEZNS1_14transform_implILb1ES3_S5_PlS7_NS0_8identityIlEEEE10hipError_tT2_T3_mT4_P12ihipStream_tbEUlT_E_NS1_11comp_targetILNS1_3genE10ELNS1_11target_archE1201ELNS1_3gpuE5ELNS1_3repE0EEENS1_30default_config_static_selectorELNS0_4arch9wavefront6targetE1EEEvT1_,comdat
.Lfunc_end43:
	.size	_ZN7rocprim17ROCPRIM_400000_NS6detail17trampoline_kernelINS0_14default_configENS1_25transform_config_selectorIlLb1EEEZNS1_14transform_implILb1ES3_S5_PlS7_NS0_8identityIlEEEE10hipError_tT2_T3_mT4_P12ihipStream_tbEUlT_E_NS1_11comp_targetILNS1_3genE10ELNS1_11target_archE1201ELNS1_3gpuE5ELNS1_3repE0EEENS1_30default_config_static_selectorELNS0_4arch9wavefront6targetE1EEEvT1_, .Lfunc_end43-_ZN7rocprim17ROCPRIM_400000_NS6detail17trampoline_kernelINS0_14default_configENS1_25transform_config_selectorIlLb1EEEZNS1_14transform_implILb1ES3_S5_PlS7_NS0_8identityIlEEEE10hipError_tT2_T3_mT4_P12ihipStream_tbEUlT_E_NS1_11comp_targetILNS1_3genE10ELNS1_11target_archE1201ELNS1_3gpuE5ELNS1_3repE0EEENS1_30default_config_static_selectorELNS0_4arch9wavefront6targetE1EEEvT1_
                                        ; -- End function
	.section	.AMDGPU.csdata,"",@progbits
; Kernel info:
; codeLenInByte = 0
; NumSgprs: 4
; NumVgprs: 0
; NumAgprs: 0
; TotalNumVgprs: 0
; ScratchSize: 0
; MemoryBound: 0
; FloatMode: 240
; IeeeMode: 1
; LDSByteSize: 0 bytes/workgroup (compile time only)
; SGPRBlocks: 0
; VGPRBlocks: 0
; NumSGPRsForWavesPerEU: 4
; NumVGPRsForWavesPerEU: 1
; AccumOffset: 4
; Occupancy: 8
; WaveLimiterHint : 0
; COMPUTE_PGM_RSRC2:SCRATCH_EN: 0
; COMPUTE_PGM_RSRC2:USER_SGPR: 6
; COMPUTE_PGM_RSRC2:TRAP_HANDLER: 0
; COMPUTE_PGM_RSRC2:TGID_X_EN: 1
; COMPUTE_PGM_RSRC2:TGID_Y_EN: 0
; COMPUTE_PGM_RSRC2:TGID_Z_EN: 0
; COMPUTE_PGM_RSRC2:TIDIG_COMP_CNT: 0
; COMPUTE_PGM_RSRC3_GFX90A:ACCUM_OFFSET: 0
; COMPUTE_PGM_RSRC3_GFX90A:TG_SPLIT: 0
	.section	.text._ZN7rocprim17ROCPRIM_400000_NS6detail17trampoline_kernelINS0_14default_configENS1_25transform_config_selectorIlLb1EEEZNS1_14transform_implILb1ES3_S5_PlS7_NS0_8identityIlEEEE10hipError_tT2_T3_mT4_P12ihipStream_tbEUlT_E_NS1_11comp_targetILNS1_3genE5ELNS1_11target_archE942ELNS1_3gpuE9ELNS1_3repE0EEENS1_30default_config_static_selectorELNS0_4arch9wavefront6targetE1EEEvT1_,"axG",@progbits,_ZN7rocprim17ROCPRIM_400000_NS6detail17trampoline_kernelINS0_14default_configENS1_25transform_config_selectorIlLb1EEEZNS1_14transform_implILb1ES3_S5_PlS7_NS0_8identityIlEEEE10hipError_tT2_T3_mT4_P12ihipStream_tbEUlT_E_NS1_11comp_targetILNS1_3genE5ELNS1_11target_archE942ELNS1_3gpuE9ELNS1_3repE0EEENS1_30default_config_static_selectorELNS0_4arch9wavefront6targetE1EEEvT1_,comdat
	.protected	_ZN7rocprim17ROCPRIM_400000_NS6detail17trampoline_kernelINS0_14default_configENS1_25transform_config_selectorIlLb1EEEZNS1_14transform_implILb1ES3_S5_PlS7_NS0_8identityIlEEEE10hipError_tT2_T3_mT4_P12ihipStream_tbEUlT_E_NS1_11comp_targetILNS1_3genE5ELNS1_11target_archE942ELNS1_3gpuE9ELNS1_3repE0EEENS1_30default_config_static_selectorELNS0_4arch9wavefront6targetE1EEEvT1_ ; -- Begin function _ZN7rocprim17ROCPRIM_400000_NS6detail17trampoline_kernelINS0_14default_configENS1_25transform_config_selectorIlLb1EEEZNS1_14transform_implILb1ES3_S5_PlS7_NS0_8identityIlEEEE10hipError_tT2_T3_mT4_P12ihipStream_tbEUlT_E_NS1_11comp_targetILNS1_3genE5ELNS1_11target_archE942ELNS1_3gpuE9ELNS1_3repE0EEENS1_30default_config_static_selectorELNS0_4arch9wavefront6targetE1EEEvT1_
	.globl	_ZN7rocprim17ROCPRIM_400000_NS6detail17trampoline_kernelINS0_14default_configENS1_25transform_config_selectorIlLb1EEEZNS1_14transform_implILb1ES3_S5_PlS7_NS0_8identityIlEEEE10hipError_tT2_T3_mT4_P12ihipStream_tbEUlT_E_NS1_11comp_targetILNS1_3genE5ELNS1_11target_archE942ELNS1_3gpuE9ELNS1_3repE0EEENS1_30default_config_static_selectorELNS0_4arch9wavefront6targetE1EEEvT1_
	.p2align	8
	.type	_ZN7rocprim17ROCPRIM_400000_NS6detail17trampoline_kernelINS0_14default_configENS1_25transform_config_selectorIlLb1EEEZNS1_14transform_implILb1ES3_S5_PlS7_NS0_8identityIlEEEE10hipError_tT2_T3_mT4_P12ihipStream_tbEUlT_E_NS1_11comp_targetILNS1_3genE5ELNS1_11target_archE942ELNS1_3gpuE9ELNS1_3repE0EEENS1_30default_config_static_selectorELNS0_4arch9wavefront6targetE1EEEvT1_,@function
_ZN7rocprim17ROCPRIM_400000_NS6detail17trampoline_kernelINS0_14default_configENS1_25transform_config_selectorIlLb1EEEZNS1_14transform_implILb1ES3_S5_PlS7_NS0_8identityIlEEEE10hipError_tT2_T3_mT4_P12ihipStream_tbEUlT_E_NS1_11comp_targetILNS1_3genE5ELNS1_11target_archE942ELNS1_3gpuE9ELNS1_3repE0EEENS1_30default_config_static_selectorELNS0_4arch9wavefront6targetE1EEEvT1_: ; @_ZN7rocprim17ROCPRIM_400000_NS6detail17trampoline_kernelINS0_14default_configENS1_25transform_config_selectorIlLb1EEEZNS1_14transform_implILb1ES3_S5_PlS7_NS0_8identityIlEEEE10hipError_tT2_T3_mT4_P12ihipStream_tbEUlT_E_NS1_11comp_targetILNS1_3genE5ELNS1_11target_archE942ELNS1_3gpuE9ELNS1_3repE0EEENS1_30default_config_static_selectorELNS0_4arch9wavefront6targetE1EEEvT1_
; %bb.0:
	.section	.rodata,"a",@progbits
	.p2align	6, 0x0
	.amdhsa_kernel _ZN7rocprim17ROCPRIM_400000_NS6detail17trampoline_kernelINS0_14default_configENS1_25transform_config_selectorIlLb1EEEZNS1_14transform_implILb1ES3_S5_PlS7_NS0_8identityIlEEEE10hipError_tT2_T3_mT4_P12ihipStream_tbEUlT_E_NS1_11comp_targetILNS1_3genE5ELNS1_11target_archE942ELNS1_3gpuE9ELNS1_3repE0EEENS1_30default_config_static_selectorELNS0_4arch9wavefront6targetE1EEEvT1_
		.amdhsa_group_segment_fixed_size 0
		.amdhsa_private_segment_fixed_size 0
		.amdhsa_kernarg_size 40
		.amdhsa_user_sgpr_count 6
		.amdhsa_user_sgpr_private_segment_buffer 1
		.amdhsa_user_sgpr_dispatch_ptr 0
		.amdhsa_user_sgpr_queue_ptr 0
		.amdhsa_user_sgpr_kernarg_segment_ptr 1
		.amdhsa_user_sgpr_dispatch_id 0
		.amdhsa_user_sgpr_flat_scratch_init 0
		.amdhsa_user_sgpr_kernarg_preload_length 0
		.amdhsa_user_sgpr_kernarg_preload_offset 0
		.amdhsa_user_sgpr_private_segment_size 0
		.amdhsa_uses_dynamic_stack 0
		.amdhsa_system_sgpr_private_segment_wavefront_offset 0
		.amdhsa_system_sgpr_workgroup_id_x 1
		.amdhsa_system_sgpr_workgroup_id_y 0
		.amdhsa_system_sgpr_workgroup_id_z 0
		.amdhsa_system_sgpr_workgroup_info 0
		.amdhsa_system_vgpr_workitem_id 0
		.amdhsa_next_free_vgpr 1
		.amdhsa_next_free_sgpr 0
		.amdhsa_accum_offset 4
		.amdhsa_reserve_vcc 0
		.amdhsa_reserve_flat_scratch 0
		.amdhsa_float_round_mode_32 0
		.amdhsa_float_round_mode_16_64 0
		.amdhsa_float_denorm_mode_32 3
		.amdhsa_float_denorm_mode_16_64 3
		.amdhsa_dx10_clamp 1
		.amdhsa_ieee_mode 1
		.amdhsa_fp16_overflow 0
		.amdhsa_tg_split 0
		.amdhsa_exception_fp_ieee_invalid_op 0
		.amdhsa_exception_fp_denorm_src 0
		.amdhsa_exception_fp_ieee_div_zero 0
		.amdhsa_exception_fp_ieee_overflow 0
		.amdhsa_exception_fp_ieee_underflow 0
		.amdhsa_exception_fp_ieee_inexact 0
		.amdhsa_exception_int_div_zero 0
	.end_amdhsa_kernel
	.section	.text._ZN7rocprim17ROCPRIM_400000_NS6detail17trampoline_kernelINS0_14default_configENS1_25transform_config_selectorIlLb1EEEZNS1_14transform_implILb1ES3_S5_PlS7_NS0_8identityIlEEEE10hipError_tT2_T3_mT4_P12ihipStream_tbEUlT_E_NS1_11comp_targetILNS1_3genE5ELNS1_11target_archE942ELNS1_3gpuE9ELNS1_3repE0EEENS1_30default_config_static_selectorELNS0_4arch9wavefront6targetE1EEEvT1_,"axG",@progbits,_ZN7rocprim17ROCPRIM_400000_NS6detail17trampoline_kernelINS0_14default_configENS1_25transform_config_selectorIlLb1EEEZNS1_14transform_implILb1ES3_S5_PlS7_NS0_8identityIlEEEE10hipError_tT2_T3_mT4_P12ihipStream_tbEUlT_E_NS1_11comp_targetILNS1_3genE5ELNS1_11target_archE942ELNS1_3gpuE9ELNS1_3repE0EEENS1_30default_config_static_selectorELNS0_4arch9wavefront6targetE1EEEvT1_,comdat
.Lfunc_end44:
	.size	_ZN7rocprim17ROCPRIM_400000_NS6detail17trampoline_kernelINS0_14default_configENS1_25transform_config_selectorIlLb1EEEZNS1_14transform_implILb1ES3_S5_PlS7_NS0_8identityIlEEEE10hipError_tT2_T3_mT4_P12ihipStream_tbEUlT_E_NS1_11comp_targetILNS1_3genE5ELNS1_11target_archE942ELNS1_3gpuE9ELNS1_3repE0EEENS1_30default_config_static_selectorELNS0_4arch9wavefront6targetE1EEEvT1_, .Lfunc_end44-_ZN7rocprim17ROCPRIM_400000_NS6detail17trampoline_kernelINS0_14default_configENS1_25transform_config_selectorIlLb1EEEZNS1_14transform_implILb1ES3_S5_PlS7_NS0_8identityIlEEEE10hipError_tT2_T3_mT4_P12ihipStream_tbEUlT_E_NS1_11comp_targetILNS1_3genE5ELNS1_11target_archE942ELNS1_3gpuE9ELNS1_3repE0EEENS1_30default_config_static_selectorELNS0_4arch9wavefront6targetE1EEEvT1_
                                        ; -- End function
	.section	.AMDGPU.csdata,"",@progbits
; Kernel info:
; codeLenInByte = 0
; NumSgprs: 4
; NumVgprs: 0
; NumAgprs: 0
; TotalNumVgprs: 0
; ScratchSize: 0
; MemoryBound: 0
; FloatMode: 240
; IeeeMode: 1
; LDSByteSize: 0 bytes/workgroup (compile time only)
; SGPRBlocks: 0
; VGPRBlocks: 0
; NumSGPRsForWavesPerEU: 4
; NumVGPRsForWavesPerEU: 1
; AccumOffset: 4
; Occupancy: 8
; WaveLimiterHint : 0
; COMPUTE_PGM_RSRC2:SCRATCH_EN: 0
; COMPUTE_PGM_RSRC2:USER_SGPR: 6
; COMPUTE_PGM_RSRC2:TRAP_HANDLER: 0
; COMPUTE_PGM_RSRC2:TGID_X_EN: 1
; COMPUTE_PGM_RSRC2:TGID_Y_EN: 0
; COMPUTE_PGM_RSRC2:TGID_Z_EN: 0
; COMPUTE_PGM_RSRC2:TIDIG_COMP_CNT: 0
; COMPUTE_PGM_RSRC3_GFX90A:ACCUM_OFFSET: 0
; COMPUTE_PGM_RSRC3_GFX90A:TG_SPLIT: 0
	.section	.text._ZN7rocprim17ROCPRIM_400000_NS6detail17trampoline_kernelINS0_14default_configENS1_25transform_config_selectorIlLb1EEEZNS1_14transform_implILb1ES3_S5_PlS7_NS0_8identityIlEEEE10hipError_tT2_T3_mT4_P12ihipStream_tbEUlT_E_NS1_11comp_targetILNS1_3genE4ELNS1_11target_archE910ELNS1_3gpuE8ELNS1_3repE0EEENS1_30default_config_static_selectorELNS0_4arch9wavefront6targetE1EEEvT1_,"axG",@progbits,_ZN7rocprim17ROCPRIM_400000_NS6detail17trampoline_kernelINS0_14default_configENS1_25transform_config_selectorIlLb1EEEZNS1_14transform_implILb1ES3_S5_PlS7_NS0_8identityIlEEEE10hipError_tT2_T3_mT4_P12ihipStream_tbEUlT_E_NS1_11comp_targetILNS1_3genE4ELNS1_11target_archE910ELNS1_3gpuE8ELNS1_3repE0EEENS1_30default_config_static_selectorELNS0_4arch9wavefront6targetE1EEEvT1_,comdat
	.protected	_ZN7rocprim17ROCPRIM_400000_NS6detail17trampoline_kernelINS0_14default_configENS1_25transform_config_selectorIlLb1EEEZNS1_14transform_implILb1ES3_S5_PlS7_NS0_8identityIlEEEE10hipError_tT2_T3_mT4_P12ihipStream_tbEUlT_E_NS1_11comp_targetILNS1_3genE4ELNS1_11target_archE910ELNS1_3gpuE8ELNS1_3repE0EEENS1_30default_config_static_selectorELNS0_4arch9wavefront6targetE1EEEvT1_ ; -- Begin function _ZN7rocprim17ROCPRIM_400000_NS6detail17trampoline_kernelINS0_14default_configENS1_25transform_config_selectorIlLb1EEEZNS1_14transform_implILb1ES3_S5_PlS7_NS0_8identityIlEEEE10hipError_tT2_T3_mT4_P12ihipStream_tbEUlT_E_NS1_11comp_targetILNS1_3genE4ELNS1_11target_archE910ELNS1_3gpuE8ELNS1_3repE0EEENS1_30default_config_static_selectorELNS0_4arch9wavefront6targetE1EEEvT1_
	.globl	_ZN7rocprim17ROCPRIM_400000_NS6detail17trampoline_kernelINS0_14default_configENS1_25transform_config_selectorIlLb1EEEZNS1_14transform_implILb1ES3_S5_PlS7_NS0_8identityIlEEEE10hipError_tT2_T3_mT4_P12ihipStream_tbEUlT_E_NS1_11comp_targetILNS1_3genE4ELNS1_11target_archE910ELNS1_3gpuE8ELNS1_3repE0EEENS1_30default_config_static_selectorELNS0_4arch9wavefront6targetE1EEEvT1_
	.p2align	8
	.type	_ZN7rocprim17ROCPRIM_400000_NS6detail17trampoline_kernelINS0_14default_configENS1_25transform_config_selectorIlLb1EEEZNS1_14transform_implILb1ES3_S5_PlS7_NS0_8identityIlEEEE10hipError_tT2_T3_mT4_P12ihipStream_tbEUlT_E_NS1_11comp_targetILNS1_3genE4ELNS1_11target_archE910ELNS1_3gpuE8ELNS1_3repE0EEENS1_30default_config_static_selectorELNS0_4arch9wavefront6targetE1EEEvT1_,@function
_ZN7rocprim17ROCPRIM_400000_NS6detail17trampoline_kernelINS0_14default_configENS1_25transform_config_selectorIlLb1EEEZNS1_14transform_implILb1ES3_S5_PlS7_NS0_8identityIlEEEE10hipError_tT2_T3_mT4_P12ihipStream_tbEUlT_E_NS1_11comp_targetILNS1_3genE4ELNS1_11target_archE910ELNS1_3gpuE8ELNS1_3repE0EEENS1_30default_config_static_selectorELNS0_4arch9wavefront6targetE1EEEvT1_: ; @_ZN7rocprim17ROCPRIM_400000_NS6detail17trampoline_kernelINS0_14default_configENS1_25transform_config_selectorIlLb1EEEZNS1_14transform_implILb1ES3_S5_PlS7_NS0_8identityIlEEEE10hipError_tT2_T3_mT4_P12ihipStream_tbEUlT_E_NS1_11comp_targetILNS1_3genE4ELNS1_11target_archE910ELNS1_3gpuE8ELNS1_3repE0EEENS1_30default_config_static_selectorELNS0_4arch9wavefront6targetE1EEEvT1_
; %bb.0:
	s_load_dwordx8 s[8:15], s[4:5], 0x0
	s_load_dword s2, s[4:5], 0x28
	s_waitcnt lgkmcnt(0)
	s_lshl_b64 s[0:1], s[10:11], 3
	s_add_u32 s4, s8, s0
	s_addc_u32 s5, s9, s1
	s_add_u32 s8, s14, s0
	s_addc_u32 s9, s15, s1
	s_lshl_b32 s0, s6, 11
	s_mov_b32 s1, 0
	s_add_i32 s7, s2, -1
	s_lshl_b64 s[2:3], s[0:1], 3
	s_add_u32 s4, s4, s2
	s_addc_u32 s5, s5, s3
	s_cmp_lg_u32 s6, s7
	s_mov_b64 s[6:7], -1
	s_cbranch_scc0 .LBB45_2
; %bb.1:
	v_lshlrev_b32_e32 v1, 4, v0
	global_load_dwordx4 v[2:5], v1, s[4:5]
	s_add_u32 s6, s8, s2
	s_addc_u32 s7, s9, s3
	s_waitcnt vmcnt(0)
	global_store_dwordx4 v1, v[2:5], s[6:7]
	s_mov_b64 s[6:7], 0
.LBB45_2:
	s_andn2_b64 vcc, exec, s[6:7]
	s_cbranch_vccnz .LBB45_11
; %bb.3:
	s_sub_i32 s6, s12, s0
	v_cmp_gt_u32_e32 vcc, s6, v0
	v_lshlrev_b32_e32 v1, 3, v0
                                        ; implicit-def: $vgpr2_vgpr3_vgpr4_vgpr5
	s_and_saveexec_b64 s[0:1], vcc
	s_cbranch_execz .LBB45_5
; %bb.4:
	global_load_dwordx2 v[2:3], v1, s[4:5]
.LBB45_5:
	s_or_b64 exec, exec, s[0:1]
	v_or_b32_e32 v0, 0x400, v0
	v_cmp_gt_u32_e64 s[0:1], s6, v0
	s_and_saveexec_b64 s[6:7], s[0:1]
	s_cbranch_execz .LBB45_7
; %bb.6:
	v_lshlrev_b32_e32 v0, 3, v0
	global_load_dwordx2 v[4:5], v0, s[4:5]
.LBB45_7:
	s_or_b64 exec, exec, s[6:7]
	s_add_u32 s2, s8, s2
	s_addc_u32 s3, s9, s3
	v_mov_b32_e32 v6, s3
	v_add_co_u32_e64 v0, s[2:3], s2, v1
	v_addc_co_u32_e64 v1, s[2:3], 0, v6, s[2:3]
	s_and_saveexec_b64 s[2:3], vcc
	s_cbranch_execz .LBB45_9
; %bb.8:
	s_waitcnt vmcnt(0)
	global_store_dwordx2 v[0:1], v[2:3], off
.LBB45_9:
	s_or_b64 exec, exec, s[2:3]
	s_and_saveexec_b64 s[2:3], s[0:1]
	s_cbranch_execz .LBB45_11
; %bb.10:
	v_add_co_u32_e32 v0, vcc, 0x2000, v0
	v_addc_co_u32_e32 v1, vcc, 0, v1, vcc
	s_waitcnt vmcnt(0)
	global_store_dwordx2 v[0:1], v[4:5], off
.LBB45_11:
	s_endpgm
	.section	.rodata,"a",@progbits
	.p2align	6, 0x0
	.amdhsa_kernel _ZN7rocprim17ROCPRIM_400000_NS6detail17trampoline_kernelINS0_14default_configENS1_25transform_config_selectorIlLb1EEEZNS1_14transform_implILb1ES3_S5_PlS7_NS0_8identityIlEEEE10hipError_tT2_T3_mT4_P12ihipStream_tbEUlT_E_NS1_11comp_targetILNS1_3genE4ELNS1_11target_archE910ELNS1_3gpuE8ELNS1_3repE0EEENS1_30default_config_static_selectorELNS0_4arch9wavefront6targetE1EEEvT1_
		.amdhsa_group_segment_fixed_size 0
		.amdhsa_private_segment_fixed_size 0
		.amdhsa_kernarg_size 296
		.amdhsa_user_sgpr_count 6
		.amdhsa_user_sgpr_private_segment_buffer 1
		.amdhsa_user_sgpr_dispatch_ptr 0
		.amdhsa_user_sgpr_queue_ptr 0
		.amdhsa_user_sgpr_kernarg_segment_ptr 1
		.amdhsa_user_sgpr_dispatch_id 0
		.amdhsa_user_sgpr_flat_scratch_init 0
		.amdhsa_user_sgpr_kernarg_preload_length 0
		.amdhsa_user_sgpr_kernarg_preload_offset 0
		.amdhsa_user_sgpr_private_segment_size 0
		.amdhsa_uses_dynamic_stack 0
		.amdhsa_system_sgpr_private_segment_wavefront_offset 0
		.amdhsa_system_sgpr_workgroup_id_x 1
		.amdhsa_system_sgpr_workgroup_id_y 0
		.amdhsa_system_sgpr_workgroup_id_z 0
		.amdhsa_system_sgpr_workgroup_info 0
		.amdhsa_system_vgpr_workitem_id 0
		.amdhsa_next_free_vgpr 7
		.amdhsa_next_free_sgpr 16
		.amdhsa_accum_offset 8
		.amdhsa_reserve_vcc 1
		.amdhsa_reserve_flat_scratch 0
		.amdhsa_float_round_mode_32 0
		.amdhsa_float_round_mode_16_64 0
		.amdhsa_float_denorm_mode_32 3
		.amdhsa_float_denorm_mode_16_64 3
		.amdhsa_dx10_clamp 1
		.amdhsa_ieee_mode 1
		.amdhsa_fp16_overflow 0
		.amdhsa_tg_split 0
		.amdhsa_exception_fp_ieee_invalid_op 0
		.amdhsa_exception_fp_denorm_src 0
		.amdhsa_exception_fp_ieee_div_zero 0
		.amdhsa_exception_fp_ieee_overflow 0
		.amdhsa_exception_fp_ieee_underflow 0
		.amdhsa_exception_fp_ieee_inexact 0
		.amdhsa_exception_int_div_zero 0
	.end_amdhsa_kernel
	.section	.text._ZN7rocprim17ROCPRIM_400000_NS6detail17trampoline_kernelINS0_14default_configENS1_25transform_config_selectorIlLb1EEEZNS1_14transform_implILb1ES3_S5_PlS7_NS0_8identityIlEEEE10hipError_tT2_T3_mT4_P12ihipStream_tbEUlT_E_NS1_11comp_targetILNS1_3genE4ELNS1_11target_archE910ELNS1_3gpuE8ELNS1_3repE0EEENS1_30default_config_static_selectorELNS0_4arch9wavefront6targetE1EEEvT1_,"axG",@progbits,_ZN7rocprim17ROCPRIM_400000_NS6detail17trampoline_kernelINS0_14default_configENS1_25transform_config_selectorIlLb1EEEZNS1_14transform_implILb1ES3_S5_PlS7_NS0_8identityIlEEEE10hipError_tT2_T3_mT4_P12ihipStream_tbEUlT_E_NS1_11comp_targetILNS1_3genE4ELNS1_11target_archE910ELNS1_3gpuE8ELNS1_3repE0EEENS1_30default_config_static_selectorELNS0_4arch9wavefront6targetE1EEEvT1_,comdat
.Lfunc_end45:
	.size	_ZN7rocprim17ROCPRIM_400000_NS6detail17trampoline_kernelINS0_14default_configENS1_25transform_config_selectorIlLb1EEEZNS1_14transform_implILb1ES3_S5_PlS7_NS0_8identityIlEEEE10hipError_tT2_T3_mT4_P12ihipStream_tbEUlT_E_NS1_11comp_targetILNS1_3genE4ELNS1_11target_archE910ELNS1_3gpuE8ELNS1_3repE0EEENS1_30default_config_static_selectorELNS0_4arch9wavefront6targetE1EEEvT1_, .Lfunc_end45-_ZN7rocprim17ROCPRIM_400000_NS6detail17trampoline_kernelINS0_14default_configENS1_25transform_config_selectorIlLb1EEEZNS1_14transform_implILb1ES3_S5_PlS7_NS0_8identityIlEEEE10hipError_tT2_T3_mT4_P12ihipStream_tbEUlT_E_NS1_11comp_targetILNS1_3genE4ELNS1_11target_archE910ELNS1_3gpuE8ELNS1_3repE0EEENS1_30default_config_static_selectorELNS0_4arch9wavefront6targetE1EEEvT1_
                                        ; -- End function
	.section	.AMDGPU.csdata,"",@progbits
; Kernel info:
; codeLenInByte = 280
; NumSgprs: 20
; NumVgprs: 7
; NumAgprs: 0
; TotalNumVgprs: 7
; ScratchSize: 0
; MemoryBound: 1
; FloatMode: 240
; IeeeMode: 1
; LDSByteSize: 0 bytes/workgroup (compile time only)
; SGPRBlocks: 2
; VGPRBlocks: 0
; NumSGPRsForWavesPerEU: 20
; NumVGPRsForWavesPerEU: 7
; AccumOffset: 8
; Occupancy: 8
; WaveLimiterHint : 0
; COMPUTE_PGM_RSRC2:SCRATCH_EN: 0
; COMPUTE_PGM_RSRC2:USER_SGPR: 6
; COMPUTE_PGM_RSRC2:TRAP_HANDLER: 0
; COMPUTE_PGM_RSRC2:TGID_X_EN: 1
; COMPUTE_PGM_RSRC2:TGID_Y_EN: 0
; COMPUTE_PGM_RSRC2:TGID_Z_EN: 0
; COMPUTE_PGM_RSRC2:TIDIG_COMP_CNT: 0
; COMPUTE_PGM_RSRC3_GFX90A:ACCUM_OFFSET: 1
; COMPUTE_PGM_RSRC3_GFX90A:TG_SPLIT: 0
	.section	.text._ZN7rocprim17ROCPRIM_400000_NS6detail17trampoline_kernelINS0_14default_configENS1_25transform_config_selectorIlLb1EEEZNS1_14transform_implILb1ES3_S5_PlS7_NS0_8identityIlEEEE10hipError_tT2_T3_mT4_P12ihipStream_tbEUlT_E_NS1_11comp_targetILNS1_3genE3ELNS1_11target_archE908ELNS1_3gpuE7ELNS1_3repE0EEENS1_30default_config_static_selectorELNS0_4arch9wavefront6targetE1EEEvT1_,"axG",@progbits,_ZN7rocprim17ROCPRIM_400000_NS6detail17trampoline_kernelINS0_14default_configENS1_25transform_config_selectorIlLb1EEEZNS1_14transform_implILb1ES3_S5_PlS7_NS0_8identityIlEEEE10hipError_tT2_T3_mT4_P12ihipStream_tbEUlT_E_NS1_11comp_targetILNS1_3genE3ELNS1_11target_archE908ELNS1_3gpuE7ELNS1_3repE0EEENS1_30default_config_static_selectorELNS0_4arch9wavefront6targetE1EEEvT1_,comdat
	.protected	_ZN7rocprim17ROCPRIM_400000_NS6detail17trampoline_kernelINS0_14default_configENS1_25transform_config_selectorIlLb1EEEZNS1_14transform_implILb1ES3_S5_PlS7_NS0_8identityIlEEEE10hipError_tT2_T3_mT4_P12ihipStream_tbEUlT_E_NS1_11comp_targetILNS1_3genE3ELNS1_11target_archE908ELNS1_3gpuE7ELNS1_3repE0EEENS1_30default_config_static_selectorELNS0_4arch9wavefront6targetE1EEEvT1_ ; -- Begin function _ZN7rocprim17ROCPRIM_400000_NS6detail17trampoline_kernelINS0_14default_configENS1_25transform_config_selectorIlLb1EEEZNS1_14transform_implILb1ES3_S5_PlS7_NS0_8identityIlEEEE10hipError_tT2_T3_mT4_P12ihipStream_tbEUlT_E_NS1_11comp_targetILNS1_3genE3ELNS1_11target_archE908ELNS1_3gpuE7ELNS1_3repE0EEENS1_30default_config_static_selectorELNS0_4arch9wavefront6targetE1EEEvT1_
	.globl	_ZN7rocprim17ROCPRIM_400000_NS6detail17trampoline_kernelINS0_14default_configENS1_25transform_config_selectorIlLb1EEEZNS1_14transform_implILb1ES3_S5_PlS7_NS0_8identityIlEEEE10hipError_tT2_T3_mT4_P12ihipStream_tbEUlT_E_NS1_11comp_targetILNS1_3genE3ELNS1_11target_archE908ELNS1_3gpuE7ELNS1_3repE0EEENS1_30default_config_static_selectorELNS0_4arch9wavefront6targetE1EEEvT1_
	.p2align	8
	.type	_ZN7rocprim17ROCPRIM_400000_NS6detail17trampoline_kernelINS0_14default_configENS1_25transform_config_selectorIlLb1EEEZNS1_14transform_implILb1ES3_S5_PlS7_NS0_8identityIlEEEE10hipError_tT2_T3_mT4_P12ihipStream_tbEUlT_E_NS1_11comp_targetILNS1_3genE3ELNS1_11target_archE908ELNS1_3gpuE7ELNS1_3repE0EEENS1_30default_config_static_selectorELNS0_4arch9wavefront6targetE1EEEvT1_,@function
_ZN7rocprim17ROCPRIM_400000_NS6detail17trampoline_kernelINS0_14default_configENS1_25transform_config_selectorIlLb1EEEZNS1_14transform_implILb1ES3_S5_PlS7_NS0_8identityIlEEEE10hipError_tT2_T3_mT4_P12ihipStream_tbEUlT_E_NS1_11comp_targetILNS1_3genE3ELNS1_11target_archE908ELNS1_3gpuE7ELNS1_3repE0EEENS1_30default_config_static_selectorELNS0_4arch9wavefront6targetE1EEEvT1_: ; @_ZN7rocprim17ROCPRIM_400000_NS6detail17trampoline_kernelINS0_14default_configENS1_25transform_config_selectorIlLb1EEEZNS1_14transform_implILb1ES3_S5_PlS7_NS0_8identityIlEEEE10hipError_tT2_T3_mT4_P12ihipStream_tbEUlT_E_NS1_11comp_targetILNS1_3genE3ELNS1_11target_archE908ELNS1_3gpuE7ELNS1_3repE0EEENS1_30default_config_static_selectorELNS0_4arch9wavefront6targetE1EEEvT1_
; %bb.0:
	.section	.rodata,"a",@progbits
	.p2align	6, 0x0
	.amdhsa_kernel _ZN7rocprim17ROCPRIM_400000_NS6detail17trampoline_kernelINS0_14default_configENS1_25transform_config_selectorIlLb1EEEZNS1_14transform_implILb1ES3_S5_PlS7_NS0_8identityIlEEEE10hipError_tT2_T3_mT4_P12ihipStream_tbEUlT_E_NS1_11comp_targetILNS1_3genE3ELNS1_11target_archE908ELNS1_3gpuE7ELNS1_3repE0EEENS1_30default_config_static_selectorELNS0_4arch9wavefront6targetE1EEEvT1_
		.amdhsa_group_segment_fixed_size 0
		.amdhsa_private_segment_fixed_size 0
		.amdhsa_kernarg_size 40
		.amdhsa_user_sgpr_count 6
		.amdhsa_user_sgpr_private_segment_buffer 1
		.amdhsa_user_sgpr_dispatch_ptr 0
		.amdhsa_user_sgpr_queue_ptr 0
		.amdhsa_user_sgpr_kernarg_segment_ptr 1
		.amdhsa_user_sgpr_dispatch_id 0
		.amdhsa_user_sgpr_flat_scratch_init 0
		.amdhsa_user_sgpr_kernarg_preload_length 0
		.amdhsa_user_sgpr_kernarg_preload_offset 0
		.amdhsa_user_sgpr_private_segment_size 0
		.amdhsa_uses_dynamic_stack 0
		.amdhsa_system_sgpr_private_segment_wavefront_offset 0
		.amdhsa_system_sgpr_workgroup_id_x 1
		.amdhsa_system_sgpr_workgroup_id_y 0
		.amdhsa_system_sgpr_workgroup_id_z 0
		.amdhsa_system_sgpr_workgroup_info 0
		.amdhsa_system_vgpr_workitem_id 0
		.amdhsa_next_free_vgpr 1
		.amdhsa_next_free_sgpr 0
		.amdhsa_accum_offset 4
		.amdhsa_reserve_vcc 0
		.amdhsa_reserve_flat_scratch 0
		.amdhsa_float_round_mode_32 0
		.amdhsa_float_round_mode_16_64 0
		.amdhsa_float_denorm_mode_32 3
		.amdhsa_float_denorm_mode_16_64 3
		.amdhsa_dx10_clamp 1
		.amdhsa_ieee_mode 1
		.amdhsa_fp16_overflow 0
		.amdhsa_tg_split 0
		.amdhsa_exception_fp_ieee_invalid_op 0
		.amdhsa_exception_fp_denorm_src 0
		.amdhsa_exception_fp_ieee_div_zero 0
		.amdhsa_exception_fp_ieee_overflow 0
		.amdhsa_exception_fp_ieee_underflow 0
		.amdhsa_exception_fp_ieee_inexact 0
		.amdhsa_exception_int_div_zero 0
	.end_amdhsa_kernel
	.section	.text._ZN7rocprim17ROCPRIM_400000_NS6detail17trampoline_kernelINS0_14default_configENS1_25transform_config_selectorIlLb1EEEZNS1_14transform_implILb1ES3_S5_PlS7_NS0_8identityIlEEEE10hipError_tT2_T3_mT4_P12ihipStream_tbEUlT_E_NS1_11comp_targetILNS1_3genE3ELNS1_11target_archE908ELNS1_3gpuE7ELNS1_3repE0EEENS1_30default_config_static_selectorELNS0_4arch9wavefront6targetE1EEEvT1_,"axG",@progbits,_ZN7rocprim17ROCPRIM_400000_NS6detail17trampoline_kernelINS0_14default_configENS1_25transform_config_selectorIlLb1EEEZNS1_14transform_implILb1ES3_S5_PlS7_NS0_8identityIlEEEE10hipError_tT2_T3_mT4_P12ihipStream_tbEUlT_E_NS1_11comp_targetILNS1_3genE3ELNS1_11target_archE908ELNS1_3gpuE7ELNS1_3repE0EEENS1_30default_config_static_selectorELNS0_4arch9wavefront6targetE1EEEvT1_,comdat
.Lfunc_end46:
	.size	_ZN7rocprim17ROCPRIM_400000_NS6detail17trampoline_kernelINS0_14default_configENS1_25transform_config_selectorIlLb1EEEZNS1_14transform_implILb1ES3_S5_PlS7_NS0_8identityIlEEEE10hipError_tT2_T3_mT4_P12ihipStream_tbEUlT_E_NS1_11comp_targetILNS1_3genE3ELNS1_11target_archE908ELNS1_3gpuE7ELNS1_3repE0EEENS1_30default_config_static_selectorELNS0_4arch9wavefront6targetE1EEEvT1_, .Lfunc_end46-_ZN7rocprim17ROCPRIM_400000_NS6detail17trampoline_kernelINS0_14default_configENS1_25transform_config_selectorIlLb1EEEZNS1_14transform_implILb1ES3_S5_PlS7_NS0_8identityIlEEEE10hipError_tT2_T3_mT4_P12ihipStream_tbEUlT_E_NS1_11comp_targetILNS1_3genE3ELNS1_11target_archE908ELNS1_3gpuE7ELNS1_3repE0EEENS1_30default_config_static_selectorELNS0_4arch9wavefront6targetE1EEEvT1_
                                        ; -- End function
	.section	.AMDGPU.csdata,"",@progbits
; Kernel info:
; codeLenInByte = 0
; NumSgprs: 4
; NumVgprs: 0
; NumAgprs: 0
; TotalNumVgprs: 0
; ScratchSize: 0
; MemoryBound: 0
; FloatMode: 240
; IeeeMode: 1
; LDSByteSize: 0 bytes/workgroup (compile time only)
; SGPRBlocks: 0
; VGPRBlocks: 0
; NumSGPRsForWavesPerEU: 4
; NumVGPRsForWavesPerEU: 1
; AccumOffset: 4
; Occupancy: 8
; WaveLimiterHint : 0
; COMPUTE_PGM_RSRC2:SCRATCH_EN: 0
; COMPUTE_PGM_RSRC2:USER_SGPR: 6
; COMPUTE_PGM_RSRC2:TRAP_HANDLER: 0
; COMPUTE_PGM_RSRC2:TGID_X_EN: 1
; COMPUTE_PGM_RSRC2:TGID_Y_EN: 0
; COMPUTE_PGM_RSRC2:TGID_Z_EN: 0
; COMPUTE_PGM_RSRC2:TIDIG_COMP_CNT: 0
; COMPUTE_PGM_RSRC3_GFX90A:ACCUM_OFFSET: 0
; COMPUTE_PGM_RSRC3_GFX90A:TG_SPLIT: 0
	.section	.text._ZN7rocprim17ROCPRIM_400000_NS6detail17trampoline_kernelINS0_14default_configENS1_25transform_config_selectorIlLb1EEEZNS1_14transform_implILb1ES3_S5_PlS7_NS0_8identityIlEEEE10hipError_tT2_T3_mT4_P12ihipStream_tbEUlT_E_NS1_11comp_targetILNS1_3genE2ELNS1_11target_archE906ELNS1_3gpuE6ELNS1_3repE0EEENS1_30default_config_static_selectorELNS0_4arch9wavefront6targetE1EEEvT1_,"axG",@progbits,_ZN7rocprim17ROCPRIM_400000_NS6detail17trampoline_kernelINS0_14default_configENS1_25transform_config_selectorIlLb1EEEZNS1_14transform_implILb1ES3_S5_PlS7_NS0_8identityIlEEEE10hipError_tT2_T3_mT4_P12ihipStream_tbEUlT_E_NS1_11comp_targetILNS1_3genE2ELNS1_11target_archE906ELNS1_3gpuE6ELNS1_3repE0EEENS1_30default_config_static_selectorELNS0_4arch9wavefront6targetE1EEEvT1_,comdat
	.protected	_ZN7rocprim17ROCPRIM_400000_NS6detail17trampoline_kernelINS0_14default_configENS1_25transform_config_selectorIlLb1EEEZNS1_14transform_implILb1ES3_S5_PlS7_NS0_8identityIlEEEE10hipError_tT2_T3_mT4_P12ihipStream_tbEUlT_E_NS1_11comp_targetILNS1_3genE2ELNS1_11target_archE906ELNS1_3gpuE6ELNS1_3repE0EEENS1_30default_config_static_selectorELNS0_4arch9wavefront6targetE1EEEvT1_ ; -- Begin function _ZN7rocprim17ROCPRIM_400000_NS6detail17trampoline_kernelINS0_14default_configENS1_25transform_config_selectorIlLb1EEEZNS1_14transform_implILb1ES3_S5_PlS7_NS0_8identityIlEEEE10hipError_tT2_T3_mT4_P12ihipStream_tbEUlT_E_NS1_11comp_targetILNS1_3genE2ELNS1_11target_archE906ELNS1_3gpuE6ELNS1_3repE0EEENS1_30default_config_static_selectorELNS0_4arch9wavefront6targetE1EEEvT1_
	.globl	_ZN7rocprim17ROCPRIM_400000_NS6detail17trampoline_kernelINS0_14default_configENS1_25transform_config_selectorIlLb1EEEZNS1_14transform_implILb1ES3_S5_PlS7_NS0_8identityIlEEEE10hipError_tT2_T3_mT4_P12ihipStream_tbEUlT_E_NS1_11comp_targetILNS1_3genE2ELNS1_11target_archE906ELNS1_3gpuE6ELNS1_3repE0EEENS1_30default_config_static_selectorELNS0_4arch9wavefront6targetE1EEEvT1_
	.p2align	8
	.type	_ZN7rocprim17ROCPRIM_400000_NS6detail17trampoline_kernelINS0_14default_configENS1_25transform_config_selectorIlLb1EEEZNS1_14transform_implILb1ES3_S5_PlS7_NS0_8identityIlEEEE10hipError_tT2_T3_mT4_P12ihipStream_tbEUlT_E_NS1_11comp_targetILNS1_3genE2ELNS1_11target_archE906ELNS1_3gpuE6ELNS1_3repE0EEENS1_30default_config_static_selectorELNS0_4arch9wavefront6targetE1EEEvT1_,@function
_ZN7rocprim17ROCPRIM_400000_NS6detail17trampoline_kernelINS0_14default_configENS1_25transform_config_selectorIlLb1EEEZNS1_14transform_implILb1ES3_S5_PlS7_NS0_8identityIlEEEE10hipError_tT2_T3_mT4_P12ihipStream_tbEUlT_E_NS1_11comp_targetILNS1_3genE2ELNS1_11target_archE906ELNS1_3gpuE6ELNS1_3repE0EEENS1_30default_config_static_selectorELNS0_4arch9wavefront6targetE1EEEvT1_: ; @_ZN7rocprim17ROCPRIM_400000_NS6detail17trampoline_kernelINS0_14default_configENS1_25transform_config_selectorIlLb1EEEZNS1_14transform_implILb1ES3_S5_PlS7_NS0_8identityIlEEEE10hipError_tT2_T3_mT4_P12ihipStream_tbEUlT_E_NS1_11comp_targetILNS1_3genE2ELNS1_11target_archE906ELNS1_3gpuE6ELNS1_3repE0EEENS1_30default_config_static_selectorELNS0_4arch9wavefront6targetE1EEEvT1_
; %bb.0:
	.section	.rodata,"a",@progbits
	.p2align	6, 0x0
	.amdhsa_kernel _ZN7rocprim17ROCPRIM_400000_NS6detail17trampoline_kernelINS0_14default_configENS1_25transform_config_selectorIlLb1EEEZNS1_14transform_implILb1ES3_S5_PlS7_NS0_8identityIlEEEE10hipError_tT2_T3_mT4_P12ihipStream_tbEUlT_E_NS1_11comp_targetILNS1_3genE2ELNS1_11target_archE906ELNS1_3gpuE6ELNS1_3repE0EEENS1_30default_config_static_selectorELNS0_4arch9wavefront6targetE1EEEvT1_
		.amdhsa_group_segment_fixed_size 0
		.amdhsa_private_segment_fixed_size 0
		.amdhsa_kernarg_size 40
		.amdhsa_user_sgpr_count 6
		.amdhsa_user_sgpr_private_segment_buffer 1
		.amdhsa_user_sgpr_dispatch_ptr 0
		.amdhsa_user_sgpr_queue_ptr 0
		.amdhsa_user_sgpr_kernarg_segment_ptr 1
		.amdhsa_user_sgpr_dispatch_id 0
		.amdhsa_user_sgpr_flat_scratch_init 0
		.amdhsa_user_sgpr_kernarg_preload_length 0
		.amdhsa_user_sgpr_kernarg_preload_offset 0
		.amdhsa_user_sgpr_private_segment_size 0
		.amdhsa_uses_dynamic_stack 0
		.amdhsa_system_sgpr_private_segment_wavefront_offset 0
		.amdhsa_system_sgpr_workgroup_id_x 1
		.amdhsa_system_sgpr_workgroup_id_y 0
		.amdhsa_system_sgpr_workgroup_id_z 0
		.amdhsa_system_sgpr_workgroup_info 0
		.amdhsa_system_vgpr_workitem_id 0
		.amdhsa_next_free_vgpr 1
		.amdhsa_next_free_sgpr 0
		.amdhsa_accum_offset 4
		.amdhsa_reserve_vcc 0
		.amdhsa_reserve_flat_scratch 0
		.amdhsa_float_round_mode_32 0
		.amdhsa_float_round_mode_16_64 0
		.amdhsa_float_denorm_mode_32 3
		.amdhsa_float_denorm_mode_16_64 3
		.amdhsa_dx10_clamp 1
		.amdhsa_ieee_mode 1
		.amdhsa_fp16_overflow 0
		.amdhsa_tg_split 0
		.amdhsa_exception_fp_ieee_invalid_op 0
		.amdhsa_exception_fp_denorm_src 0
		.amdhsa_exception_fp_ieee_div_zero 0
		.amdhsa_exception_fp_ieee_overflow 0
		.amdhsa_exception_fp_ieee_underflow 0
		.amdhsa_exception_fp_ieee_inexact 0
		.amdhsa_exception_int_div_zero 0
	.end_amdhsa_kernel
	.section	.text._ZN7rocprim17ROCPRIM_400000_NS6detail17trampoline_kernelINS0_14default_configENS1_25transform_config_selectorIlLb1EEEZNS1_14transform_implILb1ES3_S5_PlS7_NS0_8identityIlEEEE10hipError_tT2_T3_mT4_P12ihipStream_tbEUlT_E_NS1_11comp_targetILNS1_3genE2ELNS1_11target_archE906ELNS1_3gpuE6ELNS1_3repE0EEENS1_30default_config_static_selectorELNS0_4arch9wavefront6targetE1EEEvT1_,"axG",@progbits,_ZN7rocprim17ROCPRIM_400000_NS6detail17trampoline_kernelINS0_14default_configENS1_25transform_config_selectorIlLb1EEEZNS1_14transform_implILb1ES3_S5_PlS7_NS0_8identityIlEEEE10hipError_tT2_T3_mT4_P12ihipStream_tbEUlT_E_NS1_11comp_targetILNS1_3genE2ELNS1_11target_archE906ELNS1_3gpuE6ELNS1_3repE0EEENS1_30default_config_static_selectorELNS0_4arch9wavefront6targetE1EEEvT1_,comdat
.Lfunc_end47:
	.size	_ZN7rocprim17ROCPRIM_400000_NS6detail17trampoline_kernelINS0_14default_configENS1_25transform_config_selectorIlLb1EEEZNS1_14transform_implILb1ES3_S5_PlS7_NS0_8identityIlEEEE10hipError_tT2_T3_mT4_P12ihipStream_tbEUlT_E_NS1_11comp_targetILNS1_3genE2ELNS1_11target_archE906ELNS1_3gpuE6ELNS1_3repE0EEENS1_30default_config_static_selectorELNS0_4arch9wavefront6targetE1EEEvT1_, .Lfunc_end47-_ZN7rocprim17ROCPRIM_400000_NS6detail17trampoline_kernelINS0_14default_configENS1_25transform_config_selectorIlLb1EEEZNS1_14transform_implILb1ES3_S5_PlS7_NS0_8identityIlEEEE10hipError_tT2_T3_mT4_P12ihipStream_tbEUlT_E_NS1_11comp_targetILNS1_3genE2ELNS1_11target_archE906ELNS1_3gpuE6ELNS1_3repE0EEENS1_30default_config_static_selectorELNS0_4arch9wavefront6targetE1EEEvT1_
                                        ; -- End function
	.section	.AMDGPU.csdata,"",@progbits
; Kernel info:
; codeLenInByte = 0
; NumSgprs: 4
; NumVgprs: 0
; NumAgprs: 0
; TotalNumVgprs: 0
; ScratchSize: 0
; MemoryBound: 0
; FloatMode: 240
; IeeeMode: 1
; LDSByteSize: 0 bytes/workgroup (compile time only)
; SGPRBlocks: 0
; VGPRBlocks: 0
; NumSGPRsForWavesPerEU: 4
; NumVGPRsForWavesPerEU: 1
; AccumOffset: 4
; Occupancy: 8
; WaveLimiterHint : 0
; COMPUTE_PGM_RSRC2:SCRATCH_EN: 0
; COMPUTE_PGM_RSRC2:USER_SGPR: 6
; COMPUTE_PGM_RSRC2:TRAP_HANDLER: 0
; COMPUTE_PGM_RSRC2:TGID_X_EN: 1
; COMPUTE_PGM_RSRC2:TGID_Y_EN: 0
; COMPUTE_PGM_RSRC2:TGID_Z_EN: 0
; COMPUTE_PGM_RSRC2:TIDIG_COMP_CNT: 0
; COMPUTE_PGM_RSRC3_GFX90A:ACCUM_OFFSET: 0
; COMPUTE_PGM_RSRC3_GFX90A:TG_SPLIT: 0
	.section	.text._ZN7rocprim17ROCPRIM_400000_NS6detail17trampoline_kernelINS0_14default_configENS1_25transform_config_selectorIlLb1EEEZNS1_14transform_implILb1ES3_S5_PlS7_NS0_8identityIlEEEE10hipError_tT2_T3_mT4_P12ihipStream_tbEUlT_E_NS1_11comp_targetILNS1_3genE9ELNS1_11target_archE1100ELNS1_3gpuE3ELNS1_3repE0EEENS1_30default_config_static_selectorELNS0_4arch9wavefront6targetE1EEEvT1_,"axG",@progbits,_ZN7rocprim17ROCPRIM_400000_NS6detail17trampoline_kernelINS0_14default_configENS1_25transform_config_selectorIlLb1EEEZNS1_14transform_implILb1ES3_S5_PlS7_NS0_8identityIlEEEE10hipError_tT2_T3_mT4_P12ihipStream_tbEUlT_E_NS1_11comp_targetILNS1_3genE9ELNS1_11target_archE1100ELNS1_3gpuE3ELNS1_3repE0EEENS1_30default_config_static_selectorELNS0_4arch9wavefront6targetE1EEEvT1_,comdat
	.protected	_ZN7rocprim17ROCPRIM_400000_NS6detail17trampoline_kernelINS0_14default_configENS1_25transform_config_selectorIlLb1EEEZNS1_14transform_implILb1ES3_S5_PlS7_NS0_8identityIlEEEE10hipError_tT2_T3_mT4_P12ihipStream_tbEUlT_E_NS1_11comp_targetILNS1_3genE9ELNS1_11target_archE1100ELNS1_3gpuE3ELNS1_3repE0EEENS1_30default_config_static_selectorELNS0_4arch9wavefront6targetE1EEEvT1_ ; -- Begin function _ZN7rocprim17ROCPRIM_400000_NS6detail17trampoline_kernelINS0_14default_configENS1_25transform_config_selectorIlLb1EEEZNS1_14transform_implILb1ES3_S5_PlS7_NS0_8identityIlEEEE10hipError_tT2_T3_mT4_P12ihipStream_tbEUlT_E_NS1_11comp_targetILNS1_3genE9ELNS1_11target_archE1100ELNS1_3gpuE3ELNS1_3repE0EEENS1_30default_config_static_selectorELNS0_4arch9wavefront6targetE1EEEvT1_
	.globl	_ZN7rocprim17ROCPRIM_400000_NS6detail17trampoline_kernelINS0_14default_configENS1_25transform_config_selectorIlLb1EEEZNS1_14transform_implILb1ES3_S5_PlS7_NS0_8identityIlEEEE10hipError_tT2_T3_mT4_P12ihipStream_tbEUlT_E_NS1_11comp_targetILNS1_3genE9ELNS1_11target_archE1100ELNS1_3gpuE3ELNS1_3repE0EEENS1_30default_config_static_selectorELNS0_4arch9wavefront6targetE1EEEvT1_
	.p2align	8
	.type	_ZN7rocprim17ROCPRIM_400000_NS6detail17trampoline_kernelINS0_14default_configENS1_25transform_config_selectorIlLb1EEEZNS1_14transform_implILb1ES3_S5_PlS7_NS0_8identityIlEEEE10hipError_tT2_T3_mT4_P12ihipStream_tbEUlT_E_NS1_11comp_targetILNS1_3genE9ELNS1_11target_archE1100ELNS1_3gpuE3ELNS1_3repE0EEENS1_30default_config_static_selectorELNS0_4arch9wavefront6targetE1EEEvT1_,@function
_ZN7rocprim17ROCPRIM_400000_NS6detail17trampoline_kernelINS0_14default_configENS1_25transform_config_selectorIlLb1EEEZNS1_14transform_implILb1ES3_S5_PlS7_NS0_8identityIlEEEE10hipError_tT2_T3_mT4_P12ihipStream_tbEUlT_E_NS1_11comp_targetILNS1_3genE9ELNS1_11target_archE1100ELNS1_3gpuE3ELNS1_3repE0EEENS1_30default_config_static_selectorELNS0_4arch9wavefront6targetE1EEEvT1_: ; @_ZN7rocprim17ROCPRIM_400000_NS6detail17trampoline_kernelINS0_14default_configENS1_25transform_config_selectorIlLb1EEEZNS1_14transform_implILb1ES3_S5_PlS7_NS0_8identityIlEEEE10hipError_tT2_T3_mT4_P12ihipStream_tbEUlT_E_NS1_11comp_targetILNS1_3genE9ELNS1_11target_archE1100ELNS1_3gpuE3ELNS1_3repE0EEENS1_30default_config_static_selectorELNS0_4arch9wavefront6targetE1EEEvT1_
; %bb.0:
	.section	.rodata,"a",@progbits
	.p2align	6, 0x0
	.amdhsa_kernel _ZN7rocprim17ROCPRIM_400000_NS6detail17trampoline_kernelINS0_14default_configENS1_25transform_config_selectorIlLb1EEEZNS1_14transform_implILb1ES3_S5_PlS7_NS0_8identityIlEEEE10hipError_tT2_T3_mT4_P12ihipStream_tbEUlT_E_NS1_11comp_targetILNS1_3genE9ELNS1_11target_archE1100ELNS1_3gpuE3ELNS1_3repE0EEENS1_30default_config_static_selectorELNS0_4arch9wavefront6targetE1EEEvT1_
		.amdhsa_group_segment_fixed_size 0
		.amdhsa_private_segment_fixed_size 0
		.amdhsa_kernarg_size 40
		.amdhsa_user_sgpr_count 6
		.amdhsa_user_sgpr_private_segment_buffer 1
		.amdhsa_user_sgpr_dispatch_ptr 0
		.amdhsa_user_sgpr_queue_ptr 0
		.amdhsa_user_sgpr_kernarg_segment_ptr 1
		.amdhsa_user_sgpr_dispatch_id 0
		.amdhsa_user_sgpr_flat_scratch_init 0
		.amdhsa_user_sgpr_kernarg_preload_length 0
		.amdhsa_user_sgpr_kernarg_preload_offset 0
		.amdhsa_user_sgpr_private_segment_size 0
		.amdhsa_uses_dynamic_stack 0
		.amdhsa_system_sgpr_private_segment_wavefront_offset 0
		.amdhsa_system_sgpr_workgroup_id_x 1
		.amdhsa_system_sgpr_workgroup_id_y 0
		.amdhsa_system_sgpr_workgroup_id_z 0
		.amdhsa_system_sgpr_workgroup_info 0
		.amdhsa_system_vgpr_workitem_id 0
		.amdhsa_next_free_vgpr 1
		.amdhsa_next_free_sgpr 0
		.amdhsa_accum_offset 4
		.amdhsa_reserve_vcc 0
		.amdhsa_reserve_flat_scratch 0
		.amdhsa_float_round_mode_32 0
		.amdhsa_float_round_mode_16_64 0
		.amdhsa_float_denorm_mode_32 3
		.amdhsa_float_denorm_mode_16_64 3
		.amdhsa_dx10_clamp 1
		.amdhsa_ieee_mode 1
		.amdhsa_fp16_overflow 0
		.amdhsa_tg_split 0
		.amdhsa_exception_fp_ieee_invalid_op 0
		.amdhsa_exception_fp_denorm_src 0
		.amdhsa_exception_fp_ieee_div_zero 0
		.amdhsa_exception_fp_ieee_overflow 0
		.amdhsa_exception_fp_ieee_underflow 0
		.amdhsa_exception_fp_ieee_inexact 0
		.amdhsa_exception_int_div_zero 0
	.end_amdhsa_kernel
	.section	.text._ZN7rocprim17ROCPRIM_400000_NS6detail17trampoline_kernelINS0_14default_configENS1_25transform_config_selectorIlLb1EEEZNS1_14transform_implILb1ES3_S5_PlS7_NS0_8identityIlEEEE10hipError_tT2_T3_mT4_P12ihipStream_tbEUlT_E_NS1_11comp_targetILNS1_3genE9ELNS1_11target_archE1100ELNS1_3gpuE3ELNS1_3repE0EEENS1_30default_config_static_selectorELNS0_4arch9wavefront6targetE1EEEvT1_,"axG",@progbits,_ZN7rocprim17ROCPRIM_400000_NS6detail17trampoline_kernelINS0_14default_configENS1_25transform_config_selectorIlLb1EEEZNS1_14transform_implILb1ES3_S5_PlS7_NS0_8identityIlEEEE10hipError_tT2_T3_mT4_P12ihipStream_tbEUlT_E_NS1_11comp_targetILNS1_3genE9ELNS1_11target_archE1100ELNS1_3gpuE3ELNS1_3repE0EEENS1_30default_config_static_selectorELNS0_4arch9wavefront6targetE1EEEvT1_,comdat
.Lfunc_end48:
	.size	_ZN7rocprim17ROCPRIM_400000_NS6detail17trampoline_kernelINS0_14default_configENS1_25transform_config_selectorIlLb1EEEZNS1_14transform_implILb1ES3_S5_PlS7_NS0_8identityIlEEEE10hipError_tT2_T3_mT4_P12ihipStream_tbEUlT_E_NS1_11comp_targetILNS1_3genE9ELNS1_11target_archE1100ELNS1_3gpuE3ELNS1_3repE0EEENS1_30default_config_static_selectorELNS0_4arch9wavefront6targetE1EEEvT1_, .Lfunc_end48-_ZN7rocprim17ROCPRIM_400000_NS6detail17trampoline_kernelINS0_14default_configENS1_25transform_config_selectorIlLb1EEEZNS1_14transform_implILb1ES3_S5_PlS7_NS0_8identityIlEEEE10hipError_tT2_T3_mT4_P12ihipStream_tbEUlT_E_NS1_11comp_targetILNS1_3genE9ELNS1_11target_archE1100ELNS1_3gpuE3ELNS1_3repE0EEENS1_30default_config_static_selectorELNS0_4arch9wavefront6targetE1EEEvT1_
                                        ; -- End function
	.section	.AMDGPU.csdata,"",@progbits
; Kernel info:
; codeLenInByte = 0
; NumSgprs: 4
; NumVgprs: 0
; NumAgprs: 0
; TotalNumVgprs: 0
; ScratchSize: 0
; MemoryBound: 0
; FloatMode: 240
; IeeeMode: 1
; LDSByteSize: 0 bytes/workgroup (compile time only)
; SGPRBlocks: 0
; VGPRBlocks: 0
; NumSGPRsForWavesPerEU: 4
; NumVGPRsForWavesPerEU: 1
; AccumOffset: 4
; Occupancy: 8
; WaveLimiterHint : 0
; COMPUTE_PGM_RSRC2:SCRATCH_EN: 0
; COMPUTE_PGM_RSRC2:USER_SGPR: 6
; COMPUTE_PGM_RSRC2:TRAP_HANDLER: 0
; COMPUTE_PGM_RSRC2:TGID_X_EN: 1
; COMPUTE_PGM_RSRC2:TGID_Y_EN: 0
; COMPUTE_PGM_RSRC2:TGID_Z_EN: 0
; COMPUTE_PGM_RSRC2:TIDIG_COMP_CNT: 0
; COMPUTE_PGM_RSRC3_GFX90A:ACCUM_OFFSET: 0
; COMPUTE_PGM_RSRC3_GFX90A:TG_SPLIT: 0
	.section	.text._ZN7rocprim17ROCPRIM_400000_NS6detail17trampoline_kernelINS0_14default_configENS1_25transform_config_selectorIlLb1EEEZNS1_14transform_implILb1ES3_S5_PlS7_NS0_8identityIlEEEE10hipError_tT2_T3_mT4_P12ihipStream_tbEUlT_E_NS1_11comp_targetILNS1_3genE8ELNS1_11target_archE1030ELNS1_3gpuE2ELNS1_3repE0EEENS1_30default_config_static_selectorELNS0_4arch9wavefront6targetE1EEEvT1_,"axG",@progbits,_ZN7rocprim17ROCPRIM_400000_NS6detail17trampoline_kernelINS0_14default_configENS1_25transform_config_selectorIlLb1EEEZNS1_14transform_implILb1ES3_S5_PlS7_NS0_8identityIlEEEE10hipError_tT2_T3_mT4_P12ihipStream_tbEUlT_E_NS1_11comp_targetILNS1_3genE8ELNS1_11target_archE1030ELNS1_3gpuE2ELNS1_3repE0EEENS1_30default_config_static_selectorELNS0_4arch9wavefront6targetE1EEEvT1_,comdat
	.protected	_ZN7rocprim17ROCPRIM_400000_NS6detail17trampoline_kernelINS0_14default_configENS1_25transform_config_selectorIlLb1EEEZNS1_14transform_implILb1ES3_S5_PlS7_NS0_8identityIlEEEE10hipError_tT2_T3_mT4_P12ihipStream_tbEUlT_E_NS1_11comp_targetILNS1_3genE8ELNS1_11target_archE1030ELNS1_3gpuE2ELNS1_3repE0EEENS1_30default_config_static_selectorELNS0_4arch9wavefront6targetE1EEEvT1_ ; -- Begin function _ZN7rocprim17ROCPRIM_400000_NS6detail17trampoline_kernelINS0_14default_configENS1_25transform_config_selectorIlLb1EEEZNS1_14transform_implILb1ES3_S5_PlS7_NS0_8identityIlEEEE10hipError_tT2_T3_mT4_P12ihipStream_tbEUlT_E_NS1_11comp_targetILNS1_3genE8ELNS1_11target_archE1030ELNS1_3gpuE2ELNS1_3repE0EEENS1_30default_config_static_selectorELNS0_4arch9wavefront6targetE1EEEvT1_
	.globl	_ZN7rocprim17ROCPRIM_400000_NS6detail17trampoline_kernelINS0_14default_configENS1_25transform_config_selectorIlLb1EEEZNS1_14transform_implILb1ES3_S5_PlS7_NS0_8identityIlEEEE10hipError_tT2_T3_mT4_P12ihipStream_tbEUlT_E_NS1_11comp_targetILNS1_3genE8ELNS1_11target_archE1030ELNS1_3gpuE2ELNS1_3repE0EEENS1_30default_config_static_selectorELNS0_4arch9wavefront6targetE1EEEvT1_
	.p2align	8
	.type	_ZN7rocprim17ROCPRIM_400000_NS6detail17trampoline_kernelINS0_14default_configENS1_25transform_config_selectorIlLb1EEEZNS1_14transform_implILb1ES3_S5_PlS7_NS0_8identityIlEEEE10hipError_tT2_T3_mT4_P12ihipStream_tbEUlT_E_NS1_11comp_targetILNS1_3genE8ELNS1_11target_archE1030ELNS1_3gpuE2ELNS1_3repE0EEENS1_30default_config_static_selectorELNS0_4arch9wavefront6targetE1EEEvT1_,@function
_ZN7rocprim17ROCPRIM_400000_NS6detail17trampoline_kernelINS0_14default_configENS1_25transform_config_selectorIlLb1EEEZNS1_14transform_implILb1ES3_S5_PlS7_NS0_8identityIlEEEE10hipError_tT2_T3_mT4_P12ihipStream_tbEUlT_E_NS1_11comp_targetILNS1_3genE8ELNS1_11target_archE1030ELNS1_3gpuE2ELNS1_3repE0EEENS1_30default_config_static_selectorELNS0_4arch9wavefront6targetE1EEEvT1_: ; @_ZN7rocprim17ROCPRIM_400000_NS6detail17trampoline_kernelINS0_14default_configENS1_25transform_config_selectorIlLb1EEEZNS1_14transform_implILb1ES3_S5_PlS7_NS0_8identityIlEEEE10hipError_tT2_T3_mT4_P12ihipStream_tbEUlT_E_NS1_11comp_targetILNS1_3genE8ELNS1_11target_archE1030ELNS1_3gpuE2ELNS1_3repE0EEENS1_30default_config_static_selectorELNS0_4arch9wavefront6targetE1EEEvT1_
; %bb.0:
	.section	.rodata,"a",@progbits
	.p2align	6, 0x0
	.amdhsa_kernel _ZN7rocprim17ROCPRIM_400000_NS6detail17trampoline_kernelINS0_14default_configENS1_25transform_config_selectorIlLb1EEEZNS1_14transform_implILb1ES3_S5_PlS7_NS0_8identityIlEEEE10hipError_tT2_T3_mT4_P12ihipStream_tbEUlT_E_NS1_11comp_targetILNS1_3genE8ELNS1_11target_archE1030ELNS1_3gpuE2ELNS1_3repE0EEENS1_30default_config_static_selectorELNS0_4arch9wavefront6targetE1EEEvT1_
		.amdhsa_group_segment_fixed_size 0
		.amdhsa_private_segment_fixed_size 0
		.amdhsa_kernarg_size 40
		.amdhsa_user_sgpr_count 6
		.amdhsa_user_sgpr_private_segment_buffer 1
		.amdhsa_user_sgpr_dispatch_ptr 0
		.amdhsa_user_sgpr_queue_ptr 0
		.amdhsa_user_sgpr_kernarg_segment_ptr 1
		.amdhsa_user_sgpr_dispatch_id 0
		.amdhsa_user_sgpr_flat_scratch_init 0
		.amdhsa_user_sgpr_kernarg_preload_length 0
		.amdhsa_user_sgpr_kernarg_preload_offset 0
		.amdhsa_user_sgpr_private_segment_size 0
		.amdhsa_uses_dynamic_stack 0
		.amdhsa_system_sgpr_private_segment_wavefront_offset 0
		.amdhsa_system_sgpr_workgroup_id_x 1
		.amdhsa_system_sgpr_workgroup_id_y 0
		.amdhsa_system_sgpr_workgroup_id_z 0
		.amdhsa_system_sgpr_workgroup_info 0
		.amdhsa_system_vgpr_workitem_id 0
		.amdhsa_next_free_vgpr 1
		.amdhsa_next_free_sgpr 0
		.amdhsa_accum_offset 4
		.amdhsa_reserve_vcc 0
		.amdhsa_reserve_flat_scratch 0
		.amdhsa_float_round_mode_32 0
		.amdhsa_float_round_mode_16_64 0
		.amdhsa_float_denorm_mode_32 3
		.amdhsa_float_denorm_mode_16_64 3
		.amdhsa_dx10_clamp 1
		.amdhsa_ieee_mode 1
		.amdhsa_fp16_overflow 0
		.amdhsa_tg_split 0
		.amdhsa_exception_fp_ieee_invalid_op 0
		.amdhsa_exception_fp_denorm_src 0
		.amdhsa_exception_fp_ieee_div_zero 0
		.amdhsa_exception_fp_ieee_overflow 0
		.amdhsa_exception_fp_ieee_underflow 0
		.amdhsa_exception_fp_ieee_inexact 0
		.amdhsa_exception_int_div_zero 0
	.end_amdhsa_kernel
	.section	.text._ZN7rocprim17ROCPRIM_400000_NS6detail17trampoline_kernelINS0_14default_configENS1_25transform_config_selectorIlLb1EEEZNS1_14transform_implILb1ES3_S5_PlS7_NS0_8identityIlEEEE10hipError_tT2_T3_mT4_P12ihipStream_tbEUlT_E_NS1_11comp_targetILNS1_3genE8ELNS1_11target_archE1030ELNS1_3gpuE2ELNS1_3repE0EEENS1_30default_config_static_selectorELNS0_4arch9wavefront6targetE1EEEvT1_,"axG",@progbits,_ZN7rocprim17ROCPRIM_400000_NS6detail17trampoline_kernelINS0_14default_configENS1_25transform_config_selectorIlLb1EEEZNS1_14transform_implILb1ES3_S5_PlS7_NS0_8identityIlEEEE10hipError_tT2_T3_mT4_P12ihipStream_tbEUlT_E_NS1_11comp_targetILNS1_3genE8ELNS1_11target_archE1030ELNS1_3gpuE2ELNS1_3repE0EEENS1_30default_config_static_selectorELNS0_4arch9wavefront6targetE1EEEvT1_,comdat
.Lfunc_end49:
	.size	_ZN7rocprim17ROCPRIM_400000_NS6detail17trampoline_kernelINS0_14default_configENS1_25transform_config_selectorIlLb1EEEZNS1_14transform_implILb1ES3_S5_PlS7_NS0_8identityIlEEEE10hipError_tT2_T3_mT4_P12ihipStream_tbEUlT_E_NS1_11comp_targetILNS1_3genE8ELNS1_11target_archE1030ELNS1_3gpuE2ELNS1_3repE0EEENS1_30default_config_static_selectorELNS0_4arch9wavefront6targetE1EEEvT1_, .Lfunc_end49-_ZN7rocprim17ROCPRIM_400000_NS6detail17trampoline_kernelINS0_14default_configENS1_25transform_config_selectorIlLb1EEEZNS1_14transform_implILb1ES3_S5_PlS7_NS0_8identityIlEEEE10hipError_tT2_T3_mT4_P12ihipStream_tbEUlT_E_NS1_11comp_targetILNS1_3genE8ELNS1_11target_archE1030ELNS1_3gpuE2ELNS1_3repE0EEENS1_30default_config_static_selectorELNS0_4arch9wavefront6targetE1EEEvT1_
                                        ; -- End function
	.section	.AMDGPU.csdata,"",@progbits
; Kernel info:
; codeLenInByte = 0
; NumSgprs: 4
; NumVgprs: 0
; NumAgprs: 0
; TotalNumVgprs: 0
; ScratchSize: 0
; MemoryBound: 0
; FloatMode: 240
; IeeeMode: 1
; LDSByteSize: 0 bytes/workgroup (compile time only)
; SGPRBlocks: 0
; VGPRBlocks: 0
; NumSGPRsForWavesPerEU: 4
; NumVGPRsForWavesPerEU: 1
; AccumOffset: 4
; Occupancy: 8
; WaveLimiterHint : 0
; COMPUTE_PGM_RSRC2:SCRATCH_EN: 0
; COMPUTE_PGM_RSRC2:USER_SGPR: 6
; COMPUTE_PGM_RSRC2:TRAP_HANDLER: 0
; COMPUTE_PGM_RSRC2:TGID_X_EN: 1
; COMPUTE_PGM_RSRC2:TGID_Y_EN: 0
; COMPUTE_PGM_RSRC2:TGID_Z_EN: 0
; COMPUTE_PGM_RSRC2:TIDIG_COMP_CNT: 0
; COMPUTE_PGM_RSRC3_GFX90A:ACCUM_OFFSET: 0
; COMPUTE_PGM_RSRC3_GFX90A:TG_SPLIT: 0
	.section	.text._ZN7rocprim17ROCPRIM_400000_NS6detail17trampoline_kernelINS0_14default_configENS1_25transform_config_selectorINS0_10empty_typeELb1EEEZNS1_14transform_implILb1ES3_S6_PS5_S8_NS0_8identityIS5_EEEE10hipError_tT2_T3_mT4_P12ihipStream_tbEUlT_E_NS1_11comp_targetILNS1_3genE0ELNS1_11target_archE4294967295ELNS1_3gpuE0ELNS1_3repE0EEENS1_30default_config_static_selectorELNS0_4arch9wavefront6targetE1EEEvT1_,"axG",@progbits,_ZN7rocprim17ROCPRIM_400000_NS6detail17trampoline_kernelINS0_14default_configENS1_25transform_config_selectorINS0_10empty_typeELb1EEEZNS1_14transform_implILb1ES3_S6_PS5_S8_NS0_8identityIS5_EEEE10hipError_tT2_T3_mT4_P12ihipStream_tbEUlT_E_NS1_11comp_targetILNS1_3genE0ELNS1_11target_archE4294967295ELNS1_3gpuE0ELNS1_3repE0EEENS1_30default_config_static_selectorELNS0_4arch9wavefront6targetE1EEEvT1_,comdat
	.protected	_ZN7rocprim17ROCPRIM_400000_NS6detail17trampoline_kernelINS0_14default_configENS1_25transform_config_selectorINS0_10empty_typeELb1EEEZNS1_14transform_implILb1ES3_S6_PS5_S8_NS0_8identityIS5_EEEE10hipError_tT2_T3_mT4_P12ihipStream_tbEUlT_E_NS1_11comp_targetILNS1_3genE0ELNS1_11target_archE4294967295ELNS1_3gpuE0ELNS1_3repE0EEENS1_30default_config_static_selectorELNS0_4arch9wavefront6targetE1EEEvT1_ ; -- Begin function _ZN7rocprim17ROCPRIM_400000_NS6detail17trampoline_kernelINS0_14default_configENS1_25transform_config_selectorINS0_10empty_typeELb1EEEZNS1_14transform_implILb1ES3_S6_PS5_S8_NS0_8identityIS5_EEEE10hipError_tT2_T3_mT4_P12ihipStream_tbEUlT_E_NS1_11comp_targetILNS1_3genE0ELNS1_11target_archE4294967295ELNS1_3gpuE0ELNS1_3repE0EEENS1_30default_config_static_selectorELNS0_4arch9wavefront6targetE1EEEvT1_
	.globl	_ZN7rocprim17ROCPRIM_400000_NS6detail17trampoline_kernelINS0_14default_configENS1_25transform_config_selectorINS0_10empty_typeELb1EEEZNS1_14transform_implILb1ES3_S6_PS5_S8_NS0_8identityIS5_EEEE10hipError_tT2_T3_mT4_P12ihipStream_tbEUlT_E_NS1_11comp_targetILNS1_3genE0ELNS1_11target_archE4294967295ELNS1_3gpuE0ELNS1_3repE0EEENS1_30default_config_static_selectorELNS0_4arch9wavefront6targetE1EEEvT1_
	.p2align	8
	.type	_ZN7rocprim17ROCPRIM_400000_NS6detail17trampoline_kernelINS0_14default_configENS1_25transform_config_selectorINS0_10empty_typeELb1EEEZNS1_14transform_implILb1ES3_S6_PS5_S8_NS0_8identityIS5_EEEE10hipError_tT2_T3_mT4_P12ihipStream_tbEUlT_E_NS1_11comp_targetILNS1_3genE0ELNS1_11target_archE4294967295ELNS1_3gpuE0ELNS1_3repE0EEENS1_30default_config_static_selectorELNS0_4arch9wavefront6targetE1EEEvT1_,@function
_ZN7rocprim17ROCPRIM_400000_NS6detail17trampoline_kernelINS0_14default_configENS1_25transform_config_selectorINS0_10empty_typeELb1EEEZNS1_14transform_implILb1ES3_S6_PS5_S8_NS0_8identityIS5_EEEE10hipError_tT2_T3_mT4_P12ihipStream_tbEUlT_E_NS1_11comp_targetILNS1_3genE0ELNS1_11target_archE4294967295ELNS1_3gpuE0ELNS1_3repE0EEENS1_30default_config_static_selectorELNS0_4arch9wavefront6targetE1EEEvT1_: ; @_ZN7rocprim17ROCPRIM_400000_NS6detail17trampoline_kernelINS0_14default_configENS1_25transform_config_selectorINS0_10empty_typeELb1EEEZNS1_14transform_implILb1ES3_S6_PS5_S8_NS0_8identityIS5_EEEE10hipError_tT2_T3_mT4_P12ihipStream_tbEUlT_E_NS1_11comp_targetILNS1_3genE0ELNS1_11target_archE4294967295ELNS1_3gpuE0ELNS1_3repE0EEENS1_30default_config_static_selectorELNS0_4arch9wavefront6targetE1EEEvT1_
; %bb.0:
	.section	.rodata,"a",@progbits
	.p2align	6, 0x0
	.amdhsa_kernel _ZN7rocprim17ROCPRIM_400000_NS6detail17trampoline_kernelINS0_14default_configENS1_25transform_config_selectorINS0_10empty_typeELb1EEEZNS1_14transform_implILb1ES3_S6_PS5_S8_NS0_8identityIS5_EEEE10hipError_tT2_T3_mT4_P12ihipStream_tbEUlT_E_NS1_11comp_targetILNS1_3genE0ELNS1_11target_archE4294967295ELNS1_3gpuE0ELNS1_3repE0EEENS1_30default_config_static_selectorELNS0_4arch9wavefront6targetE1EEEvT1_
		.amdhsa_group_segment_fixed_size 0
		.amdhsa_private_segment_fixed_size 0
		.amdhsa_kernarg_size 40
		.amdhsa_user_sgpr_count 6
		.amdhsa_user_sgpr_private_segment_buffer 1
		.amdhsa_user_sgpr_dispatch_ptr 0
		.amdhsa_user_sgpr_queue_ptr 0
		.amdhsa_user_sgpr_kernarg_segment_ptr 1
		.amdhsa_user_sgpr_dispatch_id 0
		.amdhsa_user_sgpr_flat_scratch_init 0
		.amdhsa_user_sgpr_kernarg_preload_length 0
		.amdhsa_user_sgpr_kernarg_preload_offset 0
		.amdhsa_user_sgpr_private_segment_size 0
		.amdhsa_uses_dynamic_stack 0
		.amdhsa_system_sgpr_private_segment_wavefront_offset 0
		.amdhsa_system_sgpr_workgroup_id_x 1
		.amdhsa_system_sgpr_workgroup_id_y 0
		.amdhsa_system_sgpr_workgroup_id_z 0
		.amdhsa_system_sgpr_workgroup_info 0
		.amdhsa_system_vgpr_workitem_id 0
		.amdhsa_next_free_vgpr 1
		.amdhsa_next_free_sgpr 0
		.amdhsa_accum_offset 4
		.amdhsa_reserve_vcc 0
		.amdhsa_reserve_flat_scratch 0
		.amdhsa_float_round_mode_32 0
		.amdhsa_float_round_mode_16_64 0
		.amdhsa_float_denorm_mode_32 3
		.amdhsa_float_denorm_mode_16_64 3
		.amdhsa_dx10_clamp 1
		.amdhsa_ieee_mode 1
		.amdhsa_fp16_overflow 0
		.amdhsa_tg_split 0
		.amdhsa_exception_fp_ieee_invalid_op 0
		.amdhsa_exception_fp_denorm_src 0
		.amdhsa_exception_fp_ieee_div_zero 0
		.amdhsa_exception_fp_ieee_overflow 0
		.amdhsa_exception_fp_ieee_underflow 0
		.amdhsa_exception_fp_ieee_inexact 0
		.amdhsa_exception_int_div_zero 0
	.end_amdhsa_kernel
	.section	.text._ZN7rocprim17ROCPRIM_400000_NS6detail17trampoline_kernelINS0_14default_configENS1_25transform_config_selectorINS0_10empty_typeELb1EEEZNS1_14transform_implILb1ES3_S6_PS5_S8_NS0_8identityIS5_EEEE10hipError_tT2_T3_mT4_P12ihipStream_tbEUlT_E_NS1_11comp_targetILNS1_3genE0ELNS1_11target_archE4294967295ELNS1_3gpuE0ELNS1_3repE0EEENS1_30default_config_static_selectorELNS0_4arch9wavefront6targetE1EEEvT1_,"axG",@progbits,_ZN7rocprim17ROCPRIM_400000_NS6detail17trampoline_kernelINS0_14default_configENS1_25transform_config_selectorINS0_10empty_typeELb1EEEZNS1_14transform_implILb1ES3_S6_PS5_S8_NS0_8identityIS5_EEEE10hipError_tT2_T3_mT4_P12ihipStream_tbEUlT_E_NS1_11comp_targetILNS1_3genE0ELNS1_11target_archE4294967295ELNS1_3gpuE0ELNS1_3repE0EEENS1_30default_config_static_selectorELNS0_4arch9wavefront6targetE1EEEvT1_,comdat
.Lfunc_end50:
	.size	_ZN7rocprim17ROCPRIM_400000_NS6detail17trampoline_kernelINS0_14default_configENS1_25transform_config_selectorINS0_10empty_typeELb1EEEZNS1_14transform_implILb1ES3_S6_PS5_S8_NS0_8identityIS5_EEEE10hipError_tT2_T3_mT4_P12ihipStream_tbEUlT_E_NS1_11comp_targetILNS1_3genE0ELNS1_11target_archE4294967295ELNS1_3gpuE0ELNS1_3repE0EEENS1_30default_config_static_selectorELNS0_4arch9wavefront6targetE1EEEvT1_, .Lfunc_end50-_ZN7rocprim17ROCPRIM_400000_NS6detail17trampoline_kernelINS0_14default_configENS1_25transform_config_selectorINS0_10empty_typeELb1EEEZNS1_14transform_implILb1ES3_S6_PS5_S8_NS0_8identityIS5_EEEE10hipError_tT2_T3_mT4_P12ihipStream_tbEUlT_E_NS1_11comp_targetILNS1_3genE0ELNS1_11target_archE4294967295ELNS1_3gpuE0ELNS1_3repE0EEENS1_30default_config_static_selectorELNS0_4arch9wavefront6targetE1EEEvT1_
                                        ; -- End function
	.section	.AMDGPU.csdata,"",@progbits
; Kernel info:
; codeLenInByte = 0
; NumSgprs: 4
; NumVgprs: 0
; NumAgprs: 0
; TotalNumVgprs: 0
; ScratchSize: 0
; MemoryBound: 0
; FloatMode: 240
; IeeeMode: 1
; LDSByteSize: 0 bytes/workgroup (compile time only)
; SGPRBlocks: 0
; VGPRBlocks: 0
; NumSGPRsForWavesPerEU: 4
; NumVGPRsForWavesPerEU: 1
; AccumOffset: 4
; Occupancy: 8
; WaveLimiterHint : 0
; COMPUTE_PGM_RSRC2:SCRATCH_EN: 0
; COMPUTE_PGM_RSRC2:USER_SGPR: 6
; COMPUTE_PGM_RSRC2:TRAP_HANDLER: 0
; COMPUTE_PGM_RSRC2:TGID_X_EN: 1
; COMPUTE_PGM_RSRC2:TGID_Y_EN: 0
; COMPUTE_PGM_RSRC2:TGID_Z_EN: 0
; COMPUTE_PGM_RSRC2:TIDIG_COMP_CNT: 0
; COMPUTE_PGM_RSRC3_GFX90A:ACCUM_OFFSET: 0
; COMPUTE_PGM_RSRC3_GFX90A:TG_SPLIT: 0
	.section	.text._ZN7rocprim17ROCPRIM_400000_NS6detail17trampoline_kernelINS0_14default_configENS1_25transform_config_selectorINS0_10empty_typeELb1EEEZNS1_14transform_implILb1ES3_S6_PS5_S8_NS0_8identityIS5_EEEE10hipError_tT2_T3_mT4_P12ihipStream_tbEUlT_E_NS1_11comp_targetILNS1_3genE10ELNS1_11target_archE1201ELNS1_3gpuE5ELNS1_3repE0EEENS1_30default_config_static_selectorELNS0_4arch9wavefront6targetE1EEEvT1_,"axG",@progbits,_ZN7rocprim17ROCPRIM_400000_NS6detail17trampoline_kernelINS0_14default_configENS1_25transform_config_selectorINS0_10empty_typeELb1EEEZNS1_14transform_implILb1ES3_S6_PS5_S8_NS0_8identityIS5_EEEE10hipError_tT2_T3_mT4_P12ihipStream_tbEUlT_E_NS1_11comp_targetILNS1_3genE10ELNS1_11target_archE1201ELNS1_3gpuE5ELNS1_3repE0EEENS1_30default_config_static_selectorELNS0_4arch9wavefront6targetE1EEEvT1_,comdat
	.protected	_ZN7rocprim17ROCPRIM_400000_NS6detail17trampoline_kernelINS0_14default_configENS1_25transform_config_selectorINS0_10empty_typeELb1EEEZNS1_14transform_implILb1ES3_S6_PS5_S8_NS0_8identityIS5_EEEE10hipError_tT2_T3_mT4_P12ihipStream_tbEUlT_E_NS1_11comp_targetILNS1_3genE10ELNS1_11target_archE1201ELNS1_3gpuE5ELNS1_3repE0EEENS1_30default_config_static_selectorELNS0_4arch9wavefront6targetE1EEEvT1_ ; -- Begin function _ZN7rocprim17ROCPRIM_400000_NS6detail17trampoline_kernelINS0_14default_configENS1_25transform_config_selectorINS0_10empty_typeELb1EEEZNS1_14transform_implILb1ES3_S6_PS5_S8_NS0_8identityIS5_EEEE10hipError_tT2_T3_mT4_P12ihipStream_tbEUlT_E_NS1_11comp_targetILNS1_3genE10ELNS1_11target_archE1201ELNS1_3gpuE5ELNS1_3repE0EEENS1_30default_config_static_selectorELNS0_4arch9wavefront6targetE1EEEvT1_
	.globl	_ZN7rocprim17ROCPRIM_400000_NS6detail17trampoline_kernelINS0_14default_configENS1_25transform_config_selectorINS0_10empty_typeELb1EEEZNS1_14transform_implILb1ES3_S6_PS5_S8_NS0_8identityIS5_EEEE10hipError_tT2_T3_mT4_P12ihipStream_tbEUlT_E_NS1_11comp_targetILNS1_3genE10ELNS1_11target_archE1201ELNS1_3gpuE5ELNS1_3repE0EEENS1_30default_config_static_selectorELNS0_4arch9wavefront6targetE1EEEvT1_
	.p2align	8
	.type	_ZN7rocprim17ROCPRIM_400000_NS6detail17trampoline_kernelINS0_14default_configENS1_25transform_config_selectorINS0_10empty_typeELb1EEEZNS1_14transform_implILb1ES3_S6_PS5_S8_NS0_8identityIS5_EEEE10hipError_tT2_T3_mT4_P12ihipStream_tbEUlT_E_NS1_11comp_targetILNS1_3genE10ELNS1_11target_archE1201ELNS1_3gpuE5ELNS1_3repE0EEENS1_30default_config_static_selectorELNS0_4arch9wavefront6targetE1EEEvT1_,@function
_ZN7rocprim17ROCPRIM_400000_NS6detail17trampoline_kernelINS0_14default_configENS1_25transform_config_selectorINS0_10empty_typeELb1EEEZNS1_14transform_implILb1ES3_S6_PS5_S8_NS0_8identityIS5_EEEE10hipError_tT2_T3_mT4_P12ihipStream_tbEUlT_E_NS1_11comp_targetILNS1_3genE10ELNS1_11target_archE1201ELNS1_3gpuE5ELNS1_3repE0EEENS1_30default_config_static_selectorELNS0_4arch9wavefront6targetE1EEEvT1_: ; @_ZN7rocprim17ROCPRIM_400000_NS6detail17trampoline_kernelINS0_14default_configENS1_25transform_config_selectorINS0_10empty_typeELb1EEEZNS1_14transform_implILb1ES3_S6_PS5_S8_NS0_8identityIS5_EEEE10hipError_tT2_T3_mT4_P12ihipStream_tbEUlT_E_NS1_11comp_targetILNS1_3genE10ELNS1_11target_archE1201ELNS1_3gpuE5ELNS1_3repE0EEENS1_30default_config_static_selectorELNS0_4arch9wavefront6targetE1EEEvT1_
; %bb.0:
	.section	.rodata,"a",@progbits
	.p2align	6, 0x0
	.amdhsa_kernel _ZN7rocprim17ROCPRIM_400000_NS6detail17trampoline_kernelINS0_14default_configENS1_25transform_config_selectorINS0_10empty_typeELb1EEEZNS1_14transform_implILb1ES3_S6_PS5_S8_NS0_8identityIS5_EEEE10hipError_tT2_T3_mT4_P12ihipStream_tbEUlT_E_NS1_11comp_targetILNS1_3genE10ELNS1_11target_archE1201ELNS1_3gpuE5ELNS1_3repE0EEENS1_30default_config_static_selectorELNS0_4arch9wavefront6targetE1EEEvT1_
		.amdhsa_group_segment_fixed_size 0
		.amdhsa_private_segment_fixed_size 0
		.amdhsa_kernarg_size 40
		.amdhsa_user_sgpr_count 6
		.amdhsa_user_sgpr_private_segment_buffer 1
		.amdhsa_user_sgpr_dispatch_ptr 0
		.amdhsa_user_sgpr_queue_ptr 0
		.amdhsa_user_sgpr_kernarg_segment_ptr 1
		.amdhsa_user_sgpr_dispatch_id 0
		.amdhsa_user_sgpr_flat_scratch_init 0
		.amdhsa_user_sgpr_kernarg_preload_length 0
		.amdhsa_user_sgpr_kernarg_preload_offset 0
		.amdhsa_user_sgpr_private_segment_size 0
		.amdhsa_uses_dynamic_stack 0
		.amdhsa_system_sgpr_private_segment_wavefront_offset 0
		.amdhsa_system_sgpr_workgroup_id_x 1
		.amdhsa_system_sgpr_workgroup_id_y 0
		.amdhsa_system_sgpr_workgroup_id_z 0
		.amdhsa_system_sgpr_workgroup_info 0
		.amdhsa_system_vgpr_workitem_id 0
		.amdhsa_next_free_vgpr 1
		.amdhsa_next_free_sgpr 0
		.amdhsa_accum_offset 4
		.amdhsa_reserve_vcc 0
		.amdhsa_reserve_flat_scratch 0
		.amdhsa_float_round_mode_32 0
		.amdhsa_float_round_mode_16_64 0
		.amdhsa_float_denorm_mode_32 3
		.amdhsa_float_denorm_mode_16_64 3
		.amdhsa_dx10_clamp 1
		.amdhsa_ieee_mode 1
		.amdhsa_fp16_overflow 0
		.amdhsa_tg_split 0
		.amdhsa_exception_fp_ieee_invalid_op 0
		.amdhsa_exception_fp_denorm_src 0
		.amdhsa_exception_fp_ieee_div_zero 0
		.amdhsa_exception_fp_ieee_overflow 0
		.amdhsa_exception_fp_ieee_underflow 0
		.amdhsa_exception_fp_ieee_inexact 0
		.amdhsa_exception_int_div_zero 0
	.end_amdhsa_kernel
	.section	.text._ZN7rocprim17ROCPRIM_400000_NS6detail17trampoline_kernelINS0_14default_configENS1_25transform_config_selectorINS0_10empty_typeELb1EEEZNS1_14transform_implILb1ES3_S6_PS5_S8_NS0_8identityIS5_EEEE10hipError_tT2_T3_mT4_P12ihipStream_tbEUlT_E_NS1_11comp_targetILNS1_3genE10ELNS1_11target_archE1201ELNS1_3gpuE5ELNS1_3repE0EEENS1_30default_config_static_selectorELNS0_4arch9wavefront6targetE1EEEvT1_,"axG",@progbits,_ZN7rocprim17ROCPRIM_400000_NS6detail17trampoline_kernelINS0_14default_configENS1_25transform_config_selectorINS0_10empty_typeELb1EEEZNS1_14transform_implILb1ES3_S6_PS5_S8_NS0_8identityIS5_EEEE10hipError_tT2_T3_mT4_P12ihipStream_tbEUlT_E_NS1_11comp_targetILNS1_3genE10ELNS1_11target_archE1201ELNS1_3gpuE5ELNS1_3repE0EEENS1_30default_config_static_selectorELNS0_4arch9wavefront6targetE1EEEvT1_,comdat
.Lfunc_end51:
	.size	_ZN7rocprim17ROCPRIM_400000_NS6detail17trampoline_kernelINS0_14default_configENS1_25transform_config_selectorINS0_10empty_typeELb1EEEZNS1_14transform_implILb1ES3_S6_PS5_S8_NS0_8identityIS5_EEEE10hipError_tT2_T3_mT4_P12ihipStream_tbEUlT_E_NS1_11comp_targetILNS1_3genE10ELNS1_11target_archE1201ELNS1_3gpuE5ELNS1_3repE0EEENS1_30default_config_static_selectorELNS0_4arch9wavefront6targetE1EEEvT1_, .Lfunc_end51-_ZN7rocprim17ROCPRIM_400000_NS6detail17trampoline_kernelINS0_14default_configENS1_25transform_config_selectorINS0_10empty_typeELb1EEEZNS1_14transform_implILb1ES3_S6_PS5_S8_NS0_8identityIS5_EEEE10hipError_tT2_T3_mT4_P12ihipStream_tbEUlT_E_NS1_11comp_targetILNS1_3genE10ELNS1_11target_archE1201ELNS1_3gpuE5ELNS1_3repE0EEENS1_30default_config_static_selectorELNS0_4arch9wavefront6targetE1EEEvT1_
                                        ; -- End function
	.section	.AMDGPU.csdata,"",@progbits
; Kernel info:
; codeLenInByte = 0
; NumSgprs: 4
; NumVgprs: 0
; NumAgprs: 0
; TotalNumVgprs: 0
; ScratchSize: 0
; MemoryBound: 0
; FloatMode: 240
; IeeeMode: 1
; LDSByteSize: 0 bytes/workgroup (compile time only)
; SGPRBlocks: 0
; VGPRBlocks: 0
; NumSGPRsForWavesPerEU: 4
; NumVGPRsForWavesPerEU: 1
; AccumOffset: 4
; Occupancy: 8
; WaveLimiterHint : 0
; COMPUTE_PGM_RSRC2:SCRATCH_EN: 0
; COMPUTE_PGM_RSRC2:USER_SGPR: 6
; COMPUTE_PGM_RSRC2:TRAP_HANDLER: 0
; COMPUTE_PGM_RSRC2:TGID_X_EN: 1
; COMPUTE_PGM_RSRC2:TGID_Y_EN: 0
; COMPUTE_PGM_RSRC2:TGID_Z_EN: 0
; COMPUTE_PGM_RSRC2:TIDIG_COMP_CNT: 0
; COMPUTE_PGM_RSRC3_GFX90A:ACCUM_OFFSET: 0
; COMPUTE_PGM_RSRC3_GFX90A:TG_SPLIT: 0
	.section	.text._ZN7rocprim17ROCPRIM_400000_NS6detail17trampoline_kernelINS0_14default_configENS1_25transform_config_selectorINS0_10empty_typeELb1EEEZNS1_14transform_implILb1ES3_S6_PS5_S8_NS0_8identityIS5_EEEE10hipError_tT2_T3_mT4_P12ihipStream_tbEUlT_E_NS1_11comp_targetILNS1_3genE5ELNS1_11target_archE942ELNS1_3gpuE9ELNS1_3repE0EEENS1_30default_config_static_selectorELNS0_4arch9wavefront6targetE1EEEvT1_,"axG",@progbits,_ZN7rocprim17ROCPRIM_400000_NS6detail17trampoline_kernelINS0_14default_configENS1_25transform_config_selectorINS0_10empty_typeELb1EEEZNS1_14transform_implILb1ES3_S6_PS5_S8_NS0_8identityIS5_EEEE10hipError_tT2_T3_mT4_P12ihipStream_tbEUlT_E_NS1_11comp_targetILNS1_3genE5ELNS1_11target_archE942ELNS1_3gpuE9ELNS1_3repE0EEENS1_30default_config_static_selectorELNS0_4arch9wavefront6targetE1EEEvT1_,comdat
	.protected	_ZN7rocprim17ROCPRIM_400000_NS6detail17trampoline_kernelINS0_14default_configENS1_25transform_config_selectorINS0_10empty_typeELb1EEEZNS1_14transform_implILb1ES3_S6_PS5_S8_NS0_8identityIS5_EEEE10hipError_tT2_T3_mT4_P12ihipStream_tbEUlT_E_NS1_11comp_targetILNS1_3genE5ELNS1_11target_archE942ELNS1_3gpuE9ELNS1_3repE0EEENS1_30default_config_static_selectorELNS0_4arch9wavefront6targetE1EEEvT1_ ; -- Begin function _ZN7rocprim17ROCPRIM_400000_NS6detail17trampoline_kernelINS0_14default_configENS1_25transform_config_selectorINS0_10empty_typeELb1EEEZNS1_14transform_implILb1ES3_S6_PS5_S8_NS0_8identityIS5_EEEE10hipError_tT2_T3_mT4_P12ihipStream_tbEUlT_E_NS1_11comp_targetILNS1_3genE5ELNS1_11target_archE942ELNS1_3gpuE9ELNS1_3repE0EEENS1_30default_config_static_selectorELNS0_4arch9wavefront6targetE1EEEvT1_
	.globl	_ZN7rocprim17ROCPRIM_400000_NS6detail17trampoline_kernelINS0_14default_configENS1_25transform_config_selectorINS0_10empty_typeELb1EEEZNS1_14transform_implILb1ES3_S6_PS5_S8_NS0_8identityIS5_EEEE10hipError_tT2_T3_mT4_P12ihipStream_tbEUlT_E_NS1_11comp_targetILNS1_3genE5ELNS1_11target_archE942ELNS1_3gpuE9ELNS1_3repE0EEENS1_30default_config_static_selectorELNS0_4arch9wavefront6targetE1EEEvT1_
	.p2align	8
	.type	_ZN7rocprim17ROCPRIM_400000_NS6detail17trampoline_kernelINS0_14default_configENS1_25transform_config_selectorINS0_10empty_typeELb1EEEZNS1_14transform_implILb1ES3_S6_PS5_S8_NS0_8identityIS5_EEEE10hipError_tT2_T3_mT4_P12ihipStream_tbEUlT_E_NS1_11comp_targetILNS1_3genE5ELNS1_11target_archE942ELNS1_3gpuE9ELNS1_3repE0EEENS1_30default_config_static_selectorELNS0_4arch9wavefront6targetE1EEEvT1_,@function
_ZN7rocprim17ROCPRIM_400000_NS6detail17trampoline_kernelINS0_14default_configENS1_25transform_config_selectorINS0_10empty_typeELb1EEEZNS1_14transform_implILb1ES3_S6_PS5_S8_NS0_8identityIS5_EEEE10hipError_tT2_T3_mT4_P12ihipStream_tbEUlT_E_NS1_11comp_targetILNS1_3genE5ELNS1_11target_archE942ELNS1_3gpuE9ELNS1_3repE0EEENS1_30default_config_static_selectorELNS0_4arch9wavefront6targetE1EEEvT1_: ; @_ZN7rocprim17ROCPRIM_400000_NS6detail17trampoline_kernelINS0_14default_configENS1_25transform_config_selectorINS0_10empty_typeELb1EEEZNS1_14transform_implILb1ES3_S6_PS5_S8_NS0_8identityIS5_EEEE10hipError_tT2_T3_mT4_P12ihipStream_tbEUlT_E_NS1_11comp_targetILNS1_3genE5ELNS1_11target_archE942ELNS1_3gpuE9ELNS1_3repE0EEENS1_30default_config_static_selectorELNS0_4arch9wavefront6targetE1EEEvT1_
; %bb.0:
	.section	.rodata,"a",@progbits
	.p2align	6, 0x0
	.amdhsa_kernel _ZN7rocprim17ROCPRIM_400000_NS6detail17trampoline_kernelINS0_14default_configENS1_25transform_config_selectorINS0_10empty_typeELb1EEEZNS1_14transform_implILb1ES3_S6_PS5_S8_NS0_8identityIS5_EEEE10hipError_tT2_T3_mT4_P12ihipStream_tbEUlT_E_NS1_11comp_targetILNS1_3genE5ELNS1_11target_archE942ELNS1_3gpuE9ELNS1_3repE0EEENS1_30default_config_static_selectorELNS0_4arch9wavefront6targetE1EEEvT1_
		.amdhsa_group_segment_fixed_size 0
		.amdhsa_private_segment_fixed_size 0
		.amdhsa_kernarg_size 40
		.amdhsa_user_sgpr_count 6
		.amdhsa_user_sgpr_private_segment_buffer 1
		.amdhsa_user_sgpr_dispatch_ptr 0
		.amdhsa_user_sgpr_queue_ptr 0
		.amdhsa_user_sgpr_kernarg_segment_ptr 1
		.amdhsa_user_sgpr_dispatch_id 0
		.amdhsa_user_sgpr_flat_scratch_init 0
		.amdhsa_user_sgpr_kernarg_preload_length 0
		.amdhsa_user_sgpr_kernarg_preload_offset 0
		.amdhsa_user_sgpr_private_segment_size 0
		.amdhsa_uses_dynamic_stack 0
		.amdhsa_system_sgpr_private_segment_wavefront_offset 0
		.amdhsa_system_sgpr_workgroup_id_x 1
		.amdhsa_system_sgpr_workgroup_id_y 0
		.amdhsa_system_sgpr_workgroup_id_z 0
		.amdhsa_system_sgpr_workgroup_info 0
		.amdhsa_system_vgpr_workitem_id 0
		.amdhsa_next_free_vgpr 1
		.amdhsa_next_free_sgpr 0
		.amdhsa_accum_offset 4
		.amdhsa_reserve_vcc 0
		.amdhsa_reserve_flat_scratch 0
		.amdhsa_float_round_mode_32 0
		.amdhsa_float_round_mode_16_64 0
		.amdhsa_float_denorm_mode_32 3
		.amdhsa_float_denorm_mode_16_64 3
		.amdhsa_dx10_clamp 1
		.amdhsa_ieee_mode 1
		.amdhsa_fp16_overflow 0
		.amdhsa_tg_split 0
		.amdhsa_exception_fp_ieee_invalid_op 0
		.amdhsa_exception_fp_denorm_src 0
		.amdhsa_exception_fp_ieee_div_zero 0
		.amdhsa_exception_fp_ieee_overflow 0
		.amdhsa_exception_fp_ieee_underflow 0
		.amdhsa_exception_fp_ieee_inexact 0
		.amdhsa_exception_int_div_zero 0
	.end_amdhsa_kernel
	.section	.text._ZN7rocprim17ROCPRIM_400000_NS6detail17trampoline_kernelINS0_14default_configENS1_25transform_config_selectorINS0_10empty_typeELb1EEEZNS1_14transform_implILb1ES3_S6_PS5_S8_NS0_8identityIS5_EEEE10hipError_tT2_T3_mT4_P12ihipStream_tbEUlT_E_NS1_11comp_targetILNS1_3genE5ELNS1_11target_archE942ELNS1_3gpuE9ELNS1_3repE0EEENS1_30default_config_static_selectorELNS0_4arch9wavefront6targetE1EEEvT1_,"axG",@progbits,_ZN7rocprim17ROCPRIM_400000_NS6detail17trampoline_kernelINS0_14default_configENS1_25transform_config_selectorINS0_10empty_typeELb1EEEZNS1_14transform_implILb1ES3_S6_PS5_S8_NS0_8identityIS5_EEEE10hipError_tT2_T3_mT4_P12ihipStream_tbEUlT_E_NS1_11comp_targetILNS1_3genE5ELNS1_11target_archE942ELNS1_3gpuE9ELNS1_3repE0EEENS1_30default_config_static_selectorELNS0_4arch9wavefront6targetE1EEEvT1_,comdat
.Lfunc_end52:
	.size	_ZN7rocprim17ROCPRIM_400000_NS6detail17trampoline_kernelINS0_14default_configENS1_25transform_config_selectorINS0_10empty_typeELb1EEEZNS1_14transform_implILb1ES3_S6_PS5_S8_NS0_8identityIS5_EEEE10hipError_tT2_T3_mT4_P12ihipStream_tbEUlT_E_NS1_11comp_targetILNS1_3genE5ELNS1_11target_archE942ELNS1_3gpuE9ELNS1_3repE0EEENS1_30default_config_static_selectorELNS0_4arch9wavefront6targetE1EEEvT1_, .Lfunc_end52-_ZN7rocprim17ROCPRIM_400000_NS6detail17trampoline_kernelINS0_14default_configENS1_25transform_config_selectorINS0_10empty_typeELb1EEEZNS1_14transform_implILb1ES3_S6_PS5_S8_NS0_8identityIS5_EEEE10hipError_tT2_T3_mT4_P12ihipStream_tbEUlT_E_NS1_11comp_targetILNS1_3genE5ELNS1_11target_archE942ELNS1_3gpuE9ELNS1_3repE0EEENS1_30default_config_static_selectorELNS0_4arch9wavefront6targetE1EEEvT1_
                                        ; -- End function
	.section	.AMDGPU.csdata,"",@progbits
; Kernel info:
; codeLenInByte = 0
; NumSgprs: 4
; NumVgprs: 0
; NumAgprs: 0
; TotalNumVgprs: 0
; ScratchSize: 0
; MemoryBound: 0
; FloatMode: 240
; IeeeMode: 1
; LDSByteSize: 0 bytes/workgroup (compile time only)
; SGPRBlocks: 0
; VGPRBlocks: 0
; NumSGPRsForWavesPerEU: 4
; NumVGPRsForWavesPerEU: 1
; AccumOffset: 4
; Occupancy: 8
; WaveLimiterHint : 0
; COMPUTE_PGM_RSRC2:SCRATCH_EN: 0
; COMPUTE_PGM_RSRC2:USER_SGPR: 6
; COMPUTE_PGM_RSRC2:TRAP_HANDLER: 0
; COMPUTE_PGM_RSRC2:TGID_X_EN: 1
; COMPUTE_PGM_RSRC2:TGID_Y_EN: 0
; COMPUTE_PGM_RSRC2:TGID_Z_EN: 0
; COMPUTE_PGM_RSRC2:TIDIG_COMP_CNT: 0
; COMPUTE_PGM_RSRC3_GFX90A:ACCUM_OFFSET: 0
; COMPUTE_PGM_RSRC3_GFX90A:TG_SPLIT: 0
	.section	.text._ZN7rocprim17ROCPRIM_400000_NS6detail17trampoline_kernelINS0_14default_configENS1_25transform_config_selectorINS0_10empty_typeELb1EEEZNS1_14transform_implILb1ES3_S6_PS5_S8_NS0_8identityIS5_EEEE10hipError_tT2_T3_mT4_P12ihipStream_tbEUlT_E_NS1_11comp_targetILNS1_3genE4ELNS1_11target_archE910ELNS1_3gpuE8ELNS1_3repE0EEENS1_30default_config_static_selectorELNS0_4arch9wavefront6targetE1EEEvT1_,"axG",@progbits,_ZN7rocprim17ROCPRIM_400000_NS6detail17trampoline_kernelINS0_14default_configENS1_25transform_config_selectorINS0_10empty_typeELb1EEEZNS1_14transform_implILb1ES3_S6_PS5_S8_NS0_8identityIS5_EEEE10hipError_tT2_T3_mT4_P12ihipStream_tbEUlT_E_NS1_11comp_targetILNS1_3genE4ELNS1_11target_archE910ELNS1_3gpuE8ELNS1_3repE0EEENS1_30default_config_static_selectorELNS0_4arch9wavefront6targetE1EEEvT1_,comdat
	.protected	_ZN7rocprim17ROCPRIM_400000_NS6detail17trampoline_kernelINS0_14default_configENS1_25transform_config_selectorINS0_10empty_typeELb1EEEZNS1_14transform_implILb1ES3_S6_PS5_S8_NS0_8identityIS5_EEEE10hipError_tT2_T3_mT4_P12ihipStream_tbEUlT_E_NS1_11comp_targetILNS1_3genE4ELNS1_11target_archE910ELNS1_3gpuE8ELNS1_3repE0EEENS1_30default_config_static_selectorELNS0_4arch9wavefront6targetE1EEEvT1_ ; -- Begin function _ZN7rocprim17ROCPRIM_400000_NS6detail17trampoline_kernelINS0_14default_configENS1_25transform_config_selectorINS0_10empty_typeELb1EEEZNS1_14transform_implILb1ES3_S6_PS5_S8_NS0_8identityIS5_EEEE10hipError_tT2_T3_mT4_P12ihipStream_tbEUlT_E_NS1_11comp_targetILNS1_3genE4ELNS1_11target_archE910ELNS1_3gpuE8ELNS1_3repE0EEENS1_30default_config_static_selectorELNS0_4arch9wavefront6targetE1EEEvT1_
	.globl	_ZN7rocprim17ROCPRIM_400000_NS6detail17trampoline_kernelINS0_14default_configENS1_25transform_config_selectorINS0_10empty_typeELb1EEEZNS1_14transform_implILb1ES3_S6_PS5_S8_NS0_8identityIS5_EEEE10hipError_tT2_T3_mT4_P12ihipStream_tbEUlT_E_NS1_11comp_targetILNS1_3genE4ELNS1_11target_archE910ELNS1_3gpuE8ELNS1_3repE0EEENS1_30default_config_static_selectorELNS0_4arch9wavefront6targetE1EEEvT1_
	.p2align	8
	.type	_ZN7rocprim17ROCPRIM_400000_NS6detail17trampoline_kernelINS0_14default_configENS1_25transform_config_selectorINS0_10empty_typeELb1EEEZNS1_14transform_implILb1ES3_S6_PS5_S8_NS0_8identityIS5_EEEE10hipError_tT2_T3_mT4_P12ihipStream_tbEUlT_E_NS1_11comp_targetILNS1_3genE4ELNS1_11target_archE910ELNS1_3gpuE8ELNS1_3repE0EEENS1_30default_config_static_selectorELNS0_4arch9wavefront6targetE1EEEvT1_,@function
_ZN7rocprim17ROCPRIM_400000_NS6detail17trampoline_kernelINS0_14default_configENS1_25transform_config_selectorINS0_10empty_typeELb1EEEZNS1_14transform_implILb1ES3_S6_PS5_S8_NS0_8identityIS5_EEEE10hipError_tT2_T3_mT4_P12ihipStream_tbEUlT_E_NS1_11comp_targetILNS1_3genE4ELNS1_11target_archE910ELNS1_3gpuE8ELNS1_3repE0EEENS1_30default_config_static_selectorELNS0_4arch9wavefront6targetE1EEEvT1_: ; @_ZN7rocprim17ROCPRIM_400000_NS6detail17trampoline_kernelINS0_14default_configENS1_25transform_config_selectorINS0_10empty_typeELb1EEEZNS1_14transform_implILb1ES3_S6_PS5_S8_NS0_8identityIS5_EEEE10hipError_tT2_T3_mT4_P12ihipStream_tbEUlT_E_NS1_11comp_targetILNS1_3genE4ELNS1_11target_archE910ELNS1_3gpuE8ELNS1_3repE0EEENS1_30default_config_static_selectorELNS0_4arch9wavefront6targetE1EEEvT1_
; %bb.0:
	s_endpgm
	.section	.rodata,"a",@progbits
	.p2align	6, 0x0
	.amdhsa_kernel _ZN7rocprim17ROCPRIM_400000_NS6detail17trampoline_kernelINS0_14default_configENS1_25transform_config_selectorINS0_10empty_typeELb1EEEZNS1_14transform_implILb1ES3_S6_PS5_S8_NS0_8identityIS5_EEEE10hipError_tT2_T3_mT4_P12ihipStream_tbEUlT_E_NS1_11comp_targetILNS1_3genE4ELNS1_11target_archE910ELNS1_3gpuE8ELNS1_3repE0EEENS1_30default_config_static_selectorELNS0_4arch9wavefront6targetE1EEEvT1_
		.amdhsa_group_segment_fixed_size 0
		.amdhsa_private_segment_fixed_size 0
		.amdhsa_kernarg_size 40
		.amdhsa_user_sgpr_count 6
		.amdhsa_user_sgpr_private_segment_buffer 1
		.amdhsa_user_sgpr_dispatch_ptr 0
		.amdhsa_user_sgpr_queue_ptr 0
		.amdhsa_user_sgpr_kernarg_segment_ptr 1
		.amdhsa_user_sgpr_dispatch_id 0
		.amdhsa_user_sgpr_flat_scratch_init 0
		.amdhsa_user_sgpr_kernarg_preload_length 0
		.amdhsa_user_sgpr_kernarg_preload_offset 0
		.amdhsa_user_sgpr_private_segment_size 0
		.amdhsa_uses_dynamic_stack 0
		.amdhsa_system_sgpr_private_segment_wavefront_offset 0
		.amdhsa_system_sgpr_workgroup_id_x 1
		.amdhsa_system_sgpr_workgroup_id_y 0
		.amdhsa_system_sgpr_workgroup_id_z 0
		.amdhsa_system_sgpr_workgroup_info 0
		.amdhsa_system_vgpr_workitem_id 0
		.amdhsa_next_free_vgpr 1
		.amdhsa_next_free_sgpr 0
		.amdhsa_accum_offset 4
		.amdhsa_reserve_vcc 0
		.amdhsa_reserve_flat_scratch 0
		.amdhsa_float_round_mode_32 0
		.amdhsa_float_round_mode_16_64 0
		.amdhsa_float_denorm_mode_32 3
		.amdhsa_float_denorm_mode_16_64 3
		.amdhsa_dx10_clamp 1
		.amdhsa_ieee_mode 1
		.amdhsa_fp16_overflow 0
		.amdhsa_tg_split 0
		.amdhsa_exception_fp_ieee_invalid_op 0
		.amdhsa_exception_fp_denorm_src 0
		.amdhsa_exception_fp_ieee_div_zero 0
		.amdhsa_exception_fp_ieee_overflow 0
		.amdhsa_exception_fp_ieee_underflow 0
		.amdhsa_exception_fp_ieee_inexact 0
		.amdhsa_exception_int_div_zero 0
	.end_amdhsa_kernel
	.section	.text._ZN7rocprim17ROCPRIM_400000_NS6detail17trampoline_kernelINS0_14default_configENS1_25transform_config_selectorINS0_10empty_typeELb1EEEZNS1_14transform_implILb1ES3_S6_PS5_S8_NS0_8identityIS5_EEEE10hipError_tT2_T3_mT4_P12ihipStream_tbEUlT_E_NS1_11comp_targetILNS1_3genE4ELNS1_11target_archE910ELNS1_3gpuE8ELNS1_3repE0EEENS1_30default_config_static_selectorELNS0_4arch9wavefront6targetE1EEEvT1_,"axG",@progbits,_ZN7rocprim17ROCPRIM_400000_NS6detail17trampoline_kernelINS0_14default_configENS1_25transform_config_selectorINS0_10empty_typeELb1EEEZNS1_14transform_implILb1ES3_S6_PS5_S8_NS0_8identityIS5_EEEE10hipError_tT2_T3_mT4_P12ihipStream_tbEUlT_E_NS1_11comp_targetILNS1_3genE4ELNS1_11target_archE910ELNS1_3gpuE8ELNS1_3repE0EEENS1_30default_config_static_selectorELNS0_4arch9wavefront6targetE1EEEvT1_,comdat
.Lfunc_end53:
	.size	_ZN7rocprim17ROCPRIM_400000_NS6detail17trampoline_kernelINS0_14default_configENS1_25transform_config_selectorINS0_10empty_typeELb1EEEZNS1_14transform_implILb1ES3_S6_PS5_S8_NS0_8identityIS5_EEEE10hipError_tT2_T3_mT4_P12ihipStream_tbEUlT_E_NS1_11comp_targetILNS1_3genE4ELNS1_11target_archE910ELNS1_3gpuE8ELNS1_3repE0EEENS1_30default_config_static_selectorELNS0_4arch9wavefront6targetE1EEEvT1_, .Lfunc_end53-_ZN7rocprim17ROCPRIM_400000_NS6detail17trampoline_kernelINS0_14default_configENS1_25transform_config_selectorINS0_10empty_typeELb1EEEZNS1_14transform_implILb1ES3_S6_PS5_S8_NS0_8identityIS5_EEEE10hipError_tT2_T3_mT4_P12ihipStream_tbEUlT_E_NS1_11comp_targetILNS1_3genE4ELNS1_11target_archE910ELNS1_3gpuE8ELNS1_3repE0EEENS1_30default_config_static_selectorELNS0_4arch9wavefront6targetE1EEEvT1_
                                        ; -- End function
	.section	.AMDGPU.csdata,"",@progbits
; Kernel info:
; codeLenInByte = 4
; NumSgprs: 4
; NumVgprs: 0
; NumAgprs: 0
; TotalNumVgprs: 0
; ScratchSize: 0
; MemoryBound: 0
; FloatMode: 240
; IeeeMode: 1
; LDSByteSize: 0 bytes/workgroup (compile time only)
; SGPRBlocks: 0
; VGPRBlocks: 0
; NumSGPRsForWavesPerEU: 4
; NumVGPRsForWavesPerEU: 1
; AccumOffset: 4
; Occupancy: 8
; WaveLimiterHint : 0
; COMPUTE_PGM_RSRC2:SCRATCH_EN: 0
; COMPUTE_PGM_RSRC2:USER_SGPR: 6
; COMPUTE_PGM_RSRC2:TRAP_HANDLER: 0
; COMPUTE_PGM_RSRC2:TGID_X_EN: 1
; COMPUTE_PGM_RSRC2:TGID_Y_EN: 0
; COMPUTE_PGM_RSRC2:TGID_Z_EN: 0
; COMPUTE_PGM_RSRC2:TIDIG_COMP_CNT: 0
; COMPUTE_PGM_RSRC3_GFX90A:ACCUM_OFFSET: 0
; COMPUTE_PGM_RSRC3_GFX90A:TG_SPLIT: 0
	.section	.text._ZN7rocprim17ROCPRIM_400000_NS6detail17trampoline_kernelINS0_14default_configENS1_25transform_config_selectorINS0_10empty_typeELb1EEEZNS1_14transform_implILb1ES3_S6_PS5_S8_NS0_8identityIS5_EEEE10hipError_tT2_T3_mT4_P12ihipStream_tbEUlT_E_NS1_11comp_targetILNS1_3genE3ELNS1_11target_archE908ELNS1_3gpuE7ELNS1_3repE0EEENS1_30default_config_static_selectorELNS0_4arch9wavefront6targetE1EEEvT1_,"axG",@progbits,_ZN7rocprim17ROCPRIM_400000_NS6detail17trampoline_kernelINS0_14default_configENS1_25transform_config_selectorINS0_10empty_typeELb1EEEZNS1_14transform_implILb1ES3_S6_PS5_S8_NS0_8identityIS5_EEEE10hipError_tT2_T3_mT4_P12ihipStream_tbEUlT_E_NS1_11comp_targetILNS1_3genE3ELNS1_11target_archE908ELNS1_3gpuE7ELNS1_3repE0EEENS1_30default_config_static_selectorELNS0_4arch9wavefront6targetE1EEEvT1_,comdat
	.protected	_ZN7rocprim17ROCPRIM_400000_NS6detail17trampoline_kernelINS0_14default_configENS1_25transform_config_selectorINS0_10empty_typeELb1EEEZNS1_14transform_implILb1ES3_S6_PS5_S8_NS0_8identityIS5_EEEE10hipError_tT2_T3_mT4_P12ihipStream_tbEUlT_E_NS1_11comp_targetILNS1_3genE3ELNS1_11target_archE908ELNS1_3gpuE7ELNS1_3repE0EEENS1_30default_config_static_selectorELNS0_4arch9wavefront6targetE1EEEvT1_ ; -- Begin function _ZN7rocprim17ROCPRIM_400000_NS6detail17trampoline_kernelINS0_14default_configENS1_25transform_config_selectorINS0_10empty_typeELb1EEEZNS1_14transform_implILb1ES3_S6_PS5_S8_NS0_8identityIS5_EEEE10hipError_tT2_T3_mT4_P12ihipStream_tbEUlT_E_NS1_11comp_targetILNS1_3genE3ELNS1_11target_archE908ELNS1_3gpuE7ELNS1_3repE0EEENS1_30default_config_static_selectorELNS0_4arch9wavefront6targetE1EEEvT1_
	.globl	_ZN7rocprim17ROCPRIM_400000_NS6detail17trampoline_kernelINS0_14default_configENS1_25transform_config_selectorINS0_10empty_typeELb1EEEZNS1_14transform_implILb1ES3_S6_PS5_S8_NS0_8identityIS5_EEEE10hipError_tT2_T3_mT4_P12ihipStream_tbEUlT_E_NS1_11comp_targetILNS1_3genE3ELNS1_11target_archE908ELNS1_3gpuE7ELNS1_3repE0EEENS1_30default_config_static_selectorELNS0_4arch9wavefront6targetE1EEEvT1_
	.p2align	8
	.type	_ZN7rocprim17ROCPRIM_400000_NS6detail17trampoline_kernelINS0_14default_configENS1_25transform_config_selectorINS0_10empty_typeELb1EEEZNS1_14transform_implILb1ES3_S6_PS5_S8_NS0_8identityIS5_EEEE10hipError_tT2_T3_mT4_P12ihipStream_tbEUlT_E_NS1_11comp_targetILNS1_3genE3ELNS1_11target_archE908ELNS1_3gpuE7ELNS1_3repE0EEENS1_30default_config_static_selectorELNS0_4arch9wavefront6targetE1EEEvT1_,@function
_ZN7rocprim17ROCPRIM_400000_NS6detail17trampoline_kernelINS0_14default_configENS1_25transform_config_selectorINS0_10empty_typeELb1EEEZNS1_14transform_implILb1ES3_S6_PS5_S8_NS0_8identityIS5_EEEE10hipError_tT2_T3_mT4_P12ihipStream_tbEUlT_E_NS1_11comp_targetILNS1_3genE3ELNS1_11target_archE908ELNS1_3gpuE7ELNS1_3repE0EEENS1_30default_config_static_selectorELNS0_4arch9wavefront6targetE1EEEvT1_: ; @_ZN7rocprim17ROCPRIM_400000_NS6detail17trampoline_kernelINS0_14default_configENS1_25transform_config_selectorINS0_10empty_typeELb1EEEZNS1_14transform_implILb1ES3_S6_PS5_S8_NS0_8identityIS5_EEEE10hipError_tT2_T3_mT4_P12ihipStream_tbEUlT_E_NS1_11comp_targetILNS1_3genE3ELNS1_11target_archE908ELNS1_3gpuE7ELNS1_3repE0EEENS1_30default_config_static_selectorELNS0_4arch9wavefront6targetE1EEEvT1_
; %bb.0:
	.section	.rodata,"a",@progbits
	.p2align	6, 0x0
	.amdhsa_kernel _ZN7rocprim17ROCPRIM_400000_NS6detail17trampoline_kernelINS0_14default_configENS1_25transform_config_selectorINS0_10empty_typeELb1EEEZNS1_14transform_implILb1ES3_S6_PS5_S8_NS0_8identityIS5_EEEE10hipError_tT2_T3_mT4_P12ihipStream_tbEUlT_E_NS1_11comp_targetILNS1_3genE3ELNS1_11target_archE908ELNS1_3gpuE7ELNS1_3repE0EEENS1_30default_config_static_selectorELNS0_4arch9wavefront6targetE1EEEvT1_
		.amdhsa_group_segment_fixed_size 0
		.amdhsa_private_segment_fixed_size 0
		.amdhsa_kernarg_size 40
		.amdhsa_user_sgpr_count 6
		.amdhsa_user_sgpr_private_segment_buffer 1
		.amdhsa_user_sgpr_dispatch_ptr 0
		.amdhsa_user_sgpr_queue_ptr 0
		.amdhsa_user_sgpr_kernarg_segment_ptr 1
		.amdhsa_user_sgpr_dispatch_id 0
		.amdhsa_user_sgpr_flat_scratch_init 0
		.amdhsa_user_sgpr_kernarg_preload_length 0
		.amdhsa_user_sgpr_kernarg_preload_offset 0
		.amdhsa_user_sgpr_private_segment_size 0
		.amdhsa_uses_dynamic_stack 0
		.amdhsa_system_sgpr_private_segment_wavefront_offset 0
		.amdhsa_system_sgpr_workgroup_id_x 1
		.amdhsa_system_sgpr_workgroup_id_y 0
		.amdhsa_system_sgpr_workgroup_id_z 0
		.amdhsa_system_sgpr_workgroup_info 0
		.amdhsa_system_vgpr_workitem_id 0
		.amdhsa_next_free_vgpr 1
		.amdhsa_next_free_sgpr 0
		.amdhsa_accum_offset 4
		.amdhsa_reserve_vcc 0
		.amdhsa_reserve_flat_scratch 0
		.amdhsa_float_round_mode_32 0
		.amdhsa_float_round_mode_16_64 0
		.amdhsa_float_denorm_mode_32 3
		.amdhsa_float_denorm_mode_16_64 3
		.amdhsa_dx10_clamp 1
		.amdhsa_ieee_mode 1
		.amdhsa_fp16_overflow 0
		.amdhsa_tg_split 0
		.amdhsa_exception_fp_ieee_invalid_op 0
		.amdhsa_exception_fp_denorm_src 0
		.amdhsa_exception_fp_ieee_div_zero 0
		.amdhsa_exception_fp_ieee_overflow 0
		.amdhsa_exception_fp_ieee_underflow 0
		.amdhsa_exception_fp_ieee_inexact 0
		.amdhsa_exception_int_div_zero 0
	.end_amdhsa_kernel
	.section	.text._ZN7rocprim17ROCPRIM_400000_NS6detail17trampoline_kernelINS0_14default_configENS1_25transform_config_selectorINS0_10empty_typeELb1EEEZNS1_14transform_implILb1ES3_S6_PS5_S8_NS0_8identityIS5_EEEE10hipError_tT2_T3_mT4_P12ihipStream_tbEUlT_E_NS1_11comp_targetILNS1_3genE3ELNS1_11target_archE908ELNS1_3gpuE7ELNS1_3repE0EEENS1_30default_config_static_selectorELNS0_4arch9wavefront6targetE1EEEvT1_,"axG",@progbits,_ZN7rocprim17ROCPRIM_400000_NS6detail17trampoline_kernelINS0_14default_configENS1_25transform_config_selectorINS0_10empty_typeELb1EEEZNS1_14transform_implILb1ES3_S6_PS5_S8_NS0_8identityIS5_EEEE10hipError_tT2_T3_mT4_P12ihipStream_tbEUlT_E_NS1_11comp_targetILNS1_3genE3ELNS1_11target_archE908ELNS1_3gpuE7ELNS1_3repE0EEENS1_30default_config_static_selectorELNS0_4arch9wavefront6targetE1EEEvT1_,comdat
.Lfunc_end54:
	.size	_ZN7rocprim17ROCPRIM_400000_NS6detail17trampoline_kernelINS0_14default_configENS1_25transform_config_selectorINS0_10empty_typeELb1EEEZNS1_14transform_implILb1ES3_S6_PS5_S8_NS0_8identityIS5_EEEE10hipError_tT2_T3_mT4_P12ihipStream_tbEUlT_E_NS1_11comp_targetILNS1_3genE3ELNS1_11target_archE908ELNS1_3gpuE7ELNS1_3repE0EEENS1_30default_config_static_selectorELNS0_4arch9wavefront6targetE1EEEvT1_, .Lfunc_end54-_ZN7rocprim17ROCPRIM_400000_NS6detail17trampoline_kernelINS0_14default_configENS1_25transform_config_selectorINS0_10empty_typeELb1EEEZNS1_14transform_implILb1ES3_S6_PS5_S8_NS0_8identityIS5_EEEE10hipError_tT2_T3_mT4_P12ihipStream_tbEUlT_E_NS1_11comp_targetILNS1_3genE3ELNS1_11target_archE908ELNS1_3gpuE7ELNS1_3repE0EEENS1_30default_config_static_selectorELNS0_4arch9wavefront6targetE1EEEvT1_
                                        ; -- End function
	.section	.AMDGPU.csdata,"",@progbits
; Kernel info:
; codeLenInByte = 0
; NumSgprs: 4
; NumVgprs: 0
; NumAgprs: 0
; TotalNumVgprs: 0
; ScratchSize: 0
; MemoryBound: 0
; FloatMode: 240
; IeeeMode: 1
; LDSByteSize: 0 bytes/workgroup (compile time only)
; SGPRBlocks: 0
; VGPRBlocks: 0
; NumSGPRsForWavesPerEU: 4
; NumVGPRsForWavesPerEU: 1
; AccumOffset: 4
; Occupancy: 8
; WaveLimiterHint : 0
; COMPUTE_PGM_RSRC2:SCRATCH_EN: 0
; COMPUTE_PGM_RSRC2:USER_SGPR: 6
; COMPUTE_PGM_RSRC2:TRAP_HANDLER: 0
; COMPUTE_PGM_RSRC2:TGID_X_EN: 1
; COMPUTE_PGM_RSRC2:TGID_Y_EN: 0
; COMPUTE_PGM_RSRC2:TGID_Z_EN: 0
; COMPUTE_PGM_RSRC2:TIDIG_COMP_CNT: 0
; COMPUTE_PGM_RSRC3_GFX90A:ACCUM_OFFSET: 0
; COMPUTE_PGM_RSRC3_GFX90A:TG_SPLIT: 0
	.section	.text._ZN7rocprim17ROCPRIM_400000_NS6detail17trampoline_kernelINS0_14default_configENS1_25transform_config_selectorINS0_10empty_typeELb1EEEZNS1_14transform_implILb1ES3_S6_PS5_S8_NS0_8identityIS5_EEEE10hipError_tT2_T3_mT4_P12ihipStream_tbEUlT_E_NS1_11comp_targetILNS1_3genE2ELNS1_11target_archE906ELNS1_3gpuE6ELNS1_3repE0EEENS1_30default_config_static_selectorELNS0_4arch9wavefront6targetE1EEEvT1_,"axG",@progbits,_ZN7rocprim17ROCPRIM_400000_NS6detail17trampoline_kernelINS0_14default_configENS1_25transform_config_selectorINS0_10empty_typeELb1EEEZNS1_14transform_implILb1ES3_S6_PS5_S8_NS0_8identityIS5_EEEE10hipError_tT2_T3_mT4_P12ihipStream_tbEUlT_E_NS1_11comp_targetILNS1_3genE2ELNS1_11target_archE906ELNS1_3gpuE6ELNS1_3repE0EEENS1_30default_config_static_selectorELNS0_4arch9wavefront6targetE1EEEvT1_,comdat
	.protected	_ZN7rocprim17ROCPRIM_400000_NS6detail17trampoline_kernelINS0_14default_configENS1_25transform_config_selectorINS0_10empty_typeELb1EEEZNS1_14transform_implILb1ES3_S6_PS5_S8_NS0_8identityIS5_EEEE10hipError_tT2_T3_mT4_P12ihipStream_tbEUlT_E_NS1_11comp_targetILNS1_3genE2ELNS1_11target_archE906ELNS1_3gpuE6ELNS1_3repE0EEENS1_30default_config_static_selectorELNS0_4arch9wavefront6targetE1EEEvT1_ ; -- Begin function _ZN7rocprim17ROCPRIM_400000_NS6detail17trampoline_kernelINS0_14default_configENS1_25transform_config_selectorINS0_10empty_typeELb1EEEZNS1_14transform_implILb1ES3_S6_PS5_S8_NS0_8identityIS5_EEEE10hipError_tT2_T3_mT4_P12ihipStream_tbEUlT_E_NS1_11comp_targetILNS1_3genE2ELNS1_11target_archE906ELNS1_3gpuE6ELNS1_3repE0EEENS1_30default_config_static_selectorELNS0_4arch9wavefront6targetE1EEEvT1_
	.globl	_ZN7rocprim17ROCPRIM_400000_NS6detail17trampoline_kernelINS0_14default_configENS1_25transform_config_selectorINS0_10empty_typeELb1EEEZNS1_14transform_implILb1ES3_S6_PS5_S8_NS0_8identityIS5_EEEE10hipError_tT2_T3_mT4_P12ihipStream_tbEUlT_E_NS1_11comp_targetILNS1_3genE2ELNS1_11target_archE906ELNS1_3gpuE6ELNS1_3repE0EEENS1_30default_config_static_selectorELNS0_4arch9wavefront6targetE1EEEvT1_
	.p2align	8
	.type	_ZN7rocprim17ROCPRIM_400000_NS6detail17trampoline_kernelINS0_14default_configENS1_25transform_config_selectorINS0_10empty_typeELb1EEEZNS1_14transform_implILb1ES3_S6_PS5_S8_NS0_8identityIS5_EEEE10hipError_tT2_T3_mT4_P12ihipStream_tbEUlT_E_NS1_11comp_targetILNS1_3genE2ELNS1_11target_archE906ELNS1_3gpuE6ELNS1_3repE0EEENS1_30default_config_static_selectorELNS0_4arch9wavefront6targetE1EEEvT1_,@function
_ZN7rocprim17ROCPRIM_400000_NS6detail17trampoline_kernelINS0_14default_configENS1_25transform_config_selectorINS0_10empty_typeELb1EEEZNS1_14transform_implILb1ES3_S6_PS5_S8_NS0_8identityIS5_EEEE10hipError_tT2_T3_mT4_P12ihipStream_tbEUlT_E_NS1_11comp_targetILNS1_3genE2ELNS1_11target_archE906ELNS1_3gpuE6ELNS1_3repE0EEENS1_30default_config_static_selectorELNS0_4arch9wavefront6targetE1EEEvT1_: ; @_ZN7rocprim17ROCPRIM_400000_NS6detail17trampoline_kernelINS0_14default_configENS1_25transform_config_selectorINS0_10empty_typeELb1EEEZNS1_14transform_implILb1ES3_S6_PS5_S8_NS0_8identityIS5_EEEE10hipError_tT2_T3_mT4_P12ihipStream_tbEUlT_E_NS1_11comp_targetILNS1_3genE2ELNS1_11target_archE906ELNS1_3gpuE6ELNS1_3repE0EEENS1_30default_config_static_selectorELNS0_4arch9wavefront6targetE1EEEvT1_
; %bb.0:
	.section	.rodata,"a",@progbits
	.p2align	6, 0x0
	.amdhsa_kernel _ZN7rocprim17ROCPRIM_400000_NS6detail17trampoline_kernelINS0_14default_configENS1_25transform_config_selectorINS0_10empty_typeELb1EEEZNS1_14transform_implILb1ES3_S6_PS5_S8_NS0_8identityIS5_EEEE10hipError_tT2_T3_mT4_P12ihipStream_tbEUlT_E_NS1_11comp_targetILNS1_3genE2ELNS1_11target_archE906ELNS1_3gpuE6ELNS1_3repE0EEENS1_30default_config_static_selectorELNS0_4arch9wavefront6targetE1EEEvT1_
		.amdhsa_group_segment_fixed_size 0
		.amdhsa_private_segment_fixed_size 0
		.amdhsa_kernarg_size 40
		.amdhsa_user_sgpr_count 6
		.amdhsa_user_sgpr_private_segment_buffer 1
		.amdhsa_user_sgpr_dispatch_ptr 0
		.amdhsa_user_sgpr_queue_ptr 0
		.amdhsa_user_sgpr_kernarg_segment_ptr 1
		.amdhsa_user_sgpr_dispatch_id 0
		.amdhsa_user_sgpr_flat_scratch_init 0
		.amdhsa_user_sgpr_kernarg_preload_length 0
		.amdhsa_user_sgpr_kernarg_preload_offset 0
		.amdhsa_user_sgpr_private_segment_size 0
		.amdhsa_uses_dynamic_stack 0
		.amdhsa_system_sgpr_private_segment_wavefront_offset 0
		.amdhsa_system_sgpr_workgroup_id_x 1
		.amdhsa_system_sgpr_workgroup_id_y 0
		.amdhsa_system_sgpr_workgroup_id_z 0
		.amdhsa_system_sgpr_workgroup_info 0
		.amdhsa_system_vgpr_workitem_id 0
		.amdhsa_next_free_vgpr 1
		.amdhsa_next_free_sgpr 0
		.amdhsa_accum_offset 4
		.amdhsa_reserve_vcc 0
		.amdhsa_reserve_flat_scratch 0
		.amdhsa_float_round_mode_32 0
		.amdhsa_float_round_mode_16_64 0
		.amdhsa_float_denorm_mode_32 3
		.amdhsa_float_denorm_mode_16_64 3
		.amdhsa_dx10_clamp 1
		.amdhsa_ieee_mode 1
		.amdhsa_fp16_overflow 0
		.amdhsa_tg_split 0
		.amdhsa_exception_fp_ieee_invalid_op 0
		.amdhsa_exception_fp_denorm_src 0
		.amdhsa_exception_fp_ieee_div_zero 0
		.amdhsa_exception_fp_ieee_overflow 0
		.amdhsa_exception_fp_ieee_underflow 0
		.amdhsa_exception_fp_ieee_inexact 0
		.amdhsa_exception_int_div_zero 0
	.end_amdhsa_kernel
	.section	.text._ZN7rocprim17ROCPRIM_400000_NS6detail17trampoline_kernelINS0_14default_configENS1_25transform_config_selectorINS0_10empty_typeELb1EEEZNS1_14transform_implILb1ES3_S6_PS5_S8_NS0_8identityIS5_EEEE10hipError_tT2_T3_mT4_P12ihipStream_tbEUlT_E_NS1_11comp_targetILNS1_3genE2ELNS1_11target_archE906ELNS1_3gpuE6ELNS1_3repE0EEENS1_30default_config_static_selectorELNS0_4arch9wavefront6targetE1EEEvT1_,"axG",@progbits,_ZN7rocprim17ROCPRIM_400000_NS6detail17trampoline_kernelINS0_14default_configENS1_25transform_config_selectorINS0_10empty_typeELb1EEEZNS1_14transform_implILb1ES3_S6_PS5_S8_NS0_8identityIS5_EEEE10hipError_tT2_T3_mT4_P12ihipStream_tbEUlT_E_NS1_11comp_targetILNS1_3genE2ELNS1_11target_archE906ELNS1_3gpuE6ELNS1_3repE0EEENS1_30default_config_static_selectorELNS0_4arch9wavefront6targetE1EEEvT1_,comdat
.Lfunc_end55:
	.size	_ZN7rocprim17ROCPRIM_400000_NS6detail17trampoline_kernelINS0_14default_configENS1_25transform_config_selectorINS0_10empty_typeELb1EEEZNS1_14transform_implILb1ES3_S6_PS5_S8_NS0_8identityIS5_EEEE10hipError_tT2_T3_mT4_P12ihipStream_tbEUlT_E_NS1_11comp_targetILNS1_3genE2ELNS1_11target_archE906ELNS1_3gpuE6ELNS1_3repE0EEENS1_30default_config_static_selectorELNS0_4arch9wavefront6targetE1EEEvT1_, .Lfunc_end55-_ZN7rocprim17ROCPRIM_400000_NS6detail17trampoline_kernelINS0_14default_configENS1_25transform_config_selectorINS0_10empty_typeELb1EEEZNS1_14transform_implILb1ES3_S6_PS5_S8_NS0_8identityIS5_EEEE10hipError_tT2_T3_mT4_P12ihipStream_tbEUlT_E_NS1_11comp_targetILNS1_3genE2ELNS1_11target_archE906ELNS1_3gpuE6ELNS1_3repE0EEENS1_30default_config_static_selectorELNS0_4arch9wavefront6targetE1EEEvT1_
                                        ; -- End function
	.section	.AMDGPU.csdata,"",@progbits
; Kernel info:
; codeLenInByte = 0
; NumSgprs: 4
; NumVgprs: 0
; NumAgprs: 0
; TotalNumVgprs: 0
; ScratchSize: 0
; MemoryBound: 0
; FloatMode: 240
; IeeeMode: 1
; LDSByteSize: 0 bytes/workgroup (compile time only)
; SGPRBlocks: 0
; VGPRBlocks: 0
; NumSGPRsForWavesPerEU: 4
; NumVGPRsForWavesPerEU: 1
; AccumOffset: 4
; Occupancy: 8
; WaveLimiterHint : 0
; COMPUTE_PGM_RSRC2:SCRATCH_EN: 0
; COMPUTE_PGM_RSRC2:USER_SGPR: 6
; COMPUTE_PGM_RSRC2:TRAP_HANDLER: 0
; COMPUTE_PGM_RSRC2:TGID_X_EN: 1
; COMPUTE_PGM_RSRC2:TGID_Y_EN: 0
; COMPUTE_PGM_RSRC2:TGID_Z_EN: 0
; COMPUTE_PGM_RSRC2:TIDIG_COMP_CNT: 0
; COMPUTE_PGM_RSRC3_GFX90A:ACCUM_OFFSET: 0
; COMPUTE_PGM_RSRC3_GFX90A:TG_SPLIT: 0
	.section	.text._ZN7rocprim17ROCPRIM_400000_NS6detail17trampoline_kernelINS0_14default_configENS1_25transform_config_selectorINS0_10empty_typeELb1EEEZNS1_14transform_implILb1ES3_S6_PS5_S8_NS0_8identityIS5_EEEE10hipError_tT2_T3_mT4_P12ihipStream_tbEUlT_E_NS1_11comp_targetILNS1_3genE9ELNS1_11target_archE1100ELNS1_3gpuE3ELNS1_3repE0EEENS1_30default_config_static_selectorELNS0_4arch9wavefront6targetE1EEEvT1_,"axG",@progbits,_ZN7rocprim17ROCPRIM_400000_NS6detail17trampoline_kernelINS0_14default_configENS1_25transform_config_selectorINS0_10empty_typeELb1EEEZNS1_14transform_implILb1ES3_S6_PS5_S8_NS0_8identityIS5_EEEE10hipError_tT2_T3_mT4_P12ihipStream_tbEUlT_E_NS1_11comp_targetILNS1_3genE9ELNS1_11target_archE1100ELNS1_3gpuE3ELNS1_3repE0EEENS1_30default_config_static_selectorELNS0_4arch9wavefront6targetE1EEEvT1_,comdat
	.protected	_ZN7rocprim17ROCPRIM_400000_NS6detail17trampoline_kernelINS0_14default_configENS1_25transform_config_selectorINS0_10empty_typeELb1EEEZNS1_14transform_implILb1ES3_S6_PS5_S8_NS0_8identityIS5_EEEE10hipError_tT2_T3_mT4_P12ihipStream_tbEUlT_E_NS1_11comp_targetILNS1_3genE9ELNS1_11target_archE1100ELNS1_3gpuE3ELNS1_3repE0EEENS1_30default_config_static_selectorELNS0_4arch9wavefront6targetE1EEEvT1_ ; -- Begin function _ZN7rocprim17ROCPRIM_400000_NS6detail17trampoline_kernelINS0_14default_configENS1_25transform_config_selectorINS0_10empty_typeELb1EEEZNS1_14transform_implILb1ES3_S6_PS5_S8_NS0_8identityIS5_EEEE10hipError_tT2_T3_mT4_P12ihipStream_tbEUlT_E_NS1_11comp_targetILNS1_3genE9ELNS1_11target_archE1100ELNS1_3gpuE3ELNS1_3repE0EEENS1_30default_config_static_selectorELNS0_4arch9wavefront6targetE1EEEvT1_
	.globl	_ZN7rocprim17ROCPRIM_400000_NS6detail17trampoline_kernelINS0_14default_configENS1_25transform_config_selectorINS0_10empty_typeELb1EEEZNS1_14transform_implILb1ES3_S6_PS5_S8_NS0_8identityIS5_EEEE10hipError_tT2_T3_mT4_P12ihipStream_tbEUlT_E_NS1_11comp_targetILNS1_3genE9ELNS1_11target_archE1100ELNS1_3gpuE3ELNS1_3repE0EEENS1_30default_config_static_selectorELNS0_4arch9wavefront6targetE1EEEvT1_
	.p2align	8
	.type	_ZN7rocprim17ROCPRIM_400000_NS6detail17trampoline_kernelINS0_14default_configENS1_25transform_config_selectorINS0_10empty_typeELb1EEEZNS1_14transform_implILb1ES3_S6_PS5_S8_NS0_8identityIS5_EEEE10hipError_tT2_T3_mT4_P12ihipStream_tbEUlT_E_NS1_11comp_targetILNS1_3genE9ELNS1_11target_archE1100ELNS1_3gpuE3ELNS1_3repE0EEENS1_30default_config_static_selectorELNS0_4arch9wavefront6targetE1EEEvT1_,@function
_ZN7rocprim17ROCPRIM_400000_NS6detail17trampoline_kernelINS0_14default_configENS1_25transform_config_selectorINS0_10empty_typeELb1EEEZNS1_14transform_implILb1ES3_S6_PS5_S8_NS0_8identityIS5_EEEE10hipError_tT2_T3_mT4_P12ihipStream_tbEUlT_E_NS1_11comp_targetILNS1_3genE9ELNS1_11target_archE1100ELNS1_3gpuE3ELNS1_3repE0EEENS1_30default_config_static_selectorELNS0_4arch9wavefront6targetE1EEEvT1_: ; @_ZN7rocprim17ROCPRIM_400000_NS6detail17trampoline_kernelINS0_14default_configENS1_25transform_config_selectorINS0_10empty_typeELb1EEEZNS1_14transform_implILb1ES3_S6_PS5_S8_NS0_8identityIS5_EEEE10hipError_tT2_T3_mT4_P12ihipStream_tbEUlT_E_NS1_11comp_targetILNS1_3genE9ELNS1_11target_archE1100ELNS1_3gpuE3ELNS1_3repE0EEENS1_30default_config_static_selectorELNS0_4arch9wavefront6targetE1EEEvT1_
; %bb.0:
	.section	.rodata,"a",@progbits
	.p2align	6, 0x0
	.amdhsa_kernel _ZN7rocprim17ROCPRIM_400000_NS6detail17trampoline_kernelINS0_14default_configENS1_25transform_config_selectorINS0_10empty_typeELb1EEEZNS1_14transform_implILb1ES3_S6_PS5_S8_NS0_8identityIS5_EEEE10hipError_tT2_T3_mT4_P12ihipStream_tbEUlT_E_NS1_11comp_targetILNS1_3genE9ELNS1_11target_archE1100ELNS1_3gpuE3ELNS1_3repE0EEENS1_30default_config_static_selectorELNS0_4arch9wavefront6targetE1EEEvT1_
		.amdhsa_group_segment_fixed_size 0
		.amdhsa_private_segment_fixed_size 0
		.amdhsa_kernarg_size 40
		.amdhsa_user_sgpr_count 6
		.amdhsa_user_sgpr_private_segment_buffer 1
		.amdhsa_user_sgpr_dispatch_ptr 0
		.amdhsa_user_sgpr_queue_ptr 0
		.amdhsa_user_sgpr_kernarg_segment_ptr 1
		.amdhsa_user_sgpr_dispatch_id 0
		.amdhsa_user_sgpr_flat_scratch_init 0
		.amdhsa_user_sgpr_kernarg_preload_length 0
		.amdhsa_user_sgpr_kernarg_preload_offset 0
		.amdhsa_user_sgpr_private_segment_size 0
		.amdhsa_uses_dynamic_stack 0
		.amdhsa_system_sgpr_private_segment_wavefront_offset 0
		.amdhsa_system_sgpr_workgroup_id_x 1
		.amdhsa_system_sgpr_workgroup_id_y 0
		.amdhsa_system_sgpr_workgroup_id_z 0
		.amdhsa_system_sgpr_workgroup_info 0
		.amdhsa_system_vgpr_workitem_id 0
		.amdhsa_next_free_vgpr 1
		.amdhsa_next_free_sgpr 0
		.amdhsa_accum_offset 4
		.amdhsa_reserve_vcc 0
		.amdhsa_reserve_flat_scratch 0
		.amdhsa_float_round_mode_32 0
		.amdhsa_float_round_mode_16_64 0
		.amdhsa_float_denorm_mode_32 3
		.amdhsa_float_denorm_mode_16_64 3
		.amdhsa_dx10_clamp 1
		.amdhsa_ieee_mode 1
		.amdhsa_fp16_overflow 0
		.amdhsa_tg_split 0
		.amdhsa_exception_fp_ieee_invalid_op 0
		.amdhsa_exception_fp_denorm_src 0
		.amdhsa_exception_fp_ieee_div_zero 0
		.amdhsa_exception_fp_ieee_overflow 0
		.amdhsa_exception_fp_ieee_underflow 0
		.amdhsa_exception_fp_ieee_inexact 0
		.amdhsa_exception_int_div_zero 0
	.end_amdhsa_kernel
	.section	.text._ZN7rocprim17ROCPRIM_400000_NS6detail17trampoline_kernelINS0_14default_configENS1_25transform_config_selectorINS0_10empty_typeELb1EEEZNS1_14transform_implILb1ES3_S6_PS5_S8_NS0_8identityIS5_EEEE10hipError_tT2_T3_mT4_P12ihipStream_tbEUlT_E_NS1_11comp_targetILNS1_3genE9ELNS1_11target_archE1100ELNS1_3gpuE3ELNS1_3repE0EEENS1_30default_config_static_selectorELNS0_4arch9wavefront6targetE1EEEvT1_,"axG",@progbits,_ZN7rocprim17ROCPRIM_400000_NS6detail17trampoline_kernelINS0_14default_configENS1_25transform_config_selectorINS0_10empty_typeELb1EEEZNS1_14transform_implILb1ES3_S6_PS5_S8_NS0_8identityIS5_EEEE10hipError_tT2_T3_mT4_P12ihipStream_tbEUlT_E_NS1_11comp_targetILNS1_3genE9ELNS1_11target_archE1100ELNS1_3gpuE3ELNS1_3repE0EEENS1_30default_config_static_selectorELNS0_4arch9wavefront6targetE1EEEvT1_,comdat
.Lfunc_end56:
	.size	_ZN7rocprim17ROCPRIM_400000_NS6detail17trampoline_kernelINS0_14default_configENS1_25transform_config_selectorINS0_10empty_typeELb1EEEZNS1_14transform_implILb1ES3_S6_PS5_S8_NS0_8identityIS5_EEEE10hipError_tT2_T3_mT4_P12ihipStream_tbEUlT_E_NS1_11comp_targetILNS1_3genE9ELNS1_11target_archE1100ELNS1_3gpuE3ELNS1_3repE0EEENS1_30default_config_static_selectorELNS0_4arch9wavefront6targetE1EEEvT1_, .Lfunc_end56-_ZN7rocprim17ROCPRIM_400000_NS6detail17trampoline_kernelINS0_14default_configENS1_25transform_config_selectorINS0_10empty_typeELb1EEEZNS1_14transform_implILb1ES3_S6_PS5_S8_NS0_8identityIS5_EEEE10hipError_tT2_T3_mT4_P12ihipStream_tbEUlT_E_NS1_11comp_targetILNS1_3genE9ELNS1_11target_archE1100ELNS1_3gpuE3ELNS1_3repE0EEENS1_30default_config_static_selectorELNS0_4arch9wavefront6targetE1EEEvT1_
                                        ; -- End function
	.section	.AMDGPU.csdata,"",@progbits
; Kernel info:
; codeLenInByte = 0
; NumSgprs: 4
; NumVgprs: 0
; NumAgprs: 0
; TotalNumVgprs: 0
; ScratchSize: 0
; MemoryBound: 0
; FloatMode: 240
; IeeeMode: 1
; LDSByteSize: 0 bytes/workgroup (compile time only)
; SGPRBlocks: 0
; VGPRBlocks: 0
; NumSGPRsForWavesPerEU: 4
; NumVGPRsForWavesPerEU: 1
; AccumOffset: 4
; Occupancy: 8
; WaveLimiterHint : 0
; COMPUTE_PGM_RSRC2:SCRATCH_EN: 0
; COMPUTE_PGM_RSRC2:USER_SGPR: 6
; COMPUTE_PGM_RSRC2:TRAP_HANDLER: 0
; COMPUTE_PGM_RSRC2:TGID_X_EN: 1
; COMPUTE_PGM_RSRC2:TGID_Y_EN: 0
; COMPUTE_PGM_RSRC2:TGID_Z_EN: 0
; COMPUTE_PGM_RSRC2:TIDIG_COMP_CNT: 0
; COMPUTE_PGM_RSRC3_GFX90A:ACCUM_OFFSET: 0
; COMPUTE_PGM_RSRC3_GFX90A:TG_SPLIT: 0
	.section	.text._ZN7rocprim17ROCPRIM_400000_NS6detail17trampoline_kernelINS0_14default_configENS1_25transform_config_selectorINS0_10empty_typeELb1EEEZNS1_14transform_implILb1ES3_S6_PS5_S8_NS0_8identityIS5_EEEE10hipError_tT2_T3_mT4_P12ihipStream_tbEUlT_E_NS1_11comp_targetILNS1_3genE8ELNS1_11target_archE1030ELNS1_3gpuE2ELNS1_3repE0EEENS1_30default_config_static_selectorELNS0_4arch9wavefront6targetE1EEEvT1_,"axG",@progbits,_ZN7rocprim17ROCPRIM_400000_NS6detail17trampoline_kernelINS0_14default_configENS1_25transform_config_selectorINS0_10empty_typeELb1EEEZNS1_14transform_implILb1ES3_S6_PS5_S8_NS0_8identityIS5_EEEE10hipError_tT2_T3_mT4_P12ihipStream_tbEUlT_E_NS1_11comp_targetILNS1_3genE8ELNS1_11target_archE1030ELNS1_3gpuE2ELNS1_3repE0EEENS1_30default_config_static_selectorELNS0_4arch9wavefront6targetE1EEEvT1_,comdat
	.protected	_ZN7rocprim17ROCPRIM_400000_NS6detail17trampoline_kernelINS0_14default_configENS1_25transform_config_selectorINS0_10empty_typeELb1EEEZNS1_14transform_implILb1ES3_S6_PS5_S8_NS0_8identityIS5_EEEE10hipError_tT2_T3_mT4_P12ihipStream_tbEUlT_E_NS1_11comp_targetILNS1_3genE8ELNS1_11target_archE1030ELNS1_3gpuE2ELNS1_3repE0EEENS1_30default_config_static_selectorELNS0_4arch9wavefront6targetE1EEEvT1_ ; -- Begin function _ZN7rocprim17ROCPRIM_400000_NS6detail17trampoline_kernelINS0_14default_configENS1_25transform_config_selectorINS0_10empty_typeELb1EEEZNS1_14transform_implILb1ES3_S6_PS5_S8_NS0_8identityIS5_EEEE10hipError_tT2_T3_mT4_P12ihipStream_tbEUlT_E_NS1_11comp_targetILNS1_3genE8ELNS1_11target_archE1030ELNS1_3gpuE2ELNS1_3repE0EEENS1_30default_config_static_selectorELNS0_4arch9wavefront6targetE1EEEvT1_
	.globl	_ZN7rocprim17ROCPRIM_400000_NS6detail17trampoline_kernelINS0_14default_configENS1_25transform_config_selectorINS0_10empty_typeELb1EEEZNS1_14transform_implILb1ES3_S6_PS5_S8_NS0_8identityIS5_EEEE10hipError_tT2_T3_mT4_P12ihipStream_tbEUlT_E_NS1_11comp_targetILNS1_3genE8ELNS1_11target_archE1030ELNS1_3gpuE2ELNS1_3repE0EEENS1_30default_config_static_selectorELNS0_4arch9wavefront6targetE1EEEvT1_
	.p2align	8
	.type	_ZN7rocprim17ROCPRIM_400000_NS6detail17trampoline_kernelINS0_14default_configENS1_25transform_config_selectorINS0_10empty_typeELb1EEEZNS1_14transform_implILb1ES3_S6_PS5_S8_NS0_8identityIS5_EEEE10hipError_tT2_T3_mT4_P12ihipStream_tbEUlT_E_NS1_11comp_targetILNS1_3genE8ELNS1_11target_archE1030ELNS1_3gpuE2ELNS1_3repE0EEENS1_30default_config_static_selectorELNS0_4arch9wavefront6targetE1EEEvT1_,@function
_ZN7rocprim17ROCPRIM_400000_NS6detail17trampoline_kernelINS0_14default_configENS1_25transform_config_selectorINS0_10empty_typeELb1EEEZNS1_14transform_implILb1ES3_S6_PS5_S8_NS0_8identityIS5_EEEE10hipError_tT2_T3_mT4_P12ihipStream_tbEUlT_E_NS1_11comp_targetILNS1_3genE8ELNS1_11target_archE1030ELNS1_3gpuE2ELNS1_3repE0EEENS1_30default_config_static_selectorELNS0_4arch9wavefront6targetE1EEEvT1_: ; @_ZN7rocprim17ROCPRIM_400000_NS6detail17trampoline_kernelINS0_14default_configENS1_25transform_config_selectorINS0_10empty_typeELb1EEEZNS1_14transform_implILb1ES3_S6_PS5_S8_NS0_8identityIS5_EEEE10hipError_tT2_T3_mT4_P12ihipStream_tbEUlT_E_NS1_11comp_targetILNS1_3genE8ELNS1_11target_archE1030ELNS1_3gpuE2ELNS1_3repE0EEENS1_30default_config_static_selectorELNS0_4arch9wavefront6targetE1EEEvT1_
; %bb.0:
	.section	.rodata,"a",@progbits
	.p2align	6, 0x0
	.amdhsa_kernel _ZN7rocprim17ROCPRIM_400000_NS6detail17trampoline_kernelINS0_14default_configENS1_25transform_config_selectorINS0_10empty_typeELb1EEEZNS1_14transform_implILb1ES3_S6_PS5_S8_NS0_8identityIS5_EEEE10hipError_tT2_T3_mT4_P12ihipStream_tbEUlT_E_NS1_11comp_targetILNS1_3genE8ELNS1_11target_archE1030ELNS1_3gpuE2ELNS1_3repE0EEENS1_30default_config_static_selectorELNS0_4arch9wavefront6targetE1EEEvT1_
		.amdhsa_group_segment_fixed_size 0
		.amdhsa_private_segment_fixed_size 0
		.amdhsa_kernarg_size 40
		.amdhsa_user_sgpr_count 6
		.amdhsa_user_sgpr_private_segment_buffer 1
		.amdhsa_user_sgpr_dispatch_ptr 0
		.amdhsa_user_sgpr_queue_ptr 0
		.amdhsa_user_sgpr_kernarg_segment_ptr 1
		.amdhsa_user_sgpr_dispatch_id 0
		.amdhsa_user_sgpr_flat_scratch_init 0
		.amdhsa_user_sgpr_kernarg_preload_length 0
		.amdhsa_user_sgpr_kernarg_preload_offset 0
		.amdhsa_user_sgpr_private_segment_size 0
		.amdhsa_uses_dynamic_stack 0
		.amdhsa_system_sgpr_private_segment_wavefront_offset 0
		.amdhsa_system_sgpr_workgroup_id_x 1
		.amdhsa_system_sgpr_workgroup_id_y 0
		.amdhsa_system_sgpr_workgroup_id_z 0
		.amdhsa_system_sgpr_workgroup_info 0
		.amdhsa_system_vgpr_workitem_id 0
		.amdhsa_next_free_vgpr 1
		.amdhsa_next_free_sgpr 0
		.amdhsa_accum_offset 4
		.amdhsa_reserve_vcc 0
		.amdhsa_reserve_flat_scratch 0
		.amdhsa_float_round_mode_32 0
		.amdhsa_float_round_mode_16_64 0
		.amdhsa_float_denorm_mode_32 3
		.amdhsa_float_denorm_mode_16_64 3
		.amdhsa_dx10_clamp 1
		.amdhsa_ieee_mode 1
		.amdhsa_fp16_overflow 0
		.amdhsa_tg_split 0
		.amdhsa_exception_fp_ieee_invalid_op 0
		.amdhsa_exception_fp_denorm_src 0
		.amdhsa_exception_fp_ieee_div_zero 0
		.amdhsa_exception_fp_ieee_overflow 0
		.amdhsa_exception_fp_ieee_underflow 0
		.amdhsa_exception_fp_ieee_inexact 0
		.amdhsa_exception_int_div_zero 0
	.end_amdhsa_kernel
	.section	.text._ZN7rocprim17ROCPRIM_400000_NS6detail17trampoline_kernelINS0_14default_configENS1_25transform_config_selectorINS0_10empty_typeELb1EEEZNS1_14transform_implILb1ES3_S6_PS5_S8_NS0_8identityIS5_EEEE10hipError_tT2_T3_mT4_P12ihipStream_tbEUlT_E_NS1_11comp_targetILNS1_3genE8ELNS1_11target_archE1030ELNS1_3gpuE2ELNS1_3repE0EEENS1_30default_config_static_selectorELNS0_4arch9wavefront6targetE1EEEvT1_,"axG",@progbits,_ZN7rocprim17ROCPRIM_400000_NS6detail17trampoline_kernelINS0_14default_configENS1_25transform_config_selectorINS0_10empty_typeELb1EEEZNS1_14transform_implILb1ES3_S6_PS5_S8_NS0_8identityIS5_EEEE10hipError_tT2_T3_mT4_P12ihipStream_tbEUlT_E_NS1_11comp_targetILNS1_3genE8ELNS1_11target_archE1030ELNS1_3gpuE2ELNS1_3repE0EEENS1_30default_config_static_selectorELNS0_4arch9wavefront6targetE1EEEvT1_,comdat
.Lfunc_end57:
	.size	_ZN7rocprim17ROCPRIM_400000_NS6detail17trampoline_kernelINS0_14default_configENS1_25transform_config_selectorINS0_10empty_typeELb1EEEZNS1_14transform_implILb1ES3_S6_PS5_S8_NS0_8identityIS5_EEEE10hipError_tT2_T3_mT4_P12ihipStream_tbEUlT_E_NS1_11comp_targetILNS1_3genE8ELNS1_11target_archE1030ELNS1_3gpuE2ELNS1_3repE0EEENS1_30default_config_static_selectorELNS0_4arch9wavefront6targetE1EEEvT1_, .Lfunc_end57-_ZN7rocprim17ROCPRIM_400000_NS6detail17trampoline_kernelINS0_14default_configENS1_25transform_config_selectorINS0_10empty_typeELb1EEEZNS1_14transform_implILb1ES3_S6_PS5_S8_NS0_8identityIS5_EEEE10hipError_tT2_T3_mT4_P12ihipStream_tbEUlT_E_NS1_11comp_targetILNS1_3genE8ELNS1_11target_archE1030ELNS1_3gpuE2ELNS1_3repE0EEENS1_30default_config_static_selectorELNS0_4arch9wavefront6targetE1EEEvT1_
                                        ; -- End function
	.section	.AMDGPU.csdata,"",@progbits
; Kernel info:
; codeLenInByte = 0
; NumSgprs: 4
; NumVgprs: 0
; NumAgprs: 0
; TotalNumVgprs: 0
; ScratchSize: 0
; MemoryBound: 0
; FloatMode: 240
; IeeeMode: 1
; LDSByteSize: 0 bytes/workgroup (compile time only)
; SGPRBlocks: 0
; VGPRBlocks: 0
; NumSGPRsForWavesPerEU: 4
; NumVGPRsForWavesPerEU: 1
; AccumOffset: 4
; Occupancy: 8
; WaveLimiterHint : 0
; COMPUTE_PGM_RSRC2:SCRATCH_EN: 0
; COMPUTE_PGM_RSRC2:USER_SGPR: 6
; COMPUTE_PGM_RSRC2:TRAP_HANDLER: 0
; COMPUTE_PGM_RSRC2:TGID_X_EN: 1
; COMPUTE_PGM_RSRC2:TGID_Y_EN: 0
; COMPUTE_PGM_RSRC2:TGID_Z_EN: 0
; COMPUTE_PGM_RSRC2:TIDIG_COMP_CNT: 0
; COMPUTE_PGM_RSRC3_GFX90A:ACCUM_OFFSET: 0
; COMPUTE_PGM_RSRC3_GFX90A:TG_SPLIT: 0
	.section	.text._ZN7rocprim17ROCPRIM_400000_NS6detail17trampoline_kernelINS0_14default_configENS1_35adjacent_difference_config_selectorILb0ElEEZNS1_24adjacent_difference_implIS3_Lb0ELb0EPlS7_ZN2at6native12_GLOBAL__N_124unique_dim_cuda_templateIhEESt5tupleIJNS8_6TensorESD_SD_EERKSD_lbbbEUlllE1_EE10hipError_tPvRmT2_T3_mT4_P12ihipStream_tbEUlT_E_NS1_11comp_targetILNS1_3genE0ELNS1_11target_archE4294967295ELNS1_3gpuE0ELNS1_3repE0EEENS1_30default_config_static_selectorELNS0_4arch9wavefront6targetE1EEEvT1_,"axG",@progbits,_ZN7rocprim17ROCPRIM_400000_NS6detail17trampoline_kernelINS0_14default_configENS1_35adjacent_difference_config_selectorILb0ElEEZNS1_24adjacent_difference_implIS3_Lb0ELb0EPlS7_ZN2at6native12_GLOBAL__N_124unique_dim_cuda_templateIhEESt5tupleIJNS8_6TensorESD_SD_EERKSD_lbbbEUlllE1_EE10hipError_tPvRmT2_T3_mT4_P12ihipStream_tbEUlT_E_NS1_11comp_targetILNS1_3genE0ELNS1_11target_archE4294967295ELNS1_3gpuE0ELNS1_3repE0EEENS1_30default_config_static_selectorELNS0_4arch9wavefront6targetE1EEEvT1_,comdat
	.globl	_ZN7rocprim17ROCPRIM_400000_NS6detail17trampoline_kernelINS0_14default_configENS1_35adjacent_difference_config_selectorILb0ElEEZNS1_24adjacent_difference_implIS3_Lb0ELb0EPlS7_ZN2at6native12_GLOBAL__N_124unique_dim_cuda_templateIhEESt5tupleIJNS8_6TensorESD_SD_EERKSD_lbbbEUlllE1_EE10hipError_tPvRmT2_T3_mT4_P12ihipStream_tbEUlT_E_NS1_11comp_targetILNS1_3genE0ELNS1_11target_archE4294967295ELNS1_3gpuE0ELNS1_3repE0EEENS1_30default_config_static_selectorELNS0_4arch9wavefront6targetE1EEEvT1_ ; -- Begin function _ZN7rocprim17ROCPRIM_400000_NS6detail17trampoline_kernelINS0_14default_configENS1_35adjacent_difference_config_selectorILb0ElEEZNS1_24adjacent_difference_implIS3_Lb0ELb0EPlS7_ZN2at6native12_GLOBAL__N_124unique_dim_cuda_templateIhEESt5tupleIJNS8_6TensorESD_SD_EERKSD_lbbbEUlllE1_EE10hipError_tPvRmT2_T3_mT4_P12ihipStream_tbEUlT_E_NS1_11comp_targetILNS1_3genE0ELNS1_11target_archE4294967295ELNS1_3gpuE0ELNS1_3repE0EEENS1_30default_config_static_selectorELNS0_4arch9wavefront6targetE1EEEvT1_
	.p2align	8
	.type	_ZN7rocprim17ROCPRIM_400000_NS6detail17trampoline_kernelINS0_14default_configENS1_35adjacent_difference_config_selectorILb0ElEEZNS1_24adjacent_difference_implIS3_Lb0ELb0EPlS7_ZN2at6native12_GLOBAL__N_124unique_dim_cuda_templateIhEESt5tupleIJNS8_6TensorESD_SD_EERKSD_lbbbEUlllE1_EE10hipError_tPvRmT2_T3_mT4_P12ihipStream_tbEUlT_E_NS1_11comp_targetILNS1_3genE0ELNS1_11target_archE4294967295ELNS1_3gpuE0ELNS1_3repE0EEENS1_30default_config_static_selectorELNS0_4arch9wavefront6targetE1EEEvT1_,@function
_ZN7rocprim17ROCPRIM_400000_NS6detail17trampoline_kernelINS0_14default_configENS1_35adjacent_difference_config_selectorILb0ElEEZNS1_24adjacent_difference_implIS3_Lb0ELb0EPlS7_ZN2at6native12_GLOBAL__N_124unique_dim_cuda_templateIhEESt5tupleIJNS8_6TensorESD_SD_EERKSD_lbbbEUlllE1_EE10hipError_tPvRmT2_T3_mT4_P12ihipStream_tbEUlT_E_NS1_11comp_targetILNS1_3genE0ELNS1_11target_archE4294967295ELNS1_3gpuE0ELNS1_3repE0EEENS1_30default_config_static_selectorELNS0_4arch9wavefront6targetE1EEEvT1_: ; @_ZN7rocprim17ROCPRIM_400000_NS6detail17trampoline_kernelINS0_14default_configENS1_35adjacent_difference_config_selectorILb0ElEEZNS1_24adjacent_difference_implIS3_Lb0ELb0EPlS7_ZN2at6native12_GLOBAL__N_124unique_dim_cuda_templateIhEESt5tupleIJNS8_6TensorESD_SD_EERKSD_lbbbEUlllE1_EE10hipError_tPvRmT2_T3_mT4_P12ihipStream_tbEUlT_E_NS1_11comp_targetILNS1_3genE0ELNS1_11target_archE4294967295ELNS1_3gpuE0ELNS1_3repE0EEENS1_30default_config_static_selectorELNS0_4arch9wavefront6targetE1EEEvT1_
; %bb.0:
	.section	.rodata,"a",@progbits
	.p2align	6, 0x0
	.amdhsa_kernel _ZN7rocprim17ROCPRIM_400000_NS6detail17trampoline_kernelINS0_14default_configENS1_35adjacent_difference_config_selectorILb0ElEEZNS1_24adjacent_difference_implIS3_Lb0ELb0EPlS7_ZN2at6native12_GLOBAL__N_124unique_dim_cuda_templateIhEESt5tupleIJNS8_6TensorESD_SD_EERKSD_lbbbEUlllE1_EE10hipError_tPvRmT2_T3_mT4_P12ihipStream_tbEUlT_E_NS1_11comp_targetILNS1_3genE0ELNS1_11target_archE4294967295ELNS1_3gpuE0ELNS1_3repE0EEENS1_30default_config_static_selectorELNS0_4arch9wavefront6targetE1EEEvT1_
		.amdhsa_group_segment_fixed_size 0
		.amdhsa_private_segment_fixed_size 0
		.amdhsa_kernarg_size 64
		.amdhsa_user_sgpr_count 6
		.amdhsa_user_sgpr_private_segment_buffer 1
		.amdhsa_user_sgpr_dispatch_ptr 0
		.amdhsa_user_sgpr_queue_ptr 0
		.amdhsa_user_sgpr_kernarg_segment_ptr 1
		.amdhsa_user_sgpr_dispatch_id 0
		.amdhsa_user_sgpr_flat_scratch_init 0
		.amdhsa_user_sgpr_kernarg_preload_length 0
		.amdhsa_user_sgpr_kernarg_preload_offset 0
		.amdhsa_user_sgpr_private_segment_size 0
		.amdhsa_uses_dynamic_stack 0
		.amdhsa_system_sgpr_private_segment_wavefront_offset 0
		.amdhsa_system_sgpr_workgroup_id_x 1
		.amdhsa_system_sgpr_workgroup_id_y 0
		.amdhsa_system_sgpr_workgroup_id_z 0
		.amdhsa_system_sgpr_workgroup_info 0
		.amdhsa_system_vgpr_workitem_id 0
		.amdhsa_next_free_vgpr 1
		.amdhsa_next_free_sgpr 0
		.amdhsa_accum_offset 4
		.amdhsa_reserve_vcc 0
		.amdhsa_reserve_flat_scratch 0
		.amdhsa_float_round_mode_32 0
		.amdhsa_float_round_mode_16_64 0
		.amdhsa_float_denorm_mode_32 3
		.amdhsa_float_denorm_mode_16_64 3
		.amdhsa_dx10_clamp 1
		.amdhsa_ieee_mode 1
		.amdhsa_fp16_overflow 0
		.amdhsa_tg_split 0
		.amdhsa_exception_fp_ieee_invalid_op 0
		.amdhsa_exception_fp_denorm_src 0
		.amdhsa_exception_fp_ieee_div_zero 0
		.amdhsa_exception_fp_ieee_overflow 0
		.amdhsa_exception_fp_ieee_underflow 0
		.amdhsa_exception_fp_ieee_inexact 0
		.amdhsa_exception_int_div_zero 0
	.end_amdhsa_kernel
	.section	.text._ZN7rocprim17ROCPRIM_400000_NS6detail17trampoline_kernelINS0_14default_configENS1_35adjacent_difference_config_selectorILb0ElEEZNS1_24adjacent_difference_implIS3_Lb0ELb0EPlS7_ZN2at6native12_GLOBAL__N_124unique_dim_cuda_templateIhEESt5tupleIJNS8_6TensorESD_SD_EERKSD_lbbbEUlllE1_EE10hipError_tPvRmT2_T3_mT4_P12ihipStream_tbEUlT_E_NS1_11comp_targetILNS1_3genE0ELNS1_11target_archE4294967295ELNS1_3gpuE0ELNS1_3repE0EEENS1_30default_config_static_selectorELNS0_4arch9wavefront6targetE1EEEvT1_,"axG",@progbits,_ZN7rocprim17ROCPRIM_400000_NS6detail17trampoline_kernelINS0_14default_configENS1_35adjacent_difference_config_selectorILb0ElEEZNS1_24adjacent_difference_implIS3_Lb0ELb0EPlS7_ZN2at6native12_GLOBAL__N_124unique_dim_cuda_templateIhEESt5tupleIJNS8_6TensorESD_SD_EERKSD_lbbbEUlllE1_EE10hipError_tPvRmT2_T3_mT4_P12ihipStream_tbEUlT_E_NS1_11comp_targetILNS1_3genE0ELNS1_11target_archE4294967295ELNS1_3gpuE0ELNS1_3repE0EEENS1_30default_config_static_selectorELNS0_4arch9wavefront6targetE1EEEvT1_,comdat
.Lfunc_end58:
	.size	_ZN7rocprim17ROCPRIM_400000_NS6detail17trampoline_kernelINS0_14default_configENS1_35adjacent_difference_config_selectorILb0ElEEZNS1_24adjacent_difference_implIS3_Lb0ELb0EPlS7_ZN2at6native12_GLOBAL__N_124unique_dim_cuda_templateIhEESt5tupleIJNS8_6TensorESD_SD_EERKSD_lbbbEUlllE1_EE10hipError_tPvRmT2_T3_mT4_P12ihipStream_tbEUlT_E_NS1_11comp_targetILNS1_3genE0ELNS1_11target_archE4294967295ELNS1_3gpuE0ELNS1_3repE0EEENS1_30default_config_static_selectorELNS0_4arch9wavefront6targetE1EEEvT1_, .Lfunc_end58-_ZN7rocprim17ROCPRIM_400000_NS6detail17trampoline_kernelINS0_14default_configENS1_35adjacent_difference_config_selectorILb0ElEEZNS1_24adjacent_difference_implIS3_Lb0ELb0EPlS7_ZN2at6native12_GLOBAL__N_124unique_dim_cuda_templateIhEESt5tupleIJNS8_6TensorESD_SD_EERKSD_lbbbEUlllE1_EE10hipError_tPvRmT2_T3_mT4_P12ihipStream_tbEUlT_E_NS1_11comp_targetILNS1_3genE0ELNS1_11target_archE4294967295ELNS1_3gpuE0ELNS1_3repE0EEENS1_30default_config_static_selectorELNS0_4arch9wavefront6targetE1EEEvT1_
                                        ; -- End function
	.section	.AMDGPU.csdata,"",@progbits
; Kernel info:
; codeLenInByte = 0
; NumSgprs: 4
; NumVgprs: 0
; NumAgprs: 0
; TotalNumVgprs: 0
; ScratchSize: 0
; MemoryBound: 0
; FloatMode: 240
; IeeeMode: 1
; LDSByteSize: 0 bytes/workgroup (compile time only)
; SGPRBlocks: 0
; VGPRBlocks: 0
; NumSGPRsForWavesPerEU: 4
; NumVGPRsForWavesPerEU: 1
; AccumOffset: 4
; Occupancy: 8
; WaveLimiterHint : 0
; COMPUTE_PGM_RSRC2:SCRATCH_EN: 0
; COMPUTE_PGM_RSRC2:USER_SGPR: 6
; COMPUTE_PGM_RSRC2:TRAP_HANDLER: 0
; COMPUTE_PGM_RSRC2:TGID_X_EN: 1
; COMPUTE_PGM_RSRC2:TGID_Y_EN: 0
; COMPUTE_PGM_RSRC2:TGID_Z_EN: 0
; COMPUTE_PGM_RSRC2:TIDIG_COMP_CNT: 0
; COMPUTE_PGM_RSRC3_GFX90A:ACCUM_OFFSET: 0
; COMPUTE_PGM_RSRC3_GFX90A:TG_SPLIT: 0
	.section	.text._ZN7rocprim17ROCPRIM_400000_NS6detail17trampoline_kernelINS0_14default_configENS1_35adjacent_difference_config_selectorILb0ElEEZNS1_24adjacent_difference_implIS3_Lb0ELb0EPlS7_ZN2at6native12_GLOBAL__N_124unique_dim_cuda_templateIhEESt5tupleIJNS8_6TensorESD_SD_EERKSD_lbbbEUlllE1_EE10hipError_tPvRmT2_T3_mT4_P12ihipStream_tbEUlT_E_NS1_11comp_targetILNS1_3genE10ELNS1_11target_archE1201ELNS1_3gpuE5ELNS1_3repE0EEENS1_30default_config_static_selectorELNS0_4arch9wavefront6targetE1EEEvT1_,"axG",@progbits,_ZN7rocprim17ROCPRIM_400000_NS6detail17trampoline_kernelINS0_14default_configENS1_35adjacent_difference_config_selectorILb0ElEEZNS1_24adjacent_difference_implIS3_Lb0ELb0EPlS7_ZN2at6native12_GLOBAL__N_124unique_dim_cuda_templateIhEESt5tupleIJNS8_6TensorESD_SD_EERKSD_lbbbEUlllE1_EE10hipError_tPvRmT2_T3_mT4_P12ihipStream_tbEUlT_E_NS1_11comp_targetILNS1_3genE10ELNS1_11target_archE1201ELNS1_3gpuE5ELNS1_3repE0EEENS1_30default_config_static_selectorELNS0_4arch9wavefront6targetE1EEEvT1_,comdat
	.globl	_ZN7rocprim17ROCPRIM_400000_NS6detail17trampoline_kernelINS0_14default_configENS1_35adjacent_difference_config_selectorILb0ElEEZNS1_24adjacent_difference_implIS3_Lb0ELb0EPlS7_ZN2at6native12_GLOBAL__N_124unique_dim_cuda_templateIhEESt5tupleIJNS8_6TensorESD_SD_EERKSD_lbbbEUlllE1_EE10hipError_tPvRmT2_T3_mT4_P12ihipStream_tbEUlT_E_NS1_11comp_targetILNS1_3genE10ELNS1_11target_archE1201ELNS1_3gpuE5ELNS1_3repE0EEENS1_30default_config_static_selectorELNS0_4arch9wavefront6targetE1EEEvT1_ ; -- Begin function _ZN7rocprim17ROCPRIM_400000_NS6detail17trampoline_kernelINS0_14default_configENS1_35adjacent_difference_config_selectorILb0ElEEZNS1_24adjacent_difference_implIS3_Lb0ELb0EPlS7_ZN2at6native12_GLOBAL__N_124unique_dim_cuda_templateIhEESt5tupleIJNS8_6TensorESD_SD_EERKSD_lbbbEUlllE1_EE10hipError_tPvRmT2_T3_mT4_P12ihipStream_tbEUlT_E_NS1_11comp_targetILNS1_3genE10ELNS1_11target_archE1201ELNS1_3gpuE5ELNS1_3repE0EEENS1_30default_config_static_selectorELNS0_4arch9wavefront6targetE1EEEvT1_
	.p2align	8
	.type	_ZN7rocprim17ROCPRIM_400000_NS6detail17trampoline_kernelINS0_14default_configENS1_35adjacent_difference_config_selectorILb0ElEEZNS1_24adjacent_difference_implIS3_Lb0ELb0EPlS7_ZN2at6native12_GLOBAL__N_124unique_dim_cuda_templateIhEESt5tupleIJNS8_6TensorESD_SD_EERKSD_lbbbEUlllE1_EE10hipError_tPvRmT2_T3_mT4_P12ihipStream_tbEUlT_E_NS1_11comp_targetILNS1_3genE10ELNS1_11target_archE1201ELNS1_3gpuE5ELNS1_3repE0EEENS1_30default_config_static_selectorELNS0_4arch9wavefront6targetE1EEEvT1_,@function
_ZN7rocprim17ROCPRIM_400000_NS6detail17trampoline_kernelINS0_14default_configENS1_35adjacent_difference_config_selectorILb0ElEEZNS1_24adjacent_difference_implIS3_Lb0ELb0EPlS7_ZN2at6native12_GLOBAL__N_124unique_dim_cuda_templateIhEESt5tupleIJNS8_6TensorESD_SD_EERKSD_lbbbEUlllE1_EE10hipError_tPvRmT2_T3_mT4_P12ihipStream_tbEUlT_E_NS1_11comp_targetILNS1_3genE10ELNS1_11target_archE1201ELNS1_3gpuE5ELNS1_3repE0EEENS1_30default_config_static_selectorELNS0_4arch9wavefront6targetE1EEEvT1_: ; @_ZN7rocprim17ROCPRIM_400000_NS6detail17trampoline_kernelINS0_14default_configENS1_35adjacent_difference_config_selectorILb0ElEEZNS1_24adjacent_difference_implIS3_Lb0ELb0EPlS7_ZN2at6native12_GLOBAL__N_124unique_dim_cuda_templateIhEESt5tupleIJNS8_6TensorESD_SD_EERKSD_lbbbEUlllE1_EE10hipError_tPvRmT2_T3_mT4_P12ihipStream_tbEUlT_E_NS1_11comp_targetILNS1_3genE10ELNS1_11target_archE1201ELNS1_3gpuE5ELNS1_3repE0EEENS1_30default_config_static_selectorELNS0_4arch9wavefront6targetE1EEEvT1_
; %bb.0:
	.section	.rodata,"a",@progbits
	.p2align	6, 0x0
	.amdhsa_kernel _ZN7rocprim17ROCPRIM_400000_NS6detail17trampoline_kernelINS0_14default_configENS1_35adjacent_difference_config_selectorILb0ElEEZNS1_24adjacent_difference_implIS3_Lb0ELb0EPlS7_ZN2at6native12_GLOBAL__N_124unique_dim_cuda_templateIhEESt5tupleIJNS8_6TensorESD_SD_EERKSD_lbbbEUlllE1_EE10hipError_tPvRmT2_T3_mT4_P12ihipStream_tbEUlT_E_NS1_11comp_targetILNS1_3genE10ELNS1_11target_archE1201ELNS1_3gpuE5ELNS1_3repE0EEENS1_30default_config_static_selectorELNS0_4arch9wavefront6targetE1EEEvT1_
		.amdhsa_group_segment_fixed_size 0
		.amdhsa_private_segment_fixed_size 0
		.amdhsa_kernarg_size 64
		.amdhsa_user_sgpr_count 6
		.amdhsa_user_sgpr_private_segment_buffer 1
		.amdhsa_user_sgpr_dispatch_ptr 0
		.amdhsa_user_sgpr_queue_ptr 0
		.amdhsa_user_sgpr_kernarg_segment_ptr 1
		.amdhsa_user_sgpr_dispatch_id 0
		.amdhsa_user_sgpr_flat_scratch_init 0
		.amdhsa_user_sgpr_kernarg_preload_length 0
		.amdhsa_user_sgpr_kernarg_preload_offset 0
		.amdhsa_user_sgpr_private_segment_size 0
		.amdhsa_uses_dynamic_stack 0
		.amdhsa_system_sgpr_private_segment_wavefront_offset 0
		.amdhsa_system_sgpr_workgroup_id_x 1
		.amdhsa_system_sgpr_workgroup_id_y 0
		.amdhsa_system_sgpr_workgroup_id_z 0
		.amdhsa_system_sgpr_workgroup_info 0
		.amdhsa_system_vgpr_workitem_id 0
		.amdhsa_next_free_vgpr 1
		.amdhsa_next_free_sgpr 0
		.amdhsa_accum_offset 4
		.amdhsa_reserve_vcc 0
		.amdhsa_reserve_flat_scratch 0
		.amdhsa_float_round_mode_32 0
		.amdhsa_float_round_mode_16_64 0
		.amdhsa_float_denorm_mode_32 3
		.amdhsa_float_denorm_mode_16_64 3
		.amdhsa_dx10_clamp 1
		.amdhsa_ieee_mode 1
		.amdhsa_fp16_overflow 0
		.amdhsa_tg_split 0
		.amdhsa_exception_fp_ieee_invalid_op 0
		.amdhsa_exception_fp_denorm_src 0
		.amdhsa_exception_fp_ieee_div_zero 0
		.amdhsa_exception_fp_ieee_overflow 0
		.amdhsa_exception_fp_ieee_underflow 0
		.amdhsa_exception_fp_ieee_inexact 0
		.amdhsa_exception_int_div_zero 0
	.end_amdhsa_kernel
	.section	.text._ZN7rocprim17ROCPRIM_400000_NS6detail17trampoline_kernelINS0_14default_configENS1_35adjacent_difference_config_selectorILb0ElEEZNS1_24adjacent_difference_implIS3_Lb0ELb0EPlS7_ZN2at6native12_GLOBAL__N_124unique_dim_cuda_templateIhEESt5tupleIJNS8_6TensorESD_SD_EERKSD_lbbbEUlllE1_EE10hipError_tPvRmT2_T3_mT4_P12ihipStream_tbEUlT_E_NS1_11comp_targetILNS1_3genE10ELNS1_11target_archE1201ELNS1_3gpuE5ELNS1_3repE0EEENS1_30default_config_static_selectorELNS0_4arch9wavefront6targetE1EEEvT1_,"axG",@progbits,_ZN7rocprim17ROCPRIM_400000_NS6detail17trampoline_kernelINS0_14default_configENS1_35adjacent_difference_config_selectorILb0ElEEZNS1_24adjacent_difference_implIS3_Lb0ELb0EPlS7_ZN2at6native12_GLOBAL__N_124unique_dim_cuda_templateIhEESt5tupleIJNS8_6TensorESD_SD_EERKSD_lbbbEUlllE1_EE10hipError_tPvRmT2_T3_mT4_P12ihipStream_tbEUlT_E_NS1_11comp_targetILNS1_3genE10ELNS1_11target_archE1201ELNS1_3gpuE5ELNS1_3repE0EEENS1_30default_config_static_selectorELNS0_4arch9wavefront6targetE1EEEvT1_,comdat
.Lfunc_end59:
	.size	_ZN7rocprim17ROCPRIM_400000_NS6detail17trampoline_kernelINS0_14default_configENS1_35adjacent_difference_config_selectorILb0ElEEZNS1_24adjacent_difference_implIS3_Lb0ELb0EPlS7_ZN2at6native12_GLOBAL__N_124unique_dim_cuda_templateIhEESt5tupleIJNS8_6TensorESD_SD_EERKSD_lbbbEUlllE1_EE10hipError_tPvRmT2_T3_mT4_P12ihipStream_tbEUlT_E_NS1_11comp_targetILNS1_3genE10ELNS1_11target_archE1201ELNS1_3gpuE5ELNS1_3repE0EEENS1_30default_config_static_selectorELNS0_4arch9wavefront6targetE1EEEvT1_, .Lfunc_end59-_ZN7rocprim17ROCPRIM_400000_NS6detail17trampoline_kernelINS0_14default_configENS1_35adjacent_difference_config_selectorILb0ElEEZNS1_24adjacent_difference_implIS3_Lb0ELb0EPlS7_ZN2at6native12_GLOBAL__N_124unique_dim_cuda_templateIhEESt5tupleIJNS8_6TensorESD_SD_EERKSD_lbbbEUlllE1_EE10hipError_tPvRmT2_T3_mT4_P12ihipStream_tbEUlT_E_NS1_11comp_targetILNS1_3genE10ELNS1_11target_archE1201ELNS1_3gpuE5ELNS1_3repE0EEENS1_30default_config_static_selectorELNS0_4arch9wavefront6targetE1EEEvT1_
                                        ; -- End function
	.section	.AMDGPU.csdata,"",@progbits
; Kernel info:
; codeLenInByte = 0
; NumSgprs: 4
; NumVgprs: 0
; NumAgprs: 0
; TotalNumVgprs: 0
; ScratchSize: 0
; MemoryBound: 0
; FloatMode: 240
; IeeeMode: 1
; LDSByteSize: 0 bytes/workgroup (compile time only)
; SGPRBlocks: 0
; VGPRBlocks: 0
; NumSGPRsForWavesPerEU: 4
; NumVGPRsForWavesPerEU: 1
; AccumOffset: 4
; Occupancy: 8
; WaveLimiterHint : 0
; COMPUTE_PGM_RSRC2:SCRATCH_EN: 0
; COMPUTE_PGM_RSRC2:USER_SGPR: 6
; COMPUTE_PGM_RSRC2:TRAP_HANDLER: 0
; COMPUTE_PGM_RSRC2:TGID_X_EN: 1
; COMPUTE_PGM_RSRC2:TGID_Y_EN: 0
; COMPUTE_PGM_RSRC2:TGID_Z_EN: 0
; COMPUTE_PGM_RSRC2:TIDIG_COMP_CNT: 0
; COMPUTE_PGM_RSRC3_GFX90A:ACCUM_OFFSET: 0
; COMPUTE_PGM_RSRC3_GFX90A:TG_SPLIT: 0
	.section	.text._ZN7rocprim17ROCPRIM_400000_NS6detail17trampoline_kernelINS0_14default_configENS1_35adjacent_difference_config_selectorILb0ElEEZNS1_24adjacent_difference_implIS3_Lb0ELb0EPlS7_ZN2at6native12_GLOBAL__N_124unique_dim_cuda_templateIhEESt5tupleIJNS8_6TensorESD_SD_EERKSD_lbbbEUlllE1_EE10hipError_tPvRmT2_T3_mT4_P12ihipStream_tbEUlT_E_NS1_11comp_targetILNS1_3genE5ELNS1_11target_archE942ELNS1_3gpuE9ELNS1_3repE0EEENS1_30default_config_static_selectorELNS0_4arch9wavefront6targetE1EEEvT1_,"axG",@progbits,_ZN7rocprim17ROCPRIM_400000_NS6detail17trampoline_kernelINS0_14default_configENS1_35adjacent_difference_config_selectorILb0ElEEZNS1_24adjacent_difference_implIS3_Lb0ELb0EPlS7_ZN2at6native12_GLOBAL__N_124unique_dim_cuda_templateIhEESt5tupleIJNS8_6TensorESD_SD_EERKSD_lbbbEUlllE1_EE10hipError_tPvRmT2_T3_mT4_P12ihipStream_tbEUlT_E_NS1_11comp_targetILNS1_3genE5ELNS1_11target_archE942ELNS1_3gpuE9ELNS1_3repE0EEENS1_30default_config_static_selectorELNS0_4arch9wavefront6targetE1EEEvT1_,comdat
	.globl	_ZN7rocprim17ROCPRIM_400000_NS6detail17trampoline_kernelINS0_14default_configENS1_35adjacent_difference_config_selectorILb0ElEEZNS1_24adjacent_difference_implIS3_Lb0ELb0EPlS7_ZN2at6native12_GLOBAL__N_124unique_dim_cuda_templateIhEESt5tupleIJNS8_6TensorESD_SD_EERKSD_lbbbEUlllE1_EE10hipError_tPvRmT2_T3_mT4_P12ihipStream_tbEUlT_E_NS1_11comp_targetILNS1_3genE5ELNS1_11target_archE942ELNS1_3gpuE9ELNS1_3repE0EEENS1_30default_config_static_selectorELNS0_4arch9wavefront6targetE1EEEvT1_ ; -- Begin function _ZN7rocprim17ROCPRIM_400000_NS6detail17trampoline_kernelINS0_14default_configENS1_35adjacent_difference_config_selectorILb0ElEEZNS1_24adjacent_difference_implIS3_Lb0ELb0EPlS7_ZN2at6native12_GLOBAL__N_124unique_dim_cuda_templateIhEESt5tupleIJNS8_6TensorESD_SD_EERKSD_lbbbEUlllE1_EE10hipError_tPvRmT2_T3_mT4_P12ihipStream_tbEUlT_E_NS1_11comp_targetILNS1_3genE5ELNS1_11target_archE942ELNS1_3gpuE9ELNS1_3repE0EEENS1_30default_config_static_selectorELNS0_4arch9wavefront6targetE1EEEvT1_
	.p2align	8
	.type	_ZN7rocprim17ROCPRIM_400000_NS6detail17trampoline_kernelINS0_14default_configENS1_35adjacent_difference_config_selectorILb0ElEEZNS1_24adjacent_difference_implIS3_Lb0ELb0EPlS7_ZN2at6native12_GLOBAL__N_124unique_dim_cuda_templateIhEESt5tupleIJNS8_6TensorESD_SD_EERKSD_lbbbEUlllE1_EE10hipError_tPvRmT2_T3_mT4_P12ihipStream_tbEUlT_E_NS1_11comp_targetILNS1_3genE5ELNS1_11target_archE942ELNS1_3gpuE9ELNS1_3repE0EEENS1_30default_config_static_selectorELNS0_4arch9wavefront6targetE1EEEvT1_,@function
_ZN7rocprim17ROCPRIM_400000_NS6detail17trampoline_kernelINS0_14default_configENS1_35adjacent_difference_config_selectorILb0ElEEZNS1_24adjacent_difference_implIS3_Lb0ELb0EPlS7_ZN2at6native12_GLOBAL__N_124unique_dim_cuda_templateIhEESt5tupleIJNS8_6TensorESD_SD_EERKSD_lbbbEUlllE1_EE10hipError_tPvRmT2_T3_mT4_P12ihipStream_tbEUlT_E_NS1_11comp_targetILNS1_3genE5ELNS1_11target_archE942ELNS1_3gpuE9ELNS1_3repE0EEENS1_30default_config_static_selectorELNS0_4arch9wavefront6targetE1EEEvT1_: ; @_ZN7rocprim17ROCPRIM_400000_NS6detail17trampoline_kernelINS0_14default_configENS1_35adjacent_difference_config_selectorILb0ElEEZNS1_24adjacent_difference_implIS3_Lb0ELb0EPlS7_ZN2at6native12_GLOBAL__N_124unique_dim_cuda_templateIhEESt5tupleIJNS8_6TensorESD_SD_EERKSD_lbbbEUlllE1_EE10hipError_tPvRmT2_T3_mT4_P12ihipStream_tbEUlT_E_NS1_11comp_targetILNS1_3genE5ELNS1_11target_archE942ELNS1_3gpuE9ELNS1_3repE0EEENS1_30default_config_static_selectorELNS0_4arch9wavefront6targetE1EEEvT1_
; %bb.0:
	.section	.rodata,"a",@progbits
	.p2align	6, 0x0
	.amdhsa_kernel _ZN7rocprim17ROCPRIM_400000_NS6detail17trampoline_kernelINS0_14default_configENS1_35adjacent_difference_config_selectorILb0ElEEZNS1_24adjacent_difference_implIS3_Lb0ELb0EPlS7_ZN2at6native12_GLOBAL__N_124unique_dim_cuda_templateIhEESt5tupleIJNS8_6TensorESD_SD_EERKSD_lbbbEUlllE1_EE10hipError_tPvRmT2_T3_mT4_P12ihipStream_tbEUlT_E_NS1_11comp_targetILNS1_3genE5ELNS1_11target_archE942ELNS1_3gpuE9ELNS1_3repE0EEENS1_30default_config_static_selectorELNS0_4arch9wavefront6targetE1EEEvT1_
		.amdhsa_group_segment_fixed_size 0
		.amdhsa_private_segment_fixed_size 0
		.amdhsa_kernarg_size 64
		.amdhsa_user_sgpr_count 6
		.amdhsa_user_sgpr_private_segment_buffer 1
		.amdhsa_user_sgpr_dispatch_ptr 0
		.amdhsa_user_sgpr_queue_ptr 0
		.amdhsa_user_sgpr_kernarg_segment_ptr 1
		.amdhsa_user_sgpr_dispatch_id 0
		.amdhsa_user_sgpr_flat_scratch_init 0
		.amdhsa_user_sgpr_kernarg_preload_length 0
		.amdhsa_user_sgpr_kernarg_preload_offset 0
		.amdhsa_user_sgpr_private_segment_size 0
		.amdhsa_uses_dynamic_stack 0
		.amdhsa_system_sgpr_private_segment_wavefront_offset 0
		.amdhsa_system_sgpr_workgroup_id_x 1
		.amdhsa_system_sgpr_workgroup_id_y 0
		.amdhsa_system_sgpr_workgroup_id_z 0
		.amdhsa_system_sgpr_workgroup_info 0
		.amdhsa_system_vgpr_workitem_id 0
		.amdhsa_next_free_vgpr 1
		.amdhsa_next_free_sgpr 0
		.amdhsa_accum_offset 4
		.amdhsa_reserve_vcc 0
		.amdhsa_reserve_flat_scratch 0
		.amdhsa_float_round_mode_32 0
		.amdhsa_float_round_mode_16_64 0
		.amdhsa_float_denorm_mode_32 3
		.amdhsa_float_denorm_mode_16_64 3
		.amdhsa_dx10_clamp 1
		.amdhsa_ieee_mode 1
		.amdhsa_fp16_overflow 0
		.amdhsa_tg_split 0
		.amdhsa_exception_fp_ieee_invalid_op 0
		.amdhsa_exception_fp_denorm_src 0
		.amdhsa_exception_fp_ieee_div_zero 0
		.amdhsa_exception_fp_ieee_overflow 0
		.amdhsa_exception_fp_ieee_underflow 0
		.amdhsa_exception_fp_ieee_inexact 0
		.amdhsa_exception_int_div_zero 0
	.end_amdhsa_kernel
	.section	.text._ZN7rocprim17ROCPRIM_400000_NS6detail17trampoline_kernelINS0_14default_configENS1_35adjacent_difference_config_selectorILb0ElEEZNS1_24adjacent_difference_implIS3_Lb0ELb0EPlS7_ZN2at6native12_GLOBAL__N_124unique_dim_cuda_templateIhEESt5tupleIJNS8_6TensorESD_SD_EERKSD_lbbbEUlllE1_EE10hipError_tPvRmT2_T3_mT4_P12ihipStream_tbEUlT_E_NS1_11comp_targetILNS1_3genE5ELNS1_11target_archE942ELNS1_3gpuE9ELNS1_3repE0EEENS1_30default_config_static_selectorELNS0_4arch9wavefront6targetE1EEEvT1_,"axG",@progbits,_ZN7rocprim17ROCPRIM_400000_NS6detail17trampoline_kernelINS0_14default_configENS1_35adjacent_difference_config_selectorILb0ElEEZNS1_24adjacent_difference_implIS3_Lb0ELb0EPlS7_ZN2at6native12_GLOBAL__N_124unique_dim_cuda_templateIhEESt5tupleIJNS8_6TensorESD_SD_EERKSD_lbbbEUlllE1_EE10hipError_tPvRmT2_T3_mT4_P12ihipStream_tbEUlT_E_NS1_11comp_targetILNS1_3genE5ELNS1_11target_archE942ELNS1_3gpuE9ELNS1_3repE0EEENS1_30default_config_static_selectorELNS0_4arch9wavefront6targetE1EEEvT1_,comdat
.Lfunc_end60:
	.size	_ZN7rocprim17ROCPRIM_400000_NS6detail17trampoline_kernelINS0_14default_configENS1_35adjacent_difference_config_selectorILb0ElEEZNS1_24adjacent_difference_implIS3_Lb0ELb0EPlS7_ZN2at6native12_GLOBAL__N_124unique_dim_cuda_templateIhEESt5tupleIJNS8_6TensorESD_SD_EERKSD_lbbbEUlllE1_EE10hipError_tPvRmT2_T3_mT4_P12ihipStream_tbEUlT_E_NS1_11comp_targetILNS1_3genE5ELNS1_11target_archE942ELNS1_3gpuE9ELNS1_3repE0EEENS1_30default_config_static_selectorELNS0_4arch9wavefront6targetE1EEEvT1_, .Lfunc_end60-_ZN7rocprim17ROCPRIM_400000_NS6detail17trampoline_kernelINS0_14default_configENS1_35adjacent_difference_config_selectorILb0ElEEZNS1_24adjacent_difference_implIS3_Lb0ELb0EPlS7_ZN2at6native12_GLOBAL__N_124unique_dim_cuda_templateIhEESt5tupleIJNS8_6TensorESD_SD_EERKSD_lbbbEUlllE1_EE10hipError_tPvRmT2_T3_mT4_P12ihipStream_tbEUlT_E_NS1_11comp_targetILNS1_3genE5ELNS1_11target_archE942ELNS1_3gpuE9ELNS1_3repE0EEENS1_30default_config_static_selectorELNS0_4arch9wavefront6targetE1EEEvT1_
                                        ; -- End function
	.section	.AMDGPU.csdata,"",@progbits
; Kernel info:
; codeLenInByte = 0
; NumSgprs: 4
; NumVgprs: 0
; NumAgprs: 0
; TotalNumVgprs: 0
; ScratchSize: 0
; MemoryBound: 0
; FloatMode: 240
; IeeeMode: 1
; LDSByteSize: 0 bytes/workgroup (compile time only)
; SGPRBlocks: 0
; VGPRBlocks: 0
; NumSGPRsForWavesPerEU: 4
; NumVGPRsForWavesPerEU: 1
; AccumOffset: 4
; Occupancy: 8
; WaveLimiterHint : 0
; COMPUTE_PGM_RSRC2:SCRATCH_EN: 0
; COMPUTE_PGM_RSRC2:USER_SGPR: 6
; COMPUTE_PGM_RSRC2:TRAP_HANDLER: 0
; COMPUTE_PGM_RSRC2:TGID_X_EN: 1
; COMPUTE_PGM_RSRC2:TGID_Y_EN: 0
; COMPUTE_PGM_RSRC2:TGID_Z_EN: 0
; COMPUTE_PGM_RSRC2:TIDIG_COMP_CNT: 0
; COMPUTE_PGM_RSRC3_GFX90A:ACCUM_OFFSET: 0
; COMPUTE_PGM_RSRC3_GFX90A:TG_SPLIT: 0
	.section	.text._ZN7rocprim17ROCPRIM_400000_NS6detail17trampoline_kernelINS0_14default_configENS1_35adjacent_difference_config_selectorILb0ElEEZNS1_24adjacent_difference_implIS3_Lb0ELb0EPlS7_ZN2at6native12_GLOBAL__N_124unique_dim_cuda_templateIhEESt5tupleIJNS8_6TensorESD_SD_EERKSD_lbbbEUlllE1_EE10hipError_tPvRmT2_T3_mT4_P12ihipStream_tbEUlT_E_NS1_11comp_targetILNS1_3genE4ELNS1_11target_archE910ELNS1_3gpuE8ELNS1_3repE0EEENS1_30default_config_static_selectorELNS0_4arch9wavefront6targetE1EEEvT1_,"axG",@progbits,_ZN7rocprim17ROCPRIM_400000_NS6detail17trampoline_kernelINS0_14default_configENS1_35adjacent_difference_config_selectorILb0ElEEZNS1_24adjacent_difference_implIS3_Lb0ELb0EPlS7_ZN2at6native12_GLOBAL__N_124unique_dim_cuda_templateIhEESt5tupleIJNS8_6TensorESD_SD_EERKSD_lbbbEUlllE1_EE10hipError_tPvRmT2_T3_mT4_P12ihipStream_tbEUlT_E_NS1_11comp_targetILNS1_3genE4ELNS1_11target_archE910ELNS1_3gpuE8ELNS1_3repE0EEENS1_30default_config_static_selectorELNS0_4arch9wavefront6targetE1EEEvT1_,comdat
	.globl	_ZN7rocprim17ROCPRIM_400000_NS6detail17trampoline_kernelINS0_14default_configENS1_35adjacent_difference_config_selectorILb0ElEEZNS1_24adjacent_difference_implIS3_Lb0ELb0EPlS7_ZN2at6native12_GLOBAL__N_124unique_dim_cuda_templateIhEESt5tupleIJNS8_6TensorESD_SD_EERKSD_lbbbEUlllE1_EE10hipError_tPvRmT2_T3_mT4_P12ihipStream_tbEUlT_E_NS1_11comp_targetILNS1_3genE4ELNS1_11target_archE910ELNS1_3gpuE8ELNS1_3repE0EEENS1_30default_config_static_selectorELNS0_4arch9wavefront6targetE1EEEvT1_ ; -- Begin function _ZN7rocprim17ROCPRIM_400000_NS6detail17trampoline_kernelINS0_14default_configENS1_35adjacent_difference_config_selectorILb0ElEEZNS1_24adjacent_difference_implIS3_Lb0ELb0EPlS7_ZN2at6native12_GLOBAL__N_124unique_dim_cuda_templateIhEESt5tupleIJNS8_6TensorESD_SD_EERKSD_lbbbEUlllE1_EE10hipError_tPvRmT2_T3_mT4_P12ihipStream_tbEUlT_E_NS1_11comp_targetILNS1_3genE4ELNS1_11target_archE910ELNS1_3gpuE8ELNS1_3repE0EEENS1_30default_config_static_selectorELNS0_4arch9wavefront6targetE1EEEvT1_
	.p2align	8
	.type	_ZN7rocprim17ROCPRIM_400000_NS6detail17trampoline_kernelINS0_14default_configENS1_35adjacent_difference_config_selectorILb0ElEEZNS1_24adjacent_difference_implIS3_Lb0ELb0EPlS7_ZN2at6native12_GLOBAL__N_124unique_dim_cuda_templateIhEESt5tupleIJNS8_6TensorESD_SD_EERKSD_lbbbEUlllE1_EE10hipError_tPvRmT2_T3_mT4_P12ihipStream_tbEUlT_E_NS1_11comp_targetILNS1_3genE4ELNS1_11target_archE910ELNS1_3gpuE8ELNS1_3repE0EEENS1_30default_config_static_selectorELNS0_4arch9wavefront6targetE1EEEvT1_,@function
_ZN7rocprim17ROCPRIM_400000_NS6detail17trampoline_kernelINS0_14default_configENS1_35adjacent_difference_config_selectorILb0ElEEZNS1_24adjacent_difference_implIS3_Lb0ELb0EPlS7_ZN2at6native12_GLOBAL__N_124unique_dim_cuda_templateIhEESt5tupleIJNS8_6TensorESD_SD_EERKSD_lbbbEUlllE1_EE10hipError_tPvRmT2_T3_mT4_P12ihipStream_tbEUlT_E_NS1_11comp_targetILNS1_3genE4ELNS1_11target_archE910ELNS1_3gpuE8ELNS1_3repE0EEENS1_30default_config_static_selectorELNS0_4arch9wavefront6targetE1EEEvT1_: ; @_ZN7rocprim17ROCPRIM_400000_NS6detail17trampoline_kernelINS0_14default_configENS1_35adjacent_difference_config_selectorILb0ElEEZNS1_24adjacent_difference_implIS3_Lb0ELb0EPlS7_ZN2at6native12_GLOBAL__N_124unique_dim_cuda_templateIhEESt5tupleIJNS8_6TensorESD_SD_EERKSD_lbbbEUlllE1_EE10hipError_tPvRmT2_T3_mT4_P12ihipStream_tbEUlT_E_NS1_11comp_targetILNS1_3genE4ELNS1_11target_archE910ELNS1_3gpuE8ELNS1_3repE0EEENS1_30default_config_static_selectorELNS0_4arch9wavefront6targetE1EEEvT1_
; %bb.0:
	s_load_dwordx8 s[8:15], s[4:5], 0x0
	s_load_dwordx4 s[16:19], s[4:5], 0x20
	s_load_dwordx2 s[0:1], s[4:5], 0x38
	s_mov_b32 s5, 0
	s_waitcnt lgkmcnt(0)
	s_lshl_b64 s[10:11], s[10:11], 3
	s_add_u32 s24, s8, s10
	s_addc_u32 s25, s9, s11
	s_lshl_b32 s4, s6, 9
	s_lshr_b64 s[2:3], s[14:15], 9
	s_and_b32 s8, s14, 0x1ff
	s_mov_b32 s9, s5
	s_cmp_lg_u64 s[8:9], 0
	s_cselect_b64 s[8:9], -1, 0
	v_cndmask_b32_e64 v1, 0, 1, s[8:9]
	v_readfirstlane_b32 s7, v1
	s_add_u32 s2, s2, s7
	s_addc_u32 s3, s3, 0
	s_add_u32 s20, s0, s6
	s_addc_u32 s21, s1, 0
	s_add_u32 s6, s2, -1
	s_addc_u32 s7, s3, -1
	v_pk_mov_b32 v[2:3], s[6:7], s[6:7] op_sel:[0,1]
	v_cmp_ge_u64_e64 s[0:1], s[20:21], v[2:3]
	s_mov_b64 s[8:9], -1
	s_and_b64 vcc, exec, s[0:1]
	s_cbranch_vccz .LBB61_6
; %bb.1:
	s_lshl_b32 s8, s6, 9
	s_sub_i32 s15, s14, s8
	s_lshl_b64 s[8:9], s[4:5], 3
	s_add_u32 s8, s24, s8
	s_addc_u32 s9, s25, s9
	v_cmp_gt_u32_e32 vcc, s15, v0
                                        ; implicit-def: $vgpr2_vgpr3_vgpr4_vgpr5
	s_and_saveexec_b64 s[22:23], vcc
	s_cbranch_execz .LBB61_3
; %bb.2:
	v_lshlrev_b32_e32 v1, 3, v0
	global_load_dwordx2 v[2:3], v1, s[8:9]
.LBB61_3:
	s_or_b64 exec, exec, s[22:23]
	v_or_b32_e32 v1, 0x100, v0
	v_cmp_gt_u32_e32 vcc, s15, v1
	s_and_saveexec_b64 s[22:23], vcc
	s_cbranch_execz .LBB61_5
; %bb.4:
	v_lshlrev_b32_e32 v4, 3, v0
	global_load_dwordx2 v[4:5], v4, s[8:9] offset:2048
.LBB61_5:
	s_or_b64 exec, exec, s[22:23]
	v_lshrrev_b32_e32 v6, 2, v0
	v_lshrrev_b32_e32 v1, 2, v1
	v_and_b32_e32 v6, 56, v6
	v_lshlrev_b32_e32 v7, 3, v0
	v_and_b32_e32 v1, 0x78, v1
	v_add_u32_e32 v6, v6, v7
	v_add_u32_e32 v1, v1, v7
	s_mov_b64 s[8:9], 0
	s_waitcnt vmcnt(0)
	ds_write_b64 v6, v[2:3]
	ds_write_b64 v1, v[4:5] offset:2048
	s_waitcnt lgkmcnt(0)
	s_barrier
.LBB61_6:
	s_and_b64 vcc, exec, s[8:9]
	v_lshlrev_b32_e32 v1, 3, v0
	s_cbranch_vccz .LBB61_8
; %bb.7:
	s_lshl_b64 s[8:9], s[4:5], 3
	s_add_u32 s8, s24, s8
	s_addc_u32 s9, s25, s9
	global_load_dwordx2 v[2:3], v1, s[8:9]
	global_load_dwordx2 v[4:5], v1, s[8:9] offset:2048
	v_lshrrev_b32_e32 v6, 2, v0
	v_or_b32_e32 v7, 0x100, v0
	v_and_b32_e32 v6, 56, v6
	v_lshrrev_b32_e32 v7, 2, v7
	v_add_u32_e32 v6, v6, v1
	v_and_b32_e32 v7, 0x78, v7
	v_add_u32_e32 v7, v7, v1
	s_waitcnt vmcnt(1)
	ds_write_b64 v6, v[2:3]
	s_waitcnt vmcnt(0)
	ds_write_b64 v7, v[4:5] offset:2048
	s_waitcnt lgkmcnt(0)
	s_barrier
.LBB61_8:
	v_lshlrev_b32_e32 v2, 1, v0
	v_lshrrev_b32_e32 v3, 4, v0
	v_add_lshl_u32 v2, v3, v2, 3
	ds_read2_b64 v[2:5], v2 offset1:1
	s_cmp_eq_u64 s[20:21], 0
	s_mov_b64 s[8:9], 0
	s_waitcnt lgkmcnt(0)
	s_barrier
	s_cbranch_scc1 .LBB61_17
; %bb.9:
	s_lshl_b64 s[22:23], s[4:5], 3
	s_add_u32 s5, s24, s22
	s_addc_u32 s15, s25, s23
	s_add_u32 s22, s5, -8
	s_addc_u32 s23, s15, -1
	s_load_dwordx2 s[22:23], s[22:23], 0x0
	s_cmp_lg_u64 s[20:21], s[6:7]
	s_cbranch_scc0 .LBB61_18
; %bb.10:
	v_cmp_lt_i64_e64 s[24:25], s[16:17], 1
	v_pk_mov_b32 v[8:9], 0, 0
	v_cmp_gt_i64_e64 s[8:9], s[16:17], 0
	s_and_b64 vcc, exec, s[24:25]
	ds_write_b64 v1, v[4:5]
	s_cbranch_vccnz .LBB61_21
; %bb.11:
	v_pk_mov_b32 v[8:9], s[18:19], s[18:19] op_sel:[0,1]
	v_mad_u64_u32 v[6:7], s[24:25], v4, s16, v[8:9]
	v_mul_lo_u32 v10, v4, s17
	v_mul_lo_u32 v11, v5, s16
	v_add3_u32 v7, v11, v7, v10
	v_mad_u64_u32 v[10:11], s[24:25], v2, s16, v[8:9]
	v_mul_lo_u32 v8, v2, s17
	v_mul_lo_u32 v9, v3, s16
	v_add3_u32 v11, v9, v11, v8
	global_load_ubyte v8, v[6:7], off
	global_load_ubyte v9, v[10:11], off
	s_waitcnt vmcnt(0)
	v_cmp_eq_u16_e32 vcc, v8, v9
	v_mov_b32_e32 v8, 1
	v_mov_b32_e32 v9, 0
	s_and_saveexec_b64 s[24:25], vcc
	s_cbranch_execz .LBB61_20
; %bb.12:
	s_mov_b64 s[30:31], 1
	s_mov_b64 s[26:27], 0
                                        ; implicit-def: $sgpr28_sgpr29
	s_branch .LBB61_15
.LBB61_13:                              ;   in Loop: Header=BB61_15 Depth=1
	v_mov_b32_e32 v13, s31
	v_add_co_u32_e32 v8, vcc, s30, v6
	v_addc_co_u32_e32 v9, vcc, v7, v13, vcc
	v_add_co_u32_e32 v12, vcc, s30, v10
	v_addc_co_u32_e32 v13, vcc, v11, v13, vcc
	global_load_ubyte v14, v[8:9], off
	global_load_ubyte v15, v[12:13], off
	s_add_u32 s34, s30, 1
	s_addc_u32 s35, s31, 0
	s_andn2_b64 s[28:29], s[28:29], exec
	s_waitcnt vmcnt(0)
	v_cmp_ne_u16_e32 vcc, v14, v15
	s_and_b64 s[36:37], vcc, exec
	s_or_b64 s[28:29], s[28:29], s[36:37]
.LBB61_14:                              ;   in Loop: Header=BB61_15 Depth=1
	s_and_b64 s[36:37], exec, s[28:29]
	s_or_b64 s[26:27], s[36:37], s[26:27]
	v_pk_mov_b32 v[8:9], s[30:31], s[30:31] op_sel:[0,1]
	s_mov_b64 s[30:31], s[34:35]
	s_andn2_b64 exec, exec, s[26:27]
	s_cbranch_execz .LBB61_19
.LBB61_15:                              ; =>This Inner Loop Header: Depth=1
	s_or_b64 s[28:29], s[28:29], exec
	s_cmp_eq_u64 s[16:17], s[30:31]
	s_cbranch_scc0 .LBB61_13
; %bb.16:                               ;   in Loop: Header=BB61_15 Depth=1
                                        ; implicit-def: $sgpr34_sgpr35
	s_mov_b64 s[30:31], s[16:17]
	s_branch .LBB61_14
.LBB61_17:
                                        ; implicit-def: $sgpr24_sgpr25
                                        ; implicit-def: $vgpr8_vgpr9
	s_cbranch_execnz .LBB61_60
	s_branch .LBB61_108
.LBB61_18:
                                        ; implicit-def: $sgpr24_sgpr25
                                        ; implicit-def: $vgpr8_vgpr9
	s_cbranch_execnz .LBB61_33
	s_branch .LBB61_59
.LBB61_19:
	s_or_b64 exec, exec, s[26:27]
	v_cmp_gt_i64_e32 vcc, s[16:17], v[8:9]
	s_mov_b32 s5, 0
	v_cndmask_b32_e64 v8, 0, 1, vcc
	v_mov_b32_e32 v9, s5
.LBB61_20:
	s_or_b64 exec, exec, s[24:25]
.LBB61_21:
	v_cmp_ne_u32_e32 vcc, 0, v0
	s_waitcnt lgkmcnt(0)
	v_pk_mov_b32 v[12:13], s[22:23], s[22:23] op_sel:[0,1]
	s_barrier
	s_and_saveexec_b64 s[24:25], vcc
	s_cbranch_execz .LBB61_23
; %bb.22:
	v_add_u32_e32 v6, -8, v1
	ds_read_b64 v[12:13], v6
.LBB61_23:
	s_or_b64 exec, exec, s[24:25]
	s_mov_b64 s[26:27], 0
	s_andn2_b64 vcc, exec, s[8:9]
	s_mov_b64 s[24:25], 0
	s_cbranch_vccnz .LBB61_32
; %bb.24:
	v_pk_mov_b32 v[10:11], s[18:19], s[18:19] op_sel:[0,1]
	v_mad_u64_u32 v[6:7], s[8:9], v2, s16, v[10:11]
	v_mul_lo_u32 v14, v2, s17
	v_mul_lo_u32 v15, v3, s16
	v_add3_u32 v7, v15, v7, v14
	s_waitcnt lgkmcnt(0)
	v_mad_u64_u32 v[10:11], s[8:9], v12, s16, v[10:11]
	v_mul_lo_u32 v12, v12, s17
	v_mul_lo_u32 v13, v13, s16
	v_add3_u32 v11, v13, v11, v12
	global_load_ubyte v12, v[6:7], off
	global_load_ubyte v13, v[10:11], off
	s_mov_b64 s[24:25], -1
	s_waitcnt vmcnt(0)
	v_cmp_eq_u16_e32 vcc, v12, v13
	s_and_saveexec_b64 s[8:9], vcc
	s_cbranch_execz .LBB61_31
; %bb.25:
	s_mov_b64 s[30:31], 1
	s_mov_b64 s[24:25], 0
                                        ; implicit-def: $sgpr28_sgpr29
	s_branch .LBB61_28
.LBB61_26:                              ;   in Loop: Header=BB61_28 Depth=1
	v_mov_b32_e32 v15, s31
	v_add_co_u32_e32 v12, vcc, s30, v6
	v_addc_co_u32_e32 v13, vcc, v7, v15, vcc
	v_add_co_u32_e32 v14, vcc, s30, v10
	v_addc_co_u32_e32 v15, vcc, v11, v15, vcc
	global_load_ubyte v16, v[12:13], off
	global_load_ubyte v17, v[14:15], off
	s_add_u32 s34, s30, 1
	s_addc_u32 s35, s31, 0
	s_andn2_b64 s[28:29], s[28:29], exec
	s_waitcnt vmcnt(0)
	v_cmp_ne_u16_e32 vcc, v16, v17
	s_and_b64 s[36:37], vcc, exec
	s_or_b64 s[28:29], s[28:29], s[36:37]
.LBB61_27:                              ;   in Loop: Header=BB61_28 Depth=1
	s_and_b64 s[36:37], exec, s[28:29]
	s_or_b64 s[24:25], s[36:37], s[24:25]
	v_pk_mov_b32 v[12:13], s[30:31], s[30:31] op_sel:[0,1]
	s_mov_b64 s[30:31], s[34:35]
	s_andn2_b64 exec, exec, s[24:25]
	s_cbranch_execz .LBB61_30
.LBB61_28:                              ; =>This Inner Loop Header: Depth=1
	s_or_b64 s[28:29], s[28:29], exec
	s_cmp_eq_u64 s[16:17], s[30:31]
	s_cbranch_scc0 .LBB61_26
; %bb.29:                               ;   in Loop: Header=BB61_28 Depth=1
                                        ; implicit-def: $sgpr34_sgpr35
	s_mov_b64 s[30:31], s[16:17]
	s_branch .LBB61_27
.LBB61_30:
	s_or_b64 exec, exec, s[24:25]
	v_cmp_gt_i64_e32 vcc, s[16:17], v[12:13]
	s_orn2_b64 s[24:25], vcc, exec
.LBB61_31:
	s_or_b64 exec, exec, s[8:9]
.LBB61_32:
	s_mov_b64 s[8:9], -1
	s_and_b64 vcc, exec, s[26:27]
	s_cbranch_vccz .LBB61_59
.LBB61_33:
	s_lshl_b32 s5, s20, 9
	v_lshlrev_b32_e32 v14, 1, v0
	s_sub_i32 s5, s14, s5
	v_or_b32_e32 v6, 1, v14
	v_cmp_gt_u32_e32 vcc, s5, v6
	v_pk_mov_b32 v[8:9], v[4:5], v[4:5] op_sel:[0,1]
	ds_write_b64 v1, v[4:5]
	v_pk_mov_b32 v[6:7], v[2:3], v[2:3] op_sel:[0,1]
	s_and_saveexec_b64 s[20:21], vcc
	s_cbranch_execz .LBB61_44
; %bb.34:
	v_cmp_lt_i64_e64 s[24:25], s[16:17], 1
	s_and_b64 vcc, exec, s[24:25]
	s_cbranch_vccnz .LBB61_41
; %bb.35:
	v_pk_mov_b32 v[8:9], s[18:19], s[18:19] op_sel:[0,1]
	v_mad_u64_u32 v[6:7], s[24:25], v4, s16, v[8:9]
	v_mul_lo_u32 v10, v4, s17
	v_mul_lo_u32 v11, v5, s16
	v_add3_u32 v7, v11, v7, v10
	v_mad_u64_u32 v[10:11], s[24:25], v2, s16, v[8:9]
	v_mul_lo_u32 v8, v2, s17
	v_mul_lo_u32 v9, v3, s16
	v_add3_u32 v11, v9, v11, v8
	global_load_ubyte v8, v[6:7], off
	global_load_ubyte v9, v[10:11], off
	s_waitcnt vmcnt(0)
	v_cmp_eq_u16_e32 vcc, v8, v9
	v_mov_b32_e32 v8, 1
	v_mov_b32_e32 v9, 0
	s_and_saveexec_b64 s[24:25], vcc
	s_cbranch_execz .LBB61_43
; %bb.36:
	s_mov_b64 s[30:31], 1
	s_mov_b64 s[26:27], 0
                                        ; implicit-def: $sgpr28_sgpr29
	s_branch .LBB61_39
.LBB61_37:                              ;   in Loop: Header=BB61_39 Depth=1
	s_waitcnt lgkmcnt(0)
	v_mov_b32_e32 v13, s31
	v_add_co_u32_e32 v8, vcc, s30, v6
	v_addc_co_u32_e32 v9, vcc, v7, v13, vcc
	v_add_co_u32_e32 v12, vcc, s30, v10
	v_addc_co_u32_e32 v13, vcc, v11, v13, vcc
	global_load_ubyte v15, v[8:9], off
	global_load_ubyte v16, v[12:13], off
	s_add_u32 s34, s30, 1
	s_addc_u32 s35, s31, 0
	s_andn2_b64 s[28:29], s[28:29], exec
	s_waitcnt vmcnt(0)
	v_cmp_ne_u16_e32 vcc, v15, v16
	s_and_b64 s[36:37], vcc, exec
	s_or_b64 s[28:29], s[28:29], s[36:37]
.LBB61_38:                              ;   in Loop: Header=BB61_39 Depth=1
	s_and_b64 s[36:37], exec, s[28:29]
	s_or_b64 s[26:27], s[36:37], s[26:27]
	v_pk_mov_b32 v[8:9], s[30:31], s[30:31] op_sel:[0,1]
	s_mov_b64 s[30:31], s[34:35]
	s_andn2_b64 exec, exec, s[26:27]
	s_cbranch_execz .LBB61_42
.LBB61_39:                              ; =>This Inner Loop Header: Depth=1
	s_or_b64 s[28:29], s[28:29], exec
	s_cmp_eq_u64 s[16:17], s[30:31]
	s_cbranch_scc0 .LBB61_37
; %bb.40:                               ;   in Loop: Header=BB61_39 Depth=1
                                        ; implicit-def: $sgpr34_sgpr35
	s_mov_b64 s[30:31], s[16:17]
	s_branch .LBB61_38
.LBB61_41:
	v_pk_mov_b32 v[8:9], 0, 0
	s_branch .LBB61_44
.LBB61_42:
	s_or_b64 exec, exec, s[26:27]
	v_cmp_gt_i64_e32 vcc, s[16:17], v[8:9]
	s_mov_b32 s7, 0
	v_cndmask_b32_e64 v8, 0, 1, vcc
	v_mov_b32_e32 v9, s7
.LBB61_43:
	s_or_b64 exec, exec, s[24:25]
.LBB61_44:
	s_or_b64 exec, exec, s[20:21]
	v_cmp_ne_u32_e32 vcc, 0, v0
	s_waitcnt lgkmcnt(0)
	v_pk_mov_b32 v[12:13], s[22:23], s[22:23] op_sel:[0,1]
	s_barrier
	s_and_saveexec_b64 s[20:21], vcc
	s_cbranch_execz .LBB61_46
; %bb.45:
	v_add_u32_e32 v6, -8, v1
	ds_read_b64 v[12:13], v6
.LBB61_46:
	s_or_b64 exec, exec, s[20:21]
	v_cmp_gt_u32_e32 vcc, s5, v14
                                        ; implicit-def: $sgpr24_sgpr25
	s_and_saveexec_b64 s[20:21], vcc
	s_cbranch_execz .LBB61_58
; %bb.47:
	v_cmp_lt_i64_e64 s[22:23], s[16:17], 1
	s_and_b64 vcc, exec, s[22:23]
	s_cbranch_vccnz .LBB61_54
; %bb.48:
	v_pk_mov_b32 v[10:11], s[18:19], s[18:19] op_sel:[0,1]
	v_mad_u64_u32 v[6:7], s[22:23], v2, s16, v[10:11]
	v_mul_lo_u32 v14, v2, s17
	v_mul_lo_u32 v15, v3, s16
	v_add3_u32 v7, v15, v7, v14
	s_waitcnt lgkmcnt(0)
	v_mad_u64_u32 v[10:11], s[22:23], v12, s16, v[10:11]
	v_mul_lo_u32 v12, v12, s17
	v_mul_lo_u32 v13, v13, s16
	v_add3_u32 v11, v13, v11, v12
	global_load_ubyte v12, v[6:7], off
	global_load_ubyte v13, v[10:11], off
	s_mov_b64 s[24:25], -1
	s_waitcnt vmcnt(0)
	v_cmp_eq_u16_e32 vcc, v12, v13
	s_and_saveexec_b64 s[22:23], vcc
	s_cbranch_execz .LBB61_56
; %bb.49:
	s_mov_b64 s[28:29], 1
	s_mov_b64 s[24:25], 0
                                        ; implicit-def: $sgpr26_sgpr27
	s_branch .LBB61_52
.LBB61_50:                              ;   in Loop: Header=BB61_52 Depth=1
	v_mov_b32_e32 v15, s29
	v_add_co_u32_e32 v12, vcc, s28, v6
	v_addc_co_u32_e32 v13, vcc, v7, v15, vcc
	v_add_co_u32_e32 v14, vcc, s28, v10
	v_addc_co_u32_e32 v15, vcc, v11, v15, vcc
	global_load_ubyte v16, v[12:13], off
	global_load_ubyte v17, v[14:15], off
	s_add_u32 s30, s28, 1
	s_addc_u32 s31, s29, 0
	s_andn2_b64 s[26:27], s[26:27], exec
	s_waitcnt vmcnt(0)
	v_cmp_ne_u16_e32 vcc, v16, v17
	s_and_b64 s[34:35], vcc, exec
	s_or_b64 s[26:27], s[26:27], s[34:35]
.LBB61_51:                              ;   in Loop: Header=BB61_52 Depth=1
	s_and_b64 s[34:35], exec, s[26:27]
	s_or_b64 s[24:25], s[34:35], s[24:25]
	v_pk_mov_b32 v[12:13], s[28:29], s[28:29] op_sel:[0,1]
	s_mov_b64 s[28:29], s[30:31]
	s_andn2_b64 exec, exec, s[24:25]
	s_cbranch_execz .LBB61_55
.LBB61_52:                              ; =>This Inner Loop Header: Depth=1
	s_or_b64 s[26:27], s[26:27], exec
	s_cmp_eq_u64 s[16:17], s[28:29]
	s_cbranch_scc0 .LBB61_50
; %bb.53:                               ;   in Loop: Header=BB61_52 Depth=1
                                        ; implicit-def: $sgpr30_sgpr31
	s_mov_b64 s[28:29], s[16:17]
	s_branch .LBB61_51
.LBB61_54:
	s_mov_b64 s[24:25], 0
	s_branch .LBB61_57
.LBB61_55:
	s_or_b64 exec, exec, s[24:25]
	v_cmp_gt_i64_e32 vcc, s[16:17], v[12:13]
	s_orn2_b64 s[24:25], vcc, exec
.LBB61_56:
	s_or_b64 exec, exec, s[22:23]
.LBB61_57:
	s_and_b64 s[24:25], s[24:25], exec
	s_or_b64 s[8:9], s[8:9], exec
.LBB61_58:
	s_or_b64 exec, exec, s[20:21]
.LBB61_59:
	s_branch .LBB61_108
.LBB61_60:
	s_cmp_lg_u64 s[2:3], 1
	s_cbranch_scc0 .LBB61_68
; %bb.61:
	v_cmp_lt_i64_e64 s[20:21], s[16:17], 1
	v_pk_mov_b32 v[8:9], 0, 0
	v_cmp_gt_i64_e64 s[2:3], s[16:17], 0
	s_and_b64 vcc, exec, s[20:21]
	ds_write_b64 v1, v[4:5]
	s_cbranch_vccnz .LBB61_71
; %bb.62:
	v_pk_mov_b32 v[8:9], s[18:19], s[18:19] op_sel:[0,1]
	v_mad_u64_u32 v[6:7], s[20:21], v4, s16, v[8:9]
	v_mul_lo_u32 v10, v4, s17
	v_mul_lo_u32 v11, v5, s16
	v_add3_u32 v7, v11, v7, v10
	v_mad_u64_u32 v[10:11], s[20:21], v2, s16, v[8:9]
	v_mul_lo_u32 v8, v2, s17
	v_mul_lo_u32 v9, v3, s16
	v_add3_u32 v11, v9, v11, v8
	global_load_ubyte v8, v[6:7], off
	global_load_ubyte v9, v[10:11], off
	s_waitcnt vmcnt(0)
	v_cmp_eq_u16_e32 vcc, v8, v9
	v_mov_b32_e32 v8, 1
	v_mov_b32_e32 v9, 0
	s_and_saveexec_b64 s[20:21], vcc
	s_cbranch_execz .LBB61_70
; %bb.63:
	s_mov_b64 s[26:27], 1
	s_waitcnt lgkmcnt(0)
	s_mov_b64 s[22:23], 0
                                        ; implicit-def: $sgpr24_sgpr25
	s_branch .LBB61_66
.LBB61_64:                              ;   in Loop: Header=BB61_66 Depth=1
	v_mov_b32_e32 v13, s27
	v_add_co_u32_e32 v8, vcc, s26, v6
	v_addc_co_u32_e32 v9, vcc, v7, v13, vcc
	v_add_co_u32_e32 v12, vcc, s26, v10
	v_addc_co_u32_e32 v13, vcc, v11, v13, vcc
	global_load_ubyte v14, v[8:9], off
	global_load_ubyte v15, v[12:13], off
	s_add_u32 s28, s26, 1
	s_addc_u32 s29, s27, 0
	s_andn2_b64 s[24:25], s[24:25], exec
	s_waitcnt vmcnt(0)
	v_cmp_ne_u16_e32 vcc, v14, v15
	s_and_b64 s[30:31], vcc, exec
	s_or_b64 s[24:25], s[24:25], s[30:31]
.LBB61_65:                              ;   in Loop: Header=BB61_66 Depth=1
	s_and_b64 s[30:31], exec, s[24:25]
	s_or_b64 s[22:23], s[30:31], s[22:23]
	v_pk_mov_b32 v[8:9], s[26:27], s[26:27] op_sel:[0,1]
	s_mov_b64 s[26:27], s[28:29]
	s_andn2_b64 exec, exec, s[22:23]
	s_cbranch_execz .LBB61_69
.LBB61_66:                              ; =>This Inner Loop Header: Depth=1
	s_or_b64 s[24:25], s[24:25], exec
	s_cmp_eq_u64 s[16:17], s[26:27]
	s_cbranch_scc0 .LBB61_64
; %bb.67:                               ;   in Loop: Header=BB61_66 Depth=1
                                        ; implicit-def: $sgpr28_sgpr29
	s_mov_b64 s[26:27], s[16:17]
	s_branch .LBB61_65
.LBB61_68:
                                        ; implicit-def: $sgpr24_sgpr25
                                        ; implicit-def: $vgpr8_vgpr9
	s_cbranch_execnz .LBB61_84
	s_branch .LBB61_108
.LBB61_69:
	s_or_b64 exec, exec, s[22:23]
	v_cmp_gt_i64_e32 vcc, s[16:17], v[8:9]
	s_mov_b32 s5, 0
	v_cndmask_b32_e64 v8, 0, 1, vcc
	v_mov_b32_e32 v9, s5
.LBB61_70:
	s_or_b64 exec, exec, s[20:21]
.LBB61_71:
	v_cmp_ne_u32_e32 vcc, 0, v0
	s_waitcnt lgkmcnt(0)
	s_barrier
	s_waitcnt lgkmcnt(0)
                                        ; implicit-def: $sgpr24_sgpr25
	s_and_saveexec_b64 s[20:21], vcc
	s_cbranch_execz .LBB61_83
; %bb.72:
	s_andn2_b64 vcc, exec, s[2:3]
	s_cbranch_vccnz .LBB61_79
; %bb.73:
	v_add_u32_e32 v6, -8, v1
	ds_read_b64 v[10:11], v6
	v_pk_mov_b32 v[12:13], s[18:19], s[18:19] op_sel:[0,1]
	v_mad_u64_u32 v[6:7], s[2:3], v2, s16, v[12:13]
	v_mul_lo_u32 v14, v2, s17
	v_mul_lo_u32 v15, v3, s16
	v_add3_u32 v7, v15, v7, v14
	s_waitcnt lgkmcnt(0)
	v_mul_lo_u32 v14, v10, s17
	v_mul_lo_u32 v15, v11, s16
	v_mad_u64_u32 v[10:11], s[2:3], v10, s16, v[12:13]
	v_add3_u32 v11, v15, v11, v14
	global_load_ubyte v12, v[6:7], off
	global_load_ubyte v13, v[10:11], off
	s_mov_b64 s[22:23], -1
	s_waitcnt vmcnt(0)
	v_cmp_eq_u16_e32 vcc, v12, v13
	s_and_saveexec_b64 s[2:3], vcc
	s_cbranch_execz .LBB61_81
; %bb.74:
	s_mov_b64 s[26:27], 1
	s_mov_b64 s[22:23], 0
                                        ; implicit-def: $sgpr24_sgpr25
	s_branch .LBB61_77
.LBB61_75:                              ;   in Loop: Header=BB61_77 Depth=1
	v_mov_b32_e32 v15, s27
	v_add_co_u32_e32 v12, vcc, s26, v6
	v_addc_co_u32_e32 v13, vcc, v7, v15, vcc
	v_add_co_u32_e32 v14, vcc, s26, v10
	v_addc_co_u32_e32 v15, vcc, v11, v15, vcc
	global_load_ubyte v16, v[12:13], off
	global_load_ubyte v17, v[14:15], off
	s_add_u32 s28, s26, 1
	s_addc_u32 s29, s27, 0
	s_andn2_b64 s[24:25], s[24:25], exec
	s_waitcnt vmcnt(0)
	v_cmp_ne_u16_e32 vcc, v16, v17
	s_and_b64 s[30:31], vcc, exec
	s_or_b64 s[24:25], s[24:25], s[30:31]
.LBB61_76:                              ;   in Loop: Header=BB61_77 Depth=1
	s_and_b64 s[30:31], exec, s[24:25]
	s_or_b64 s[22:23], s[30:31], s[22:23]
	v_pk_mov_b32 v[12:13], s[26:27], s[26:27] op_sel:[0,1]
	s_mov_b64 s[26:27], s[28:29]
	s_andn2_b64 exec, exec, s[22:23]
	s_cbranch_execz .LBB61_80
.LBB61_77:                              ; =>This Inner Loop Header: Depth=1
	s_or_b64 s[24:25], s[24:25], exec
	s_cmp_eq_u64 s[16:17], s[26:27]
	s_cbranch_scc0 .LBB61_75
; %bb.78:                               ;   in Loop: Header=BB61_77 Depth=1
                                        ; implicit-def: $sgpr28_sgpr29
	s_mov_b64 s[26:27], s[16:17]
	s_branch .LBB61_76
.LBB61_79:
	s_mov_b64 s[22:23], 0
	s_branch .LBB61_82
.LBB61_80:
	s_or_b64 exec, exec, s[22:23]
	v_cmp_gt_i64_e32 vcc, s[16:17], v[12:13]
	s_orn2_b64 s[22:23], vcc, exec
.LBB61_81:
	s_or_b64 exec, exec, s[2:3]
.LBB61_82:
	s_and_b64 s[24:25], s[22:23], exec
	s_or_b64 s[8:9], s[8:9], exec
.LBB61_83:
	s_or_b64 exec, exec, s[20:21]
	s_branch .LBB61_108
.LBB61_84:
	v_lshlrev_b32_e32 v10, 1, v0
	v_or_b32_e32 v6, 1, v10
	v_cmp_gt_u32_e32 vcc, s14, v6
	v_cmp_lt_i64_e64 s[20:21], s[16:17], 1
	v_pk_mov_b32 v[8:9], v[4:5], v[4:5] op_sel:[0,1]
	ds_write_b64 v1, v[4:5]
	v_pk_mov_b32 v[6:7], v[2:3], v[2:3] op_sel:[0,1]
	s_and_saveexec_b64 s[2:3], vcc
	s_cbranch_execz .LBB61_95
; %bb.85:
	s_and_b64 vcc, exec, s[20:21]
	s_cbranch_vccnz .LBB61_92
; %bb.86:
	v_pk_mov_b32 v[8:9], s[18:19], s[18:19] op_sel:[0,1]
	s_waitcnt lgkmcnt(0)
	v_mad_u64_u32 v[6:7], s[22:23], v4, s16, v[8:9]
	v_mul_lo_u32 v4, v4, s17
	v_mul_lo_u32 v5, v5, s16
	v_add3_u32 v7, v5, v7, v4
	v_mad_u64_u32 v[4:5], s[22:23], v2, s16, v[8:9]
	v_mul_lo_u32 v8, v2, s17
	v_mul_lo_u32 v9, v3, s16
	v_add3_u32 v5, v9, v5, v8
	global_load_ubyte v8, v[6:7], off
	global_load_ubyte v9, v[4:5], off
	s_waitcnt vmcnt(0)
	v_cmp_eq_u16_e32 vcc, v8, v9
	v_mov_b32_e32 v8, 1
	v_mov_b32_e32 v9, 0
	s_and_saveexec_b64 s[22:23], vcc
	s_cbranch_execz .LBB61_94
; %bb.87:
	s_mov_b64 s[28:29], 1
	s_mov_b64 s[24:25], 0
                                        ; implicit-def: $sgpr26_sgpr27
	s_branch .LBB61_90
.LBB61_88:                              ;   in Loop: Header=BB61_90 Depth=1
	v_mov_b32_e32 v11, s29
	v_add_co_u32_e32 v8, vcc, s28, v6
	v_addc_co_u32_e32 v9, vcc, v7, v11, vcc
	v_add_co_u32_e32 v12, vcc, s28, v4
	v_addc_co_u32_e32 v13, vcc, v5, v11, vcc
	global_load_ubyte v11, v[8:9], off
	global_load_ubyte v14, v[12:13], off
	s_add_u32 s30, s28, 1
	s_addc_u32 s31, s29, 0
	s_andn2_b64 s[26:27], s[26:27], exec
	s_waitcnt vmcnt(0)
	v_cmp_ne_u16_e32 vcc, v11, v14
	s_and_b64 s[34:35], vcc, exec
	s_or_b64 s[26:27], s[26:27], s[34:35]
.LBB61_89:                              ;   in Loop: Header=BB61_90 Depth=1
	s_and_b64 s[34:35], exec, s[26:27]
	s_or_b64 s[24:25], s[34:35], s[24:25]
	v_pk_mov_b32 v[8:9], s[28:29], s[28:29] op_sel:[0,1]
	s_mov_b64 s[28:29], s[30:31]
	s_andn2_b64 exec, exec, s[24:25]
	s_cbranch_execz .LBB61_93
.LBB61_90:                              ; =>This Inner Loop Header: Depth=1
	s_or_b64 s[26:27], s[26:27], exec
	s_cmp_eq_u64 s[16:17], s[28:29]
	s_cbranch_scc0 .LBB61_88
; %bb.91:                               ;   in Loop: Header=BB61_90 Depth=1
                                        ; implicit-def: $sgpr30_sgpr31
	s_mov_b64 s[28:29], s[16:17]
	s_branch .LBB61_89
.LBB61_92:
	v_pk_mov_b32 v[8:9], 0, 0
	s_branch .LBB61_95
.LBB61_93:
	s_or_b64 exec, exec, s[24:25]
	v_cmp_gt_i64_e32 vcc, s[16:17], v[8:9]
	s_mov_b32 s5, 0
	v_cndmask_b32_e64 v8, 0, 1, vcc
	v_mov_b32_e32 v9, s5
.LBB61_94:
	s_or_b64 exec, exec, s[22:23]
.LBB61_95:
	s_or_b64 exec, exec, s[2:3]
	v_cmp_ne_u32_e32 vcc, 0, v0
	v_cmp_gt_u32_e64 s[2:3], s14, v10
	s_waitcnt lgkmcnt(0)
	s_and_b64 s[22:23], vcc, s[2:3]
	s_barrier
	s_waitcnt lgkmcnt(0)
                                        ; implicit-def: $sgpr24_sgpr25
	s_and_saveexec_b64 s[2:3], s[22:23]
	s_cbranch_execz .LBB61_107
; %bb.96:
	s_and_b64 vcc, exec, s[20:21]
	s_cbranch_vccnz .LBB61_103
; %bb.97:
	v_add_u32_e32 v4, -8, v1
	ds_read_b64 v[6:7], v4
	v_pk_mov_b32 v[10:11], s[18:19], s[18:19] op_sel:[0,1]
	v_mad_u64_u32 v[4:5], s[18:19], v2, s16, v[10:11]
	v_mul_lo_u32 v2, v2, s17
	v_mul_lo_u32 v3, v3, s16
	v_add3_u32 v5, v3, v5, v2
	s_waitcnt lgkmcnt(0)
	v_mul_lo_u32 v12, v6, s17
	v_mul_lo_u32 v7, v7, s16
	v_mad_u64_u32 v[2:3], s[18:19], v6, s16, v[10:11]
	v_add3_u32 v3, v7, v3, v12
	global_load_ubyte v6, v[4:5], off
	global_load_ubyte v7, v[2:3], off
	s_mov_b64 s[20:21], -1
	s_waitcnt vmcnt(0)
	v_cmp_eq_u16_e32 vcc, v6, v7
	s_and_saveexec_b64 s[18:19], vcc
	s_cbranch_execz .LBB61_105
; %bb.98:
	s_mov_b64 s[24:25], 1
	s_mov_b64 s[20:21], 0
                                        ; implicit-def: $sgpr22_sgpr23
	s_branch .LBB61_101
.LBB61_99:                              ;   in Loop: Header=BB61_101 Depth=1
	v_mov_b32_e32 v11, s25
	v_add_co_u32_e32 v6, vcc, s24, v4
	v_addc_co_u32_e32 v7, vcc, v5, v11, vcc
	v_add_co_u32_e32 v10, vcc, s24, v2
	v_addc_co_u32_e32 v11, vcc, v3, v11, vcc
	global_load_ubyte v12, v[6:7], off
	global_load_ubyte v13, v[10:11], off
	s_add_u32 s26, s24, 1
	s_addc_u32 s27, s25, 0
	s_andn2_b64 s[22:23], s[22:23], exec
	s_waitcnt vmcnt(0)
	v_cmp_ne_u16_e32 vcc, v12, v13
	s_and_b64 s[28:29], vcc, exec
	s_or_b64 s[22:23], s[22:23], s[28:29]
.LBB61_100:                             ;   in Loop: Header=BB61_101 Depth=1
	s_and_b64 s[28:29], exec, s[22:23]
	s_or_b64 s[20:21], s[28:29], s[20:21]
	v_pk_mov_b32 v[6:7], s[24:25], s[24:25] op_sel:[0,1]
	s_mov_b64 s[24:25], s[26:27]
	s_andn2_b64 exec, exec, s[20:21]
	s_cbranch_execz .LBB61_104
.LBB61_101:                             ; =>This Inner Loop Header: Depth=1
	s_or_b64 s[22:23], s[22:23], exec
	s_cmp_eq_u64 s[16:17], s[24:25]
	s_cbranch_scc0 .LBB61_99
; %bb.102:                              ;   in Loop: Header=BB61_101 Depth=1
                                        ; implicit-def: $sgpr26_sgpr27
	s_mov_b64 s[24:25], s[16:17]
	s_branch .LBB61_100
.LBB61_103:
	s_mov_b64 s[20:21], 0
	s_branch .LBB61_106
.LBB61_104:
	s_or_b64 exec, exec, s[20:21]
	v_cmp_gt_i64_e32 vcc, s[16:17], v[6:7]
	s_orn2_b64 s[20:21], vcc, exec
.LBB61_105:
	s_or_b64 exec, exec, s[18:19]
.LBB61_106:
	s_and_b64 s[24:25], s[20:21], exec
	s_or_b64 s[8:9], s[8:9], exec
                                        ; implicit-def: $vgpr2_vgpr3
.LBB61_107:
	s_or_b64 exec, exec, s[2:3]
.LBB61_108:
	s_and_saveexec_b64 s[2:3], s[8:9]
; %bb.109:
	s_mov_b32 s5, 0
	v_cndmask_b32_e64 v2, 0, 1, s[24:25]
	v_mov_b32_e32 v3, s5
; %bb.110:
	s_or_b64 exec, exec, s[2:3]
	s_add_u32 s7, s12, s10
	s_addc_u32 s8, s13, s11
	s_and_b64 vcc, exec, s[0:1]
	v_lshrrev_b32_e32 v10, 1, v0
	s_waitcnt lgkmcnt(0)
	s_barrier
	s_cbranch_vccz .LBB61_114
; %bb.111:
	v_and_b32_e32 v4, 0x78, v10
	v_lshl_add_u32 v6, v0, 4, v4
	v_mov_b32_e32 v4, v8
	v_mov_b32_e32 v5, v9
	v_or_b32_e32 v11, 0x100, v0
	s_lshl_b32 s0, s6, 9
	s_mov_b32 s5, 0
	ds_write2_b64 v6, v[2:3], v[4:5] offset1:1
	v_lshrrev_b32_e32 v4, 5, v11
	s_sub_i32 s2, s14, s0
	s_lshl_b64 s[0:1], s[4:5], 3
	v_add_lshl_u32 v4, v4, v0, 3
	s_add_u32 s0, s7, s0
	s_waitcnt lgkmcnt(0)
	s_barrier
	ds_read_b64 v[4:5], v4 offset:2048
	s_addc_u32 s1, s8, s1
	v_mov_b32_e32 v7, s1
	v_add_co_u32_e32 v6, vcc, s0, v1
	v_addc_co_u32_e32 v7, vcc, 0, v7, vcc
	v_cmp_gt_u32_e32 vcc, s2, v0
	s_and_saveexec_b64 s[0:1], vcc
	s_cbranch_execz .LBB61_113
; %bb.112:
	v_lshrrev_b32_e32 v12, 5, v0
	v_add_lshl_u32 v12, v12, v0, 3
	ds_read_b64 v[12:13], v12
	s_waitcnt lgkmcnt(0)
	global_store_dwordx2 v[6:7], v[12:13], off
.LBB61_113:
	s_or_b64 exec, exec, s[0:1]
	v_cmp_gt_u32_e64 s[0:1], s2, v11
	s_branch .LBB61_116
.LBB61_114:
	s_mov_b64 s[0:1], 0
                                        ; implicit-def: $vgpr4_vgpr5
                                        ; implicit-def: $vgpr6_vgpr7
	s_cbranch_execz .LBB61_116
; %bb.115:
	s_waitcnt lgkmcnt(0)
	v_and_b32_e32 v4, 0x78, v10
	v_lshl_add_u32 v6, v0, 4, v4
	v_mov_b32_e32 v4, v8
	v_mov_b32_e32 v5, v9
	s_mov_b32 s5, 0
	ds_write2_b64 v6, v[2:3], v[4:5] offset1:1
	v_lshrrev_b32_e32 v2, 5, v0
	v_or_b32_e32 v3, 0x100, v0
	s_lshl_b64 s[2:3], s[4:5], 3
	v_add_lshl_u32 v2, v2, v0, 3
	v_lshrrev_b32_e32 v3, 5, v3
	s_add_u32 s2, s7, s2
	s_waitcnt lgkmcnt(0)
	s_barrier
	v_add_lshl_u32 v0, v3, v0, 3
	ds_read_b64 v[2:3], v2
	ds_read_b64 v[4:5], v0 offset:2048
	s_addc_u32 s3, s8, s3
	v_mov_b32_e32 v0, s3
	v_add_co_u32_e32 v6, vcc, s2, v1
	v_addc_co_u32_e32 v7, vcc, 0, v0, vcc
	s_or_b64 s[0:1], s[0:1], exec
	s_waitcnt lgkmcnt(1)
	global_store_dwordx2 v1, v[2:3], s[2:3]
.LBB61_116:
	s_and_saveexec_b64 s[2:3], s[0:1]
	s_cbranch_execnz .LBB61_118
; %bb.117:
	s_endpgm
.LBB61_118:
	s_waitcnt lgkmcnt(0)
	global_store_dwordx2 v[6:7], v[4:5], off offset:2048
	s_endpgm
	.section	.rodata,"a",@progbits
	.p2align	6, 0x0
	.amdhsa_kernel _ZN7rocprim17ROCPRIM_400000_NS6detail17trampoline_kernelINS0_14default_configENS1_35adjacent_difference_config_selectorILb0ElEEZNS1_24adjacent_difference_implIS3_Lb0ELb0EPlS7_ZN2at6native12_GLOBAL__N_124unique_dim_cuda_templateIhEESt5tupleIJNS8_6TensorESD_SD_EERKSD_lbbbEUlllE1_EE10hipError_tPvRmT2_T3_mT4_P12ihipStream_tbEUlT_E_NS1_11comp_targetILNS1_3genE4ELNS1_11target_archE910ELNS1_3gpuE8ELNS1_3repE0EEENS1_30default_config_static_selectorELNS0_4arch9wavefront6targetE1EEEvT1_
		.amdhsa_group_segment_fixed_size 4224
		.amdhsa_private_segment_fixed_size 0
		.amdhsa_kernarg_size 64
		.amdhsa_user_sgpr_count 6
		.amdhsa_user_sgpr_private_segment_buffer 1
		.amdhsa_user_sgpr_dispatch_ptr 0
		.amdhsa_user_sgpr_queue_ptr 0
		.amdhsa_user_sgpr_kernarg_segment_ptr 1
		.amdhsa_user_sgpr_dispatch_id 0
		.amdhsa_user_sgpr_flat_scratch_init 0
		.amdhsa_user_sgpr_kernarg_preload_length 0
		.amdhsa_user_sgpr_kernarg_preload_offset 0
		.amdhsa_user_sgpr_private_segment_size 0
		.amdhsa_uses_dynamic_stack 0
		.amdhsa_system_sgpr_private_segment_wavefront_offset 0
		.amdhsa_system_sgpr_workgroup_id_x 1
		.amdhsa_system_sgpr_workgroup_id_y 0
		.amdhsa_system_sgpr_workgroup_id_z 0
		.amdhsa_system_sgpr_workgroup_info 0
		.amdhsa_system_vgpr_workitem_id 0
		.amdhsa_next_free_vgpr 18
		.amdhsa_next_free_sgpr 38
		.amdhsa_accum_offset 20
		.amdhsa_reserve_vcc 1
		.amdhsa_reserve_flat_scratch 0
		.amdhsa_float_round_mode_32 0
		.amdhsa_float_round_mode_16_64 0
		.amdhsa_float_denorm_mode_32 3
		.amdhsa_float_denorm_mode_16_64 3
		.amdhsa_dx10_clamp 1
		.amdhsa_ieee_mode 1
		.amdhsa_fp16_overflow 0
		.amdhsa_tg_split 0
		.amdhsa_exception_fp_ieee_invalid_op 0
		.amdhsa_exception_fp_denorm_src 0
		.amdhsa_exception_fp_ieee_div_zero 0
		.amdhsa_exception_fp_ieee_overflow 0
		.amdhsa_exception_fp_ieee_underflow 0
		.amdhsa_exception_fp_ieee_inexact 0
		.amdhsa_exception_int_div_zero 0
	.end_amdhsa_kernel
	.section	.text._ZN7rocprim17ROCPRIM_400000_NS6detail17trampoline_kernelINS0_14default_configENS1_35adjacent_difference_config_selectorILb0ElEEZNS1_24adjacent_difference_implIS3_Lb0ELb0EPlS7_ZN2at6native12_GLOBAL__N_124unique_dim_cuda_templateIhEESt5tupleIJNS8_6TensorESD_SD_EERKSD_lbbbEUlllE1_EE10hipError_tPvRmT2_T3_mT4_P12ihipStream_tbEUlT_E_NS1_11comp_targetILNS1_3genE4ELNS1_11target_archE910ELNS1_3gpuE8ELNS1_3repE0EEENS1_30default_config_static_selectorELNS0_4arch9wavefront6targetE1EEEvT1_,"axG",@progbits,_ZN7rocprim17ROCPRIM_400000_NS6detail17trampoline_kernelINS0_14default_configENS1_35adjacent_difference_config_selectorILb0ElEEZNS1_24adjacent_difference_implIS3_Lb0ELb0EPlS7_ZN2at6native12_GLOBAL__N_124unique_dim_cuda_templateIhEESt5tupleIJNS8_6TensorESD_SD_EERKSD_lbbbEUlllE1_EE10hipError_tPvRmT2_T3_mT4_P12ihipStream_tbEUlT_E_NS1_11comp_targetILNS1_3genE4ELNS1_11target_archE910ELNS1_3gpuE8ELNS1_3repE0EEENS1_30default_config_static_selectorELNS0_4arch9wavefront6targetE1EEEvT1_,comdat
.Lfunc_end61:
	.size	_ZN7rocprim17ROCPRIM_400000_NS6detail17trampoline_kernelINS0_14default_configENS1_35adjacent_difference_config_selectorILb0ElEEZNS1_24adjacent_difference_implIS3_Lb0ELb0EPlS7_ZN2at6native12_GLOBAL__N_124unique_dim_cuda_templateIhEESt5tupleIJNS8_6TensorESD_SD_EERKSD_lbbbEUlllE1_EE10hipError_tPvRmT2_T3_mT4_P12ihipStream_tbEUlT_E_NS1_11comp_targetILNS1_3genE4ELNS1_11target_archE910ELNS1_3gpuE8ELNS1_3repE0EEENS1_30default_config_static_selectorELNS0_4arch9wavefront6targetE1EEEvT1_, .Lfunc_end61-_ZN7rocprim17ROCPRIM_400000_NS6detail17trampoline_kernelINS0_14default_configENS1_35adjacent_difference_config_selectorILb0ElEEZNS1_24adjacent_difference_implIS3_Lb0ELb0EPlS7_ZN2at6native12_GLOBAL__N_124unique_dim_cuda_templateIhEESt5tupleIJNS8_6TensorESD_SD_EERKSD_lbbbEUlllE1_EE10hipError_tPvRmT2_T3_mT4_P12ihipStream_tbEUlT_E_NS1_11comp_targetILNS1_3genE4ELNS1_11target_archE910ELNS1_3gpuE8ELNS1_3repE0EEENS1_30default_config_static_selectorELNS0_4arch9wavefront6targetE1EEEvT1_
                                        ; -- End function
	.section	.AMDGPU.csdata,"",@progbits
; Kernel info:
; codeLenInByte = 3520
; NumSgprs: 42
; NumVgprs: 18
; NumAgprs: 0
; TotalNumVgprs: 18
; ScratchSize: 0
; MemoryBound: 0
; FloatMode: 240
; IeeeMode: 1
; LDSByteSize: 4224 bytes/workgroup (compile time only)
; SGPRBlocks: 5
; VGPRBlocks: 2
; NumSGPRsForWavesPerEU: 42
; NumVGPRsForWavesPerEU: 18
; AccumOffset: 20
; Occupancy: 8
; WaveLimiterHint : 1
; COMPUTE_PGM_RSRC2:SCRATCH_EN: 0
; COMPUTE_PGM_RSRC2:USER_SGPR: 6
; COMPUTE_PGM_RSRC2:TRAP_HANDLER: 0
; COMPUTE_PGM_RSRC2:TGID_X_EN: 1
; COMPUTE_PGM_RSRC2:TGID_Y_EN: 0
; COMPUTE_PGM_RSRC2:TGID_Z_EN: 0
; COMPUTE_PGM_RSRC2:TIDIG_COMP_CNT: 0
; COMPUTE_PGM_RSRC3_GFX90A:ACCUM_OFFSET: 4
; COMPUTE_PGM_RSRC3_GFX90A:TG_SPLIT: 0
	.section	.text._ZN7rocprim17ROCPRIM_400000_NS6detail17trampoline_kernelINS0_14default_configENS1_35adjacent_difference_config_selectorILb0ElEEZNS1_24adjacent_difference_implIS3_Lb0ELb0EPlS7_ZN2at6native12_GLOBAL__N_124unique_dim_cuda_templateIhEESt5tupleIJNS8_6TensorESD_SD_EERKSD_lbbbEUlllE1_EE10hipError_tPvRmT2_T3_mT4_P12ihipStream_tbEUlT_E_NS1_11comp_targetILNS1_3genE3ELNS1_11target_archE908ELNS1_3gpuE7ELNS1_3repE0EEENS1_30default_config_static_selectorELNS0_4arch9wavefront6targetE1EEEvT1_,"axG",@progbits,_ZN7rocprim17ROCPRIM_400000_NS6detail17trampoline_kernelINS0_14default_configENS1_35adjacent_difference_config_selectorILb0ElEEZNS1_24adjacent_difference_implIS3_Lb0ELb0EPlS7_ZN2at6native12_GLOBAL__N_124unique_dim_cuda_templateIhEESt5tupleIJNS8_6TensorESD_SD_EERKSD_lbbbEUlllE1_EE10hipError_tPvRmT2_T3_mT4_P12ihipStream_tbEUlT_E_NS1_11comp_targetILNS1_3genE3ELNS1_11target_archE908ELNS1_3gpuE7ELNS1_3repE0EEENS1_30default_config_static_selectorELNS0_4arch9wavefront6targetE1EEEvT1_,comdat
	.globl	_ZN7rocprim17ROCPRIM_400000_NS6detail17trampoline_kernelINS0_14default_configENS1_35adjacent_difference_config_selectorILb0ElEEZNS1_24adjacent_difference_implIS3_Lb0ELb0EPlS7_ZN2at6native12_GLOBAL__N_124unique_dim_cuda_templateIhEESt5tupleIJNS8_6TensorESD_SD_EERKSD_lbbbEUlllE1_EE10hipError_tPvRmT2_T3_mT4_P12ihipStream_tbEUlT_E_NS1_11comp_targetILNS1_3genE3ELNS1_11target_archE908ELNS1_3gpuE7ELNS1_3repE0EEENS1_30default_config_static_selectorELNS0_4arch9wavefront6targetE1EEEvT1_ ; -- Begin function _ZN7rocprim17ROCPRIM_400000_NS6detail17trampoline_kernelINS0_14default_configENS1_35adjacent_difference_config_selectorILb0ElEEZNS1_24adjacent_difference_implIS3_Lb0ELb0EPlS7_ZN2at6native12_GLOBAL__N_124unique_dim_cuda_templateIhEESt5tupleIJNS8_6TensorESD_SD_EERKSD_lbbbEUlllE1_EE10hipError_tPvRmT2_T3_mT4_P12ihipStream_tbEUlT_E_NS1_11comp_targetILNS1_3genE3ELNS1_11target_archE908ELNS1_3gpuE7ELNS1_3repE0EEENS1_30default_config_static_selectorELNS0_4arch9wavefront6targetE1EEEvT1_
	.p2align	8
	.type	_ZN7rocprim17ROCPRIM_400000_NS6detail17trampoline_kernelINS0_14default_configENS1_35adjacent_difference_config_selectorILb0ElEEZNS1_24adjacent_difference_implIS3_Lb0ELb0EPlS7_ZN2at6native12_GLOBAL__N_124unique_dim_cuda_templateIhEESt5tupleIJNS8_6TensorESD_SD_EERKSD_lbbbEUlllE1_EE10hipError_tPvRmT2_T3_mT4_P12ihipStream_tbEUlT_E_NS1_11comp_targetILNS1_3genE3ELNS1_11target_archE908ELNS1_3gpuE7ELNS1_3repE0EEENS1_30default_config_static_selectorELNS0_4arch9wavefront6targetE1EEEvT1_,@function
_ZN7rocprim17ROCPRIM_400000_NS6detail17trampoline_kernelINS0_14default_configENS1_35adjacent_difference_config_selectorILb0ElEEZNS1_24adjacent_difference_implIS3_Lb0ELb0EPlS7_ZN2at6native12_GLOBAL__N_124unique_dim_cuda_templateIhEESt5tupleIJNS8_6TensorESD_SD_EERKSD_lbbbEUlllE1_EE10hipError_tPvRmT2_T3_mT4_P12ihipStream_tbEUlT_E_NS1_11comp_targetILNS1_3genE3ELNS1_11target_archE908ELNS1_3gpuE7ELNS1_3repE0EEENS1_30default_config_static_selectorELNS0_4arch9wavefront6targetE1EEEvT1_: ; @_ZN7rocprim17ROCPRIM_400000_NS6detail17trampoline_kernelINS0_14default_configENS1_35adjacent_difference_config_selectorILb0ElEEZNS1_24adjacent_difference_implIS3_Lb0ELb0EPlS7_ZN2at6native12_GLOBAL__N_124unique_dim_cuda_templateIhEESt5tupleIJNS8_6TensorESD_SD_EERKSD_lbbbEUlllE1_EE10hipError_tPvRmT2_T3_mT4_P12ihipStream_tbEUlT_E_NS1_11comp_targetILNS1_3genE3ELNS1_11target_archE908ELNS1_3gpuE7ELNS1_3repE0EEENS1_30default_config_static_selectorELNS0_4arch9wavefront6targetE1EEEvT1_
; %bb.0:
	.section	.rodata,"a",@progbits
	.p2align	6, 0x0
	.amdhsa_kernel _ZN7rocprim17ROCPRIM_400000_NS6detail17trampoline_kernelINS0_14default_configENS1_35adjacent_difference_config_selectorILb0ElEEZNS1_24adjacent_difference_implIS3_Lb0ELb0EPlS7_ZN2at6native12_GLOBAL__N_124unique_dim_cuda_templateIhEESt5tupleIJNS8_6TensorESD_SD_EERKSD_lbbbEUlllE1_EE10hipError_tPvRmT2_T3_mT4_P12ihipStream_tbEUlT_E_NS1_11comp_targetILNS1_3genE3ELNS1_11target_archE908ELNS1_3gpuE7ELNS1_3repE0EEENS1_30default_config_static_selectorELNS0_4arch9wavefront6targetE1EEEvT1_
		.amdhsa_group_segment_fixed_size 0
		.amdhsa_private_segment_fixed_size 0
		.amdhsa_kernarg_size 64
		.amdhsa_user_sgpr_count 6
		.amdhsa_user_sgpr_private_segment_buffer 1
		.amdhsa_user_sgpr_dispatch_ptr 0
		.amdhsa_user_sgpr_queue_ptr 0
		.amdhsa_user_sgpr_kernarg_segment_ptr 1
		.amdhsa_user_sgpr_dispatch_id 0
		.amdhsa_user_sgpr_flat_scratch_init 0
		.amdhsa_user_sgpr_kernarg_preload_length 0
		.amdhsa_user_sgpr_kernarg_preload_offset 0
		.amdhsa_user_sgpr_private_segment_size 0
		.amdhsa_uses_dynamic_stack 0
		.amdhsa_system_sgpr_private_segment_wavefront_offset 0
		.amdhsa_system_sgpr_workgroup_id_x 1
		.amdhsa_system_sgpr_workgroup_id_y 0
		.amdhsa_system_sgpr_workgroup_id_z 0
		.amdhsa_system_sgpr_workgroup_info 0
		.amdhsa_system_vgpr_workitem_id 0
		.amdhsa_next_free_vgpr 1
		.amdhsa_next_free_sgpr 0
		.amdhsa_accum_offset 4
		.amdhsa_reserve_vcc 0
		.amdhsa_reserve_flat_scratch 0
		.amdhsa_float_round_mode_32 0
		.amdhsa_float_round_mode_16_64 0
		.amdhsa_float_denorm_mode_32 3
		.amdhsa_float_denorm_mode_16_64 3
		.amdhsa_dx10_clamp 1
		.amdhsa_ieee_mode 1
		.amdhsa_fp16_overflow 0
		.amdhsa_tg_split 0
		.amdhsa_exception_fp_ieee_invalid_op 0
		.amdhsa_exception_fp_denorm_src 0
		.amdhsa_exception_fp_ieee_div_zero 0
		.amdhsa_exception_fp_ieee_overflow 0
		.amdhsa_exception_fp_ieee_underflow 0
		.amdhsa_exception_fp_ieee_inexact 0
		.amdhsa_exception_int_div_zero 0
	.end_amdhsa_kernel
	.section	.text._ZN7rocprim17ROCPRIM_400000_NS6detail17trampoline_kernelINS0_14default_configENS1_35adjacent_difference_config_selectorILb0ElEEZNS1_24adjacent_difference_implIS3_Lb0ELb0EPlS7_ZN2at6native12_GLOBAL__N_124unique_dim_cuda_templateIhEESt5tupleIJNS8_6TensorESD_SD_EERKSD_lbbbEUlllE1_EE10hipError_tPvRmT2_T3_mT4_P12ihipStream_tbEUlT_E_NS1_11comp_targetILNS1_3genE3ELNS1_11target_archE908ELNS1_3gpuE7ELNS1_3repE0EEENS1_30default_config_static_selectorELNS0_4arch9wavefront6targetE1EEEvT1_,"axG",@progbits,_ZN7rocprim17ROCPRIM_400000_NS6detail17trampoline_kernelINS0_14default_configENS1_35adjacent_difference_config_selectorILb0ElEEZNS1_24adjacent_difference_implIS3_Lb0ELb0EPlS7_ZN2at6native12_GLOBAL__N_124unique_dim_cuda_templateIhEESt5tupleIJNS8_6TensorESD_SD_EERKSD_lbbbEUlllE1_EE10hipError_tPvRmT2_T3_mT4_P12ihipStream_tbEUlT_E_NS1_11comp_targetILNS1_3genE3ELNS1_11target_archE908ELNS1_3gpuE7ELNS1_3repE0EEENS1_30default_config_static_selectorELNS0_4arch9wavefront6targetE1EEEvT1_,comdat
.Lfunc_end62:
	.size	_ZN7rocprim17ROCPRIM_400000_NS6detail17trampoline_kernelINS0_14default_configENS1_35adjacent_difference_config_selectorILb0ElEEZNS1_24adjacent_difference_implIS3_Lb0ELb0EPlS7_ZN2at6native12_GLOBAL__N_124unique_dim_cuda_templateIhEESt5tupleIJNS8_6TensorESD_SD_EERKSD_lbbbEUlllE1_EE10hipError_tPvRmT2_T3_mT4_P12ihipStream_tbEUlT_E_NS1_11comp_targetILNS1_3genE3ELNS1_11target_archE908ELNS1_3gpuE7ELNS1_3repE0EEENS1_30default_config_static_selectorELNS0_4arch9wavefront6targetE1EEEvT1_, .Lfunc_end62-_ZN7rocprim17ROCPRIM_400000_NS6detail17trampoline_kernelINS0_14default_configENS1_35adjacent_difference_config_selectorILb0ElEEZNS1_24adjacent_difference_implIS3_Lb0ELb0EPlS7_ZN2at6native12_GLOBAL__N_124unique_dim_cuda_templateIhEESt5tupleIJNS8_6TensorESD_SD_EERKSD_lbbbEUlllE1_EE10hipError_tPvRmT2_T3_mT4_P12ihipStream_tbEUlT_E_NS1_11comp_targetILNS1_3genE3ELNS1_11target_archE908ELNS1_3gpuE7ELNS1_3repE0EEENS1_30default_config_static_selectorELNS0_4arch9wavefront6targetE1EEEvT1_
                                        ; -- End function
	.section	.AMDGPU.csdata,"",@progbits
; Kernel info:
; codeLenInByte = 0
; NumSgprs: 4
; NumVgprs: 0
; NumAgprs: 0
; TotalNumVgprs: 0
; ScratchSize: 0
; MemoryBound: 0
; FloatMode: 240
; IeeeMode: 1
; LDSByteSize: 0 bytes/workgroup (compile time only)
; SGPRBlocks: 0
; VGPRBlocks: 0
; NumSGPRsForWavesPerEU: 4
; NumVGPRsForWavesPerEU: 1
; AccumOffset: 4
; Occupancy: 8
; WaveLimiterHint : 0
; COMPUTE_PGM_RSRC2:SCRATCH_EN: 0
; COMPUTE_PGM_RSRC2:USER_SGPR: 6
; COMPUTE_PGM_RSRC2:TRAP_HANDLER: 0
; COMPUTE_PGM_RSRC2:TGID_X_EN: 1
; COMPUTE_PGM_RSRC2:TGID_Y_EN: 0
; COMPUTE_PGM_RSRC2:TGID_Z_EN: 0
; COMPUTE_PGM_RSRC2:TIDIG_COMP_CNT: 0
; COMPUTE_PGM_RSRC3_GFX90A:ACCUM_OFFSET: 0
; COMPUTE_PGM_RSRC3_GFX90A:TG_SPLIT: 0
	.section	.text._ZN7rocprim17ROCPRIM_400000_NS6detail17trampoline_kernelINS0_14default_configENS1_35adjacent_difference_config_selectorILb0ElEEZNS1_24adjacent_difference_implIS3_Lb0ELb0EPlS7_ZN2at6native12_GLOBAL__N_124unique_dim_cuda_templateIhEESt5tupleIJNS8_6TensorESD_SD_EERKSD_lbbbEUlllE1_EE10hipError_tPvRmT2_T3_mT4_P12ihipStream_tbEUlT_E_NS1_11comp_targetILNS1_3genE2ELNS1_11target_archE906ELNS1_3gpuE6ELNS1_3repE0EEENS1_30default_config_static_selectorELNS0_4arch9wavefront6targetE1EEEvT1_,"axG",@progbits,_ZN7rocprim17ROCPRIM_400000_NS6detail17trampoline_kernelINS0_14default_configENS1_35adjacent_difference_config_selectorILb0ElEEZNS1_24adjacent_difference_implIS3_Lb0ELb0EPlS7_ZN2at6native12_GLOBAL__N_124unique_dim_cuda_templateIhEESt5tupleIJNS8_6TensorESD_SD_EERKSD_lbbbEUlllE1_EE10hipError_tPvRmT2_T3_mT4_P12ihipStream_tbEUlT_E_NS1_11comp_targetILNS1_3genE2ELNS1_11target_archE906ELNS1_3gpuE6ELNS1_3repE0EEENS1_30default_config_static_selectorELNS0_4arch9wavefront6targetE1EEEvT1_,comdat
	.globl	_ZN7rocprim17ROCPRIM_400000_NS6detail17trampoline_kernelINS0_14default_configENS1_35adjacent_difference_config_selectorILb0ElEEZNS1_24adjacent_difference_implIS3_Lb0ELb0EPlS7_ZN2at6native12_GLOBAL__N_124unique_dim_cuda_templateIhEESt5tupleIJNS8_6TensorESD_SD_EERKSD_lbbbEUlllE1_EE10hipError_tPvRmT2_T3_mT4_P12ihipStream_tbEUlT_E_NS1_11comp_targetILNS1_3genE2ELNS1_11target_archE906ELNS1_3gpuE6ELNS1_3repE0EEENS1_30default_config_static_selectorELNS0_4arch9wavefront6targetE1EEEvT1_ ; -- Begin function _ZN7rocprim17ROCPRIM_400000_NS6detail17trampoline_kernelINS0_14default_configENS1_35adjacent_difference_config_selectorILb0ElEEZNS1_24adjacent_difference_implIS3_Lb0ELb0EPlS7_ZN2at6native12_GLOBAL__N_124unique_dim_cuda_templateIhEESt5tupleIJNS8_6TensorESD_SD_EERKSD_lbbbEUlllE1_EE10hipError_tPvRmT2_T3_mT4_P12ihipStream_tbEUlT_E_NS1_11comp_targetILNS1_3genE2ELNS1_11target_archE906ELNS1_3gpuE6ELNS1_3repE0EEENS1_30default_config_static_selectorELNS0_4arch9wavefront6targetE1EEEvT1_
	.p2align	8
	.type	_ZN7rocprim17ROCPRIM_400000_NS6detail17trampoline_kernelINS0_14default_configENS1_35adjacent_difference_config_selectorILb0ElEEZNS1_24adjacent_difference_implIS3_Lb0ELb0EPlS7_ZN2at6native12_GLOBAL__N_124unique_dim_cuda_templateIhEESt5tupleIJNS8_6TensorESD_SD_EERKSD_lbbbEUlllE1_EE10hipError_tPvRmT2_T3_mT4_P12ihipStream_tbEUlT_E_NS1_11comp_targetILNS1_3genE2ELNS1_11target_archE906ELNS1_3gpuE6ELNS1_3repE0EEENS1_30default_config_static_selectorELNS0_4arch9wavefront6targetE1EEEvT1_,@function
_ZN7rocprim17ROCPRIM_400000_NS6detail17trampoline_kernelINS0_14default_configENS1_35adjacent_difference_config_selectorILb0ElEEZNS1_24adjacent_difference_implIS3_Lb0ELb0EPlS7_ZN2at6native12_GLOBAL__N_124unique_dim_cuda_templateIhEESt5tupleIJNS8_6TensorESD_SD_EERKSD_lbbbEUlllE1_EE10hipError_tPvRmT2_T3_mT4_P12ihipStream_tbEUlT_E_NS1_11comp_targetILNS1_3genE2ELNS1_11target_archE906ELNS1_3gpuE6ELNS1_3repE0EEENS1_30default_config_static_selectorELNS0_4arch9wavefront6targetE1EEEvT1_: ; @_ZN7rocprim17ROCPRIM_400000_NS6detail17trampoline_kernelINS0_14default_configENS1_35adjacent_difference_config_selectorILb0ElEEZNS1_24adjacent_difference_implIS3_Lb0ELb0EPlS7_ZN2at6native12_GLOBAL__N_124unique_dim_cuda_templateIhEESt5tupleIJNS8_6TensorESD_SD_EERKSD_lbbbEUlllE1_EE10hipError_tPvRmT2_T3_mT4_P12ihipStream_tbEUlT_E_NS1_11comp_targetILNS1_3genE2ELNS1_11target_archE906ELNS1_3gpuE6ELNS1_3repE0EEENS1_30default_config_static_selectorELNS0_4arch9wavefront6targetE1EEEvT1_
; %bb.0:
	.section	.rodata,"a",@progbits
	.p2align	6, 0x0
	.amdhsa_kernel _ZN7rocprim17ROCPRIM_400000_NS6detail17trampoline_kernelINS0_14default_configENS1_35adjacent_difference_config_selectorILb0ElEEZNS1_24adjacent_difference_implIS3_Lb0ELb0EPlS7_ZN2at6native12_GLOBAL__N_124unique_dim_cuda_templateIhEESt5tupleIJNS8_6TensorESD_SD_EERKSD_lbbbEUlllE1_EE10hipError_tPvRmT2_T3_mT4_P12ihipStream_tbEUlT_E_NS1_11comp_targetILNS1_3genE2ELNS1_11target_archE906ELNS1_3gpuE6ELNS1_3repE0EEENS1_30default_config_static_selectorELNS0_4arch9wavefront6targetE1EEEvT1_
		.amdhsa_group_segment_fixed_size 0
		.amdhsa_private_segment_fixed_size 0
		.amdhsa_kernarg_size 64
		.amdhsa_user_sgpr_count 6
		.amdhsa_user_sgpr_private_segment_buffer 1
		.amdhsa_user_sgpr_dispatch_ptr 0
		.amdhsa_user_sgpr_queue_ptr 0
		.amdhsa_user_sgpr_kernarg_segment_ptr 1
		.amdhsa_user_sgpr_dispatch_id 0
		.amdhsa_user_sgpr_flat_scratch_init 0
		.amdhsa_user_sgpr_kernarg_preload_length 0
		.amdhsa_user_sgpr_kernarg_preload_offset 0
		.amdhsa_user_sgpr_private_segment_size 0
		.amdhsa_uses_dynamic_stack 0
		.amdhsa_system_sgpr_private_segment_wavefront_offset 0
		.amdhsa_system_sgpr_workgroup_id_x 1
		.amdhsa_system_sgpr_workgroup_id_y 0
		.amdhsa_system_sgpr_workgroup_id_z 0
		.amdhsa_system_sgpr_workgroup_info 0
		.amdhsa_system_vgpr_workitem_id 0
		.amdhsa_next_free_vgpr 1
		.amdhsa_next_free_sgpr 0
		.amdhsa_accum_offset 4
		.amdhsa_reserve_vcc 0
		.amdhsa_reserve_flat_scratch 0
		.amdhsa_float_round_mode_32 0
		.amdhsa_float_round_mode_16_64 0
		.amdhsa_float_denorm_mode_32 3
		.amdhsa_float_denorm_mode_16_64 3
		.amdhsa_dx10_clamp 1
		.amdhsa_ieee_mode 1
		.amdhsa_fp16_overflow 0
		.amdhsa_tg_split 0
		.amdhsa_exception_fp_ieee_invalid_op 0
		.amdhsa_exception_fp_denorm_src 0
		.amdhsa_exception_fp_ieee_div_zero 0
		.amdhsa_exception_fp_ieee_overflow 0
		.amdhsa_exception_fp_ieee_underflow 0
		.amdhsa_exception_fp_ieee_inexact 0
		.amdhsa_exception_int_div_zero 0
	.end_amdhsa_kernel
	.section	.text._ZN7rocprim17ROCPRIM_400000_NS6detail17trampoline_kernelINS0_14default_configENS1_35adjacent_difference_config_selectorILb0ElEEZNS1_24adjacent_difference_implIS3_Lb0ELb0EPlS7_ZN2at6native12_GLOBAL__N_124unique_dim_cuda_templateIhEESt5tupleIJNS8_6TensorESD_SD_EERKSD_lbbbEUlllE1_EE10hipError_tPvRmT2_T3_mT4_P12ihipStream_tbEUlT_E_NS1_11comp_targetILNS1_3genE2ELNS1_11target_archE906ELNS1_3gpuE6ELNS1_3repE0EEENS1_30default_config_static_selectorELNS0_4arch9wavefront6targetE1EEEvT1_,"axG",@progbits,_ZN7rocprim17ROCPRIM_400000_NS6detail17trampoline_kernelINS0_14default_configENS1_35adjacent_difference_config_selectorILb0ElEEZNS1_24adjacent_difference_implIS3_Lb0ELb0EPlS7_ZN2at6native12_GLOBAL__N_124unique_dim_cuda_templateIhEESt5tupleIJNS8_6TensorESD_SD_EERKSD_lbbbEUlllE1_EE10hipError_tPvRmT2_T3_mT4_P12ihipStream_tbEUlT_E_NS1_11comp_targetILNS1_3genE2ELNS1_11target_archE906ELNS1_3gpuE6ELNS1_3repE0EEENS1_30default_config_static_selectorELNS0_4arch9wavefront6targetE1EEEvT1_,comdat
.Lfunc_end63:
	.size	_ZN7rocprim17ROCPRIM_400000_NS6detail17trampoline_kernelINS0_14default_configENS1_35adjacent_difference_config_selectorILb0ElEEZNS1_24adjacent_difference_implIS3_Lb0ELb0EPlS7_ZN2at6native12_GLOBAL__N_124unique_dim_cuda_templateIhEESt5tupleIJNS8_6TensorESD_SD_EERKSD_lbbbEUlllE1_EE10hipError_tPvRmT2_T3_mT4_P12ihipStream_tbEUlT_E_NS1_11comp_targetILNS1_3genE2ELNS1_11target_archE906ELNS1_3gpuE6ELNS1_3repE0EEENS1_30default_config_static_selectorELNS0_4arch9wavefront6targetE1EEEvT1_, .Lfunc_end63-_ZN7rocprim17ROCPRIM_400000_NS6detail17trampoline_kernelINS0_14default_configENS1_35adjacent_difference_config_selectorILb0ElEEZNS1_24adjacent_difference_implIS3_Lb0ELb0EPlS7_ZN2at6native12_GLOBAL__N_124unique_dim_cuda_templateIhEESt5tupleIJNS8_6TensorESD_SD_EERKSD_lbbbEUlllE1_EE10hipError_tPvRmT2_T3_mT4_P12ihipStream_tbEUlT_E_NS1_11comp_targetILNS1_3genE2ELNS1_11target_archE906ELNS1_3gpuE6ELNS1_3repE0EEENS1_30default_config_static_selectorELNS0_4arch9wavefront6targetE1EEEvT1_
                                        ; -- End function
	.section	.AMDGPU.csdata,"",@progbits
; Kernel info:
; codeLenInByte = 0
; NumSgprs: 4
; NumVgprs: 0
; NumAgprs: 0
; TotalNumVgprs: 0
; ScratchSize: 0
; MemoryBound: 0
; FloatMode: 240
; IeeeMode: 1
; LDSByteSize: 0 bytes/workgroup (compile time only)
; SGPRBlocks: 0
; VGPRBlocks: 0
; NumSGPRsForWavesPerEU: 4
; NumVGPRsForWavesPerEU: 1
; AccumOffset: 4
; Occupancy: 8
; WaveLimiterHint : 0
; COMPUTE_PGM_RSRC2:SCRATCH_EN: 0
; COMPUTE_PGM_RSRC2:USER_SGPR: 6
; COMPUTE_PGM_RSRC2:TRAP_HANDLER: 0
; COMPUTE_PGM_RSRC2:TGID_X_EN: 1
; COMPUTE_PGM_RSRC2:TGID_Y_EN: 0
; COMPUTE_PGM_RSRC2:TGID_Z_EN: 0
; COMPUTE_PGM_RSRC2:TIDIG_COMP_CNT: 0
; COMPUTE_PGM_RSRC3_GFX90A:ACCUM_OFFSET: 0
; COMPUTE_PGM_RSRC3_GFX90A:TG_SPLIT: 0
	.section	.text._ZN7rocprim17ROCPRIM_400000_NS6detail17trampoline_kernelINS0_14default_configENS1_35adjacent_difference_config_selectorILb0ElEEZNS1_24adjacent_difference_implIS3_Lb0ELb0EPlS7_ZN2at6native12_GLOBAL__N_124unique_dim_cuda_templateIhEESt5tupleIJNS8_6TensorESD_SD_EERKSD_lbbbEUlllE1_EE10hipError_tPvRmT2_T3_mT4_P12ihipStream_tbEUlT_E_NS1_11comp_targetILNS1_3genE9ELNS1_11target_archE1100ELNS1_3gpuE3ELNS1_3repE0EEENS1_30default_config_static_selectorELNS0_4arch9wavefront6targetE1EEEvT1_,"axG",@progbits,_ZN7rocprim17ROCPRIM_400000_NS6detail17trampoline_kernelINS0_14default_configENS1_35adjacent_difference_config_selectorILb0ElEEZNS1_24adjacent_difference_implIS3_Lb0ELb0EPlS7_ZN2at6native12_GLOBAL__N_124unique_dim_cuda_templateIhEESt5tupleIJNS8_6TensorESD_SD_EERKSD_lbbbEUlllE1_EE10hipError_tPvRmT2_T3_mT4_P12ihipStream_tbEUlT_E_NS1_11comp_targetILNS1_3genE9ELNS1_11target_archE1100ELNS1_3gpuE3ELNS1_3repE0EEENS1_30default_config_static_selectorELNS0_4arch9wavefront6targetE1EEEvT1_,comdat
	.globl	_ZN7rocprim17ROCPRIM_400000_NS6detail17trampoline_kernelINS0_14default_configENS1_35adjacent_difference_config_selectorILb0ElEEZNS1_24adjacent_difference_implIS3_Lb0ELb0EPlS7_ZN2at6native12_GLOBAL__N_124unique_dim_cuda_templateIhEESt5tupleIJNS8_6TensorESD_SD_EERKSD_lbbbEUlllE1_EE10hipError_tPvRmT2_T3_mT4_P12ihipStream_tbEUlT_E_NS1_11comp_targetILNS1_3genE9ELNS1_11target_archE1100ELNS1_3gpuE3ELNS1_3repE0EEENS1_30default_config_static_selectorELNS0_4arch9wavefront6targetE1EEEvT1_ ; -- Begin function _ZN7rocprim17ROCPRIM_400000_NS6detail17trampoline_kernelINS0_14default_configENS1_35adjacent_difference_config_selectorILb0ElEEZNS1_24adjacent_difference_implIS3_Lb0ELb0EPlS7_ZN2at6native12_GLOBAL__N_124unique_dim_cuda_templateIhEESt5tupleIJNS8_6TensorESD_SD_EERKSD_lbbbEUlllE1_EE10hipError_tPvRmT2_T3_mT4_P12ihipStream_tbEUlT_E_NS1_11comp_targetILNS1_3genE9ELNS1_11target_archE1100ELNS1_3gpuE3ELNS1_3repE0EEENS1_30default_config_static_selectorELNS0_4arch9wavefront6targetE1EEEvT1_
	.p2align	8
	.type	_ZN7rocprim17ROCPRIM_400000_NS6detail17trampoline_kernelINS0_14default_configENS1_35adjacent_difference_config_selectorILb0ElEEZNS1_24adjacent_difference_implIS3_Lb0ELb0EPlS7_ZN2at6native12_GLOBAL__N_124unique_dim_cuda_templateIhEESt5tupleIJNS8_6TensorESD_SD_EERKSD_lbbbEUlllE1_EE10hipError_tPvRmT2_T3_mT4_P12ihipStream_tbEUlT_E_NS1_11comp_targetILNS1_3genE9ELNS1_11target_archE1100ELNS1_3gpuE3ELNS1_3repE0EEENS1_30default_config_static_selectorELNS0_4arch9wavefront6targetE1EEEvT1_,@function
_ZN7rocprim17ROCPRIM_400000_NS6detail17trampoline_kernelINS0_14default_configENS1_35adjacent_difference_config_selectorILb0ElEEZNS1_24adjacent_difference_implIS3_Lb0ELb0EPlS7_ZN2at6native12_GLOBAL__N_124unique_dim_cuda_templateIhEESt5tupleIJNS8_6TensorESD_SD_EERKSD_lbbbEUlllE1_EE10hipError_tPvRmT2_T3_mT4_P12ihipStream_tbEUlT_E_NS1_11comp_targetILNS1_3genE9ELNS1_11target_archE1100ELNS1_3gpuE3ELNS1_3repE0EEENS1_30default_config_static_selectorELNS0_4arch9wavefront6targetE1EEEvT1_: ; @_ZN7rocprim17ROCPRIM_400000_NS6detail17trampoline_kernelINS0_14default_configENS1_35adjacent_difference_config_selectorILb0ElEEZNS1_24adjacent_difference_implIS3_Lb0ELb0EPlS7_ZN2at6native12_GLOBAL__N_124unique_dim_cuda_templateIhEESt5tupleIJNS8_6TensorESD_SD_EERKSD_lbbbEUlllE1_EE10hipError_tPvRmT2_T3_mT4_P12ihipStream_tbEUlT_E_NS1_11comp_targetILNS1_3genE9ELNS1_11target_archE1100ELNS1_3gpuE3ELNS1_3repE0EEENS1_30default_config_static_selectorELNS0_4arch9wavefront6targetE1EEEvT1_
; %bb.0:
	.section	.rodata,"a",@progbits
	.p2align	6, 0x0
	.amdhsa_kernel _ZN7rocprim17ROCPRIM_400000_NS6detail17trampoline_kernelINS0_14default_configENS1_35adjacent_difference_config_selectorILb0ElEEZNS1_24adjacent_difference_implIS3_Lb0ELb0EPlS7_ZN2at6native12_GLOBAL__N_124unique_dim_cuda_templateIhEESt5tupleIJNS8_6TensorESD_SD_EERKSD_lbbbEUlllE1_EE10hipError_tPvRmT2_T3_mT4_P12ihipStream_tbEUlT_E_NS1_11comp_targetILNS1_3genE9ELNS1_11target_archE1100ELNS1_3gpuE3ELNS1_3repE0EEENS1_30default_config_static_selectorELNS0_4arch9wavefront6targetE1EEEvT1_
		.amdhsa_group_segment_fixed_size 0
		.amdhsa_private_segment_fixed_size 0
		.amdhsa_kernarg_size 64
		.amdhsa_user_sgpr_count 6
		.amdhsa_user_sgpr_private_segment_buffer 1
		.amdhsa_user_sgpr_dispatch_ptr 0
		.amdhsa_user_sgpr_queue_ptr 0
		.amdhsa_user_sgpr_kernarg_segment_ptr 1
		.amdhsa_user_sgpr_dispatch_id 0
		.amdhsa_user_sgpr_flat_scratch_init 0
		.amdhsa_user_sgpr_kernarg_preload_length 0
		.amdhsa_user_sgpr_kernarg_preload_offset 0
		.amdhsa_user_sgpr_private_segment_size 0
		.amdhsa_uses_dynamic_stack 0
		.amdhsa_system_sgpr_private_segment_wavefront_offset 0
		.amdhsa_system_sgpr_workgroup_id_x 1
		.amdhsa_system_sgpr_workgroup_id_y 0
		.amdhsa_system_sgpr_workgroup_id_z 0
		.amdhsa_system_sgpr_workgroup_info 0
		.amdhsa_system_vgpr_workitem_id 0
		.amdhsa_next_free_vgpr 1
		.amdhsa_next_free_sgpr 0
		.amdhsa_accum_offset 4
		.amdhsa_reserve_vcc 0
		.amdhsa_reserve_flat_scratch 0
		.amdhsa_float_round_mode_32 0
		.amdhsa_float_round_mode_16_64 0
		.amdhsa_float_denorm_mode_32 3
		.amdhsa_float_denorm_mode_16_64 3
		.amdhsa_dx10_clamp 1
		.amdhsa_ieee_mode 1
		.amdhsa_fp16_overflow 0
		.amdhsa_tg_split 0
		.amdhsa_exception_fp_ieee_invalid_op 0
		.amdhsa_exception_fp_denorm_src 0
		.amdhsa_exception_fp_ieee_div_zero 0
		.amdhsa_exception_fp_ieee_overflow 0
		.amdhsa_exception_fp_ieee_underflow 0
		.amdhsa_exception_fp_ieee_inexact 0
		.amdhsa_exception_int_div_zero 0
	.end_amdhsa_kernel
	.section	.text._ZN7rocprim17ROCPRIM_400000_NS6detail17trampoline_kernelINS0_14default_configENS1_35adjacent_difference_config_selectorILb0ElEEZNS1_24adjacent_difference_implIS3_Lb0ELb0EPlS7_ZN2at6native12_GLOBAL__N_124unique_dim_cuda_templateIhEESt5tupleIJNS8_6TensorESD_SD_EERKSD_lbbbEUlllE1_EE10hipError_tPvRmT2_T3_mT4_P12ihipStream_tbEUlT_E_NS1_11comp_targetILNS1_3genE9ELNS1_11target_archE1100ELNS1_3gpuE3ELNS1_3repE0EEENS1_30default_config_static_selectorELNS0_4arch9wavefront6targetE1EEEvT1_,"axG",@progbits,_ZN7rocprim17ROCPRIM_400000_NS6detail17trampoline_kernelINS0_14default_configENS1_35adjacent_difference_config_selectorILb0ElEEZNS1_24adjacent_difference_implIS3_Lb0ELb0EPlS7_ZN2at6native12_GLOBAL__N_124unique_dim_cuda_templateIhEESt5tupleIJNS8_6TensorESD_SD_EERKSD_lbbbEUlllE1_EE10hipError_tPvRmT2_T3_mT4_P12ihipStream_tbEUlT_E_NS1_11comp_targetILNS1_3genE9ELNS1_11target_archE1100ELNS1_3gpuE3ELNS1_3repE0EEENS1_30default_config_static_selectorELNS0_4arch9wavefront6targetE1EEEvT1_,comdat
.Lfunc_end64:
	.size	_ZN7rocprim17ROCPRIM_400000_NS6detail17trampoline_kernelINS0_14default_configENS1_35adjacent_difference_config_selectorILb0ElEEZNS1_24adjacent_difference_implIS3_Lb0ELb0EPlS7_ZN2at6native12_GLOBAL__N_124unique_dim_cuda_templateIhEESt5tupleIJNS8_6TensorESD_SD_EERKSD_lbbbEUlllE1_EE10hipError_tPvRmT2_T3_mT4_P12ihipStream_tbEUlT_E_NS1_11comp_targetILNS1_3genE9ELNS1_11target_archE1100ELNS1_3gpuE3ELNS1_3repE0EEENS1_30default_config_static_selectorELNS0_4arch9wavefront6targetE1EEEvT1_, .Lfunc_end64-_ZN7rocprim17ROCPRIM_400000_NS6detail17trampoline_kernelINS0_14default_configENS1_35adjacent_difference_config_selectorILb0ElEEZNS1_24adjacent_difference_implIS3_Lb0ELb0EPlS7_ZN2at6native12_GLOBAL__N_124unique_dim_cuda_templateIhEESt5tupleIJNS8_6TensorESD_SD_EERKSD_lbbbEUlllE1_EE10hipError_tPvRmT2_T3_mT4_P12ihipStream_tbEUlT_E_NS1_11comp_targetILNS1_3genE9ELNS1_11target_archE1100ELNS1_3gpuE3ELNS1_3repE0EEENS1_30default_config_static_selectorELNS0_4arch9wavefront6targetE1EEEvT1_
                                        ; -- End function
	.section	.AMDGPU.csdata,"",@progbits
; Kernel info:
; codeLenInByte = 0
; NumSgprs: 4
; NumVgprs: 0
; NumAgprs: 0
; TotalNumVgprs: 0
; ScratchSize: 0
; MemoryBound: 0
; FloatMode: 240
; IeeeMode: 1
; LDSByteSize: 0 bytes/workgroup (compile time only)
; SGPRBlocks: 0
; VGPRBlocks: 0
; NumSGPRsForWavesPerEU: 4
; NumVGPRsForWavesPerEU: 1
; AccumOffset: 4
; Occupancy: 8
; WaveLimiterHint : 0
; COMPUTE_PGM_RSRC2:SCRATCH_EN: 0
; COMPUTE_PGM_RSRC2:USER_SGPR: 6
; COMPUTE_PGM_RSRC2:TRAP_HANDLER: 0
; COMPUTE_PGM_RSRC2:TGID_X_EN: 1
; COMPUTE_PGM_RSRC2:TGID_Y_EN: 0
; COMPUTE_PGM_RSRC2:TGID_Z_EN: 0
; COMPUTE_PGM_RSRC2:TIDIG_COMP_CNT: 0
; COMPUTE_PGM_RSRC3_GFX90A:ACCUM_OFFSET: 0
; COMPUTE_PGM_RSRC3_GFX90A:TG_SPLIT: 0
	.section	.text._ZN7rocprim17ROCPRIM_400000_NS6detail17trampoline_kernelINS0_14default_configENS1_35adjacent_difference_config_selectorILb0ElEEZNS1_24adjacent_difference_implIS3_Lb0ELb0EPlS7_ZN2at6native12_GLOBAL__N_124unique_dim_cuda_templateIhEESt5tupleIJNS8_6TensorESD_SD_EERKSD_lbbbEUlllE1_EE10hipError_tPvRmT2_T3_mT4_P12ihipStream_tbEUlT_E_NS1_11comp_targetILNS1_3genE8ELNS1_11target_archE1030ELNS1_3gpuE2ELNS1_3repE0EEENS1_30default_config_static_selectorELNS0_4arch9wavefront6targetE1EEEvT1_,"axG",@progbits,_ZN7rocprim17ROCPRIM_400000_NS6detail17trampoline_kernelINS0_14default_configENS1_35adjacent_difference_config_selectorILb0ElEEZNS1_24adjacent_difference_implIS3_Lb0ELb0EPlS7_ZN2at6native12_GLOBAL__N_124unique_dim_cuda_templateIhEESt5tupleIJNS8_6TensorESD_SD_EERKSD_lbbbEUlllE1_EE10hipError_tPvRmT2_T3_mT4_P12ihipStream_tbEUlT_E_NS1_11comp_targetILNS1_3genE8ELNS1_11target_archE1030ELNS1_3gpuE2ELNS1_3repE0EEENS1_30default_config_static_selectorELNS0_4arch9wavefront6targetE1EEEvT1_,comdat
	.globl	_ZN7rocprim17ROCPRIM_400000_NS6detail17trampoline_kernelINS0_14default_configENS1_35adjacent_difference_config_selectorILb0ElEEZNS1_24adjacent_difference_implIS3_Lb0ELb0EPlS7_ZN2at6native12_GLOBAL__N_124unique_dim_cuda_templateIhEESt5tupleIJNS8_6TensorESD_SD_EERKSD_lbbbEUlllE1_EE10hipError_tPvRmT2_T3_mT4_P12ihipStream_tbEUlT_E_NS1_11comp_targetILNS1_3genE8ELNS1_11target_archE1030ELNS1_3gpuE2ELNS1_3repE0EEENS1_30default_config_static_selectorELNS0_4arch9wavefront6targetE1EEEvT1_ ; -- Begin function _ZN7rocprim17ROCPRIM_400000_NS6detail17trampoline_kernelINS0_14default_configENS1_35adjacent_difference_config_selectorILb0ElEEZNS1_24adjacent_difference_implIS3_Lb0ELb0EPlS7_ZN2at6native12_GLOBAL__N_124unique_dim_cuda_templateIhEESt5tupleIJNS8_6TensorESD_SD_EERKSD_lbbbEUlllE1_EE10hipError_tPvRmT2_T3_mT4_P12ihipStream_tbEUlT_E_NS1_11comp_targetILNS1_3genE8ELNS1_11target_archE1030ELNS1_3gpuE2ELNS1_3repE0EEENS1_30default_config_static_selectorELNS0_4arch9wavefront6targetE1EEEvT1_
	.p2align	8
	.type	_ZN7rocprim17ROCPRIM_400000_NS6detail17trampoline_kernelINS0_14default_configENS1_35adjacent_difference_config_selectorILb0ElEEZNS1_24adjacent_difference_implIS3_Lb0ELb0EPlS7_ZN2at6native12_GLOBAL__N_124unique_dim_cuda_templateIhEESt5tupleIJNS8_6TensorESD_SD_EERKSD_lbbbEUlllE1_EE10hipError_tPvRmT2_T3_mT4_P12ihipStream_tbEUlT_E_NS1_11comp_targetILNS1_3genE8ELNS1_11target_archE1030ELNS1_3gpuE2ELNS1_3repE0EEENS1_30default_config_static_selectorELNS0_4arch9wavefront6targetE1EEEvT1_,@function
_ZN7rocprim17ROCPRIM_400000_NS6detail17trampoline_kernelINS0_14default_configENS1_35adjacent_difference_config_selectorILb0ElEEZNS1_24adjacent_difference_implIS3_Lb0ELb0EPlS7_ZN2at6native12_GLOBAL__N_124unique_dim_cuda_templateIhEESt5tupleIJNS8_6TensorESD_SD_EERKSD_lbbbEUlllE1_EE10hipError_tPvRmT2_T3_mT4_P12ihipStream_tbEUlT_E_NS1_11comp_targetILNS1_3genE8ELNS1_11target_archE1030ELNS1_3gpuE2ELNS1_3repE0EEENS1_30default_config_static_selectorELNS0_4arch9wavefront6targetE1EEEvT1_: ; @_ZN7rocprim17ROCPRIM_400000_NS6detail17trampoline_kernelINS0_14default_configENS1_35adjacent_difference_config_selectorILb0ElEEZNS1_24adjacent_difference_implIS3_Lb0ELb0EPlS7_ZN2at6native12_GLOBAL__N_124unique_dim_cuda_templateIhEESt5tupleIJNS8_6TensorESD_SD_EERKSD_lbbbEUlllE1_EE10hipError_tPvRmT2_T3_mT4_P12ihipStream_tbEUlT_E_NS1_11comp_targetILNS1_3genE8ELNS1_11target_archE1030ELNS1_3gpuE2ELNS1_3repE0EEENS1_30default_config_static_selectorELNS0_4arch9wavefront6targetE1EEEvT1_
; %bb.0:
	.section	.rodata,"a",@progbits
	.p2align	6, 0x0
	.amdhsa_kernel _ZN7rocprim17ROCPRIM_400000_NS6detail17trampoline_kernelINS0_14default_configENS1_35adjacent_difference_config_selectorILb0ElEEZNS1_24adjacent_difference_implIS3_Lb0ELb0EPlS7_ZN2at6native12_GLOBAL__N_124unique_dim_cuda_templateIhEESt5tupleIJNS8_6TensorESD_SD_EERKSD_lbbbEUlllE1_EE10hipError_tPvRmT2_T3_mT4_P12ihipStream_tbEUlT_E_NS1_11comp_targetILNS1_3genE8ELNS1_11target_archE1030ELNS1_3gpuE2ELNS1_3repE0EEENS1_30default_config_static_selectorELNS0_4arch9wavefront6targetE1EEEvT1_
		.amdhsa_group_segment_fixed_size 0
		.amdhsa_private_segment_fixed_size 0
		.amdhsa_kernarg_size 64
		.amdhsa_user_sgpr_count 6
		.amdhsa_user_sgpr_private_segment_buffer 1
		.amdhsa_user_sgpr_dispatch_ptr 0
		.amdhsa_user_sgpr_queue_ptr 0
		.amdhsa_user_sgpr_kernarg_segment_ptr 1
		.amdhsa_user_sgpr_dispatch_id 0
		.amdhsa_user_sgpr_flat_scratch_init 0
		.amdhsa_user_sgpr_kernarg_preload_length 0
		.amdhsa_user_sgpr_kernarg_preload_offset 0
		.amdhsa_user_sgpr_private_segment_size 0
		.amdhsa_uses_dynamic_stack 0
		.amdhsa_system_sgpr_private_segment_wavefront_offset 0
		.amdhsa_system_sgpr_workgroup_id_x 1
		.amdhsa_system_sgpr_workgroup_id_y 0
		.amdhsa_system_sgpr_workgroup_id_z 0
		.amdhsa_system_sgpr_workgroup_info 0
		.amdhsa_system_vgpr_workitem_id 0
		.amdhsa_next_free_vgpr 1
		.amdhsa_next_free_sgpr 0
		.amdhsa_accum_offset 4
		.amdhsa_reserve_vcc 0
		.amdhsa_reserve_flat_scratch 0
		.amdhsa_float_round_mode_32 0
		.amdhsa_float_round_mode_16_64 0
		.amdhsa_float_denorm_mode_32 3
		.amdhsa_float_denorm_mode_16_64 3
		.amdhsa_dx10_clamp 1
		.amdhsa_ieee_mode 1
		.amdhsa_fp16_overflow 0
		.amdhsa_tg_split 0
		.amdhsa_exception_fp_ieee_invalid_op 0
		.amdhsa_exception_fp_denorm_src 0
		.amdhsa_exception_fp_ieee_div_zero 0
		.amdhsa_exception_fp_ieee_overflow 0
		.amdhsa_exception_fp_ieee_underflow 0
		.amdhsa_exception_fp_ieee_inexact 0
		.amdhsa_exception_int_div_zero 0
	.end_amdhsa_kernel
	.section	.text._ZN7rocprim17ROCPRIM_400000_NS6detail17trampoline_kernelINS0_14default_configENS1_35adjacent_difference_config_selectorILb0ElEEZNS1_24adjacent_difference_implIS3_Lb0ELb0EPlS7_ZN2at6native12_GLOBAL__N_124unique_dim_cuda_templateIhEESt5tupleIJNS8_6TensorESD_SD_EERKSD_lbbbEUlllE1_EE10hipError_tPvRmT2_T3_mT4_P12ihipStream_tbEUlT_E_NS1_11comp_targetILNS1_3genE8ELNS1_11target_archE1030ELNS1_3gpuE2ELNS1_3repE0EEENS1_30default_config_static_selectorELNS0_4arch9wavefront6targetE1EEEvT1_,"axG",@progbits,_ZN7rocprim17ROCPRIM_400000_NS6detail17trampoline_kernelINS0_14default_configENS1_35adjacent_difference_config_selectorILb0ElEEZNS1_24adjacent_difference_implIS3_Lb0ELb0EPlS7_ZN2at6native12_GLOBAL__N_124unique_dim_cuda_templateIhEESt5tupleIJNS8_6TensorESD_SD_EERKSD_lbbbEUlllE1_EE10hipError_tPvRmT2_T3_mT4_P12ihipStream_tbEUlT_E_NS1_11comp_targetILNS1_3genE8ELNS1_11target_archE1030ELNS1_3gpuE2ELNS1_3repE0EEENS1_30default_config_static_selectorELNS0_4arch9wavefront6targetE1EEEvT1_,comdat
.Lfunc_end65:
	.size	_ZN7rocprim17ROCPRIM_400000_NS6detail17trampoline_kernelINS0_14default_configENS1_35adjacent_difference_config_selectorILb0ElEEZNS1_24adjacent_difference_implIS3_Lb0ELb0EPlS7_ZN2at6native12_GLOBAL__N_124unique_dim_cuda_templateIhEESt5tupleIJNS8_6TensorESD_SD_EERKSD_lbbbEUlllE1_EE10hipError_tPvRmT2_T3_mT4_P12ihipStream_tbEUlT_E_NS1_11comp_targetILNS1_3genE8ELNS1_11target_archE1030ELNS1_3gpuE2ELNS1_3repE0EEENS1_30default_config_static_selectorELNS0_4arch9wavefront6targetE1EEEvT1_, .Lfunc_end65-_ZN7rocprim17ROCPRIM_400000_NS6detail17trampoline_kernelINS0_14default_configENS1_35adjacent_difference_config_selectorILb0ElEEZNS1_24adjacent_difference_implIS3_Lb0ELb0EPlS7_ZN2at6native12_GLOBAL__N_124unique_dim_cuda_templateIhEESt5tupleIJNS8_6TensorESD_SD_EERKSD_lbbbEUlllE1_EE10hipError_tPvRmT2_T3_mT4_P12ihipStream_tbEUlT_E_NS1_11comp_targetILNS1_3genE8ELNS1_11target_archE1030ELNS1_3gpuE2ELNS1_3repE0EEENS1_30default_config_static_selectorELNS0_4arch9wavefront6targetE1EEEvT1_
                                        ; -- End function
	.section	.AMDGPU.csdata,"",@progbits
; Kernel info:
; codeLenInByte = 0
; NumSgprs: 4
; NumVgprs: 0
; NumAgprs: 0
; TotalNumVgprs: 0
; ScratchSize: 0
; MemoryBound: 0
; FloatMode: 240
; IeeeMode: 1
; LDSByteSize: 0 bytes/workgroup (compile time only)
; SGPRBlocks: 0
; VGPRBlocks: 0
; NumSGPRsForWavesPerEU: 4
; NumVGPRsForWavesPerEU: 1
; AccumOffset: 4
; Occupancy: 8
; WaveLimiterHint : 0
; COMPUTE_PGM_RSRC2:SCRATCH_EN: 0
; COMPUTE_PGM_RSRC2:USER_SGPR: 6
; COMPUTE_PGM_RSRC2:TRAP_HANDLER: 0
; COMPUTE_PGM_RSRC2:TGID_X_EN: 1
; COMPUTE_PGM_RSRC2:TGID_Y_EN: 0
; COMPUTE_PGM_RSRC2:TGID_Z_EN: 0
; COMPUTE_PGM_RSRC2:TIDIG_COMP_CNT: 0
; COMPUTE_PGM_RSRC3_GFX90A:ACCUM_OFFSET: 0
; COMPUTE_PGM_RSRC3_GFX90A:TG_SPLIT: 0
	.section	.text._ZN7rocprim17ROCPRIM_400000_NS6detail17trampoline_kernelINS0_14default_configENS1_25transform_config_selectorIlLb0EEEZNS1_14transform_implILb0ES3_S5_NS0_18transform_iteratorINS0_17counting_iteratorImlEEZNS1_24adjacent_difference_implIS3_Lb1ELb0EPlSB_ZN2at6native12_GLOBAL__N_124unique_dim_cuda_templateIhEESt5tupleIJNSC_6TensorESH_SH_EERKSH_lbbbEUlllE1_EE10hipError_tPvRmT2_T3_mT4_P12ihipStream_tbEUlmE_lEESB_NS0_8identityIvEEEESM_SP_SQ_mSR_ST_bEUlT_E_NS1_11comp_targetILNS1_3genE0ELNS1_11target_archE4294967295ELNS1_3gpuE0ELNS1_3repE0EEENS1_30default_config_static_selectorELNS0_4arch9wavefront6targetE1EEEvT1_,"axG",@progbits,_ZN7rocprim17ROCPRIM_400000_NS6detail17trampoline_kernelINS0_14default_configENS1_25transform_config_selectorIlLb0EEEZNS1_14transform_implILb0ES3_S5_NS0_18transform_iteratorINS0_17counting_iteratorImlEEZNS1_24adjacent_difference_implIS3_Lb1ELb0EPlSB_ZN2at6native12_GLOBAL__N_124unique_dim_cuda_templateIhEESt5tupleIJNSC_6TensorESH_SH_EERKSH_lbbbEUlllE1_EE10hipError_tPvRmT2_T3_mT4_P12ihipStream_tbEUlmE_lEESB_NS0_8identityIvEEEESM_SP_SQ_mSR_ST_bEUlT_E_NS1_11comp_targetILNS1_3genE0ELNS1_11target_archE4294967295ELNS1_3gpuE0ELNS1_3repE0EEENS1_30default_config_static_selectorELNS0_4arch9wavefront6targetE1EEEvT1_,comdat
	.globl	_ZN7rocprim17ROCPRIM_400000_NS6detail17trampoline_kernelINS0_14default_configENS1_25transform_config_selectorIlLb0EEEZNS1_14transform_implILb0ES3_S5_NS0_18transform_iteratorINS0_17counting_iteratorImlEEZNS1_24adjacent_difference_implIS3_Lb1ELb0EPlSB_ZN2at6native12_GLOBAL__N_124unique_dim_cuda_templateIhEESt5tupleIJNSC_6TensorESH_SH_EERKSH_lbbbEUlllE1_EE10hipError_tPvRmT2_T3_mT4_P12ihipStream_tbEUlmE_lEESB_NS0_8identityIvEEEESM_SP_SQ_mSR_ST_bEUlT_E_NS1_11comp_targetILNS1_3genE0ELNS1_11target_archE4294967295ELNS1_3gpuE0ELNS1_3repE0EEENS1_30default_config_static_selectorELNS0_4arch9wavefront6targetE1EEEvT1_ ; -- Begin function _ZN7rocprim17ROCPRIM_400000_NS6detail17trampoline_kernelINS0_14default_configENS1_25transform_config_selectorIlLb0EEEZNS1_14transform_implILb0ES3_S5_NS0_18transform_iteratorINS0_17counting_iteratorImlEEZNS1_24adjacent_difference_implIS3_Lb1ELb0EPlSB_ZN2at6native12_GLOBAL__N_124unique_dim_cuda_templateIhEESt5tupleIJNSC_6TensorESH_SH_EERKSH_lbbbEUlllE1_EE10hipError_tPvRmT2_T3_mT4_P12ihipStream_tbEUlmE_lEESB_NS0_8identityIvEEEESM_SP_SQ_mSR_ST_bEUlT_E_NS1_11comp_targetILNS1_3genE0ELNS1_11target_archE4294967295ELNS1_3gpuE0ELNS1_3repE0EEENS1_30default_config_static_selectorELNS0_4arch9wavefront6targetE1EEEvT1_
	.p2align	8
	.type	_ZN7rocprim17ROCPRIM_400000_NS6detail17trampoline_kernelINS0_14default_configENS1_25transform_config_selectorIlLb0EEEZNS1_14transform_implILb0ES3_S5_NS0_18transform_iteratorINS0_17counting_iteratorImlEEZNS1_24adjacent_difference_implIS3_Lb1ELb0EPlSB_ZN2at6native12_GLOBAL__N_124unique_dim_cuda_templateIhEESt5tupleIJNSC_6TensorESH_SH_EERKSH_lbbbEUlllE1_EE10hipError_tPvRmT2_T3_mT4_P12ihipStream_tbEUlmE_lEESB_NS0_8identityIvEEEESM_SP_SQ_mSR_ST_bEUlT_E_NS1_11comp_targetILNS1_3genE0ELNS1_11target_archE4294967295ELNS1_3gpuE0ELNS1_3repE0EEENS1_30default_config_static_selectorELNS0_4arch9wavefront6targetE1EEEvT1_,@function
_ZN7rocprim17ROCPRIM_400000_NS6detail17trampoline_kernelINS0_14default_configENS1_25transform_config_selectorIlLb0EEEZNS1_14transform_implILb0ES3_S5_NS0_18transform_iteratorINS0_17counting_iteratorImlEEZNS1_24adjacent_difference_implIS3_Lb1ELb0EPlSB_ZN2at6native12_GLOBAL__N_124unique_dim_cuda_templateIhEESt5tupleIJNSC_6TensorESH_SH_EERKSH_lbbbEUlllE1_EE10hipError_tPvRmT2_T3_mT4_P12ihipStream_tbEUlmE_lEESB_NS0_8identityIvEEEESM_SP_SQ_mSR_ST_bEUlT_E_NS1_11comp_targetILNS1_3genE0ELNS1_11target_archE4294967295ELNS1_3gpuE0ELNS1_3repE0EEENS1_30default_config_static_selectorELNS0_4arch9wavefront6targetE1EEEvT1_: ; @_ZN7rocprim17ROCPRIM_400000_NS6detail17trampoline_kernelINS0_14default_configENS1_25transform_config_selectorIlLb0EEEZNS1_14transform_implILb0ES3_S5_NS0_18transform_iteratorINS0_17counting_iteratorImlEEZNS1_24adjacent_difference_implIS3_Lb1ELb0EPlSB_ZN2at6native12_GLOBAL__N_124unique_dim_cuda_templateIhEESt5tupleIJNSC_6TensorESH_SH_EERKSH_lbbbEUlllE1_EE10hipError_tPvRmT2_T3_mT4_P12ihipStream_tbEUlmE_lEESB_NS0_8identityIvEEEESM_SP_SQ_mSR_ST_bEUlT_E_NS1_11comp_targetILNS1_3genE0ELNS1_11target_archE4294967295ELNS1_3gpuE0ELNS1_3repE0EEENS1_30default_config_static_selectorELNS0_4arch9wavefront6targetE1EEEvT1_
; %bb.0:
	.section	.rodata,"a",@progbits
	.p2align	6, 0x0
	.amdhsa_kernel _ZN7rocprim17ROCPRIM_400000_NS6detail17trampoline_kernelINS0_14default_configENS1_25transform_config_selectorIlLb0EEEZNS1_14transform_implILb0ES3_S5_NS0_18transform_iteratorINS0_17counting_iteratorImlEEZNS1_24adjacent_difference_implIS3_Lb1ELb0EPlSB_ZN2at6native12_GLOBAL__N_124unique_dim_cuda_templateIhEESt5tupleIJNSC_6TensorESH_SH_EERKSH_lbbbEUlllE1_EE10hipError_tPvRmT2_T3_mT4_P12ihipStream_tbEUlmE_lEESB_NS0_8identityIvEEEESM_SP_SQ_mSR_ST_bEUlT_E_NS1_11comp_targetILNS1_3genE0ELNS1_11target_archE4294967295ELNS1_3gpuE0ELNS1_3repE0EEENS1_30default_config_static_selectorELNS0_4arch9wavefront6targetE1EEEvT1_
		.amdhsa_group_segment_fixed_size 0
		.amdhsa_private_segment_fixed_size 0
		.amdhsa_kernarg_size 56
		.amdhsa_user_sgpr_count 6
		.amdhsa_user_sgpr_private_segment_buffer 1
		.amdhsa_user_sgpr_dispatch_ptr 0
		.amdhsa_user_sgpr_queue_ptr 0
		.amdhsa_user_sgpr_kernarg_segment_ptr 1
		.amdhsa_user_sgpr_dispatch_id 0
		.amdhsa_user_sgpr_flat_scratch_init 0
		.amdhsa_user_sgpr_kernarg_preload_length 0
		.amdhsa_user_sgpr_kernarg_preload_offset 0
		.amdhsa_user_sgpr_private_segment_size 0
		.amdhsa_uses_dynamic_stack 0
		.amdhsa_system_sgpr_private_segment_wavefront_offset 0
		.amdhsa_system_sgpr_workgroup_id_x 1
		.amdhsa_system_sgpr_workgroup_id_y 0
		.amdhsa_system_sgpr_workgroup_id_z 0
		.amdhsa_system_sgpr_workgroup_info 0
		.amdhsa_system_vgpr_workitem_id 0
		.amdhsa_next_free_vgpr 1
		.amdhsa_next_free_sgpr 0
		.amdhsa_accum_offset 4
		.amdhsa_reserve_vcc 0
		.amdhsa_reserve_flat_scratch 0
		.amdhsa_float_round_mode_32 0
		.amdhsa_float_round_mode_16_64 0
		.amdhsa_float_denorm_mode_32 3
		.amdhsa_float_denorm_mode_16_64 3
		.amdhsa_dx10_clamp 1
		.amdhsa_ieee_mode 1
		.amdhsa_fp16_overflow 0
		.amdhsa_tg_split 0
		.amdhsa_exception_fp_ieee_invalid_op 0
		.amdhsa_exception_fp_denorm_src 0
		.amdhsa_exception_fp_ieee_div_zero 0
		.amdhsa_exception_fp_ieee_overflow 0
		.amdhsa_exception_fp_ieee_underflow 0
		.amdhsa_exception_fp_ieee_inexact 0
		.amdhsa_exception_int_div_zero 0
	.end_amdhsa_kernel
	.section	.text._ZN7rocprim17ROCPRIM_400000_NS6detail17trampoline_kernelINS0_14default_configENS1_25transform_config_selectorIlLb0EEEZNS1_14transform_implILb0ES3_S5_NS0_18transform_iteratorINS0_17counting_iteratorImlEEZNS1_24adjacent_difference_implIS3_Lb1ELb0EPlSB_ZN2at6native12_GLOBAL__N_124unique_dim_cuda_templateIhEESt5tupleIJNSC_6TensorESH_SH_EERKSH_lbbbEUlllE1_EE10hipError_tPvRmT2_T3_mT4_P12ihipStream_tbEUlmE_lEESB_NS0_8identityIvEEEESM_SP_SQ_mSR_ST_bEUlT_E_NS1_11comp_targetILNS1_3genE0ELNS1_11target_archE4294967295ELNS1_3gpuE0ELNS1_3repE0EEENS1_30default_config_static_selectorELNS0_4arch9wavefront6targetE1EEEvT1_,"axG",@progbits,_ZN7rocprim17ROCPRIM_400000_NS6detail17trampoline_kernelINS0_14default_configENS1_25transform_config_selectorIlLb0EEEZNS1_14transform_implILb0ES3_S5_NS0_18transform_iteratorINS0_17counting_iteratorImlEEZNS1_24adjacent_difference_implIS3_Lb1ELb0EPlSB_ZN2at6native12_GLOBAL__N_124unique_dim_cuda_templateIhEESt5tupleIJNSC_6TensorESH_SH_EERKSH_lbbbEUlllE1_EE10hipError_tPvRmT2_T3_mT4_P12ihipStream_tbEUlmE_lEESB_NS0_8identityIvEEEESM_SP_SQ_mSR_ST_bEUlT_E_NS1_11comp_targetILNS1_3genE0ELNS1_11target_archE4294967295ELNS1_3gpuE0ELNS1_3repE0EEENS1_30default_config_static_selectorELNS0_4arch9wavefront6targetE1EEEvT1_,comdat
.Lfunc_end66:
	.size	_ZN7rocprim17ROCPRIM_400000_NS6detail17trampoline_kernelINS0_14default_configENS1_25transform_config_selectorIlLb0EEEZNS1_14transform_implILb0ES3_S5_NS0_18transform_iteratorINS0_17counting_iteratorImlEEZNS1_24adjacent_difference_implIS3_Lb1ELb0EPlSB_ZN2at6native12_GLOBAL__N_124unique_dim_cuda_templateIhEESt5tupleIJNSC_6TensorESH_SH_EERKSH_lbbbEUlllE1_EE10hipError_tPvRmT2_T3_mT4_P12ihipStream_tbEUlmE_lEESB_NS0_8identityIvEEEESM_SP_SQ_mSR_ST_bEUlT_E_NS1_11comp_targetILNS1_3genE0ELNS1_11target_archE4294967295ELNS1_3gpuE0ELNS1_3repE0EEENS1_30default_config_static_selectorELNS0_4arch9wavefront6targetE1EEEvT1_, .Lfunc_end66-_ZN7rocprim17ROCPRIM_400000_NS6detail17trampoline_kernelINS0_14default_configENS1_25transform_config_selectorIlLb0EEEZNS1_14transform_implILb0ES3_S5_NS0_18transform_iteratorINS0_17counting_iteratorImlEEZNS1_24adjacent_difference_implIS3_Lb1ELb0EPlSB_ZN2at6native12_GLOBAL__N_124unique_dim_cuda_templateIhEESt5tupleIJNSC_6TensorESH_SH_EERKSH_lbbbEUlllE1_EE10hipError_tPvRmT2_T3_mT4_P12ihipStream_tbEUlmE_lEESB_NS0_8identityIvEEEESM_SP_SQ_mSR_ST_bEUlT_E_NS1_11comp_targetILNS1_3genE0ELNS1_11target_archE4294967295ELNS1_3gpuE0ELNS1_3repE0EEENS1_30default_config_static_selectorELNS0_4arch9wavefront6targetE1EEEvT1_
                                        ; -- End function
	.section	.AMDGPU.csdata,"",@progbits
; Kernel info:
; codeLenInByte = 0
; NumSgprs: 4
; NumVgprs: 0
; NumAgprs: 0
; TotalNumVgprs: 0
; ScratchSize: 0
; MemoryBound: 0
; FloatMode: 240
; IeeeMode: 1
; LDSByteSize: 0 bytes/workgroup (compile time only)
; SGPRBlocks: 0
; VGPRBlocks: 0
; NumSGPRsForWavesPerEU: 4
; NumVGPRsForWavesPerEU: 1
; AccumOffset: 4
; Occupancy: 8
; WaveLimiterHint : 0
; COMPUTE_PGM_RSRC2:SCRATCH_EN: 0
; COMPUTE_PGM_RSRC2:USER_SGPR: 6
; COMPUTE_PGM_RSRC2:TRAP_HANDLER: 0
; COMPUTE_PGM_RSRC2:TGID_X_EN: 1
; COMPUTE_PGM_RSRC2:TGID_Y_EN: 0
; COMPUTE_PGM_RSRC2:TGID_Z_EN: 0
; COMPUTE_PGM_RSRC2:TIDIG_COMP_CNT: 0
; COMPUTE_PGM_RSRC3_GFX90A:ACCUM_OFFSET: 0
; COMPUTE_PGM_RSRC3_GFX90A:TG_SPLIT: 0
	.section	.text._ZN7rocprim17ROCPRIM_400000_NS6detail17trampoline_kernelINS0_14default_configENS1_25transform_config_selectorIlLb0EEEZNS1_14transform_implILb0ES3_S5_NS0_18transform_iteratorINS0_17counting_iteratorImlEEZNS1_24adjacent_difference_implIS3_Lb1ELb0EPlSB_ZN2at6native12_GLOBAL__N_124unique_dim_cuda_templateIhEESt5tupleIJNSC_6TensorESH_SH_EERKSH_lbbbEUlllE1_EE10hipError_tPvRmT2_T3_mT4_P12ihipStream_tbEUlmE_lEESB_NS0_8identityIvEEEESM_SP_SQ_mSR_ST_bEUlT_E_NS1_11comp_targetILNS1_3genE5ELNS1_11target_archE942ELNS1_3gpuE9ELNS1_3repE0EEENS1_30default_config_static_selectorELNS0_4arch9wavefront6targetE1EEEvT1_,"axG",@progbits,_ZN7rocprim17ROCPRIM_400000_NS6detail17trampoline_kernelINS0_14default_configENS1_25transform_config_selectorIlLb0EEEZNS1_14transform_implILb0ES3_S5_NS0_18transform_iteratorINS0_17counting_iteratorImlEEZNS1_24adjacent_difference_implIS3_Lb1ELb0EPlSB_ZN2at6native12_GLOBAL__N_124unique_dim_cuda_templateIhEESt5tupleIJNSC_6TensorESH_SH_EERKSH_lbbbEUlllE1_EE10hipError_tPvRmT2_T3_mT4_P12ihipStream_tbEUlmE_lEESB_NS0_8identityIvEEEESM_SP_SQ_mSR_ST_bEUlT_E_NS1_11comp_targetILNS1_3genE5ELNS1_11target_archE942ELNS1_3gpuE9ELNS1_3repE0EEENS1_30default_config_static_selectorELNS0_4arch9wavefront6targetE1EEEvT1_,comdat
	.globl	_ZN7rocprim17ROCPRIM_400000_NS6detail17trampoline_kernelINS0_14default_configENS1_25transform_config_selectorIlLb0EEEZNS1_14transform_implILb0ES3_S5_NS0_18transform_iteratorINS0_17counting_iteratorImlEEZNS1_24adjacent_difference_implIS3_Lb1ELb0EPlSB_ZN2at6native12_GLOBAL__N_124unique_dim_cuda_templateIhEESt5tupleIJNSC_6TensorESH_SH_EERKSH_lbbbEUlllE1_EE10hipError_tPvRmT2_T3_mT4_P12ihipStream_tbEUlmE_lEESB_NS0_8identityIvEEEESM_SP_SQ_mSR_ST_bEUlT_E_NS1_11comp_targetILNS1_3genE5ELNS1_11target_archE942ELNS1_3gpuE9ELNS1_3repE0EEENS1_30default_config_static_selectorELNS0_4arch9wavefront6targetE1EEEvT1_ ; -- Begin function _ZN7rocprim17ROCPRIM_400000_NS6detail17trampoline_kernelINS0_14default_configENS1_25transform_config_selectorIlLb0EEEZNS1_14transform_implILb0ES3_S5_NS0_18transform_iteratorINS0_17counting_iteratorImlEEZNS1_24adjacent_difference_implIS3_Lb1ELb0EPlSB_ZN2at6native12_GLOBAL__N_124unique_dim_cuda_templateIhEESt5tupleIJNSC_6TensorESH_SH_EERKSH_lbbbEUlllE1_EE10hipError_tPvRmT2_T3_mT4_P12ihipStream_tbEUlmE_lEESB_NS0_8identityIvEEEESM_SP_SQ_mSR_ST_bEUlT_E_NS1_11comp_targetILNS1_3genE5ELNS1_11target_archE942ELNS1_3gpuE9ELNS1_3repE0EEENS1_30default_config_static_selectorELNS0_4arch9wavefront6targetE1EEEvT1_
	.p2align	8
	.type	_ZN7rocprim17ROCPRIM_400000_NS6detail17trampoline_kernelINS0_14default_configENS1_25transform_config_selectorIlLb0EEEZNS1_14transform_implILb0ES3_S5_NS0_18transform_iteratorINS0_17counting_iteratorImlEEZNS1_24adjacent_difference_implIS3_Lb1ELb0EPlSB_ZN2at6native12_GLOBAL__N_124unique_dim_cuda_templateIhEESt5tupleIJNSC_6TensorESH_SH_EERKSH_lbbbEUlllE1_EE10hipError_tPvRmT2_T3_mT4_P12ihipStream_tbEUlmE_lEESB_NS0_8identityIvEEEESM_SP_SQ_mSR_ST_bEUlT_E_NS1_11comp_targetILNS1_3genE5ELNS1_11target_archE942ELNS1_3gpuE9ELNS1_3repE0EEENS1_30default_config_static_selectorELNS0_4arch9wavefront6targetE1EEEvT1_,@function
_ZN7rocprim17ROCPRIM_400000_NS6detail17trampoline_kernelINS0_14default_configENS1_25transform_config_selectorIlLb0EEEZNS1_14transform_implILb0ES3_S5_NS0_18transform_iteratorINS0_17counting_iteratorImlEEZNS1_24adjacent_difference_implIS3_Lb1ELb0EPlSB_ZN2at6native12_GLOBAL__N_124unique_dim_cuda_templateIhEESt5tupleIJNSC_6TensorESH_SH_EERKSH_lbbbEUlllE1_EE10hipError_tPvRmT2_T3_mT4_P12ihipStream_tbEUlmE_lEESB_NS0_8identityIvEEEESM_SP_SQ_mSR_ST_bEUlT_E_NS1_11comp_targetILNS1_3genE5ELNS1_11target_archE942ELNS1_3gpuE9ELNS1_3repE0EEENS1_30default_config_static_selectorELNS0_4arch9wavefront6targetE1EEEvT1_: ; @_ZN7rocprim17ROCPRIM_400000_NS6detail17trampoline_kernelINS0_14default_configENS1_25transform_config_selectorIlLb0EEEZNS1_14transform_implILb0ES3_S5_NS0_18transform_iteratorINS0_17counting_iteratorImlEEZNS1_24adjacent_difference_implIS3_Lb1ELb0EPlSB_ZN2at6native12_GLOBAL__N_124unique_dim_cuda_templateIhEESt5tupleIJNSC_6TensorESH_SH_EERKSH_lbbbEUlllE1_EE10hipError_tPvRmT2_T3_mT4_P12ihipStream_tbEUlmE_lEESB_NS0_8identityIvEEEESM_SP_SQ_mSR_ST_bEUlT_E_NS1_11comp_targetILNS1_3genE5ELNS1_11target_archE942ELNS1_3gpuE9ELNS1_3repE0EEENS1_30default_config_static_selectorELNS0_4arch9wavefront6targetE1EEEvT1_
; %bb.0:
	.section	.rodata,"a",@progbits
	.p2align	6, 0x0
	.amdhsa_kernel _ZN7rocprim17ROCPRIM_400000_NS6detail17trampoline_kernelINS0_14default_configENS1_25transform_config_selectorIlLb0EEEZNS1_14transform_implILb0ES3_S5_NS0_18transform_iteratorINS0_17counting_iteratorImlEEZNS1_24adjacent_difference_implIS3_Lb1ELb0EPlSB_ZN2at6native12_GLOBAL__N_124unique_dim_cuda_templateIhEESt5tupleIJNSC_6TensorESH_SH_EERKSH_lbbbEUlllE1_EE10hipError_tPvRmT2_T3_mT4_P12ihipStream_tbEUlmE_lEESB_NS0_8identityIvEEEESM_SP_SQ_mSR_ST_bEUlT_E_NS1_11comp_targetILNS1_3genE5ELNS1_11target_archE942ELNS1_3gpuE9ELNS1_3repE0EEENS1_30default_config_static_selectorELNS0_4arch9wavefront6targetE1EEEvT1_
		.amdhsa_group_segment_fixed_size 0
		.amdhsa_private_segment_fixed_size 0
		.amdhsa_kernarg_size 56
		.amdhsa_user_sgpr_count 6
		.amdhsa_user_sgpr_private_segment_buffer 1
		.amdhsa_user_sgpr_dispatch_ptr 0
		.amdhsa_user_sgpr_queue_ptr 0
		.amdhsa_user_sgpr_kernarg_segment_ptr 1
		.amdhsa_user_sgpr_dispatch_id 0
		.amdhsa_user_sgpr_flat_scratch_init 0
		.amdhsa_user_sgpr_kernarg_preload_length 0
		.amdhsa_user_sgpr_kernarg_preload_offset 0
		.amdhsa_user_sgpr_private_segment_size 0
		.amdhsa_uses_dynamic_stack 0
		.amdhsa_system_sgpr_private_segment_wavefront_offset 0
		.amdhsa_system_sgpr_workgroup_id_x 1
		.amdhsa_system_sgpr_workgroup_id_y 0
		.amdhsa_system_sgpr_workgroup_id_z 0
		.amdhsa_system_sgpr_workgroup_info 0
		.amdhsa_system_vgpr_workitem_id 0
		.amdhsa_next_free_vgpr 1
		.amdhsa_next_free_sgpr 0
		.amdhsa_accum_offset 4
		.amdhsa_reserve_vcc 0
		.amdhsa_reserve_flat_scratch 0
		.amdhsa_float_round_mode_32 0
		.amdhsa_float_round_mode_16_64 0
		.amdhsa_float_denorm_mode_32 3
		.amdhsa_float_denorm_mode_16_64 3
		.amdhsa_dx10_clamp 1
		.amdhsa_ieee_mode 1
		.amdhsa_fp16_overflow 0
		.amdhsa_tg_split 0
		.amdhsa_exception_fp_ieee_invalid_op 0
		.amdhsa_exception_fp_denorm_src 0
		.amdhsa_exception_fp_ieee_div_zero 0
		.amdhsa_exception_fp_ieee_overflow 0
		.amdhsa_exception_fp_ieee_underflow 0
		.amdhsa_exception_fp_ieee_inexact 0
		.amdhsa_exception_int_div_zero 0
	.end_amdhsa_kernel
	.section	.text._ZN7rocprim17ROCPRIM_400000_NS6detail17trampoline_kernelINS0_14default_configENS1_25transform_config_selectorIlLb0EEEZNS1_14transform_implILb0ES3_S5_NS0_18transform_iteratorINS0_17counting_iteratorImlEEZNS1_24adjacent_difference_implIS3_Lb1ELb0EPlSB_ZN2at6native12_GLOBAL__N_124unique_dim_cuda_templateIhEESt5tupleIJNSC_6TensorESH_SH_EERKSH_lbbbEUlllE1_EE10hipError_tPvRmT2_T3_mT4_P12ihipStream_tbEUlmE_lEESB_NS0_8identityIvEEEESM_SP_SQ_mSR_ST_bEUlT_E_NS1_11comp_targetILNS1_3genE5ELNS1_11target_archE942ELNS1_3gpuE9ELNS1_3repE0EEENS1_30default_config_static_selectorELNS0_4arch9wavefront6targetE1EEEvT1_,"axG",@progbits,_ZN7rocprim17ROCPRIM_400000_NS6detail17trampoline_kernelINS0_14default_configENS1_25transform_config_selectorIlLb0EEEZNS1_14transform_implILb0ES3_S5_NS0_18transform_iteratorINS0_17counting_iteratorImlEEZNS1_24adjacent_difference_implIS3_Lb1ELb0EPlSB_ZN2at6native12_GLOBAL__N_124unique_dim_cuda_templateIhEESt5tupleIJNSC_6TensorESH_SH_EERKSH_lbbbEUlllE1_EE10hipError_tPvRmT2_T3_mT4_P12ihipStream_tbEUlmE_lEESB_NS0_8identityIvEEEESM_SP_SQ_mSR_ST_bEUlT_E_NS1_11comp_targetILNS1_3genE5ELNS1_11target_archE942ELNS1_3gpuE9ELNS1_3repE0EEENS1_30default_config_static_selectorELNS0_4arch9wavefront6targetE1EEEvT1_,comdat
.Lfunc_end67:
	.size	_ZN7rocprim17ROCPRIM_400000_NS6detail17trampoline_kernelINS0_14default_configENS1_25transform_config_selectorIlLb0EEEZNS1_14transform_implILb0ES3_S5_NS0_18transform_iteratorINS0_17counting_iteratorImlEEZNS1_24adjacent_difference_implIS3_Lb1ELb0EPlSB_ZN2at6native12_GLOBAL__N_124unique_dim_cuda_templateIhEESt5tupleIJNSC_6TensorESH_SH_EERKSH_lbbbEUlllE1_EE10hipError_tPvRmT2_T3_mT4_P12ihipStream_tbEUlmE_lEESB_NS0_8identityIvEEEESM_SP_SQ_mSR_ST_bEUlT_E_NS1_11comp_targetILNS1_3genE5ELNS1_11target_archE942ELNS1_3gpuE9ELNS1_3repE0EEENS1_30default_config_static_selectorELNS0_4arch9wavefront6targetE1EEEvT1_, .Lfunc_end67-_ZN7rocprim17ROCPRIM_400000_NS6detail17trampoline_kernelINS0_14default_configENS1_25transform_config_selectorIlLb0EEEZNS1_14transform_implILb0ES3_S5_NS0_18transform_iteratorINS0_17counting_iteratorImlEEZNS1_24adjacent_difference_implIS3_Lb1ELb0EPlSB_ZN2at6native12_GLOBAL__N_124unique_dim_cuda_templateIhEESt5tupleIJNSC_6TensorESH_SH_EERKSH_lbbbEUlllE1_EE10hipError_tPvRmT2_T3_mT4_P12ihipStream_tbEUlmE_lEESB_NS0_8identityIvEEEESM_SP_SQ_mSR_ST_bEUlT_E_NS1_11comp_targetILNS1_3genE5ELNS1_11target_archE942ELNS1_3gpuE9ELNS1_3repE0EEENS1_30default_config_static_selectorELNS0_4arch9wavefront6targetE1EEEvT1_
                                        ; -- End function
	.section	.AMDGPU.csdata,"",@progbits
; Kernel info:
; codeLenInByte = 0
; NumSgprs: 4
; NumVgprs: 0
; NumAgprs: 0
; TotalNumVgprs: 0
; ScratchSize: 0
; MemoryBound: 0
; FloatMode: 240
; IeeeMode: 1
; LDSByteSize: 0 bytes/workgroup (compile time only)
; SGPRBlocks: 0
; VGPRBlocks: 0
; NumSGPRsForWavesPerEU: 4
; NumVGPRsForWavesPerEU: 1
; AccumOffset: 4
; Occupancy: 8
; WaveLimiterHint : 0
; COMPUTE_PGM_RSRC2:SCRATCH_EN: 0
; COMPUTE_PGM_RSRC2:USER_SGPR: 6
; COMPUTE_PGM_RSRC2:TRAP_HANDLER: 0
; COMPUTE_PGM_RSRC2:TGID_X_EN: 1
; COMPUTE_PGM_RSRC2:TGID_Y_EN: 0
; COMPUTE_PGM_RSRC2:TGID_Z_EN: 0
; COMPUTE_PGM_RSRC2:TIDIG_COMP_CNT: 0
; COMPUTE_PGM_RSRC3_GFX90A:ACCUM_OFFSET: 0
; COMPUTE_PGM_RSRC3_GFX90A:TG_SPLIT: 0
	.section	.text._ZN7rocprim17ROCPRIM_400000_NS6detail17trampoline_kernelINS0_14default_configENS1_25transform_config_selectorIlLb0EEEZNS1_14transform_implILb0ES3_S5_NS0_18transform_iteratorINS0_17counting_iteratorImlEEZNS1_24adjacent_difference_implIS3_Lb1ELb0EPlSB_ZN2at6native12_GLOBAL__N_124unique_dim_cuda_templateIhEESt5tupleIJNSC_6TensorESH_SH_EERKSH_lbbbEUlllE1_EE10hipError_tPvRmT2_T3_mT4_P12ihipStream_tbEUlmE_lEESB_NS0_8identityIvEEEESM_SP_SQ_mSR_ST_bEUlT_E_NS1_11comp_targetILNS1_3genE4ELNS1_11target_archE910ELNS1_3gpuE8ELNS1_3repE0EEENS1_30default_config_static_selectorELNS0_4arch9wavefront6targetE1EEEvT1_,"axG",@progbits,_ZN7rocprim17ROCPRIM_400000_NS6detail17trampoline_kernelINS0_14default_configENS1_25transform_config_selectorIlLb0EEEZNS1_14transform_implILb0ES3_S5_NS0_18transform_iteratorINS0_17counting_iteratorImlEEZNS1_24adjacent_difference_implIS3_Lb1ELb0EPlSB_ZN2at6native12_GLOBAL__N_124unique_dim_cuda_templateIhEESt5tupleIJNSC_6TensorESH_SH_EERKSH_lbbbEUlllE1_EE10hipError_tPvRmT2_T3_mT4_P12ihipStream_tbEUlmE_lEESB_NS0_8identityIvEEEESM_SP_SQ_mSR_ST_bEUlT_E_NS1_11comp_targetILNS1_3genE4ELNS1_11target_archE910ELNS1_3gpuE8ELNS1_3repE0EEENS1_30default_config_static_selectorELNS0_4arch9wavefront6targetE1EEEvT1_,comdat
	.globl	_ZN7rocprim17ROCPRIM_400000_NS6detail17trampoline_kernelINS0_14default_configENS1_25transform_config_selectorIlLb0EEEZNS1_14transform_implILb0ES3_S5_NS0_18transform_iteratorINS0_17counting_iteratorImlEEZNS1_24adjacent_difference_implIS3_Lb1ELb0EPlSB_ZN2at6native12_GLOBAL__N_124unique_dim_cuda_templateIhEESt5tupleIJNSC_6TensorESH_SH_EERKSH_lbbbEUlllE1_EE10hipError_tPvRmT2_T3_mT4_P12ihipStream_tbEUlmE_lEESB_NS0_8identityIvEEEESM_SP_SQ_mSR_ST_bEUlT_E_NS1_11comp_targetILNS1_3genE4ELNS1_11target_archE910ELNS1_3gpuE8ELNS1_3repE0EEENS1_30default_config_static_selectorELNS0_4arch9wavefront6targetE1EEEvT1_ ; -- Begin function _ZN7rocprim17ROCPRIM_400000_NS6detail17trampoline_kernelINS0_14default_configENS1_25transform_config_selectorIlLb0EEEZNS1_14transform_implILb0ES3_S5_NS0_18transform_iteratorINS0_17counting_iteratorImlEEZNS1_24adjacent_difference_implIS3_Lb1ELb0EPlSB_ZN2at6native12_GLOBAL__N_124unique_dim_cuda_templateIhEESt5tupleIJNSC_6TensorESH_SH_EERKSH_lbbbEUlllE1_EE10hipError_tPvRmT2_T3_mT4_P12ihipStream_tbEUlmE_lEESB_NS0_8identityIvEEEESM_SP_SQ_mSR_ST_bEUlT_E_NS1_11comp_targetILNS1_3genE4ELNS1_11target_archE910ELNS1_3gpuE8ELNS1_3repE0EEENS1_30default_config_static_selectorELNS0_4arch9wavefront6targetE1EEEvT1_
	.p2align	8
	.type	_ZN7rocprim17ROCPRIM_400000_NS6detail17trampoline_kernelINS0_14default_configENS1_25transform_config_selectorIlLb0EEEZNS1_14transform_implILb0ES3_S5_NS0_18transform_iteratorINS0_17counting_iteratorImlEEZNS1_24adjacent_difference_implIS3_Lb1ELb0EPlSB_ZN2at6native12_GLOBAL__N_124unique_dim_cuda_templateIhEESt5tupleIJNSC_6TensorESH_SH_EERKSH_lbbbEUlllE1_EE10hipError_tPvRmT2_T3_mT4_P12ihipStream_tbEUlmE_lEESB_NS0_8identityIvEEEESM_SP_SQ_mSR_ST_bEUlT_E_NS1_11comp_targetILNS1_3genE4ELNS1_11target_archE910ELNS1_3gpuE8ELNS1_3repE0EEENS1_30default_config_static_selectorELNS0_4arch9wavefront6targetE1EEEvT1_,@function
_ZN7rocprim17ROCPRIM_400000_NS6detail17trampoline_kernelINS0_14default_configENS1_25transform_config_selectorIlLb0EEEZNS1_14transform_implILb0ES3_S5_NS0_18transform_iteratorINS0_17counting_iteratorImlEEZNS1_24adjacent_difference_implIS3_Lb1ELb0EPlSB_ZN2at6native12_GLOBAL__N_124unique_dim_cuda_templateIhEESt5tupleIJNSC_6TensorESH_SH_EERKSH_lbbbEUlllE1_EE10hipError_tPvRmT2_T3_mT4_P12ihipStream_tbEUlmE_lEESB_NS0_8identityIvEEEESM_SP_SQ_mSR_ST_bEUlT_E_NS1_11comp_targetILNS1_3genE4ELNS1_11target_archE910ELNS1_3gpuE8ELNS1_3repE0EEENS1_30default_config_static_selectorELNS0_4arch9wavefront6targetE1EEEvT1_: ; @_ZN7rocprim17ROCPRIM_400000_NS6detail17trampoline_kernelINS0_14default_configENS1_25transform_config_selectorIlLb0EEEZNS1_14transform_implILb0ES3_S5_NS0_18transform_iteratorINS0_17counting_iteratorImlEEZNS1_24adjacent_difference_implIS3_Lb1ELb0EPlSB_ZN2at6native12_GLOBAL__N_124unique_dim_cuda_templateIhEESt5tupleIJNSC_6TensorESH_SH_EERKSH_lbbbEUlllE1_EE10hipError_tPvRmT2_T3_mT4_P12ihipStream_tbEUlmE_lEESB_NS0_8identityIvEEEESM_SP_SQ_mSR_ST_bEUlT_E_NS1_11comp_targetILNS1_3genE4ELNS1_11target_archE910ELNS1_3gpuE8ELNS1_3repE0EEENS1_30default_config_static_selectorELNS0_4arch9wavefront6targetE1EEEvT1_
; %bb.0:
	s_load_dwordx4 s[0:3], s[4:5], 0x18
	s_load_dwordx2 s[14:15], s[4:5], 0x28
	s_load_dwordx4 s[8:11], s[4:5], 0x0
	s_load_dword s12, s[4:5], 0x10
	s_waitcnt lgkmcnt(0)
	s_load_dword s3, s[4:5], 0x38
                                        ; kill: killed $sgpr4_sgpr5
	s_lshl_b64 s[4:5], s[0:1], 3
	s_add_u32 s14, s14, s4
	s_addc_u32 s15, s15, s5
	s_lshl_b32 s4, s6, 9
	s_waitcnt lgkmcnt(0)
	s_add_i32 s3, s3, -1
	s_add_u32 s7, s8, s4
	s_addc_u32 s8, s9, 0
	s_add_u32 s16, s7, s0
	s_addc_u32 s17, s8, s1
	s_mov_b32 s5, 0
	s_cmp_lg_u32 s6, s3
	v_lshlrev_b32_e32 v1, 3, v0
	s_cbranch_scc0 .LBB68_2
; %bb.1:
	v_mov_b32_e32 v2, s17
	v_add_co_u32_e32 v3, vcc, s16, v0
	v_addc_co_u32_e32 v5, vcc, 0, v2, vcc
	v_mad_u64_u32 v[2:3], s[0:1], v3, s12, 0
	v_mov_b32_e32 v4, v3
	v_mad_u64_u32 v[4:5], s[0:1], v5, s12, v[4:5]
	v_mov_b32_e32 v3, v4
	v_lshlrev_b64 v[2:3], 3, v[2:3]
	s_mov_b32 s13, s5
	v_mov_b32_e32 v4, s11
	v_add_co_u32_e32 v2, vcc, s10, v2
	v_addc_co_u32_e32 v3, vcc, v4, v3, vcc
	s_lshl_b64 s[0:1], s[12:13], 11
	global_load_dwordx2 v[8:9], v[2:3], off
	v_mov_b32_e32 v4, s1
	v_add_co_u32_e32 v2, vcc, s0, v2
	v_addc_co_u32_e32 v3, vcc, v3, v4, vcc
	global_load_dwordx2 v[4:5], v[2:3], off
	s_lshl_b64 s[6:7], s[4:5], 3
	s_add_u32 s6, s14, s6
	s_addc_u32 s7, s15, s7
	v_mov_b32_e32 v2, s7
	v_add_co_u32_e32 v6, vcc, s6, v1
	v_addc_co_u32_e32 v7, vcc, 0, v2, vcc
	s_waitcnt vmcnt(1)
	global_store_dwordx2 v1, v[8:9], s[6:7]
	s_mov_b64 s[6:7], -1
	s_cbranch_execz .LBB68_3
	s_branch .LBB68_12
.LBB68_2:
	s_mov_b64 s[6:7], 0
                                        ; implicit-def: $vgpr4_vgpr5
                                        ; implicit-def: $vgpr6_vgpr7
.LBB68_3:
	s_sub_i32 s8, s2, s4
	v_cmp_gt_u32_e32 vcc, s8, v0
                                        ; implicit-def: $vgpr2_vgpr3_vgpr4_vgpr5
	s_and_saveexec_b64 s[2:3], vcc
	s_cbranch_execz .LBB68_5
; %bb.4:
	v_mov_b32_e32 v2, s17
	v_add_co_u32_e64 v3, s[0:1], s16, v0
	s_waitcnt vmcnt(1)
	v_addc_co_u32_e64 v5, s[0:1], 0, v2, s[0:1]
	v_mad_u64_u32 v[2:3], s[0:1], v3, s12, 0
	v_mov_b32_e32 v4, v3
	v_mad_u64_u32 v[4:5], s[0:1], v5, s12, v[4:5]
	v_mov_b32_e32 v3, v4
	v_lshlrev_b64 v[2:3], 3, v[2:3]
	v_mov_b32_e32 v4, s11
	v_add_co_u32_e64 v2, s[0:1], s10, v2
	v_addc_co_u32_e64 v3, s[0:1], v4, v3, s[0:1]
	global_load_dwordx2 v[2:3], v[2:3], off
.LBB68_5:
	s_or_b64 exec, exec, s[2:3]
	v_or_b32_e32 v0, 0x100, v0
	v_cmp_gt_u32_e64 s[0:1], s8, v0
	s_and_saveexec_b64 s[8:9], s[0:1]
	s_cbranch_execz .LBB68_7
; %bb.6:
	s_waitcnt vmcnt(1)
	v_mov_b32_e32 v4, s17
	v_add_co_u32_e64 v0, s[2:3], s16, v0
	v_addc_co_u32_e64 v6, s[2:3], 0, v4, s[2:3]
	v_mad_u64_u32 v[4:5], s[2:3], v0, s12, 0
	v_mov_b32_e32 v0, v5
	v_mad_u64_u32 v[6:7], s[2:3], v6, s12, v[0:1]
	v_mov_b32_e32 v5, v6
	v_lshlrev_b64 v[4:5], 3, v[4:5]
	v_mov_b32_e32 v0, s11
	v_add_co_u32_e64 v4, s[2:3], s10, v4
	v_addc_co_u32_e64 v5, s[2:3], v0, v5, s[2:3]
	global_load_dwordx2 v[4:5], v[4:5], off
.LBB68_7:
	s_or_b64 exec, exec, s[8:9]
	s_lshl_b64 s[2:3], s[4:5], 3
	s_add_u32 s2, s14, s2
	s_addc_u32 s3, s15, s3
	v_mov_b32_e32 v0, s3
	v_add_co_u32_e64 v6, s[2:3], s2, v1
	v_addc_co_u32_e64 v7, s[2:3], 0, v0, s[2:3]
	s_and_saveexec_b64 s[2:3], vcc
	s_cbranch_execz .LBB68_9
; %bb.8:
	s_waitcnt vmcnt(0)
	global_store_dwordx2 v[6:7], v[2:3], off
.LBB68_9:
	s_or_b64 exec, exec, s[2:3]
	s_and_saveexec_b64 s[2:3], s[0:1]
; %bb.10:
	s_or_b64 s[6:7], s[6:7], exec
; %bb.11:
	s_or_b64 exec, exec, s[2:3]
.LBB68_12:
	s_and_saveexec_b64 s[0:1], s[6:7]
	s_cbranch_execnz .LBB68_14
; %bb.13:
	s_endpgm
.LBB68_14:
	s_waitcnt vmcnt(0)
	global_store_dwordx2 v[6:7], v[4:5], off offset:2048
	s_endpgm
	.section	.rodata,"a",@progbits
	.p2align	6, 0x0
	.amdhsa_kernel _ZN7rocprim17ROCPRIM_400000_NS6detail17trampoline_kernelINS0_14default_configENS1_25transform_config_selectorIlLb0EEEZNS1_14transform_implILb0ES3_S5_NS0_18transform_iteratorINS0_17counting_iteratorImlEEZNS1_24adjacent_difference_implIS3_Lb1ELb0EPlSB_ZN2at6native12_GLOBAL__N_124unique_dim_cuda_templateIhEESt5tupleIJNSC_6TensorESH_SH_EERKSH_lbbbEUlllE1_EE10hipError_tPvRmT2_T3_mT4_P12ihipStream_tbEUlmE_lEESB_NS0_8identityIvEEEESM_SP_SQ_mSR_ST_bEUlT_E_NS1_11comp_targetILNS1_3genE4ELNS1_11target_archE910ELNS1_3gpuE8ELNS1_3repE0EEENS1_30default_config_static_selectorELNS0_4arch9wavefront6targetE1EEEvT1_
		.amdhsa_group_segment_fixed_size 0
		.amdhsa_private_segment_fixed_size 0
		.amdhsa_kernarg_size 312
		.amdhsa_user_sgpr_count 6
		.amdhsa_user_sgpr_private_segment_buffer 1
		.amdhsa_user_sgpr_dispatch_ptr 0
		.amdhsa_user_sgpr_queue_ptr 0
		.amdhsa_user_sgpr_kernarg_segment_ptr 1
		.amdhsa_user_sgpr_dispatch_id 0
		.amdhsa_user_sgpr_flat_scratch_init 0
		.amdhsa_user_sgpr_kernarg_preload_length 0
		.amdhsa_user_sgpr_kernarg_preload_offset 0
		.amdhsa_user_sgpr_private_segment_size 0
		.amdhsa_uses_dynamic_stack 0
		.amdhsa_system_sgpr_private_segment_wavefront_offset 0
		.amdhsa_system_sgpr_workgroup_id_x 1
		.amdhsa_system_sgpr_workgroup_id_y 0
		.amdhsa_system_sgpr_workgroup_id_z 0
		.amdhsa_system_sgpr_workgroup_info 0
		.amdhsa_system_vgpr_workitem_id 0
		.amdhsa_next_free_vgpr 10
		.amdhsa_next_free_sgpr 18
		.amdhsa_accum_offset 12
		.amdhsa_reserve_vcc 1
		.amdhsa_reserve_flat_scratch 0
		.amdhsa_float_round_mode_32 0
		.amdhsa_float_round_mode_16_64 0
		.amdhsa_float_denorm_mode_32 3
		.amdhsa_float_denorm_mode_16_64 3
		.amdhsa_dx10_clamp 1
		.amdhsa_ieee_mode 1
		.amdhsa_fp16_overflow 0
		.amdhsa_tg_split 0
		.amdhsa_exception_fp_ieee_invalid_op 0
		.amdhsa_exception_fp_denorm_src 0
		.amdhsa_exception_fp_ieee_div_zero 0
		.amdhsa_exception_fp_ieee_overflow 0
		.amdhsa_exception_fp_ieee_underflow 0
		.amdhsa_exception_fp_ieee_inexact 0
		.amdhsa_exception_int_div_zero 0
	.end_amdhsa_kernel
	.section	.text._ZN7rocprim17ROCPRIM_400000_NS6detail17trampoline_kernelINS0_14default_configENS1_25transform_config_selectorIlLb0EEEZNS1_14transform_implILb0ES3_S5_NS0_18transform_iteratorINS0_17counting_iteratorImlEEZNS1_24adjacent_difference_implIS3_Lb1ELb0EPlSB_ZN2at6native12_GLOBAL__N_124unique_dim_cuda_templateIhEESt5tupleIJNSC_6TensorESH_SH_EERKSH_lbbbEUlllE1_EE10hipError_tPvRmT2_T3_mT4_P12ihipStream_tbEUlmE_lEESB_NS0_8identityIvEEEESM_SP_SQ_mSR_ST_bEUlT_E_NS1_11comp_targetILNS1_3genE4ELNS1_11target_archE910ELNS1_3gpuE8ELNS1_3repE0EEENS1_30default_config_static_selectorELNS0_4arch9wavefront6targetE1EEEvT1_,"axG",@progbits,_ZN7rocprim17ROCPRIM_400000_NS6detail17trampoline_kernelINS0_14default_configENS1_25transform_config_selectorIlLb0EEEZNS1_14transform_implILb0ES3_S5_NS0_18transform_iteratorINS0_17counting_iteratorImlEEZNS1_24adjacent_difference_implIS3_Lb1ELb0EPlSB_ZN2at6native12_GLOBAL__N_124unique_dim_cuda_templateIhEESt5tupleIJNSC_6TensorESH_SH_EERKSH_lbbbEUlllE1_EE10hipError_tPvRmT2_T3_mT4_P12ihipStream_tbEUlmE_lEESB_NS0_8identityIvEEEESM_SP_SQ_mSR_ST_bEUlT_E_NS1_11comp_targetILNS1_3genE4ELNS1_11target_archE910ELNS1_3gpuE8ELNS1_3repE0EEENS1_30default_config_static_selectorELNS0_4arch9wavefront6targetE1EEEvT1_,comdat
.Lfunc_end68:
	.size	_ZN7rocprim17ROCPRIM_400000_NS6detail17trampoline_kernelINS0_14default_configENS1_25transform_config_selectorIlLb0EEEZNS1_14transform_implILb0ES3_S5_NS0_18transform_iteratorINS0_17counting_iteratorImlEEZNS1_24adjacent_difference_implIS3_Lb1ELb0EPlSB_ZN2at6native12_GLOBAL__N_124unique_dim_cuda_templateIhEESt5tupleIJNSC_6TensorESH_SH_EERKSH_lbbbEUlllE1_EE10hipError_tPvRmT2_T3_mT4_P12ihipStream_tbEUlmE_lEESB_NS0_8identityIvEEEESM_SP_SQ_mSR_ST_bEUlT_E_NS1_11comp_targetILNS1_3genE4ELNS1_11target_archE910ELNS1_3gpuE8ELNS1_3repE0EEENS1_30default_config_static_selectorELNS0_4arch9wavefront6targetE1EEEvT1_, .Lfunc_end68-_ZN7rocprim17ROCPRIM_400000_NS6detail17trampoline_kernelINS0_14default_configENS1_25transform_config_selectorIlLb0EEEZNS1_14transform_implILb0ES3_S5_NS0_18transform_iteratorINS0_17counting_iteratorImlEEZNS1_24adjacent_difference_implIS3_Lb1ELb0EPlSB_ZN2at6native12_GLOBAL__N_124unique_dim_cuda_templateIhEESt5tupleIJNSC_6TensorESH_SH_EERKSH_lbbbEUlllE1_EE10hipError_tPvRmT2_T3_mT4_P12ihipStream_tbEUlmE_lEESB_NS0_8identityIvEEEESM_SP_SQ_mSR_ST_bEUlT_E_NS1_11comp_targetILNS1_3genE4ELNS1_11target_archE910ELNS1_3gpuE8ELNS1_3repE0EEENS1_30default_config_static_selectorELNS0_4arch9wavefront6targetE1EEEvT1_
                                        ; -- End function
	.section	.AMDGPU.csdata,"",@progbits
; Kernel info:
; codeLenInByte = 556
; NumSgprs: 22
; NumVgprs: 10
; NumAgprs: 0
; TotalNumVgprs: 10
; ScratchSize: 0
; MemoryBound: 0
; FloatMode: 240
; IeeeMode: 1
; LDSByteSize: 0 bytes/workgroup (compile time only)
; SGPRBlocks: 2
; VGPRBlocks: 1
; NumSGPRsForWavesPerEU: 22
; NumVGPRsForWavesPerEU: 10
; AccumOffset: 12
; Occupancy: 8
; WaveLimiterHint : 0
; COMPUTE_PGM_RSRC2:SCRATCH_EN: 0
; COMPUTE_PGM_RSRC2:USER_SGPR: 6
; COMPUTE_PGM_RSRC2:TRAP_HANDLER: 0
; COMPUTE_PGM_RSRC2:TGID_X_EN: 1
; COMPUTE_PGM_RSRC2:TGID_Y_EN: 0
; COMPUTE_PGM_RSRC2:TGID_Z_EN: 0
; COMPUTE_PGM_RSRC2:TIDIG_COMP_CNT: 0
; COMPUTE_PGM_RSRC3_GFX90A:ACCUM_OFFSET: 2
; COMPUTE_PGM_RSRC3_GFX90A:TG_SPLIT: 0
	.section	.text._ZN7rocprim17ROCPRIM_400000_NS6detail17trampoline_kernelINS0_14default_configENS1_25transform_config_selectorIlLb0EEEZNS1_14transform_implILb0ES3_S5_NS0_18transform_iteratorINS0_17counting_iteratorImlEEZNS1_24adjacent_difference_implIS3_Lb1ELb0EPlSB_ZN2at6native12_GLOBAL__N_124unique_dim_cuda_templateIhEESt5tupleIJNSC_6TensorESH_SH_EERKSH_lbbbEUlllE1_EE10hipError_tPvRmT2_T3_mT4_P12ihipStream_tbEUlmE_lEESB_NS0_8identityIvEEEESM_SP_SQ_mSR_ST_bEUlT_E_NS1_11comp_targetILNS1_3genE3ELNS1_11target_archE908ELNS1_3gpuE7ELNS1_3repE0EEENS1_30default_config_static_selectorELNS0_4arch9wavefront6targetE1EEEvT1_,"axG",@progbits,_ZN7rocprim17ROCPRIM_400000_NS6detail17trampoline_kernelINS0_14default_configENS1_25transform_config_selectorIlLb0EEEZNS1_14transform_implILb0ES3_S5_NS0_18transform_iteratorINS0_17counting_iteratorImlEEZNS1_24adjacent_difference_implIS3_Lb1ELb0EPlSB_ZN2at6native12_GLOBAL__N_124unique_dim_cuda_templateIhEESt5tupleIJNSC_6TensorESH_SH_EERKSH_lbbbEUlllE1_EE10hipError_tPvRmT2_T3_mT4_P12ihipStream_tbEUlmE_lEESB_NS0_8identityIvEEEESM_SP_SQ_mSR_ST_bEUlT_E_NS1_11comp_targetILNS1_3genE3ELNS1_11target_archE908ELNS1_3gpuE7ELNS1_3repE0EEENS1_30default_config_static_selectorELNS0_4arch9wavefront6targetE1EEEvT1_,comdat
	.globl	_ZN7rocprim17ROCPRIM_400000_NS6detail17trampoline_kernelINS0_14default_configENS1_25transform_config_selectorIlLb0EEEZNS1_14transform_implILb0ES3_S5_NS0_18transform_iteratorINS0_17counting_iteratorImlEEZNS1_24adjacent_difference_implIS3_Lb1ELb0EPlSB_ZN2at6native12_GLOBAL__N_124unique_dim_cuda_templateIhEESt5tupleIJNSC_6TensorESH_SH_EERKSH_lbbbEUlllE1_EE10hipError_tPvRmT2_T3_mT4_P12ihipStream_tbEUlmE_lEESB_NS0_8identityIvEEEESM_SP_SQ_mSR_ST_bEUlT_E_NS1_11comp_targetILNS1_3genE3ELNS1_11target_archE908ELNS1_3gpuE7ELNS1_3repE0EEENS1_30default_config_static_selectorELNS0_4arch9wavefront6targetE1EEEvT1_ ; -- Begin function _ZN7rocprim17ROCPRIM_400000_NS6detail17trampoline_kernelINS0_14default_configENS1_25transform_config_selectorIlLb0EEEZNS1_14transform_implILb0ES3_S5_NS0_18transform_iteratorINS0_17counting_iteratorImlEEZNS1_24adjacent_difference_implIS3_Lb1ELb0EPlSB_ZN2at6native12_GLOBAL__N_124unique_dim_cuda_templateIhEESt5tupleIJNSC_6TensorESH_SH_EERKSH_lbbbEUlllE1_EE10hipError_tPvRmT2_T3_mT4_P12ihipStream_tbEUlmE_lEESB_NS0_8identityIvEEEESM_SP_SQ_mSR_ST_bEUlT_E_NS1_11comp_targetILNS1_3genE3ELNS1_11target_archE908ELNS1_3gpuE7ELNS1_3repE0EEENS1_30default_config_static_selectorELNS0_4arch9wavefront6targetE1EEEvT1_
	.p2align	8
	.type	_ZN7rocprim17ROCPRIM_400000_NS6detail17trampoline_kernelINS0_14default_configENS1_25transform_config_selectorIlLb0EEEZNS1_14transform_implILb0ES3_S5_NS0_18transform_iteratorINS0_17counting_iteratorImlEEZNS1_24adjacent_difference_implIS3_Lb1ELb0EPlSB_ZN2at6native12_GLOBAL__N_124unique_dim_cuda_templateIhEESt5tupleIJNSC_6TensorESH_SH_EERKSH_lbbbEUlllE1_EE10hipError_tPvRmT2_T3_mT4_P12ihipStream_tbEUlmE_lEESB_NS0_8identityIvEEEESM_SP_SQ_mSR_ST_bEUlT_E_NS1_11comp_targetILNS1_3genE3ELNS1_11target_archE908ELNS1_3gpuE7ELNS1_3repE0EEENS1_30default_config_static_selectorELNS0_4arch9wavefront6targetE1EEEvT1_,@function
_ZN7rocprim17ROCPRIM_400000_NS6detail17trampoline_kernelINS0_14default_configENS1_25transform_config_selectorIlLb0EEEZNS1_14transform_implILb0ES3_S5_NS0_18transform_iteratorINS0_17counting_iteratorImlEEZNS1_24adjacent_difference_implIS3_Lb1ELb0EPlSB_ZN2at6native12_GLOBAL__N_124unique_dim_cuda_templateIhEESt5tupleIJNSC_6TensorESH_SH_EERKSH_lbbbEUlllE1_EE10hipError_tPvRmT2_T3_mT4_P12ihipStream_tbEUlmE_lEESB_NS0_8identityIvEEEESM_SP_SQ_mSR_ST_bEUlT_E_NS1_11comp_targetILNS1_3genE3ELNS1_11target_archE908ELNS1_3gpuE7ELNS1_3repE0EEENS1_30default_config_static_selectorELNS0_4arch9wavefront6targetE1EEEvT1_: ; @_ZN7rocprim17ROCPRIM_400000_NS6detail17trampoline_kernelINS0_14default_configENS1_25transform_config_selectorIlLb0EEEZNS1_14transform_implILb0ES3_S5_NS0_18transform_iteratorINS0_17counting_iteratorImlEEZNS1_24adjacent_difference_implIS3_Lb1ELb0EPlSB_ZN2at6native12_GLOBAL__N_124unique_dim_cuda_templateIhEESt5tupleIJNSC_6TensorESH_SH_EERKSH_lbbbEUlllE1_EE10hipError_tPvRmT2_T3_mT4_P12ihipStream_tbEUlmE_lEESB_NS0_8identityIvEEEESM_SP_SQ_mSR_ST_bEUlT_E_NS1_11comp_targetILNS1_3genE3ELNS1_11target_archE908ELNS1_3gpuE7ELNS1_3repE0EEENS1_30default_config_static_selectorELNS0_4arch9wavefront6targetE1EEEvT1_
; %bb.0:
	.section	.rodata,"a",@progbits
	.p2align	6, 0x0
	.amdhsa_kernel _ZN7rocprim17ROCPRIM_400000_NS6detail17trampoline_kernelINS0_14default_configENS1_25transform_config_selectorIlLb0EEEZNS1_14transform_implILb0ES3_S5_NS0_18transform_iteratorINS0_17counting_iteratorImlEEZNS1_24adjacent_difference_implIS3_Lb1ELb0EPlSB_ZN2at6native12_GLOBAL__N_124unique_dim_cuda_templateIhEESt5tupleIJNSC_6TensorESH_SH_EERKSH_lbbbEUlllE1_EE10hipError_tPvRmT2_T3_mT4_P12ihipStream_tbEUlmE_lEESB_NS0_8identityIvEEEESM_SP_SQ_mSR_ST_bEUlT_E_NS1_11comp_targetILNS1_3genE3ELNS1_11target_archE908ELNS1_3gpuE7ELNS1_3repE0EEENS1_30default_config_static_selectorELNS0_4arch9wavefront6targetE1EEEvT1_
		.amdhsa_group_segment_fixed_size 0
		.amdhsa_private_segment_fixed_size 0
		.amdhsa_kernarg_size 56
		.amdhsa_user_sgpr_count 6
		.amdhsa_user_sgpr_private_segment_buffer 1
		.amdhsa_user_sgpr_dispatch_ptr 0
		.amdhsa_user_sgpr_queue_ptr 0
		.amdhsa_user_sgpr_kernarg_segment_ptr 1
		.amdhsa_user_sgpr_dispatch_id 0
		.amdhsa_user_sgpr_flat_scratch_init 0
		.amdhsa_user_sgpr_kernarg_preload_length 0
		.amdhsa_user_sgpr_kernarg_preload_offset 0
		.amdhsa_user_sgpr_private_segment_size 0
		.amdhsa_uses_dynamic_stack 0
		.amdhsa_system_sgpr_private_segment_wavefront_offset 0
		.amdhsa_system_sgpr_workgroup_id_x 1
		.amdhsa_system_sgpr_workgroup_id_y 0
		.amdhsa_system_sgpr_workgroup_id_z 0
		.amdhsa_system_sgpr_workgroup_info 0
		.amdhsa_system_vgpr_workitem_id 0
		.amdhsa_next_free_vgpr 1
		.amdhsa_next_free_sgpr 0
		.amdhsa_accum_offset 4
		.amdhsa_reserve_vcc 0
		.amdhsa_reserve_flat_scratch 0
		.amdhsa_float_round_mode_32 0
		.amdhsa_float_round_mode_16_64 0
		.amdhsa_float_denorm_mode_32 3
		.amdhsa_float_denorm_mode_16_64 3
		.amdhsa_dx10_clamp 1
		.amdhsa_ieee_mode 1
		.amdhsa_fp16_overflow 0
		.amdhsa_tg_split 0
		.amdhsa_exception_fp_ieee_invalid_op 0
		.amdhsa_exception_fp_denorm_src 0
		.amdhsa_exception_fp_ieee_div_zero 0
		.amdhsa_exception_fp_ieee_overflow 0
		.amdhsa_exception_fp_ieee_underflow 0
		.amdhsa_exception_fp_ieee_inexact 0
		.amdhsa_exception_int_div_zero 0
	.end_amdhsa_kernel
	.section	.text._ZN7rocprim17ROCPRIM_400000_NS6detail17trampoline_kernelINS0_14default_configENS1_25transform_config_selectorIlLb0EEEZNS1_14transform_implILb0ES3_S5_NS0_18transform_iteratorINS0_17counting_iteratorImlEEZNS1_24adjacent_difference_implIS3_Lb1ELb0EPlSB_ZN2at6native12_GLOBAL__N_124unique_dim_cuda_templateIhEESt5tupleIJNSC_6TensorESH_SH_EERKSH_lbbbEUlllE1_EE10hipError_tPvRmT2_T3_mT4_P12ihipStream_tbEUlmE_lEESB_NS0_8identityIvEEEESM_SP_SQ_mSR_ST_bEUlT_E_NS1_11comp_targetILNS1_3genE3ELNS1_11target_archE908ELNS1_3gpuE7ELNS1_3repE0EEENS1_30default_config_static_selectorELNS0_4arch9wavefront6targetE1EEEvT1_,"axG",@progbits,_ZN7rocprim17ROCPRIM_400000_NS6detail17trampoline_kernelINS0_14default_configENS1_25transform_config_selectorIlLb0EEEZNS1_14transform_implILb0ES3_S5_NS0_18transform_iteratorINS0_17counting_iteratorImlEEZNS1_24adjacent_difference_implIS3_Lb1ELb0EPlSB_ZN2at6native12_GLOBAL__N_124unique_dim_cuda_templateIhEESt5tupleIJNSC_6TensorESH_SH_EERKSH_lbbbEUlllE1_EE10hipError_tPvRmT2_T3_mT4_P12ihipStream_tbEUlmE_lEESB_NS0_8identityIvEEEESM_SP_SQ_mSR_ST_bEUlT_E_NS1_11comp_targetILNS1_3genE3ELNS1_11target_archE908ELNS1_3gpuE7ELNS1_3repE0EEENS1_30default_config_static_selectorELNS0_4arch9wavefront6targetE1EEEvT1_,comdat
.Lfunc_end69:
	.size	_ZN7rocprim17ROCPRIM_400000_NS6detail17trampoline_kernelINS0_14default_configENS1_25transform_config_selectorIlLb0EEEZNS1_14transform_implILb0ES3_S5_NS0_18transform_iteratorINS0_17counting_iteratorImlEEZNS1_24adjacent_difference_implIS3_Lb1ELb0EPlSB_ZN2at6native12_GLOBAL__N_124unique_dim_cuda_templateIhEESt5tupleIJNSC_6TensorESH_SH_EERKSH_lbbbEUlllE1_EE10hipError_tPvRmT2_T3_mT4_P12ihipStream_tbEUlmE_lEESB_NS0_8identityIvEEEESM_SP_SQ_mSR_ST_bEUlT_E_NS1_11comp_targetILNS1_3genE3ELNS1_11target_archE908ELNS1_3gpuE7ELNS1_3repE0EEENS1_30default_config_static_selectorELNS0_4arch9wavefront6targetE1EEEvT1_, .Lfunc_end69-_ZN7rocprim17ROCPRIM_400000_NS6detail17trampoline_kernelINS0_14default_configENS1_25transform_config_selectorIlLb0EEEZNS1_14transform_implILb0ES3_S5_NS0_18transform_iteratorINS0_17counting_iteratorImlEEZNS1_24adjacent_difference_implIS3_Lb1ELb0EPlSB_ZN2at6native12_GLOBAL__N_124unique_dim_cuda_templateIhEESt5tupleIJNSC_6TensorESH_SH_EERKSH_lbbbEUlllE1_EE10hipError_tPvRmT2_T3_mT4_P12ihipStream_tbEUlmE_lEESB_NS0_8identityIvEEEESM_SP_SQ_mSR_ST_bEUlT_E_NS1_11comp_targetILNS1_3genE3ELNS1_11target_archE908ELNS1_3gpuE7ELNS1_3repE0EEENS1_30default_config_static_selectorELNS0_4arch9wavefront6targetE1EEEvT1_
                                        ; -- End function
	.section	.AMDGPU.csdata,"",@progbits
; Kernel info:
; codeLenInByte = 0
; NumSgprs: 4
; NumVgprs: 0
; NumAgprs: 0
; TotalNumVgprs: 0
; ScratchSize: 0
; MemoryBound: 0
; FloatMode: 240
; IeeeMode: 1
; LDSByteSize: 0 bytes/workgroup (compile time only)
; SGPRBlocks: 0
; VGPRBlocks: 0
; NumSGPRsForWavesPerEU: 4
; NumVGPRsForWavesPerEU: 1
; AccumOffset: 4
; Occupancy: 8
; WaveLimiterHint : 0
; COMPUTE_PGM_RSRC2:SCRATCH_EN: 0
; COMPUTE_PGM_RSRC2:USER_SGPR: 6
; COMPUTE_PGM_RSRC2:TRAP_HANDLER: 0
; COMPUTE_PGM_RSRC2:TGID_X_EN: 1
; COMPUTE_PGM_RSRC2:TGID_Y_EN: 0
; COMPUTE_PGM_RSRC2:TGID_Z_EN: 0
; COMPUTE_PGM_RSRC2:TIDIG_COMP_CNT: 0
; COMPUTE_PGM_RSRC3_GFX90A:ACCUM_OFFSET: 0
; COMPUTE_PGM_RSRC3_GFX90A:TG_SPLIT: 0
	.section	.text._ZN7rocprim17ROCPRIM_400000_NS6detail17trampoline_kernelINS0_14default_configENS1_25transform_config_selectorIlLb0EEEZNS1_14transform_implILb0ES3_S5_NS0_18transform_iteratorINS0_17counting_iteratorImlEEZNS1_24adjacent_difference_implIS3_Lb1ELb0EPlSB_ZN2at6native12_GLOBAL__N_124unique_dim_cuda_templateIhEESt5tupleIJNSC_6TensorESH_SH_EERKSH_lbbbEUlllE1_EE10hipError_tPvRmT2_T3_mT4_P12ihipStream_tbEUlmE_lEESB_NS0_8identityIvEEEESM_SP_SQ_mSR_ST_bEUlT_E_NS1_11comp_targetILNS1_3genE2ELNS1_11target_archE906ELNS1_3gpuE6ELNS1_3repE0EEENS1_30default_config_static_selectorELNS0_4arch9wavefront6targetE1EEEvT1_,"axG",@progbits,_ZN7rocprim17ROCPRIM_400000_NS6detail17trampoline_kernelINS0_14default_configENS1_25transform_config_selectorIlLb0EEEZNS1_14transform_implILb0ES3_S5_NS0_18transform_iteratorINS0_17counting_iteratorImlEEZNS1_24adjacent_difference_implIS3_Lb1ELb0EPlSB_ZN2at6native12_GLOBAL__N_124unique_dim_cuda_templateIhEESt5tupleIJNSC_6TensorESH_SH_EERKSH_lbbbEUlllE1_EE10hipError_tPvRmT2_T3_mT4_P12ihipStream_tbEUlmE_lEESB_NS0_8identityIvEEEESM_SP_SQ_mSR_ST_bEUlT_E_NS1_11comp_targetILNS1_3genE2ELNS1_11target_archE906ELNS1_3gpuE6ELNS1_3repE0EEENS1_30default_config_static_selectorELNS0_4arch9wavefront6targetE1EEEvT1_,comdat
	.globl	_ZN7rocprim17ROCPRIM_400000_NS6detail17trampoline_kernelINS0_14default_configENS1_25transform_config_selectorIlLb0EEEZNS1_14transform_implILb0ES3_S5_NS0_18transform_iteratorINS0_17counting_iteratorImlEEZNS1_24adjacent_difference_implIS3_Lb1ELb0EPlSB_ZN2at6native12_GLOBAL__N_124unique_dim_cuda_templateIhEESt5tupleIJNSC_6TensorESH_SH_EERKSH_lbbbEUlllE1_EE10hipError_tPvRmT2_T3_mT4_P12ihipStream_tbEUlmE_lEESB_NS0_8identityIvEEEESM_SP_SQ_mSR_ST_bEUlT_E_NS1_11comp_targetILNS1_3genE2ELNS1_11target_archE906ELNS1_3gpuE6ELNS1_3repE0EEENS1_30default_config_static_selectorELNS0_4arch9wavefront6targetE1EEEvT1_ ; -- Begin function _ZN7rocprim17ROCPRIM_400000_NS6detail17trampoline_kernelINS0_14default_configENS1_25transform_config_selectorIlLb0EEEZNS1_14transform_implILb0ES3_S5_NS0_18transform_iteratorINS0_17counting_iteratorImlEEZNS1_24adjacent_difference_implIS3_Lb1ELb0EPlSB_ZN2at6native12_GLOBAL__N_124unique_dim_cuda_templateIhEESt5tupleIJNSC_6TensorESH_SH_EERKSH_lbbbEUlllE1_EE10hipError_tPvRmT2_T3_mT4_P12ihipStream_tbEUlmE_lEESB_NS0_8identityIvEEEESM_SP_SQ_mSR_ST_bEUlT_E_NS1_11comp_targetILNS1_3genE2ELNS1_11target_archE906ELNS1_3gpuE6ELNS1_3repE0EEENS1_30default_config_static_selectorELNS0_4arch9wavefront6targetE1EEEvT1_
	.p2align	8
	.type	_ZN7rocprim17ROCPRIM_400000_NS6detail17trampoline_kernelINS0_14default_configENS1_25transform_config_selectorIlLb0EEEZNS1_14transform_implILb0ES3_S5_NS0_18transform_iteratorINS0_17counting_iteratorImlEEZNS1_24adjacent_difference_implIS3_Lb1ELb0EPlSB_ZN2at6native12_GLOBAL__N_124unique_dim_cuda_templateIhEESt5tupleIJNSC_6TensorESH_SH_EERKSH_lbbbEUlllE1_EE10hipError_tPvRmT2_T3_mT4_P12ihipStream_tbEUlmE_lEESB_NS0_8identityIvEEEESM_SP_SQ_mSR_ST_bEUlT_E_NS1_11comp_targetILNS1_3genE2ELNS1_11target_archE906ELNS1_3gpuE6ELNS1_3repE0EEENS1_30default_config_static_selectorELNS0_4arch9wavefront6targetE1EEEvT1_,@function
_ZN7rocprim17ROCPRIM_400000_NS6detail17trampoline_kernelINS0_14default_configENS1_25transform_config_selectorIlLb0EEEZNS1_14transform_implILb0ES3_S5_NS0_18transform_iteratorINS0_17counting_iteratorImlEEZNS1_24adjacent_difference_implIS3_Lb1ELb0EPlSB_ZN2at6native12_GLOBAL__N_124unique_dim_cuda_templateIhEESt5tupleIJNSC_6TensorESH_SH_EERKSH_lbbbEUlllE1_EE10hipError_tPvRmT2_T3_mT4_P12ihipStream_tbEUlmE_lEESB_NS0_8identityIvEEEESM_SP_SQ_mSR_ST_bEUlT_E_NS1_11comp_targetILNS1_3genE2ELNS1_11target_archE906ELNS1_3gpuE6ELNS1_3repE0EEENS1_30default_config_static_selectorELNS0_4arch9wavefront6targetE1EEEvT1_: ; @_ZN7rocprim17ROCPRIM_400000_NS6detail17trampoline_kernelINS0_14default_configENS1_25transform_config_selectorIlLb0EEEZNS1_14transform_implILb0ES3_S5_NS0_18transform_iteratorINS0_17counting_iteratorImlEEZNS1_24adjacent_difference_implIS3_Lb1ELb0EPlSB_ZN2at6native12_GLOBAL__N_124unique_dim_cuda_templateIhEESt5tupleIJNSC_6TensorESH_SH_EERKSH_lbbbEUlllE1_EE10hipError_tPvRmT2_T3_mT4_P12ihipStream_tbEUlmE_lEESB_NS0_8identityIvEEEESM_SP_SQ_mSR_ST_bEUlT_E_NS1_11comp_targetILNS1_3genE2ELNS1_11target_archE906ELNS1_3gpuE6ELNS1_3repE0EEENS1_30default_config_static_selectorELNS0_4arch9wavefront6targetE1EEEvT1_
; %bb.0:
	.section	.rodata,"a",@progbits
	.p2align	6, 0x0
	.amdhsa_kernel _ZN7rocprim17ROCPRIM_400000_NS6detail17trampoline_kernelINS0_14default_configENS1_25transform_config_selectorIlLb0EEEZNS1_14transform_implILb0ES3_S5_NS0_18transform_iteratorINS0_17counting_iteratorImlEEZNS1_24adjacent_difference_implIS3_Lb1ELb0EPlSB_ZN2at6native12_GLOBAL__N_124unique_dim_cuda_templateIhEESt5tupleIJNSC_6TensorESH_SH_EERKSH_lbbbEUlllE1_EE10hipError_tPvRmT2_T3_mT4_P12ihipStream_tbEUlmE_lEESB_NS0_8identityIvEEEESM_SP_SQ_mSR_ST_bEUlT_E_NS1_11comp_targetILNS1_3genE2ELNS1_11target_archE906ELNS1_3gpuE6ELNS1_3repE0EEENS1_30default_config_static_selectorELNS0_4arch9wavefront6targetE1EEEvT1_
		.amdhsa_group_segment_fixed_size 0
		.amdhsa_private_segment_fixed_size 0
		.amdhsa_kernarg_size 56
		.amdhsa_user_sgpr_count 6
		.amdhsa_user_sgpr_private_segment_buffer 1
		.amdhsa_user_sgpr_dispatch_ptr 0
		.amdhsa_user_sgpr_queue_ptr 0
		.amdhsa_user_sgpr_kernarg_segment_ptr 1
		.amdhsa_user_sgpr_dispatch_id 0
		.amdhsa_user_sgpr_flat_scratch_init 0
		.amdhsa_user_sgpr_kernarg_preload_length 0
		.amdhsa_user_sgpr_kernarg_preload_offset 0
		.amdhsa_user_sgpr_private_segment_size 0
		.amdhsa_uses_dynamic_stack 0
		.amdhsa_system_sgpr_private_segment_wavefront_offset 0
		.amdhsa_system_sgpr_workgroup_id_x 1
		.amdhsa_system_sgpr_workgroup_id_y 0
		.amdhsa_system_sgpr_workgroup_id_z 0
		.amdhsa_system_sgpr_workgroup_info 0
		.amdhsa_system_vgpr_workitem_id 0
		.amdhsa_next_free_vgpr 1
		.amdhsa_next_free_sgpr 0
		.amdhsa_accum_offset 4
		.amdhsa_reserve_vcc 0
		.amdhsa_reserve_flat_scratch 0
		.amdhsa_float_round_mode_32 0
		.amdhsa_float_round_mode_16_64 0
		.amdhsa_float_denorm_mode_32 3
		.amdhsa_float_denorm_mode_16_64 3
		.amdhsa_dx10_clamp 1
		.amdhsa_ieee_mode 1
		.amdhsa_fp16_overflow 0
		.amdhsa_tg_split 0
		.amdhsa_exception_fp_ieee_invalid_op 0
		.amdhsa_exception_fp_denorm_src 0
		.amdhsa_exception_fp_ieee_div_zero 0
		.amdhsa_exception_fp_ieee_overflow 0
		.amdhsa_exception_fp_ieee_underflow 0
		.amdhsa_exception_fp_ieee_inexact 0
		.amdhsa_exception_int_div_zero 0
	.end_amdhsa_kernel
	.section	.text._ZN7rocprim17ROCPRIM_400000_NS6detail17trampoline_kernelINS0_14default_configENS1_25transform_config_selectorIlLb0EEEZNS1_14transform_implILb0ES3_S5_NS0_18transform_iteratorINS0_17counting_iteratorImlEEZNS1_24adjacent_difference_implIS3_Lb1ELb0EPlSB_ZN2at6native12_GLOBAL__N_124unique_dim_cuda_templateIhEESt5tupleIJNSC_6TensorESH_SH_EERKSH_lbbbEUlllE1_EE10hipError_tPvRmT2_T3_mT4_P12ihipStream_tbEUlmE_lEESB_NS0_8identityIvEEEESM_SP_SQ_mSR_ST_bEUlT_E_NS1_11comp_targetILNS1_3genE2ELNS1_11target_archE906ELNS1_3gpuE6ELNS1_3repE0EEENS1_30default_config_static_selectorELNS0_4arch9wavefront6targetE1EEEvT1_,"axG",@progbits,_ZN7rocprim17ROCPRIM_400000_NS6detail17trampoline_kernelINS0_14default_configENS1_25transform_config_selectorIlLb0EEEZNS1_14transform_implILb0ES3_S5_NS0_18transform_iteratorINS0_17counting_iteratorImlEEZNS1_24adjacent_difference_implIS3_Lb1ELb0EPlSB_ZN2at6native12_GLOBAL__N_124unique_dim_cuda_templateIhEESt5tupleIJNSC_6TensorESH_SH_EERKSH_lbbbEUlllE1_EE10hipError_tPvRmT2_T3_mT4_P12ihipStream_tbEUlmE_lEESB_NS0_8identityIvEEEESM_SP_SQ_mSR_ST_bEUlT_E_NS1_11comp_targetILNS1_3genE2ELNS1_11target_archE906ELNS1_3gpuE6ELNS1_3repE0EEENS1_30default_config_static_selectorELNS0_4arch9wavefront6targetE1EEEvT1_,comdat
.Lfunc_end70:
	.size	_ZN7rocprim17ROCPRIM_400000_NS6detail17trampoline_kernelINS0_14default_configENS1_25transform_config_selectorIlLb0EEEZNS1_14transform_implILb0ES3_S5_NS0_18transform_iteratorINS0_17counting_iteratorImlEEZNS1_24adjacent_difference_implIS3_Lb1ELb0EPlSB_ZN2at6native12_GLOBAL__N_124unique_dim_cuda_templateIhEESt5tupleIJNSC_6TensorESH_SH_EERKSH_lbbbEUlllE1_EE10hipError_tPvRmT2_T3_mT4_P12ihipStream_tbEUlmE_lEESB_NS0_8identityIvEEEESM_SP_SQ_mSR_ST_bEUlT_E_NS1_11comp_targetILNS1_3genE2ELNS1_11target_archE906ELNS1_3gpuE6ELNS1_3repE0EEENS1_30default_config_static_selectorELNS0_4arch9wavefront6targetE1EEEvT1_, .Lfunc_end70-_ZN7rocprim17ROCPRIM_400000_NS6detail17trampoline_kernelINS0_14default_configENS1_25transform_config_selectorIlLb0EEEZNS1_14transform_implILb0ES3_S5_NS0_18transform_iteratorINS0_17counting_iteratorImlEEZNS1_24adjacent_difference_implIS3_Lb1ELb0EPlSB_ZN2at6native12_GLOBAL__N_124unique_dim_cuda_templateIhEESt5tupleIJNSC_6TensorESH_SH_EERKSH_lbbbEUlllE1_EE10hipError_tPvRmT2_T3_mT4_P12ihipStream_tbEUlmE_lEESB_NS0_8identityIvEEEESM_SP_SQ_mSR_ST_bEUlT_E_NS1_11comp_targetILNS1_3genE2ELNS1_11target_archE906ELNS1_3gpuE6ELNS1_3repE0EEENS1_30default_config_static_selectorELNS0_4arch9wavefront6targetE1EEEvT1_
                                        ; -- End function
	.section	.AMDGPU.csdata,"",@progbits
; Kernel info:
; codeLenInByte = 0
; NumSgprs: 4
; NumVgprs: 0
; NumAgprs: 0
; TotalNumVgprs: 0
; ScratchSize: 0
; MemoryBound: 0
; FloatMode: 240
; IeeeMode: 1
; LDSByteSize: 0 bytes/workgroup (compile time only)
; SGPRBlocks: 0
; VGPRBlocks: 0
; NumSGPRsForWavesPerEU: 4
; NumVGPRsForWavesPerEU: 1
; AccumOffset: 4
; Occupancy: 8
; WaveLimiterHint : 0
; COMPUTE_PGM_RSRC2:SCRATCH_EN: 0
; COMPUTE_PGM_RSRC2:USER_SGPR: 6
; COMPUTE_PGM_RSRC2:TRAP_HANDLER: 0
; COMPUTE_PGM_RSRC2:TGID_X_EN: 1
; COMPUTE_PGM_RSRC2:TGID_Y_EN: 0
; COMPUTE_PGM_RSRC2:TGID_Z_EN: 0
; COMPUTE_PGM_RSRC2:TIDIG_COMP_CNT: 0
; COMPUTE_PGM_RSRC3_GFX90A:ACCUM_OFFSET: 0
; COMPUTE_PGM_RSRC3_GFX90A:TG_SPLIT: 0
	.section	.text._ZN7rocprim17ROCPRIM_400000_NS6detail17trampoline_kernelINS0_14default_configENS1_25transform_config_selectorIlLb0EEEZNS1_14transform_implILb0ES3_S5_NS0_18transform_iteratorINS0_17counting_iteratorImlEEZNS1_24adjacent_difference_implIS3_Lb1ELb0EPlSB_ZN2at6native12_GLOBAL__N_124unique_dim_cuda_templateIhEESt5tupleIJNSC_6TensorESH_SH_EERKSH_lbbbEUlllE1_EE10hipError_tPvRmT2_T3_mT4_P12ihipStream_tbEUlmE_lEESB_NS0_8identityIvEEEESM_SP_SQ_mSR_ST_bEUlT_E_NS1_11comp_targetILNS1_3genE10ELNS1_11target_archE1201ELNS1_3gpuE5ELNS1_3repE0EEENS1_30default_config_static_selectorELNS0_4arch9wavefront6targetE1EEEvT1_,"axG",@progbits,_ZN7rocprim17ROCPRIM_400000_NS6detail17trampoline_kernelINS0_14default_configENS1_25transform_config_selectorIlLb0EEEZNS1_14transform_implILb0ES3_S5_NS0_18transform_iteratorINS0_17counting_iteratorImlEEZNS1_24adjacent_difference_implIS3_Lb1ELb0EPlSB_ZN2at6native12_GLOBAL__N_124unique_dim_cuda_templateIhEESt5tupleIJNSC_6TensorESH_SH_EERKSH_lbbbEUlllE1_EE10hipError_tPvRmT2_T3_mT4_P12ihipStream_tbEUlmE_lEESB_NS0_8identityIvEEEESM_SP_SQ_mSR_ST_bEUlT_E_NS1_11comp_targetILNS1_3genE10ELNS1_11target_archE1201ELNS1_3gpuE5ELNS1_3repE0EEENS1_30default_config_static_selectorELNS0_4arch9wavefront6targetE1EEEvT1_,comdat
	.globl	_ZN7rocprim17ROCPRIM_400000_NS6detail17trampoline_kernelINS0_14default_configENS1_25transform_config_selectorIlLb0EEEZNS1_14transform_implILb0ES3_S5_NS0_18transform_iteratorINS0_17counting_iteratorImlEEZNS1_24adjacent_difference_implIS3_Lb1ELb0EPlSB_ZN2at6native12_GLOBAL__N_124unique_dim_cuda_templateIhEESt5tupleIJNSC_6TensorESH_SH_EERKSH_lbbbEUlllE1_EE10hipError_tPvRmT2_T3_mT4_P12ihipStream_tbEUlmE_lEESB_NS0_8identityIvEEEESM_SP_SQ_mSR_ST_bEUlT_E_NS1_11comp_targetILNS1_3genE10ELNS1_11target_archE1201ELNS1_3gpuE5ELNS1_3repE0EEENS1_30default_config_static_selectorELNS0_4arch9wavefront6targetE1EEEvT1_ ; -- Begin function _ZN7rocprim17ROCPRIM_400000_NS6detail17trampoline_kernelINS0_14default_configENS1_25transform_config_selectorIlLb0EEEZNS1_14transform_implILb0ES3_S5_NS0_18transform_iteratorINS0_17counting_iteratorImlEEZNS1_24adjacent_difference_implIS3_Lb1ELb0EPlSB_ZN2at6native12_GLOBAL__N_124unique_dim_cuda_templateIhEESt5tupleIJNSC_6TensorESH_SH_EERKSH_lbbbEUlllE1_EE10hipError_tPvRmT2_T3_mT4_P12ihipStream_tbEUlmE_lEESB_NS0_8identityIvEEEESM_SP_SQ_mSR_ST_bEUlT_E_NS1_11comp_targetILNS1_3genE10ELNS1_11target_archE1201ELNS1_3gpuE5ELNS1_3repE0EEENS1_30default_config_static_selectorELNS0_4arch9wavefront6targetE1EEEvT1_
	.p2align	8
	.type	_ZN7rocprim17ROCPRIM_400000_NS6detail17trampoline_kernelINS0_14default_configENS1_25transform_config_selectorIlLb0EEEZNS1_14transform_implILb0ES3_S5_NS0_18transform_iteratorINS0_17counting_iteratorImlEEZNS1_24adjacent_difference_implIS3_Lb1ELb0EPlSB_ZN2at6native12_GLOBAL__N_124unique_dim_cuda_templateIhEESt5tupleIJNSC_6TensorESH_SH_EERKSH_lbbbEUlllE1_EE10hipError_tPvRmT2_T3_mT4_P12ihipStream_tbEUlmE_lEESB_NS0_8identityIvEEEESM_SP_SQ_mSR_ST_bEUlT_E_NS1_11comp_targetILNS1_3genE10ELNS1_11target_archE1201ELNS1_3gpuE5ELNS1_3repE0EEENS1_30default_config_static_selectorELNS0_4arch9wavefront6targetE1EEEvT1_,@function
_ZN7rocprim17ROCPRIM_400000_NS6detail17trampoline_kernelINS0_14default_configENS1_25transform_config_selectorIlLb0EEEZNS1_14transform_implILb0ES3_S5_NS0_18transform_iteratorINS0_17counting_iteratorImlEEZNS1_24adjacent_difference_implIS3_Lb1ELb0EPlSB_ZN2at6native12_GLOBAL__N_124unique_dim_cuda_templateIhEESt5tupleIJNSC_6TensorESH_SH_EERKSH_lbbbEUlllE1_EE10hipError_tPvRmT2_T3_mT4_P12ihipStream_tbEUlmE_lEESB_NS0_8identityIvEEEESM_SP_SQ_mSR_ST_bEUlT_E_NS1_11comp_targetILNS1_3genE10ELNS1_11target_archE1201ELNS1_3gpuE5ELNS1_3repE0EEENS1_30default_config_static_selectorELNS0_4arch9wavefront6targetE1EEEvT1_: ; @_ZN7rocprim17ROCPRIM_400000_NS6detail17trampoline_kernelINS0_14default_configENS1_25transform_config_selectorIlLb0EEEZNS1_14transform_implILb0ES3_S5_NS0_18transform_iteratorINS0_17counting_iteratorImlEEZNS1_24adjacent_difference_implIS3_Lb1ELb0EPlSB_ZN2at6native12_GLOBAL__N_124unique_dim_cuda_templateIhEESt5tupleIJNSC_6TensorESH_SH_EERKSH_lbbbEUlllE1_EE10hipError_tPvRmT2_T3_mT4_P12ihipStream_tbEUlmE_lEESB_NS0_8identityIvEEEESM_SP_SQ_mSR_ST_bEUlT_E_NS1_11comp_targetILNS1_3genE10ELNS1_11target_archE1201ELNS1_3gpuE5ELNS1_3repE0EEENS1_30default_config_static_selectorELNS0_4arch9wavefront6targetE1EEEvT1_
; %bb.0:
	.section	.rodata,"a",@progbits
	.p2align	6, 0x0
	.amdhsa_kernel _ZN7rocprim17ROCPRIM_400000_NS6detail17trampoline_kernelINS0_14default_configENS1_25transform_config_selectorIlLb0EEEZNS1_14transform_implILb0ES3_S5_NS0_18transform_iteratorINS0_17counting_iteratorImlEEZNS1_24adjacent_difference_implIS3_Lb1ELb0EPlSB_ZN2at6native12_GLOBAL__N_124unique_dim_cuda_templateIhEESt5tupleIJNSC_6TensorESH_SH_EERKSH_lbbbEUlllE1_EE10hipError_tPvRmT2_T3_mT4_P12ihipStream_tbEUlmE_lEESB_NS0_8identityIvEEEESM_SP_SQ_mSR_ST_bEUlT_E_NS1_11comp_targetILNS1_3genE10ELNS1_11target_archE1201ELNS1_3gpuE5ELNS1_3repE0EEENS1_30default_config_static_selectorELNS0_4arch9wavefront6targetE1EEEvT1_
		.amdhsa_group_segment_fixed_size 0
		.amdhsa_private_segment_fixed_size 0
		.amdhsa_kernarg_size 56
		.amdhsa_user_sgpr_count 6
		.amdhsa_user_sgpr_private_segment_buffer 1
		.amdhsa_user_sgpr_dispatch_ptr 0
		.amdhsa_user_sgpr_queue_ptr 0
		.amdhsa_user_sgpr_kernarg_segment_ptr 1
		.amdhsa_user_sgpr_dispatch_id 0
		.amdhsa_user_sgpr_flat_scratch_init 0
		.amdhsa_user_sgpr_kernarg_preload_length 0
		.amdhsa_user_sgpr_kernarg_preload_offset 0
		.amdhsa_user_sgpr_private_segment_size 0
		.amdhsa_uses_dynamic_stack 0
		.amdhsa_system_sgpr_private_segment_wavefront_offset 0
		.amdhsa_system_sgpr_workgroup_id_x 1
		.amdhsa_system_sgpr_workgroup_id_y 0
		.amdhsa_system_sgpr_workgroup_id_z 0
		.amdhsa_system_sgpr_workgroup_info 0
		.amdhsa_system_vgpr_workitem_id 0
		.amdhsa_next_free_vgpr 1
		.amdhsa_next_free_sgpr 0
		.amdhsa_accum_offset 4
		.amdhsa_reserve_vcc 0
		.amdhsa_reserve_flat_scratch 0
		.amdhsa_float_round_mode_32 0
		.amdhsa_float_round_mode_16_64 0
		.amdhsa_float_denorm_mode_32 3
		.amdhsa_float_denorm_mode_16_64 3
		.amdhsa_dx10_clamp 1
		.amdhsa_ieee_mode 1
		.amdhsa_fp16_overflow 0
		.amdhsa_tg_split 0
		.amdhsa_exception_fp_ieee_invalid_op 0
		.amdhsa_exception_fp_denorm_src 0
		.amdhsa_exception_fp_ieee_div_zero 0
		.amdhsa_exception_fp_ieee_overflow 0
		.amdhsa_exception_fp_ieee_underflow 0
		.amdhsa_exception_fp_ieee_inexact 0
		.amdhsa_exception_int_div_zero 0
	.end_amdhsa_kernel
	.section	.text._ZN7rocprim17ROCPRIM_400000_NS6detail17trampoline_kernelINS0_14default_configENS1_25transform_config_selectorIlLb0EEEZNS1_14transform_implILb0ES3_S5_NS0_18transform_iteratorINS0_17counting_iteratorImlEEZNS1_24adjacent_difference_implIS3_Lb1ELb0EPlSB_ZN2at6native12_GLOBAL__N_124unique_dim_cuda_templateIhEESt5tupleIJNSC_6TensorESH_SH_EERKSH_lbbbEUlllE1_EE10hipError_tPvRmT2_T3_mT4_P12ihipStream_tbEUlmE_lEESB_NS0_8identityIvEEEESM_SP_SQ_mSR_ST_bEUlT_E_NS1_11comp_targetILNS1_3genE10ELNS1_11target_archE1201ELNS1_3gpuE5ELNS1_3repE0EEENS1_30default_config_static_selectorELNS0_4arch9wavefront6targetE1EEEvT1_,"axG",@progbits,_ZN7rocprim17ROCPRIM_400000_NS6detail17trampoline_kernelINS0_14default_configENS1_25transform_config_selectorIlLb0EEEZNS1_14transform_implILb0ES3_S5_NS0_18transform_iteratorINS0_17counting_iteratorImlEEZNS1_24adjacent_difference_implIS3_Lb1ELb0EPlSB_ZN2at6native12_GLOBAL__N_124unique_dim_cuda_templateIhEESt5tupleIJNSC_6TensorESH_SH_EERKSH_lbbbEUlllE1_EE10hipError_tPvRmT2_T3_mT4_P12ihipStream_tbEUlmE_lEESB_NS0_8identityIvEEEESM_SP_SQ_mSR_ST_bEUlT_E_NS1_11comp_targetILNS1_3genE10ELNS1_11target_archE1201ELNS1_3gpuE5ELNS1_3repE0EEENS1_30default_config_static_selectorELNS0_4arch9wavefront6targetE1EEEvT1_,comdat
.Lfunc_end71:
	.size	_ZN7rocprim17ROCPRIM_400000_NS6detail17trampoline_kernelINS0_14default_configENS1_25transform_config_selectorIlLb0EEEZNS1_14transform_implILb0ES3_S5_NS0_18transform_iteratorINS0_17counting_iteratorImlEEZNS1_24adjacent_difference_implIS3_Lb1ELb0EPlSB_ZN2at6native12_GLOBAL__N_124unique_dim_cuda_templateIhEESt5tupleIJNSC_6TensorESH_SH_EERKSH_lbbbEUlllE1_EE10hipError_tPvRmT2_T3_mT4_P12ihipStream_tbEUlmE_lEESB_NS0_8identityIvEEEESM_SP_SQ_mSR_ST_bEUlT_E_NS1_11comp_targetILNS1_3genE10ELNS1_11target_archE1201ELNS1_3gpuE5ELNS1_3repE0EEENS1_30default_config_static_selectorELNS0_4arch9wavefront6targetE1EEEvT1_, .Lfunc_end71-_ZN7rocprim17ROCPRIM_400000_NS6detail17trampoline_kernelINS0_14default_configENS1_25transform_config_selectorIlLb0EEEZNS1_14transform_implILb0ES3_S5_NS0_18transform_iteratorINS0_17counting_iteratorImlEEZNS1_24adjacent_difference_implIS3_Lb1ELb0EPlSB_ZN2at6native12_GLOBAL__N_124unique_dim_cuda_templateIhEESt5tupleIJNSC_6TensorESH_SH_EERKSH_lbbbEUlllE1_EE10hipError_tPvRmT2_T3_mT4_P12ihipStream_tbEUlmE_lEESB_NS0_8identityIvEEEESM_SP_SQ_mSR_ST_bEUlT_E_NS1_11comp_targetILNS1_3genE10ELNS1_11target_archE1201ELNS1_3gpuE5ELNS1_3repE0EEENS1_30default_config_static_selectorELNS0_4arch9wavefront6targetE1EEEvT1_
                                        ; -- End function
	.section	.AMDGPU.csdata,"",@progbits
; Kernel info:
; codeLenInByte = 0
; NumSgprs: 4
; NumVgprs: 0
; NumAgprs: 0
; TotalNumVgprs: 0
; ScratchSize: 0
; MemoryBound: 0
; FloatMode: 240
; IeeeMode: 1
; LDSByteSize: 0 bytes/workgroup (compile time only)
; SGPRBlocks: 0
; VGPRBlocks: 0
; NumSGPRsForWavesPerEU: 4
; NumVGPRsForWavesPerEU: 1
; AccumOffset: 4
; Occupancy: 8
; WaveLimiterHint : 0
; COMPUTE_PGM_RSRC2:SCRATCH_EN: 0
; COMPUTE_PGM_RSRC2:USER_SGPR: 6
; COMPUTE_PGM_RSRC2:TRAP_HANDLER: 0
; COMPUTE_PGM_RSRC2:TGID_X_EN: 1
; COMPUTE_PGM_RSRC2:TGID_Y_EN: 0
; COMPUTE_PGM_RSRC2:TGID_Z_EN: 0
; COMPUTE_PGM_RSRC2:TIDIG_COMP_CNT: 0
; COMPUTE_PGM_RSRC3_GFX90A:ACCUM_OFFSET: 0
; COMPUTE_PGM_RSRC3_GFX90A:TG_SPLIT: 0
	.section	.text._ZN7rocprim17ROCPRIM_400000_NS6detail17trampoline_kernelINS0_14default_configENS1_25transform_config_selectorIlLb0EEEZNS1_14transform_implILb0ES3_S5_NS0_18transform_iteratorINS0_17counting_iteratorImlEEZNS1_24adjacent_difference_implIS3_Lb1ELb0EPlSB_ZN2at6native12_GLOBAL__N_124unique_dim_cuda_templateIhEESt5tupleIJNSC_6TensorESH_SH_EERKSH_lbbbEUlllE1_EE10hipError_tPvRmT2_T3_mT4_P12ihipStream_tbEUlmE_lEESB_NS0_8identityIvEEEESM_SP_SQ_mSR_ST_bEUlT_E_NS1_11comp_targetILNS1_3genE10ELNS1_11target_archE1200ELNS1_3gpuE4ELNS1_3repE0EEENS1_30default_config_static_selectorELNS0_4arch9wavefront6targetE1EEEvT1_,"axG",@progbits,_ZN7rocprim17ROCPRIM_400000_NS6detail17trampoline_kernelINS0_14default_configENS1_25transform_config_selectorIlLb0EEEZNS1_14transform_implILb0ES3_S5_NS0_18transform_iteratorINS0_17counting_iteratorImlEEZNS1_24adjacent_difference_implIS3_Lb1ELb0EPlSB_ZN2at6native12_GLOBAL__N_124unique_dim_cuda_templateIhEESt5tupleIJNSC_6TensorESH_SH_EERKSH_lbbbEUlllE1_EE10hipError_tPvRmT2_T3_mT4_P12ihipStream_tbEUlmE_lEESB_NS0_8identityIvEEEESM_SP_SQ_mSR_ST_bEUlT_E_NS1_11comp_targetILNS1_3genE10ELNS1_11target_archE1200ELNS1_3gpuE4ELNS1_3repE0EEENS1_30default_config_static_selectorELNS0_4arch9wavefront6targetE1EEEvT1_,comdat
	.globl	_ZN7rocprim17ROCPRIM_400000_NS6detail17trampoline_kernelINS0_14default_configENS1_25transform_config_selectorIlLb0EEEZNS1_14transform_implILb0ES3_S5_NS0_18transform_iteratorINS0_17counting_iteratorImlEEZNS1_24adjacent_difference_implIS3_Lb1ELb0EPlSB_ZN2at6native12_GLOBAL__N_124unique_dim_cuda_templateIhEESt5tupleIJNSC_6TensorESH_SH_EERKSH_lbbbEUlllE1_EE10hipError_tPvRmT2_T3_mT4_P12ihipStream_tbEUlmE_lEESB_NS0_8identityIvEEEESM_SP_SQ_mSR_ST_bEUlT_E_NS1_11comp_targetILNS1_3genE10ELNS1_11target_archE1200ELNS1_3gpuE4ELNS1_3repE0EEENS1_30default_config_static_selectorELNS0_4arch9wavefront6targetE1EEEvT1_ ; -- Begin function _ZN7rocprim17ROCPRIM_400000_NS6detail17trampoline_kernelINS0_14default_configENS1_25transform_config_selectorIlLb0EEEZNS1_14transform_implILb0ES3_S5_NS0_18transform_iteratorINS0_17counting_iteratorImlEEZNS1_24adjacent_difference_implIS3_Lb1ELb0EPlSB_ZN2at6native12_GLOBAL__N_124unique_dim_cuda_templateIhEESt5tupleIJNSC_6TensorESH_SH_EERKSH_lbbbEUlllE1_EE10hipError_tPvRmT2_T3_mT4_P12ihipStream_tbEUlmE_lEESB_NS0_8identityIvEEEESM_SP_SQ_mSR_ST_bEUlT_E_NS1_11comp_targetILNS1_3genE10ELNS1_11target_archE1200ELNS1_3gpuE4ELNS1_3repE0EEENS1_30default_config_static_selectorELNS0_4arch9wavefront6targetE1EEEvT1_
	.p2align	8
	.type	_ZN7rocprim17ROCPRIM_400000_NS6detail17trampoline_kernelINS0_14default_configENS1_25transform_config_selectorIlLb0EEEZNS1_14transform_implILb0ES3_S5_NS0_18transform_iteratorINS0_17counting_iteratorImlEEZNS1_24adjacent_difference_implIS3_Lb1ELb0EPlSB_ZN2at6native12_GLOBAL__N_124unique_dim_cuda_templateIhEESt5tupleIJNSC_6TensorESH_SH_EERKSH_lbbbEUlllE1_EE10hipError_tPvRmT2_T3_mT4_P12ihipStream_tbEUlmE_lEESB_NS0_8identityIvEEEESM_SP_SQ_mSR_ST_bEUlT_E_NS1_11comp_targetILNS1_3genE10ELNS1_11target_archE1200ELNS1_3gpuE4ELNS1_3repE0EEENS1_30default_config_static_selectorELNS0_4arch9wavefront6targetE1EEEvT1_,@function
_ZN7rocprim17ROCPRIM_400000_NS6detail17trampoline_kernelINS0_14default_configENS1_25transform_config_selectorIlLb0EEEZNS1_14transform_implILb0ES3_S5_NS0_18transform_iteratorINS0_17counting_iteratorImlEEZNS1_24adjacent_difference_implIS3_Lb1ELb0EPlSB_ZN2at6native12_GLOBAL__N_124unique_dim_cuda_templateIhEESt5tupleIJNSC_6TensorESH_SH_EERKSH_lbbbEUlllE1_EE10hipError_tPvRmT2_T3_mT4_P12ihipStream_tbEUlmE_lEESB_NS0_8identityIvEEEESM_SP_SQ_mSR_ST_bEUlT_E_NS1_11comp_targetILNS1_3genE10ELNS1_11target_archE1200ELNS1_3gpuE4ELNS1_3repE0EEENS1_30default_config_static_selectorELNS0_4arch9wavefront6targetE1EEEvT1_: ; @_ZN7rocprim17ROCPRIM_400000_NS6detail17trampoline_kernelINS0_14default_configENS1_25transform_config_selectorIlLb0EEEZNS1_14transform_implILb0ES3_S5_NS0_18transform_iteratorINS0_17counting_iteratorImlEEZNS1_24adjacent_difference_implIS3_Lb1ELb0EPlSB_ZN2at6native12_GLOBAL__N_124unique_dim_cuda_templateIhEESt5tupleIJNSC_6TensorESH_SH_EERKSH_lbbbEUlllE1_EE10hipError_tPvRmT2_T3_mT4_P12ihipStream_tbEUlmE_lEESB_NS0_8identityIvEEEESM_SP_SQ_mSR_ST_bEUlT_E_NS1_11comp_targetILNS1_3genE10ELNS1_11target_archE1200ELNS1_3gpuE4ELNS1_3repE0EEENS1_30default_config_static_selectorELNS0_4arch9wavefront6targetE1EEEvT1_
; %bb.0:
	.section	.rodata,"a",@progbits
	.p2align	6, 0x0
	.amdhsa_kernel _ZN7rocprim17ROCPRIM_400000_NS6detail17trampoline_kernelINS0_14default_configENS1_25transform_config_selectorIlLb0EEEZNS1_14transform_implILb0ES3_S5_NS0_18transform_iteratorINS0_17counting_iteratorImlEEZNS1_24adjacent_difference_implIS3_Lb1ELb0EPlSB_ZN2at6native12_GLOBAL__N_124unique_dim_cuda_templateIhEESt5tupleIJNSC_6TensorESH_SH_EERKSH_lbbbEUlllE1_EE10hipError_tPvRmT2_T3_mT4_P12ihipStream_tbEUlmE_lEESB_NS0_8identityIvEEEESM_SP_SQ_mSR_ST_bEUlT_E_NS1_11comp_targetILNS1_3genE10ELNS1_11target_archE1200ELNS1_3gpuE4ELNS1_3repE0EEENS1_30default_config_static_selectorELNS0_4arch9wavefront6targetE1EEEvT1_
		.amdhsa_group_segment_fixed_size 0
		.amdhsa_private_segment_fixed_size 0
		.amdhsa_kernarg_size 56
		.amdhsa_user_sgpr_count 6
		.amdhsa_user_sgpr_private_segment_buffer 1
		.amdhsa_user_sgpr_dispatch_ptr 0
		.amdhsa_user_sgpr_queue_ptr 0
		.amdhsa_user_sgpr_kernarg_segment_ptr 1
		.amdhsa_user_sgpr_dispatch_id 0
		.amdhsa_user_sgpr_flat_scratch_init 0
		.amdhsa_user_sgpr_kernarg_preload_length 0
		.amdhsa_user_sgpr_kernarg_preload_offset 0
		.amdhsa_user_sgpr_private_segment_size 0
		.amdhsa_uses_dynamic_stack 0
		.amdhsa_system_sgpr_private_segment_wavefront_offset 0
		.amdhsa_system_sgpr_workgroup_id_x 1
		.amdhsa_system_sgpr_workgroup_id_y 0
		.amdhsa_system_sgpr_workgroup_id_z 0
		.amdhsa_system_sgpr_workgroup_info 0
		.amdhsa_system_vgpr_workitem_id 0
		.amdhsa_next_free_vgpr 1
		.amdhsa_next_free_sgpr 0
		.amdhsa_accum_offset 4
		.amdhsa_reserve_vcc 0
		.amdhsa_reserve_flat_scratch 0
		.amdhsa_float_round_mode_32 0
		.amdhsa_float_round_mode_16_64 0
		.amdhsa_float_denorm_mode_32 3
		.amdhsa_float_denorm_mode_16_64 3
		.amdhsa_dx10_clamp 1
		.amdhsa_ieee_mode 1
		.amdhsa_fp16_overflow 0
		.amdhsa_tg_split 0
		.amdhsa_exception_fp_ieee_invalid_op 0
		.amdhsa_exception_fp_denorm_src 0
		.amdhsa_exception_fp_ieee_div_zero 0
		.amdhsa_exception_fp_ieee_overflow 0
		.amdhsa_exception_fp_ieee_underflow 0
		.amdhsa_exception_fp_ieee_inexact 0
		.amdhsa_exception_int_div_zero 0
	.end_amdhsa_kernel
	.section	.text._ZN7rocprim17ROCPRIM_400000_NS6detail17trampoline_kernelINS0_14default_configENS1_25transform_config_selectorIlLb0EEEZNS1_14transform_implILb0ES3_S5_NS0_18transform_iteratorINS0_17counting_iteratorImlEEZNS1_24adjacent_difference_implIS3_Lb1ELb0EPlSB_ZN2at6native12_GLOBAL__N_124unique_dim_cuda_templateIhEESt5tupleIJNSC_6TensorESH_SH_EERKSH_lbbbEUlllE1_EE10hipError_tPvRmT2_T3_mT4_P12ihipStream_tbEUlmE_lEESB_NS0_8identityIvEEEESM_SP_SQ_mSR_ST_bEUlT_E_NS1_11comp_targetILNS1_3genE10ELNS1_11target_archE1200ELNS1_3gpuE4ELNS1_3repE0EEENS1_30default_config_static_selectorELNS0_4arch9wavefront6targetE1EEEvT1_,"axG",@progbits,_ZN7rocprim17ROCPRIM_400000_NS6detail17trampoline_kernelINS0_14default_configENS1_25transform_config_selectorIlLb0EEEZNS1_14transform_implILb0ES3_S5_NS0_18transform_iteratorINS0_17counting_iteratorImlEEZNS1_24adjacent_difference_implIS3_Lb1ELb0EPlSB_ZN2at6native12_GLOBAL__N_124unique_dim_cuda_templateIhEESt5tupleIJNSC_6TensorESH_SH_EERKSH_lbbbEUlllE1_EE10hipError_tPvRmT2_T3_mT4_P12ihipStream_tbEUlmE_lEESB_NS0_8identityIvEEEESM_SP_SQ_mSR_ST_bEUlT_E_NS1_11comp_targetILNS1_3genE10ELNS1_11target_archE1200ELNS1_3gpuE4ELNS1_3repE0EEENS1_30default_config_static_selectorELNS0_4arch9wavefront6targetE1EEEvT1_,comdat
.Lfunc_end72:
	.size	_ZN7rocprim17ROCPRIM_400000_NS6detail17trampoline_kernelINS0_14default_configENS1_25transform_config_selectorIlLb0EEEZNS1_14transform_implILb0ES3_S5_NS0_18transform_iteratorINS0_17counting_iteratorImlEEZNS1_24adjacent_difference_implIS3_Lb1ELb0EPlSB_ZN2at6native12_GLOBAL__N_124unique_dim_cuda_templateIhEESt5tupleIJNSC_6TensorESH_SH_EERKSH_lbbbEUlllE1_EE10hipError_tPvRmT2_T3_mT4_P12ihipStream_tbEUlmE_lEESB_NS0_8identityIvEEEESM_SP_SQ_mSR_ST_bEUlT_E_NS1_11comp_targetILNS1_3genE10ELNS1_11target_archE1200ELNS1_3gpuE4ELNS1_3repE0EEENS1_30default_config_static_selectorELNS0_4arch9wavefront6targetE1EEEvT1_, .Lfunc_end72-_ZN7rocprim17ROCPRIM_400000_NS6detail17trampoline_kernelINS0_14default_configENS1_25transform_config_selectorIlLb0EEEZNS1_14transform_implILb0ES3_S5_NS0_18transform_iteratorINS0_17counting_iteratorImlEEZNS1_24adjacent_difference_implIS3_Lb1ELb0EPlSB_ZN2at6native12_GLOBAL__N_124unique_dim_cuda_templateIhEESt5tupleIJNSC_6TensorESH_SH_EERKSH_lbbbEUlllE1_EE10hipError_tPvRmT2_T3_mT4_P12ihipStream_tbEUlmE_lEESB_NS0_8identityIvEEEESM_SP_SQ_mSR_ST_bEUlT_E_NS1_11comp_targetILNS1_3genE10ELNS1_11target_archE1200ELNS1_3gpuE4ELNS1_3repE0EEENS1_30default_config_static_selectorELNS0_4arch9wavefront6targetE1EEEvT1_
                                        ; -- End function
	.section	.AMDGPU.csdata,"",@progbits
; Kernel info:
; codeLenInByte = 0
; NumSgprs: 4
; NumVgprs: 0
; NumAgprs: 0
; TotalNumVgprs: 0
; ScratchSize: 0
; MemoryBound: 0
; FloatMode: 240
; IeeeMode: 1
; LDSByteSize: 0 bytes/workgroup (compile time only)
; SGPRBlocks: 0
; VGPRBlocks: 0
; NumSGPRsForWavesPerEU: 4
; NumVGPRsForWavesPerEU: 1
; AccumOffset: 4
; Occupancy: 8
; WaveLimiterHint : 0
; COMPUTE_PGM_RSRC2:SCRATCH_EN: 0
; COMPUTE_PGM_RSRC2:USER_SGPR: 6
; COMPUTE_PGM_RSRC2:TRAP_HANDLER: 0
; COMPUTE_PGM_RSRC2:TGID_X_EN: 1
; COMPUTE_PGM_RSRC2:TGID_Y_EN: 0
; COMPUTE_PGM_RSRC2:TGID_Z_EN: 0
; COMPUTE_PGM_RSRC2:TIDIG_COMP_CNT: 0
; COMPUTE_PGM_RSRC3_GFX90A:ACCUM_OFFSET: 0
; COMPUTE_PGM_RSRC3_GFX90A:TG_SPLIT: 0
	.section	.text._ZN7rocprim17ROCPRIM_400000_NS6detail17trampoline_kernelINS0_14default_configENS1_25transform_config_selectorIlLb0EEEZNS1_14transform_implILb0ES3_S5_NS0_18transform_iteratorINS0_17counting_iteratorImlEEZNS1_24adjacent_difference_implIS3_Lb1ELb0EPlSB_ZN2at6native12_GLOBAL__N_124unique_dim_cuda_templateIhEESt5tupleIJNSC_6TensorESH_SH_EERKSH_lbbbEUlllE1_EE10hipError_tPvRmT2_T3_mT4_P12ihipStream_tbEUlmE_lEESB_NS0_8identityIvEEEESM_SP_SQ_mSR_ST_bEUlT_E_NS1_11comp_targetILNS1_3genE9ELNS1_11target_archE1100ELNS1_3gpuE3ELNS1_3repE0EEENS1_30default_config_static_selectorELNS0_4arch9wavefront6targetE1EEEvT1_,"axG",@progbits,_ZN7rocprim17ROCPRIM_400000_NS6detail17trampoline_kernelINS0_14default_configENS1_25transform_config_selectorIlLb0EEEZNS1_14transform_implILb0ES3_S5_NS0_18transform_iteratorINS0_17counting_iteratorImlEEZNS1_24adjacent_difference_implIS3_Lb1ELb0EPlSB_ZN2at6native12_GLOBAL__N_124unique_dim_cuda_templateIhEESt5tupleIJNSC_6TensorESH_SH_EERKSH_lbbbEUlllE1_EE10hipError_tPvRmT2_T3_mT4_P12ihipStream_tbEUlmE_lEESB_NS0_8identityIvEEEESM_SP_SQ_mSR_ST_bEUlT_E_NS1_11comp_targetILNS1_3genE9ELNS1_11target_archE1100ELNS1_3gpuE3ELNS1_3repE0EEENS1_30default_config_static_selectorELNS0_4arch9wavefront6targetE1EEEvT1_,comdat
	.globl	_ZN7rocprim17ROCPRIM_400000_NS6detail17trampoline_kernelINS0_14default_configENS1_25transform_config_selectorIlLb0EEEZNS1_14transform_implILb0ES3_S5_NS0_18transform_iteratorINS0_17counting_iteratorImlEEZNS1_24adjacent_difference_implIS3_Lb1ELb0EPlSB_ZN2at6native12_GLOBAL__N_124unique_dim_cuda_templateIhEESt5tupleIJNSC_6TensorESH_SH_EERKSH_lbbbEUlllE1_EE10hipError_tPvRmT2_T3_mT4_P12ihipStream_tbEUlmE_lEESB_NS0_8identityIvEEEESM_SP_SQ_mSR_ST_bEUlT_E_NS1_11comp_targetILNS1_3genE9ELNS1_11target_archE1100ELNS1_3gpuE3ELNS1_3repE0EEENS1_30default_config_static_selectorELNS0_4arch9wavefront6targetE1EEEvT1_ ; -- Begin function _ZN7rocprim17ROCPRIM_400000_NS6detail17trampoline_kernelINS0_14default_configENS1_25transform_config_selectorIlLb0EEEZNS1_14transform_implILb0ES3_S5_NS0_18transform_iteratorINS0_17counting_iteratorImlEEZNS1_24adjacent_difference_implIS3_Lb1ELb0EPlSB_ZN2at6native12_GLOBAL__N_124unique_dim_cuda_templateIhEESt5tupleIJNSC_6TensorESH_SH_EERKSH_lbbbEUlllE1_EE10hipError_tPvRmT2_T3_mT4_P12ihipStream_tbEUlmE_lEESB_NS0_8identityIvEEEESM_SP_SQ_mSR_ST_bEUlT_E_NS1_11comp_targetILNS1_3genE9ELNS1_11target_archE1100ELNS1_3gpuE3ELNS1_3repE0EEENS1_30default_config_static_selectorELNS0_4arch9wavefront6targetE1EEEvT1_
	.p2align	8
	.type	_ZN7rocprim17ROCPRIM_400000_NS6detail17trampoline_kernelINS0_14default_configENS1_25transform_config_selectorIlLb0EEEZNS1_14transform_implILb0ES3_S5_NS0_18transform_iteratorINS0_17counting_iteratorImlEEZNS1_24adjacent_difference_implIS3_Lb1ELb0EPlSB_ZN2at6native12_GLOBAL__N_124unique_dim_cuda_templateIhEESt5tupleIJNSC_6TensorESH_SH_EERKSH_lbbbEUlllE1_EE10hipError_tPvRmT2_T3_mT4_P12ihipStream_tbEUlmE_lEESB_NS0_8identityIvEEEESM_SP_SQ_mSR_ST_bEUlT_E_NS1_11comp_targetILNS1_3genE9ELNS1_11target_archE1100ELNS1_3gpuE3ELNS1_3repE0EEENS1_30default_config_static_selectorELNS0_4arch9wavefront6targetE1EEEvT1_,@function
_ZN7rocprim17ROCPRIM_400000_NS6detail17trampoline_kernelINS0_14default_configENS1_25transform_config_selectorIlLb0EEEZNS1_14transform_implILb0ES3_S5_NS0_18transform_iteratorINS0_17counting_iteratorImlEEZNS1_24adjacent_difference_implIS3_Lb1ELb0EPlSB_ZN2at6native12_GLOBAL__N_124unique_dim_cuda_templateIhEESt5tupleIJNSC_6TensorESH_SH_EERKSH_lbbbEUlllE1_EE10hipError_tPvRmT2_T3_mT4_P12ihipStream_tbEUlmE_lEESB_NS0_8identityIvEEEESM_SP_SQ_mSR_ST_bEUlT_E_NS1_11comp_targetILNS1_3genE9ELNS1_11target_archE1100ELNS1_3gpuE3ELNS1_3repE0EEENS1_30default_config_static_selectorELNS0_4arch9wavefront6targetE1EEEvT1_: ; @_ZN7rocprim17ROCPRIM_400000_NS6detail17trampoline_kernelINS0_14default_configENS1_25transform_config_selectorIlLb0EEEZNS1_14transform_implILb0ES3_S5_NS0_18transform_iteratorINS0_17counting_iteratorImlEEZNS1_24adjacent_difference_implIS3_Lb1ELb0EPlSB_ZN2at6native12_GLOBAL__N_124unique_dim_cuda_templateIhEESt5tupleIJNSC_6TensorESH_SH_EERKSH_lbbbEUlllE1_EE10hipError_tPvRmT2_T3_mT4_P12ihipStream_tbEUlmE_lEESB_NS0_8identityIvEEEESM_SP_SQ_mSR_ST_bEUlT_E_NS1_11comp_targetILNS1_3genE9ELNS1_11target_archE1100ELNS1_3gpuE3ELNS1_3repE0EEENS1_30default_config_static_selectorELNS0_4arch9wavefront6targetE1EEEvT1_
; %bb.0:
	.section	.rodata,"a",@progbits
	.p2align	6, 0x0
	.amdhsa_kernel _ZN7rocprim17ROCPRIM_400000_NS6detail17trampoline_kernelINS0_14default_configENS1_25transform_config_selectorIlLb0EEEZNS1_14transform_implILb0ES3_S5_NS0_18transform_iteratorINS0_17counting_iteratorImlEEZNS1_24adjacent_difference_implIS3_Lb1ELb0EPlSB_ZN2at6native12_GLOBAL__N_124unique_dim_cuda_templateIhEESt5tupleIJNSC_6TensorESH_SH_EERKSH_lbbbEUlllE1_EE10hipError_tPvRmT2_T3_mT4_P12ihipStream_tbEUlmE_lEESB_NS0_8identityIvEEEESM_SP_SQ_mSR_ST_bEUlT_E_NS1_11comp_targetILNS1_3genE9ELNS1_11target_archE1100ELNS1_3gpuE3ELNS1_3repE0EEENS1_30default_config_static_selectorELNS0_4arch9wavefront6targetE1EEEvT1_
		.amdhsa_group_segment_fixed_size 0
		.amdhsa_private_segment_fixed_size 0
		.amdhsa_kernarg_size 56
		.amdhsa_user_sgpr_count 6
		.amdhsa_user_sgpr_private_segment_buffer 1
		.amdhsa_user_sgpr_dispatch_ptr 0
		.amdhsa_user_sgpr_queue_ptr 0
		.amdhsa_user_sgpr_kernarg_segment_ptr 1
		.amdhsa_user_sgpr_dispatch_id 0
		.amdhsa_user_sgpr_flat_scratch_init 0
		.amdhsa_user_sgpr_kernarg_preload_length 0
		.amdhsa_user_sgpr_kernarg_preload_offset 0
		.amdhsa_user_sgpr_private_segment_size 0
		.amdhsa_uses_dynamic_stack 0
		.amdhsa_system_sgpr_private_segment_wavefront_offset 0
		.amdhsa_system_sgpr_workgroup_id_x 1
		.amdhsa_system_sgpr_workgroup_id_y 0
		.amdhsa_system_sgpr_workgroup_id_z 0
		.amdhsa_system_sgpr_workgroup_info 0
		.amdhsa_system_vgpr_workitem_id 0
		.amdhsa_next_free_vgpr 1
		.amdhsa_next_free_sgpr 0
		.amdhsa_accum_offset 4
		.amdhsa_reserve_vcc 0
		.amdhsa_reserve_flat_scratch 0
		.amdhsa_float_round_mode_32 0
		.amdhsa_float_round_mode_16_64 0
		.amdhsa_float_denorm_mode_32 3
		.amdhsa_float_denorm_mode_16_64 3
		.amdhsa_dx10_clamp 1
		.amdhsa_ieee_mode 1
		.amdhsa_fp16_overflow 0
		.amdhsa_tg_split 0
		.amdhsa_exception_fp_ieee_invalid_op 0
		.amdhsa_exception_fp_denorm_src 0
		.amdhsa_exception_fp_ieee_div_zero 0
		.amdhsa_exception_fp_ieee_overflow 0
		.amdhsa_exception_fp_ieee_underflow 0
		.amdhsa_exception_fp_ieee_inexact 0
		.amdhsa_exception_int_div_zero 0
	.end_amdhsa_kernel
	.section	.text._ZN7rocprim17ROCPRIM_400000_NS6detail17trampoline_kernelINS0_14default_configENS1_25transform_config_selectorIlLb0EEEZNS1_14transform_implILb0ES3_S5_NS0_18transform_iteratorINS0_17counting_iteratorImlEEZNS1_24adjacent_difference_implIS3_Lb1ELb0EPlSB_ZN2at6native12_GLOBAL__N_124unique_dim_cuda_templateIhEESt5tupleIJNSC_6TensorESH_SH_EERKSH_lbbbEUlllE1_EE10hipError_tPvRmT2_T3_mT4_P12ihipStream_tbEUlmE_lEESB_NS0_8identityIvEEEESM_SP_SQ_mSR_ST_bEUlT_E_NS1_11comp_targetILNS1_3genE9ELNS1_11target_archE1100ELNS1_3gpuE3ELNS1_3repE0EEENS1_30default_config_static_selectorELNS0_4arch9wavefront6targetE1EEEvT1_,"axG",@progbits,_ZN7rocprim17ROCPRIM_400000_NS6detail17trampoline_kernelINS0_14default_configENS1_25transform_config_selectorIlLb0EEEZNS1_14transform_implILb0ES3_S5_NS0_18transform_iteratorINS0_17counting_iteratorImlEEZNS1_24adjacent_difference_implIS3_Lb1ELb0EPlSB_ZN2at6native12_GLOBAL__N_124unique_dim_cuda_templateIhEESt5tupleIJNSC_6TensorESH_SH_EERKSH_lbbbEUlllE1_EE10hipError_tPvRmT2_T3_mT4_P12ihipStream_tbEUlmE_lEESB_NS0_8identityIvEEEESM_SP_SQ_mSR_ST_bEUlT_E_NS1_11comp_targetILNS1_3genE9ELNS1_11target_archE1100ELNS1_3gpuE3ELNS1_3repE0EEENS1_30default_config_static_selectorELNS0_4arch9wavefront6targetE1EEEvT1_,comdat
.Lfunc_end73:
	.size	_ZN7rocprim17ROCPRIM_400000_NS6detail17trampoline_kernelINS0_14default_configENS1_25transform_config_selectorIlLb0EEEZNS1_14transform_implILb0ES3_S5_NS0_18transform_iteratorINS0_17counting_iteratorImlEEZNS1_24adjacent_difference_implIS3_Lb1ELb0EPlSB_ZN2at6native12_GLOBAL__N_124unique_dim_cuda_templateIhEESt5tupleIJNSC_6TensorESH_SH_EERKSH_lbbbEUlllE1_EE10hipError_tPvRmT2_T3_mT4_P12ihipStream_tbEUlmE_lEESB_NS0_8identityIvEEEESM_SP_SQ_mSR_ST_bEUlT_E_NS1_11comp_targetILNS1_3genE9ELNS1_11target_archE1100ELNS1_3gpuE3ELNS1_3repE0EEENS1_30default_config_static_selectorELNS0_4arch9wavefront6targetE1EEEvT1_, .Lfunc_end73-_ZN7rocprim17ROCPRIM_400000_NS6detail17trampoline_kernelINS0_14default_configENS1_25transform_config_selectorIlLb0EEEZNS1_14transform_implILb0ES3_S5_NS0_18transform_iteratorINS0_17counting_iteratorImlEEZNS1_24adjacent_difference_implIS3_Lb1ELb0EPlSB_ZN2at6native12_GLOBAL__N_124unique_dim_cuda_templateIhEESt5tupleIJNSC_6TensorESH_SH_EERKSH_lbbbEUlllE1_EE10hipError_tPvRmT2_T3_mT4_P12ihipStream_tbEUlmE_lEESB_NS0_8identityIvEEEESM_SP_SQ_mSR_ST_bEUlT_E_NS1_11comp_targetILNS1_3genE9ELNS1_11target_archE1100ELNS1_3gpuE3ELNS1_3repE0EEENS1_30default_config_static_selectorELNS0_4arch9wavefront6targetE1EEEvT1_
                                        ; -- End function
	.section	.AMDGPU.csdata,"",@progbits
; Kernel info:
; codeLenInByte = 0
; NumSgprs: 4
; NumVgprs: 0
; NumAgprs: 0
; TotalNumVgprs: 0
; ScratchSize: 0
; MemoryBound: 0
; FloatMode: 240
; IeeeMode: 1
; LDSByteSize: 0 bytes/workgroup (compile time only)
; SGPRBlocks: 0
; VGPRBlocks: 0
; NumSGPRsForWavesPerEU: 4
; NumVGPRsForWavesPerEU: 1
; AccumOffset: 4
; Occupancy: 8
; WaveLimiterHint : 0
; COMPUTE_PGM_RSRC2:SCRATCH_EN: 0
; COMPUTE_PGM_RSRC2:USER_SGPR: 6
; COMPUTE_PGM_RSRC2:TRAP_HANDLER: 0
; COMPUTE_PGM_RSRC2:TGID_X_EN: 1
; COMPUTE_PGM_RSRC2:TGID_Y_EN: 0
; COMPUTE_PGM_RSRC2:TGID_Z_EN: 0
; COMPUTE_PGM_RSRC2:TIDIG_COMP_CNT: 0
; COMPUTE_PGM_RSRC3_GFX90A:ACCUM_OFFSET: 0
; COMPUTE_PGM_RSRC3_GFX90A:TG_SPLIT: 0
	.section	.text._ZN7rocprim17ROCPRIM_400000_NS6detail17trampoline_kernelINS0_14default_configENS1_25transform_config_selectorIlLb0EEEZNS1_14transform_implILb0ES3_S5_NS0_18transform_iteratorINS0_17counting_iteratorImlEEZNS1_24adjacent_difference_implIS3_Lb1ELb0EPlSB_ZN2at6native12_GLOBAL__N_124unique_dim_cuda_templateIhEESt5tupleIJNSC_6TensorESH_SH_EERKSH_lbbbEUlllE1_EE10hipError_tPvRmT2_T3_mT4_P12ihipStream_tbEUlmE_lEESB_NS0_8identityIvEEEESM_SP_SQ_mSR_ST_bEUlT_E_NS1_11comp_targetILNS1_3genE8ELNS1_11target_archE1030ELNS1_3gpuE2ELNS1_3repE0EEENS1_30default_config_static_selectorELNS0_4arch9wavefront6targetE1EEEvT1_,"axG",@progbits,_ZN7rocprim17ROCPRIM_400000_NS6detail17trampoline_kernelINS0_14default_configENS1_25transform_config_selectorIlLb0EEEZNS1_14transform_implILb0ES3_S5_NS0_18transform_iteratorINS0_17counting_iteratorImlEEZNS1_24adjacent_difference_implIS3_Lb1ELb0EPlSB_ZN2at6native12_GLOBAL__N_124unique_dim_cuda_templateIhEESt5tupleIJNSC_6TensorESH_SH_EERKSH_lbbbEUlllE1_EE10hipError_tPvRmT2_T3_mT4_P12ihipStream_tbEUlmE_lEESB_NS0_8identityIvEEEESM_SP_SQ_mSR_ST_bEUlT_E_NS1_11comp_targetILNS1_3genE8ELNS1_11target_archE1030ELNS1_3gpuE2ELNS1_3repE0EEENS1_30default_config_static_selectorELNS0_4arch9wavefront6targetE1EEEvT1_,comdat
	.globl	_ZN7rocprim17ROCPRIM_400000_NS6detail17trampoline_kernelINS0_14default_configENS1_25transform_config_selectorIlLb0EEEZNS1_14transform_implILb0ES3_S5_NS0_18transform_iteratorINS0_17counting_iteratorImlEEZNS1_24adjacent_difference_implIS3_Lb1ELb0EPlSB_ZN2at6native12_GLOBAL__N_124unique_dim_cuda_templateIhEESt5tupleIJNSC_6TensorESH_SH_EERKSH_lbbbEUlllE1_EE10hipError_tPvRmT2_T3_mT4_P12ihipStream_tbEUlmE_lEESB_NS0_8identityIvEEEESM_SP_SQ_mSR_ST_bEUlT_E_NS1_11comp_targetILNS1_3genE8ELNS1_11target_archE1030ELNS1_3gpuE2ELNS1_3repE0EEENS1_30default_config_static_selectorELNS0_4arch9wavefront6targetE1EEEvT1_ ; -- Begin function _ZN7rocprim17ROCPRIM_400000_NS6detail17trampoline_kernelINS0_14default_configENS1_25transform_config_selectorIlLb0EEEZNS1_14transform_implILb0ES3_S5_NS0_18transform_iteratorINS0_17counting_iteratorImlEEZNS1_24adjacent_difference_implIS3_Lb1ELb0EPlSB_ZN2at6native12_GLOBAL__N_124unique_dim_cuda_templateIhEESt5tupleIJNSC_6TensorESH_SH_EERKSH_lbbbEUlllE1_EE10hipError_tPvRmT2_T3_mT4_P12ihipStream_tbEUlmE_lEESB_NS0_8identityIvEEEESM_SP_SQ_mSR_ST_bEUlT_E_NS1_11comp_targetILNS1_3genE8ELNS1_11target_archE1030ELNS1_3gpuE2ELNS1_3repE0EEENS1_30default_config_static_selectorELNS0_4arch9wavefront6targetE1EEEvT1_
	.p2align	8
	.type	_ZN7rocprim17ROCPRIM_400000_NS6detail17trampoline_kernelINS0_14default_configENS1_25transform_config_selectorIlLb0EEEZNS1_14transform_implILb0ES3_S5_NS0_18transform_iteratorINS0_17counting_iteratorImlEEZNS1_24adjacent_difference_implIS3_Lb1ELb0EPlSB_ZN2at6native12_GLOBAL__N_124unique_dim_cuda_templateIhEESt5tupleIJNSC_6TensorESH_SH_EERKSH_lbbbEUlllE1_EE10hipError_tPvRmT2_T3_mT4_P12ihipStream_tbEUlmE_lEESB_NS0_8identityIvEEEESM_SP_SQ_mSR_ST_bEUlT_E_NS1_11comp_targetILNS1_3genE8ELNS1_11target_archE1030ELNS1_3gpuE2ELNS1_3repE0EEENS1_30default_config_static_selectorELNS0_4arch9wavefront6targetE1EEEvT1_,@function
_ZN7rocprim17ROCPRIM_400000_NS6detail17trampoline_kernelINS0_14default_configENS1_25transform_config_selectorIlLb0EEEZNS1_14transform_implILb0ES3_S5_NS0_18transform_iteratorINS0_17counting_iteratorImlEEZNS1_24adjacent_difference_implIS3_Lb1ELb0EPlSB_ZN2at6native12_GLOBAL__N_124unique_dim_cuda_templateIhEESt5tupleIJNSC_6TensorESH_SH_EERKSH_lbbbEUlllE1_EE10hipError_tPvRmT2_T3_mT4_P12ihipStream_tbEUlmE_lEESB_NS0_8identityIvEEEESM_SP_SQ_mSR_ST_bEUlT_E_NS1_11comp_targetILNS1_3genE8ELNS1_11target_archE1030ELNS1_3gpuE2ELNS1_3repE0EEENS1_30default_config_static_selectorELNS0_4arch9wavefront6targetE1EEEvT1_: ; @_ZN7rocprim17ROCPRIM_400000_NS6detail17trampoline_kernelINS0_14default_configENS1_25transform_config_selectorIlLb0EEEZNS1_14transform_implILb0ES3_S5_NS0_18transform_iteratorINS0_17counting_iteratorImlEEZNS1_24adjacent_difference_implIS3_Lb1ELb0EPlSB_ZN2at6native12_GLOBAL__N_124unique_dim_cuda_templateIhEESt5tupleIJNSC_6TensorESH_SH_EERKSH_lbbbEUlllE1_EE10hipError_tPvRmT2_T3_mT4_P12ihipStream_tbEUlmE_lEESB_NS0_8identityIvEEEESM_SP_SQ_mSR_ST_bEUlT_E_NS1_11comp_targetILNS1_3genE8ELNS1_11target_archE1030ELNS1_3gpuE2ELNS1_3repE0EEENS1_30default_config_static_selectorELNS0_4arch9wavefront6targetE1EEEvT1_
; %bb.0:
	.section	.rodata,"a",@progbits
	.p2align	6, 0x0
	.amdhsa_kernel _ZN7rocprim17ROCPRIM_400000_NS6detail17trampoline_kernelINS0_14default_configENS1_25transform_config_selectorIlLb0EEEZNS1_14transform_implILb0ES3_S5_NS0_18transform_iteratorINS0_17counting_iteratorImlEEZNS1_24adjacent_difference_implIS3_Lb1ELb0EPlSB_ZN2at6native12_GLOBAL__N_124unique_dim_cuda_templateIhEESt5tupleIJNSC_6TensorESH_SH_EERKSH_lbbbEUlllE1_EE10hipError_tPvRmT2_T3_mT4_P12ihipStream_tbEUlmE_lEESB_NS0_8identityIvEEEESM_SP_SQ_mSR_ST_bEUlT_E_NS1_11comp_targetILNS1_3genE8ELNS1_11target_archE1030ELNS1_3gpuE2ELNS1_3repE0EEENS1_30default_config_static_selectorELNS0_4arch9wavefront6targetE1EEEvT1_
		.amdhsa_group_segment_fixed_size 0
		.amdhsa_private_segment_fixed_size 0
		.amdhsa_kernarg_size 56
		.amdhsa_user_sgpr_count 6
		.amdhsa_user_sgpr_private_segment_buffer 1
		.amdhsa_user_sgpr_dispatch_ptr 0
		.amdhsa_user_sgpr_queue_ptr 0
		.amdhsa_user_sgpr_kernarg_segment_ptr 1
		.amdhsa_user_sgpr_dispatch_id 0
		.amdhsa_user_sgpr_flat_scratch_init 0
		.amdhsa_user_sgpr_kernarg_preload_length 0
		.amdhsa_user_sgpr_kernarg_preload_offset 0
		.amdhsa_user_sgpr_private_segment_size 0
		.amdhsa_uses_dynamic_stack 0
		.amdhsa_system_sgpr_private_segment_wavefront_offset 0
		.amdhsa_system_sgpr_workgroup_id_x 1
		.amdhsa_system_sgpr_workgroup_id_y 0
		.amdhsa_system_sgpr_workgroup_id_z 0
		.amdhsa_system_sgpr_workgroup_info 0
		.amdhsa_system_vgpr_workitem_id 0
		.amdhsa_next_free_vgpr 1
		.amdhsa_next_free_sgpr 0
		.amdhsa_accum_offset 4
		.amdhsa_reserve_vcc 0
		.amdhsa_reserve_flat_scratch 0
		.amdhsa_float_round_mode_32 0
		.amdhsa_float_round_mode_16_64 0
		.amdhsa_float_denorm_mode_32 3
		.amdhsa_float_denorm_mode_16_64 3
		.amdhsa_dx10_clamp 1
		.amdhsa_ieee_mode 1
		.amdhsa_fp16_overflow 0
		.amdhsa_tg_split 0
		.amdhsa_exception_fp_ieee_invalid_op 0
		.amdhsa_exception_fp_denorm_src 0
		.amdhsa_exception_fp_ieee_div_zero 0
		.amdhsa_exception_fp_ieee_overflow 0
		.amdhsa_exception_fp_ieee_underflow 0
		.amdhsa_exception_fp_ieee_inexact 0
		.amdhsa_exception_int_div_zero 0
	.end_amdhsa_kernel
	.section	.text._ZN7rocprim17ROCPRIM_400000_NS6detail17trampoline_kernelINS0_14default_configENS1_25transform_config_selectorIlLb0EEEZNS1_14transform_implILb0ES3_S5_NS0_18transform_iteratorINS0_17counting_iteratorImlEEZNS1_24adjacent_difference_implIS3_Lb1ELb0EPlSB_ZN2at6native12_GLOBAL__N_124unique_dim_cuda_templateIhEESt5tupleIJNSC_6TensorESH_SH_EERKSH_lbbbEUlllE1_EE10hipError_tPvRmT2_T3_mT4_P12ihipStream_tbEUlmE_lEESB_NS0_8identityIvEEEESM_SP_SQ_mSR_ST_bEUlT_E_NS1_11comp_targetILNS1_3genE8ELNS1_11target_archE1030ELNS1_3gpuE2ELNS1_3repE0EEENS1_30default_config_static_selectorELNS0_4arch9wavefront6targetE1EEEvT1_,"axG",@progbits,_ZN7rocprim17ROCPRIM_400000_NS6detail17trampoline_kernelINS0_14default_configENS1_25transform_config_selectorIlLb0EEEZNS1_14transform_implILb0ES3_S5_NS0_18transform_iteratorINS0_17counting_iteratorImlEEZNS1_24adjacent_difference_implIS3_Lb1ELb0EPlSB_ZN2at6native12_GLOBAL__N_124unique_dim_cuda_templateIhEESt5tupleIJNSC_6TensorESH_SH_EERKSH_lbbbEUlllE1_EE10hipError_tPvRmT2_T3_mT4_P12ihipStream_tbEUlmE_lEESB_NS0_8identityIvEEEESM_SP_SQ_mSR_ST_bEUlT_E_NS1_11comp_targetILNS1_3genE8ELNS1_11target_archE1030ELNS1_3gpuE2ELNS1_3repE0EEENS1_30default_config_static_selectorELNS0_4arch9wavefront6targetE1EEEvT1_,comdat
.Lfunc_end74:
	.size	_ZN7rocprim17ROCPRIM_400000_NS6detail17trampoline_kernelINS0_14default_configENS1_25transform_config_selectorIlLb0EEEZNS1_14transform_implILb0ES3_S5_NS0_18transform_iteratorINS0_17counting_iteratorImlEEZNS1_24adjacent_difference_implIS3_Lb1ELb0EPlSB_ZN2at6native12_GLOBAL__N_124unique_dim_cuda_templateIhEESt5tupleIJNSC_6TensorESH_SH_EERKSH_lbbbEUlllE1_EE10hipError_tPvRmT2_T3_mT4_P12ihipStream_tbEUlmE_lEESB_NS0_8identityIvEEEESM_SP_SQ_mSR_ST_bEUlT_E_NS1_11comp_targetILNS1_3genE8ELNS1_11target_archE1030ELNS1_3gpuE2ELNS1_3repE0EEENS1_30default_config_static_selectorELNS0_4arch9wavefront6targetE1EEEvT1_, .Lfunc_end74-_ZN7rocprim17ROCPRIM_400000_NS6detail17trampoline_kernelINS0_14default_configENS1_25transform_config_selectorIlLb0EEEZNS1_14transform_implILb0ES3_S5_NS0_18transform_iteratorINS0_17counting_iteratorImlEEZNS1_24adjacent_difference_implIS3_Lb1ELb0EPlSB_ZN2at6native12_GLOBAL__N_124unique_dim_cuda_templateIhEESt5tupleIJNSC_6TensorESH_SH_EERKSH_lbbbEUlllE1_EE10hipError_tPvRmT2_T3_mT4_P12ihipStream_tbEUlmE_lEESB_NS0_8identityIvEEEESM_SP_SQ_mSR_ST_bEUlT_E_NS1_11comp_targetILNS1_3genE8ELNS1_11target_archE1030ELNS1_3gpuE2ELNS1_3repE0EEENS1_30default_config_static_selectorELNS0_4arch9wavefront6targetE1EEEvT1_
                                        ; -- End function
	.section	.AMDGPU.csdata,"",@progbits
; Kernel info:
; codeLenInByte = 0
; NumSgprs: 4
; NumVgprs: 0
; NumAgprs: 0
; TotalNumVgprs: 0
; ScratchSize: 0
; MemoryBound: 0
; FloatMode: 240
; IeeeMode: 1
; LDSByteSize: 0 bytes/workgroup (compile time only)
; SGPRBlocks: 0
; VGPRBlocks: 0
; NumSGPRsForWavesPerEU: 4
; NumVGPRsForWavesPerEU: 1
; AccumOffset: 4
; Occupancy: 8
; WaveLimiterHint : 0
; COMPUTE_PGM_RSRC2:SCRATCH_EN: 0
; COMPUTE_PGM_RSRC2:USER_SGPR: 6
; COMPUTE_PGM_RSRC2:TRAP_HANDLER: 0
; COMPUTE_PGM_RSRC2:TGID_X_EN: 1
; COMPUTE_PGM_RSRC2:TGID_Y_EN: 0
; COMPUTE_PGM_RSRC2:TGID_Z_EN: 0
; COMPUTE_PGM_RSRC2:TIDIG_COMP_CNT: 0
; COMPUTE_PGM_RSRC3_GFX90A:ACCUM_OFFSET: 0
; COMPUTE_PGM_RSRC3_GFX90A:TG_SPLIT: 0
	.section	.text._ZN7rocprim17ROCPRIM_400000_NS6detail17trampoline_kernelINS0_14default_configENS1_35adjacent_difference_config_selectorILb1ElEEZNS1_24adjacent_difference_implIS3_Lb1ELb0EPlS7_ZN2at6native12_GLOBAL__N_124unique_dim_cuda_templateIhEESt5tupleIJNS8_6TensorESD_SD_EERKSD_lbbbEUlllE1_EE10hipError_tPvRmT2_T3_mT4_P12ihipStream_tbEUlT_E_NS1_11comp_targetILNS1_3genE0ELNS1_11target_archE4294967295ELNS1_3gpuE0ELNS1_3repE0EEENS1_30default_config_static_selectorELNS0_4arch9wavefront6targetE1EEEvT1_,"axG",@progbits,_ZN7rocprim17ROCPRIM_400000_NS6detail17trampoline_kernelINS0_14default_configENS1_35adjacent_difference_config_selectorILb1ElEEZNS1_24adjacent_difference_implIS3_Lb1ELb0EPlS7_ZN2at6native12_GLOBAL__N_124unique_dim_cuda_templateIhEESt5tupleIJNS8_6TensorESD_SD_EERKSD_lbbbEUlllE1_EE10hipError_tPvRmT2_T3_mT4_P12ihipStream_tbEUlT_E_NS1_11comp_targetILNS1_3genE0ELNS1_11target_archE4294967295ELNS1_3gpuE0ELNS1_3repE0EEENS1_30default_config_static_selectorELNS0_4arch9wavefront6targetE1EEEvT1_,comdat
	.globl	_ZN7rocprim17ROCPRIM_400000_NS6detail17trampoline_kernelINS0_14default_configENS1_35adjacent_difference_config_selectorILb1ElEEZNS1_24adjacent_difference_implIS3_Lb1ELb0EPlS7_ZN2at6native12_GLOBAL__N_124unique_dim_cuda_templateIhEESt5tupleIJNS8_6TensorESD_SD_EERKSD_lbbbEUlllE1_EE10hipError_tPvRmT2_T3_mT4_P12ihipStream_tbEUlT_E_NS1_11comp_targetILNS1_3genE0ELNS1_11target_archE4294967295ELNS1_3gpuE0ELNS1_3repE0EEENS1_30default_config_static_selectorELNS0_4arch9wavefront6targetE1EEEvT1_ ; -- Begin function _ZN7rocprim17ROCPRIM_400000_NS6detail17trampoline_kernelINS0_14default_configENS1_35adjacent_difference_config_selectorILb1ElEEZNS1_24adjacent_difference_implIS3_Lb1ELb0EPlS7_ZN2at6native12_GLOBAL__N_124unique_dim_cuda_templateIhEESt5tupleIJNS8_6TensorESD_SD_EERKSD_lbbbEUlllE1_EE10hipError_tPvRmT2_T3_mT4_P12ihipStream_tbEUlT_E_NS1_11comp_targetILNS1_3genE0ELNS1_11target_archE4294967295ELNS1_3gpuE0ELNS1_3repE0EEENS1_30default_config_static_selectorELNS0_4arch9wavefront6targetE1EEEvT1_
	.p2align	8
	.type	_ZN7rocprim17ROCPRIM_400000_NS6detail17trampoline_kernelINS0_14default_configENS1_35adjacent_difference_config_selectorILb1ElEEZNS1_24adjacent_difference_implIS3_Lb1ELb0EPlS7_ZN2at6native12_GLOBAL__N_124unique_dim_cuda_templateIhEESt5tupleIJNS8_6TensorESD_SD_EERKSD_lbbbEUlllE1_EE10hipError_tPvRmT2_T3_mT4_P12ihipStream_tbEUlT_E_NS1_11comp_targetILNS1_3genE0ELNS1_11target_archE4294967295ELNS1_3gpuE0ELNS1_3repE0EEENS1_30default_config_static_selectorELNS0_4arch9wavefront6targetE1EEEvT1_,@function
_ZN7rocprim17ROCPRIM_400000_NS6detail17trampoline_kernelINS0_14default_configENS1_35adjacent_difference_config_selectorILb1ElEEZNS1_24adjacent_difference_implIS3_Lb1ELb0EPlS7_ZN2at6native12_GLOBAL__N_124unique_dim_cuda_templateIhEESt5tupleIJNS8_6TensorESD_SD_EERKSD_lbbbEUlllE1_EE10hipError_tPvRmT2_T3_mT4_P12ihipStream_tbEUlT_E_NS1_11comp_targetILNS1_3genE0ELNS1_11target_archE4294967295ELNS1_3gpuE0ELNS1_3repE0EEENS1_30default_config_static_selectorELNS0_4arch9wavefront6targetE1EEEvT1_: ; @_ZN7rocprim17ROCPRIM_400000_NS6detail17trampoline_kernelINS0_14default_configENS1_35adjacent_difference_config_selectorILb1ElEEZNS1_24adjacent_difference_implIS3_Lb1ELb0EPlS7_ZN2at6native12_GLOBAL__N_124unique_dim_cuda_templateIhEESt5tupleIJNS8_6TensorESD_SD_EERKSD_lbbbEUlllE1_EE10hipError_tPvRmT2_T3_mT4_P12ihipStream_tbEUlT_E_NS1_11comp_targetILNS1_3genE0ELNS1_11target_archE4294967295ELNS1_3gpuE0ELNS1_3repE0EEENS1_30default_config_static_selectorELNS0_4arch9wavefront6targetE1EEEvT1_
; %bb.0:
	.section	.rodata,"a",@progbits
	.p2align	6, 0x0
	.amdhsa_kernel _ZN7rocprim17ROCPRIM_400000_NS6detail17trampoline_kernelINS0_14default_configENS1_35adjacent_difference_config_selectorILb1ElEEZNS1_24adjacent_difference_implIS3_Lb1ELb0EPlS7_ZN2at6native12_GLOBAL__N_124unique_dim_cuda_templateIhEESt5tupleIJNS8_6TensorESD_SD_EERKSD_lbbbEUlllE1_EE10hipError_tPvRmT2_T3_mT4_P12ihipStream_tbEUlT_E_NS1_11comp_targetILNS1_3genE0ELNS1_11target_archE4294967295ELNS1_3gpuE0ELNS1_3repE0EEENS1_30default_config_static_selectorELNS0_4arch9wavefront6targetE1EEEvT1_
		.amdhsa_group_segment_fixed_size 0
		.amdhsa_private_segment_fixed_size 0
		.amdhsa_kernarg_size 64
		.amdhsa_user_sgpr_count 6
		.amdhsa_user_sgpr_private_segment_buffer 1
		.amdhsa_user_sgpr_dispatch_ptr 0
		.amdhsa_user_sgpr_queue_ptr 0
		.amdhsa_user_sgpr_kernarg_segment_ptr 1
		.amdhsa_user_sgpr_dispatch_id 0
		.amdhsa_user_sgpr_flat_scratch_init 0
		.amdhsa_user_sgpr_kernarg_preload_length 0
		.amdhsa_user_sgpr_kernarg_preload_offset 0
		.amdhsa_user_sgpr_private_segment_size 0
		.amdhsa_uses_dynamic_stack 0
		.amdhsa_system_sgpr_private_segment_wavefront_offset 0
		.amdhsa_system_sgpr_workgroup_id_x 1
		.amdhsa_system_sgpr_workgroup_id_y 0
		.amdhsa_system_sgpr_workgroup_id_z 0
		.amdhsa_system_sgpr_workgroup_info 0
		.amdhsa_system_vgpr_workitem_id 0
		.amdhsa_next_free_vgpr 1
		.amdhsa_next_free_sgpr 0
		.amdhsa_accum_offset 4
		.amdhsa_reserve_vcc 0
		.amdhsa_reserve_flat_scratch 0
		.amdhsa_float_round_mode_32 0
		.amdhsa_float_round_mode_16_64 0
		.amdhsa_float_denorm_mode_32 3
		.amdhsa_float_denorm_mode_16_64 3
		.amdhsa_dx10_clamp 1
		.amdhsa_ieee_mode 1
		.amdhsa_fp16_overflow 0
		.amdhsa_tg_split 0
		.amdhsa_exception_fp_ieee_invalid_op 0
		.amdhsa_exception_fp_denorm_src 0
		.amdhsa_exception_fp_ieee_div_zero 0
		.amdhsa_exception_fp_ieee_overflow 0
		.amdhsa_exception_fp_ieee_underflow 0
		.amdhsa_exception_fp_ieee_inexact 0
		.amdhsa_exception_int_div_zero 0
	.end_amdhsa_kernel
	.section	.text._ZN7rocprim17ROCPRIM_400000_NS6detail17trampoline_kernelINS0_14default_configENS1_35adjacent_difference_config_selectorILb1ElEEZNS1_24adjacent_difference_implIS3_Lb1ELb0EPlS7_ZN2at6native12_GLOBAL__N_124unique_dim_cuda_templateIhEESt5tupleIJNS8_6TensorESD_SD_EERKSD_lbbbEUlllE1_EE10hipError_tPvRmT2_T3_mT4_P12ihipStream_tbEUlT_E_NS1_11comp_targetILNS1_3genE0ELNS1_11target_archE4294967295ELNS1_3gpuE0ELNS1_3repE0EEENS1_30default_config_static_selectorELNS0_4arch9wavefront6targetE1EEEvT1_,"axG",@progbits,_ZN7rocprim17ROCPRIM_400000_NS6detail17trampoline_kernelINS0_14default_configENS1_35adjacent_difference_config_selectorILb1ElEEZNS1_24adjacent_difference_implIS3_Lb1ELb0EPlS7_ZN2at6native12_GLOBAL__N_124unique_dim_cuda_templateIhEESt5tupleIJNS8_6TensorESD_SD_EERKSD_lbbbEUlllE1_EE10hipError_tPvRmT2_T3_mT4_P12ihipStream_tbEUlT_E_NS1_11comp_targetILNS1_3genE0ELNS1_11target_archE4294967295ELNS1_3gpuE0ELNS1_3repE0EEENS1_30default_config_static_selectorELNS0_4arch9wavefront6targetE1EEEvT1_,comdat
.Lfunc_end75:
	.size	_ZN7rocprim17ROCPRIM_400000_NS6detail17trampoline_kernelINS0_14default_configENS1_35adjacent_difference_config_selectorILb1ElEEZNS1_24adjacent_difference_implIS3_Lb1ELb0EPlS7_ZN2at6native12_GLOBAL__N_124unique_dim_cuda_templateIhEESt5tupleIJNS8_6TensorESD_SD_EERKSD_lbbbEUlllE1_EE10hipError_tPvRmT2_T3_mT4_P12ihipStream_tbEUlT_E_NS1_11comp_targetILNS1_3genE0ELNS1_11target_archE4294967295ELNS1_3gpuE0ELNS1_3repE0EEENS1_30default_config_static_selectorELNS0_4arch9wavefront6targetE1EEEvT1_, .Lfunc_end75-_ZN7rocprim17ROCPRIM_400000_NS6detail17trampoline_kernelINS0_14default_configENS1_35adjacent_difference_config_selectorILb1ElEEZNS1_24adjacent_difference_implIS3_Lb1ELb0EPlS7_ZN2at6native12_GLOBAL__N_124unique_dim_cuda_templateIhEESt5tupleIJNS8_6TensorESD_SD_EERKSD_lbbbEUlllE1_EE10hipError_tPvRmT2_T3_mT4_P12ihipStream_tbEUlT_E_NS1_11comp_targetILNS1_3genE0ELNS1_11target_archE4294967295ELNS1_3gpuE0ELNS1_3repE0EEENS1_30default_config_static_selectorELNS0_4arch9wavefront6targetE1EEEvT1_
                                        ; -- End function
	.section	.AMDGPU.csdata,"",@progbits
; Kernel info:
; codeLenInByte = 0
; NumSgprs: 4
; NumVgprs: 0
; NumAgprs: 0
; TotalNumVgprs: 0
; ScratchSize: 0
; MemoryBound: 0
; FloatMode: 240
; IeeeMode: 1
; LDSByteSize: 0 bytes/workgroup (compile time only)
; SGPRBlocks: 0
; VGPRBlocks: 0
; NumSGPRsForWavesPerEU: 4
; NumVGPRsForWavesPerEU: 1
; AccumOffset: 4
; Occupancy: 8
; WaveLimiterHint : 0
; COMPUTE_PGM_RSRC2:SCRATCH_EN: 0
; COMPUTE_PGM_RSRC2:USER_SGPR: 6
; COMPUTE_PGM_RSRC2:TRAP_HANDLER: 0
; COMPUTE_PGM_RSRC2:TGID_X_EN: 1
; COMPUTE_PGM_RSRC2:TGID_Y_EN: 0
; COMPUTE_PGM_RSRC2:TGID_Z_EN: 0
; COMPUTE_PGM_RSRC2:TIDIG_COMP_CNT: 0
; COMPUTE_PGM_RSRC3_GFX90A:ACCUM_OFFSET: 0
; COMPUTE_PGM_RSRC3_GFX90A:TG_SPLIT: 0
	.section	.text._ZN7rocprim17ROCPRIM_400000_NS6detail17trampoline_kernelINS0_14default_configENS1_35adjacent_difference_config_selectorILb1ElEEZNS1_24adjacent_difference_implIS3_Lb1ELb0EPlS7_ZN2at6native12_GLOBAL__N_124unique_dim_cuda_templateIhEESt5tupleIJNS8_6TensorESD_SD_EERKSD_lbbbEUlllE1_EE10hipError_tPvRmT2_T3_mT4_P12ihipStream_tbEUlT_E_NS1_11comp_targetILNS1_3genE10ELNS1_11target_archE1201ELNS1_3gpuE5ELNS1_3repE0EEENS1_30default_config_static_selectorELNS0_4arch9wavefront6targetE1EEEvT1_,"axG",@progbits,_ZN7rocprim17ROCPRIM_400000_NS6detail17trampoline_kernelINS0_14default_configENS1_35adjacent_difference_config_selectorILb1ElEEZNS1_24adjacent_difference_implIS3_Lb1ELb0EPlS7_ZN2at6native12_GLOBAL__N_124unique_dim_cuda_templateIhEESt5tupleIJNS8_6TensorESD_SD_EERKSD_lbbbEUlllE1_EE10hipError_tPvRmT2_T3_mT4_P12ihipStream_tbEUlT_E_NS1_11comp_targetILNS1_3genE10ELNS1_11target_archE1201ELNS1_3gpuE5ELNS1_3repE0EEENS1_30default_config_static_selectorELNS0_4arch9wavefront6targetE1EEEvT1_,comdat
	.globl	_ZN7rocprim17ROCPRIM_400000_NS6detail17trampoline_kernelINS0_14default_configENS1_35adjacent_difference_config_selectorILb1ElEEZNS1_24adjacent_difference_implIS3_Lb1ELb0EPlS7_ZN2at6native12_GLOBAL__N_124unique_dim_cuda_templateIhEESt5tupleIJNS8_6TensorESD_SD_EERKSD_lbbbEUlllE1_EE10hipError_tPvRmT2_T3_mT4_P12ihipStream_tbEUlT_E_NS1_11comp_targetILNS1_3genE10ELNS1_11target_archE1201ELNS1_3gpuE5ELNS1_3repE0EEENS1_30default_config_static_selectorELNS0_4arch9wavefront6targetE1EEEvT1_ ; -- Begin function _ZN7rocprim17ROCPRIM_400000_NS6detail17trampoline_kernelINS0_14default_configENS1_35adjacent_difference_config_selectorILb1ElEEZNS1_24adjacent_difference_implIS3_Lb1ELb0EPlS7_ZN2at6native12_GLOBAL__N_124unique_dim_cuda_templateIhEESt5tupleIJNS8_6TensorESD_SD_EERKSD_lbbbEUlllE1_EE10hipError_tPvRmT2_T3_mT4_P12ihipStream_tbEUlT_E_NS1_11comp_targetILNS1_3genE10ELNS1_11target_archE1201ELNS1_3gpuE5ELNS1_3repE0EEENS1_30default_config_static_selectorELNS0_4arch9wavefront6targetE1EEEvT1_
	.p2align	8
	.type	_ZN7rocprim17ROCPRIM_400000_NS6detail17trampoline_kernelINS0_14default_configENS1_35adjacent_difference_config_selectorILb1ElEEZNS1_24adjacent_difference_implIS3_Lb1ELb0EPlS7_ZN2at6native12_GLOBAL__N_124unique_dim_cuda_templateIhEESt5tupleIJNS8_6TensorESD_SD_EERKSD_lbbbEUlllE1_EE10hipError_tPvRmT2_T3_mT4_P12ihipStream_tbEUlT_E_NS1_11comp_targetILNS1_3genE10ELNS1_11target_archE1201ELNS1_3gpuE5ELNS1_3repE0EEENS1_30default_config_static_selectorELNS0_4arch9wavefront6targetE1EEEvT1_,@function
_ZN7rocprim17ROCPRIM_400000_NS6detail17trampoline_kernelINS0_14default_configENS1_35adjacent_difference_config_selectorILb1ElEEZNS1_24adjacent_difference_implIS3_Lb1ELb0EPlS7_ZN2at6native12_GLOBAL__N_124unique_dim_cuda_templateIhEESt5tupleIJNS8_6TensorESD_SD_EERKSD_lbbbEUlllE1_EE10hipError_tPvRmT2_T3_mT4_P12ihipStream_tbEUlT_E_NS1_11comp_targetILNS1_3genE10ELNS1_11target_archE1201ELNS1_3gpuE5ELNS1_3repE0EEENS1_30default_config_static_selectorELNS0_4arch9wavefront6targetE1EEEvT1_: ; @_ZN7rocprim17ROCPRIM_400000_NS6detail17trampoline_kernelINS0_14default_configENS1_35adjacent_difference_config_selectorILb1ElEEZNS1_24adjacent_difference_implIS3_Lb1ELb0EPlS7_ZN2at6native12_GLOBAL__N_124unique_dim_cuda_templateIhEESt5tupleIJNS8_6TensorESD_SD_EERKSD_lbbbEUlllE1_EE10hipError_tPvRmT2_T3_mT4_P12ihipStream_tbEUlT_E_NS1_11comp_targetILNS1_3genE10ELNS1_11target_archE1201ELNS1_3gpuE5ELNS1_3repE0EEENS1_30default_config_static_selectorELNS0_4arch9wavefront6targetE1EEEvT1_
; %bb.0:
	.section	.rodata,"a",@progbits
	.p2align	6, 0x0
	.amdhsa_kernel _ZN7rocprim17ROCPRIM_400000_NS6detail17trampoline_kernelINS0_14default_configENS1_35adjacent_difference_config_selectorILb1ElEEZNS1_24adjacent_difference_implIS3_Lb1ELb0EPlS7_ZN2at6native12_GLOBAL__N_124unique_dim_cuda_templateIhEESt5tupleIJNS8_6TensorESD_SD_EERKSD_lbbbEUlllE1_EE10hipError_tPvRmT2_T3_mT4_P12ihipStream_tbEUlT_E_NS1_11comp_targetILNS1_3genE10ELNS1_11target_archE1201ELNS1_3gpuE5ELNS1_3repE0EEENS1_30default_config_static_selectorELNS0_4arch9wavefront6targetE1EEEvT1_
		.amdhsa_group_segment_fixed_size 0
		.amdhsa_private_segment_fixed_size 0
		.amdhsa_kernarg_size 64
		.amdhsa_user_sgpr_count 6
		.amdhsa_user_sgpr_private_segment_buffer 1
		.amdhsa_user_sgpr_dispatch_ptr 0
		.amdhsa_user_sgpr_queue_ptr 0
		.amdhsa_user_sgpr_kernarg_segment_ptr 1
		.amdhsa_user_sgpr_dispatch_id 0
		.amdhsa_user_sgpr_flat_scratch_init 0
		.amdhsa_user_sgpr_kernarg_preload_length 0
		.amdhsa_user_sgpr_kernarg_preload_offset 0
		.amdhsa_user_sgpr_private_segment_size 0
		.amdhsa_uses_dynamic_stack 0
		.amdhsa_system_sgpr_private_segment_wavefront_offset 0
		.amdhsa_system_sgpr_workgroup_id_x 1
		.amdhsa_system_sgpr_workgroup_id_y 0
		.amdhsa_system_sgpr_workgroup_id_z 0
		.amdhsa_system_sgpr_workgroup_info 0
		.amdhsa_system_vgpr_workitem_id 0
		.amdhsa_next_free_vgpr 1
		.amdhsa_next_free_sgpr 0
		.amdhsa_accum_offset 4
		.amdhsa_reserve_vcc 0
		.amdhsa_reserve_flat_scratch 0
		.amdhsa_float_round_mode_32 0
		.amdhsa_float_round_mode_16_64 0
		.amdhsa_float_denorm_mode_32 3
		.amdhsa_float_denorm_mode_16_64 3
		.amdhsa_dx10_clamp 1
		.amdhsa_ieee_mode 1
		.amdhsa_fp16_overflow 0
		.amdhsa_tg_split 0
		.amdhsa_exception_fp_ieee_invalid_op 0
		.amdhsa_exception_fp_denorm_src 0
		.amdhsa_exception_fp_ieee_div_zero 0
		.amdhsa_exception_fp_ieee_overflow 0
		.amdhsa_exception_fp_ieee_underflow 0
		.amdhsa_exception_fp_ieee_inexact 0
		.amdhsa_exception_int_div_zero 0
	.end_amdhsa_kernel
	.section	.text._ZN7rocprim17ROCPRIM_400000_NS6detail17trampoline_kernelINS0_14default_configENS1_35adjacent_difference_config_selectorILb1ElEEZNS1_24adjacent_difference_implIS3_Lb1ELb0EPlS7_ZN2at6native12_GLOBAL__N_124unique_dim_cuda_templateIhEESt5tupleIJNS8_6TensorESD_SD_EERKSD_lbbbEUlllE1_EE10hipError_tPvRmT2_T3_mT4_P12ihipStream_tbEUlT_E_NS1_11comp_targetILNS1_3genE10ELNS1_11target_archE1201ELNS1_3gpuE5ELNS1_3repE0EEENS1_30default_config_static_selectorELNS0_4arch9wavefront6targetE1EEEvT1_,"axG",@progbits,_ZN7rocprim17ROCPRIM_400000_NS6detail17trampoline_kernelINS0_14default_configENS1_35adjacent_difference_config_selectorILb1ElEEZNS1_24adjacent_difference_implIS3_Lb1ELb0EPlS7_ZN2at6native12_GLOBAL__N_124unique_dim_cuda_templateIhEESt5tupleIJNS8_6TensorESD_SD_EERKSD_lbbbEUlllE1_EE10hipError_tPvRmT2_T3_mT4_P12ihipStream_tbEUlT_E_NS1_11comp_targetILNS1_3genE10ELNS1_11target_archE1201ELNS1_3gpuE5ELNS1_3repE0EEENS1_30default_config_static_selectorELNS0_4arch9wavefront6targetE1EEEvT1_,comdat
.Lfunc_end76:
	.size	_ZN7rocprim17ROCPRIM_400000_NS6detail17trampoline_kernelINS0_14default_configENS1_35adjacent_difference_config_selectorILb1ElEEZNS1_24adjacent_difference_implIS3_Lb1ELb0EPlS7_ZN2at6native12_GLOBAL__N_124unique_dim_cuda_templateIhEESt5tupleIJNS8_6TensorESD_SD_EERKSD_lbbbEUlllE1_EE10hipError_tPvRmT2_T3_mT4_P12ihipStream_tbEUlT_E_NS1_11comp_targetILNS1_3genE10ELNS1_11target_archE1201ELNS1_3gpuE5ELNS1_3repE0EEENS1_30default_config_static_selectorELNS0_4arch9wavefront6targetE1EEEvT1_, .Lfunc_end76-_ZN7rocprim17ROCPRIM_400000_NS6detail17trampoline_kernelINS0_14default_configENS1_35adjacent_difference_config_selectorILb1ElEEZNS1_24adjacent_difference_implIS3_Lb1ELb0EPlS7_ZN2at6native12_GLOBAL__N_124unique_dim_cuda_templateIhEESt5tupleIJNS8_6TensorESD_SD_EERKSD_lbbbEUlllE1_EE10hipError_tPvRmT2_T3_mT4_P12ihipStream_tbEUlT_E_NS1_11comp_targetILNS1_3genE10ELNS1_11target_archE1201ELNS1_3gpuE5ELNS1_3repE0EEENS1_30default_config_static_selectorELNS0_4arch9wavefront6targetE1EEEvT1_
                                        ; -- End function
	.section	.AMDGPU.csdata,"",@progbits
; Kernel info:
; codeLenInByte = 0
; NumSgprs: 4
; NumVgprs: 0
; NumAgprs: 0
; TotalNumVgprs: 0
; ScratchSize: 0
; MemoryBound: 0
; FloatMode: 240
; IeeeMode: 1
; LDSByteSize: 0 bytes/workgroup (compile time only)
; SGPRBlocks: 0
; VGPRBlocks: 0
; NumSGPRsForWavesPerEU: 4
; NumVGPRsForWavesPerEU: 1
; AccumOffset: 4
; Occupancy: 8
; WaveLimiterHint : 0
; COMPUTE_PGM_RSRC2:SCRATCH_EN: 0
; COMPUTE_PGM_RSRC2:USER_SGPR: 6
; COMPUTE_PGM_RSRC2:TRAP_HANDLER: 0
; COMPUTE_PGM_RSRC2:TGID_X_EN: 1
; COMPUTE_PGM_RSRC2:TGID_Y_EN: 0
; COMPUTE_PGM_RSRC2:TGID_Z_EN: 0
; COMPUTE_PGM_RSRC2:TIDIG_COMP_CNT: 0
; COMPUTE_PGM_RSRC3_GFX90A:ACCUM_OFFSET: 0
; COMPUTE_PGM_RSRC3_GFX90A:TG_SPLIT: 0
	.section	.text._ZN7rocprim17ROCPRIM_400000_NS6detail17trampoline_kernelINS0_14default_configENS1_35adjacent_difference_config_selectorILb1ElEEZNS1_24adjacent_difference_implIS3_Lb1ELb0EPlS7_ZN2at6native12_GLOBAL__N_124unique_dim_cuda_templateIhEESt5tupleIJNS8_6TensorESD_SD_EERKSD_lbbbEUlllE1_EE10hipError_tPvRmT2_T3_mT4_P12ihipStream_tbEUlT_E_NS1_11comp_targetILNS1_3genE5ELNS1_11target_archE942ELNS1_3gpuE9ELNS1_3repE0EEENS1_30default_config_static_selectorELNS0_4arch9wavefront6targetE1EEEvT1_,"axG",@progbits,_ZN7rocprim17ROCPRIM_400000_NS6detail17trampoline_kernelINS0_14default_configENS1_35adjacent_difference_config_selectorILb1ElEEZNS1_24adjacent_difference_implIS3_Lb1ELb0EPlS7_ZN2at6native12_GLOBAL__N_124unique_dim_cuda_templateIhEESt5tupleIJNS8_6TensorESD_SD_EERKSD_lbbbEUlllE1_EE10hipError_tPvRmT2_T3_mT4_P12ihipStream_tbEUlT_E_NS1_11comp_targetILNS1_3genE5ELNS1_11target_archE942ELNS1_3gpuE9ELNS1_3repE0EEENS1_30default_config_static_selectorELNS0_4arch9wavefront6targetE1EEEvT1_,comdat
	.globl	_ZN7rocprim17ROCPRIM_400000_NS6detail17trampoline_kernelINS0_14default_configENS1_35adjacent_difference_config_selectorILb1ElEEZNS1_24adjacent_difference_implIS3_Lb1ELb0EPlS7_ZN2at6native12_GLOBAL__N_124unique_dim_cuda_templateIhEESt5tupleIJNS8_6TensorESD_SD_EERKSD_lbbbEUlllE1_EE10hipError_tPvRmT2_T3_mT4_P12ihipStream_tbEUlT_E_NS1_11comp_targetILNS1_3genE5ELNS1_11target_archE942ELNS1_3gpuE9ELNS1_3repE0EEENS1_30default_config_static_selectorELNS0_4arch9wavefront6targetE1EEEvT1_ ; -- Begin function _ZN7rocprim17ROCPRIM_400000_NS6detail17trampoline_kernelINS0_14default_configENS1_35adjacent_difference_config_selectorILb1ElEEZNS1_24adjacent_difference_implIS3_Lb1ELb0EPlS7_ZN2at6native12_GLOBAL__N_124unique_dim_cuda_templateIhEESt5tupleIJNS8_6TensorESD_SD_EERKSD_lbbbEUlllE1_EE10hipError_tPvRmT2_T3_mT4_P12ihipStream_tbEUlT_E_NS1_11comp_targetILNS1_3genE5ELNS1_11target_archE942ELNS1_3gpuE9ELNS1_3repE0EEENS1_30default_config_static_selectorELNS0_4arch9wavefront6targetE1EEEvT1_
	.p2align	8
	.type	_ZN7rocprim17ROCPRIM_400000_NS6detail17trampoline_kernelINS0_14default_configENS1_35adjacent_difference_config_selectorILb1ElEEZNS1_24adjacent_difference_implIS3_Lb1ELb0EPlS7_ZN2at6native12_GLOBAL__N_124unique_dim_cuda_templateIhEESt5tupleIJNS8_6TensorESD_SD_EERKSD_lbbbEUlllE1_EE10hipError_tPvRmT2_T3_mT4_P12ihipStream_tbEUlT_E_NS1_11comp_targetILNS1_3genE5ELNS1_11target_archE942ELNS1_3gpuE9ELNS1_3repE0EEENS1_30default_config_static_selectorELNS0_4arch9wavefront6targetE1EEEvT1_,@function
_ZN7rocprim17ROCPRIM_400000_NS6detail17trampoline_kernelINS0_14default_configENS1_35adjacent_difference_config_selectorILb1ElEEZNS1_24adjacent_difference_implIS3_Lb1ELb0EPlS7_ZN2at6native12_GLOBAL__N_124unique_dim_cuda_templateIhEESt5tupleIJNS8_6TensorESD_SD_EERKSD_lbbbEUlllE1_EE10hipError_tPvRmT2_T3_mT4_P12ihipStream_tbEUlT_E_NS1_11comp_targetILNS1_3genE5ELNS1_11target_archE942ELNS1_3gpuE9ELNS1_3repE0EEENS1_30default_config_static_selectorELNS0_4arch9wavefront6targetE1EEEvT1_: ; @_ZN7rocprim17ROCPRIM_400000_NS6detail17trampoline_kernelINS0_14default_configENS1_35adjacent_difference_config_selectorILb1ElEEZNS1_24adjacent_difference_implIS3_Lb1ELb0EPlS7_ZN2at6native12_GLOBAL__N_124unique_dim_cuda_templateIhEESt5tupleIJNS8_6TensorESD_SD_EERKSD_lbbbEUlllE1_EE10hipError_tPvRmT2_T3_mT4_P12ihipStream_tbEUlT_E_NS1_11comp_targetILNS1_3genE5ELNS1_11target_archE942ELNS1_3gpuE9ELNS1_3repE0EEENS1_30default_config_static_selectorELNS0_4arch9wavefront6targetE1EEEvT1_
; %bb.0:
	.section	.rodata,"a",@progbits
	.p2align	6, 0x0
	.amdhsa_kernel _ZN7rocprim17ROCPRIM_400000_NS6detail17trampoline_kernelINS0_14default_configENS1_35adjacent_difference_config_selectorILb1ElEEZNS1_24adjacent_difference_implIS3_Lb1ELb0EPlS7_ZN2at6native12_GLOBAL__N_124unique_dim_cuda_templateIhEESt5tupleIJNS8_6TensorESD_SD_EERKSD_lbbbEUlllE1_EE10hipError_tPvRmT2_T3_mT4_P12ihipStream_tbEUlT_E_NS1_11comp_targetILNS1_3genE5ELNS1_11target_archE942ELNS1_3gpuE9ELNS1_3repE0EEENS1_30default_config_static_selectorELNS0_4arch9wavefront6targetE1EEEvT1_
		.amdhsa_group_segment_fixed_size 0
		.amdhsa_private_segment_fixed_size 0
		.amdhsa_kernarg_size 64
		.amdhsa_user_sgpr_count 6
		.amdhsa_user_sgpr_private_segment_buffer 1
		.amdhsa_user_sgpr_dispatch_ptr 0
		.amdhsa_user_sgpr_queue_ptr 0
		.amdhsa_user_sgpr_kernarg_segment_ptr 1
		.amdhsa_user_sgpr_dispatch_id 0
		.amdhsa_user_sgpr_flat_scratch_init 0
		.amdhsa_user_sgpr_kernarg_preload_length 0
		.amdhsa_user_sgpr_kernarg_preload_offset 0
		.amdhsa_user_sgpr_private_segment_size 0
		.amdhsa_uses_dynamic_stack 0
		.amdhsa_system_sgpr_private_segment_wavefront_offset 0
		.amdhsa_system_sgpr_workgroup_id_x 1
		.amdhsa_system_sgpr_workgroup_id_y 0
		.amdhsa_system_sgpr_workgroup_id_z 0
		.amdhsa_system_sgpr_workgroup_info 0
		.amdhsa_system_vgpr_workitem_id 0
		.amdhsa_next_free_vgpr 1
		.amdhsa_next_free_sgpr 0
		.amdhsa_accum_offset 4
		.amdhsa_reserve_vcc 0
		.amdhsa_reserve_flat_scratch 0
		.amdhsa_float_round_mode_32 0
		.amdhsa_float_round_mode_16_64 0
		.amdhsa_float_denorm_mode_32 3
		.amdhsa_float_denorm_mode_16_64 3
		.amdhsa_dx10_clamp 1
		.amdhsa_ieee_mode 1
		.amdhsa_fp16_overflow 0
		.amdhsa_tg_split 0
		.amdhsa_exception_fp_ieee_invalid_op 0
		.amdhsa_exception_fp_denorm_src 0
		.amdhsa_exception_fp_ieee_div_zero 0
		.amdhsa_exception_fp_ieee_overflow 0
		.amdhsa_exception_fp_ieee_underflow 0
		.amdhsa_exception_fp_ieee_inexact 0
		.amdhsa_exception_int_div_zero 0
	.end_amdhsa_kernel
	.section	.text._ZN7rocprim17ROCPRIM_400000_NS6detail17trampoline_kernelINS0_14default_configENS1_35adjacent_difference_config_selectorILb1ElEEZNS1_24adjacent_difference_implIS3_Lb1ELb0EPlS7_ZN2at6native12_GLOBAL__N_124unique_dim_cuda_templateIhEESt5tupleIJNS8_6TensorESD_SD_EERKSD_lbbbEUlllE1_EE10hipError_tPvRmT2_T3_mT4_P12ihipStream_tbEUlT_E_NS1_11comp_targetILNS1_3genE5ELNS1_11target_archE942ELNS1_3gpuE9ELNS1_3repE0EEENS1_30default_config_static_selectorELNS0_4arch9wavefront6targetE1EEEvT1_,"axG",@progbits,_ZN7rocprim17ROCPRIM_400000_NS6detail17trampoline_kernelINS0_14default_configENS1_35adjacent_difference_config_selectorILb1ElEEZNS1_24adjacent_difference_implIS3_Lb1ELb0EPlS7_ZN2at6native12_GLOBAL__N_124unique_dim_cuda_templateIhEESt5tupleIJNS8_6TensorESD_SD_EERKSD_lbbbEUlllE1_EE10hipError_tPvRmT2_T3_mT4_P12ihipStream_tbEUlT_E_NS1_11comp_targetILNS1_3genE5ELNS1_11target_archE942ELNS1_3gpuE9ELNS1_3repE0EEENS1_30default_config_static_selectorELNS0_4arch9wavefront6targetE1EEEvT1_,comdat
.Lfunc_end77:
	.size	_ZN7rocprim17ROCPRIM_400000_NS6detail17trampoline_kernelINS0_14default_configENS1_35adjacent_difference_config_selectorILb1ElEEZNS1_24adjacent_difference_implIS3_Lb1ELb0EPlS7_ZN2at6native12_GLOBAL__N_124unique_dim_cuda_templateIhEESt5tupleIJNS8_6TensorESD_SD_EERKSD_lbbbEUlllE1_EE10hipError_tPvRmT2_T3_mT4_P12ihipStream_tbEUlT_E_NS1_11comp_targetILNS1_3genE5ELNS1_11target_archE942ELNS1_3gpuE9ELNS1_3repE0EEENS1_30default_config_static_selectorELNS0_4arch9wavefront6targetE1EEEvT1_, .Lfunc_end77-_ZN7rocprim17ROCPRIM_400000_NS6detail17trampoline_kernelINS0_14default_configENS1_35adjacent_difference_config_selectorILb1ElEEZNS1_24adjacent_difference_implIS3_Lb1ELb0EPlS7_ZN2at6native12_GLOBAL__N_124unique_dim_cuda_templateIhEESt5tupleIJNS8_6TensorESD_SD_EERKSD_lbbbEUlllE1_EE10hipError_tPvRmT2_T3_mT4_P12ihipStream_tbEUlT_E_NS1_11comp_targetILNS1_3genE5ELNS1_11target_archE942ELNS1_3gpuE9ELNS1_3repE0EEENS1_30default_config_static_selectorELNS0_4arch9wavefront6targetE1EEEvT1_
                                        ; -- End function
	.section	.AMDGPU.csdata,"",@progbits
; Kernel info:
; codeLenInByte = 0
; NumSgprs: 4
; NumVgprs: 0
; NumAgprs: 0
; TotalNumVgprs: 0
; ScratchSize: 0
; MemoryBound: 0
; FloatMode: 240
; IeeeMode: 1
; LDSByteSize: 0 bytes/workgroup (compile time only)
; SGPRBlocks: 0
; VGPRBlocks: 0
; NumSGPRsForWavesPerEU: 4
; NumVGPRsForWavesPerEU: 1
; AccumOffset: 4
; Occupancy: 8
; WaveLimiterHint : 0
; COMPUTE_PGM_RSRC2:SCRATCH_EN: 0
; COMPUTE_PGM_RSRC2:USER_SGPR: 6
; COMPUTE_PGM_RSRC2:TRAP_HANDLER: 0
; COMPUTE_PGM_RSRC2:TGID_X_EN: 1
; COMPUTE_PGM_RSRC2:TGID_Y_EN: 0
; COMPUTE_PGM_RSRC2:TGID_Z_EN: 0
; COMPUTE_PGM_RSRC2:TIDIG_COMP_CNT: 0
; COMPUTE_PGM_RSRC3_GFX90A:ACCUM_OFFSET: 0
; COMPUTE_PGM_RSRC3_GFX90A:TG_SPLIT: 0
	.section	.text._ZN7rocprim17ROCPRIM_400000_NS6detail17trampoline_kernelINS0_14default_configENS1_35adjacent_difference_config_selectorILb1ElEEZNS1_24adjacent_difference_implIS3_Lb1ELb0EPlS7_ZN2at6native12_GLOBAL__N_124unique_dim_cuda_templateIhEESt5tupleIJNS8_6TensorESD_SD_EERKSD_lbbbEUlllE1_EE10hipError_tPvRmT2_T3_mT4_P12ihipStream_tbEUlT_E_NS1_11comp_targetILNS1_3genE4ELNS1_11target_archE910ELNS1_3gpuE8ELNS1_3repE0EEENS1_30default_config_static_selectorELNS0_4arch9wavefront6targetE1EEEvT1_,"axG",@progbits,_ZN7rocprim17ROCPRIM_400000_NS6detail17trampoline_kernelINS0_14default_configENS1_35adjacent_difference_config_selectorILb1ElEEZNS1_24adjacent_difference_implIS3_Lb1ELb0EPlS7_ZN2at6native12_GLOBAL__N_124unique_dim_cuda_templateIhEESt5tupleIJNS8_6TensorESD_SD_EERKSD_lbbbEUlllE1_EE10hipError_tPvRmT2_T3_mT4_P12ihipStream_tbEUlT_E_NS1_11comp_targetILNS1_3genE4ELNS1_11target_archE910ELNS1_3gpuE8ELNS1_3repE0EEENS1_30default_config_static_selectorELNS0_4arch9wavefront6targetE1EEEvT1_,comdat
	.globl	_ZN7rocprim17ROCPRIM_400000_NS6detail17trampoline_kernelINS0_14default_configENS1_35adjacent_difference_config_selectorILb1ElEEZNS1_24adjacent_difference_implIS3_Lb1ELb0EPlS7_ZN2at6native12_GLOBAL__N_124unique_dim_cuda_templateIhEESt5tupleIJNS8_6TensorESD_SD_EERKSD_lbbbEUlllE1_EE10hipError_tPvRmT2_T3_mT4_P12ihipStream_tbEUlT_E_NS1_11comp_targetILNS1_3genE4ELNS1_11target_archE910ELNS1_3gpuE8ELNS1_3repE0EEENS1_30default_config_static_selectorELNS0_4arch9wavefront6targetE1EEEvT1_ ; -- Begin function _ZN7rocprim17ROCPRIM_400000_NS6detail17trampoline_kernelINS0_14default_configENS1_35adjacent_difference_config_selectorILb1ElEEZNS1_24adjacent_difference_implIS3_Lb1ELb0EPlS7_ZN2at6native12_GLOBAL__N_124unique_dim_cuda_templateIhEESt5tupleIJNS8_6TensorESD_SD_EERKSD_lbbbEUlllE1_EE10hipError_tPvRmT2_T3_mT4_P12ihipStream_tbEUlT_E_NS1_11comp_targetILNS1_3genE4ELNS1_11target_archE910ELNS1_3gpuE8ELNS1_3repE0EEENS1_30default_config_static_selectorELNS0_4arch9wavefront6targetE1EEEvT1_
	.p2align	8
	.type	_ZN7rocprim17ROCPRIM_400000_NS6detail17trampoline_kernelINS0_14default_configENS1_35adjacent_difference_config_selectorILb1ElEEZNS1_24adjacent_difference_implIS3_Lb1ELb0EPlS7_ZN2at6native12_GLOBAL__N_124unique_dim_cuda_templateIhEESt5tupleIJNS8_6TensorESD_SD_EERKSD_lbbbEUlllE1_EE10hipError_tPvRmT2_T3_mT4_P12ihipStream_tbEUlT_E_NS1_11comp_targetILNS1_3genE4ELNS1_11target_archE910ELNS1_3gpuE8ELNS1_3repE0EEENS1_30default_config_static_selectorELNS0_4arch9wavefront6targetE1EEEvT1_,@function
_ZN7rocprim17ROCPRIM_400000_NS6detail17trampoline_kernelINS0_14default_configENS1_35adjacent_difference_config_selectorILb1ElEEZNS1_24adjacent_difference_implIS3_Lb1ELb0EPlS7_ZN2at6native12_GLOBAL__N_124unique_dim_cuda_templateIhEESt5tupleIJNS8_6TensorESD_SD_EERKSD_lbbbEUlllE1_EE10hipError_tPvRmT2_T3_mT4_P12ihipStream_tbEUlT_E_NS1_11comp_targetILNS1_3genE4ELNS1_11target_archE910ELNS1_3gpuE8ELNS1_3repE0EEENS1_30default_config_static_selectorELNS0_4arch9wavefront6targetE1EEEvT1_: ; @_ZN7rocprim17ROCPRIM_400000_NS6detail17trampoline_kernelINS0_14default_configENS1_35adjacent_difference_config_selectorILb1ElEEZNS1_24adjacent_difference_implIS3_Lb1ELb0EPlS7_ZN2at6native12_GLOBAL__N_124unique_dim_cuda_templateIhEESt5tupleIJNS8_6TensorESD_SD_EERKSD_lbbbEUlllE1_EE10hipError_tPvRmT2_T3_mT4_P12ihipStream_tbEUlT_E_NS1_11comp_targetILNS1_3genE4ELNS1_11target_archE910ELNS1_3gpuE8ELNS1_3repE0EEENS1_30default_config_static_selectorELNS0_4arch9wavefront6targetE1EEEvT1_
; %bb.0:
	s_load_dwordx16 s[8:23], s[4:5], 0x0
	s_mov_b32 s27, 0
	s_waitcnt lgkmcnt(0)
	s_lshl_b64 s[10:11], s[10:11], 3
	s_add_u32 s30, s8, s10
	s_addc_u32 s31, s9, s11
	s_lshl_b32 s4, s6, 10
	s_lshr_b64 s[0:1], s[14:15], 10
	s_and_b32 s26, s14, 0x3ff
	s_cmp_lg_u64 s[26:27], 0
	s_cselect_b64 s[2:3], -1, 0
	v_cndmask_b32_e64 v1, 0, 1, s[2:3]
	v_readfirstlane_b32 s2, v1
	s_add_u32 s2, s0, s2
	s_addc_u32 s3, s1, 0
	s_add_u32 s24, s22, s6
	s_addc_u32 s25, s23, 0
	s_mov_b32 s26, s6
	s_add_u32 s6, s2, -1
	s_addc_u32 s7, s3, -1
	v_pk_mov_b32 v[2:3], s[6:7], s[6:7] op_sel:[0,1]
	v_cmp_ge_u64_e64 s[0:1], s[24:25], v[2:3]
	s_mov_b64 s[8:9], -1
	s_and_b64 vcc, exec, s[0:1]
	s_cbranch_vccz .LBB78_6
; %bb.1:
	s_lshl_b32 s5, s6, 10
	s_sub_i32 s15, s14, s5
	s_mov_b32 s5, s27
	s_lshl_b64 s[8:9], s[4:5], 3
	s_add_u32 s8, s30, s8
	s_addc_u32 s9, s31, s9
	v_cmp_gt_u32_e32 vcc, s15, v0
                                        ; implicit-def: $vgpr2_vgpr3_vgpr4_vgpr5
	s_and_saveexec_b64 s[28:29], vcc
	s_cbranch_execz .LBB78_3
; %bb.2:
	v_lshlrev_b32_e32 v1, 3, v0
	global_load_dwordx2 v[2:3], v1, s[8:9]
.LBB78_3:
	s_or_b64 exec, exec, s[28:29]
	v_or_b32_e32 v1, 0x200, v0
	v_cmp_gt_u32_e32 vcc, s15, v1
	s_and_saveexec_b64 s[28:29], vcc
	s_cbranch_execz .LBB78_5
; %bb.4:
	v_lshlrev_b32_e32 v4, 3, v1
	global_load_dwordx2 v[4:5], v4, s[8:9]
.LBB78_5:
	s_or_b64 exec, exec, s[28:29]
	v_lshrrev_b32_e32 v6, 2, v0
	v_lshrrev_b32_e32 v1, 2, v1
	v_and_b32_e32 v6, 0x78, v6
	v_lshlrev_b32_e32 v7, 3, v0
	v_and_b32_e32 v1, 0xf8, v1
	v_add_u32_e32 v6, v6, v7
	v_add_u32_e32 v1, v1, v7
	s_mov_b64 s[8:9], 0
	s_waitcnt vmcnt(0)
	ds_write_b64 v6, v[2:3]
	ds_write_b64 v1, v[4:5] offset:4096
	s_waitcnt lgkmcnt(0)
	s_barrier
.LBB78_6:
	s_and_b64 vcc, exec, s[8:9]
	v_lshlrev_b32_e32 v1, 3, v0
	s_cbranch_vccz .LBB78_8
; %bb.7:
	s_mov_b32 s5, 0
	s_lshl_b64 s[8:9], s[4:5], 3
	s_add_u32 s8, s30, s8
	s_addc_u32 s9, s31, s9
	v_mov_b32_e32 v2, s9
	v_add_co_u32_e32 v3, vcc, s8, v1
	v_addc_co_u32_e32 v4, vcc, 0, v2, vcc
	v_add_co_u32_e32 v2, vcc, 0x1000, v3
	v_addc_co_u32_e32 v3, vcc, 0, v4, vcc
	global_load_dwordx2 v[4:5], v1, s[8:9]
	global_load_dwordx2 v[6:7], v[2:3], off
	v_lshrrev_b32_e32 v2, 2, v0
	v_or_b32_e32 v3, 0x200, v0
	v_and_b32_e32 v2, 0x78, v2
	v_lshrrev_b32_e32 v3, 2, v3
	v_add_u32_e32 v2, v2, v1
	v_and_b32_e32 v3, 0xf8, v3
	v_add_u32_e32 v3, v3, v1
	s_waitcnt vmcnt(1)
	ds_write_b64 v2, v[4:5]
	s_waitcnt vmcnt(0)
	ds_write_b64 v3, v[6:7] offset:4096
	s_waitcnt lgkmcnt(0)
	s_barrier
.LBB78_8:
	v_lshlrev_b32_e32 v2, 1, v0
	v_lshrrev_b32_e32 v3, 4, v0
	v_add_lshl_u32 v2, v3, v2, 3
	ds_read2_b64 v[2:5], v2 offset1:1
	s_cmp_eq_u64 s[24:25], 0
	s_mov_b64 s[8:9], 0
	s_waitcnt lgkmcnt(0)
	s_barrier
	s_cbranch_scc1 .LBB78_17
; %bb.9:
	s_lshl_b64 s[22:23], s[22:23], 3
	s_add_u32 s5, s20, s22
	s_addc_u32 s15, s21, s23
	s_lshl_b64 s[20:21], s[26:27], 3
	s_add_u32 s5, s5, s20
	s_addc_u32 s15, s15, s21
	s_add_u32 s20, s5, -8
	s_addc_u32 s21, s15, -1
	s_load_dwordx2 s[20:21], s[20:21], 0x0
	s_cmp_lg_u64 s[24:25], s[6:7]
	s_cbranch_scc0 .LBB78_18
; %bb.10:
	v_cmp_lt_i64_e64 s[22:23], s[16:17], 1
	v_pk_mov_b32 v[8:9], 0, 0
	v_cmp_gt_i64_e64 s[8:9], s[16:17], 0
	s_and_b64 vcc, exec, s[22:23]
	ds_write_b64 v1, v[4:5]
	s_cbranch_vccnz .LBB78_21
; %bb.11:
	v_pk_mov_b32 v[8:9], s[18:19], s[18:19] op_sel:[0,1]
	v_mad_u64_u32 v[6:7], s[22:23], v4, s16, v[8:9]
	v_mul_lo_u32 v10, v4, s17
	v_mul_lo_u32 v11, v5, s16
	v_add3_u32 v7, v11, v7, v10
	v_mad_u64_u32 v[10:11], s[22:23], v2, s16, v[8:9]
	v_mul_lo_u32 v8, v2, s17
	v_mul_lo_u32 v9, v3, s16
	v_add3_u32 v11, v9, v11, v8
	global_load_ubyte v8, v[6:7], off
	global_load_ubyte v9, v[10:11], off
	s_waitcnt vmcnt(0)
	v_cmp_eq_u16_e32 vcc, v8, v9
	v_mov_b32_e32 v8, 1
	v_mov_b32_e32 v9, 0
	s_and_saveexec_b64 s[22:23], vcc
	s_cbranch_execz .LBB78_20
; %bb.12:
	s_mov_b64 s[30:31], 1
	s_mov_b64 s[26:27], 0
                                        ; implicit-def: $sgpr28_sgpr29
	s_branch .LBB78_15
.LBB78_13:                              ;   in Loop: Header=BB78_15 Depth=1
	v_mov_b32_e32 v13, s31
	v_add_co_u32_e32 v8, vcc, s30, v6
	v_addc_co_u32_e32 v9, vcc, v7, v13, vcc
	v_add_co_u32_e32 v12, vcc, s30, v10
	v_addc_co_u32_e32 v13, vcc, v11, v13, vcc
	global_load_ubyte v14, v[8:9], off
	global_load_ubyte v15, v[12:13], off
	s_add_u32 s34, s30, 1
	s_addc_u32 s35, s31, 0
	s_andn2_b64 s[28:29], s[28:29], exec
	s_waitcnt vmcnt(0)
	v_cmp_ne_u16_e32 vcc, v14, v15
	s_and_b64 s[36:37], vcc, exec
	s_or_b64 s[28:29], s[28:29], s[36:37]
.LBB78_14:                              ;   in Loop: Header=BB78_15 Depth=1
	s_and_b64 s[36:37], exec, s[28:29]
	s_or_b64 s[26:27], s[36:37], s[26:27]
	v_pk_mov_b32 v[8:9], s[30:31], s[30:31] op_sel:[0,1]
	s_mov_b64 s[30:31], s[34:35]
	s_andn2_b64 exec, exec, s[26:27]
	s_cbranch_execz .LBB78_19
.LBB78_15:                              ; =>This Inner Loop Header: Depth=1
	s_or_b64 s[28:29], s[28:29], exec
	s_cmp_eq_u64 s[16:17], s[30:31]
	s_cbranch_scc0 .LBB78_13
; %bb.16:                               ;   in Loop: Header=BB78_15 Depth=1
                                        ; implicit-def: $sgpr34_sgpr35
	s_mov_b64 s[30:31], s[16:17]
	s_branch .LBB78_14
.LBB78_17:
                                        ; implicit-def: $sgpr22_sgpr23
                                        ; implicit-def: $vgpr8_vgpr9
	s_cbranch_execnz .LBB78_60
	s_branch .LBB78_108
.LBB78_18:
                                        ; implicit-def: $sgpr22_sgpr23
                                        ; implicit-def: $vgpr8_vgpr9
	s_cbranch_execnz .LBB78_33
	s_branch .LBB78_59
.LBB78_19:
	s_or_b64 exec, exec, s[26:27]
	v_cmp_gt_i64_e32 vcc, s[16:17], v[8:9]
	s_mov_b32 s5, 0
	v_cndmask_b32_e64 v8, 0, 1, vcc
	v_mov_b32_e32 v9, s5
.LBB78_20:
	s_or_b64 exec, exec, s[22:23]
.LBB78_21:
	v_cmp_ne_u32_e32 vcc, 0, v0
	s_waitcnt lgkmcnt(0)
	v_pk_mov_b32 v[12:13], s[20:21], s[20:21] op_sel:[0,1]
	s_barrier
	s_and_saveexec_b64 s[22:23], vcc
	s_cbranch_execz .LBB78_23
; %bb.22:
	v_add_u32_e32 v6, -8, v1
	ds_read_b64 v[12:13], v6
.LBB78_23:
	s_or_b64 exec, exec, s[22:23]
	s_mov_b64 s[26:27], 0
	s_andn2_b64 vcc, exec, s[8:9]
	s_mov_b64 s[22:23], 0
	s_cbranch_vccnz .LBB78_32
; %bb.24:
	v_pk_mov_b32 v[10:11], s[18:19], s[18:19] op_sel:[0,1]
	v_mad_u64_u32 v[6:7], s[8:9], v2, s16, v[10:11]
	v_mul_lo_u32 v14, v2, s17
	v_mul_lo_u32 v15, v3, s16
	v_add3_u32 v7, v15, v7, v14
	s_waitcnt lgkmcnt(0)
	v_mad_u64_u32 v[10:11], s[8:9], v12, s16, v[10:11]
	v_mul_lo_u32 v12, v12, s17
	v_mul_lo_u32 v13, v13, s16
	v_add3_u32 v11, v13, v11, v12
	global_load_ubyte v12, v[6:7], off
	global_load_ubyte v13, v[10:11], off
	s_mov_b64 s[22:23], -1
	s_waitcnt vmcnt(0)
	v_cmp_eq_u16_e32 vcc, v12, v13
	s_and_saveexec_b64 s[8:9], vcc
	s_cbranch_execz .LBB78_31
; %bb.25:
	s_mov_b64 s[30:31], 1
	s_mov_b64 s[22:23], 0
                                        ; implicit-def: $sgpr28_sgpr29
	s_branch .LBB78_28
.LBB78_26:                              ;   in Loop: Header=BB78_28 Depth=1
	v_mov_b32_e32 v15, s31
	v_add_co_u32_e32 v12, vcc, s30, v6
	v_addc_co_u32_e32 v13, vcc, v7, v15, vcc
	v_add_co_u32_e32 v14, vcc, s30, v10
	v_addc_co_u32_e32 v15, vcc, v11, v15, vcc
	global_load_ubyte v16, v[12:13], off
	global_load_ubyte v17, v[14:15], off
	s_add_u32 s34, s30, 1
	s_addc_u32 s35, s31, 0
	s_andn2_b64 s[28:29], s[28:29], exec
	s_waitcnt vmcnt(0)
	v_cmp_ne_u16_e32 vcc, v16, v17
	s_and_b64 s[36:37], vcc, exec
	s_or_b64 s[28:29], s[28:29], s[36:37]
.LBB78_27:                              ;   in Loop: Header=BB78_28 Depth=1
	s_and_b64 s[36:37], exec, s[28:29]
	s_or_b64 s[22:23], s[36:37], s[22:23]
	v_pk_mov_b32 v[12:13], s[30:31], s[30:31] op_sel:[0,1]
	s_mov_b64 s[30:31], s[34:35]
	s_andn2_b64 exec, exec, s[22:23]
	s_cbranch_execz .LBB78_30
.LBB78_28:                              ; =>This Inner Loop Header: Depth=1
	s_or_b64 s[28:29], s[28:29], exec
	s_cmp_eq_u64 s[16:17], s[30:31]
	s_cbranch_scc0 .LBB78_26
; %bb.29:                               ;   in Loop: Header=BB78_28 Depth=1
                                        ; implicit-def: $sgpr34_sgpr35
	s_mov_b64 s[30:31], s[16:17]
	s_branch .LBB78_27
.LBB78_30:
	s_or_b64 exec, exec, s[22:23]
	v_cmp_gt_i64_e32 vcc, s[16:17], v[12:13]
	s_orn2_b64 s[22:23], vcc, exec
.LBB78_31:
	s_or_b64 exec, exec, s[8:9]
.LBB78_32:
	s_mov_b64 s[8:9], -1
	s_and_b64 vcc, exec, s[26:27]
	s_cbranch_vccz .LBB78_59
.LBB78_33:
	s_lshl_b32 s5, s24, 10
	v_lshlrev_b32_e32 v14, 1, v0
	s_sub_i32 s5, s14, s5
	v_or_b32_e32 v6, 1, v14
	v_cmp_gt_u32_e32 vcc, s5, v6
	v_pk_mov_b32 v[8:9], v[4:5], v[4:5] op_sel:[0,1]
	ds_write_b64 v1, v[4:5]
	v_pk_mov_b32 v[6:7], v[2:3], v[2:3] op_sel:[0,1]
	s_and_saveexec_b64 s[22:23], vcc
	s_cbranch_execz .LBB78_44
; %bb.34:
	v_cmp_lt_i64_e64 s[24:25], s[16:17], 1
	s_and_b64 vcc, exec, s[24:25]
	s_cbranch_vccnz .LBB78_41
; %bb.35:
	v_pk_mov_b32 v[8:9], s[18:19], s[18:19] op_sel:[0,1]
	v_mad_u64_u32 v[6:7], s[24:25], v4, s16, v[8:9]
	v_mul_lo_u32 v10, v4, s17
	v_mul_lo_u32 v11, v5, s16
	v_add3_u32 v7, v11, v7, v10
	v_mad_u64_u32 v[10:11], s[24:25], v2, s16, v[8:9]
	v_mul_lo_u32 v8, v2, s17
	v_mul_lo_u32 v9, v3, s16
	v_add3_u32 v11, v9, v11, v8
	global_load_ubyte v8, v[6:7], off
	global_load_ubyte v9, v[10:11], off
	s_waitcnt vmcnt(0)
	v_cmp_eq_u16_e32 vcc, v8, v9
	v_mov_b32_e32 v8, 1
	v_mov_b32_e32 v9, 0
	s_and_saveexec_b64 s[24:25], vcc
	s_cbranch_execz .LBB78_43
; %bb.36:
	s_mov_b64 s[30:31], 1
	s_mov_b64 s[26:27], 0
                                        ; implicit-def: $sgpr28_sgpr29
	s_branch .LBB78_39
.LBB78_37:                              ;   in Loop: Header=BB78_39 Depth=1
	s_waitcnt lgkmcnt(0)
	v_mov_b32_e32 v13, s31
	v_add_co_u32_e32 v8, vcc, s30, v6
	v_addc_co_u32_e32 v9, vcc, v7, v13, vcc
	v_add_co_u32_e32 v12, vcc, s30, v10
	v_addc_co_u32_e32 v13, vcc, v11, v13, vcc
	global_load_ubyte v15, v[8:9], off
	global_load_ubyte v16, v[12:13], off
	s_add_u32 s34, s30, 1
	s_addc_u32 s35, s31, 0
	s_andn2_b64 s[28:29], s[28:29], exec
	s_waitcnt vmcnt(0)
	v_cmp_ne_u16_e32 vcc, v15, v16
	s_and_b64 s[36:37], vcc, exec
	s_or_b64 s[28:29], s[28:29], s[36:37]
.LBB78_38:                              ;   in Loop: Header=BB78_39 Depth=1
	s_and_b64 s[36:37], exec, s[28:29]
	s_or_b64 s[26:27], s[36:37], s[26:27]
	v_pk_mov_b32 v[8:9], s[30:31], s[30:31] op_sel:[0,1]
	s_mov_b64 s[30:31], s[34:35]
	s_andn2_b64 exec, exec, s[26:27]
	s_cbranch_execz .LBB78_42
.LBB78_39:                              ; =>This Inner Loop Header: Depth=1
	s_or_b64 s[28:29], s[28:29], exec
	s_cmp_eq_u64 s[16:17], s[30:31]
	s_cbranch_scc0 .LBB78_37
; %bb.40:                               ;   in Loop: Header=BB78_39 Depth=1
                                        ; implicit-def: $sgpr34_sgpr35
	s_mov_b64 s[30:31], s[16:17]
	s_branch .LBB78_38
.LBB78_41:
	v_pk_mov_b32 v[8:9], 0, 0
	s_branch .LBB78_44
.LBB78_42:
	s_or_b64 exec, exec, s[26:27]
	v_cmp_gt_i64_e32 vcc, s[16:17], v[8:9]
	s_mov_b32 s7, 0
	v_cndmask_b32_e64 v8, 0, 1, vcc
	v_mov_b32_e32 v9, s7
.LBB78_43:
	s_or_b64 exec, exec, s[24:25]
.LBB78_44:
	s_or_b64 exec, exec, s[22:23]
	v_cmp_ne_u32_e32 vcc, 0, v0
	s_waitcnt lgkmcnt(0)
	v_pk_mov_b32 v[12:13], s[20:21], s[20:21] op_sel:[0,1]
	s_barrier
	s_and_saveexec_b64 s[20:21], vcc
	s_cbranch_execz .LBB78_46
; %bb.45:
	v_add_u32_e32 v6, -8, v1
	ds_read_b64 v[12:13], v6
.LBB78_46:
	s_or_b64 exec, exec, s[20:21]
	v_cmp_gt_u32_e32 vcc, s5, v14
                                        ; implicit-def: $sgpr22_sgpr23
	s_and_saveexec_b64 s[20:21], vcc
	s_cbranch_execz .LBB78_58
; %bb.47:
	v_cmp_lt_i64_e64 s[22:23], s[16:17], 1
	s_and_b64 vcc, exec, s[22:23]
	s_cbranch_vccnz .LBB78_54
; %bb.48:
	v_pk_mov_b32 v[10:11], s[18:19], s[18:19] op_sel:[0,1]
	v_mad_u64_u32 v[6:7], s[22:23], v2, s16, v[10:11]
	v_mul_lo_u32 v14, v2, s17
	v_mul_lo_u32 v15, v3, s16
	v_add3_u32 v7, v15, v7, v14
	s_waitcnt lgkmcnt(0)
	v_mad_u64_u32 v[10:11], s[22:23], v12, s16, v[10:11]
	v_mul_lo_u32 v12, v12, s17
	v_mul_lo_u32 v13, v13, s16
	v_add3_u32 v11, v13, v11, v12
	global_load_ubyte v12, v[6:7], off
	global_load_ubyte v13, v[10:11], off
	s_mov_b64 s[24:25], -1
	s_waitcnt vmcnt(0)
	v_cmp_eq_u16_e32 vcc, v12, v13
	s_and_saveexec_b64 s[22:23], vcc
	s_cbranch_execz .LBB78_56
; %bb.49:
	s_mov_b64 s[28:29], 1
	s_mov_b64 s[24:25], 0
                                        ; implicit-def: $sgpr26_sgpr27
	s_branch .LBB78_52
.LBB78_50:                              ;   in Loop: Header=BB78_52 Depth=1
	v_mov_b32_e32 v15, s29
	v_add_co_u32_e32 v12, vcc, s28, v6
	v_addc_co_u32_e32 v13, vcc, v7, v15, vcc
	v_add_co_u32_e32 v14, vcc, s28, v10
	v_addc_co_u32_e32 v15, vcc, v11, v15, vcc
	global_load_ubyte v16, v[12:13], off
	global_load_ubyte v17, v[14:15], off
	s_add_u32 s30, s28, 1
	s_addc_u32 s31, s29, 0
	s_andn2_b64 s[26:27], s[26:27], exec
	s_waitcnt vmcnt(0)
	v_cmp_ne_u16_e32 vcc, v16, v17
	s_and_b64 s[34:35], vcc, exec
	s_or_b64 s[26:27], s[26:27], s[34:35]
.LBB78_51:                              ;   in Loop: Header=BB78_52 Depth=1
	s_and_b64 s[34:35], exec, s[26:27]
	s_or_b64 s[24:25], s[34:35], s[24:25]
	v_pk_mov_b32 v[12:13], s[28:29], s[28:29] op_sel:[0,1]
	s_mov_b64 s[28:29], s[30:31]
	s_andn2_b64 exec, exec, s[24:25]
	s_cbranch_execz .LBB78_55
.LBB78_52:                              ; =>This Inner Loop Header: Depth=1
	s_or_b64 s[26:27], s[26:27], exec
	s_cmp_eq_u64 s[16:17], s[28:29]
	s_cbranch_scc0 .LBB78_50
; %bb.53:                               ;   in Loop: Header=BB78_52 Depth=1
                                        ; implicit-def: $sgpr30_sgpr31
	s_mov_b64 s[28:29], s[16:17]
	s_branch .LBB78_51
.LBB78_54:
	s_mov_b64 s[24:25], 0
	s_branch .LBB78_57
.LBB78_55:
	s_or_b64 exec, exec, s[24:25]
	v_cmp_gt_i64_e32 vcc, s[16:17], v[12:13]
	s_orn2_b64 s[24:25], vcc, exec
.LBB78_56:
	s_or_b64 exec, exec, s[22:23]
.LBB78_57:
	s_and_b64 s[22:23], s[24:25], exec
	s_or_b64 s[8:9], s[8:9], exec
.LBB78_58:
	s_or_b64 exec, exec, s[20:21]
.LBB78_59:
	s_waitcnt lgkmcnt(0)
	s_branch .LBB78_108
.LBB78_60:
	s_cmp_lg_u64 s[2:3], 1
	s_cbranch_scc0 .LBB78_68
; %bb.61:
	v_cmp_lt_i64_e64 s[20:21], s[16:17], 1
	v_pk_mov_b32 v[8:9], 0, 0
	v_cmp_gt_i64_e64 s[2:3], s[16:17], 0
	s_and_b64 vcc, exec, s[20:21]
	ds_write_b64 v1, v[4:5]
	s_cbranch_vccnz .LBB78_71
; %bb.62:
	v_pk_mov_b32 v[8:9], s[18:19], s[18:19] op_sel:[0,1]
	v_mad_u64_u32 v[6:7], s[20:21], v4, s16, v[8:9]
	v_mul_lo_u32 v10, v4, s17
	v_mul_lo_u32 v11, v5, s16
	v_add3_u32 v7, v11, v7, v10
	v_mad_u64_u32 v[10:11], s[20:21], v2, s16, v[8:9]
	v_mul_lo_u32 v8, v2, s17
	v_mul_lo_u32 v9, v3, s16
	v_add3_u32 v11, v9, v11, v8
	global_load_ubyte v8, v[6:7], off
	global_load_ubyte v9, v[10:11], off
	s_waitcnt vmcnt(0)
	v_cmp_eq_u16_e32 vcc, v8, v9
	v_mov_b32_e32 v8, 1
	v_mov_b32_e32 v9, 0
	s_and_saveexec_b64 s[20:21], vcc
	s_cbranch_execz .LBB78_70
; %bb.63:
	s_mov_b64 s[26:27], 1
	s_mov_b64 s[22:23], 0
                                        ; implicit-def: $sgpr24_sgpr25
	s_branch .LBB78_66
.LBB78_64:                              ;   in Loop: Header=BB78_66 Depth=1
	v_mov_b32_e32 v13, s27
	v_add_co_u32_e32 v8, vcc, s26, v6
	v_addc_co_u32_e32 v9, vcc, v7, v13, vcc
	v_add_co_u32_e32 v12, vcc, s26, v10
	v_addc_co_u32_e32 v13, vcc, v11, v13, vcc
	global_load_ubyte v14, v[8:9], off
	global_load_ubyte v15, v[12:13], off
	s_add_u32 s28, s26, 1
	s_addc_u32 s29, s27, 0
	s_andn2_b64 s[24:25], s[24:25], exec
	s_waitcnt vmcnt(0)
	v_cmp_ne_u16_e32 vcc, v14, v15
	s_and_b64 s[30:31], vcc, exec
	s_or_b64 s[24:25], s[24:25], s[30:31]
.LBB78_65:                              ;   in Loop: Header=BB78_66 Depth=1
	s_and_b64 s[30:31], exec, s[24:25]
	s_or_b64 s[22:23], s[30:31], s[22:23]
	v_pk_mov_b32 v[8:9], s[26:27], s[26:27] op_sel:[0,1]
	s_mov_b64 s[26:27], s[28:29]
	s_andn2_b64 exec, exec, s[22:23]
	s_cbranch_execz .LBB78_69
.LBB78_66:                              ; =>This Inner Loop Header: Depth=1
	s_or_b64 s[24:25], s[24:25], exec
	s_cmp_eq_u64 s[16:17], s[26:27]
	s_cbranch_scc0 .LBB78_64
; %bb.67:                               ;   in Loop: Header=BB78_66 Depth=1
                                        ; implicit-def: $sgpr28_sgpr29
	s_mov_b64 s[26:27], s[16:17]
	s_branch .LBB78_65
.LBB78_68:
                                        ; implicit-def: $sgpr22_sgpr23
                                        ; implicit-def: $vgpr8_vgpr9
	s_cbranch_execnz .LBB78_84
	s_branch .LBB78_108
.LBB78_69:
	s_or_b64 exec, exec, s[22:23]
	v_cmp_gt_i64_e32 vcc, s[16:17], v[8:9]
	s_mov_b32 s5, 0
	v_cndmask_b32_e64 v8, 0, 1, vcc
	v_mov_b32_e32 v9, s5
.LBB78_70:
	s_or_b64 exec, exec, s[20:21]
.LBB78_71:
	v_cmp_ne_u32_e32 vcc, 0, v0
	s_waitcnt lgkmcnt(0)
	s_barrier
	s_waitcnt lgkmcnt(0)
                                        ; implicit-def: $sgpr22_sgpr23
	s_and_saveexec_b64 s[20:21], vcc
	s_cbranch_execz .LBB78_83
; %bb.72:
	s_andn2_b64 vcc, exec, s[2:3]
	s_cbranch_vccnz .LBB78_79
; %bb.73:
	v_add_u32_e32 v6, -8, v1
	ds_read_b64 v[10:11], v6
	v_pk_mov_b32 v[12:13], s[18:19], s[18:19] op_sel:[0,1]
	v_mad_u64_u32 v[6:7], s[2:3], v2, s16, v[12:13]
	v_mul_lo_u32 v14, v2, s17
	v_mul_lo_u32 v15, v3, s16
	v_add3_u32 v7, v15, v7, v14
	s_waitcnt lgkmcnt(0)
	v_mul_lo_u32 v14, v10, s17
	v_mul_lo_u32 v15, v11, s16
	v_mad_u64_u32 v[10:11], s[2:3], v10, s16, v[12:13]
	v_add3_u32 v11, v15, v11, v14
	global_load_ubyte v12, v[6:7], off
	global_load_ubyte v13, v[10:11], off
	s_mov_b64 s[22:23], -1
	s_waitcnt vmcnt(0)
	v_cmp_eq_u16_e32 vcc, v12, v13
	s_and_saveexec_b64 s[2:3], vcc
	s_cbranch_execz .LBB78_81
; %bb.74:
	s_mov_b64 s[26:27], 1
	s_mov_b64 s[22:23], 0
                                        ; implicit-def: $sgpr24_sgpr25
	s_branch .LBB78_77
.LBB78_75:                              ;   in Loop: Header=BB78_77 Depth=1
	v_mov_b32_e32 v15, s27
	v_add_co_u32_e32 v12, vcc, s26, v6
	v_addc_co_u32_e32 v13, vcc, v7, v15, vcc
	v_add_co_u32_e32 v14, vcc, s26, v10
	v_addc_co_u32_e32 v15, vcc, v11, v15, vcc
	global_load_ubyte v16, v[12:13], off
	global_load_ubyte v17, v[14:15], off
	s_add_u32 s28, s26, 1
	s_addc_u32 s29, s27, 0
	s_andn2_b64 s[24:25], s[24:25], exec
	s_waitcnt vmcnt(0)
	v_cmp_ne_u16_e32 vcc, v16, v17
	s_and_b64 s[30:31], vcc, exec
	s_or_b64 s[24:25], s[24:25], s[30:31]
.LBB78_76:                              ;   in Loop: Header=BB78_77 Depth=1
	s_and_b64 s[30:31], exec, s[24:25]
	s_or_b64 s[22:23], s[30:31], s[22:23]
	v_pk_mov_b32 v[12:13], s[26:27], s[26:27] op_sel:[0,1]
	s_mov_b64 s[26:27], s[28:29]
	s_andn2_b64 exec, exec, s[22:23]
	s_cbranch_execz .LBB78_80
.LBB78_77:                              ; =>This Inner Loop Header: Depth=1
	s_or_b64 s[24:25], s[24:25], exec
	s_cmp_eq_u64 s[16:17], s[26:27]
	s_cbranch_scc0 .LBB78_75
; %bb.78:                               ;   in Loop: Header=BB78_77 Depth=1
                                        ; implicit-def: $sgpr28_sgpr29
	s_mov_b64 s[26:27], s[16:17]
	s_branch .LBB78_76
.LBB78_79:
	s_mov_b64 s[22:23], 0
	s_branch .LBB78_82
.LBB78_80:
	s_or_b64 exec, exec, s[22:23]
	v_cmp_gt_i64_e32 vcc, s[16:17], v[12:13]
	s_orn2_b64 s[22:23], vcc, exec
.LBB78_81:
	s_or_b64 exec, exec, s[2:3]
.LBB78_82:
	s_and_b64 s[22:23], s[22:23], exec
	s_or_b64 s[8:9], s[8:9], exec
.LBB78_83:
	s_or_b64 exec, exec, s[20:21]
	s_branch .LBB78_108
.LBB78_84:
	v_lshlrev_b32_e32 v10, 1, v0
	v_or_b32_e32 v6, 1, v10
	v_cmp_gt_u32_e32 vcc, s14, v6
	v_cmp_lt_i64_e64 s[20:21], s[16:17], 1
	v_pk_mov_b32 v[8:9], v[4:5], v[4:5] op_sel:[0,1]
	ds_write_b64 v1, v[4:5]
	v_pk_mov_b32 v[6:7], v[2:3], v[2:3] op_sel:[0,1]
	s_and_saveexec_b64 s[2:3], vcc
	s_cbranch_execz .LBB78_95
; %bb.85:
	s_and_b64 vcc, exec, s[20:21]
	s_cbranch_vccnz .LBB78_92
; %bb.86:
	v_pk_mov_b32 v[8:9], s[18:19], s[18:19] op_sel:[0,1]
	v_mad_u64_u32 v[6:7], s[22:23], v4, s16, v[8:9]
	v_mul_lo_u32 v4, v4, s17
	v_mul_lo_u32 v5, v5, s16
	v_add3_u32 v7, v5, v7, v4
	v_mad_u64_u32 v[4:5], s[22:23], v2, s16, v[8:9]
	v_mul_lo_u32 v8, v2, s17
	v_mul_lo_u32 v9, v3, s16
	v_add3_u32 v5, v9, v5, v8
	global_load_ubyte v8, v[6:7], off
	global_load_ubyte v9, v[4:5], off
	s_waitcnt vmcnt(0)
	v_cmp_eq_u16_e32 vcc, v8, v9
	v_mov_b32_e32 v8, 1
	v_mov_b32_e32 v9, 0
	s_and_saveexec_b64 s[22:23], vcc
	s_cbranch_execz .LBB78_94
; %bb.87:
	s_mov_b64 s[28:29], 1
	s_mov_b64 s[24:25], 0
                                        ; implicit-def: $sgpr26_sgpr27
	s_branch .LBB78_90
.LBB78_88:                              ;   in Loop: Header=BB78_90 Depth=1
	v_mov_b32_e32 v11, s29
	v_add_co_u32_e32 v8, vcc, s28, v6
	v_addc_co_u32_e32 v9, vcc, v7, v11, vcc
	v_add_co_u32_e32 v12, vcc, s28, v4
	v_addc_co_u32_e32 v13, vcc, v5, v11, vcc
	global_load_ubyte v11, v[8:9], off
	global_load_ubyte v14, v[12:13], off
	s_add_u32 s30, s28, 1
	s_addc_u32 s31, s29, 0
	s_andn2_b64 s[26:27], s[26:27], exec
	s_waitcnt vmcnt(0)
	v_cmp_ne_u16_e32 vcc, v11, v14
	s_and_b64 s[34:35], vcc, exec
	s_or_b64 s[26:27], s[26:27], s[34:35]
.LBB78_89:                              ;   in Loop: Header=BB78_90 Depth=1
	s_and_b64 s[34:35], exec, s[26:27]
	s_or_b64 s[24:25], s[34:35], s[24:25]
	v_pk_mov_b32 v[8:9], s[28:29], s[28:29] op_sel:[0,1]
	s_mov_b64 s[28:29], s[30:31]
	s_andn2_b64 exec, exec, s[24:25]
	s_cbranch_execz .LBB78_93
.LBB78_90:                              ; =>This Inner Loop Header: Depth=1
	s_or_b64 s[26:27], s[26:27], exec
	s_cmp_eq_u64 s[16:17], s[28:29]
	s_cbranch_scc0 .LBB78_88
; %bb.91:                               ;   in Loop: Header=BB78_90 Depth=1
                                        ; implicit-def: $sgpr30_sgpr31
	s_mov_b64 s[28:29], s[16:17]
	s_branch .LBB78_89
.LBB78_92:
	v_pk_mov_b32 v[8:9], 0, 0
	s_branch .LBB78_95
.LBB78_93:
	s_or_b64 exec, exec, s[24:25]
	v_cmp_gt_i64_e32 vcc, s[16:17], v[8:9]
	s_mov_b32 s5, 0
	v_cndmask_b32_e64 v8, 0, 1, vcc
	v_mov_b32_e32 v9, s5
.LBB78_94:
	s_or_b64 exec, exec, s[22:23]
.LBB78_95:
	s_or_b64 exec, exec, s[2:3]
	v_cmp_ne_u32_e32 vcc, 0, v0
	v_cmp_gt_u32_e64 s[2:3], s14, v10
	s_and_b64 s[24:25], vcc, s[2:3]
	s_waitcnt lgkmcnt(0)
	s_barrier
	s_waitcnt lgkmcnt(0)
                                        ; implicit-def: $sgpr22_sgpr23
	s_and_saveexec_b64 s[2:3], s[24:25]
	s_cbranch_execz .LBB78_107
; %bb.96:
	s_and_b64 vcc, exec, s[20:21]
	s_cbranch_vccnz .LBB78_103
; %bb.97:
	v_add_u32_e32 v4, -8, v1
	ds_read_b64 v[6:7], v4
	v_pk_mov_b32 v[10:11], s[18:19], s[18:19] op_sel:[0,1]
	v_mad_u64_u32 v[4:5], s[18:19], v2, s16, v[10:11]
	v_mul_lo_u32 v2, v2, s17
	v_mul_lo_u32 v3, v3, s16
	v_add3_u32 v5, v3, v5, v2
	s_waitcnt lgkmcnt(0)
	v_mul_lo_u32 v12, v6, s17
	v_mul_lo_u32 v7, v7, s16
	v_mad_u64_u32 v[2:3], s[18:19], v6, s16, v[10:11]
	v_add3_u32 v3, v7, v3, v12
	global_load_ubyte v6, v[4:5], off
	global_load_ubyte v7, v[2:3], off
	s_mov_b64 s[20:21], -1
	s_waitcnt vmcnt(0)
	v_cmp_eq_u16_e32 vcc, v6, v7
	s_and_saveexec_b64 s[18:19], vcc
	s_cbranch_execz .LBB78_105
; %bb.98:
	s_mov_b64 s[24:25], 1
	s_mov_b64 s[20:21], 0
                                        ; implicit-def: $sgpr22_sgpr23
	s_branch .LBB78_101
.LBB78_99:                              ;   in Loop: Header=BB78_101 Depth=1
	v_mov_b32_e32 v11, s25
	v_add_co_u32_e32 v6, vcc, s24, v4
	v_addc_co_u32_e32 v7, vcc, v5, v11, vcc
	v_add_co_u32_e32 v10, vcc, s24, v2
	v_addc_co_u32_e32 v11, vcc, v3, v11, vcc
	global_load_ubyte v12, v[6:7], off
	global_load_ubyte v13, v[10:11], off
	s_add_u32 s26, s24, 1
	s_addc_u32 s27, s25, 0
	s_andn2_b64 s[22:23], s[22:23], exec
	s_waitcnt vmcnt(0)
	v_cmp_ne_u16_e32 vcc, v12, v13
	s_and_b64 s[28:29], vcc, exec
	s_or_b64 s[22:23], s[22:23], s[28:29]
.LBB78_100:                             ;   in Loop: Header=BB78_101 Depth=1
	s_and_b64 s[28:29], exec, s[22:23]
	s_or_b64 s[20:21], s[28:29], s[20:21]
	v_pk_mov_b32 v[6:7], s[24:25], s[24:25] op_sel:[0,1]
	s_mov_b64 s[24:25], s[26:27]
	s_andn2_b64 exec, exec, s[20:21]
	s_cbranch_execz .LBB78_104
.LBB78_101:                             ; =>This Inner Loop Header: Depth=1
	s_or_b64 s[22:23], s[22:23], exec
	s_cmp_eq_u64 s[16:17], s[24:25]
	s_cbranch_scc0 .LBB78_99
; %bb.102:                              ;   in Loop: Header=BB78_101 Depth=1
                                        ; implicit-def: $sgpr26_sgpr27
	s_mov_b64 s[24:25], s[16:17]
	s_branch .LBB78_100
.LBB78_103:
	s_mov_b64 s[20:21], 0
	s_branch .LBB78_106
.LBB78_104:
	s_or_b64 exec, exec, s[20:21]
	v_cmp_gt_i64_e32 vcc, s[16:17], v[6:7]
	s_orn2_b64 s[20:21], vcc, exec
.LBB78_105:
	s_or_b64 exec, exec, s[18:19]
.LBB78_106:
	s_and_b64 s[22:23], s[20:21], exec
	s_or_b64 s[8:9], s[8:9], exec
                                        ; implicit-def: $vgpr2_vgpr3
.LBB78_107:
	s_or_b64 exec, exec, s[2:3]
.LBB78_108:
	s_and_saveexec_b64 s[2:3], s[8:9]
; %bb.109:
	s_mov_b32 s5, 0
	v_cndmask_b32_e64 v2, 0, 1, s[22:23]
	v_mov_b32_e32 v3, s5
; %bb.110:
	s_or_b64 exec, exec, s[2:3]
	s_add_u32 s7, s12, s10
	s_addc_u32 s8, s13, s11
	s_and_b64 vcc, exec, s[0:1]
	v_lshrrev_b32_e32 v10, 1, v0
	s_barrier
	s_cbranch_vccz .LBB78_114
; %bb.111:
	v_and_b32_e32 v4, 0xf8, v10
	v_lshl_add_u32 v6, v0, 4, v4
	v_mov_b32_e32 v4, v8
	v_mov_b32_e32 v5, v9
	v_or_b32_e32 v11, 0x200, v0
	s_lshl_b32 s0, s6, 10
	s_mov_b32 s5, 0
	ds_write2_b64 v6, v[2:3], v[4:5] offset1:1
	v_lshrrev_b32_e32 v4, 5, v11
	s_sub_i32 s2, s14, s0
	s_lshl_b64 s[0:1], s[4:5], 3
	v_add_lshl_u32 v4, v4, v0, 3
	s_add_u32 s0, s7, s0
	s_waitcnt lgkmcnt(0)
	s_barrier
	ds_read_b64 v[4:5], v4 offset:4096
	s_addc_u32 s1, s8, s1
	v_mov_b32_e32 v7, s1
	v_add_co_u32_e32 v6, vcc, s0, v1
	v_addc_co_u32_e32 v7, vcc, 0, v7, vcc
	v_cmp_gt_u32_e32 vcc, s2, v0
	s_and_saveexec_b64 s[0:1], vcc
	s_cbranch_execz .LBB78_113
; %bb.112:
	v_lshrrev_b32_e32 v12, 5, v0
	v_add_lshl_u32 v12, v12, v0, 3
	ds_read_b64 v[12:13], v12
	s_waitcnt lgkmcnt(0)
	global_store_dwordx2 v[6:7], v[12:13], off
.LBB78_113:
	s_or_b64 exec, exec, s[0:1]
	v_cmp_gt_u32_e64 s[0:1], s2, v11
	s_branch .LBB78_116
.LBB78_114:
	s_mov_b64 s[0:1], 0
                                        ; implicit-def: $vgpr4_vgpr5
                                        ; implicit-def: $vgpr6_vgpr7
	s_cbranch_execz .LBB78_116
; %bb.115:
	s_waitcnt lgkmcnt(0)
	v_and_b32_e32 v4, 0xf8, v10
	v_lshl_add_u32 v6, v0, 4, v4
	v_mov_b32_e32 v4, v8
	v_mov_b32_e32 v5, v9
	s_mov_b32 s5, 0
	ds_write2_b64 v6, v[2:3], v[4:5] offset1:1
	v_lshrrev_b32_e32 v2, 5, v0
	v_or_b32_e32 v3, 0x200, v0
	s_lshl_b64 s[2:3], s[4:5], 3
	v_add_lshl_u32 v2, v2, v0, 3
	v_lshrrev_b32_e32 v3, 5, v3
	s_add_u32 s2, s7, s2
	s_waitcnt lgkmcnt(0)
	s_barrier
	v_add_lshl_u32 v0, v3, v0, 3
	ds_read_b64 v[2:3], v2
	ds_read_b64 v[4:5], v0 offset:4096
	s_addc_u32 s3, s8, s3
	v_mov_b32_e32 v0, s3
	v_add_co_u32_e32 v6, vcc, s2, v1
	v_addc_co_u32_e32 v7, vcc, 0, v0, vcc
	s_or_b64 s[0:1], s[0:1], exec
	s_waitcnt lgkmcnt(1)
	global_store_dwordx2 v1, v[2:3], s[2:3]
.LBB78_116:
	s_and_saveexec_b64 s[2:3], s[0:1]
	s_cbranch_execnz .LBB78_118
; %bb.117:
	s_endpgm
.LBB78_118:
	v_add_co_u32_e32 v0, vcc, 0x1000, v6
	v_addc_co_u32_e32 v1, vcc, 0, v7, vcc
	s_waitcnt lgkmcnt(0)
	global_store_dwordx2 v[0:1], v[4:5], off
	s_endpgm
	.section	.rodata,"a",@progbits
	.p2align	6, 0x0
	.amdhsa_kernel _ZN7rocprim17ROCPRIM_400000_NS6detail17trampoline_kernelINS0_14default_configENS1_35adjacent_difference_config_selectorILb1ElEEZNS1_24adjacent_difference_implIS3_Lb1ELb0EPlS7_ZN2at6native12_GLOBAL__N_124unique_dim_cuda_templateIhEESt5tupleIJNS8_6TensorESD_SD_EERKSD_lbbbEUlllE1_EE10hipError_tPvRmT2_T3_mT4_P12ihipStream_tbEUlT_E_NS1_11comp_targetILNS1_3genE4ELNS1_11target_archE910ELNS1_3gpuE8ELNS1_3repE0EEENS1_30default_config_static_selectorELNS0_4arch9wavefront6targetE1EEEvT1_
		.amdhsa_group_segment_fixed_size 8448
		.amdhsa_private_segment_fixed_size 0
		.amdhsa_kernarg_size 64
		.amdhsa_user_sgpr_count 6
		.amdhsa_user_sgpr_private_segment_buffer 1
		.amdhsa_user_sgpr_dispatch_ptr 0
		.amdhsa_user_sgpr_queue_ptr 0
		.amdhsa_user_sgpr_kernarg_segment_ptr 1
		.amdhsa_user_sgpr_dispatch_id 0
		.amdhsa_user_sgpr_flat_scratch_init 0
		.amdhsa_user_sgpr_kernarg_preload_length 0
		.amdhsa_user_sgpr_kernarg_preload_offset 0
		.amdhsa_user_sgpr_private_segment_size 0
		.amdhsa_uses_dynamic_stack 0
		.amdhsa_system_sgpr_private_segment_wavefront_offset 0
		.amdhsa_system_sgpr_workgroup_id_x 1
		.amdhsa_system_sgpr_workgroup_id_y 0
		.amdhsa_system_sgpr_workgroup_id_z 0
		.amdhsa_system_sgpr_workgroup_info 0
		.amdhsa_system_vgpr_workitem_id 0
		.amdhsa_next_free_vgpr 18
		.amdhsa_next_free_sgpr 38
		.amdhsa_accum_offset 20
		.amdhsa_reserve_vcc 1
		.amdhsa_reserve_flat_scratch 0
		.amdhsa_float_round_mode_32 0
		.amdhsa_float_round_mode_16_64 0
		.amdhsa_float_denorm_mode_32 3
		.amdhsa_float_denorm_mode_16_64 3
		.amdhsa_dx10_clamp 1
		.amdhsa_ieee_mode 1
		.amdhsa_fp16_overflow 0
		.amdhsa_tg_split 0
		.amdhsa_exception_fp_ieee_invalid_op 0
		.amdhsa_exception_fp_denorm_src 0
		.amdhsa_exception_fp_ieee_div_zero 0
		.amdhsa_exception_fp_ieee_overflow 0
		.amdhsa_exception_fp_ieee_underflow 0
		.amdhsa_exception_fp_ieee_inexact 0
		.amdhsa_exception_int_div_zero 0
	.end_amdhsa_kernel
	.section	.text._ZN7rocprim17ROCPRIM_400000_NS6detail17trampoline_kernelINS0_14default_configENS1_35adjacent_difference_config_selectorILb1ElEEZNS1_24adjacent_difference_implIS3_Lb1ELb0EPlS7_ZN2at6native12_GLOBAL__N_124unique_dim_cuda_templateIhEESt5tupleIJNS8_6TensorESD_SD_EERKSD_lbbbEUlllE1_EE10hipError_tPvRmT2_T3_mT4_P12ihipStream_tbEUlT_E_NS1_11comp_targetILNS1_3genE4ELNS1_11target_archE910ELNS1_3gpuE8ELNS1_3repE0EEENS1_30default_config_static_selectorELNS0_4arch9wavefront6targetE1EEEvT1_,"axG",@progbits,_ZN7rocprim17ROCPRIM_400000_NS6detail17trampoline_kernelINS0_14default_configENS1_35adjacent_difference_config_selectorILb1ElEEZNS1_24adjacent_difference_implIS3_Lb1ELb0EPlS7_ZN2at6native12_GLOBAL__N_124unique_dim_cuda_templateIhEESt5tupleIJNS8_6TensorESD_SD_EERKSD_lbbbEUlllE1_EE10hipError_tPvRmT2_T3_mT4_P12ihipStream_tbEUlT_E_NS1_11comp_targetILNS1_3genE4ELNS1_11target_archE910ELNS1_3gpuE8ELNS1_3repE0EEENS1_30default_config_static_selectorELNS0_4arch9wavefront6targetE1EEEvT1_,comdat
.Lfunc_end78:
	.size	_ZN7rocprim17ROCPRIM_400000_NS6detail17trampoline_kernelINS0_14default_configENS1_35adjacent_difference_config_selectorILb1ElEEZNS1_24adjacent_difference_implIS3_Lb1ELb0EPlS7_ZN2at6native12_GLOBAL__N_124unique_dim_cuda_templateIhEESt5tupleIJNS8_6TensorESD_SD_EERKSD_lbbbEUlllE1_EE10hipError_tPvRmT2_T3_mT4_P12ihipStream_tbEUlT_E_NS1_11comp_targetILNS1_3genE4ELNS1_11target_archE910ELNS1_3gpuE8ELNS1_3repE0EEENS1_30default_config_static_selectorELNS0_4arch9wavefront6targetE1EEEvT1_, .Lfunc_end78-_ZN7rocprim17ROCPRIM_400000_NS6detail17trampoline_kernelINS0_14default_configENS1_35adjacent_difference_config_selectorILb1ElEEZNS1_24adjacent_difference_implIS3_Lb1ELb0EPlS7_ZN2at6native12_GLOBAL__N_124unique_dim_cuda_templateIhEESt5tupleIJNS8_6TensorESD_SD_EERKSD_lbbbEUlllE1_EE10hipError_tPvRmT2_T3_mT4_P12ihipStream_tbEUlT_E_NS1_11comp_targetILNS1_3genE4ELNS1_11target_archE910ELNS1_3gpuE8ELNS1_3repE0EEENS1_30default_config_static_selectorELNS0_4arch9wavefront6targetE1EEEvT1_
                                        ; -- End function
	.section	.AMDGPU.csdata,"",@progbits
; Kernel info:
; codeLenInByte = 3560
; NumSgprs: 42
; NumVgprs: 18
; NumAgprs: 0
; TotalNumVgprs: 18
; ScratchSize: 0
; MemoryBound: 0
; FloatMode: 240
; IeeeMode: 1
; LDSByteSize: 8448 bytes/workgroup (compile time only)
; SGPRBlocks: 5
; VGPRBlocks: 2
; NumSGPRsForWavesPerEU: 42
; NumVGPRsForWavesPerEU: 18
; AccumOffset: 20
; Occupancy: 8
; WaveLimiterHint : 1
; COMPUTE_PGM_RSRC2:SCRATCH_EN: 0
; COMPUTE_PGM_RSRC2:USER_SGPR: 6
; COMPUTE_PGM_RSRC2:TRAP_HANDLER: 0
; COMPUTE_PGM_RSRC2:TGID_X_EN: 1
; COMPUTE_PGM_RSRC2:TGID_Y_EN: 0
; COMPUTE_PGM_RSRC2:TGID_Z_EN: 0
; COMPUTE_PGM_RSRC2:TIDIG_COMP_CNT: 0
; COMPUTE_PGM_RSRC3_GFX90A:ACCUM_OFFSET: 4
; COMPUTE_PGM_RSRC3_GFX90A:TG_SPLIT: 0
	.section	.text._ZN7rocprim17ROCPRIM_400000_NS6detail17trampoline_kernelINS0_14default_configENS1_35adjacent_difference_config_selectorILb1ElEEZNS1_24adjacent_difference_implIS3_Lb1ELb0EPlS7_ZN2at6native12_GLOBAL__N_124unique_dim_cuda_templateIhEESt5tupleIJNS8_6TensorESD_SD_EERKSD_lbbbEUlllE1_EE10hipError_tPvRmT2_T3_mT4_P12ihipStream_tbEUlT_E_NS1_11comp_targetILNS1_3genE3ELNS1_11target_archE908ELNS1_3gpuE7ELNS1_3repE0EEENS1_30default_config_static_selectorELNS0_4arch9wavefront6targetE1EEEvT1_,"axG",@progbits,_ZN7rocprim17ROCPRIM_400000_NS6detail17trampoline_kernelINS0_14default_configENS1_35adjacent_difference_config_selectorILb1ElEEZNS1_24adjacent_difference_implIS3_Lb1ELb0EPlS7_ZN2at6native12_GLOBAL__N_124unique_dim_cuda_templateIhEESt5tupleIJNS8_6TensorESD_SD_EERKSD_lbbbEUlllE1_EE10hipError_tPvRmT2_T3_mT4_P12ihipStream_tbEUlT_E_NS1_11comp_targetILNS1_3genE3ELNS1_11target_archE908ELNS1_3gpuE7ELNS1_3repE0EEENS1_30default_config_static_selectorELNS0_4arch9wavefront6targetE1EEEvT1_,comdat
	.globl	_ZN7rocprim17ROCPRIM_400000_NS6detail17trampoline_kernelINS0_14default_configENS1_35adjacent_difference_config_selectorILb1ElEEZNS1_24adjacent_difference_implIS3_Lb1ELb0EPlS7_ZN2at6native12_GLOBAL__N_124unique_dim_cuda_templateIhEESt5tupleIJNS8_6TensorESD_SD_EERKSD_lbbbEUlllE1_EE10hipError_tPvRmT2_T3_mT4_P12ihipStream_tbEUlT_E_NS1_11comp_targetILNS1_3genE3ELNS1_11target_archE908ELNS1_3gpuE7ELNS1_3repE0EEENS1_30default_config_static_selectorELNS0_4arch9wavefront6targetE1EEEvT1_ ; -- Begin function _ZN7rocprim17ROCPRIM_400000_NS6detail17trampoline_kernelINS0_14default_configENS1_35adjacent_difference_config_selectorILb1ElEEZNS1_24adjacent_difference_implIS3_Lb1ELb0EPlS7_ZN2at6native12_GLOBAL__N_124unique_dim_cuda_templateIhEESt5tupleIJNS8_6TensorESD_SD_EERKSD_lbbbEUlllE1_EE10hipError_tPvRmT2_T3_mT4_P12ihipStream_tbEUlT_E_NS1_11comp_targetILNS1_3genE3ELNS1_11target_archE908ELNS1_3gpuE7ELNS1_3repE0EEENS1_30default_config_static_selectorELNS0_4arch9wavefront6targetE1EEEvT1_
	.p2align	8
	.type	_ZN7rocprim17ROCPRIM_400000_NS6detail17trampoline_kernelINS0_14default_configENS1_35adjacent_difference_config_selectorILb1ElEEZNS1_24adjacent_difference_implIS3_Lb1ELb0EPlS7_ZN2at6native12_GLOBAL__N_124unique_dim_cuda_templateIhEESt5tupleIJNS8_6TensorESD_SD_EERKSD_lbbbEUlllE1_EE10hipError_tPvRmT2_T3_mT4_P12ihipStream_tbEUlT_E_NS1_11comp_targetILNS1_3genE3ELNS1_11target_archE908ELNS1_3gpuE7ELNS1_3repE0EEENS1_30default_config_static_selectorELNS0_4arch9wavefront6targetE1EEEvT1_,@function
_ZN7rocprim17ROCPRIM_400000_NS6detail17trampoline_kernelINS0_14default_configENS1_35adjacent_difference_config_selectorILb1ElEEZNS1_24adjacent_difference_implIS3_Lb1ELb0EPlS7_ZN2at6native12_GLOBAL__N_124unique_dim_cuda_templateIhEESt5tupleIJNS8_6TensorESD_SD_EERKSD_lbbbEUlllE1_EE10hipError_tPvRmT2_T3_mT4_P12ihipStream_tbEUlT_E_NS1_11comp_targetILNS1_3genE3ELNS1_11target_archE908ELNS1_3gpuE7ELNS1_3repE0EEENS1_30default_config_static_selectorELNS0_4arch9wavefront6targetE1EEEvT1_: ; @_ZN7rocprim17ROCPRIM_400000_NS6detail17trampoline_kernelINS0_14default_configENS1_35adjacent_difference_config_selectorILb1ElEEZNS1_24adjacent_difference_implIS3_Lb1ELb0EPlS7_ZN2at6native12_GLOBAL__N_124unique_dim_cuda_templateIhEESt5tupleIJNS8_6TensorESD_SD_EERKSD_lbbbEUlllE1_EE10hipError_tPvRmT2_T3_mT4_P12ihipStream_tbEUlT_E_NS1_11comp_targetILNS1_3genE3ELNS1_11target_archE908ELNS1_3gpuE7ELNS1_3repE0EEENS1_30default_config_static_selectorELNS0_4arch9wavefront6targetE1EEEvT1_
; %bb.0:
	.section	.rodata,"a",@progbits
	.p2align	6, 0x0
	.amdhsa_kernel _ZN7rocprim17ROCPRIM_400000_NS6detail17trampoline_kernelINS0_14default_configENS1_35adjacent_difference_config_selectorILb1ElEEZNS1_24adjacent_difference_implIS3_Lb1ELb0EPlS7_ZN2at6native12_GLOBAL__N_124unique_dim_cuda_templateIhEESt5tupleIJNS8_6TensorESD_SD_EERKSD_lbbbEUlllE1_EE10hipError_tPvRmT2_T3_mT4_P12ihipStream_tbEUlT_E_NS1_11comp_targetILNS1_3genE3ELNS1_11target_archE908ELNS1_3gpuE7ELNS1_3repE0EEENS1_30default_config_static_selectorELNS0_4arch9wavefront6targetE1EEEvT1_
		.amdhsa_group_segment_fixed_size 0
		.amdhsa_private_segment_fixed_size 0
		.amdhsa_kernarg_size 64
		.amdhsa_user_sgpr_count 6
		.amdhsa_user_sgpr_private_segment_buffer 1
		.amdhsa_user_sgpr_dispatch_ptr 0
		.amdhsa_user_sgpr_queue_ptr 0
		.amdhsa_user_sgpr_kernarg_segment_ptr 1
		.amdhsa_user_sgpr_dispatch_id 0
		.amdhsa_user_sgpr_flat_scratch_init 0
		.amdhsa_user_sgpr_kernarg_preload_length 0
		.amdhsa_user_sgpr_kernarg_preload_offset 0
		.amdhsa_user_sgpr_private_segment_size 0
		.amdhsa_uses_dynamic_stack 0
		.amdhsa_system_sgpr_private_segment_wavefront_offset 0
		.amdhsa_system_sgpr_workgroup_id_x 1
		.amdhsa_system_sgpr_workgroup_id_y 0
		.amdhsa_system_sgpr_workgroup_id_z 0
		.amdhsa_system_sgpr_workgroup_info 0
		.amdhsa_system_vgpr_workitem_id 0
		.amdhsa_next_free_vgpr 1
		.amdhsa_next_free_sgpr 0
		.amdhsa_accum_offset 4
		.amdhsa_reserve_vcc 0
		.amdhsa_reserve_flat_scratch 0
		.amdhsa_float_round_mode_32 0
		.amdhsa_float_round_mode_16_64 0
		.amdhsa_float_denorm_mode_32 3
		.amdhsa_float_denorm_mode_16_64 3
		.amdhsa_dx10_clamp 1
		.amdhsa_ieee_mode 1
		.amdhsa_fp16_overflow 0
		.amdhsa_tg_split 0
		.amdhsa_exception_fp_ieee_invalid_op 0
		.amdhsa_exception_fp_denorm_src 0
		.amdhsa_exception_fp_ieee_div_zero 0
		.amdhsa_exception_fp_ieee_overflow 0
		.amdhsa_exception_fp_ieee_underflow 0
		.amdhsa_exception_fp_ieee_inexact 0
		.amdhsa_exception_int_div_zero 0
	.end_amdhsa_kernel
	.section	.text._ZN7rocprim17ROCPRIM_400000_NS6detail17trampoline_kernelINS0_14default_configENS1_35adjacent_difference_config_selectorILb1ElEEZNS1_24adjacent_difference_implIS3_Lb1ELb0EPlS7_ZN2at6native12_GLOBAL__N_124unique_dim_cuda_templateIhEESt5tupleIJNS8_6TensorESD_SD_EERKSD_lbbbEUlllE1_EE10hipError_tPvRmT2_T3_mT4_P12ihipStream_tbEUlT_E_NS1_11comp_targetILNS1_3genE3ELNS1_11target_archE908ELNS1_3gpuE7ELNS1_3repE0EEENS1_30default_config_static_selectorELNS0_4arch9wavefront6targetE1EEEvT1_,"axG",@progbits,_ZN7rocprim17ROCPRIM_400000_NS6detail17trampoline_kernelINS0_14default_configENS1_35adjacent_difference_config_selectorILb1ElEEZNS1_24adjacent_difference_implIS3_Lb1ELb0EPlS7_ZN2at6native12_GLOBAL__N_124unique_dim_cuda_templateIhEESt5tupleIJNS8_6TensorESD_SD_EERKSD_lbbbEUlllE1_EE10hipError_tPvRmT2_T3_mT4_P12ihipStream_tbEUlT_E_NS1_11comp_targetILNS1_3genE3ELNS1_11target_archE908ELNS1_3gpuE7ELNS1_3repE0EEENS1_30default_config_static_selectorELNS0_4arch9wavefront6targetE1EEEvT1_,comdat
.Lfunc_end79:
	.size	_ZN7rocprim17ROCPRIM_400000_NS6detail17trampoline_kernelINS0_14default_configENS1_35adjacent_difference_config_selectorILb1ElEEZNS1_24adjacent_difference_implIS3_Lb1ELb0EPlS7_ZN2at6native12_GLOBAL__N_124unique_dim_cuda_templateIhEESt5tupleIJNS8_6TensorESD_SD_EERKSD_lbbbEUlllE1_EE10hipError_tPvRmT2_T3_mT4_P12ihipStream_tbEUlT_E_NS1_11comp_targetILNS1_3genE3ELNS1_11target_archE908ELNS1_3gpuE7ELNS1_3repE0EEENS1_30default_config_static_selectorELNS0_4arch9wavefront6targetE1EEEvT1_, .Lfunc_end79-_ZN7rocprim17ROCPRIM_400000_NS6detail17trampoline_kernelINS0_14default_configENS1_35adjacent_difference_config_selectorILb1ElEEZNS1_24adjacent_difference_implIS3_Lb1ELb0EPlS7_ZN2at6native12_GLOBAL__N_124unique_dim_cuda_templateIhEESt5tupleIJNS8_6TensorESD_SD_EERKSD_lbbbEUlllE1_EE10hipError_tPvRmT2_T3_mT4_P12ihipStream_tbEUlT_E_NS1_11comp_targetILNS1_3genE3ELNS1_11target_archE908ELNS1_3gpuE7ELNS1_3repE0EEENS1_30default_config_static_selectorELNS0_4arch9wavefront6targetE1EEEvT1_
                                        ; -- End function
	.section	.AMDGPU.csdata,"",@progbits
; Kernel info:
; codeLenInByte = 0
; NumSgprs: 4
; NumVgprs: 0
; NumAgprs: 0
; TotalNumVgprs: 0
; ScratchSize: 0
; MemoryBound: 0
; FloatMode: 240
; IeeeMode: 1
; LDSByteSize: 0 bytes/workgroup (compile time only)
; SGPRBlocks: 0
; VGPRBlocks: 0
; NumSGPRsForWavesPerEU: 4
; NumVGPRsForWavesPerEU: 1
; AccumOffset: 4
; Occupancy: 8
; WaveLimiterHint : 0
; COMPUTE_PGM_RSRC2:SCRATCH_EN: 0
; COMPUTE_PGM_RSRC2:USER_SGPR: 6
; COMPUTE_PGM_RSRC2:TRAP_HANDLER: 0
; COMPUTE_PGM_RSRC2:TGID_X_EN: 1
; COMPUTE_PGM_RSRC2:TGID_Y_EN: 0
; COMPUTE_PGM_RSRC2:TGID_Z_EN: 0
; COMPUTE_PGM_RSRC2:TIDIG_COMP_CNT: 0
; COMPUTE_PGM_RSRC3_GFX90A:ACCUM_OFFSET: 0
; COMPUTE_PGM_RSRC3_GFX90A:TG_SPLIT: 0
	.section	.text._ZN7rocprim17ROCPRIM_400000_NS6detail17trampoline_kernelINS0_14default_configENS1_35adjacent_difference_config_selectorILb1ElEEZNS1_24adjacent_difference_implIS3_Lb1ELb0EPlS7_ZN2at6native12_GLOBAL__N_124unique_dim_cuda_templateIhEESt5tupleIJNS8_6TensorESD_SD_EERKSD_lbbbEUlllE1_EE10hipError_tPvRmT2_T3_mT4_P12ihipStream_tbEUlT_E_NS1_11comp_targetILNS1_3genE2ELNS1_11target_archE906ELNS1_3gpuE6ELNS1_3repE0EEENS1_30default_config_static_selectorELNS0_4arch9wavefront6targetE1EEEvT1_,"axG",@progbits,_ZN7rocprim17ROCPRIM_400000_NS6detail17trampoline_kernelINS0_14default_configENS1_35adjacent_difference_config_selectorILb1ElEEZNS1_24adjacent_difference_implIS3_Lb1ELb0EPlS7_ZN2at6native12_GLOBAL__N_124unique_dim_cuda_templateIhEESt5tupleIJNS8_6TensorESD_SD_EERKSD_lbbbEUlllE1_EE10hipError_tPvRmT2_T3_mT4_P12ihipStream_tbEUlT_E_NS1_11comp_targetILNS1_3genE2ELNS1_11target_archE906ELNS1_3gpuE6ELNS1_3repE0EEENS1_30default_config_static_selectorELNS0_4arch9wavefront6targetE1EEEvT1_,comdat
	.globl	_ZN7rocprim17ROCPRIM_400000_NS6detail17trampoline_kernelINS0_14default_configENS1_35adjacent_difference_config_selectorILb1ElEEZNS1_24adjacent_difference_implIS3_Lb1ELb0EPlS7_ZN2at6native12_GLOBAL__N_124unique_dim_cuda_templateIhEESt5tupleIJNS8_6TensorESD_SD_EERKSD_lbbbEUlllE1_EE10hipError_tPvRmT2_T3_mT4_P12ihipStream_tbEUlT_E_NS1_11comp_targetILNS1_3genE2ELNS1_11target_archE906ELNS1_3gpuE6ELNS1_3repE0EEENS1_30default_config_static_selectorELNS0_4arch9wavefront6targetE1EEEvT1_ ; -- Begin function _ZN7rocprim17ROCPRIM_400000_NS6detail17trampoline_kernelINS0_14default_configENS1_35adjacent_difference_config_selectorILb1ElEEZNS1_24adjacent_difference_implIS3_Lb1ELb0EPlS7_ZN2at6native12_GLOBAL__N_124unique_dim_cuda_templateIhEESt5tupleIJNS8_6TensorESD_SD_EERKSD_lbbbEUlllE1_EE10hipError_tPvRmT2_T3_mT4_P12ihipStream_tbEUlT_E_NS1_11comp_targetILNS1_3genE2ELNS1_11target_archE906ELNS1_3gpuE6ELNS1_3repE0EEENS1_30default_config_static_selectorELNS0_4arch9wavefront6targetE1EEEvT1_
	.p2align	8
	.type	_ZN7rocprim17ROCPRIM_400000_NS6detail17trampoline_kernelINS0_14default_configENS1_35adjacent_difference_config_selectorILb1ElEEZNS1_24adjacent_difference_implIS3_Lb1ELb0EPlS7_ZN2at6native12_GLOBAL__N_124unique_dim_cuda_templateIhEESt5tupleIJNS8_6TensorESD_SD_EERKSD_lbbbEUlllE1_EE10hipError_tPvRmT2_T3_mT4_P12ihipStream_tbEUlT_E_NS1_11comp_targetILNS1_3genE2ELNS1_11target_archE906ELNS1_3gpuE6ELNS1_3repE0EEENS1_30default_config_static_selectorELNS0_4arch9wavefront6targetE1EEEvT1_,@function
_ZN7rocprim17ROCPRIM_400000_NS6detail17trampoline_kernelINS0_14default_configENS1_35adjacent_difference_config_selectorILb1ElEEZNS1_24adjacent_difference_implIS3_Lb1ELb0EPlS7_ZN2at6native12_GLOBAL__N_124unique_dim_cuda_templateIhEESt5tupleIJNS8_6TensorESD_SD_EERKSD_lbbbEUlllE1_EE10hipError_tPvRmT2_T3_mT4_P12ihipStream_tbEUlT_E_NS1_11comp_targetILNS1_3genE2ELNS1_11target_archE906ELNS1_3gpuE6ELNS1_3repE0EEENS1_30default_config_static_selectorELNS0_4arch9wavefront6targetE1EEEvT1_: ; @_ZN7rocprim17ROCPRIM_400000_NS6detail17trampoline_kernelINS0_14default_configENS1_35adjacent_difference_config_selectorILb1ElEEZNS1_24adjacent_difference_implIS3_Lb1ELb0EPlS7_ZN2at6native12_GLOBAL__N_124unique_dim_cuda_templateIhEESt5tupleIJNS8_6TensorESD_SD_EERKSD_lbbbEUlllE1_EE10hipError_tPvRmT2_T3_mT4_P12ihipStream_tbEUlT_E_NS1_11comp_targetILNS1_3genE2ELNS1_11target_archE906ELNS1_3gpuE6ELNS1_3repE0EEENS1_30default_config_static_selectorELNS0_4arch9wavefront6targetE1EEEvT1_
; %bb.0:
	.section	.rodata,"a",@progbits
	.p2align	6, 0x0
	.amdhsa_kernel _ZN7rocprim17ROCPRIM_400000_NS6detail17trampoline_kernelINS0_14default_configENS1_35adjacent_difference_config_selectorILb1ElEEZNS1_24adjacent_difference_implIS3_Lb1ELb0EPlS7_ZN2at6native12_GLOBAL__N_124unique_dim_cuda_templateIhEESt5tupleIJNS8_6TensorESD_SD_EERKSD_lbbbEUlllE1_EE10hipError_tPvRmT2_T3_mT4_P12ihipStream_tbEUlT_E_NS1_11comp_targetILNS1_3genE2ELNS1_11target_archE906ELNS1_3gpuE6ELNS1_3repE0EEENS1_30default_config_static_selectorELNS0_4arch9wavefront6targetE1EEEvT1_
		.amdhsa_group_segment_fixed_size 0
		.amdhsa_private_segment_fixed_size 0
		.amdhsa_kernarg_size 64
		.amdhsa_user_sgpr_count 6
		.amdhsa_user_sgpr_private_segment_buffer 1
		.amdhsa_user_sgpr_dispatch_ptr 0
		.amdhsa_user_sgpr_queue_ptr 0
		.amdhsa_user_sgpr_kernarg_segment_ptr 1
		.amdhsa_user_sgpr_dispatch_id 0
		.amdhsa_user_sgpr_flat_scratch_init 0
		.amdhsa_user_sgpr_kernarg_preload_length 0
		.amdhsa_user_sgpr_kernarg_preload_offset 0
		.amdhsa_user_sgpr_private_segment_size 0
		.amdhsa_uses_dynamic_stack 0
		.amdhsa_system_sgpr_private_segment_wavefront_offset 0
		.amdhsa_system_sgpr_workgroup_id_x 1
		.amdhsa_system_sgpr_workgroup_id_y 0
		.amdhsa_system_sgpr_workgroup_id_z 0
		.amdhsa_system_sgpr_workgroup_info 0
		.amdhsa_system_vgpr_workitem_id 0
		.amdhsa_next_free_vgpr 1
		.amdhsa_next_free_sgpr 0
		.amdhsa_accum_offset 4
		.amdhsa_reserve_vcc 0
		.amdhsa_reserve_flat_scratch 0
		.amdhsa_float_round_mode_32 0
		.amdhsa_float_round_mode_16_64 0
		.amdhsa_float_denorm_mode_32 3
		.amdhsa_float_denorm_mode_16_64 3
		.amdhsa_dx10_clamp 1
		.amdhsa_ieee_mode 1
		.amdhsa_fp16_overflow 0
		.amdhsa_tg_split 0
		.amdhsa_exception_fp_ieee_invalid_op 0
		.amdhsa_exception_fp_denorm_src 0
		.amdhsa_exception_fp_ieee_div_zero 0
		.amdhsa_exception_fp_ieee_overflow 0
		.amdhsa_exception_fp_ieee_underflow 0
		.amdhsa_exception_fp_ieee_inexact 0
		.amdhsa_exception_int_div_zero 0
	.end_amdhsa_kernel
	.section	.text._ZN7rocprim17ROCPRIM_400000_NS6detail17trampoline_kernelINS0_14default_configENS1_35adjacent_difference_config_selectorILb1ElEEZNS1_24adjacent_difference_implIS3_Lb1ELb0EPlS7_ZN2at6native12_GLOBAL__N_124unique_dim_cuda_templateIhEESt5tupleIJNS8_6TensorESD_SD_EERKSD_lbbbEUlllE1_EE10hipError_tPvRmT2_T3_mT4_P12ihipStream_tbEUlT_E_NS1_11comp_targetILNS1_3genE2ELNS1_11target_archE906ELNS1_3gpuE6ELNS1_3repE0EEENS1_30default_config_static_selectorELNS0_4arch9wavefront6targetE1EEEvT1_,"axG",@progbits,_ZN7rocprim17ROCPRIM_400000_NS6detail17trampoline_kernelINS0_14default_configENS1_35adjacent_difference_config_selectorILb1ElEEZNS1_24adjacent_difference_implIS3_Lb1ELb0EPlS7_ZN2at6native12_GLOBAL__N_124unique_dim_cuda_templateIhEESt5tupleIJNS8_6TensorESD_SD_EERKSD_lbbbEUlllE1_EE10hipError_tPvRmT2_T3_mT4_P12ihipStream_tbEUlT_E_NS1_11comp_targetILNS1_3genE2ELNS1_11target_archE906ELNS1_3gpuE6ELNS1_3repE0EEENS1_30default_config_static_selectorELNS0_4arch9wavefront6targetE1EEEvT1_,comdat
.Lfunc_end80:
	.size	_ZN7rocprim17ROCPRIM_400000_NS6detail17trampoline_kernelINS0_14default_configENS1_35adjacent_difference_config_selectorILb1ElEEZNS1_24adjacent_difference_implIS3_Lb1ELb0EPlS7_ZN2at6native12_GLOBAL__N_124unique_dim_cuda_templateIhEESt5tupleIJNS8_6TensorESD_SD_EERKSD_lbbbEUlllE1_EE10hipError_tPvRmT2_T3_mT4_P12ihipStream_tbEUlT_E_NS1_11comp_targetILNS1_3genE2ELNS1_11target_archE906ELNS1_3gpuE6ELNS1_3repE0EEENS1_30default_config_static_selectorELNS0_4arch9wavefront6targetE1EEEvT1_, .Lfunc_end80-_ZN7rocprim17ROCPRIM_400000_NS6detail17trampoline_kernelINS0_14default_configENS1_35adjacent_difference_config_selectorILb1ElEEZNS1_24adjacent_difference_implIS3_Lb1ELb0EPlS7_ZN2at6native12_GLOBAL__N_124unique_dim_cuda_templateIhEESt5tupleIJNS8_6TensorESD_SD_EERKSD_lbbbEUlllE1_EE10hipError_tPvRmT2_T3_mT4_P12ihipStream_tbEUlT_E_NS1_11comp_targetILNS1_3genE2ELNS1_11target_archE906ELNS1_3gpuE6ELNS1_3repE0EEENS1_30default_config_static_selectorELNS0_4arch9wavefront6targetE1EEEvT1_
                                        ; -- End function
	.section	.AMDGPU.csdata,"",@progbits
; Kernel info:
; codeLenInByte = 0
; NumSgprs: 4
; NumVgprs: 0
; NumAgprs: 0
; TotalNumVgprs: 0
; ScratchSize: 0
; MemoryBound: 0
; FloatMode: 240
; IeeeMode: 1
; LDSByteSize: 0 bytes/workgroup (compile time only)
; SGPRBlocks: 0
; VGPRBlocks: 0
; NumSGPRsForWavesPerEU: 4
; NumVGPRsForWavesPerEU: 1
; AccumOffset: 4
; Occupancy: 8
; WaveLimiterHint : 0
; COMPUTE_PGM_RSRC2:SCRATCH_EN: 0
; COMPUTE_PGM_RSRC2:USER_SGPR: 6
; COMPUTE_PGM_RSRC2:TRAP_HANDLER: 0
; COMPUTE_PGM_RSRC2:TGID_X_EN: 1
; COMPUTE_PGM_RSRC2:TGID_Y_EN: 0
; COMPUTE_PGM_RSRC2:TGID_Z_EN: 0
; COMPUTE_PGM_RSRC2:TIDIG_COMP_CNT: 0
; COMPUTE_PGM_RSRC3_GFX90A:ACCUM_OFFSET: 0
; COMPUTE_PGM_RSRC3_GFX90A:TG_SPLIT: 0
	.section	.text._ZN7rocprim17ROCPRIM_400000_NS6detail17trampoline_kernelINS0_14default_configENS1_35adjacent_difference_config_selectorILb1ElEEZNS1_24adjacent_difference_implIS3_Lb1ELb0EPlS7_ZN2at6native12_GLOBAL__N_124unique_dim_cuda_templateIhEESt5tupleIJNS8_6TensorESD_SD_EERKSD_lbbbEUlllE1_EE10hipError_tPvRmT2_T3_mT4_P12ihipStream_tbEUlT_E_NS1_11comp_targetILNS1_3genE9ELNS1_11target_archE1100ELNS1_3gpuE3ELNS1_3repE0EEENS1_30default_config_static_selectorELNS0_4arch9wavefront6targetE1EEEvT1_,"axG",@progbits,_ZN7rocprim17ROCPRIM_400000_NS6detail17trampoline_kernelINS0_14default_configENS1_35adjacent_difference_config_selectorILb1ElEEZNS1_24adjacent_difference_implIS3_Lb1ELb0EPlS7_ZN2at6native12_GLOBAL__N_124unique_dim_cuda_templateIhEESt5tupleIJNS8_6TensorESD_SD_EERKSD_lbbbEUlllE1_EE10hipError_tPvRmT2_T3_mT4_P12ihipStream_tbEUlT_E_NS1_11comp_targetILNS1_3genE9ELNS1_11target_archE1100ELNS1_3gpuE3ELNS1_3repE0EEENS1_30default_config_static_selectorELNS0_4arch9wavefront6targetE1EEEvT1_,comdat
	.globl	_ZN7rocprim17ROCPRIM_400000_NS6detail17trampoline_kernelINS0_14default_configENS1_35adjacent_difference_config_selectorILb1ElEEZNS1_24adjacent_difference_implIS3_Lb1ELb0EPlS7_ZN2at6native12_GLOBAL__N_124unique_dim_cuda_templateIhEESt5tupleIJNS8_6TensorESD_SD_EERKSD_lbbbEUlllE1_EE10hipError_tPvRmT2_T3_mT4_P12ihipStream_tbEUlT_E_NS1_11comp_targetILNS1_3genE9ELNS1_11target_archE1100ELNS1_3gpuE3ELNS1_3repE0EEENS1_30default_config_static_selectorELNS0_4arch9wavefront6targetE1EEEvT1_ ; -- Begin function _ZN7rocprim17ROCPRIM_400000_NS6detail17trampoline_kernelINS0_14default_configENS1_35adjacent_difference_config_selectorILb1ElEEZNS1_24adjacent_difference_implIS3_Lb1ELb0EPlS7_ZN2at6native12_GLOBAL__N_124unique_dim_cuda_templateIhEESt5tupleIJNS8_6TensorESD_SD_EERKSD_lbbbEUlllE1_EE10hipError_tPvRmT2_T3_mT4_P12ihipStream_tbEUlT_E_NS1_11comp_targetILNS1_3genE9ELNS1_11target_archE1100ELNS1_3gpuE3ELNS1_3repE0EEENS1_30default_config_static_selectorELNS0_4arch9wavefront6targetE1EEEvT1_
	.p2align	8
	.type	_ZN7rocprim17ROCPRIM_400000_NS6detail17trampoline_kernelINS0_14default_configENS1_35adjacent_difference_config_selectorILb1ElEEZNS1_24adjacent_difference_implIS3_Lb1ELb0EPlS7_ZN2at6native12_GLOBAL__N_124unique_dim_cuda_templateIhEESt5tupleIJNS8_6TensorESD_SD_EERKSD_lbbbEUlllE1_EE10hipError_tPvRmT2_T3_mT4_P12ihipStream_tbEUlT_E_NS1_11comp_targetILNS1_3genE9ELNS1_11target_archE1100ELNS1_3gpuE3ELNS1_3repE0EEENS1_30default_config_static_selectorELNS0_4arch9wavefront6targetE1EEEvT1_,@function
_ZN7rocprim17ROCPRIM_400000_NS6detail17trampoline_kernelINS0_14default_configENS1_35adjacent_difference_config_selectorILb1ElEEZNS1_24adjacent_difference_implIS3_Lb1ELb0EPlS7_ZN2at6native12_GLOBAL__N_124unique_dim_cuda_templateIhEESt5tupleIJNS8_6TensorESD_SD_EERKSD_lbbbEUlllE1_EE10hipError_tPvRmT2_T3_mT4_P12ihipStream_tbEUlT_E_NS1_11comp_targetILNS1_3genE9ELNS1_11target_archE1100ELNS1_3gpuE3ELNS1_3repE0EEENS1_30default_config_static_selectorELNS0_4arch9wavefront6targetE1EEEvT1_: ; @_ZN7rocprim17ROCPRIM_400000_NS6detail17trampoline_kernelINS0_14default_configENS1_35adjacent_difference_config_selectorILb1ElEEZNS1_24adjacent_difference_implIS3_Lb1ELb0EPlS7_ZN2at6native12_GLOBAL__N_124unique_dim_cuda_templateIhEESt5tupleIJNS8_6TensorESD_SD_EERKSD_lbbbEUlllE1_EE10hipError_tPvRmT2_T3_mT4_P12ihipStream_tbEUlT_E_NS1_11comp_targetILNS1_3genE9ELNS1_11target_archE1100ELNS1_3gpuE3ELNS1_3repE0EEENS1_30default_config_static_selectorELNS0_4arch9wavefront6targetE1EEEvT1_
; %bb.0:
	.section	.rodata,"a",@progbits
	.p2align	6, 0x0
	.amdhsa_kernel _ZN7rocprim17ROCPRIM_400000_NS6detail17trampoline_kernelINS0_14default_configENS1_35adjacent_difference_config_selectorILb1ElEEZNS1_24adjacent_difference_implIS3_Lb1ELb0EPlS7_ZN2at6native12_GLOBAL__N_124unique_dim_cuda_templateIhEESt5tupleIJNS8_6TensorESD_SD_EERKSD_lbbbEUlllE1_EE10hipError_tPvRmT2_T3_mT4_P12ihipStream_tbEUlT_E_NS1_11comp_targetILNS1_3genE9ELNS1_11target_archE1100ELNS1_3gpuE3ELNS1_3repE0EEENS1_30default_config_static_selectorELNS0_4arch9wavefront6targetE1EEEvT1_
		.amdhsa_group_segment_fixed_size 0
		.amdhsa_private_segment_fixed_size 0
		.amdhsa_kernarg_size 64
		.amdhsa_user_sgpr_count 6
		.amdhsa_user_sgpr_private_segment_buffer 1
		.amdhsa_user_sgpr_dispatch_ptr 0
		.amdhsa_user_sgpr_queue_ptr 0
		.amdhsa_user_sgpr_kernarg_segment_ptr 1
		.amdhsa_user_sgpr_dispatch_id 0
		.amdhsa_user_sgpr_flat_scratch_init 0
		.amdhsa_user_sgpr_kernarg_preload_length 0
		.amdhsa_user_sgpr_kernarg_preload_offset 0
		.amdhsa_user_sgpr_private_segment_size 0
		.amdhsa_uses_dynamic_stack 0
		.amdhsa_system_sgpr_private_segment_wavefront_offset 0
		.amdhsa_system_sgpr_workgroup_id_x 1
		.amdhsa_system_sgpr_workgroup_id_y 0
		.amdhsa_system_sgpr_workgroup_id_z 0
		.amdhsa_system_sgpr_workgroup_info 0
		.amdhsa_system_vgpr_workitem_id 0
		.amdhsa_next_free_vgpr 1
		.amdhsa_next_free_sgpr 0
		.amdhsa_accum_offset 4
		.amdhsa_reserve_vcc 0
		.amdhsa_reserve_flat_scratch 0
		.amdhsa_float_round_mode_32 0
		.amdhsa_float_round_mode_16_64 0
		.amdhsa_float_denorm_mode_32 3
		.amdhsa_float_denorm_mode_16_64 3
		.amdhsa_dx10_clamp 1
		.amdhsa_ieee_mode 1
		.amdhsa_fp16_overflow 0
		.amdhsa_tg_split 0
		.amdhsa_exception_fp_ieee_invalid_op 0
		.amdhsa_exception_fp_denorm_src 0
		.amdhsa_exception_fp_ieee_div_zero 0
		.amdhsa_exception_fp_ieee_overflow 0
		.amdhsa_exception_fp_ieee_underflow 0
		.amdhsa_exception_fp_ieee_inexact 0
		.amdhsa_exception_int_div_zero 0
	.end_amdhsa_kernel
	.section	.text._ZN7rocprim17ROCPRIM_400000_NS6detail17trampoline_kernelINS0_14default_configENS1_35adjacent_difference_config_selectorILb1ElEEZNS1_24adjacent_difference_implIS3_Lb1ELb0EPlS7_ZN2at6native12_GLOBAL__N_124unique_dim_cuda_templateIhEESt5tupleIJNS8_6TensorESD_SD_EERKSD_lbbbEUlllE1_EE10hipError_tPvRmT2_T3_mT4_P12ihipStream_tbEUlT_E_NS1_11comp_targetILNS1_3genE9ELNS1_11target_archE1100ELNS1_3gpuE3ELNS1_3repE0EEENS1_30default_config_static_selectorELNS0_4arch9wavefront6targetE1EEEvT1_,"axG",@progbits,_ZN7rocprim17ROCPRIM_400000_NS6detail17trampoline_kernelINS0_14default_configENS1_35adjacent_difference_config_selectorILb1ElEEZNS1_24adjacent_difference_implIS3_Lb1ELb0EPlS7_ZN2at6native12_GLOBAL__N_124unique_dim_cuda_templateIhEESt5tupleIJNS8_6TensorESD_SD_EERKSD_lbbbEUlllE1_EE10hipError_tPvRmT2_T3_mT4_P12ihipStream_tbEUlT_E_NS1_11comp_targetILNS1_3genE9ELNS1_11target_archE1100ELNS1_3gpuE3ELNS1_3repE0EEENS1_30default_config_static_selectorELNS0_4arch9wavefront6targetE1EEEvT1_,comdat
.Lfunc_end81:
	.size	_ZN7rocprim17ROCPRIM_400000_NS6detail17trampoline_kernelINS0_14default_configENS1_35adjacent_difference_config_selectorILb1ElEEZNS1_24adjacent_difference_implIS3_Lb1ELb0EPlS7_ZN2at6native12_GLOBAL__N_124unique_dim_cuda_templateIhEESt5tupleIJNS8_6TensorESD_SD_EERKSD_lbbbEUlllE1_EE10hipError_tPvRmT2_T3_mT4_P12ihipStream_tbEUlT_E_NS1_11comp_targetILNS1_3genE9ELNS1_11target_archE1100ELNS1_3gpuE3ELNS1_3repE0EEENS1_30default_config_static_selectorELNS0_4arch9wavefront6targetE1EEEvT1_, .Lfunc_end81-_ZN7rocprim17ROCPRIM_400000_NS6detail17trampoline_kernelINS0_14default_configENS1_35adjacent_difference_config_selectorILb1ElEEZNS1_24adjacent_difference_implIS3_Lb1ELb0EPlS7_ZN2at6native12_GLOBAL__N_124unique_dim_cuda_templateIhEESt5tupleIJNS8_6TensorESD_SD_EERKSD_lbbbEUlllE1_EE10hipError_tPvRmT2_T3_mT4_P12ihipStream_tbEUlT_E_NS1_11comp_targetILNS1_3genE9ELNS1_11target_archE1100ELNS1_3gpuE3ELNS1_3repE0EEENS1_30default_config_static_selectorELNS0_4arch9wavefront6targetE1EEEvT1_
                                        ; -- End function
	.section	.AMDGPU.csdata,"",@progbits
; Kernel info:
; codeLenInByte = 0
; NumSgprs: 4
; NumVgprs: 0
; NumAgprs: 0
; TotalNumVgprs: 0
; ScratchSize: 0
; MemoryBound: 0
; FloatMode: 240
; IeeeMode: 1
; LDSByteSize: 0 bytes/workgroup (compile time only)
; SGPRBlocks: 0
; VGPRBlocks: 0
; NumSGPRsForWavesPerEU: 4
; NumVGPRsForWavesPerEU: 1
; AccumOffset: 4
; Occupancy: 8
; WaveLimiterHint : 0
; COMPUTE_PGM_RSRC2:SCRATCH_EN: 0
; COMPUTE_PGM_RSRC2:USER_SGPR: 6
; COMPUTE_PGM_RSRC2:TRAP_HANDLER: 0
; COMPUTE_PGM_RSRC2:TGID_X_EN: 1
; COMPUTE_PGM_RSRC2:TGID_Y_EN: 0
; COMPUTE_PGM_RSRC2:TGID_Z_EN: 0
; COMPUTE_PGM_RSRC2:TIDIG_COMP_CNT: 0
; COMPUTE_PGM_RSRC3_GFX90A:ACCUM_OFFSET: 0
; COMPUTE_PGM_RSRC3_GFX90A:TG_SPLIT: 0
	.section	.text._ZN7rocprim17ROCPRIM_400000_NS6detail17trampoline_kernelINS0_14default_configENS1_35adjacent_difference_config_selectorILb1ElEEZNS1_24adjacent_difference_implIS3_Lb1ELb0EPlS7_ZN2at6native12_GLOBAL__N_124unique_dim_cuda_templateIhEESt5tupleIJNS8_6TensorESD_SD_EERKSD_lbbbEUlllE1_EE10hipError_tPvRmT2_T3_mT4_P12ihipStream_tbEUlT_E_NS1_11comp_targetILNS1_3genE8ELNS1_11target_archE1030ELNS1_3gpuE2ELNS1_3repE0EEENS1_30default_config_static_selectorELNS0_4arch9wavefront6targetE1EEEvT1_,"axG",@progbits,_ZN7rocprim17ROCPRIM_400000_NS6detail17trampoline_kernelINS0_14default_configENS1_35adjacent_difference_config_selectorILb1ElEEZNS1_24adjacent_difference_implIS3_Lb1ELb0EPlS7_ZN2at6native12_GLOBAL__N_124unique_dim_cuda_templateIhEESt5tupleIJNS8_6TensorESD_SD_EERKSD_lbbbEUlllE1_EE10hipError_tPvRmT2_T3_mT4_P12ihipStream_tbEUlT_E_NS1_11comp_targetILNS1_3genE8ELNS1_11target_archE1030ELNS1_3gpuE2ELNS1_3repE0EEENS1_30default_config_static_selectorELNS0_4arch9wavefront6targetE1EEEvT1_,comdat
	.globl	_ZN7rocprim17ROCPRIM_400000_NS6detail17trampoline_kernelINS0_14default_configENS1_35adjacent_difference_config_selectorILb1ElEEZNS1_24adjacent_difference_implIS3_Lb1ELb0EPlS7_ZN2at6native12_GLOBAL__N_124unique_dim_cuda_templateIhEESt5tupleIJNS8_6TensorESD_SD_EERKSD_lbbbEUlllE1_EE10hipError_tPvRmT2_T3_mT4_P12ihipStream_tbEUlT_E_NS1_11comp_targetILNS1_3genE8ELNS1_11target_archE1030ELNS1_3gpuE2ELNS1_3repE0EEENS1_30default_config_static_selectorELNS0_4arch9wavefront6targetE1EEEvT1_ ; -- Begin function _ZN7rocprim17ROCPRIM_400000_NS6detail17trampoline_kernelINS0_14default_configENS1_35adjacent_difference_config_selectorILb1ElEEZNS1_24adjacent_difference_implIS3_Lb1ELb0EPlS7_ZN2at6native12_GLOBAL__N_124unique_dim_cuda_templateIhEESt5tupleIJNS8_6TensorESD_SD_EERKSD_lbbbEUlllE1_EE10hipError_tPvRmT2_T3_mT4_P12ihipStream_tbEUlT_E_NS1_11comp_targetILNS1_3genE8ELNS1_11target_archE1030ELNS1_3gpuE2ELNS1_3repE0EEENS1_30default_config_static_selectorELNS0_4arch9wavefront6targetE1EEEvT1_
	.p2align	8
	.type	_ZN7rocprim17ROCPRIM_400000_NS6detail17trampoline_kernelINS0_14default_configENS1_35adjacent_difference_config_selectorILb1ElEEZNS1_24adjacent_difference_implIS3_Lb1ELb0EPlS7_ZN2at6native12_GLOBAL__N_124unique_dim_cuda_templateIhEESt5tupleIJNS8_6TensorESD_SD_EERKSD_lbbbEUlllE1_EE10hipError_tPvRmT2_T3_mT4_P12ihipStream_tbEUlT_E_NS1_11comp_targetILNS1_3genE8ELNS1_11target_archE1030ELNS1_3gpuE2ELNS1_3repE0EEENS1_30default_config_static_selectorELNS0_4arch9wavefront6targetE1EEEvT1_,@function
_ZN7rocprim17ROCPRIM_400000_NS6detail17trampoline_kernelINS0_14default_configENS1_35adjacent_difference_config_selectorILb1ElEEZNS1_24adjacent_difference_implIS3_Lb1ELb0EPlS7_ZN2at6native12_GLOBAL__N_124unique_dim_cuda_templateIhEESt5tupleIJNS8_6TensorESD_SD_EERKSD_lbbbEUlllE1_EE10hipError_tPvRmT2_T3_mT4_P12ihipStream_tbEUlT_E_NS1_11comp_targetILNS1_3genE8ELNS1_11target_archE1030ELNS1_3gpuE2ELNS1_3repE0EEENS1_30default_config_static_selectorELNS0_4arch9wavefront6targetE1EEEvT1_: ; @_ZN7rocprim17ROCPRIM_400000_NS6detail17trampoline_kernelINS0_14default_configENS1_35adjacent_difference_config_selectorILb1ElEEZNS1_24adjacent_difference_implIS3_Lb1ELb0EPlS7_ZN2at6native12_GLOBAL__N_124unique_dim_cuda_templateIhEESt5tupleIJNS8_6TensorESD_SD_EERKSD_lbbbEUlllE1_EE10hipError_tPvRmT2_T3_mT4_P12ihipStream_tbEUlT_E_NS1_11comp_targetILNS1_3genE8ELNS1_11target_archE1030ELNS1_3gpuE2ELNS1_3repE0EEENS1_30default_config_static_selectorELNS0_4arch9wavefront6targetE1EEEvT1_
; %bb.0:
	.section	.rodata,"a",@progbits
	.p2align	6, 0x0
	.amdhsa_kernel _ZN7rocprim17ROCPRIM_400000_NS6detail17trampoline_kernelINS0_14default_configENS1_35adjacent_difference_config_selectorILb1ElEEZNS1_24adjacent_difference_implIS3_Lb1ELb0EPlS7_ZN2at6native12_GLOBAL__N_124unique_dim_cuda_templateIhEESt5tupleIJNS8_6TensorESD_SD_EERKSD_lbbbEUlllE1_EE10hipError_tPvRmT2_T3_mT4_P12ihipStream_tbEUlT_E_NS1_11comp_targetILNS1_3genE8ELNS1_11target_archE1030ELNS1_3gpuE2ELNS1_3repE0EEENS1_30default_config_static_selectorELNS0_4arch9wavefront6targetE1EEEvT1_
		.amdhsa_group_segment_fixed_size 0
		.amdhsa_private_segment_fixed_size 0
		.amdhsa_kernarg_size 64
		.amdhsa_user_sgpr_count 6
		.amdhsa_user_sgpr_private_segment_buffer 1
		.amdhsa_user_sgpr_dispatch_ptr 0
		.amdhsa_user_sgpr_queue_ptr 0
		.amdhsa_user_sgpr_kernarg_segment_ptr 1
		.amdhsa_user_sgpr_dispatch_id 0
		.amdhsa_user_sgpr_flat_scratch_init 0
		.amdhsa_user_sgpr_kernarg_preload_length 0
		.amdhsa_user_sgpr_kernarg_preload_offset 0
		.amdhsa_user_sgpr_private_segment_size 0
		.amdhsa_uses_dynamic_stack 0
		.amdhsa_system_sgpr_private_segment_wavefront_offset 0
		.amdhsa_system_sgpr_workgroup_id_x 1
		.amdhsa_system_sgpr_workgroup_id_y 0
		.amdhsa_system_sgpr_workgroup_id_z 0
		.amdhsa_system_sgpr_workgroup_info 0
		.amdhsa_system_vgpr_workitem_id 0
		.amdhsa_next_free_vgpr 1
		.amdhsa_next_free_sgpr 0
		.amdhsa_accum_offset 4
		.amdhsa_reserve_vcc 0
		.amdhsa_reserve_flat_scratch 0
		.amdhsa_float_round_mode_32 0
		.amdhsa_float_round_mode_16_64 0
		.amdhsa_float_denorm_mode_32 3
		.amdhsa_float_denorm_mode_16_64 3
		.amdhsa_dx10_clamp 1
		.amdhsa_ieee_mode 1
		.amdhsa_fp16_overflow 0
		.amdhsa_tg_split 0
		.amdhsa_exception_fp_ieee_invalid_op 0
		.amdhsa_exception_fp_denorm_src 0
		.amdhsa_exception_fp_ieee_div_zero 0
		.amdhsa_exception_fp_ieee_overflow 0
		.amdhsa_exception_fp_ieee_underflow 0
		.amdhsa_exception_fp_ieee_inexact 0
		.amdhsa_exception_int_div_zero 0
	.end_amdhsa_kernel
	.section	.text._ZN7rocprim17ROCPRIM_400000_NS6detail17trampoline_kernelINS0_14default_configENS1_35adjacent_difference_config_selectorILb1ElEEZNS1_24adjacent_difference_implIS3_Lb1ELb0EPlS7_ZN2at6native12_GLOBAL__N_124unique_dim_cuda_templateIhEESt5tupleIJNS8_6TensorESD_SD_EERKSD_lbbbEUlllE1_EE10hipError_tPvRmT2_T3_mT4_P12ihipStream_tbEUlT_E_NS1_11comp_targetILNS1_3genE8ELNS1_11target_archE1030ELNS1_3gpuE2ELNS1_3repE0EEENS1_30default_config_static_selectorELNS0_4arch9wavefront6targetE1EEEvT1_,"axG",@progbits,_ZN7rocprim17ROCPRIM_400000_NS6detail17trampoline_kernelINS0_14default_configENS1_35adjacent_difference_config_selectorILb1ElEEZNS1_24adjacent_difference_implIS3_Lb1ELb0EPlS7_ZN2at6native12_GLOBAL__N_124unique_dim_cuda_templateIhEESt5tupleIJNS8_6TensorESD_SD_EERKSD_lbbbEUlllE1_EE10hipError_tPvRmT2_T3_mT4_P12ihipStream_tbEUlT_E_NS1_11comp_targetILNS1_3genE8ELNS1_11target_archE1030ELNS1_3gpuE2ELNS1_3repE0EEENS1_30default_config_static_selectorELNS0_4arch9wavefront6targetE1EEEvT1_,comdat
.Lfunc_end82:
	.size	_ZN7rocprim17ROCPRIM_400000_NS6detail17trampoline_kernelINS0_14default_configENS1_35adjacent_difference_config_selectorILb1ElEEZNS1_24adjacent_difference_implIS3_Lb1ELb0EPlS7_ZN2at6native12_GLOBAL__N_124unique_dim_cuda_templateIhEESt5tupleIJNS8_6TensorESD_SD_EERKSD_lbbbEUlllE1_EE10hipError_tPvRmT2_T3_mT4_P12ihipStream_tbEUlT_E_NS1_11comp_targetILNS1_3genE8ELNS1_11target_archE1030ELNS1_3gpuE2ELNS1_3repE0EEENS1_30default_config_static_selectorELNS0_4arch9wavefront6targetE1EEEvT1_, .Lfunc_end82-_ZN7rocprim17ROCPRIM_400000_NS6detail17trampoline_kernelINS0_14default_configENS1_35adjacent_difference_config_selectorILb1ElEEZNS1_24adjacent_difference_implIS3_Lb1ELb0EPlS7_ZN2at6native12_GLOBAL__N_124unique_dim_cuda_templateIhEESt5tupleIJNS8_6TensorESD_SD_EERKSD_lbbbEUlllE1_EE10hipError_tPvRmT2_T3_mT4_P12ihipStream_tbEUlT_E_NS1_11comp_targetILNS1_3genE8ELNS1_11target_archE1030ELNS1_3gpuE2ELNS1_3repE0EEENS1_30default_config_static_selectorELNS0_4arch9wavefront6targetE1EEEvT1_
                                        ; -- End function
	.section	.AMDGPU.csdata,"",@progbits
; Kernel info:
; codeLenInByte = 0
; NumSgprs: 4
; NumVgprs: 0
; NumAgprs: 0
; TotalNumVgprs: 0
; ScratchSize: 0
; MemoryBound: 0
; FloatMode: 240
; IeeeMode: 1
; LDSByteSize: 0 bytes/workgroup (compile time only)
; SGPRBlocks: 0
; VGPRBlocks: 0
; NumSGPRsForWavesPerEU: 4
; NumVGPRsForWavesPerEU: 1
; AccumOffset: 4
; Occupancy: 8
; WaveLimiterHint : 0
; COMPUTE_PGM_RSRC2:SCRATCH_EN: 0
; COMPUTE_PGM_RSRC2:USER_SGPR: 6
; COMPUTE_PGM_RSRC2:TRAP_HANDLER: 0
; COMPUTE_PGM_RSRC2:TGID_X_EN: 1
; COMPUTE_PGM_RSRC2:TGID_Y_EN: 0
; COMPUTE_PGM_RSRC2:TGID_Z_EN: 0
; COMPUTE_PGM_RSRC2:TIDIG_COMP_CNT: 0
; COMPUTE_PGM_RSRC3_GFX90A:ACCUM_OFFSET: 0
; COMPUTE_PGM_RSRC3_GFX90A:TG_SPLIT: 0
	.section	.text._ZN7rocprim17ROCPRIM_400000_NS6detail31init_lookback_scan_state_kernelINS1_19lookback_scan_stateIlLb0ELb1EEENS1_16block_id_wrapperIjLb0EEEEEvT_jT0_jPNS7_10value_typeE,"axG",@progbits,_ZN7rocprim17ROCPRIM_400000_NS6detail31init_lookback_scan_state_kernelINS1_19lookback_scan_stateIlLb0ELb1EEENS1_16block_id_wrapperIjLb0EEEEEvT_jT0_jPNS7_10value_typeE,comdat
	.protected	_ZN7rocprim17ROCPRIM_400000_NS6detail31init_lookback_scan_state_kernelINS1_19lookback_scan_stateIlLb0ELb1EEENS1_16block_id_wrapperIjLb0EEEEEvT_jT0_jPNS7_10value_typeE ; -- Begin function _ZN7rocprim17ROCPRIM_400000_NS6detail31init_lookback_scan_state_kernelINS1_19lookback_scan_stateIlLb0ELb1EEENS1_16block_id_wrapperIjLb0EEEEEvT_jT0_jPNS7_10value_typeE
	.globl	_ZN7rocprim17ROCPRIM_400000_NS6detail31init_lookback_scan_state_kernelINS1_19lookback_scan_stateIlLb0ELb1EEENS1_16block_id_wrapperIjLb0EEEEEvT_jT0_jPNS7_10value_typeE
	.p2align	8
	.type	_ZN7rocprim17ROCPRIM_400000_NS6detail31init_lookback_scan_state_kernelINS1_19lookback_scan_stateIlLb0ELb1EEENS1_16block_id_wrapperIjLb0EEEEEvT_jT0_jPNS7_10value_typeE,@function
_ZN7rocprim17ROCPRIM_400000_NS6detail31init_lookback_scan_state_kernelINS1_19lookback_scan_stateIlLb0ELb1EEENS1_16block_id_wrapperIjLb0EEEEEvT_jT0_jPNS7_10value_typeE: ; @_ZN7rocprim17ROCPRIM_400000_NS6detail31init_lookback_scan_state_kernelINS1_19lookback_scan_stateIlLb0ELb1EEENS1_16block_id_wrapperIjLb0EEEEEvT_jT0_jPNS7_10value_typeE
; %bb.0:
	s_load_dword s7, s[4:5], 0x2c
	s_load_dwordx2 s[2:3], s[4:5], 0x18
	s_load_dwordx2 s[0:1], s[4:5], 0x0
	s_load_dword s12, s[4:5], 0x8
	s_waitcnt lgkmcnt(0)
	s_and_b32 s7, s7, 0xffff
	s_mul_i32 s6, s6, s7
	s_cmp_eq_u64 s[2:3], 0
	v_add_u32_e32 v0, s6, v0
	s_cbranch_scc1 .LBB83_8
; %bb.1:
	s_load_dword s6, s[4:5], 0x10
	s_mov_b32 s7, 0
	s_waitcnt lgkmcnt(0)
	s_cmp_lt_u32 s6, s12
	s_cselect_b32 s4, s6, 0
	v_cmp_eq_u32_e32 vcc, s4, v0
	s_and_saveexec_b64 s[4:5], vcc
	s_cbranch_execz .LBB83_7
; %bb.2:
	s_add_i32 s6, s6, 64
	s_lshl_b64 s[6:7], s[6:7], 4
	s_add_u32 s10, s0, s6
	s_addc_u32 s11, s1, s7
	v_pk_mov_b32 v[2:3], s[10:11], s[10:11] op_sel:[0,1]
	;;#ASMSTART
	global_load_dwordx4 v[2:5], v[2:3] off glc	
s_waitcnt vmcnt(0)
	;;#ASMEND
	v_mov_b32_e32 v7, 0
	v_and_b32_e32 v6, 0xff, v4
	s_mov_b64 s[8:9], 0
	v_cmp_eq_u64_e32 vcc, 0, v[6:7]
	s_and_saveexec_b64 s[6:7], vcc
	s_cbranch_execz .LBB83_6
; %bb.3:
	v_pk_mov_b32 v[8:9], s[10:11], s[10:11] op_sel:[0,1]
.LBB83_4:                               ; =>This Inner Loop Header: Depth=1
	;;#ASMSTART
	global_load_dwordx4 v[2:5], v[8:9] off glc	
s_waitcnt vmcnt(0)
	;;#ASMEND
	v_and_b32_e32 v6, 0xff, v4
	v_cmp_ne_u64_e32 vcc, 0, v[6:7]
	s_or_b64 s[8:9], vcc, s[8:9]
	s_andn2_b64 exec, exec, s[8:9]
	s_cbranch_execnz .LBB83_4
; %bb.5:
	s_or_b64 exec, exec, s[8:9]
.LBB83_6:
	s_or_b64 exec, exec, s[6:7]
	v_mov_b32_e32 v1, 0
	global_store_dwordx2 v1, v[2:3], s[2:3]
.LBB83_7:
	s_or_b64 exec, exec, s[4:5]
.LBB83_8:
	v_cmp_gt_u32_e32 vcc, s12, v0
	s_and_saveexec_b64 s[2:3], vcc
	s_cbranch_execnz .LBB83_11
; %bb.9:
	s_or_b64 exec, exec, s[2:3]
	v_cmp_gt_u32_e32 vcc, 64, v0
	s_and_saveexec_b64 s[2:3], vcc
	s_cbranch_execnz .LBB83_12
.LBB83_10:
	s_endpgm
.LBB83_11:
	v_add_u32_e32 v2, 64, v0
	v_mov_b32_e32 v3, 0
	v_lshlrev_b64 v[4:5], 4, v[2:3]
	v_mov_b32_e32 v1, s1
	v_add_co_u32_e32 v6, vcc, s0, v4
	v_addc_co_u32_e32 v7, vcc, v1, v5, vcc
	v_mov_b32_e32 v2, v3
	v_mov_b32_e32 v4, v3
	;; [unrolled: 1-line block ×3, first 2 shown]
	global_store_dwordx4 v[6:7], v[2:5], off
	s_or_b64 exec, exec, s[2:3]
	v_cmp_gt_u32_e32 vcc, 64, v0
	s_and_saveexec_b64 s[2:3], vcc
	s_cbranch_execz .LBB83_10
.LBB83_12:
	v_mov_b32_e32 v1, 0
	v_lshlrev_b64 v[2:3], 4, v[0:1]
	v_mov_b32_e32 v0, s1
	v_add_co_u32_e32 v4, vcc, s0, v2
	v_addc_co_u32_e32 v5, vcc, v0, v3, vcc
	v_mov_b32_e32 v2, 0xff
	v_mov_b32_e32 v0, v1
	;; [unrolled: 1-line block ×3, first 2 shown]
	global_store_dwordx4 v[4:5], v[0:3], off
	s_endpgm
	.section	.rodata,"a",@progbits
	.p2align	6, 0x0
	.amdhsa_kernel _ZN7rocprim17ROCPRIM_400000_NS6detail31init_lookback_scan_state_kernelINS1_19lookback_scan_stateIlLb0ELb1EEENS1_16block_id_wrapperIjLb0EEEEEvT_jT0_jPNS7_10value_typeE
		.amdhsa_group_segment_fixed_size 0
		.amdhsa_private_segment_fixed_size 0
		.amdhsa_kernarg_size 288
		.amdhsa_user_sgpr_count 6
		.amdhsa_user_sgpr_private_segment_buffer 1
		.amdhsa_user_sgpr_dispatch_ptr 0
		.amdhsa_user_sgpr_queue_ptr 0
		.amdhsa_user_sgpr_kernarg_segment_ptr 1
		.amdhsa_user_sgpr_dispatch_id 0
		.amdhsa_user_sgpr_flat_scratch_init 0
		.amdhsa_user_sgpr_kernarg_preload_length 0
		.amdhsa_user_sgpr_kernarg_preload_offset 0
		.amdhsa_user_sgpr_private_segment_size 0
		.amdhsa_uses_dynamic_stack 0
		.amdhsa_system_sgpr_private_segment_wavefront_offset 0
		.amdhsa_system_sgpr_workgroup_id_x 1
		.amdhsa_system_sgpr_workgroup_id_y 0
		.amdhsa_system_sgpr_workgroup_id_z 0
		.amdhsa_system_sgpr_workgroup_info 0
		.amdhsa_system_vgpr_workitem_id 0
		.amdhsa_next_free_vgpr 10
		.amdhsa_next_free_sgpr 13
		.amdhsa_accum_offset 12
		.amdhsa_reserve_vcc 1
		.amdhsa_reserve_flat_scratch 0
		.amdhsa_float_round_mode_32 0
		.amdhsa_float_round_mode_16_64 0
		.amdhsa_float_denorm_mode_32 3
		.amdhsa_float_denorm_mode_16_64 3
		.amdhsa_dx10_clamp 1
		.amdhsa_ieee_mode 1
		.amdhsa_fp16_overflow 0
		.amdhsa_tg_split 0
		.amdhsa_exception_fp_ieee_invalid_op 0
		.amdhsa_exception_fp_denorm_src 0
		.amdhsa_exception_fp_ieee_div_zero 0
		.amdhsa_exception_fp_ieee_overflow 0
		.amdhsa_exception_fp_ieee_underflow 0
		.amdhsa_exception_fp_ieee_inexact 0
		.amdhsa_exception_int_div_zero 0
	.end_amdhsa_kernel
	.section	.text._ZN7rocprim17ROCPRIM_400000_NS6detail31init_lookback_scan_state_kernelINS1_19lookback_scan_stateIlLb0ELb1EEENS1_16block_id_wrapperIjLb0EEEEEvT_jT0_jPNS7_10value_typeE,"axG",@progbits,_ZN7rocprim17ROCPRIM_400000_NS6detail31init_lookback_scan_state_kernelINS1_19lookback_scan_stateIlLb0ELb1EEENS1_16block_id_wrapperIjLb0EEEEEvT_jT0_jPNS7_10value_typeE,comdat
.Lfunc_end83:
	.size	_ZN7rocprim17ROCPRIM_400000_NS6detail31init_lookback_scan_state_kernelINS1_19lookback_scan_stateIlLb0ELb1EEENS1_16block_id_wrapperIjLb0EEEEEvT_jT0_jPNS7_10value_typeE, .Lfunc_end83-_ZN7rocprim17ROCPRIM_400000_NS6detail31init_lookback_scan_state_kernelINS1_19lookback_scan_stateIlLb0ELb1EEENS1_16block_id_wrapperIjLb0EEEEEvT_jT0_jPNS7_10value_typeE
                                        ; -- End function
	.section	.AMDGPU.csdata,"",@progbits
; Kernel info:
; codeLenInByte = 384
; NumSgprs: 17
; NumVgprs: 10
; NumAgprs: 0
; TotalNumVgprs: 10
; ScratchSize: 0
; MemoryBound: 0
; FloatMode: 240
; IeeeMode: 1
; LDSByteSize: 0 bytes/workgroup (compile time only)
; SGPRBlocks: 2
; VGPRBlocks: 1
; NumSGPRsForWavesPerEU: 17
; NumVGPRsForWavesPerEU: 10
; AccumOffset: 12
; Occupancy: 8
; WaveLimiterHint : 0
; COMPUTE_PGM_RSRC2:SCRATCH_EN: 0
; COMPUTE_PGM_RSRC2:USER_SGPR: 6
; COMPUTE_PGM_RSRC2:TRAP_HANDLER: 0
; COMPUTE_PGM_RSRC2:TGID_X_EN: 1
; COMPUTE_PGM_RSRC2:TGID_Y_EN: 0
; COMPUTE_PGM_RSRC2:TGID_Z_EN: 0
; COMPUTE_PGM_RSRC2:TIDIG_COMP_CNT: 0
; COMPUTE_PGM_RSRC3_GFX90A:ACCUM_OFFSET: 2
; COMPUTE_PGM_RSRC3_GFX90A:TG_SPLIT: 0
	.section	.text._ZN7rocprim17ROCPRIM_400000_NS6detail17trampoline_kernelINS0_14default_configENS1_20scan_config_selectorIlEEZZNS1_9scan_implILNS1_25lookback_scan_determinismE0ELb0ELb0ES3_PlS8_lN6thrust23THRUST_200600_302600_NS4plusIvEElEEDaPvRmT3_T4_T5_mT6_P12ihipStream_tbENKUlT_T0_E_clISt17integral_constantIbLb0EESQ_EEDaSL_SM_EUlSL_E_NS1_11comp_targetILNS1_3genE0ELNS1_11target_archE4294967295ELNS1_3gpuE0ELNS1_3repE0EEENS1_30default_config_static_selectorELNS0_4arch9wavefront6targetE1EEEvT1_,"axG",@progbits,_ZN7rocprim17ROCPRIM_400000_NS6detail17trampoline_kernelINS0_14default_configENS1_20scan_config_selectorIlEEZZNS1_9scan_implILNS1_25lookback_scan_determinismE0ELb0ELb0ES3_PlS8_lN6thrust23THRUST_200600_302600_NS4plusIvEElEEDaPvRmT3_T4_T5_mT6_P12ihipStream_tbENKUlT_T0_E_clISt17integral_constantIbLb0EESQ_EEDaSL_SM_EUlSL_E_NS1_11comp_targetILNS1_3genE0ELNS1_11target_archE4294967295ELNS1_3gpuE0ELNS1_3repE0EEENS1_30default_config_static_selectorELNS0_4arch9wavefront6targetE1EEEvT1_,comdat
	.protected	_ZN7rocprim17ROCPRIM_400000_NS6detail17trampoline_kernelINS0_14default_configENS1_20scan_config_selectorIlEEZZNS1_9scan_implILNS1_25lookback_scan_determinismE0ELb0ELb0ES3_PlS8_lN6thrust23THRUST_200600_302600_NS4plusIvEElEEDaPvRmT3_T4_T5_mT6_P12ihipStream_tbENKUlT_T0_E_clISt17integral_constantIbLb0EESQ_EEDaSL_SM_EUlSL_E_NS1_11comp_targetILNS1_3genE0ELNS1_11target_archE4294967295ELNS1_3gpuE0ELNS1_3repE0EEENS1_30default_config_static_selectorELNS0_4arch9wavefront6targetE1EEEvT1_ ; -- Begin function _ZN7rocprim17ROCPRIM_400000_NS6detail17trampoline_kernelINS0_14default_configENS1_20scan_config_selectorIlEEZZNS1_9scan_implILNS1_25lookback_scan_determinismE0ELb0ELb0ES3_PlS8_lN6thrust23THRUST_200600_302600_NS4plusIvEElEEDaPvRmT3_T4_T5_mT6_P12ihipStream_tbENKUlT_T0_E_clISt17integral_constantIbLb0EESQ_EEDaSL_SM_EUlSL_E_NS1_11comp_targetILNS1_3genE0ELNS1_11target_archE4294967295ELNS1_3gpuE0ELNS1_3repE0EEENS1_30default_config_static_selectorELNS0_4arch9wavefront6targetE1EEEvT1_
	.globl	_ZN7rocprim17ROCPRIM_400000_NS6detail17trampoline_kernelINS0_14default_configENS1_20scan_config_selectorIlEEZZNS1_9scan_implILNS1_25lookback_scan_determinismE0ELb0ELb0ES3_PlS8_lN6thrust23THRUST_200600_302600_NS4plusIvEElEEDaPvRmT3_T4_T5_mT6_P12ihipStream_tbENKUlT_T0_E_clISt17integral_constantIbLb0EESQ_EEDaSL_SM_EUlSL_E_NS1_11comp_targetILNS1_3genE0ELNS1_11target_archE4294967295ELNS1_3gpuE0ELNS1_3repE0EEENS1_30default_config_static_selectorELNS0_4arch9wavefront6targetE1EEEvT1_
	.p2align	8
	.type	_ZN7rocprim17ROCPRIM_400000_NS6detail17trampoline_kernelINS0_14default_configENS1_20scan_config_selectorIlEEZZNS1_9scan_implILNS1_25lookback_scan_determinismE0ELb0ELb0ES3_PlS8_lN6thrust23THRUST_200600_302600_NS4plusIvEElEEDaPvRmT3_T4_T5_mT6_P12ihipStream_tbENKUlT_T0_E_clISt17integral_constantIbLb0EESQ_EEDaSL_SM_EUlSL_E_NS1_11comp_targetILNS1_3genE0ELNS1_11target_archE4294967295ELNS1_3gpuE0ELNS1_3repE0EEENS1_30default_config_static_selectorELNS0_4arch9wavefront6targetE1EEEvT1_,@function
_ZN7rocprim17ROCPRIM_400000_NS6detail17trampoline_kernelINS0_14default_configENS1_20scan_config_selectorIlEEZZNS1_9scan_implILNS1_25lookback_scan_determinismE0ELb0ELb0ES3_PlS8_lN6thrust23THRUST_200600_302600_NS4plusIvEElEEDaPvRmT3_T4_T5_mT6_P12ihipStream_tbENKUlT_T0_E_clISt17integral_constantIbLb0EESQ_EEDaSL_SM_EUlSL_E_NS1_11comp_targetILNS1_3genE0ELNS1_11target_archE4294967295ELNS1_3gpuE0ELNS1_3repE0EEENS1_30default_config_static_selectorELNS0_4arch9wavefront6targetE1EEEvT1_: ; @_ZN7rocprim17ROCPRIM_400000_NS6detail17trampoline_kernelINS0_14default_configENS1_20scan_config_selectorIlEEZZNS1_9scan_implILNS1_25lookback_scan_determinismE0ELb0ELb0ES3_PlS8_lN6thrust23THRUST_200600_302600_NS4plusIvEElEEDaPvRmT3_T4_T5_mT6_P12ihipStream_tbENKUlT_T0_E_clISt17integral_constantIbLb0EESQ_EEDaSL_SM_EUlSL_E_NS1_11comp_targetILNS1_3genE0ELNS1_11target_archE4294967295ELNS1_3gpuE0ELNS1_3repE0EEENS1_30default_config_static_selectorELNS0_4arch9wavefront6targetE1EEEvT1_
; %bb.0:
	.section	.rodata,"a",@progbits
	.p2align	6, 0x0
	.amdhsa_kernel _ZN7rocprim17ROCPRIM_400000_NS6detail17trampoline_kernelINS0_14default_configENS1_20scan_config_selectorIlEEZZNS1_9scan_implILNS1_25lookback_scan_determinismE0ELb0ELb0ES3_PlS8_lN6thrust23THRUST_200600_302600_NS4plusIvEElEEDaPvRmT3_T4_T5_mT6_P12ihipStream_tbENKUlT_T0_E_clISt17integral_constantIbLb0EESQ_EEDaSL_SM_EUlSL_E_NS1_11comp_targetILNS1_3genE0ELNS1_11target_archE4294967295ELNS1_3gpuE0ELNS1_3repE0EEENS1_30default_config_static_selectorELNS0_4arch9wavefront6targetE1EEEvT1_
		.amdhsa_group_segment_fixed_size 0
		.amdhsa_private_segment_fixed_size 0
		.amdhsa_kernarg_size 104
		.amdhsa_user_sgpr_count 6
		.amdhsa_user_sgpr_private_segment_buffer 1
		.amdhsa_user_sgpr_dispatch_ptr 0
		.amdhsa_user_sgpr_queue_ptr 0
		.amdhsa_user_sgpr_kernarg_segment_ptr 1
		.amdhsa_user_sgpr_dispatch_id 0
		.amdhsa_user_sgpr_flat_scratch_init 0
		.amdhsa_user_sgpr_kernarg_preload_length 0
		.amdhsa_user_sgpr_kernarg_preload_offset 0
		.amdhsa_user_sgpr_private_segment_size 0
		.amdhsa_uses_dynamic_stack 0
		.amdhsa_system_sgpr_private_segment_wavefront_offset 0
		.amdhsa_system_sgpr_workgroup_id_x 1
		.amdhsa_system_sgpr_workgroup_id_y 0
		.amdhsa_system_sgpr_workgroup_id_z 0
		.amdhsa_system_sgpr_workgroup_info 0
		.amdhsa_system_vgpr_workitem_id 0
		.amdhsa_next_free_vgpr 1
		.amdhsa_next_free_sgpr 0
		.amdhsa_accum_offset 4
		.amdhsa_reserve_vcc 0
		.amdhsa_reserve_flat_scratch 0
		.amdhsa_float_round_mode_32 0
		.amdhsa_float_round_mode_16_64 0
		.amdhsa_float_denorm_mode_32 3
		.amdhsa_float_denorm_mode_16_64 3
		.amdhsa_dx10_clamp 1
		.amdhsa_ieee_mode 1
		.amdhsa_fp16_overflow 0
		.amdhsa_tg_split 0
		.amdhsa_exception_fp_ieee_invalid_op 0
		.amdhsa_exception_fp_denorm_src 0
		.amdhsa_exception_fp_ieee_div_zero 0
		.amdhsa_exception_fp_ieee_overflow 0
		.amdhsa_exception_fp_ieee_underflow 0
		.amdhsa_exception_fp_ieee_inexact 0
		.amdhsa_exception_int_div_zero 0
	.end_amdhsa_kernel
	.section	.text._ZN7rocprim17ROCPRIM_400000_NS6detail17trampoline_kernelINS0_14default_configENS1_20scan_config_selectorIlEEZZNS1_9scan_implILNS1_25lookback_scan_determinismE0ELb0ELb0ES3_PlS8_lN6thrust23THRUST_200600_302600_NS4plusIvEElEEDaPvRmT3_T4_T5_mT6_P12ihipStream_tbENKUlT_T0_E_clISt17integral_constantIbLb0EESQ_EEDaSL_SM_EUlSL_E_NS1_11comp_targetILNS1_3genE0ELNS1_11target_archE4294967295ELNS1_3gpuE0ELNS1_3repE0EEENS1_30default_config_static_selectorELNS0_4arch9wavefront6targetE1EEEvT1_,"axG",@progbits,_ZN7rocprim17ROCPRIM_400000_NS6detail17trampoline_kernelINS0_14default_configENS1_20scan_config_selectorIlEEZZNS1_9scan_implILNS1_25lookback_scan_determinismE0ELb0ELb0ES3_PlS8_lN6thrust23THRUST_200600_302600_NS4plusIvEElEEDaPvRmT3_T4_T5_mT6_P12ihipStream_tbENKUlT_T0_E_clISt17integral_constantIbLb0EESQ_EEDaSL_SM_EUlSL_E_NS1_11comp_targetILNS1_3genE0ELNS1_11target_archE4294967295ELNS1_3gpuE0ELNS1_3repE0EEENS1_30default_config_static_selectorELNS0_4arch9wavefront6targetE1EEEvT1_,comdat
.Lfunc_end84:
	.size	_ZN7rocprim17ROCPRIM_400000_NS6detail17trampoline_kernelINS0_14default_configENS1_20scan_config_selectorIlEEZZNS1_9scan_implILNS1_25lookback_scan_determinismE0ELb0ELb0ES3_PlS8_lN6thrust23THRUST_200600_302600_NS4plusIvEElEEDaPvRmT3_T4_T5_mT6_P12ihipStream_tbENKUlT_T0_E_clISt17integral_constantIbLb0EESQ_EEDaSL_SM_EUlSL_E_NS1_11comp_targetILNS1_3genE0ELNS1_11target_archE4294967295ELNS1_3gpuE0ELNS1_3repE0EEENS1_30default_config_static_selectorELNS0_4arch9wavefront6targetE1EEEvT1_, .Lfunc_end84-_ZN7rocprim17ROCPRIM_400000_NS6detail17trampoline_kernelINS0_14default_configENS1_20scan_config_selectorIlEEZZNS1_9scan_implILNS1_25lookback_scan_determinismE0ELb0ELb0ES3_PlS8_lN6thrust23THRUST_200600_302600_NS4plusIvEElEEDaPvRmT3_T4_T5_mT6_P12ihipStream_tbENKUlT_T0_E_clISt17integral_constantIbLb0EESQ_EEDaSL_SM_EUlSL_E_NS1_11comp_targetILNS1_3genE0ELNS1_11target_archE4294967295ELNS1_3gpuE0ELNS1_3repE0EEENS1_30default_config_static_selectorELNS0_4arch9wavefront6targetE1EEEvT1_
                                        ; -- End function
	.section	.AMDGPU.csdata,"",@progbits
; Kernel info:
; codeLenInByte = 0
; NumSgprs: 4
; NumVgprs: 0
; NumAgprs: 0
; TotalNumVgprs: 0
; ScratchSize: 0
; MemoryBound: 0
; FloatMode: 240
; IeeeMode: 1
; LDSByteSize: 0 bytes/workgroup (compile time only)
; SGPRBlocks: 0
; VGPRBlocks: 0
; NumSGPRsForWavesPerEU: 4
; NumVGPRsForWavesPerEU: 1
; AccumOffset: 4
; Occupancy: 8
; WaveLimiterHint : 0
; COMPUTE_PGM_RSRC2:SCRATCH_EN: 0
; COMPUTE_PGM_RSRC2:USER_SGPR: 6
; COMPUTE_PGM_RSRC2:TRAP_HANDLER: 0
; COMPUTE_PGM_RSRC2:TGID_X_EN: 1
; COMPUTE_PGM_RSRC2:TGID_Y_EN: 0
; COMPUTE_PGM_RSRC2:TGID_Z_EN: 0
; COMPUTE_PGM_RSRC2:TIDIG_COMP_CNT: 0
; COMPUTE_PGM_RSRC3_GFX90A:ACCUM_OFFSET: 0
; COMPUTE_PGM_RSRC3_GFX90A:TG_SPLIT: 0
	.section	.text._ZN7rocprim17ROCPRIM_400000_NS6detail17trampoline_kernelINS0_14default_configENS1_20scan_config_selectorIlEEZZNS1_9scan_implILNS1_25lookback_scan_determinismE0ELb0ELb0ES3_PlS8_lN6thrust23THRUST_200600_302600_NS4plusIvEElEEDaPvRmT3_T4_T5_mT6_P12ihipStream_tbENKUlT_T0_E_clISt17integral_constantIbLb0EESQ_EEDaSL_SM_EUlSL_E_NS1_11comp_targetILNS1_3genE5ELNS1_11target_archE942ELNS1_3gpuE9ELNS1_3repE0EEENS1_30default_config_static_selectorELNS0_4arch9wavefront6targetE1EEEvT1_,"axG",@progbits,_ZN7rocprim17ROCPRIM_400000_NS6detail17trampoline_kernelINS0_14default_configENS1_20scan_config_selectorIlEEZZNS1_9scan_implILNS1_25lookback_scan_determinismE0ELb0ELb0ES3_PlS8_lN6thrust23THRUST_200600_302600_NS4plusIvEElEEDaPvRmT3_T4_T5_mT6_P12ihipStream_tbENKUlT_T0_E_clISt17integral_constantIbLb0EESQ_EEDaSL_SM_EUlSL_E_NS1_11comp_targetILNS1_3genE5ELNS1_11target_archE942ELNS1_3gpuE9ELNS1_3repE0EEENS1_30default_config_static_selectorELNS0_4arch9wavefront6targetE1EEEvT1_,comdat
	.protected	_ZN7rocprim17ROCPRIM_400000_NS6detail17trampoline_kernelINS0_14default_configENS1_20scan_config_selectorIlEEZZNS1_9scan_implILNS1_25lookback_scan_determinismE0ELb0ELb0ES3_PlS8_lN6thrust23THRUST_200600_302600_NS4plusIvEElEEDaPvRmT3_T4_T5_mT6_P12ihipStream_tbENKUlT_T0_E_clISt17integral_constantIbLb0EESQ_EEDaSL_SM_EUlSL_E_NS1_11comp_targetILNS1_3genE5ELNS1_11target_archE942ELNS1_3gpuE9ELNS1_3repE0EEENS1_30default_config_static_selectorELNS0_4arch9wavefront6targetE1EEEvT1_ ; -- Begin function _ZN7rocprim17ROCPRIM_400000_NS6detail17trampoline_kernelINS0_14default_configENS1_20scan_config_selectorIlEEZZNS1_9scan_implILNS1_25lookback_scan_determinismE0ELb0ELb0ES3_PlS8_lN6thrust23THRUST_200600_302600_NS4plusIvEElEEDaPvRmT3_T4_T5_mT6_P12ihipStream_tbENKUlT_T0_E_clISt17integral_constantIbLb0EESQ_EEDaSL_SM_EUlSL_E_NS1_11comp_targetILNS1_3genE5ELNS1_11target_archE942ELNS1_3gpuE9ELNS1_3repE0EEENS1_30default_config_static_selectorELNS0_4arch9wavefront6targetE1EEEvT1_
	.globl	_ZN7rocprim17ROCPRIM_400000_NS6detail17trampoline_kernelINS0_14default_configENS1_20scan_config_selectorIlEEZZNS1_9scan_implILNS1_25lookback_scan_determinismE0ELb0ELb0ES3_PlS8_lN6thrust23THRUST_200600_302600_NS4plusIvEElEEDaPvRmT3_T4_T5_mT6_P12ihipStream_tbENKUlT_T0_E_clISt17integral_constantIbLb0EESQ_EEDaSL_SM_EUlSL_E_NS1_11comp_targetILNS1_3genE5ELNS1_11target_archE942ELNS1_3gpuE9ELNS1_3repE0EEENS1_30default_config_static_selectorELNS0_4arch9wavefront6targetE1EEEvT1_
	.p2align	8
	.type	_ZN7rocprim17ROCPRIM_400000_NS6detail17trampoline_kernelINS0_14default_configENS1_20scan_config_selectorIlEEZZNS1_9scan_implILNS1_25lookback_scan_determinismE0ELb0ELb0ES3_PlS8_lN6thrust23THRUST_200600_302600_NS4plusIvEElEEDaPvRmT3_T4_T5_mT6_P12ihipStream_tbENKUlT_T0_E_clISt17integral_constantIbLb0EESQ_EEDaSL_SM_EUlSL_E_NS1_11comp_targetILNS1_3genE5ELNS1_11target_archE942ELNS1_3gpuE9ELNS1_3repE0EEENS1_30default_config_static_selectorELNS0_4arch9wavefront6targetE1EEEvT1_,@function
_ZN7rocprim17ROCPRIM_400000_NS6detail17trampoline_kernelINS0_14default_configENS1_20scan_config_selectorIlEEZZNS1_9scan_implILNS1_25lookback_scan_determinismE0ELb0ELb0ES3_PlS8_lN6thrust23THRUST_200600_302600_NS4plusIvEElEEDaPvRmT3_T4_T5_mT6_P12ihipStream_tbENKUlT_T0_E_clISt17integral_constantIbLb0EESQ_EEDaSL_SM_EUlSL_E_NS1_11comp_targetILNS1_3genE5ELNS1_11target_archE942ELNS1_3gpuE9ELNS1_3repE0EEENS1_30default_config_static_selectorELNS0_4arch9wavefront6targetE1EEEvT1_: ; @_ZN7rocprim17ROCPRIM_400000_NS6detail17trampoline_kernelINS0_14default_configENS1_20scan_config_selectorIlEEZZNS1_9scan_implILNS1_25lookback_scan_determinismE0ELb0ELb0ES3_PlS8_lN6thrust23THRUST_200600_302600_NS4plusIvEElEEDaPvRmT3_T4_T5_mT6_P12ihipStream_tbENKUlT_T0_E_clISt17integral_constantIbLb0EESQ_EEDaSL_SM_EUlSL_E_NS1_11comp_targetILNS1_3genE5ELNS1_11target_archE942ELNS1_3gpuE9ELNS1_3repE0EEENS1_30default_config_static_selectorELNS0_4arch9wavefront6targetE1EEEvT1_
; %bb.0:
	.section	.rodata,"a",@progbits
	.p2align	6, 0x0
	.amdhsa_kernel _ZN7rocprim17ROCPRIM_400000_NS6detail17trampoline_kernelINS0_14default_configENS1_20scan_config_selectorIlEEZZNS1_9scan_implILNS1_25lookback_scan_determinismE0ELb0ELb0ES3_PlS8_lN6thrust23THRUST_200600_302600_NS4plusIvEElEEDaPvRmT3_T4_T5_mT6_P12ihipStream_tbENKUlT_T0_E_clISt17integral_constantIbLb0EESQ_EEDaSL_SM_EUlSL_E_NS1_11comp_targetILNS1_3genE5ELNS1_11target_archE942ELNS1_3gpuE9ELNS1_3repE0EEENS1_30default_config_static_selectorELNS0_4arch9wavefront6targetE1EEEvT1_
		.amdhsa_group_segment_fixed_size 0
		.amdhsa_private_segment_fixed_size 0
		.amdhsa_kernarg_size 104
		.amdhsa_user_sgpr_count 6
		.amdhsa_user_sgpr_private_segment_buffer 1
		.amdhsa_user_sgpr_dispatch_ptr 0
		.amdhsa_user_sgpr_queue_ptr 0
		.amdhsa_user_sgpr_kernarg_segment_ptr 1
		.amdhsa_user_sgpr_dispatch_id 0
		.amdhsa_user_sgpr_flat_scratch_init 0
		.amdhsa_user_sgpr_kernarg_preload_length 0
		.amdhsa_user_sgpr_kernarg_preload_offset 0
		.amdhsa_user_sgpr_private_segment_size 0
		.amdhsa_uses_dynamic_stack 0
		.amdhsa_system_sgpr_private_segment_wavefront_offset 0
		.amdhsa_system_sgpr_workgroup_id_x 1
		.amdhsa_system_sgpr_workgroup_id_y 0
		.amdhsa_system_sgpr_workgroup_id_z 0
		.amdhsa_system_sgpr_workgroup_info 0
		.amdhsa_system_vgpr_workitem_id 0
		.amdhsa_next_free_vgpr 1
		.amdhsa_next_free_sgpr 0
		.amdhsa_accum_offset 4
		.amdhsa_reserve_vcc 0
		.amdhsa_reserve_flat_scratch 0
		.amdhsa_float_round_mode_32 0
		.amdhsa_float_round_mode_16_64 0
		.amdhsa_float_denorm_mode_32 3
		.amdhsa_float_denorm_mode_16_64 3
		.amdhsa_dx10_clamp 1
		.amdhsa_ieee_mode 1
		.amdhsa_fp16_overflow 0
		.amdhsa_tg_split 0
		.amdhsa_exception_fp_ieee_invalid_op 0
		.amdhsa_exception_fp_denorm_src 0
		.amdhsa_exception_fp_ieee_div_zero 0
		.amdhsa_exception_fp_ieee_overflow 0
		.amdhsa_exception_fp_ieee_underflow 0
		.amdhsa_exception_fp_ieee_inexact 0
		.amdhsa_exception_int_div_zero 0
	.end_amdhsa_kernel
	.section	.text._ZN7rocprim17ROCPRIM_400000_NS6detail17trampoline_kernelINS0_14default_configENS1_20scan_config_selectorIlEEZZNS1_9scan_implILNS1_25lookback_scan_determinismE0ELb0ELb0ES3_PlS8_lN6thrust23THRUST_200600_302600_NS4plusIvEElEEDaPvRmT3_T4_T5_mT6_P12ihipStream_tbENKUlT_T0_E_clISt17integral_constantIbLb0EESQ_EEDaSL_SM_EUlSL_E_NS1_11comp_targetILNS1_3genE5ELNS1_11target_archE942ELNS1_3gpuE9ELNS1_3repE0EEENS1_30default_config_static_selectorELNS0_4arch9wavefront6targetE1EEEvT1_,"axG",@progbits,_ZN7rocprim17ROCPRIM_400000_NS6detail17trampoline_kernelINS0_14default_configENS1_20scan_config_selectorIlEEZZNS1_9scan_implILNS1_25lookback_scan_determinismE0ELb0ELb0ES3_PlS8_lN6thrust23THRUST_200600_302600_NS4plusIvEElEEDaPvRmT3_T4_T5_mT6_P12ihipStream_tbENKUlT_T0_E_clISt17integral_constantIbLb0EESQ_EEDaSL_SM_EUlSL_E_NS1_11comp_targetILNS1_3genE5ELNS1_11target_archE942ELNS1_3gpuE9ELNS1_3repE0EEENS1_30default_config_static_selectorELNS0_4arch9wavefront6targetE1EEEvT1_,comdat
.Lfunc_end85:
	.size	_ZN7rocprim17ROCPRIM_400000_NS6detail17trampoline_kernelINS0_14default_configENS1_20scan_config_selectorIlEEZZNS1_9scan_implILNS1_25lookback_scan_determinismE0ELb0ELb0ES3_PlS8_lN6thrust23THRUST_200600_302600_NS4plusIvEElEEDaPvRmT3_T4_T5_mT6_P12ihipStream_tbENKUlT_T0_E_clISt17integral_constantIbLb0EESQ_EEDaSL_SM_EUlSL_E_NS1_11comp_targetILNS1_3genE5ELNS1_11target_archE942ELNS1_3gpuE9ELNS1_3repE0EEENS1_30default_config_static_selectorELNS0_4arch9wavefront6targetE1EEEvT1_, .Lfunc_end85-_ZN7rocprim17ROCPRIM_400000_NS6detail17trampoline_kernelINS0_14default_configENS1_20scan_config_selectorIlEEZZNS1_9scan_implILNS1_25lookback_scan_determinismE0ELb0ELb0ES3_PlS8_lN6thrust23THRUST_200600_302600_NS4plusIvEElEEDaPvRmT3_T4_T5_mT6_P12ihipStream_tbENKUlT_T0_E_clISt17integral_constantIbLb0EESQ_EEDaSL_SM_EUlSL_E_NS1_11comp_targetILNS1_3genE5ELNS1_11target_archE942ELNS1_3gpuE9ELNS1_3repE0EEENS1_30default_config_static_selectorELNS0_4arch9wavefront6targetE1EEEvT1_
                                        ; -- End function
	.section	.AMDGPU.csdata,"",@progbits
; Kernel info:
; codeLenInByte = 0
; NumSgprs: 4
; NumVgprs: 0
; NumAgprs: 0
; TotalNumVgprs: 0
; ScratchSize: 0
; MemoryBound: 0
; FloatMode: 240
; IeeeMode: 1
; LDSByteSize: 0 bytes/workgroup (compile time only)
; SGPRBlocks: 0
; VGPRBlocks: 0
; NumSGPRsForWavesPerEU: 4
; NumVGPRsForWavesPerEU: 1
; AccumOffset: 4
; Occupancy: 8
; WaveLimiterHint : 0
; COMPUTE_PGM_RSRC2:SCRATCH_EN: 0
; COMPUTE_PGM_RSRC2:USER_SGPR: 6
; COMPUTE_PGM_RSRC2:TRAP_HANDLER: 0
; COMPUTE_PGM_RSRC2:TGID_X_EN: 1
; COMPUTE_PGM_RSRC2:TGID_Y_EN: 0
; COMPUTE_PGM_RSRC2:TGID_Z_EN: 0
; COMPUTE_PGM_RSRC2:TIDIG_COMP_CNT: 0
; COMPUTE_PGM_RSRC3_GFX90A:ACCUM_OFFSET: 0
; COMPUTE_PGM_RSRC3_GFX90A:TG_SPLIT: 0
	.section	.text._ZN7rocprim17ROCPRIM_400000_NS6detail17trampoline_kernelINS0_14default_configENS1_20scan_config_selectorIlEEZZNS1_9scan_implILNS1_25lookback_scan_determinismE0ELb0ELb0ES3_PlS8_lN6thrust23THRUST_200600_302600_NS4plusIvEElEEDaPvRmT3_T4_T5_mT6_P12ihipStream_tbENKUlT_T0_E_clISt17integral_constantIbLb0EESQ_EEDaSL_SM_EUlSL_E_NS1_11comp_targetILNS1_3genE4ELNS1_11target_archE910ELNS1_3gpuE8ELNS1_3repE0EEENS1_30default_config_static_selectorELNS0_4arch9wavefront6targetE1EEEvT1_,"axG",@progbits,_ZN7rocprim17ROCPRIM_400000_NS6detail17trampoline_kernelINS0_14default_configENS1_20scan_config_selectorIlEEZZNS1_9scan_implILNS1_25lookback_scan_determinismE0ELb0ELb0ES3_PlS8_lN6thrust23THRUST_200600_302600_NS4plusIvEElEEDaPvRmT3_T4_T5_mT6_P12ihipStream_tbENKUlT_T0_E_clISt17integral_constantIbLb0EESQ_EEDaSL_SM_EUlSL_E_NS1_11comp_targetILNS1_3genE4ELNS1_11target_archE910ELNS1_3gpuE8ELNS1_3repE0EEENS1_30default_config_static_selectorELNS0_4arch9wavefront6targetE1EEEvT1_,comdat
	.protected	_ZN7rocprim17ROCPRIM_400000_NS6detail17trampoline_kernelINS0_14default_configENS1_20scan_config_selectorIlEEZZNS1_9scan_implILNS1_25lookback_scan_determinismE0ELb0ELb0ES3_PlS8_lN6thrust23THRUST_200600_302600_NS4plusIvEElEEDaPvRmT3_T4_T5_mT6_P12ihipStream_tbENKUlT_T0_E_clISt17integral_constantIbLb0EESQ_EEDaSL_SM_EUlSL_E_NS1_11comp_targetILNS1_3genE4ELNS1_11target_archE910ELNS1_3gpuE8ELNS1_3repE0EEENS1_30default_config_static_selectorELNS0_4arch9wavefront6targetE1EEEvT1_ ; -- Begin function _ZN7rocprim17ROCPRIM_400000_NS6detail17trampoline_kernelINS0_14default_configENS1_20scan_config_selectorIlEEZZNS1_9scan_implILNS1_25lookback_scan_determinismE0ELb0ELb0ES3_PlS8_lN6thrust23THRUST_200600_302600_NS4plusIvEElEEDaPvRmT3_T4_T5_mT6_P12ihipStream_tbENKUlT_T0_E_clISt17integral_constantIbLb0EESQ_EEDaSL_SM_EUlSL_E_NS1_11comp_targetILNS1_3genE4ELNS1_11target_archE910ELNS1_3gpuE8ELNS1_3repE0EEENS1_30default_config_static_selectorELNS0_4arch9wavefront6targetE1EEEvT1_
	.globl	_ZN7rocprim17ROCPRIM_400000_NS6detail17trampoline_kernelINS0_14default_configENS1_20scan_config_selectorIlEEZZNS1_9scan_implILNS1_25lookback_scan_determinismE0ELb0ELb0ES3_PlS8_lN6thrust23THRUST_200600_302600_NS4plusIvEElEEDaPvRmT3_T4_T5_mT6_P12ihipStream_tbENKUlT_T0_E_clISt17integral_constantIbLb0EESQ_EEDaSL_SM_EUlSL_E_NS1_11comp_targetILNS1_3genE4ELNS1_11target_archE910ELNS1_3gpuE8ELNS1_3repE0EEENS1_30default_config_static_selectorELNS0_4arch9wavefront6targetE1EEEvT1_
	.p2align	8
	.type	_ZN7rocprim17ROCPRIM_400000_NS6detail17trampoline_kernelINS0_14default_configENS1_20scan_config_selectorIlEEZZNS1_9scan_implILNS1_25lookback_scan_determinismE0ELb0ELb0ES3_PlS8_lN6thrust23THRUST_200600_302600_NS4plusIvEElEEDaPvRmT3_T4_T5_mT6_P12ihipStream_tbENKUlT_T0_E_clISt17integral_constantIbLb0EESQ_EEDaSL_SM_EUlSL_E_NS1_11comp_targetILNS1_3genE4ELNS1_11target_archE910ELNS1_3gpuE8ELNS1_3repE0EEENS1_30default_config_static_selectorELNS0_4arch9wavefront6targetE1EEEvT1_,@function
_ZN7rocprim17ROCPRIM_400000_NS6detail17trampoline_kernelINS0_14default_configENS1_20scan_config_selectorIlEEZZNS1_9scan_implILNS1_25lookback_scan_determinismE0ELb0ELb0ES3_PlS8_lN6thrust23THRUST_200600_302600_NS4plusIvEElEEDaPvRmT3_T4_T5_mT6_P12ihipStream_tbENKUlT_T0_E_clISt17integral_constantIbLb0EESQ_EEDaSL_SM_EUlSL_E_NS1_11comp_targetILNS1_3genE4ELNS1_11target_archE910ELNS1_3gpuE8ELNS1_3repE0EEENS1_30default_config_static_selectorELNS0_4arch9wavefront6targetE1EEEvT1_: ; @_ZN7rocprim17ROCPRIM_400000_NS6detail17trampoline_kernelINS0_14default_configENS1_20scan_config_selectorIlEEZZNS1_9scan_implILNS1_25lookback_scan_determinismE0ELb0ELb0ES3_PlS8_lN6thrust23THRUST_200600_302600_NS4plusIvEElEEDaPvRmT3_T4_T5_mT6_P12ihipStream_tbENKUlT_T0_E_clISt17integral_constantIbLb0EESQ_EEDaSL_SM_EUlSL_E_NS1_11comp_targetILNS1_3genE4ELNS1_11target_archE910ELNS1_3gpuE8ELNS1_3repE0EEENS1_30default_config_static_selectorELNS0_4arch9wavefront6targetE1EEEvT1_
; %bb.0:
	s_load_dwordx8 s[20:27], s[4:5], 0x0
	s_load_dword s1, s[4:5], 0x38
	s_mul_i32 s0, s6, 0x380
	v_lshlrev_b32_e32 v36, 3, v0
	s_waitcnt lgkmcnt(0)
	s_lshl_b64 s[22:23], s[22:23], 3
	s_add_u32 s2, s20, s22
	s_addc_u32 s3, s21, s23
	s_add_i32 s7, s1, -1
	s_mul_i32 s8, s7, 0x380
	s_sub_u32 s33, s26, s8
	s_subb_u32 s34, s27, 0
	s_mov_b32 s1, 0
	s_cmp_lg_u32 s6, s7
	s_cselect_b64 s[26:27], -1, 0
	s_lshl_b64 s[28:29], s[0:1], 3
	s_add_u32 s2, s2, s28
	s_addc_u32 s3, s3, s29
	s_mov_b64 s[0:1], -1
	s_and_b64 vcc, exec, s[26:27]
	s_cbranch_vccz .LBB86_2
; %bb.1:
	v_mov_b32_e32 v1, s3
	v_add_co_u32_e32 v10, vcc, s2, v36
	v_addc_co_u32_e32 v1, vcc, 0, v1, vcc
	v_add_co_u32_e32 v10, vcc, 0x1000, v10
	v_addc_co_u32_e32 v11, vcc, 0, v1, vcc
	global_load_dwordx2 v[2:3], v36, s[2:3]
	global_load_dwordx2 v[4:5], v36, s[2:3] offset:1024
	global_load_dwordx2 v[6:7], v36, s[2:3] offset:2048
	;; [unrolled: 1-line block ×3, first 2 shown]
	global_load_dwordx2 v[12:13], v[10:11], off
	global_load_dwordx2 v[14:15], v[10:11], off offset:1024
	global_load_dwordx2 v[16:17], v[10:11], off offset:2048
	s_mov_b64 s[0:1], 0
	s_waitcnt vmcnt(5)
	ds_write2st64_b64 v36, v[2:3], v[4:5] offset1:2
	s_waitcnt vmcnt(3)
	ds_write2st64_b64 v36, v[6:7], v[8:9] offset0:4 offset1:6
	s_waitcnt vmcnt(1)
	ds_write2st64_b64 v36, v[12:13], v[14:15] offset0:8 offset1:10
	s_waitcnt vmcnt(0)
	ds_write_b64 v36, v[16:17] offset:6144
	s_waitcnt lgkmcnt(0)
	s_barrier
.LBB86_2:
	s_load_dwordx2 s[30:31], s[4:5], 0x30
	s_andn2_b64 vcc, exec, s[0:1]
	v_cmp_gt_u32_e64 s[0:1], s33, v0
	s_cbranch_vccnz .LBB86_18
; %bb.3:
	s_load_dwordx2 s[8:9], s[2:3], 0x0
	s_waitcnt lgkmcnt(0)
	s_mov_b32 s10, s8
	s_mov_b32 s11, s9
	;; [unrolled: 1-line block ×12, first 2 shown]
	v_pk_mov_b32 v[2:3], s[8:9], s[8:9] op_sel:[0,1]
	v_pk_mov_b32 v[4:5], s[10:11], s[10:11] op_sel:[0,1]
	;; [unrolled: 1-line block ×8, first 2 shown]
	s_and_saveexec_b64 s[10:11], s[0:1]
	s_cbranch_execz .LBB86_5
; %bb.4:
	global_load_dwordx2 v[2:3], v36, s[2:3]
	v_mov_b32_e32 v4, s8
	v_mov_b32_e32 v5, s9
	;; [unrolled: 1-line block ×12, first 2 shown]
.LBB86_5:
	s_or_b64 exec, exec, s[10:11]
	v_or_b32_e32 v1, 0x80, v0
	v_cmp_gt_u32_e32 vcc, s33, v1
	s_and_saveexec_b64 s[0:1], vcc
	s_cbranch_execz .LBB86_7
; %bb.6:
	global_load_dwordx2 v[4:5], v36, s[2:3] offset:1024
.LBB86_7:
	s_or_b64 exec, exec, s[0:1]
	v_or_b32_e32 v1, 0x100, v0
	v_cmp_gt_u32_e32 vcc, s33, v1
	s_and_saveexec_b64 s[0:1], vcc
	s_cbranch_execz .LBB86_9
; %bb.8:
	global_load_dwordx2 v[6:7], v36, s[2:3] offset:2048
.LBB86_9:
	;; [unrolled: 8-line block ×3, first 2 shown]
	s_or_b64 exec, exec, s[0:1]
	v_or_b32_e32 v1, 0x200, v0
	v_cmp_gt_u32_e32 vcc, s33, v1
	s_and_saveexec_b64 s[0:1], vcc
	s_cbranch_execz .LBB86_13
; %bb.12:
	v_lshlrev_b32_e32 v1, 3, v1
	global_load_dwordx2 v[10:11], v1, s[2:3]
.LBB86_13:
	s_or_b64 exec, exec, s[0:1]
	v_or_b32_e32 v1, 0x280, v0
	v_cmp_gt_u32_e32 vcc, s33, v1
	s_and_saveexec_b64 s[0:1], vcc
	s_cbranch_execz .LBB86_15
; %bb.14:
	v_lshlrev_b32_e32 v1, 3, v1
	global_load_dwordx2 v[12:13], v1, s[2:3]
.LBB86_15:
	;; [unrolled: 9-line block ×3, first 2 shown]
	s_or_b64 exec, exec, s[0:1]
	s_waitcnt vmcnt(0)
	ds_write2st64_b64 v36, v[2:3], v[4:5] offset1:2
	ds_write2st64_b64 v36, v[6:7], v[8:9] offset0:4 offset1:6
	ds_write2st64_b64 v36, v[10:11], v[12:13] offset0:8 offset1:10
	ds_write_b64 v36, v[14:15] offset:6144
	s_waitcnt lgkmcnt(0)
	s_barrier
.LBB86_18:
	v_mul_u32_u24_e32 v37, 7, v0
	v_lshlrev_b32_e32 v1, 3, v37
	s_waitcnt lgkmcnt(0)
	ds_read2_b64 v[2:5], v1 offset1:1
	ds_read2_b64 v[10:13], v1 offset0:2 offset1:3
	ds_read2_b64 v[6:9], v1 offset0:4 offset1:5
	ds_read_b64 v[28:29], v1 offset:48
	s_cmp_lg_u32 s6, 0
	v_lshrrev_b32_e32 v38, 5, v0
	v_cmp_gt_u32_e32 vcc, 64, v0
	s_waitcnt lgkmcnt(0)
	s_barrier
	s_cbranch_scc0 .LBB86_45
; %bb.19:
	v_add_co_u32_e64 v1, s[0:1], v4, v2
	v_addc_co_u32_e64 v14, s[0:1], v5, v3, s[0:1]
	v_add_co_u32_e64 v1, s[0:1], v1, v10
	v_addc_co_u32_e64 v14, s[0:1], v14, v11, s[0:1]
	;; [unrolled: 2-line block ×6, first 2 shown]
	v_add_lshl_u32 v1, v38, v0, 3
	ds_write_b64 v1, v[18:19]
	s_waitcnt lgkmcnt(0)
	s_barrier
	s_and_saveexec_b64 s[8:9], vcc
	s_cbranch_execz .LBB86_23
; %bb.20:
	v_lshlrev_b32_e32 v1, 1, v0
	v_lshrrev_b32_e32 v14, 4, v0
	v_add_lshl_u32 v20, v14, v1, 3
	ds_read2_b64 v[14:17], v20 offset1:1
	v_mbcnt_lo_u32_b32 v1, -1, 0
	s_waitcnt lgkmcnt(0)
	v_add_co_u32_e64 v21, s[0:1], v16, v14
	v_addc_co_u32_e64 v22, s[0:1], v17, v15, s[0:1]
	s_nop 0
	v_mov_b32_dpp v16, v21 row_shr:1 row_mask:0xf bank_mask:0xf
	v_add_co_u32_e64 v16, s[0:1], v21, v16
	v_addc_co_u32_e64 v24, s[0:1], 0, v22, s[0:1]
	v_mbcnt_hi_u32_b32 v17, -1, v1
	v_mov_b32_dpp v23, v22 row_shr:1 row_mask:0xf bank_mask:0xf
	v_add_co_u32_e64 v25, s[0:1], 0, v16
	v_and_b32_e32 v1, 15, v17
	v_addc_co_u32_e64 v23, s[0:1], v23, v24, s[0:1]
	v_cmp_eq_u32_e64 s[0:1], 0, v1
	v_cndmask_b32_e64 v16, v16, v21, s[0:1]
	v_cndmask_b32_e64 v23, v23, v22, s[0:1]
	v_cndmask_b32_e64 v24, v25, v21, s[0:1]
	v_mov_b32_dpp v25, v16 row_shr:2 row_mask:0xf bank_mask:0xf
	v_mov_b32_dpp v26, v23 row_shr:2 row_mask:0xf bank_mask:0xf
	v_add_co_u32_e64 v25, s[0:1], v25, v24
	v_addc_co_u32_e64 v26, s[0:1], v26, v23, s[0:1]
	v_cmp_lt_u32_e64 s[0:1], 1, v1
	v_cndmask_b32_e64 v16, v16, v25, s[0:1]
	v_cndmask_b32_e64 v23, v23, v26, s[0:1]
	v_cndmask_b32_e64 v24, v24, v25, s[0:1]
	v_mov_b32_dpp v25, v16 row_shr:4 row_mask:0xf bank_mask:0xf
	v_mov_b32_dpp v26, v23 row_shr:4 row_mask:0xf bank_mask:0xf
	v_add_co_u32_e64 v25, s[0:1], v25, v24
	v_addc_co_u32_e64 v26, s[0:1], v26, v23, s[0:1]
	v_cmp_lt_u32_e64 s[0:1], 3, v1
	;; [unrolled: 8-line block ×3, first 2 shown]
	v_cndmask_b32_e64 v27, v16, v25, s[0:1]
	v_cndmask_b32_e64 v1, v23, v26, s[0:1]
	;; [unrolled: 1-line block ×3, first 2 shown]
	v_mov_b32_dpp v23, v27 row_bcast:15 row_mask:0xf bank_mask:0xf
	v_mov_b32_dpp v24, v1 row_bcast:15 row_mask:0xf bank_mask:0xf
	v_add_co_u32_e64 v23, s[0:1], v23, v16
	v_and_b32_e32 v26, 16, v17
	v_addc_co_u32_e64 v25, s[0:1], v24, v1, s[0:1]
	v_cmp_eq_u32_e64 s[0:1], 0, v26
	v_cndmask_b32_e64 v26, v25, v1, s[0:1]
	v_cndmask_b32_e64 v24, v23, v27, s[0:1]
	v_cmp_ne_u32_e64 s[2:3], 0, v17
	v_mov_b32_dpp v26, v26 row_bcast:31 row_mask:0xf bank_mask:0xf
	v_mov_b32_dpp v24, v24 row_bcast:31 row_mask:0xf bank_mask:0xf
	s_and_saveexec_b64 s[10:11], s[2:3]
; %bb.21:
	v_cndmask_b32_e64 v1, v25, v1, s[0:1]
	v_cndmask_b32_e64 v16, v23, v16, s[0:1]
	v_cmp_lt_u32_e64 s[0:1], 31, v17
	v_cndmask_b32_e64 v21, 0, v24, s[0:1]
	v_cndmask_b32_e64 v22, 0, v26, s[0:1]
	v_add_co_u32_e64 v21, s[0:1], v21, v16
	v_addc_co_u32_e64 v22, s[0:1], v22, v1, s[0:1]
; %bb.22:
	s_or_b64 exec, exec, s[10:11]
	v_add_u32_e32 v1, -1, v17
	v_and_b32_e32 v16, 64, v17
	v_cmp_lt_i32_e64 s[0:1], v1, v16
	v_cndmask_b32_e64 v1, v1, v17, s[0:1]
	v_lshlrev_b32_e32 v1, 2, v1
	ds_bpermute_b32 v16, v1, v21
	ds_bpermute_b32 v1, v1, v22
	; wave barrier
	s_waitcnt lgkmcnt(1)
	v_add_co_u32_e64 v14, s[0:1], v14, v16
	v_addc_co_u32_e64 v15, s[0:1], 0, v15, s[0:1]
	v_add_co_u32_e64 v14, s[0:1], 0, v14
	s_waitcnt lgkmcnt(0)
	v_addc_co_u32_e64 v1, s[0:1], v15, v1, s[0:1]
	v_cmp_eq_u32_e64 s[0:1], 0, v0
	v_cndmask_b32_e64 v15, v1, v19, s[0:1]
	v_cndmask_b32_e64 v14, v14, v18, s[0:1]
	ds_write_b64 v20, v[14:15]
	; wave barrier
	ds_read_b64 v[16:17], v20 offset:8
	s_waitcnt lgkmcnt(0)
	v_add_co_u32_e64 v14, s[0:1], v16, v14
	v_addc_co_u32_e64 v15, s[0:1], v17, v15, s[0:1]
	ds_write_b64 v20, v[14:15] offset:8
.LBB86_23:
	s_or_b64 exec, exec, s[8:9]
	v_cmp_eq_u32_e64 s[0:1], 0, v0
	v_cmp_ne_u32_e64 s[2:3], 0, v0
	v_pk_mov_b32 v[22:23], 0, 0
	s_waitcnt lgkmcnt(0)
	s_barrier
	s_and_saveexec_b64 s[8:9], s[2:3]
	s_cbranch_execz .LBB86_25
; %bb.24:
	v_add_u32_e32 v1, -1, v0
	v_lshrrev_b32_e32 v14, 5, v1
	v_add_lshl_u32 v1, v14, v1, 3
	ds_read_b64 v[22:23], v1
.LBB86_25:
	s_or_b64 exec, exec, s[8:9]
	s_and_saveexec_b64 s[12:13], vcc
	s_cbranch_execz .LBB86_44
; %bb.26:
	v_mov_b32_e32 v17, 0
	ds_read_b64 v[14:15], v17 offset:1040
	v_mbcnt_lo_u32_b32 v1, -1, 0
	v_mbcnt_hi_u32_b32 v30, -1, v1
	s_mov_b32 s11, 0
	v_cmp_eq_u32_e64 s[2:3], 0, v30
	s_and_saveexec_b64 s[8:9], s[2:3]
	s_cbranch_execz .LBB86_28
; %bb.27:
	s_add_i32 s10, s6, 64
	s_lshl_b64 s[10:11], s[10:11], 4
	s_add_u32 s10, s30, s10
	s_addc_u32 s11, s31, s11
	v_mov_b32_e32 v16, 1
	v_pk_mov_b32 v[18:19], s[10:11], s[10:11] op_sel:[0,1]
	s_waitcnt lgkmcnt(0)
	;;#ASMSTART
	global_store_dwordx4 v[18:19], v[14:17] off	
s_waitcnt vmcnt(0)
	;;#ASMEND
.LBB86_28:
	s_or_b64 exec, exec, s[8:9]
	v_xad_u32 v24, v30, -1, s6
	v_add_u32_e32 v16, 64, v24
	v_lshlrev_b64 v[18:19], 4, v[16:17]
	v_mov_b32_e32 v1, s31
	v_add_co_u32_e32 v26, vcc, s30, v18
	v_addc_co_u32_e32 v27, vcc, v1, v19, vcc
	;;#ASMSTART
	global_load_dwordx4 v[18:21], v[26:27] off glc	
s_waitcnt vmcnt(0)
	;;#ASMEND
	v_and_b32_e32 v1, 0xff, v19
	v_and_b32_e32 v16, 0xff00, v19
	v_or3_b32 v1, 0, v1, v16
	v_or3_b32 v16, v18, 0, 0
	v_and_b32_e32 v18, 0xff000000, v19
	v_and_b32_e32 v19, 0xff0000, v19
	v_or3_b32 v19, v1, v19, v18
	v_or3_b32 v18, v16, 0, 0
	v_cmp_eq_u16_sdwa s[10:11], v20, v17 src0_sel:BYTE_0 src1_sel:DWORD
	s_and_saveexec_b64 s[8:9], s[10:11]
	s_cbranch_execz .LBB86_32
; %bb.29:
	s_mov_b64 s[10:11], 0
	v_mov_b32_e32 v1, 0
.LBB86_30:                              ; =>This Inner Loop Header: Depth=1
	;;#ASMSTART
	global_load_dwordx4 v[18:21], v[26:27] off glc	
s_waitcnt vmcnt(0)
	;;#ASMEND
	v_cmp_ne_u16_sdwa s[14:15], v20, v1 src0_sel:BYTE_0 src1_sel:DWORD
	s_or_b64 s[10:11], s[14:15], s[10:11]
	s_andn2_b64 exec, exec, s[10:11]
	s_cbranch_execnz .LBB86_30
; %bb.31:
	s_or_b64 exec, exec, s[10:11]
.LBB86_32:
	s_or_b64 exec, exec, s[8:9]
	v_and_b32_e32 v32, 63, v30
	v_cmp_ne_u32_e32 vcc, 63, v32
	v_addc_co_u32_e32 v26, vcc, 0, v30, vcc
	v_lshlrev_b32_e32 v33, 2, v26
	ds_bpermute_b32 v26, v33, v18
	v_mov_b32_e32 v1, 2
	v_cmp_eq_u16_sdwa s[8:9], v20, v1 src0_sel:BYTE_0 src1_sel:DWORD
	v_lshlrev_b64 v[16:17], v30, -1
	ds_bpermute_b32 v27, v33, v19
	v_and_b32_e32 v21, s9, v17
	v_or_b32_e32 v21, 0x80000000, v21
	s_waitcnt lgkmcnt(1)
	v_add_co_u32_e32 v26, vcc, v18, v26
	v_and_b32_e32 v25, s8, v16
	v_ffbl_b32_e32 v21, v21
	v_addc_co_u32_e32 v31, vcc, 0, v19, vcc
	v_add_u32_e32 v21, 32, v21
	v_ffbl_b32_e32 v25, v25
	v_add_co_u32_e32 v35, vcc, 0, v26
	v_cmp_gt_u32_e64 s[8:9], 62, v32
	v_min_u32_e32 v21, v25, v21
	s_waitcnt lgkmcnt(0)
	v_addc_co_u32_e32 v27, vcc, v27, v31, vcc
	v_cndmask_b32_e64 v31, 0, 1, s[8:9]
	v_cmp_lt_u32_e32 vcc, v32, v21
	v_lshlrev_b32_e32 v31, 1, v31
	v_cndmask_b32_e32 v26, v18, v26, vcc
	v_add_lshl_u32 v34, v31, v30, 2
	v_cndmask_b32_e32 v27, v19, v27, vcc
	ds_bpermute_b32 v31, v34, v26
	ds_bpermute_b32 v39, v34, v27
	v_cndmask_b32_e32 v40, v18, v35, vcc
	v_add_u32_e32 v35, 2, v32
	v_cmp_gt_u32_e64 s[10:11], 60, v32
	s_waitcnt lgkmcnt(1)
	v_add_co_u32_e64 v31, s[8:9], v31, v40
	s_waitcnt lgkmcnt(0)
	v_addc_co_u32_e64 v39, s[8:9], v39, v27, s[8:9]
	v_cmp_gt_u32_e64 s[8:9], v35, v21
	v_cndmask_b32_e64 v27, v39, v27, s[8:9]
	v_cndmask_b32_e64 v39, 0, 1, s[10:11]
	v_lshlrev_b32_e32 v39, 2, v39
	v_cndmask_b32_e64 v26, v31, v26, s[8:9]
	v_add_lshl_u32 v39, v39, v30, 2
	ds_bpermute_b32 v41, v39, v26
	ds_bpermute_b32 v42, v39, v27
	v_cndmask_b32_e64 v31, v31, v40, s[8:9]
	v_add_u32_e32 v40, 4, v32
	v_cmp_gt_u32_e64 s[10:11], 56, v32
	s_waitcnt lgkmcnt(1)
	v_add_co_u32_e64 v43, s[8:9], v41, v31
	s_waitcnt lgkmcnt(0)
	v_addc_co_u32_e64 v41, s[8:9], v42, v27, s[8:9]
	v_cmp_gt_u32_e64 s[8:9], v40, v21
	v_cndmask_b32_e64 v27, v41, v27, s[8:9]
	v_cndmask_b32_e64 v41, 0, 1, s[10:11]
	v_lshlrev_b32_e32 v41, 3, v41
	v_cndmask_b32_e64 v26, v43, v26, s[8:9]
	v_add_lshl_u32 v41, v41, v30, 2
	ds_bpermute_b32 v44, v41, v26
	v_cndmask_b32_e64 v31, v43, v31, s[8:9]
	ds_bpermute_b32 v43, v41, v27
	v_add_u32_e32 v42, 8, v32
	v_cmp_gt_u32_e64 s[10:11], 48, v32
	s_waitcnt lgkmcnt(1)
	v_add_co_u32_e64 v44, s[8:9], v44, v31
	s_waitcnt lgkmcnt(0)
	v_addc_co_u32_e64 v43, s[8:9], v43, v27, s[8:9]
	v_cmp_gt_u32_e64 s[8:9], v42, v21
	v_cndmask_b32_e64 v27, v43, v27, s[8:9]
	v_cndmask_b32_e64 v43, 0, 1, s[10:11]
	v_lshlrev_b32_e32 v43, 4, v43
	v_cndmask_b32_e64 v26, v44, v26, s[8:9]
	v_add_lshl_u32 v43, v43, v30, 2
	ds_bpermute_b32 v45, v43, v26
	ds_bpermute_b32 v46, v43, v27
	v_cndmask_b32_e64 v31, v44, v31, s[8:9]
	v_cmp_gt_u32_e64 s[10:11], 32, v32
	v_add_u32_e32 v44, 16, v32
	s_waitcnt lgkmcnt(1)
	v_add_co_u32_e64 v47, s[8:9], v45, v31
	s_waitcnt lgkmcnt(0)
	v_addc_co_u32_e64 v46, s[8:9], v46, v27, s[8:9]
	v_cndmask_b32_e64 v45, 0, 1, s[10:11]
	v_cmp_gt_u32_e64 s[8:9], v44, v21
	v_lshlrev_b32_e32 v45, 5, v45
	v_cndmask_b32_e64 v26, v47, v26, s[8:9]
	v_add_lshl_u32 v45, v45, v30, 2
	v_cndmask_b32_e64 v27, v46, v27, s[8:9]
	ds_bpermute_b32 v26, v45, v26
	ds_bpermute_b32 v30, v45, v27
	v_add_u32_e32 v46, 32, v32
	v_cndmask_b32_e64 v31, v47, v31, s[8:9]
	v_cmp_le_u32_e64 s[8:9], v46, v21
	s_waitcnt lgkmcnt(1)
	v_cndmask_b32_e64 v26, 0, v26, s[8:9]
	s_waitcnt lgkmcnt(0)
	v_cndmask_b32_e64 v21, 0, v30, s[8:9]
	v_add_co_u32_e64 v26, s[8:9], v26, v31
	v_addc_co_u32_e64 v21, s[8:9], v21, v27, s[8:9]
	v_mov_b32_e32 v25, 0
	v_cndmask_b32_e32 v19, v19, v21, vcc
	v_cndmask_b32_e32 v18, v18, v26, vcc
	s_branch .LBB86_34
.LBB86_33:                              ;   in Loop: Header=BB86_34 Depth=1
	s_or_b64 exec, exec, s[8:9]
	v_cmp_eq_u16_sdwa s[8:9], v20, v1 src0_sel:BYTE_0 src1_sel:DWORD
	v_and_b32_e32 v21, s9, v17
	v_or_b32_e32 v21, 0x80000000, v21
	ds_bpermute_b32 v31, v33, v18
	v_and_b32_e32 v30, s8, v16
	v_ffbl_b32_e32 v21, v21
	v_add_u32_e32 v21, 32, v21
	v_ffbl_b32_e32 v30, v30
	v_min_u32_e32 v21, v30, v21
	ds_bpermute_b32 v30, v33, v19
	s_waitcnt lgkmcnt(1)
	v_add_co_u32_e32 v31, vcc, v18, v31
	v_addc_co_u32_e32 v47, vcc, 0, v19, vcc
	v_add_co_u32_e32 v48, vcc, 0, v31
	s_waitcnt lgkmcnt(0)
	v_addc_co_u32_e32 v30, vcc, v30, v47, vcc
	v_cmp_lt_u32_e32 vcc, v32, v21
	v_cndmask_b32_e32 v31, v18, v31, vcc
	ds_bpermute_b32 v47, v34, v31
	v_cndmask_b32_e32 v30, v19, v30, vcc
	ds_bpermute_b32 v49, v34, v30
	v_cndmask_b32_e32 v48, v18, v48, vcc
	v_subrev_u32_e32 v24, 64, v24
	s_waitcnt lgkmcnt(1)
	v_add_co_u32_e64 v47, s[8:9], v47, v48
	s_waitcnt lgkmcnt(0)
	v_addc_co_u32_e64 v49, s[8:9], v49, v30, s[8:9]
	v_cmp_gt_u32_e64 s[8:9], v35, v21
	v_cndmask_b32_e64 v31, v47, v31, s[8:9]
	ds_bpermute_b32 v50, v39, v31
	v_cndmask_b32_e64 v30, v49, v30, s[8:9]
	ds_bpermute_b32 v49, v39, v30
	v_cndmask_b32_e64 v47, v47, v48, s[8:9]
	s_waitcnt lgkmcnt(1)
	v_add_co_u32_e64 v48, s[8:9], v50, v47
	s_waitcnt lgkmcnt(0)
	v_addc_co_u32_e64 v49, s[8:9], v49, v30, s[8:9]
	v_cmp_gt_u32_e64 s[8:9], v40, v21
	v_cndmask_b32_e64 v31, v48, v31, s[8:9]
	ds_bpermute_b32 v50, v41, v31
	v_cndmask_b32_e64 v30, v49, v30, s[8:9]
	ds_bpermute_b32 v49, v41, v30
	v_cndmask_b32_e64 v47, v48, v47, s[8:9]
	;; [unrolled: 10-line block ×3, first 2 shown]
	s_waitcnt lgkmcnt(1)
	v_add_co_u32_e64 v48, s[8:9], v50, v47
	s_waitcnt lgkmcnt(0)
	v_addc_co_u32_e64 v49, s[8:9], v49, v30, s[8:9]
	v_cmp_gt_u32_e64 s[8:9], v44, v21
	v_cndmask_b32_e64 v31, v48, v31, s[8:9]
	v_cndmask_b32_e64 v30, v49, v30, s[8:9]
	ds_bpermute_b32 v31, v45, v31
	ds_bpermute_b32 v49, v45, v30
	v_cndmask_b32_e64 v47, v48, v47, s[8:9]
	v_cmp_le_u32_e64 s[8:9], v46, v21
	s_waitcnt lgkmcnt(1)
	v_cndmask_b32_e64 v31, 0, v31, s[8:9]
	s_waitcnt lgkmcnt(0)
	v_cndmask_b32_e64 v21, 0, v49, s[8:9]
	v_add_co_u32_e64 v31, s[8:9], v31, v47
	v_addc_co_u32_e64 v21, s[8:9], v21, v30, s[8:9]
	v_cndmask_b32_e32 v18, v18, v31, vcc
	v_cndmask_b32_e32 v19, v19, v21, vcc
	v_add_co_u32_e32 v18, vcc, v18, v26
	v_addc_co_u32_e32 v19, vcc, v19, v27, vcc
.LBB86_34:                              ; =>This Loop Header: Depth=1
                                        ;     Child Loop BB86_37 Depth 2
	v_cmp_ne_u16_sdwa s[8:9], v20, v1 src0_sel:BYTE_0 src1_sel:DWORD
	v_cndmask_b32_e64 v20, 0, 1, s[8:9]
	;;#ASMSTART
	;;#ASMEND
	v_cmp_ne_u32_e32 vcc, 0, v20
	s_cmp_lg_u64 vcc, exec
	v_pk_mov_b32 v[26:27], v[18:19], v[18:19] op_sel:[0,1]
	s_cbranch_scc1 .LBB86_39
; %bb.35:                               ;   in Loop: Header=BB86_34 Depth=1
	v_lshlrev_b64 v[18:19], 4, v[24:25]
	v_mov_b32_e32 v20, s31
	v_add_co_u32_e32 v30, vcc, s30, v18
	v_addc_co_u32_e32 v31, vcc, v20, v19, vcc
	;;#ASMSTART
	global_load_dwordx4 v[18:21], v[30:31] off glc	
s_waitcnt vmcnt(0)
	;;#ASMEND
	v_and_b32_e32 v21, 0xff, v19
	v_and_b32_e32 v47, 0xff00, v19
	v_or3_b32 v21, 0, v21, v47
	v_or3_b32 v18, v18, 0, 0
	v_and_b32_e32 v47, 0xff000000, v19
	v_and_b32_e32 v19, 0xff0000, v19
	v_or3_b32 v19, v21, v19, v47
	v_or3_b32 v18, v18, 0, 0
	v_cmp_eq_u16_sdwa s[10:11], v20, v25 src0_sel:BYTE_0 src1_sel:DWORD
	s_and_saveexec_b64 s[8:9], s[10:11]
	s_cbranch_execz .LBB86_33
; %bb.36:                               ;   in Loop: Header=BB86_34 Depth=1
	s_mov_b64 s[10:11], 0
.LBB86_37:                              ;   Parent Loop BB86_34 Depth=1
                                        ; =>  This Inner Loop Header: Depth=2
	;;#ASMSTART
	global_load_dwordx4 v[18:21], v[30:31] off glc	
s_waitcnt vmcnt(0)
	;;#ASMEND
	v_cmp_ne_u16_sdwa s[14:15], v20, v25 src0_sel:BYTE_0 src1_sel:DWORD
	s_or_b64 s[10:11], s[14:15], s[10:11]
	s_andn2_b64 exec, exec, s[10:11]
	s_cbranch_execnz .LBB86_37
; %bb.38:                               ;   in Loop: Header=BB86_34 Depth=1
	s_or_b64 exec, exec, s[10:11]
	s_branch .LBB86_33
.LBB86_39:                              ;   in Loop: Header=BB86_34 Depth=1
                                        ; implicit-def: $vgpr18_vgpr19
                                        ; implicit-def: $vgpr20
	s_cbranch_execz .LBB86_34
; %bb.40:
	s_and_saveexec_b64 s[8:9], s[2:3]
	s_cbranch_execz .LBB86_42
; %bb.41:
	s_add_i32 s2, s6, 64
	s_mov_b32 s3, 0
	s_lshl_b64 s[2:3], s[2:3], 4
	s_add_u32 s2, s30, s2
	v_add_co_u32_e32 v14, vcc, v26, v14
	s_addc_u32 s3, s31, s3
	v_addc_co_u32_e32 v15, vcc, v27, v15, vcc
	v_mov_b32_e32 v16, 2
	v_mov_b32_e32 v17, 0
	v_pk_mov_b32 v[18:19], s[2:3], s[2:3] op_sel:[0,1]
	;;#ASMSTART
	global_store_dwordx4 v[18:19], v[14:17] off	
s_waitcnt vmcnt(0)
	;;#ASMEND
.LBB86_42:
	s_or_b64 exec, exec, s[8:9]
	s_and_b64 exec, exec, s[0:1]
	s_cbranch_execz .LBB86_44
; %bb.43:
	v_mov_b32_e32 v1, 0
	ds_write_b64 v1, v[26:27]
.LBB86_44:
	s_or_b64 exec, exec, s[12:13]
	v_mov_b32_e32 v1, 0
	s_waitcnt lgkmcnt(0)
	s_barrier
	ds_read_b64 v[14:15], v1
	v_add_co_u32_e32 v1, vcc, v22, v2
	v_addc_co_u32_e32 v16, vcc, v23, v3, vcc
	s_waitcnt lgkmcnt(0)
	v_add_co_u32_e32 v24, vcc, v1, v14
	v_addc_co_u32_e32 v25, vcc, v16, v15, vcc
	v_add_co_u32_e32 v30, vcc, v24, v4
	v_addc_co_u32_e32 v31, vcc, v25, v5, vcc
	;; [unrolled: 2-line block ×7, first 2 shown]
	s_load_dwordx8 s[4:11], s[4:5], 0x40
	s_branch .LBB86_59
.LBB86_45:
                                        ; implicit-def: $vgpr22_vgpr23
                                        ; implicit-def: $vgpr34_vgpr35
                                        ; implicit-def: $vgpr32_vgpr33
                                        ; implicit-def: $vgpr30_vgpr31
                                        ; implicit-def: $vgpr18_vgpr19_vgpr20_vgpr21
                                        ; implicit-def: $vgpr14_vgpr15_vgpr16_vgpr17
                                        ; implicit-def: $vgpr24_vgpr25_vgpr26_vgpr27
	s_load_dwordx8 s[4:11], s[4:5], 0x40
	s_cbranch_execz .LBB86_59
; %bb.46:
	s_waitcnt lgkmcnt(0)
	s_cmp_lg_u64 s[8:9], 0
	s_cselect_b64 s[2:3], -1, 0
	v_cmp_eq_u32_e64 s[0:1], 0, v0
	v_cmp_ne_u32_e32 vcc, 0, v0
	s_and_b64 s[2:3], s[0:1], s[2:3]
	s_and_saveexec_b64 s[8:9], s[2:3]
	s_cbranch_execz .LBB86_48
; %bb.47:
	v_mov_b32_e32 v1, 0
	global_load_dwordx2 v[14:15], v1, s[4:5]
	s_waitcnt vmcnt(0)
	v_add_co_u32_e64 v2, s[2:3], v14, v2
	v_addc_co_u32_e64 v3, s[2:3], v15, v3, s[2:3]
.LBB86_48:
	s_or_b64 exec, exec, s[8:9]
	v_add_co_u32_e64 v30, s[2:3], v4, v2
	v_addc_co_u32_e64 v31, s[2:3], v5, v3, s[2:3]
	v_add_co_u32_e64 v14, s[2:3], v30, v10
	v_addc_co_u32_e64 v15, s[2:3], v31, v11, s[2:3]
	v_add_co_u32_e64 v32, s[2:3], v14, v12
	v_addc_co_u32_e64 v33, s[2:3], v15, v13, s[2:3]
	v_add_co_u32_e64 v18, s[2:3], v32, v6
	v_addc_co_u32_e64 v19, s[2:3], v33, v7, s[2:3]
	v_add_co_u32_e64 v34, s[2:3], v18, v8
	v_addc_co_u32_e64 v35, s[2:3], v19, v9, s[2:3]
	v_add_co_u32_e64 v22, s[2:3], v34, v28
	v_addc_co_u32_e64 v23, s[2:3], v35, v29, s[2:3]
	v_add_lshl_u32 v1, v38, v0, 3
	v_cmp_gt_u32_e64 s[2:3], 64, v0
	ds_write_b64 v1, v[22:23]
	s_waitcnt lgkmcnt(0)
	s_barrier
	s_and_saveexec_b64 s[8:9], s[2:3]
	s_cbranch_execz .LBB86_52
; %bb.49:
	v_lshlrev_b32_e32 v1, 1, v0
	v_lshrrev_b32_e32 v16, 4, v0
	v_add_lshl_u32 v17, v16, v1, 3
	ds_read2_b64 v[24:27], v17 offset1:1
	v_mbcnt_lo_u32_b32 v1, -1, 0
	v_mbcnt_hi_u32_b32 v20, -1, v1
	v_and_b32_e32 v1, 15, v20
	v_cmp_ne_u32_e64 s[4:5], 0, v20
	s_waitcnt lgkmcnt(0)
	v_add_co_u32_e64 v21, s[2:3], v26, v24
	v_addc_co_u32_e64 v26, s[2:3], v27, v25, s[2:3]
	s_nop 0
	v_mov_b32_dpp v16, v21 row_shr:1 row_mask:0xf bank_mask:0xf
	v_add_co_u32_e64 v16, s[2:3], v21, v16
	v_addc_co_u32_e64 v38, s[2:3], 0, v26, s[2:3]
	v_mov_b32_dpp v27, v26 row_shr:1 row_mask:0xf bank_mask:0xf
	v_add_co_u32_e64 v39, s[2:3], 0, v16
	v_addc_co_u32_e64 v27, s[2:3], v27, v38, s[2:3]
	v_cmp_eq_u32_e64 s[2:3], 0, v1
	v_cndmask_b32_e64 v16, v16, v21, s[2:3]
	v_cndmask_b32_e64 v27, v27, v26, s[2:3]
	v_cndmask_b32_e64 v38, v39, v21, s[2:3]
	v_mov_b32_dpp v39, v16 row_shr:2 row_mask:0xf bank_mask:0xf
	v_mov_b32_dpp v40, v27 row_shr:2 row_mask:0xf bank_mask:0xf
	v_add_co_u32_e64 v39, s[2:3], v39, v38
	v_addc_co_u32_e64 v40, s[2:3], v40, v27, s[2:3]
	v_cmp_lt_u32_e64 s[2:3], 1, v1
	v_cndmask_b32_e64 v16, v16, v39, s[2:3]
	v_cndmask_b32_e64 v27, v27, v40, s[2:3]
	v_cndmask_b32_e64 v38, v38, v39, s[2:3]
	v_mov_b32_dpp v39, v16 row_shr:4 row_mask:0xf bank_mask:0xf
	v_mov_b32_dpp v40, v27 row_shr:4 row_mask:0xf bank_mask:0xf
	v_add_co_u32_e64 v39, s[2:3], v39, v38
	v_addc_co_u32_e64 v40, s[2:3], v40, v27, s[2:3]
	v_cmp_lt_u32_e64 s[2:3], 3, v1
	;; [unrolled: 8-line block ×3, first 2 shown]
	v_cndmask_b32_e64 v41, v16, v39, s[2:3]
	v_cndmask_b32_e64 v1, v27, v40, s[2:3]
	;; [unrolled: 1-line block ×3, first 2 shown]
	v_mov_b32_dpp v27, v41 row_bcast:15 row_mask:0xf bank_mask:0xf
	v_mov_b32_dpp v38, v1 row_bcast:15 row_mask:0xf bank_mask:0xf
	v_add_co_u32_e64 v27, s[2:3], v27, v16
	v_and_b32_e32 v40, 16, v20
	v_addc_co_u32_e64 v39, s[2:3], v38, v1, s[2:3]
	v_cmp_eq_u32_e64 s[2:3], 0, v40
	v_cndmask_b32_e64 v40, v39, v1, s[2:3]
	v_cndmask_b32_e64 v38, v27, v41, s[2:3]
	s_nop 0
	v_mov_b32_dpp v40, v40 row_bcast:31 row_mask:0xf bank_mask:0xf
	v_mov_b32_dpp v38, v38 row_bcast:31 row_mask:0xf bank_mask:0xf
	s_and_saveexec_b64 s[12:13], s[4:5]
; %bb.50:
	v_cndmask_b32_e64 v1, v39, v1, s[2:3]
	v_cndmask_b32_e64 v16, v27, v16, s[2:3]
	v_cmp_lt_u32_e64 s[2:3], 31, v20
	v_cndmask_b32_e64 v21, 0, v38, s[2:3]
	v_cndmask_b32_e64 v26, 0, v40, s[2:3]
	v_add_co_u32_e64 v21, s[2:3], v21, v16
	v_addc_co_u32_e64 v26, s[2:3], v26, v1, s[2:3]
; %bb.51:
	s_or_b64 exec, exec, s[12:13]
	v_add_u32_e32 v1, -1, v20
	v_and_b32_e32 v16, 64, v20
	v_cmp_lt_i32_e64 s[2:3], v1, v16
	v_cndmask_b32_e64 v1, v1, v20, s[2:3]
	v_lshlrev_b32_e32 v1, 2, v1
	ds_bpermute_b32 v16, v1, v21
	ds_bpermute_b32 v1, v1, v26
	; wave barrier
	s_waitcnt lgkmcnt(1)
	v_add_co_u32_e64 v16, s[2:3], v24, v16
	v_addc_co_u32_e64 v20, s[2:3], 0, v25, s[2:3]
	v_add_co_u32_e64 v16, s[2:3], 0, v16
	s_waitcnt lgkmcnt(0)
	v_addc_co_u32_e64 v1, s[2:3], v20, v1, s[2:3]
	v_cndmask_b32_e64 v21, v1, v23, s[0:1]
	v_cndmask_b32_e64 v20, v16, v22, s[0:1]
	ds_write_b64 v17, v[20:21]
	; wave barrier
	ds_read_b64 v[24:25], v17 offset:8
	s_waitcnt lgkmcnt(0)
	v_add_co_u32_e64 v20, s[0:1], v24, v20
	v_addc_co_u32_e64 v21, s[0:1], v25, v21, s[0:1]
	ds_write_b64 v17, v[20:21] offset:8
.LBB86_52:
	s_or_b64 exec, exec, s[8:9]
	v_pk_mov_b32 v[16:17], v[22:23], v[22:23] op_sel:[0,1]
	s_waitcnt lgkmcnt(0)
	s_barrier
	s_and_saveexec_b64 s[0:1], vcc
	s_cbranch_execz .LBB86_54
; %bb.53:
	v_add_u32_e32 v1, -1, v0
	v_lshrrev_b32_e32 v16, 5, v1
	v_add_lshl_u32 v1, v16, v1, 3
	ds_read_b64 v[16:17], v1
.LBB86_54:
	s_or_b64 exec, exec, s[0:1]
	s_and_saveexec_b64 s[0:1], vcc
	s_cbranch_execz .LBB86_56
; %bb.55:
	s_waitcnt lgkmcnt(0)
	v_add_co_u32_e32 v2, vcc, v16, v2
	v_addc_co_u32_e32 v3, vcc, v17, v3, vcc
	v_add_co_u32_e32 v30, vcc, v2, v4
	v_addc_co_u32_e32 v31, vcc, v3, v5, vcc
	;; [unrolled: 2-line block ×7, first 2 shown]
	;;#ASMSTART
	;;#ASMEND
.LBB86_56:
	s_or_b64 exec, exec, s[0:1]
	s_movk_i32 s0, 0x7f
	v_cmp_eq_u32_e32 vcc, s0, v0
	s_and_saveexec_b64 s[0:1], vcc
	s_cbranch_execz .LBB86_58
; %bb.57:
	s_add_u32 s2, s30, 0x400
	s_addc_u32 s3, s31, 0
	v_mov_b32_e32 v24, 2
	v_mov_b32_e32 v25, 0
	v_pk_mov_b32 v[4:5], s[2:3], s[2:3] op_sel:[0,1]
	;;#ASMSTART
	global_store_dwordx4 v[4:5], v[22:25] off	
s_waitcnt vmcnt(0)
	;;#ASMEND
.LBB86_58:
	s_or_b64 exec, exec, s[0:1]
	v_pk_mov_b32 v[24:25], v[2:3], v[2:3] op_sel:[0,1]
.LBB86_59:
	s_add_u32 s0, s24, s22
	s_addc_u32 s1, s25, s23
	s_add_u32 s0, s0, s28
	s_addc_u32 s1, s1, s29
	s_mov_b64 s[2:3], -1
	s_and_b64 vcc, exec, s[26:27]
	v_mul_u32_u24_e32 v1, 56, v0
	s_waitcnt lgkmcnt(0)
	s_barrier
	s_cbranch_vccz .LBB86_61
; %bb.60:
	v_mul_i32_i24_e32 v2, 0xffffffd0, v0
	v_mad_u32_u24 v16, v0, 56, v2
	ds_write2_b64 v1, v[24:25], v[30:31] offset1:1
	ds_write2_b64 v1, v[14:15], v[32:33] offset0:2 offset1:3
	ds_write2_b64 v1, v[18:19], v[34:35] offset0:4 offset1:5
	ds_write_b64 v1, v[22:23] offset:48
	s_waitcnt lgkmcnt(0)
	s_barrier
	ds_read2st64_b64 v[2:5], v16 offset1:2
	ds_read2st64_b64 v[6:9], v16 offset0:4 offset1:6
	ds_read2st64_b64 v[10:13], v16 offset0:8 offset1:10
	ds_read_b64 v[16:17], v16 offset:6144
	v_mov_b32_e32 v20, s1
	v_add_co_u32_e32 v21, vcc, s0, v36
	v_addc_co_u32_e32 v20, vcc, 0, v20, vcc
	s_waitcnt lgkmcnt(3)
	global_store_dwordx2 v36, v[2:3], s[0:1]
	global_store_dwordx2 v36, v[4:5], s[0:1] offset:1024
	s_waitcnt lgkmcnt(2)
	global_store_dwordx2 v36, v[6:7], s[0:1] offset:2048
	global_store_dwordx2 v36, v[8:9], s[0:1] offset:3072
	v_add_co_u32_e32 v2, vcc, 0x1000, v21
	v_addc_co_u32_e32 v3, vcc, 0, v20, vcc
	s_waitcnt lgkmcnt(1)
	global_store_dwordx2 v[2:3], v[10:11], off
	global_store_dwordx2 v[2:3], v[12:13], off offset:1024
	s_waitcnt lgkmcnt(0)
	global_store_dwordx2 v[2:3], v[16:17], off offset:2048
	s_mov_b64 s[2:3], 0
.LBB86_61:
	s_andn2_b64 vcc, exec, s[2:3]
	s_cbranch_vccnz .LBB86_100
; %bb.62:
	v_mul_i32_i24_e32 v2, 0xffffffd0, v0
	ds_write2_b64 v1, v[24:25], v[30:31] offset1:1
	ds_write2_b64 v1, v[14:15], v[32:33] offset0:2 offset1:3
	ds_write2_b64 v1, v[18:19], v[34:35] offset0:4 offset1:5
	ds_write_b64 v1, v[22:23] offset:48
	v_mad_u32_u24 v14, v0, 56, v2
	s_waitcnt lgkmcnt(0)
	s_barrier
	ds_read2st64_b64 v[2:5], v14 offset1:2
	ds_read2st64_b64 v[6:9], v14 offset0:4 offset1:6
	ds_read2st64_b64 v[10:13], v14 offset0:8 offset1:10
	ds_read_b64 v[14:15], v14 offset:6144
	v_mov_b32_e32 v17, s1
	v_add_co_u32_e32 v16, vcc, s0, v36
	v_addc_co_u32_e32 v17, vcc, 0, v17, vcc
	v_mov_b32_e32 v1, 0
	v_cmp_gt_u32_e32 vcc, s33, v0
	s_and_saveexec_b64 s[0:1], vcc
	s_cbranch_execz .LBB86_64
; %bb.63:
	s_waitcnt lgkmcnt(3)
	global_store_dwordx2 v[16:17], v[2:3], off
.LBB86_64:
	s_or_b64 exec, exec, s[0:1]
	v_or_b32_e32 v18, 0x80, v0
	v_cmp_gt_u32_e32 vcc, s33, v18
	s_and_saveexec_b64 s[0:1], vcc
	s_cbranch_execz .LBB86_66
; %bb.65:
	s_waitcnt lgkmcnt(3)
	global_store_dwordx2 v[16:17], v[4:5], off offset:1024
.LBB86_66:
	s_or_b64 exec, exec, s[0:1]
	v_or_b32_e32 v18, 0x100, v0
	v_cmp_gt_u32_e32 vcc, s33, v18
	s_and_saveexec_b64 s[0:1], vcc
	s_cbranch_execz .LBB86_68
; %bb.67:
	s_waitcnt lgkmcnt(2)
	global_store_dwordx2 v[16:17], v[6:7], off offset:2048
.LBB86_68:
	;; [unrolled: 9-line block ×3, first 2 shown]
	s_or_b64 exec, exec, s[0:1]
	v_or_b32_e32 v18, 0x200, v0
	v_cmp_gt_u32_e32 vcc, s33, v18
	s_and_saveexec_b64 s[0:1], vcc
	s_cbranch_execz .LBB86_72
; %bb.71:
	v_add_co_u32_e32 v18, vcc, 0x1000, v16
	v_addc_co_u32_e32 v19, vcc, 0, v17, vcc
	s_waitcnt lgkmcnt(1)
	global_store_dwordx2 v[18:19], v[10:11], off
.LBB86_72:
	s_or_b64 exec, exec, s[0:1]
	v_or_b32_e32 v18, 0x280, v0
	v_cmp_gt_u32_e32 vcc, s33, v18
	s_and_saveexec_b64 s[0:1], vcc
	s_cbranch_execz .LBB86_74
; %bb.73:
	v_add_co_u32_e32 v18, vcc, 0x1000, v16
	v_addc_co_u32_e32 v19, vcc, 0, v17, vcc
	s_waitcnt lgkmcnt(1)
	global_store_dwordx2 v[18:19], v[12:13], off offset:1024
.LBB86_74:
	s_or_b64 exec, exec, s[0:1]
	v_or_b32_e32 v18, 0x300, v0
	v_cmp_gt_u32_e32 vcc, s33, v18
	s_and_saveexec_b64 s[0:1], vcc
	s_cbranch_execz .LBB86_76
; %bb.75:
	v_add_co_u32_e32 v16, vcc, 0x1000, v16
	v_addc_co_u32_e32 v17, vcc, 0, v17, vcc
	s_waitcnt lgkmcnt(0)
	global_store_dwordx2 v[16:17], v[14:15], off offset:2048
.LBB86_76:
	s_or_b64 exec, exec, s[0:1]
	v_cmp_lt_u64_e64 s[0:1], s[10:11], 2
	s_and_b64 vcc, exec, s[0:1]
	s_cbranch_vccnz .LBB86_100
; %bb.77:
	s_add_u32 s0, s33, -1
	s_addc_u32 s1, s34, -1
	s_add_u32 s2, 0, 0x92481000
	s_addc_u32 s3, 0, 0x64
	s_add_i32 s3, s3, 0x249248c0
	s_mul_hi_u32 s9, s2, -7
	s_sub_i32 s9, s9, s2
	s_mul_i32 s10, s3, -7
	s_mul_i32 s4, s2, -7
	s_add_i32 s9, s9, s10
	s_mul_hi_u32 s5, s3, s4
	s_mul_i32 s8, s3, s4
	s_mul_i32 s11, s2, s9
	s_mul_hi_u32 s4, s2, s4
	s_mul_hi_u32 s10, s2, s9
	s_add_u32 s4, s4, s11
	s_addc_u32 s10, 0, s10
	s_add_u32 s4, s4, s8
	s_mul_hi_u32 s11, s3, s9
	s_addc_u32 s4, s10, s5
	s_addc_u32 s5, s11, 0
	s_mul_i32 s8, s3, s9
	s_add_u32 s4, s4, s8
	v_mov_b32_e32 v16, s4
	s_addc_u32 s5, 0, s5
	v_add_co_u32_e32 v16, vcc, s2, v16
	s_cmp_lg_u64 vcc, 0
	s_addc_u32 s2, s3, s5
	v_readfirstlane_b32 s5, v16
	s_mul_i32 s4, s0, s2
	s_mul_hi_u32 s8, s0, s5
	s_mul_hi_u32 s3, s0, s2
	s_add_u32 s4, s8, s4
	s_addc_u32 s3, 0, s3
	s_mul_hi_u32 s9, s1, s5
	s_mul_i32 s5, s1, s5
	s_add_u32 s4, s4, s5
	s_mul_hi_u32 s8, s1, s2
	s_addc_u32 s3, s3, s9
	s_addc_u32 s4, s8, 0
	s_mul_i32 s2, s1, s2
	s_add_u32 s2, s3, s2
	s_addc_u32 s3, 0, s4
	s_add_u32 s4, s2, 1
	s_addc_u32 s5, s3, 0
	s_add_u32 s8, s2, 2
	s_mul_i32 s10, s3, 7
	s_mul_hi_u32 s11, s2, 7
	s_addc_u32 s9, s3, 0
	s_add_i32 s11, s11, s10
	s_mul_i32 s10, s2, 7
	v_mov_b32_e32 v16, s10
	v_sub_co_u32_e32 v16, vcc, s0, v16
	s_cmp_lg_u64 vcc, 0
	s_subb_u32 s10, s1, s11
	v_subrev_co_u32_e32 v17, vcc, 7, v16
	s_cmp_lg_u64 vcc, 0
	s_subb_u32 s11, s10, 0
	v_readfirstlane_b32 s12, v17
	s_cmp_gt_u32 s12, 6
	s_cselect_b32 s12, -1, 0
	s_cmp_eq_u32 s11, 0
	s_cselect_b32 s11, s12, -1
	s_cmp_lg_u32 s11, 0
	s_cselect_b32 s4, s8, s4
	v_readfirstlane_b32 s8, v16
	s_cselect_b32 s5, s9, s5
	s_cmp_gt_u32 s8, 6
	s_cselect_b32 s8, -1, 0
	s_cmp_eq_u32 s10, 0
	s_cselect_b32 s8, s8, -1
	s_cmp_lg_u32 s8, 0
	s_cselect_b32 s3, s5, s3
	s_cselect_b32 s2, s4, s2
	v_cmp_eq_u64_e32 vcc, s[2:3], v[0:1]
	s_and_saveexec_b64 s[2:3], vcc
	s_cbranch_execz .LBB86_100
; %bb.78:
	v_mul_hi_u32_u24_e32 v1, 7, v0
	v_mov_b32_e32 v16, s1
	v_sub_co_u32_e32 v0, vcc, s0, v37
	v_subb_co_u32_e32 v1, vcc, v16, v1, vcc
	v_cmp_lt_i64_e32 vcc, 3, v[0:1]
	s_and_saveexec_b64 s[0:1], vcc
	s_xor_b64 s[0:1], exec, s[0:1]
	s_cbranch_execz .LBB86_88
; %bb.79:
	v_cmp_lt_i64_e32 vcc, 4, v[0:1]
	s_and_saveexec_b64 s[2:3], vcc
	s_xor_b64 s[2:3], exec, s[2:3]
	s_cbranch_execz .LBB86_85
; %bb.80:
	;; [unrolled: 5-line block ×3, first 2 shown]
	v_mov_b32_e32 v0, 0
	s_waitcnt lgkmcnt(0)
	global_store_dwordx2 v0, v[14:15], s[6:7]
                                        ; implicit-def: $vgpr10_vgpr11_vgpr12_vgpr13
.LBB86_82:
	s_andn2_saveexec_b64 s[4:5], s[4:5]
	s_cbranch_execz .LBB86_84
; %bb.83:
	v_mov_b32_e32 v0, 0
	s_waitcnt lgkmcnt(1)
	global_store_dwordx2 v0, v[12:13], s[6:7]
.LBB86_84:
	s_or_b64 exec, exec, s[4:5]
                                        ; implicit-def: $vgpr10_vgpr11_vgpr12_vgpr13
.LBB86_85:
	s_andn2_saveexec_b64 s[2:3], s[2:3]
	s_cbranch_execz .LBB86_87
; %bb.86:
	v_mov_b32_e32 v0, 0
	s_waitcnt lgkmcnt(1)
	global_store_dwordx2 v0, v[10:11], s[6:7]
.LBB86_87:
	s_or_b64 exec, exec, s[2:3]
                                        ; implicit-def: $vgpr0_vgpr1
                                        ; implicit-def: $vgpr2_vgpr3_vgpr4_vgpr5
                                        ; implicit-def: $vgpr6_vgpr7_vgpr8_vgpr9
.LBB86_88:
	s_andn2_saveexec_b64 s[0:1], s[0:1]
	s_cbranch_execz .LBB86_100
; %bb.89:
	v_cmp_lt_i64_e32 vcc, 1, v[0:1]
	s_and_saveexec_b64 s[0:1], vcc
	s_xor_b64 s[0:1], exec, s[0:1]
	s_cbranch_execz .LBB86_95
; %bb.90:
	v_cmp_lt_i64_e32 vcc, 2, v[0:1]
	s_and_saveexec_b64 s[2:3], vcc
	s_xor_b64 s[2:3], exec, s[2:3]
	s_cbranch_execz .LBB86_92
; %bb.91:
	v_mov_b32_e32 v0, 0
	s_waitcnt lgkmcnt(2)
	global_store_dwordx2 v0, v[8:9], s[6:7]
                                        ; implicit-def: $vgpr6_vgpr7_vgpr8_vgpr9
.LBB86_92:
	s_andn2_saveexec_b64 s[2:3], s[2:3]
	s_cbranch_execz .LBB86_94
; %bb.93:
	v_mov_b32_e32 v0, 0
	s_waitcnt lgkmcnt(2)
	global_store_dwordx2 v0, v[6:7], s[6:7]
.LBB86_94:
	s_or_b64 exec, exec, s[2:3]
                                        ; implicit-def: $vgpr2_vgpr3_vgpr4_vgpr5
                                        ; implicit-def: $vgpr0_vgpr1
.LBB86_95:
	s_andn2_saveexec_b64 s[0:1], s[0:1]
	s_cbranch_execz .LBB86_100
; %bb.96:
	v_cmp_ne_u64_e32 vcc, 1, v[0:1]
	s_and_saveexec_b64 s[0:1], vcc
	s_xor_b64 s[0:1], exec, s[0:1]
	s_cbranch_execz .LBB86_98
; %bb.97:
	v_mov_b32_e32 v0, 0
	s_waitcnt lgkmcnt(3)
	global_store_dwordx2 v0, v[2:3], s[6:7]
                                        ; implicit-def: $vgpr2_vgpr3_vgpr4_vgpr5
.LBB86_98:
	s_andn2_saveexec_b64 s[0:1], s[0:1]
	s_cbranch_execz .LBB86_100
; %bb.99:
	v_mov_b32_e32 v0, 0
	s_waitcnt lgkmcnt(3)
	global_store_dwordx2 v0, v[4:5], s[6:7]
.LBB86_100:
	s_endpgm
	.section	.rodata,"a",@progbits
	.p2align	6, 0x0
	.amdhsa_kernel _ZN7rocprim17ROCPRIM_400000_NS6detail17trampoline_kernelINS0_14default_configENS1_20scan_config_selectorIlEEZZNS1_9scan_implILNS1_25lookback_scan_determinismE0ELb0ELb0ES3_PlS8_lN6thrust23THRUST_200600_302600_NS4plusIvEElEEDaPvRmT3_T4_T5_mT6_P12ihipStream_tbENKUlT_T0_E_clISt17integral_constantIbLb0EESQ_EEDaSL_SM_EUlSL_E_NS1_11comp_targetILNS1_3genE4ELNS1_11target_archE910ELNS1_3gpuE8ELNS1_3repE0EEENS1_30default_config_static_selectorELNS0_4arch9wavefront6targetE1EEEvT1_
		.amdhsa_group_segment_fixed_size 7168
		.amdhsa_private_segment_fixed_size 0
		.amdhsa_kernarg_size 104
		.amdhsa_user_sgpr_count 6
		.amdhsa_user_sgpr_private_segment_buffer 1
		.amdhsa_user_sgpr_dispatch_ptr 0
		.amdhsa_user_sgpr_queue_ptr 0
		.amdhsa_user_sgpr_kernarg_segment_ptr 1
		.amdhsa_user_sgpr_dispatch_id 0
		.amdhsa_user_sgpr_flat_scratch_init 0
		.amdhsa_user_sgpr_kernarg_preload_length 0
		.amdhsa_user_sgpr_kernarg_preload_offset 0
		.amdhsa_user_sgpr_private_segment_size 0
		.amdhsa_uses_dynamic_stack 0
		.amdhsa_system_sgpr_private_segment_wavefront_offset 0
		.amdhsa_system_sgpr_workgroup_id_x 1
		.amdhsa_system_sgpr_workgroup_id_y 0
		.amdhsa_system_sgpr_workgroup_id_z 0
		.amdhsa_system_sgpr_workgroup_info 0
		.amdhsa_system_vgpr_workitem_id 0
		.amdhsa_next_free_vgpr 51
		.amdhsa_next_free_sgpr 35
		.amdhsa_accum_offset 52
		.amdhsa_reserve_vcc 1
		.amdhsa_reserve_flat_scratch 0
		.amdhsa_float_round_mode_32 0
		.amdhsa_float_round_mode_16_64 0
		.amdhsa_float_denorm_mode_32 3
		.amdhsa_float_denorm_mode_16_64 3
		.amdhsa_dx10_clamp 1
		.amdhsa_ieee_mode 1
		.amdhsa_fp16_overflow 0
		.amdhsa_tg_split 0
		.amdhsa_exception_fp_ieee_invalid_op 0
		.amdhsa_exception_fp_denorm_src 0
		.amdhsa_exception_fp_ieee_div_zero 0
		.amdhsa_exception_fp_ieee_overflow 0
		.amdhsa_exception_fp_ieee_underflow 0
		.amdhsa_exception_fp_ieee_inexact 0
		.amdhsa_exception_int_div_zero 0
	.end_amdhsa_kernel
	.section	.text._ZN7rocprim17ROCPRIM_400000_NS6detail17trampoline_kernelINS0_14default_configENS1_20scan_config_selectorIlEEZZNS1_9scan_implILNS1_25lookback_scan_determinismE0ELb0ELb0ES3_PlS8_lN6thrust23THRUST_200600_302600_NS4plusIvEElEEDaPvRmT3_T4_T5_mT6_P12ihipStream_tbENKUlT_T0_E_clISt17integral_constantIbLb0EESQ_EEDaSL_SM_EUlSL_E_NS1_11comp_targetILNS1_3genE4ELNS1_11target_archE910ELNS1_3gpuE8ELNS1_3repE0EEENS1_30default_config_static_selectorELNS0_4arch9wavefront6targetE1EEEvT1_,"axG",@progbits,_ZN7rocprim17ROCPRIM_400000_NS6detail17trampoline_kernelINS0_14default_configENS1_20scan_config_selectorIlEEZZNS1_9scan_implILNS1_25lookback_scan_determinismE0ELb0ELb0ES3_PlS8_lN6thrust23THRUST_200600_302600_NS4plusIvEElEEDaPvRmT3_T4_T5_mT6_P12ihipStream_tbENKUlT_T0_E_clISt17integral_constantIbLb0EESQ_EEDaSL_SM_EUlSL_E_NS1_11comp_targetILNS1_3genE4ELNS1_11target_archE910ELNS1_3gpuE8ELNS1_3repE0EEENS1_30default_config_static_selectorELNS0_4arch9wavefront6targetE1EEEvT1_,comdat
.Lfunc_end86:
	.size	_ZN7rocprim17ROCPRIM_400000_NS6detail17trampoline_kernelINS0_14default_configENS1_20scan_config_selectorIlEEZZNS1_9scan_implILNS1_25lookback_scan_determinismE0ELb0ELb0ES3_PlS8_lN6thrust23THRUST_200600_302600_NS4plusIvEElEEDaPvRmT3_T4_T5_mT6_P12ihipStream_tbENKUlT_T0_E_clISt17integral_constantIbLb0EESQ_EEDaSL_SM_EUlSL_E_NS1_11comp_targetILNS1_3genE4ELNS1_11target_archE910ELNS1_3gpuE8ELNS1_3repE0EEENS1_30default_config_static_selectorELNS0_4arch9wavefront6targetE1EEEvT1_, .Lfunc_end86-_ZN7rocprim17ROCPRIM_400000_NS6detail17trampoline_kernelINS0_14default_configENS1_20scan_config_selectorIlEEZZNS1_9scan_implILNS1_25lookback_scan_determinismE0ELb0ELb0ES3_PlS8_lN6thrust23THRUST_200600_302600_NS4plusIvEElEEDaPvRmT3_T4_T5_mT6_P12ihipStream_tbENKUlT_T0_E_clISt17integral_constantIbLb0EESQ_EEDaSL_SM_EUlSL_E_NS1_11comp_targetILNS1_3genE4ELNS1_11target_archE910ELNS1_3gpuE8ELNS1_3repE0EEENS1_30default_config_static_selectorELNS0_4arch9wavefront6targetE1EEEvT1_
                                        ; -- End function
	.section	.AMDGPU.csdata,"",@progbits
; Kernel info:
; codeLenInByte = 5724
; NumSgprs: 39
; NumVgprs: 51
; NumAgprs: 0
; TotalNumVgprs: 51
; ScratchSize: 0
; MemoryBound: 0
; FloatMode: 240
; IeeeMode: 1
; LDSByteSize: 7168 bytes/workgroup (compile time only)
; SGPRBlocks: 4
; VGPRBlocks: 6
; NumSGPRsForWavesPerEU: 39
; NumVGPRsForWavesPerEU: 51
; AccumOffset: 52
; Occupancy: 5
; WaveLimiterHint : 1
; COMPUTE_PGM_RSRC2:SCRATCH_EN: 0
; COMPUTE_PGM_RSRC2:USER_SGPR: 6
; COMPUTE_PGM_RSRC2:TRAP_HANDLER: 0
; COMPUTE_PGM_RSRC2:TGID_X_EN: 1
; COMPUTE_PGM_RSRC2:TGID_Y_EN: 0
; COMPUTE_PGM_RSRC2:TGID_Z_EN: 0
; COMPUTE_PGM_RSRC2:TIDIG_COMP_CNT: 0
; COMPUTE_PGM_RSRC3_GFX90A:ACCUM_OFFSET: 12
; COMPUTE_PGM_RSRC3_GFX90A:TG_SPLIT: 0
	.section	.text._ZN7rocprim17ROCPRIM_400000_NS6detail17trampoline_kernelINS0_14default_configENS1_20scan_config_selectorIlEEZZNS1_9scan_implILNS1_25lookback_scan_determinismE0ELb0ELb0ES3_PlS8_lN6thrust23THRUST_200600_302600_NS4plusIvEElEEDaPvRmT3_T4_T5_mT6_P12ihipStream_tbENKUlT_T0_E_clISt17integral_constantIbLb0EESQ_EEDaSL_SM_EUlSL_E_NS1_11comp_targetILNS1_3genE3ELNS1_11target_archE908ELNS1_3gpuE7ELNS1_3repE0EEENS1_30default_config_static_selectorELNS0_4arch9wavefront6targetE1EEEvT1_,"axG",@progbits,_ZN7rocprim17ROCPRIM_400000_NS6detail17trampoline_kernelINS0_14default_configENS1_20scan_config_selectorIlEEZZNS1_9scan_implILNS1_25lookback_scan_determinismE0ELb0ELb0ES3_PlS8_lN6thrust23THRUST_200600_302600_NS4plusIvEElEEDaPvRmT3_T4_T5_mT6_P12ihipStream_tbENKUlT_T0_E_clISt17integral_constantIbLb0EESQ_EEDaSL_SM_EUlSL_E_NS1_11comp_targetILNS1_3genE3ELNS1_11target_archE908ELNS1_3gpuE7ELNS1_3repE0EEENS1_30default_config_static_selectorELNS0_4arch9wavefront6targetE1EEEvT1_,comdat
	.protected	_ZN7rocprim17ROCPRIM_400000_NS6detail17trampoline_kernelINS0_14default_configENS1_20scan_config_selectorIlEEZZNS1_9scan_implILNS1_25lookback_scan_determinismE0ELb0ELb0ES3_PlS8_lN6thrust23THRUST_200600_302600_NS4plusIvEElEEDaPvRmT3_T4_T5_mT6_P12ihipStream_tbENKUlT_T0_E_clISt17integral_constantIbLb0EESQ_EEDaSL_SM_EUlSL_E_NS1_11comp_targetILNS1_3genE3ELNS1_11target_archE908ELNS1_3gpuE7ELNS1_3repE0EEENS1_30default_config_static_selectorELNS0_4arch9wavefront6targetE1EEEvT1_ ; -- Begin function _ZN7rocprim17ROCPRIM_400000_NS6detail17trampoline_kernelINS0_14default_configENS1_20scan_config_selectorIlEEZZNS1_9scan_implILNS1_25lookback_scan_determinismE0ELb0ELb0ES3_PlS8_lN6thrust23THRUST_200600_302600_NS4plusIvEElEEDaPvRmT3_T4_T5_mT6_P12ihipStream_tbENKUlT_T0_E_clISt17integral_constantIbLb0EESQ_EEDaSL_SM_EUlSL_E_NS1_11comp_targetILNS1_3genE3ELNS1_11target_archE908ELNS1_3gpuE7ELNS1_3repE0EEENS1_30default_config_static_selectorELNS0_4arch9wavefront6targetE1EEEvT1_
	.globl	_ZN7rocprim17ROCPRIM_400000_NS6detail17trampoline_kernelINS0_14default_configENS1_20scan_config_selectorIlEEZZNS1_9scan_implILNS1_25lookback_scan_determinismE0ELb0ELb0ES3_PlS8_lN6thrust23THRUST_200600_302600_NS4plusIvEElEEDaPvRmT3_T4_T5_mT6_P12ihipStream_tbENKUlT_T0_E_clISt17integral_constantIbLb0EESQ_EEDaSL_SM_EUlSL_E_NS1_11comp_targetILNS1_3genE3ELNS1_11target_archE908ELNS1_3gpuE7ELNS1_3repE0EEENS1_30default_config_static_selectorELNS0_4arch9wavefront6targetE1EEEvT1_
	.p2align	8
	.type	_ZN7rocprim17ROCPRIM_400000_NS6detail17trampoline_kernelINS0_14default_configENS1_20scan_config_selectorIlEEZZNS1_9scan_implILNS1_25lookback_scan_determinismE0ELb0ELb0ES3_PlS8_lN6thrust23THRUST_200600_302600_NS4plusIvEElEEDaPvRmT3_T4_T5_mT6_P12ihipStream_tbENKUlT_T0_E_clISt17integral_constantIbLb0EESQ_EEDaSL_SM_EUlSL_E_NS1_11comp_targetILNS1_3genE3ELNS1_11target_archE908ELNS1_3gpuE7ELNS1_3repE0EEENS1_30default_config_static_selectorELNS0_4arch9wavefront6targetE1EEEvT1_,@function
_ZN7rocprim17ROCPRIM_400000_NS6detail17trampoline_kernelINS0_14default_configENS1_20scan_config_selectorIlEEZZNS1_9scan_implILNS1_25lookback_scan_determinismE0ELb0ELb0ES3_PlS8_lN6thrust23THRUST_200600_302600_NS4plusIvEElEEDaPvRmT3_T4_T5_mT6_P12ihipStream_tbENKUlT_T0_E_clISt17integral_constantIbLb0EESQ_EEDaSL_SM_EUlSL_E_NS1_11comp_targetILNS1_3genE3ELNS1_11target_archE908ELNS1_3gpuE7ELNS1_3repE0EEENS1_30default_config_static_selectorELNS0_4arch9wavefront6targetE1EEEvT1_: ; @_ZN7rocprim17ROCPRIM_400000_NS6detail17trampoline_kernelINS0_14default_configENS1_20scan_config_selectorIlEEZZNS1_9scan_implILNS1_25lookback_scan_determinismE0ELb0ELb0ES3_PlS8_lN6thrust23THRUST_200600_302600_NS4plusIvEElEEDaPvRmT3_T4_T5_mT6_P12ihipStream_tbENKUlT_T0_E_clISt17integral_constantIbLb0EESQ_EEDaSL_SM_EUlSL_E_NS1_11comp_targetILNS1_3genE3ELNS1_11target_archE908ELNS1_3gpuE7ELNS1_3repE0EEENS1_30default_config_static_selectorELNS0_4arch9wavefront6targetE1EEEvT1_
; %bb.0:
	.section	.rodata,"a",@progbits
	.p2align	6, 0x0
	.amdhsa_kernel _ZN7rocprim17ROCPRIM_400000_NS6detail17trampoline_kernelINS0_14default_configENS1_20scan_config_selectorIlEEZZNS1_9scan_implILNS1_25lookback_scan_determinismE0ELb0ELb0ES3_PlS8_lN6thrust23THRUST_200600_302600_NS4plusIvEElEEDaPvRmT3_T4_T5_mT6_P12ihipStream_tbENKUlT_T0_E_clISt17integral_constantIbLb0EESQ_EEDaSL_SM_EUlSL_E_NS1_11comp_targetILNS1_3genE3ELNS1_11target_archE908ELNS1_3gpuE7ELNS1_3repE0EEENS1_30default_config_static_selectorELNS0_4arch9wavefront6targetE1EEEvT1_
		.amdhsa_group_segment_fixed_size 0
		.amdhsa_private_segment_fixed_size 0
		.amdhsa_kernarg_size 104
		.amdhsa_user_sgpr_count 6
		.amdhsa_user_sgpr_private_segment_buffer 1
		.amdhsa_user_sgpr_dispatch_ptr 0
		.amdhsa_user_sgpr_queue_ptr 0
		.amdhsa_user_sgpr_kernarg_segment_ptr 1
		.amdhsa_user_sgpr_dispatch_id 0
		.amdhsa_user_sgpr_flat_scratch_init 0
		.amdhsa_user_sgpr_kernarg_preload_length 0
		.amdhsa_user_sgpr_kernarg_preload_offset 0
		.amdhsa_user_sgpr_private_segment_size 0
		.amdhsa_uses_dynamic_stack 0
		.amdhsa_system_sgpr_private_segment_wavefront_offset 0
		.amdhsa_system_sgpr_workgroup_id_x 1
		.amdhsa_system_sgpr_workgroup_id_y 0
		.amdhsa_system_sgpr_workgroup_id_z 0
		.amdhsa_system_sgpr_workgroup_info 0
		.amdhsa_system_vgpr_workitem_id 0
		.amdhsa_next_free_vgpr 1
		.amdhsa_next_free_sgpr 0
		.amdhsa_accum_offset 4
		.amdhsa_reserve_vcc 0
		.amdhsa_reserve_flat_scratch 0
		.amdhsa_float_round_mode_32 0
		.amdhsa_float_round_mode_16_64 0
		.amdhsa_float_denorm_mode_32 3
		.amdhsa_float_denorm_mode_16_64 3
		.amdhsa_dx10_clamp 1
		.amdhsa_ieee_mode 1
		.amdhsa_fp16_overflow 0
		.amdhsa_tg_split 0
		.amdhsa_exception_fp_ieee_invalid_op 0
		.amdhsa_exception_fp_denorm_src 0
		.amdhsa_exception_fp_ieee_div_zero 0
		.amdhsa_exception_fp_ieee_overflow 0
		.amdhsa_exception_fp_ieee_underflow 0
		.amdhsa_exception_fp_ieee_inexact 0
		.amdhsa_exception_int_div_zero 0
	.end_amdhsa_kernel
	.section	.text._ZN7rocprim17ROCPRIM_400000_NS6detail17trampoline_kernelINS0_14default_configENS1_20scan_config_selectorIlEEZZNS1_9scan_implILNS1_25lookback_scan_determinismE0ELb0ELb0ES3_PlS8_lN6thrust23THRUST_200600_302600_NS4plusIvEElEEDaPvRmT3_T4_T5_mT6_P12ihipStream_tbENKUlT_T0_E_clISt17integral_constantIbLb0EESQ_EEDaSL_SM_EUlSL_E_NS1_11comp_targetILNS1_3genE3ELNS1_11target_archE908ELNS1_3gpuE7ELNS1_3repE0EEENS1_30default_config_static_selectorELNS0_4arch9wavefront6targetE1EEEvT1_,"axG",@progbits,_ZN7rocprim17ROCPRIM_400000_NS6detail17trampoline_kernelINS0_14default_configENS1_20scan_config_selectorIlEEZZNS1_9scan_implILNS1_25lookback_scan_determinismE0ELb0ELb0ES3_PlS8_lN6thrust23THRUST_200600_302600_NS4plusIvEElEEDaPvRmT3_T4_T5_mT6_P12ihipStream_tbENKUlT_T0_E_clISt17integral_constantIbLb0EESQ_EEDaSL_SM_EUlSL_E_NS1_11comp_targetILNS1_3genE3ELNS1_11target_archE908ELNS1_3gpuE7ELNS1_3repE0EEENS1_30default_config_static_selectorELNS0_4arch9wavefront6targetE1EEEvT1_,comdat
.Lfunc_end87:
	.size	_ZN7rocprim17ROCPRIM_400000_NS6detail17trampoline_kernelINS0_14default_configENS1_20scan_config_selectorIlEEZZNS1_9scan_implILNS1_25lookback_scan_determinismE0ELb0ELb0ES3_PlS8_lN6thrust23THRUST_200600_302600_NS4plusIvEElEEDaPvRmT3_T4_T5_mT6_P12ihipStream_tbENKUlT_T0_E_clISt17integral_constantIbLb0EESQ_EEDaSL_SM_EUlSL_E_NS1_11comp_targetILNS1_3genE3ELNS1_11target_archE908ELNS1_3gpuE7ELNS1_3repE0EEENS1_30default_config_static_selectorELNS0_4arch9wavefront6targetE1EEEvT1_, .Lfunc_end87-_ZN7rocprim17ROCPRIM_400000_NS6detail17trampoline_kernelINS0_14default_configENS1_20scan_config_selectorIlEEZZNS1_9scan_implILNS1_25lookback_scan_determinismE0ELb0ELb0ES3_PlS8_lN6thrust23THRUST_200600_302600_NS4plusIvEElEEDaPvRmT3_T4_T5_mT6_P12ihipStream_tbENKUlT_T0_E_clISt17integral_constantIbLb0EESQ_EEDaSL_SM_EUlSL_E_NS1_11comp_targetILNS1_3genE3ELNS1_11target_archE908ELNS1_3gpuE7ELNS1_3repE0EEENS1_30default_config_static_selectorELNS0_4arch9wavefront6targetE1EEEvT1_
                                        ; -- End function
	.section	.AMDGPU.csdata,"",@progbits
; Kernel info:
; codeLenInByte = 0
; NumSgprs: 4
; NumVgprs: 0
; NumAgprs: 0
; TotalNumVgprs: 0
; ScratchSize: 0
; MemoryBound: 0
; FloatMode: 240
; IeeeMode: 1
; LDSByteSize: 0 bytes/workgroup (compile time only)
; SGPRBlocks: 0
; VGPRBlocks: 0
; NumSGPRsForWavesPerEU: 4
; NumVGPRsForWavesPerEU: 1
; AccumOffset: 4
; Occupancy: 8
; WaveLimiterHint : 0
; COMPUTE_PGM_RSRC2:SCRATCH_EN: 0
; COMPUTE_PGM_RSRC2:USER_SGPR: 6
; COMPUTE_PGM_RSRC2:TRAP_HANDLER: 0
; COMPUTE_PGM_RSRC2:TGID_X_EN: 1
; COMPUTE_PGM_RSRC2:TGID_Y_EN: 0
; COMPUTE_PGM_RSRC2:TGID_Z_EN: 0
; COMPUTE_PGM_RSRC2:TIDIG_COMP_CNT: 0
; COMPUTE_PGM_RSRC3_GFX90A:ACCUM_OFFSET: 0
; COMPUTE_PGM_RSRC3_GFX90A:TG_SPLIT: 0
	.section	.text._ZN7rocprim17ROCPRIM_400000_NS6detail17trampoline_kernelINS0_14default_configENS1_20scan_config_selectorIlEEZZNS1_9scan_implILNS1_25lookback_scan_determinismE0ELb0ELb0ES3_PlS8_lN6thrust23THRUST_200600_302600_NS4plusIvEElEEDaPvRmT3_T4_T5_mT6_P12ihipStream_tbENKUlT_T0_E_clISt17integral_constantIbLb0EESQ_EEDaSL_SM_EUlSL_E_NS1_11comp_targetILNS1_3genE2ELNS1_11target_archE906ELNS1_3gpuE6ELNS1_3repE0EEENS1_30default_config_static_selectorELNS0_4arch9wavefront6targetE1EEEvT1_,"axG",@progbits,_ZN7rocprim17ROCPRIM_400000_NS6detail17trampoline_kernelINS0_14default_configENS1_20scan_config_selectorIlEEZZNS1_9scan_implILNS1_25lookback_scan_determinismE0ELb0ELb0ES3_PlS8_lN6thrust23THRUST_200600_302600_NS4plusIvEElEEDaPvRmT3_T4_T5_mT6_P12ihipStream_tbENKUlT_T0_E_clISt17integral_constantIbLb0EESQ_EEDaSL_SM_EUlSL_E_NS1_11comp_targetILNS1_3genE2ELNS1_11target_archE906ELNS1_3gpuE6ELNS1_3repE0EEENS1_30default_config_static_selectorELNS0_4arch9wavefront6targetE1EEEvT1_,comdat
	.protected	_ZN7rocprim17ROCPRIM_400000_NS6detail17trampoline_kernelINS0_14default_configENS1_20scan_config_selectorIlEEZZNS1_9scan_implILNS1_25lookback_scan_determinismE0ELb0ELb0ES3_PlS8_lN6thrust23THRUST_200600_302600_NS4plusIvEElEEDaPvRmT3_T4_T5_mT6_P12ihipStream_tbENKUlT_T0_E_clISt17integral_constantIbLb0EESQ_EEDaSL_SM_EUlSL_E_NS1_11comp_targetILNS1_3genE2ELNS1_11target_archE906ELNS1_3gpuE6ELNS1_3repE0EEENS1_30default_config_static_selectorELNS0_4arch9wavefront6targetE1EEEvT1_ ; -- Begin function _ZN7rocprim17ROCPRIM_400000_NS6detail17trampoline_kernelINS0_14default_configENS1_20scan_config_selectorIlEEZZNS1_9scan_implILNS1_25lookback_scan_determinismE0ELb0ELb0ES3_PlS8_lN6thrust23THRUST_200600_302600_NS4plusIvEElEEDaPvRmT3_T4_T5_mT6_P12ihipStream_tbENKUlT_T0_E_clISt17integral_constantIbLb0EESQ_EEDaSL_SM_EUlSL_E_NS1_11comp_targetILNS1_3genE2ELNS1_11target_archE906ELNS1_3gpuE6ELNS1_3repE0EEENS1_30default_config_static_selectorELNS0_4arch9wavefront6targetE1EEEvT1_
	.globl	_ZN7rocprim17ROCPRIM_400000_NS6detail17trampoline_kernelINS0_14default_configENS1_20scan_config_selectorIlEEZZNS1_9scan_implILNS1_25lookback_scan_determinismE0ELb0ELb0ES3_PlS8_lN6thrust23THRUST_200600_302600_NS4plusIvEElEEDaPvRmT3_T4_T5_mT6_P12ihipStream_tbENKUlT_T0_E_clISt17integral_constantIbLb0EESQ_EEDaSL_SM_EUlSL_E_NS1_11comp_targetILNS1_3genE2ELNS1_11target_archE906ELNS1_3gpuE6ELNS1_3repE0EEENS1_30default_config_static_selectorELNS0_4arch9wavefront6targetE1EEEvT1_
	.p2align	8
	.type	_ZN7rocprim17ROCPRIM_400000_NS6detail17trampoline_kernelINS0_14default_configENS1_20scan_config_selectorIlEEZZNS1_9scan_implILNS1_25lookback_scan_determinismE0ELb0ELb0ES3_PlS8_lN6thrust23THRUST_200600_302600_NS4plusIvEElEEDaPvRmT3_T4_T5_mT6_P12ihipStream_tbENKUlT_T0_E_clISt17integral_constantIbLb0EESQ_EEDaSL_SM_EUlSL_E_NS1_11comp_targetILNS1_3genE2ELNS1_11target_archE906ELNS1_3gpuE6ELNS1_3repE0EEENS1_30default_config_static_selectorELNS0_4arch9wavefront6targetE1EEEvT1_,@function
_ZN7rocprim17ROCPRIM_400000_NS6detail17trampoline_kernelINS0_14default_configENS1_20scan_config_selectorIlEEZZNS1_9scan_implILNS1_25lookback_scan_determinismE0ELb0ELb0ES3_PlS8_lN6thrust23THRUST_200600_302600_NS4plusIvEElEEDaPvRmT3_T4_T5_mT6_P12ihipStream_tbENKUlT_T0_E_clISt17integral_constantIbLb0EESQ_EEDaSL_SM_EUlSL_E_NS1_11comp_targetILNS1_3genE2ELNS1_11target_archE906ELNS1_3gpuE6ELNS1_3repE0EEENS1_30default_config_static_selectorELNS0_4arch9wavefront6targetE1EEEvT1_: ; @_ZN7rocprim17ROCPRIM_400000_NS6detail17trampoline_kernelINS0_14default_configENS1_20scan_config_selectorIlEEZZNS1_9scan_implILNS1_25lookback_scan_determinismE0ELb0ELb0ES3_PlS8_lN6thrust23THRUST_200600_302600_NS4plusIvEElEEDaPvRmT3_T4_T5_mT6_P12ihipStream_tbENKUlT_T0_E_clISt17integral_constantIbLb0EESQ_EEDaSL_SM_EUlSL_E_NS1_11comp_targetILNS1_3genE2ELNS1_11target_archE906ELNS1_3gpuE6ELNS1_3repE0EEENS1_30default_config_static_selectorELNS0_4arch9wavefront6targetE1EEEvT1_
; %bb.0:
	.section	.rodata,"a",@progbits
	.p2align	6, 0x0
	.amdhsa_kernel _ZN7rocprim17ROCPRIM_400000_NS6detail17trampoline_kernelINS0_14default_configENS1_20scan_config_selectorIlEEZZNS1_9scan_implILNS1_25lookback_scan_determinismE0ELb0ELb0ES3_PlS8_lN6thrust23THRUST_200600_302600_NS4plusIvEElEEDaPvRmT3_T4_T5_mT6_P12ihipStream_tbENKUlT_T0_E_clISt17integral_constantIbLb0EESQ_EEDaSL_SM_EUlSL_E_NS1_11comp_targetILNS1_3genE2ELNS1_11target_archE906ELNS1_3gpuE6ELNS1_3repE0EEENS1_30default_config_static_selectorELNS0_4arch9wavefront6targetE1EEEvT1_
		.amdhsa_group_segment_fixed_size 0
		.amdhsa_private_segment_fixed_size 0
		.amdhsa_kernarg_size 104
		.amdhsa_user_sgpr_count 6
		.amdhsa_user_sgpr_private_segment_buffer 1
		.amdhsa_user_sgpr_dispatch_ptr 0
		.amdhsa_user_sgpr_queue_ptr 0
		.amdhsa_user_sgpr_kernarg_segment_ptr 1
		.amdhsa_user_sgpr_dispatch_id 0
		.amdhsa_user_sgpr_flat_scratch_init 0
		.amdhsa_user_sgpr_kernarg_preload_length 0
		.amdhsa_user_sgpr_kernarg_preload_offset 0
		.amdhsa_user_sgpr_private_segment_size 0
		.amdhsa_uses_dynamic_stack 0
		.amdhsa_system_sgpr_private_segment_wavefront_offset 0
		.amdhsa_system_sgpr_workgroup_id_x 1
		.amdhsa_system_sgpr_workgroup_id_y 0
		.amdhsa_system_sgpr_workgroup_id_z 0
		.amdhsa_system_sgpr_workgroup_info 0
		.amdhsa_system_vgpr_workitem_id 0
		.amdhsa_next_free_vgpr 1
		.amdhsa_next_free_sgpr 0
		.amdhsa_accum_offset 4
		.amdhsa_reserve_vcc 0
		.amdhsa_reserve_flat_scratch 0
		.amdhsa_float_round_mode_32 0
		.amdhsa_float_round_mode_16_64 0
		.amdhsa_float_denorm_mode_32 3
		.amdhsa_float_denorm_mode_16_64 3
		.amdhsa_dx10_clamp 1
		.amdhsa_ieee_mode 1
		.amdhsa_fp16_overflow 0
		.amdhsa_tg_split 0
		.amdhsa_exception_fp_ieee_invalid_op 0
		.amdhsa_exception_fp_denorm_src 0
		.amdhsa_exception_fp_ieee_div_zero 0
		.amdhsa_exception_fp_ieee_overflow 0
		.amdhsa_exception_fp_ieee_underflow 0
		.amdhsa_exception_fp_ieee_inexact 0
		.amdhsa_exception_int_div_zero 0
	.end_amdhsa_kernel
	.section	.text._ZN7rocprim17ROCPRIM_400000_NS6detail17trampoline_kernelINS0_14default_configENS1_20scan_config_selectorIlEEZZNS1_9scan_implILNS1_25lookback_scan_determinismE0ELb0ELb0ES3_PlS8_lN6thrust23THRUST_200600_302600_NS4plusIvEElEEDaPvRmT3_T4_T5_mT6_P12ihipStream_tbENKUlT_T0_E_clISt17integral_constantIbLb0EESQ_EEDaSL_SM_EUlSL_E_NS1_11comp_targetILNS1_3genE2ELNS1_11target_archE906ELNS1_3gpuE6ELNS1_3repE0EEENS1_30default_config_static_selectorELNS0_4arch9wavefront6targetE1EEEvT1_,"axG",@progbits,_ZN7rocprim17ROCPRIM_400000_NS6detail17trampoline_kernelINS0_14default_configENS1_20scan_config_selectorIlEEZZNS1_9scan_implILNS1_25lookback_scan_determinismE0ELb0ELb0ES3_PlS8_lN6thrust23THRUST_200600_302600_NS4plusIvEElEEDaPvRmT3_T4_T5_mT6_P12ihipStream_tbENKUlT_T0_E_clISt17integral_constantIbLb0EESQ_EEDaSL_SM_EUlSL_E_NS1_11comp_targetILNS1_3genE2ELNS1_11target_archE906ELNS1_3gpuE6ELNS1_3repE0EEENS1_30default_config_static_selectorELNS0_4arch9wavefront6targetE1EEEvT1_,comdat
.Lfunc_end88:
	.size	_ZN7rocprim17ROCPRIM_400000_NS6detail17trampoline_kernelINS0_14default_configENS1_20scan_config_selectorIlEEZZNS1_9scan_implILNS1_25lookback_scan_determinismE0ELb0ELb0ES3_PlS8_lN6thrust23THRUST_200600_302600_NS4plusIvEElEEDaPvRmT3_T4_T5_mT6_P12ihipStream_tbENKUlT_T0_E_clISt17integral_constantIbLb0EESQ_EEDaSL_SM_EUlSL_E_NS1_11comp_targetILNS1_3genE2ELNS1_11target_archE906ELNS1_3gpuE6ELNS1_3repE0EEENS1_30default_config_static_selectorELNS0_4arch9wavefront6targetE1EEEvT1_, .Lfunc_end88-_ZN7rocprim17ROCPRIM_400000_NS6detail17trampoline_kernelINS0_14default_configENS1_20scan_config_selectorIlEEZZNS1_9scan_implILNS1_25lookback_scan_determinismE0ELb0ELb0ES3_PlS8_lN6thrust23THRUST_200600_302600_NS4plusIvEElEEDaPvRmT3_T4_T5_mT6_P12ihipStream_tbENKUlT_T0_E_clISt17integral_constantIbLb0EESQ_EEDaSL_SM_EUlSL_E_NS1_11comp_targetILNS1_3genE2ELNS1_11target_archE906ELNS1_3gpuE6ELNS1_3repE0EEENS1_30default_config_static_selectorELNS0_4arch9wavefront6targetE1EEEvT1_
                                        ; -- End function
	.section	.AMDGPU.csdata,"",@progbits
; Kernel info:
; codeLenInByte = 0
; NumSgprs: 4
; NumVgprs: 0
; NumAgprs: 0
; TotalNumVgprs: 0
; ScratchSize: 0
; MemoryBound: 0
; FloatMode: 240
; IeeeMode: 1
; LDSByteSize: 0 bytes/workgroup (compile time only)
; SGPRBlocks: 0
; VGPRBlocks: 0
; NumSGPRsForWavesPerEU: 4
; NumVGPRsForWavesPerEU: 1
; AccumOffset: 4
; Occupancy: 8
; WaveLimiterHint : 0
; COMPUTE_PGM_RSRC2:SCRATCH_EN: 0
; COMPUTE_PGM_RSRC2:USER_SGPR: 6
; COMPUTE_PGM_RSRC2:TRAP_HANDLER: 0
; COMPUTE_PGM_RSRC2:TGID_X_EN: 1
; COMPUTE_PGM_RSRC2:TGID_Y_EN: 0
; COMPUTE_PGM_RSRC2:TGID_Z_EN: 0
; COMPUTE_PGM_RSRC2:TIDIG_COMP_CNT: 0
; COMPUTE_PGM_RSRC3_GFX90A:ACCUM_OFFSET: 0
; COMPUTE_PGM_RSRC3_GFX90A:TG_SPLIT: 0
	.section	.text._ZN7rocprim17ROCPRIM_400000_NS6detail17trampoline_kernelINS0_14default_configENS1_20scan_config_selectorIlEEZZNS1_9scan_implILNS1_25lookback_scan_determinismE0ELb0ELb0ES3_PlS8_lN6thrust23THRUST_200600_302600_NS4plusIvEElEEDaPvRmT3_T4_T5_mT6_P12ihipStream_tbENKUlT_T0_E_clISt17integral_constantIbLb0EESQ_EEDaSL_SM_EUlSL_E_NS1_11comp_targetILNS1_3genE10ELNS1_11target_archE1201ELNS1_3gpuE5ELNS1_3repE0EEENS1_30default_config_static_selectorELNS0_4arch9wavefront6targetE1EEEvT1_,"axG",@progbits,_ZN7rocprim17ROCPRIM_400000_NS6detail17trampoline_kernelINS0_14default_configENS1_20scan_config_selectorIlEEZZNS1_9scan_implILNS1_25lookback_scan_determinismE0ELb0ELb0ES3_PlS8_lN6thrust23THRUST_200600_302600_NS4plusIvEElEEDaPvRmT3_T4_T5_mT6_P12ihipStream_tbENKUlT_T0_E_clISt17integral_constantIbLb0EESQ_EEDaSL_SM_EUlSL_E_NS1_11comp_targetILNS1_3genE10ELNS1_11target_archE1201ELNS1_3gpuE5ELNS1_3repE0EEENS1_30default_config_static_selectorELNS0_4arch9wavefront6targetE1EEEvT1_,comdat
	.protected	_ZN7rocprim17ROCPRIM_400000_NS6detail17trampoline_kernelINS0_14default_configENS1_20scan_config_selectorIlEEZZNS1_9scan_implILNS1_25lookback_scan_determinismE0ELb0ELb0ES3_PlS8_lN6thrust23THRUST_200600_302600_NS4plusIvEElEEDaPvRmT3_T4_T5_mT6_P12ihipStream_tbENKUlT_T0_E_clISt17integral_constantIbLb0EESQ_EEDaSL_SM_EUlSL_E_NS1_11comp_targetILNS1_3genE10ELNS1_11target_archE1201ELNS1_3gpuE5ELNS1_3repE0EEENS1_30default_config_static_selectorELNS0_4arch9wavefront6targetE1EEEvT1_ ; -- Begin function _ZN7rocprim17ROCPRIM_400000_NS6detail17trampoline_kernelINS0_14default_configENS1_20scan_config_selectorIlEEZZNS1_9scan_implILNS1_25lookback_scan_determinismE0ELb0ELb0ES3_PlS8_lN6thrust23THRUST_200600_302600_NS4plusIvEElEEDaPvRmT3_T4_T5_mT6_P12ihipStream_tbENKUlT_T0_E_clISt17integral_constantIbLb0EESQ_EEDaSL_SM_EUlSL_E_NS1_11comp_targetILNS1_3genE10ELNS1_11target_archE1201ELNS1_3gpuE5ELNS1_3repE0EEENS1_30default_config_static_selectorELNS0_4arch9wavefront6targetE1EEEvT1_
	.globl	_ZN7rocprim17ROCPRIM_400000_NS6detail17trampoline_kernelINS0_14default_configENS1_20scan_config_selectorIlEEZZNS1_9scan_implILNS1_25lookback_scan_determinismE0ELb0ELb0ES3_PlS8_lN6thrust23THRUST_200600_302600_NS4plusIvEElEEDaPvRmT3_T4_T5_mT6_P12ihipStream_tbENKUlT_T0_E_clISt17integral_constantIbLb0EESQ_EEDaSL_SM_EUlSL_E_NS1_11comp_targetILNS1_3genE10ELNS1_11target_archE1201ELNS1_3gpuE5ELNS1_3repE0EEENS1_30default_config_static_selectorELNS0_4arch9wavefront6targetE1EEEvT1_
	.p2align	8
	.type	_ZN7rocprim17ROCPRIM_400000_NS6detail17trampoline_kernelINS0_14default_configENS1_20scan_config_selectorIlEEZZNS1_9scan_implILNS1_25lookback_scan_determinismE0ELb0ELb0ES3_PlS8_lN6thrust23THRUST_200600_302600_NS4plusIvEElEEDaPvRmT3_T4_T5_mT6_P12ihipStream_tbENKUlT_T0_E_clISt17integral_constantIbLb0EESQ_EEDaSL_SM_EUlSL_E_NS1_11comp_targetILNS1_3genE10ELNS1_11target_archE1201ELNS1_3gpuE5ELNS1_3repE0EEENS1_30default_config_static_selectorELNS0_4arch9wavefront6targetE1EEEvT1_,@function
_ZN7rocprim17ROCPRIM_400000_NS6detail17trampoline_kernelINS0_14default_configENS1_20scan_config_selectorIlEEZZNS1_9scan_implILNS1_25lookback_scan_determinismE0ELb0ELb0ES3_PlS8_lN6thrust23THRUST_200600_302600_NS4plusIvEElEEDaPvRmT3_T4_T5_mT6_P12ihipStream_tbENKUlT_T0_E_clISt17integral_constantIbLb0EESQ_EEDaSL_SM_EUlSL_E_NS1_11comp_targetILNS1_3genE10ELNS1_11target_archE1201ELNS1_3gpuE5ELNS1_3repE0EEENS1_30default_config_static_selectorELNS0_4arch9wavefront6targetE1EEEvT1_: ; @_ZN7rocprim17ROCPRIM_400000_NS6detail17trampoline_kernelINS0_14default_configENS1_20scan_config_selectorIlEEZZNS1_9scan_implILNS1_25lookback_scan_determinismE0ELb0ELb0ES3_PlS8_lN6thrust23THRUST_200600_302600_NS4plusIvEElEEDaPvRmT3_T4_T5_mT6_P12ihipStream_tbENKUlT_T0_E_clISt17integral_constantIbLb0EESQ_EEDaSL_SM_EUlSL_E_NS1_11comp_targetILNS1_3genE10ELNS1_11target_archE1201ELNS1_3gpuE5ELNS1_3repE0EEENS1_30default_config_static_selectorELNS0_4arch9wavefront6targetE1EEEvT1_
; %bb.0:
	.section	.rodata,"a",@progbits
	.p2align	6, 0x0
	.amdhsa_kernel _ZN7rocprim17ROCPRIM_400000_NS6detail17trampoline_kernelINS0_14default_configENS1_20scan_config_selectorIlEEZZNS1_9scan_implILNS1_25lookback_scan_determinismE0ELb0ELb0ES3_PlS8_lN6thrust23THRUST_200600_302600_NS4plusIvEElEEDaPvRmT3_T4_T5_mT6_P12ihipStream_tbENKUlT_T0_E_clISt17integral_constantIbLb0EESQ_EEDaSL_SM_EUlSL_E_NS1_11comp_targetILNS1_3genE10ELNS1_11target_archE1201ELNS1_3gpuE5ELNS1_3repE0EEENS1_30default_config_static_selectorELNS0_4arch9wavefront6targetE1EEEvT1_
		.amdhsa_group_segment_fixed_size 0
		.amdhsa_private_segment_fixed_size 0
		.amdhsa_kernarg_size 104
		.amdhsa_user_sgpr_count 6
		.amdhsa_user_sgpr_private_segment_buffer 1
		.amdhsa_user_sgpr_dispatch_ptr 0
		.amdhsa_user_sgpr_queue_ptr 0
		.amdhsa_user_sgpr_kernarg_segment_ptr 1
		.amdhsa_user_sgpr_dispatch_id 0
		.amdhsa_user_sgpr_flat_scratch_init 0
		.amdhsa_user_sgpr_kernarg_preload_length 0
		.amdhsa_user_sgpr_kernarg_preload_offset 0
		.amdhsa_user_sgpr_private_segment_size 0
		.amdhsa_uses_dynamic_stack 0
		.amdhsa_system_sgpr_private_segment_wavefront_offset 0
		.amdhsa_system_sgpr_workgroup_id_x 1
		.amdhsa_system_sgpr_workgroup_id_y 0
		.amdhsa_system_sgpr_workgroup_id_z 0
		.amdhsa_system_sgpr_workgroup_info 0
		.amdhsa_system_vgpr_workitem_id 0
		.amdhsa_next_free_vgpr 1
		.amdhsa_next_free_sgpr 0
		.amdhsa_accum_offset 4
		.amdhsa_reserve_vcc 0
		.amdhsa_reserve_flat_scratch 0
		.amdhsa_float_round_mode_32 0
		.amdhsa_float_round_mode_16_64 0
		.amdhsa_float_denorm_mode_32 3
		.amdhsa_float_denorm_mode_16_64 3
		.amdhsa_dx10_clamp 1
		.amdhsa_ieee_mode 1
		.amdhsa_fp16_overflow 0
		.amdhsa_tg_split 0
		.amdhsa_exception_fp_ieee_invalid_op 0
		.amdhsa_exception_fp_denorm_src 0
		.amdhsa_exception_fp_ieee_div_zero 0
		.amdhsa_exception_fp_ieee_overflow 0
		.amdhsa_exception_fp_ieee_underflow 0
		.amdhsa_exception_fp_ieee_inexact 0
		.amdhsa_exception_int_div_zero 0
	.end_amdhsa_kernel
	.section	.text._ZN7rocprim17ROCPRIM_400000_NS6detail17trampoline_kernelINS0_14default_configENS1_20scan_config_selectorIlEEZZNS1_9scan_implILNS1_25lookback_scan_determinismE0ELb0ELb0ES3_PlS8_lN6thrust23THRUST_200600_302600_NS4plusIvEElEEDaPvRmT3_T4_T5_mT6_P12ihipStream_tbENKUlT_T0_E_clISt17integral_constantIbLb0EESQ_EEDaSL_SM_EUlSL_E_NS1_11comp_targetILNS1_3genE10ELNS1_11target_archE1201ELNS1_3gpuE5ELNS1_3repE0EEENS1_30default_config_static_selectorELNS0_4arch9wavefront6targetE1EEEvT1_,"axG",@progbits,_ZN7rocprim17ROCPRIM_400000_NS6detail17trampoline_kernelINS0_14default_configENS1_20scan_config_selectorIlEEZZNS1_9scan_implILNS1_25lookback_scan_determinismE0ELb0ELb0ES3_PlS8_lN6thrust23THRUST_200600_302600_NS4plusIvEElEEDaPvRmT3_T4_T5_mT6_P12ihipStream_tbENKUlT_T0_E_clISt17integral_constantIbLb0EESQ_EEDaSL_SM_EUlSL_E_NS1_11comp_targetILNS1_3genE10ELNS1_11target_archE1201ELNS1_3gpuE5ELNS1_3repE0EEENS1_30default_config_static_selectorELNS0_4arch9wavefront6targetE1EEEvT1_,comdat
.Lfunc_end89:
	.size	_ZN7rocprim17ROCPRIM_400000_NS6detail17trampoline_kernelINS0_14default_configENS1_20scan_config_selectorIlEEZZNS1_9scan_implILNS1_25lookback_scan_determinismE0ELb0ELb0ES3_PlS8_lN6thrust23THRUST_200600_302600_NS4plusIvEElEEDaPvRmT3_T4_T5_mT6_P12ihipStream_tbENKUlT_T0_E_clISt17integral_constantIbLb0EESQ_EEDaSL_SM_EUlSL_E_NS1_11comp_targetILNS1_3genE10ELNS1_11target_archE1201ELNS1_3gpuE5ELNS1_3repE0EEENS1_30default_config_static_selectorELNS0_4arch9wavefront6targetE1EEEvT1_, .Lfunc_end89-_ZN7rocprim17ROCPRIM_400000_NS6detail17trampoline_kernelINS0_14default_configENS1_20scan_config_selectorIlEEZZNS1_9scan_implILNS1_25lookback_scan_determinismE0ELb0ELb0ES3_PlS8_lN6thrust23THRUST_200600_302600_NS4plusIvEElEEDaPvRmT3_T4_T5_mT6_P12ihipStream_tbENKUlT_T0_E_clISt17integral_constantIbLb0EESQ_EEDaSL_SM_EUlSL_E_NS1_11comp_targetILNS1_3genE10ELNS1_11target_archE1201ELNS1_3gpuE5ELNS1_3repE0EEENS1_30default_config_static_selectorELNS0_4arch9wavefront6targetE1EEEvT1_
                                        ; -- End function
	.section	.AMDGPU.csdata,"",@progbits
; Kernel info:
; codeLenInByte = 0
; NumSgprs: 4
; NumVgprs: 0
; NumAgprs: 0
; TotalNumVgprs: 0
; ScratchSize: 0
; MemoryBound: 0
; FloatMode: 240
; IeeeMode: 1
; LDSByteSize: 0 bytes/workgroup (compile time only)
; SGPRBlocks: 0
; VGPRBlocks: 0
; NumSGPRsForWavesPerEU: 4
; NumVGPRsForWavesPerEU: 1
; AccumOffset: 4
; Occupancy: 8
; WaveLimiterHint : 0
; COMPUTE_PGM_RSRC2:SCRATCH_EN: 0
; COMPUTE_PGM_RSRC2:USER_SGPR: 6
; COMPUTE_PGM_RSRC2:TRAP_HANDLER: 0
; COMPUTE_PGM_RSRC2:TGID_X_EN: 1
; COMPUTE_PGM_RSRC2:TGID_Y_EN: 0
; COMPUTE_PGM_RSRC2:TGID_Z_EN: 0
; COMPUTE_PGM_RSRC2:TIDIG_COMP_CNT: 0
; COMPUTE_PGM_RSRC3_GFX90A:ACCUM_OFFSET: 0
; COMPUTE_PGM_RSRC3_GFX90A:TG_SPLIT: 0
	.section	.text._ZN7rocprim17ROCPRIM_400000_NS6detail17trampoline_kernelINS0_14default_configENS1_20scan_config_selectorIlEEZZNS1_9scan_implILNS1_25lookback_scan_determinismE0ELb0ELb0ES3_PlS8_lN6thrust23THRUST_200600_302600_NS4plusIvEElEEDaPvRmT3_T4_T5_mT6_P12ihipStream_tbENKUlT_T0_E_clISt17integral_constantIbLb0EESQ_EEDaSL_SM_EUlSL_E_NS1_11comp_targetILNS1_3genE10ELNS1_11target_archE1200ELNS1_3gpuE4ELNS1_3repE0EEENS1_30default_config_static_selectorELNS0_4arch9wavefront6targetE1EEEvT1_,"axG",@progbits,_ZN7rocprim17ROCPRIM_400000_NS6detail17trampoline_kernelINS0_14default_configENS1_20scan_config_selectorIlEEZZNS1_9scan_implILNS1_25lookback_scan_determinismE0ELb0ELb0ES3_PlS8_lN6thrust23THRUST_200600_302600_NS4plusIvEElEEDaPvRmT3_T4_T5_mT6_P12ihipStream_tbENKUlT_T0_E_clISt17integral_constantIbLb0EESQ_EEDaSL_SM_EUlSL_E_NS1_11comp_targetILNS1_3genE10ELNS1_11target_archE1200ELNS1_3gpuE4ELNS1_3repE0EEENS1_30default_config_static_selectorELNS0_4arch9wavefront6targetE1EEEvT1_,comdat
	.protected	_ZN7rocprim17ROCPRIM_400000_NS6detail17trampoline_kernelINS0_14default_configENS1_20scan_config_selectorIlEEZZNS1_9scan_implILNS1_25lookback_scan_determinismE0ELb0ELb0ES3_PlS8_lN6thrust23THRUST_200600_302600_NS4plusIvEElEEDaPvRmT3_T4_T5_mT6_P12ihipStream_tbENKUlT_T0_E_clISt17integral_constantIbLb0EESQ_EEDaSL_SM_EUlSL_E_NS1_11comp_targetILNS1_3genE10ELNS1_11target_archE1200ELNS1_3gpuE4ELNS1_3repE0EEENS1_30default_config_static_selectorELNS0_4arch9wavefront6targetE1EEEvT1_ ; -- Begin function _ZN7rocprim17ROCPRIM_400000_NS6detail17trampoline_kernelINS0_14default_configENS1_20scan_config_selectorIlEEZZNS1_9scan_implILNS1_25lookback_scan_determinismE0ELb0ELb0ES3_PlS8_lN6thrust23THRUST_200600_302600_NS4plusIvEElEEDaPvRmT3_T4_T5_mT6_P12ihipStream_tbENKUlT_T0_E_clISt17integral_constantIbLb0EESQ_EEDaSL_SM_EUlSL_E_NS1_11comp_targetILNS1_3genE10ELNS1_11target_archE1200ELNS1_3gpuE4ELNS1_3repE0EEENS1_30default_config_static_selectorELNS0_4arch9wavefront6targetE1EEEvT1_
	.globl	_ZN7rocprim17ROCPRIM_400000_NS6detail17trampoline_kernelINS0_14default_configENS1_20scan_config_selectorIlEEZZNS1_9scan_implILNS1_25lookback_scan_determinismE0ELb0ELb0ES3_PlS8_lN6thrust23THRUST_200600_302600_NS4plusIvEElEEDaPvRmT3_T4_T5_mT6_P12ihipStream_tbENKUlT_T0_E_clISt17integral_constantIbLb0EESQ_EEDaSL_SM_EUlSL_E_NS1_11comp_targetILNS1_3genE10ELNS1_11target_archE1200ELNS1_3gpuE4ELNS1_3repE0EEENS1_30default_config_static_selectorELNS0_4arch9wavefront6targetE1EEEvT1_
	.p2align	8
	.type	_ZN7rocprim17ROCPRIM_400000_NS6detail17trampoline_kernelINS0_14default_configENS1_20scan_config_selectorIlEEZZNS1_9scan_implILNS1_25lookback_scan_determinismE0ELb0ELb0ES3_PlS8_lN6thrust23THRUST_200600_302600_NS4plusIvEElEEDaPvRmT3_T4_T5_mT6_P12ihipStream_tbENKUlT_T0_E_clISt17integral_constantIbLb0EESQ_EEDaSL_SM_EUlSL_E_NS1_11comp_targetILNS1_3genE10ELNS1_11target_archE1200ELNS1_3gpuE4ELNS1_3repE0EEENS1_30default_config_static_selectorELNS0_4arch9wavefront6targetE1EEEvT1_,@function
_ZN7rocprim17ROCPRIM_400000_NS6detail17trampoline_kernelINS0_14default_configENS1_20scan_config_selectorIlEEZZNS1_9scan_implILNS1_25lookback_scan_determinismE0ELb0ELb0ES3_PlS8_lN6thrust23THRUST_200600_302600_NS4plusIvEElEEDaPvRmT3_T4_T5_mT6_P12ihipStream_tbENKUlT_T0_E_clISt17integral_constantIbLb0EESQ_EEDaSL_SM_EUlSL_E_NS1_11comp_targetILNS1_3genE10ELNS1_11target_archE1200ELNS1_3gpuE4ELNS1_3repE0EEENS1_30default_config_static_selectorELNS0_4arch9wavefront6targetE1EEEvT1_: ; @_ZN7rocprim17ROCPRIM_400000_NS6detail17trampoline_kernelINS0_14default_configENS1_20scan_config_selectorIlEEZZNS1_9scan_implILNS1_25lookback_scan_determinismE0ELb0ELb0ES3_PlS8_lN6thrust23THRUST_200600_302600_NS4plusIvEElEEDaPvRmT3_T4_T5_mT6_P12ihipStream_tbENKUlT_T0_E_clISt17integral_constantIbLb0EESQ_EEDaSL_SM_EUlSL_E_NS1_11comp_targetILNS1_3genE10ELNS1_11target_archE1200ELNS1_3gpuE4ELNS1_3repE0EEENS1_30default_config_static_selectorELNS0_4arch9wavefront6targetE1EEEvT1_
; %bb.0:
	.section	.rodata,"a",@progbits
	.p2align	6, 0x0
	.amdhsa_kernel _ZN7rocprim17ROCPRIM_400000_NS6detail17trampoline_kernelINS0_14default_configENS1_20scan_config_selectorIlEEZZNS1_9scan_implILNS1_25lookback_scan_determinismE0ELb0ELb0ES3_PlS8_lN6thrust23THRUST_200600_302600_NS4plusIvEElEEDaPvRmT3_T4_T5_mT6_P12ihipStream_tbENKUlT_T0_E_clISt17integral_constantIbLb0EESQ_EEDaSL_SM_EUlSL_E_NS1_11comp_targetILNS1_3genE10ELNS1_11target_archE1200ELNS1_3gpuE4ELNS1_3repE0EEENS1_30default_config_static_selectorELNS0_4arch9wavefront6targetE1EEEvT1_
		.amdhsa_group_segment_fixed_size 0
		.amdhsa_private_segment_fixed_size 0
		.amdhsa_kernarg_size 104
		.amdhsa_user_sgpr_count 6
		.amdhsa_user_sgpr_private_segment_buffer 1
		.amdhsa_user_sgpr_dispatch_ptr 0
		.amdhsa_user_sgpr_queue_ptr 0
		.amdhsa_user_sgpr_kernarg_segment_ptr 1
		.amdhsa_user_sgpr_dispatch_id 0
		.amdhsa_user_sgpr_flat_scratch_init 0
		.amdhsa_user_sgpr_kernarg_preload_length 0
		.amdhsa_user_sgpr_kernarg_preload_offset 0
		.amdhsa_user_sgpr_private_segment_size 0
		.amdhsa_uses_dynamic_stack 0
		.amdhsa_system_sgpr_private_segment_wavefront_offset 0
		.amdhsa_system_sgpr_workgroup_id_x 1
		.amdhsa_system_sgpr_workgroup_id_y 0
		.amdhsa_system_sgpr_workgroup_id_z 0
		.amdhsa_system_sgpr_workgroup_info 0
		.amdhsa_system_vgpr_workitem_id 0
		.amdhsa_next_free_vgpr 1
		.amdhsa_next_free_sgpr 0
		.amdhsa_accum_offset 4
		.amdhsa_reserve_vcc 0
		.amdhsa_reserve_flat_scratch 0
		.amdhsa_float_round_mode_32 0
		.amdhsa_float_round_mode_16_64 0
		.amdhsa_float_denorm_mode_32 3
		.amdhsa_float_denorm_mode_16_64 3
		.amdhsa_dx10_clamp 1
		.amdhsa_ieee_mode 1
		.amdhsa_fp16_overflow 0
		.amdhsa_tg_split 0
		.amdhsa_exception_fp_ieee_invalid_op 0
		.amdhsa_exception_fp_denorm_src 0
		.amdhsa_exception_fp_ieee_div_zero 0
		.amdhsa_exception_fp_ieee_overflow 0
		.amdhsa_exception_fp_ieee_underflow 0
		.amdhsa_exception_fp_ieee_inexact 0
		.amdhsa_exception_int_div_zero 0
	.end_amdhsa_kernel
	.section	.text._ZN7rocprim17ROCPRIM_400000_NS6detail17trampoline_kernelINS0_14default_configENS1_20scan_config_selectorIlEEZZNS1_9scan_implILNS1_25lookback_scan_determinismE0ELb0ELb0ES3_PlS8_lN6thrust23THRUST_200600_302600_NS4plusIvEElEEDaPvRmT3_T4_T5_mT6_P12ihipStream_tbENKUlT_T0_E_clISt17integral_constantIbLb0EESQ_EEDaSL_SM_EUlSL_E_NS1_11comp_targetILNS1_3genE10ELNS1_11target_archE1200ELNS1_3gpuE4ELNS1_3repE0EEENS1_30default_config_static_selectorELNS0_4arch9wavefront6targetE1EEEvT1_,"axG",@progbits,_ZN7rocprim17ROCPRIM_400000_NS6detail17trampoline_kernelINS0_14default_configENS1_20scan_config_selectorIlEEZZNS1_9scan_implILNS1_25lookback_scan_determinismE0ELb0ELb0ES3_PlS8_lN6thrust23THRUST_200600_302600_NS4plusIvEElEEDaPvRmT3_T4_T5_mT6_P12ihipStream_tbENKUlT_T0_E_clISt17integral_constantIbLb0EESQ_EEDaSL_SM_EUlSL_E_NS1_11comp_targetILNS1_3genE10ELNS1_11target_archE1200ELNS1_3gpuE4ELNS1_3repE0EEENS1_30default_config_static_selectorELNS0_4arch9wavefront6targetE1EEEvT1_,comdat
.Lfunc_end90:
	.size	_ZN7rocprim17ROCPRIM_400000_NS6detail17trampoline_kernelINS0_14default_configENS1_20scan_config_selectorIlEEZZNS1_9scan_implILNS1_25lookback_scan_determinismE0ELb0ELb0ES3_PlS8_lN6thrust23THRUST_200600_302600_NS4plusIvEElEEDaPvRmT3_T4_T5_mT6_P12ihipStream_tbENKUlT_T0_E_clISt17integral_constantIbLb0EESQ_EEDaSL_SM_EUlSL_E_NS1_11comp_targetILNS1_3genE10ELNS1_11target_archE1200ELNS1_3gpuE4ELNS1_3repE0EEENS1_30default_config_static_selectorELNS0_4arch9wavefront6targetE1EEEvT1_, .Lfunc_end90-_ZN7rocprim17ROCPRIM_400000_NS6detail17trampoline_kernelINS0_14default_configENS1_20scan_config_selectorIlEEZZNS1_9scan_implILNS1_25lookback_scan_determinismE0ELb0ELb0ES3_PlS8_lN6thrust23THRUST_200600_302600_NS4plusIvEElEEDaPvRmT3_T4_T5_mT6_P12ihipStream_tbENKUlT_T0_E_clISt17integral_constantIbLb0EESQ_EEDaSL_SM_EUlSL_E_NS1_11comp_targetILNS1_3genE10ELNS1_11target_archE1200ELNS1_3gpuE4ELNS1_3repE0EEENS1_30default_config_static_selectorELNS0_4arch9wavefront6targetE1EEEvT1_
                                        ; -- End function
	.section	.AMDGPU.csdata,"",@progbits
; Kernel info:
; codeLenInByte = 0
; NumSgprs: 4
; NumVgprs: 0
; NumAgprs: 0
; TotalNumVgprs: 0
; ScratchSize: 0
; MemoryBound: 0
; FloatMode: 240
; IeeeMode: 1
; LDSByteSize: 0 bytes/workgroup (compile time only)
; SGPRBlocks: 0
; VGPRBlocks: 0
; NumSGPRsForWavesPerEU: 4
; NumVGPRsForWavesPerEU: 1
; AccumOffset: 4
; Occupancy: 8
; WaveLimiterHint : 0
; COMPUTE_PGM_RSRC2:SCRATCH_EN: 0
; COMPUTE_PGM_RSRC2:USER_SGPR: 6
; COMPUTE_PGM_RSRC2:TRAP_HANDLER: 0
; COMPUTE_PGM_RSRC2:TGID_X_EN: 1
; COMPUTE_PGM_RSRC2:TGID_Y_EN: 0
; COMPUTE_PGM_RSRC2:TGID_Z_EN: 0
; COMPUTE_PGM_RSRC2:TIDIG_COMP_CNT: 0
; COMPUTE_PGM_RSRC3_GFX90A:ACCUM_OFFSET: 0
; COMPUTE_PGM_RSRC3_GFX90A:TG_SPLIT: 0
	.section	.text._ZN7rocprim17ROCPRIM_400000_NS6detail17trampoline_kernelINS0_14default_configENS1_20scan_config_selectorIlEEZZNS1_9scan_implILNS1_25lookback_scan_determinismE0ELb0ELb0ES3_PlS8_lN6thrust23THRUST_200600_302600_NS4plusIvEElEEDaPvRmT3_T4_T5_mT6_P12ihipStream_tbENKUlT_T0_E_clISt17integral_constantIbLb0EESQ_EEDaSL_SM_EUlSL_E_NS1_11comp_targetILNS1_3genE9ELNS1_11target_archE1100ELNS1_3gpuE3ELNS1_3repE0EEENS1_30default_config_static_selectorELNS0_4arch9wavefront6targetE1EEEvT1_,"axG",@progbits,_ZN7rocprim17ROCPRIM_400000_NS6detail17trampoline_kernelINS0_14default_configENS1_20scan_config_selectorIlEEZZNS1_9scan_implILNS1_25lookback_scan_determinismE0ELb0ELb0ES3_PlS8_lN6thrust23THRUST_200600_302600_NS4plusIvEElEEDaPvRmT3_T4_T5_mT6_P12ihipStream_tbENKUlT_T0_E_clISt17integral_constantIbLb0EESQ_EEDaSL_SM_EUlSL_E_NS1_11comp_targetILNS1_3genE9ELNS1_11target_archE1100ELNS1_3gpuE3ELNS1_3repE0EEENS1_30default_config_static_selectorELNS0_4arch9wavefront6targetE1EEEvT1_,comdat
	.protected	_ZN7rocprim17ROCPRIM_400000_NS6detail17trampoline_kernelINS0_14default_configENS1_20scan_config_selectorIlEEZZNS1_9scan_implILNS1_25lookback_scan_determinismE0ELb0ELb0ES3_PlS8_lN6thrust23THRUST_200600_302600_NS4plusIvEElEEDaPvRmT3_T4_T5_mT6_P12ihipStream_tbENKUlT_T0_E_clISt17integral_constantIbLb0EESQ_EEDaSL_SM_EUlSL_E_NS1_11comp_targetILNS1_3genE9ELNS1_11target_archE1100ELNS1_3gpuE3ELNS1_3repE0EEENS1_30default_config_static_selectorELNS0_4arch9wavefront6targetE1EEEvT1_ ; -- Begin function _ZN7rocprim17ROCPRIM_400000_NS6detail17trampoline_kernelINS0_14default_configENS1_20scan_config_selectorIlEEZZNS1_9scan_implILNS1_25lookback_scan_determinismE0ELb0ELb0ES3_PlS8_lN6thrust23THRUST_200600_302600_NS4plusIvEElEEDaPvRmT3_T4_T5_mT6_P12ihipStream_tbENKUlT_T0_E_clISt17integral_constantIbLb0EESQ_EEDaSL_SM_EUlSL_E_NS1_11comp_targetILNS1_3genE9ELNS1_11target_archE1100ELNS1_3gpuE3ELNS1_3repE0EEENS1_30default_config_static_selectorELNS0_4arch9wavefront6targetE1EEEvT1_
	.globl	_ZN7rocprim17ROCPRIM_400000_NS6detail17trampoline_kernelINS0_14default_configENS1_20scan_config_selectorIlEEZZNS1_9scan_implILNS1_25lookback_scan_determinismE0ELb0ELb0ES3_PlS8_lN6thrust23THRUST_200600_302600_NS4plusIvEElEEDaPvRmT3_T4_T5_mT6_P12ihipStream_tbENKUlT_T0_E_clISt17integral_constantIbLb0EESQ_EEDaSL_SM_EUlSL_E_NS1_11comp_targetILNS1_3genE9ELNS1_11target_archE1100ELNS1_3gpuE3ELNS1_3repE0EEENS1_30default_config_static_selectorELNS0_4arch9wavefront6targetE1EEEvT1_
	.p2align	8
	.type	_ZN7rocprim17ROCPRIM_400000_NS6detail17trampoline_kernelINS0_14default_configENS1_20scan_config_selectorIlEEZZNS1_9scan_implILNS1_25lookback_scan_determinismE0ELb0ELb0ES3_PlS8_lN6thrust23THRUST_200600_302600_NS4plusIvEElEEDaPvRmT3_T4_T5_mT6_P12ihipStream_tbENKUlT_T0_E_clISt17integral_constantIbLb0EESQ_EEDaSL_SM_EUlSL_E_NS1_11comp_targetILNS1_3genE9ELNS1_11target_archE1100ELNS1_3gpuE3ELNS1_3repE0EEENS1_30default_config_static_selectorELNS0_4arch9wavefront6targetE1EEEvT1_,@function
_ZN7rocprim17ROCPRIM_400000_NS6detail17trampoline_kernelINS0_14default_configENS1_20scan_config_selectorIlEEZZNS1_9scan_implILNS1_25lookback_scan_determinismE0ELb0ELb0ES3_PlS8_lN6thrust23THRUST_200600_302600_NS4plusIvEElEEDaPvRmT3_T4_T5_mT6_P12ihipStream_tbENKUlT_T0_E_clISt17integral_constantIbLb0EESQ_EEDaSL_SM_EUlSL_E_NS1_11comp_targetILNS1_3genE9ELNS1_11target_archE1100ELNS1_3gpuE3ELNS1_3repE0EEENS1_30default_config_static_selectorELNS0_4arch9wavefront6targetE1EEEvT1_: ; @_ZN7rocprim17ROCPRIM_400000_NS6detail17trampoline_kernelINS0_14default_configENS1_20scan_config_selectorIlEEZZNS1_9scan_implILNS1_25lookback_scan_determinismE0ELb0ELb0ES3_PlS8_lN6thrust23THRUST_200600_302600_NS4plusIvEElEEDaPvRmT3_T4_T5_mT6_P12ihipStream_tbENKUlT_T0_E_clISt17integral_constantIbLb0EESQ_EEDaSL_SM_EUlSL_E_NS1_11comp_targetILNS1_3genE9ELNS1_11target_archE1100ELNS1_3gpuE3ELNS1_3repE0EEENS1_30default_config_static_selectorELNS0_4arch9wavefront6targetE1EEEvT1_
; %bb.0:
	.section	.rodata,"a",@progbits
	.p2align	6, 0x0
	.amdhsa_kernel _ZN7rocprim17ROCPRIM_400000_NS6detail17trampoline_kernelINS0_14default_configENS1_20scan_config_selectorIlEEZZNS1_9scan_implILNS1_25lookback_scan_determinismE0ELb0ELb0ES3_PlS8_lN6thrust23THRUST_200600_302600_NS4plusIvEElEEDaPvRmT3_T4_T5_mT6_P12ihipStream_tbENKUlT_T0_E_clISt17integral_constantIbLb0EESQ_EEDaSL_SM_EUlSL_E_NS1_11comp_targetILNS1_3genE9ELNS1_11target_archE1100ELNS1_3gpuE3ELNS1_3repE0EEENS1_30default_config_static_selectorELNS0_4arch9wavefront6targetE1EEEvT1_
		.amdhsa_group_segment_fixed_size 0
		.amdhsa_private_segment_fixed_size 0
		.amdhsa_kernarg_size 104
		.amdhsa_user_sgpr_count 6
		.amdhsa_user_sgpr_private_segment_buffer 1
		.amdhsa_user_sgpr_dispatch_ptr 0
		.amdhsa_user_sgpr_queue_ptr 0
		.amdhsa_user_sgpr_kernarg_segment_ptr 1
		.amdhsa_user_sgpr_dispatch_id 0
		.amdhsa_user_sgpr_flat_scratch_init 0
		.amdhsa_user_sgpr_kernarg_preload_length 0
		.amdhsa_user_sgpr_kernarg_preload_offset 0
		.amdhsa_user_sgpr_private_segment_size 0
		.amdhsa_uses_dynamic_stack 0
		.amdhsa_system_sgpr_private_segment_wavefront_offset 0
		.amdhsa_system_sgpr_workgroup_id_x 1
		.amdhsa_system_sgpr_workgroup_id_y 0
		.amdhsa_system_sgpr_workgroup_id_z 0
		.amdhsa_system_sgpr_workgroup_info 0
		.amdhsa_system_vgpr_workitem_id 0
		.amdhsa_next_free_vgpr 1
		.amdhsa_next_free_sgpr 0
		.amdhsa_accum_offset 4
		.amdhsa_reserve_vcc 0
		.amdhsa_reserve_flat_scratch 0
		.amdhsa_float_round_mode_32 0
		.amdhsa_float_round_mode_16_64 0
		.amdhsa_float_denorm_mode_32 3
		.amdhsa_float_denorm_mode_16_64 3
		.amdhsa_dx10_clamp 1
		.amdhsa_ieee_mode 1
		.amdhsa_fp16_overflow 0
		.amdhsa_tg_split 0
		.amdhsa_exception_fp_ieee_invalid_op 0
		.amdhsa_exception_fp_denorm_src 0
		.amdhsa_exception_fp_ieee_div_zero 0
		.amdhsa_exception_fp_ieee_overflow 0
		.amdhsa_exception_fp_ieee_underflow 0
		.amdhsa_exception_fp_ieee_inexact 0
		.amdhsa_exception_int_div_zero 0
	.end_amdhsa_kernel
	.section	.text._ZN7rocprim17ROCPRIM_400000_NS6detail17trampoline_kernelINS0_14default_configENS1_20scan_config_selectorIlEEZZNS1_9scan_implILNS1_25lookback_scan_determinismE0ELb0ELb0ES3_PlS8_lN6thrust23THRUST_200600_302600_NS4plusIvEElEEDaPvRmT3_T4_T5_mT6_P12ihipStream_tbENKUlT_T0_E_clISt17integral_constantIbLb0EESQ_EEDaSL_SM_EUlSL_E_NS1_11comp_targetILNS1_3genE9ELNS1_11target_archE1100ELNS1_3gpuE3ELNS1_3repE0EEENS1_30default_config_static_selectorELNS0_4arch9wavefront6targetE1EEEvT1_,"axG",@progbits,_ZN7rocprim17ROCPRIM_400000_NS6detail17trampoline_kernelINS0_14default_configENS1_20scan_config_selectorIlEEZZNS1_9scan_implILNS1_25lookback_scan_determinismE0ELb0ELb0ES3_PlS8_lN6thrust23THRUST_200600_302600_NS4plusIvEElEEDaPvRmT3_T4_T5_mT6_P12ihipStream_tbENKUlT_T0_E_clISt17integral_constantIbLb0EESQ_EEDaSL_SM_EUlSL_E_NS1_11comp_targetILNS1_3genE9ELNS1_11target_archE1100ELNS1_3gpuE3ELNS1_3repE0EEENS1_30default_config_static_selectorELNS0_4arch9wavefront6targetE1EEEvT1_,comdat
.Lfunc_end91:
	.size	_ZN7rocprim17ROCPRIM_400000_NS6detail17trampoline_kernelINS0_14default_configENS1_20scan_config_selectorIlEEZZNS1_9scan_implILNS1_25lookback_scan_determinismE0ELb0ELb0ES3_PlS8_lN6thrust23THRUST_200600_302600_NS4plusIvEElEEDaPvRmT3_T4_T5_mT6_P12ihipStream_tbENKUlT_T0_E_clISt17integral_constantIbLb0EESQ_EEDaSL_SM_EUlSL_E_NS1_11comp_targetILNS1_3genE9ELNS1_11target_archE1100ELNS1_3gpuE3ELNS1_3repE0EEENS1_30default_config_static_selectorELNS0_4arch9wavefront6targetE1EEEvT1_, .Lfunc_end91-_ZN7rocprim17ROCPRIM_400000_NS6detail17trampoline_kernelINS0_14default_configENS1_20scan_config_selectorIlEEZZNS1_9scan_implILNS1_25lookback_scan_determinismE0ELb0ELb0ES3_PlS8_lN6thrust23THRUST_200600_302600_NS4plusIvEElEEDaPvRmT3_T4_T5_mT6_P12ihipStream_tbENKUlT_T0_E_clISt17integral_constantIbLb0EESQ_EEDaSL_SM_EUlSL_E_NS1_11comp_targetILNS1_3genE9ELNS1_11target_archE1100ELNS1_3gpuE3ELNS1_3repE0EEENS1_30default_config_static_selectorELNS0_4arch9wavefront6targetE1EEEvT1_
                                        ; -- End function
	.section	.AMDGPU.csdata,"",@progbits
; Kernel info:
; codeLenInByte = 0
; NumSgprs: 4
; NumVgprs: 0
; NumAgprs: 0
; TotalNumVgprs: 0
; ScratchSize: 0
; MemoryBound: 0
; FloatMode: 240
; IeeeMode: 1
; LDSByteSize: 0 bytes/workgroup (compile time only)
; SGPRBlocks: 0
; VGPRBlocks: 0
; NumSGPRsForWavesPerEU: 4
; NumVGPRsForWavesPerEU: 1
; AccumOffset: 4
; Occupancy: 8
; WaveLimiterHint : 0
; COMPUTE_PGM_RSRC2:SCRATCH_EN: 0
; COMPUTE_PGM_RSRC2:USER_SGPR: 6
; COMPUTE_PGM_RSRC2:TRAP_HANDLER: 0
; COMPUTE_PGM_RSRC2:TGID_X_EN: 1
; COMPUTE_PGM_RSRC2:TGID_Y_EN: 0
; COMPUTE_PGM_RSRC2:TGID_Z_EN: 0
; COMPUTE_PGM_RSRC2:TIDIG_COMP_CNT: 0
; COMPUTE_PGM_RSRC3_GFX90A:ACCUM_OFFSET: 0
; COMPUTE_PGM_RSRC3_GFX90A:TG_SPLIT: 0
	.section	.text._ZN7rocprim17ROCPRIM_400000_NS6detail17trampoline_kernelINS0_14default_configENS1_20scan_config_selectorIlEEZZNS1_9scan_implILNS1_25lookback_scan_determinismE0ELb0ELb0ES3_PlS8_lN6thrust23THRUST_200600_302600_NS4plusIvEElEEDaPvRmT3_T4_T5_mT6_P12ihipStream_tbENKUlT_T0_E_clISt17integral_constantIbLb0EESQ_EEDaSL_SM_EUlSL_E_NS1_11comp_targetILNS1_3genE8ELNS1_11target_archE1030ELNS1_3gpuE2ELNS1_3repE0EEENS1_30default_config_static_selectorELNS0_4arch9wavefront6targetE1EEEvT1_,"axG",@progbits,_ZN7rocprim17ROCPRIM_400000_NS6detail17trampoline_kernelINS0_14default_configENS1_20scan_config_selectorIlEEZZNS1_9scan_implILNS1_25lookback_scan_determinismE0ELb0ELb0ES3_PlS8_lN6thrust23THRUST_200600_302600_NS4plusIvEElEEDaPvRmT3_T4_T5_mT6_P12ihipStream_tbENKUlT_T0_E_clISt17integral_constantIbLb0EESQ_EEDaSL_SM_EUlSL_E_NS1_11comp_targetILNS1_3genE8ELNS1_11target_archE1030ELNS1_3gpuE2ELNS1_3repE0EEENS1_30default_config_static_selectorELNS0_4arch9wavefront6targetE1EEEvT1_,comdat
	.protected	_ZN7rocprim17ROCPRIM_400000_NS6detail17trampoline_kernelINS0_14default_configENS1_20scan_config_selectorIlEEZZNS1_9scan_implILNS1_25lookback_scan_determinismE0ELb0ELb0ES3_PlS8_lN6thrust23THRUST_200600_302600_NS4plusIvEElEEDaPvRmT3_T4_T5_mT6_P12ihipStream_tbENKUlT_T0_E_clISt17integral_constantIbLb0EESQ_EEDaSL_SM_EUlSL_E_NS1_11comp_targetILNS1_3genE8ELNS1_11target_archE1030ELNS1_3gpuE2ELNS1_3repE0EEENS1_30default_config_static_selectorELNS0_4arch9wavefront6targetE1EEEvT1_ ; -- Begin function _ZN7rocprim17ROCPRIM_400000_NS6detail17trampoline_kernelINS0_14default_configENS1_20scan_config_selectorIlEEZZNS1_9scan_implILNS1_25lookback_scan_determinismE0ELb0ELb0ES3_PlS8_lN6thrust23THRUST_200600_302600_NS4plusIvEElEEDaPvRmT3_T4_T5_mT6_P12ihipStream_tbENKUlT_T0_E_clISt17integral_constantIbLb0EESQ_EEDaSL_SM_EUlSL_E_NS1_11comp_targetILNS1_3genE8ELNS1_11target_archE1030ELNS1_3gpuE2ELNS1_3repE0EEENS1_30default_config_static_selectorELNS0_4arch9wavefront6targetE1EEEvT1_
	.globl	_ZN7rocprim17ROCPRIM_400000_NS6detail17trampoline_kernelINS0_14default_configENS1_20scan_config_selectorIlEEZZNS1_9scan_implILNS1_25lookback_scan_determinismE0ELb0ELb0ES3_PlS8_lN6thrust23THRUST_200600_302600_NS4plusIvEElEEDaPvRmT3_T4_T5_mT6_P12ihipStream_tbENKUlT_T0_E_clISt17integral_constantIbLb0EESQ_EEDaSL_SM_EUlSL_E_NS1_11comp_targetILNS1_3genE8ELNS1_11target_archE1030ELNS1_3gpuE2ELNS1_3repE0EEENS1_30default_config_static_selectorELNS0_4arch9wavefront6targetE1EEEvT1_
	.p2align	8
	.type	_ZN7rocprim17ROCPRIM_400000_NS6detail17trampoline_kernelINS0_14default_configENS1_20scan_config_selectorIlEEZZNS1_9scan_implILNS1_25lookback_scan_determinismE0ELb0ELb0ES3_PlS8_lN6thrust23THRUST_200600_302600_NS4plusIvEElEEDaPvRmT3_T4_T5_mT6_P12ihipStream_tbENKUlT_T0_E_clISt17integral_constantIbLb0EESQ_EEDaSL_SM_EUlSL_E_NS1_11comp_targetILNS1_3genE8ELNS1_11target_archE1030ELNS1_3gpuE2ELNS1_3repE0EEENS1_30default_config_static_selectorELNS0_4arch9wavefront6targetE1EEEvT1_,@function
_ZN7rocprim17ROCPRIM_400000_NS6detail17trampoline_kernelINS0_14default_configENS1_20scan_config_selectorIlEEZZNS1_9scan_implILNS1_25lookback_scan_determinismE0ELb0ELb0ES3_PlS8_lN6thrust23THRUST_200600_302600_NS4plusIvEElEEDaPvRmT3_T4_T5_mT6_P12ihipStream_tbENKUlT_T0_E_clISt17integral_constantIbLb0EESQ_EEDaSL_SM_EUlSL_E_NS1_11comp_targetILNS1_3genE8ELNS1_11target_archE1030ELNS1_3gpuE2ELNS1_3repE0EEENS1_30default_config_static_selectorELNS0_4arch9wavefront6targetE1EEEvT1_: ; @_ZN7rocprim17ROCPRIM_400000_NS6detail17trampoline_kernelINS0_14default_configENS1_20scan_config_selectorIlEEZZNS1_9scan_implILNS1_25lookback_scan_determinismE0ELb0ELb0ES3_PlS8_lN6thrust23THRUST_200600_302600_NS4plusIvEElEEDaPvRmT3_T4_T5_mT6_P12ihipStream_tbENKUlT_T0_E_clISt17integral_constantIbLb0EESQ_EEDaSL_SM_EUlSL_E_NS1_11comp_targetILNS1_3genE8ELNS1_11target_archE1030ELNS1_3gpuE2ELNS1_3repE0EEENS1_30default_config_static_selectorELNS0_4arch9wavefront6targetE1EEEvT1_
; %bb.0:
	.section	.rodata,"a",@progbits
	.p2align	6, 0x0
	.amdhsa_kernel _ZN7rocprim17ROCPRIM_400000_NS6detail17trampoline_kernelINS0_14default_configENS1_20scan_config_selectorIlEEZZNS1_9scan_implILNS1_25lookback_scan_determinismE0ELb0ELb0ES3_PlS8_lN6thrust23THRUST_200600_302600_NS4plusIvEElEEDaPvRmT3_T4_T5_mT6_P12ihipStream_tbENKUlT_T0_E_clISt17integral_constantIbLb0EESQ_EEDaSL_SM_EUlSL_E_NS1_11comp_targetILNS1_3genE8ELNS1_11target_archE1030ELNS1_3gpuE2ELNS1_3repE0EEENS1_30default_config_static_selectorELNS0_4arch9wavefront6targetE1EEEvT1_
		.amdhsa_group_segment_fixed_size 0
		.amdhsa_private_segment_fixed_size 0
		.amdhsa_kernarg_size 104
		.amdhsa_user_sgpr_count 6
		.amdhsa_user_sgpr_private_segment_buffer 1
		.amdhsa_user_sgpr_dispatch_ptr 0
		.amdhsa_user_sgpr_queue_ptr 0
		.amdhsa_user_sgpr_kernarg_segment_ptr 1
		.amdhsa_user_sgpr_dispatch_id 0
		.amdhsa_user_sgpr_flat_scratch_init 0
		.amdhsa_user_sgpr_kernarg_preload_length 0
		.amdhsa_user_sgpr_kernarg_preload_offset 0
		.amdhsa_user_sgpr_private_segment_size 0
		.amdhsa_uses_dynamic_stack 0
		.amdhsa_system_sgpr_private_segment_wavefront_offset 0
		.amdhsa_system_sgpr_workgroup_id_x 1
		.amdhsa_system_sgpr_workgroup_id_y 0
		.amdhsa_system_sgpr_workgroup_id_z 0
		.amdhsa_system_sgpr_workgroup_info 0
		.amdhsa_system_vgpr_workitem_id 0
		.amdhsa_next_free_vgpr 1
		.amdhsa_next_free_sgpr 0
		.amdhsa_accum_offset 4
		.amdhsa_reserve_vcc 0
		.amdhsa_reserve_flat_scratch 0
		.amdhsa_float_round_mode_32 0
		.amdhsa_float_round_mode_16_64 0
		.amdhsa_float_denorm_mode_32 3
		.amdhsa_float_denorm_mode_16_64 3
		.amdhsa_dx10_clamp 1
		.amdhsa_ieee_mode 1
		.amdhsa_fp16_overflow 0
		.amdhsa_tg_split 0
		.amdhsa_exception_fp_ieee_invalid_op 0
		.amdhsa_exception_fp_denorm_src 0
		.amdhsa_exception_fp_ieee_div_zero 0
		.amdhsa_exception_fp_ieee_overflow 0
		.amdhsa_exception_fp_ieee_underflow 0
		.amdhsa_exception_fp_ieee_inexact 0
		.amdhsa_exception_int_div_zero 0
	.end_amdhsa_kernel
	.section	.text._ZN7rocprim17ROCPRIM_400000_NS6detail17trampoline_kernelINS0_14default_configENS1_20scan_config_selectorIlEEZZNS1_9scan_implILNS1_25lookback_scan_determinismE0ELb0ELb0ES3_PlS8_lN6thrust23THRUST_200600_302600_NS4plusIvEElEEDaPvRmT3_T4_T5_mT6_P12ihipStream_tbENKUlT_T0_E_clISt17integral_constantIbLb0EESQ_EEDaSL_SM_EUlSL_E_NS1_11comp_targetILNS1_3genE8ELNS1_11target_archE1030ELNS1_3gpuE2ELNS1_3repE0EEENS1_30default_config_static_selectorELNS0_4arch9wavefront6targetE1EEEvT1_,"axG",@progbits,_ZN7rocprim17ROCPRIM_400000_NS6detail17trampoline_kernelINS0_14default_configENS1_20scan_config_selectorIlEEZZNS1_9scan_implILNS1_25lookback_scan_determinismE0ELb0ELb0ES3_PlS8_lN6thrust23THRUST_200600_302600_NS4plusIvEElEEDaPvRmT3_T4_T5_mT6_P12ihipStream_tbENKUlT_T0_E_clISt17integral_constantIbLb0EESQ_EEDaSL_SM_EUlSL_E_NS1_11comp_targetILNS1_3genE8ELNS1_11target_archE1030ELNS1_3gpuE2ELNS1_3repE0EEENS1_30default_config_static_selectorELNS0_4arch9wavefront6targetE1EEEvT1_,comdat
.Lfunc_end92:
	.size	_ZN7rocprim17ROCPRIM_400000_NS6detail17trampoline_kernelINS0_14default_configENS1_20scan_config_selectorIlEEZZNS1_9scan_implILNS1_25lookback_scan_determinismE0ELb0ELb0ES3_PlS8_lN6thrust23THRUST_200600_302600_NS4plusIvEElEEDaPvRmT3_T4_T5_mT6_P12ihipStream_tbENKUlT_T0_E_clISt17integral_constantIbLb0EESQ_EEDaSL_SM_EUlSL_E_NS1_11comp_targetILNS1_3genE8ELNS1_11target_archE1030ELNS1_3gpuE2ELNS1_3repE0EEENS1_30default_config_static_selectorELNS0_4arch9wavefront6targetE1EEEvT1_, .Lfunc_end92-_ZN7rocprim17ROCPRIM_400000_NS6detail17trampoline_kernelINS0_14default_configENS1_20scan_config_selectorIlEEZZNS1_9scan_implILNS1_25lookback_scan_determinismE0ELb0ELb0ES3_PlS8_lN6thrust23THRUST_200600_302600_NS4plusIvEElEEDaPvRmT3_T4_T5_mT6_P12ihipStream_tbENKUlT_T0_E_clISt17integral_constantIbLb0EESQ_EEDaSL_SM_EUlSL_E_NS1_11comp_targetILNS1_3genE8ELNS1_11target_archE1030ELNS1_3gpuE2ELNS1_3repE0EEENS1_30default_config_static_selectorELNS0_4arch9wavefront6targetE1EEEvT1_
                                        ; -- End function
	.section	.AMDGPU.csdata,"",@progbits
; Kernel info:
; codeLenInByte = 0
; NumSgprs: 4
; NumVgprs: 0
; NumAgprs: 0
; TotalNumVgprs: 0
; ScratchSize: 0
; MemoryBound: 0
; FloatMode: 240
; IeeeMode: 1
; LDSByteSize: 0 bytes/workgroup (compile time only)
; SGPRBlocks: 0
; VGPRBlocks: 0
; NumSGPRsForWavesPerEU: 4
; NumVGPRsForWavesPerEU: 1
; AccumOffset: 4
; Occupancy: 8
; WaveLimiterHint : 0
; COMPUTE_PGM_RSRC2:SCRATCH_EN: 0
; COMPUTE_PGM_RSRC2:USER_SGPR: 6
; COMPUTE_PGM_RSRC2:TRAP_HANDLER: 0
; COMPUTE_PGM_RSRC2:TGID_X_EN: 1
; COMPUTE_PGM_RSRC2:TGID_Y_EN: 0
; COMPUTE_PGM_RSRC2:TGID_Z_EN: 0
; COMPUTE_PGM_RSRC2:TIDIG_COMP_CNT: 0
; COMPUTE_PGM_RSRC3_GFX90A:ACCUM_OFFSET: 0
; COMPUTE_PGM_RSRC3_GFX90A:TG_SPLIT: 0
	.section	.text._ZN7rocprim17ROCPRIM_400000_NS6detail17trampoline_kernelINS0_14default_configENS1_20scan_config_selectorIlEEZZNS1_9scan_implILNS1_25lookback_scan_determinismE0ELb0ELb0ES3_PlS8_lN6thrust23THRUST_200600_302600_NS4plusIvEElEEDaPvRmT3_T4_T5_mT6_P12ihipStream_tbENKUlT_T0_E_clISt17integral_constantIbLb0EESQ_EEDaSL_SM_EUlSL_E0_NS1_11comp_targetILNS1_3genE0ELNS1_11target_archE4294967295ELNS1_3gpuE0ELNS1_3repE0EEENS1_30default_config_static_selectorELNS0_4arch9wavefront6targetE1EEEvT1_,"axG",@progbits,_ZN7rocprim17ROCPRIM_400000_NS6detail17trampoline_kernelINS0_14default_configENS1_20scan_config_selectorIlEEZZNS1_9scan_implILNS1_25lookback_scan_determinismE0ELb0ELb0ES3_PlS8_lN6thrust23THRUST_200600_302600_NS4plusIvEElEEDaPvRmT3_T4_T5_mT6_P12ihipStream_tbENKUlT_T0_E_clISt17integral_constantIbLb0EESQ_EEDaSL_SM_EUlSL_E0_NS1_11comp_targetILNS1_3genE0ELNS1_11target_archE4294967295ELNS1_3gpuE0ELNS1_3repE0EEENS1_30default_config_static_selectorELNS0_4arch9wavefront6targetE1EEEvT1_,comdat
	.protected	_ZN7rocprim17ROCPRIM_400000_NS6detail17trampoline_kernelINS0_14default_configENS1_20scan_config_selectorIlEEZZNS1_9scan_implILNS1_25lookback_scan_determinismE0ELb0ELb0ES3_PlS8_lN6thrust23THRUST_200600_302600_NS4plusIvEElEEDaPvRmT3_T4_T5_mT6_P12ihipStream_tbENKUlT_T0_E_clISt17integral_constantIbLb0EESQ_EEDaSL_SM_EUlSL_E0_NS1_11comp_targetILNS1_3genE0ELNS1_11target_archE4294967295ELNS1_3gpuE0ELNS1_3repE0EEENS1_30default_config_static_selectorELNS0_4arch9wavefront6targetE1EEEvT1_ ; -- Begin function _ZN7rocprim17ROCPRIM_400000_NS6detail17trampoline_kernelINS0_14default_configENS1_20scan_config_selectorIlEEZZNS1_9scan_implILNS1_25lookback_scan_determinismE0ELb0ELb0ES3_PlS8_lN6thrust23THRUST_200600_302600_NS4plusIvEElEEDaPvRmT3_T4_T5_mT6_P12ihipStream_tbENKUlT_T0_E_clISt17integral_constantIbLb0EESQ_EEDaSL_SM_EUlSL_E0_NS1_11comp_targetILNS1_3genE0ELNS1_11target_archE4294967295ELNS1_3gpuE0ELNS1_3repE0EEENS1_30default_config_static_selectorELNS0_4arch9wavefront6targetE1EEEvT1_
	.globl	_ZN7rocprim17ROCPRIM_400000_NS6detail17trampoline_kernelINS0_14default_configENS1_20scan_config_selectorIlEEZZNS1_9scan_implILNS1_25lookback_scan_determinismE0ELb0ELb0ES3_PlS8_lN6thrust23THRUST_200600_302600_NS4plusIvEElEEDaPvRmT3_T4_T5_mT6_P12ihipStream_tbENKUlT_T0_E_clISt17integral_constantIbLb0EESQ_EEDaSL_SM_EUlSL_E0_NS1_11comp_targetILNS1_3genE0ELNS1_11target_archE4294967295ELNS1_3gpuE0ELNS1_3repE0EEENS1_30default_config_static_selectorELNS0_4arch9wavefront6targetE1EEEvT1_
	.p2align	8
	.type	_ZN7rocprim17ROCPRIM_400000_NS6detail17trampoline_kernelINS0_14default_configENS1_20scan_config_selectorIlEEZZNS1_9scan_implILNS1_25lookback_scan_determinismE0ELb0ELb0ES3_PlS8_lN6thrust23THRUST_200600_302600_NS4plusIvEElEEDaPvRmT3_T4_T5_mT6_P12ihipStream_tbENKUlT_T0_E_clISt17integral_constantIbLb0EESQ_EEDaSL_SM_EUlSL_E0_NS1_11comp_targetILNS1_3genE0ELNS1_11target_archE4294967295ELNS1_3gpuE0ELNS1_3repE0EEENS1_30default_config_static_selectorELNS0_4arch9wavefront6targetE1EEEvT1_,@function
_ZN7rocprim17ROCPRIM_400000_NS6detail17trampoline_kernelINS0_14default_configENS1_20scan_config_selectorIlEEZZNS1_9scan_implILNS1_25lookback_scan_determinismE0ELb0ELb0ES3_PlS8_lN6thrust23THRUST_200600_302600_NS4plusIvEElEEDaPvRmT3_T4_T5_mT6_P12ihipStream_tbENKUlT_T0_E_clISt17integral_constantIbLb0EESQ_EEDaSL_SM_EUlSL_E0_NS1_11comp_targetILNS1_3genE0ELNS1_11target_archE4294967295ELNS1_3gpuE0ELNS1_3repE0EEENS1_30default_config_static_selectorELNS0_4arch9wavefront6targetE1EEEvT1_: ; @_ZN7rocprim17ROCPRIM_400000_NS6detail17trampoline_kernelINS0_14default_configENS1_20scan_config_selectorIlEEZZNS1_9scan_implILNS1_25lookback_scan_determinismE0ELb0ELb0ES3_PlS8_lN6thrust23THRUST_200600_302600_NS4plusIvEElEEDaPvRmT3_T4_T5_mT6_P12ihipStream_tbENKUlT_T0_E_clISt17integral_constantIbLb0EESQ_EEDaSL_SM_EUlSL_E0_NS1_11comp_targetILNS1_3genE0ELNS1_11target_archE4294967295ELNS1_3gpuE0ELNS1_3repE0EEENS1_30default_config_static_selectorELNS0_4arch9wavefront6targetE1EEEvT1_
; %bb.0:
	.section	.rodata,"a",@progbits
	.p2align	6, 0x0
	.amdhsa_kernel _ZN7rocprim17ROCPRIM_400000_NS6detail17trampoline_kernelINS0_14default_configENS1_20scan_config_selectorIlEEZZNS1_9scan_implILNS1_25lookback_scan_determinismE0ELb0ELb0ES3_PlS8_lN6thrust23THRUST_200600_302600_NS4plusIvEElEEDaPvRmT3_T4_T5_mT6_P12ihipStream_tbENKUlT_T0_E_clISt17integral_constantIbLb0EESQ_EEDaSL_SM_EUlSL_E0_NS1_11comp_targetILNS1_3genE0ELNS1_11target_archE4294967295ELNS1_3gpuE0ELNS1_3repE0EEENS1_30default_config_static_selectorELNS0_4arch9wavefront6targetE1EEEvT1_
		.amdhsa_group_segment_fixed_size 0
		.amdhsa_private_segment_fixed_size 0
		.amdhsa_kernarg_size 40
		.amdhsa_user_sgpr_count 6
		.amdhsa_user_sgpr_private_segment_buffer 1
		.amdhsa_user_sgpr_dispatch_ptr 0
		.amdhsa_user_sgpr_queue_ptr 0
		.amdhsa_user_sgpr_kernarg_segment_ptr 1
		.amdhsa_user_sgpr_dispatch_id 0
		.amdhsa_user_sgpr_flat_scratch_init 0
		.amdhsa_user_sgpr_kernarg_preload_length 0
		.amdhsa_user_sgpr_kernarg_preload_offset 0
		.amdhsa_user_sgpr_private_segment_size 0
		.amdhsa_uses_dynamic_stack 0
		.amdhsa_system_sgpr_private_segment_wavefront_offset 0
		.amdhsa_system_sgpr_workgroup_id_x 1
		.amdhsa_system_sgpr_workgroup_id_y 0
		.amdhsa_system_sgpr_workgroup_id_z 0
		.amdhsa_system_sgpr_workgroup_info 0
		.amdhsa_system_vgpr_workitem_id 0
		.amdhsa_next_free_vgpr 1
		.amdhsa_next_free_sgpr 0
		.amdhsa_accum_offset 4
		.amdhsa_reserve_vcc 0
		.amdhsa_reserve_flat_scratch 0
		.amdhsa_float_round_mode_32 0
		.amdhsa_float_round_mode_16_64 0
		.amdhsa_float_denorm_mode_32 3
		.amdhsa_float_denorm_mode_16_64 3
		.amdhsa_dx10_clamp 1
		.amdhsa_ieee_mode 1
		.amdhsa_fp16_overflow 0
		.amdhsa_tg_split 0
		.amdhsa_exception_fp_ieee_invalid_op 0
		.amdhsa_exception_fp_denorm_src 0
		.amdhsa_exception_fp_ieee_div_zero 0
		.amdhsa_exception_fp_ieee_overflow 0
		.amdhsa_exception_fp_ieee_underflow 0
		.amdhsa_exception_fp_ieee_inexact 0
		.amdhsa_exception_int_div_zero 0
	.end_amdhsa_kernel
	.section	.text._ZN7rocprim17ROCPRIM_400000_NS6detail17trampoline_kernelINS0_14default_configENS1_20scan_config_selectorIlEEZZNS1_9scan_implILNS1_25lookback_scan_determinismE0ELb0ELb0ES3_PlS8_lN6thrust23THRUST_200600_302600_NS4plusIvEElEEDaPvRmT3_T4_T5_mT6_P12ihipStream_tbENKUlT_T0_E_clISt17integral_constantIbLb0EESQ_EEDaSL_SM_EUlSL_E0_NS1_11comp_targetILNS1_3genE0ELNS1_11target_archE4294967295ELNS1_3gpuE0ELNS1_3repE0EEENS1_30default_config_static_selectorELNS0_4arch9wavefront6targetE1EEEvT1_,"axG",@progbits,_ZN7rocprim17ROCPRIM_400000_NS6detail17trampoline_kernelINS0_14default_configENS1_20scan_config_selectorIlEEZZNS1_9scan_implILNS1_25lookback_scan_determinismE0ELb0ELb0ES3_PlS8_lN6thrust23THRUST_200600_302600_NS4plusIvEElEEDaPvRmT3_T4_T5_mT6_P12ihipStream_tbENKUlT_T0_E_clISt17integral_constantIbLb0EESQ_EEDaSL_SM_EUlSL_E0_NS1_11comp_targetILNS1_3genE0ELNS1_11target_archE4294967295ELNS1_3gpuE0ELNS1_3repE0EEENS1_30default_config_static_selectorELNS0_4arch9wavefront6targetE1EEEvT1_,comdat
.Lfunc_end93:
	.size	_ZN7rocprim17ROCPRIM_400000_NS6detail17trampoline_kernelINS0_14default_configENS1_20scan_config_selectorIlEEZZNS1_9scan_implILNS1_25lookback_scan_determinismE0ELb0ELb0ES3_PlS8_lN6thrust23THRUST_200600_302600_NS4plusIvEElEEDaPvRmT3_T4_T5_mT6_P12ihipStream_tbENKUlT_T0_E_clISt17integral_constantIbLb0EESQ_EEDaSL_SM_EUlSL_E0_NS1_11comp_targetILNS1_3genE0ELNS1_11target_archE4294967295ELNS1_3gpuE0ELNS1_3repE0EEENS1_30default_config_static_selectorELNS0_4arch9wavefront6targetE1EEEvT1_, .Lfunc_end93-_ZN7rocprim17ROCPRIM_400000_NS6detail17trampoline_kernelINS0_14default_configENS1_20scan_config_selectorIlEEZZNS1_9scan_implILNS1_25lookback_scan_determinismE0ELb0ELb0ES3_PlS8_lN6thrust23THRUST_200600_302600_NS4plusIvEElEEDaPvRmT3_T4_T5_mT6_P12ihipStream_tbENKUlT_T0_E_clISt17integral_constantIbLb0EESQ_EEDaSL_SM_EUlSL_E0_NS1_11comp_targetILNS1_3genE0ELNS1_11target_archE4294967295ELNS1_3gpuE0ELNS1_3repE0EEENS1_30default_config_static_selectorELNS0_4arch9wavefront6targetE1EEEvT1_
                                        ; -- End function
	.section	.AMDGPU.csdata,"",@progbits
; Kernel info:
; codeLenInByte = 0
; NumSgprs: 4
; NumVgprs: 0
; NumAgprs: 0
; TotalNumVgprs: 0
; ScratchSize: 0
; MemoryBound: 0
; FloatMode: 240
; IeeeMode: 1
; LDSByteSize: 0 bytes/workgroup (compile time only)
; SGPRBlocks: 0
; VGPRBlocks: 0
; NumSGPRsForWavesPerEU: 4
; NumVGPRsForWavesPerEU: 1
; AccumOffset: 4
; Occupancy: 8
; WaveLimiterHint : 0
; COMPUTE_PGM_RSRC2:SCRATCH_EN: 0
; COMPUTE_PGM_RSRC2:USER_SGPR: 6
; COMPUTE_PGM_RSRC2:TRAP_HANDLER: 0
; COMPUTE_PGM_RSRC2:TGID_X_EN: 1
; COMPUTE_PGM_RSRC2:TGID_Y_EN: 0
; COMPUTE_PGM_RSRC2:TGID_Z_EN: 0
; COMPUTE_PGM_RSRC2:TIDIG_COMP_CNT: 0
; COMPUTE_PGM_RSRC3_GFX90A:ACCUM_OFFSET: 0
; COMPUTE_PGM_RSRC3_GFX90A:TG_SPLIT: 0
	.section	.text._ZN7rocprim17ROCPRIM_400000_NS6detail17trampoline_kernelINS0_14default_configENS1_20scan_config_selectorIlEEZZNS1_9scan_implILNS1_25lookback_scan_determinismE0ELb0ELb0ES3_PlS8_lN6thrust23THRUST_200600_302600_NS4plusIvEElEEDaPvRmT3_T4_T5_mT6_P12ihipStream_tbENKUlT_T0_E_clISt17integral_constantIbLb0EESQ_EEDaSL_SM_EUlSL_E0_NS1_11comp_targetILNS1_3genE5ELNS1_11target_archE942ELNS1_3gpuE9ELNS1_3repE0EEENS1_30default_config_static_selectorELNS0_4arch9wavefront6targetE1EEEvT1_,"axG",@progbits,_ZN7rocprim17ROCPRIM_400000_NS6detail17trampoline_kernelINS0_14default_configENS1_20scan_config_selectorIlEEZZNS1_9scan_implILNS1_25lookback_scan_determinismE0ELb0ELb0ES3_PlS8_lN6thrust23THRUST_200600_302600_NS4plusIvEElEEDaPvRmT3_T4_T5_mT6_P12ihipStream_tbENKUlT_T0_E_clISt17integral_constantIbLb0EESQ_EEDaSL_SM_EUlSL_E0_NS1_11comp_targetILNS1_3genE5ELNS1_11target_archE942ELNS1_3gpuE9ELNS1_3repE0EEENS1_30default_config_static_selectorELNS0_4arch9wavefront6targetE1EEEvT1_,comdat
	.protected	_ZN7rocprim17ROCPRIM_400000_NS6detail17trampoline_kernelINS0_14default_configENS1_20scan_config_selectorIlEEZZNS1_9scan_implILNS1_25lookback_scan_determinismE0ELb0ELb0ES3_PlS8_lN6thrust23THRUST_200600_302600_NS4plusIvEElEEDaPvRmT3_T4_T5_mT6_P12ihipStream_tbENKUlT_T0_E_clISt17integral_constantIbLb0EESQ_EEDaSL_SM_EUlSL_E0_NS1_11comp_targetILNS1_3genE5ELNS1_11target_archE942ELNS1_3gpuE9ELNS1_3repE0EEENS1_30default_config_static_selectorELNS0_4arch9wavefront6targetE1EEEvT1_ ; -- Begin function _ZN7rocprim17ROCPRIM_400000_NS6detail17trampoline_kernelINS0_14default_configENS1_20scan_config_selectorIlEEZZNS1_9scan_implILNS1_25lookback_scan_determinismE0ELb0ELb0ES3_PlS8_lN6thrust23THRUST_200600_302600_NS4plusIvEElEEDaPvRmT3_T4_T5_mT6_P12ihipStream_tbENKUlT_T0_E_clISt17integral_constantIbLb0EESQ_EEDaSL_SM_EUlSL_E0_NS1_11comp_targetILNS1_3genE5ELNS1_11target_archE942ELNS1_3gpuE9ELNS1_3repE0EEENS1_30default_config_static_selectorELNS0_4arch9wavefront6targetE1EEEvT1_
	.globl	_ZN7rocprim17ROCPRIM_400000_NS6detail17trampoline_kernelINS0_14default_configENS1_20scan_config_selectorIlEEZZNS1_9scan_implILNS1_25lookback_scan_determinismE0ELb0ELb0ES3_PlS8_lN6thrust23THRUST_200600_302600_NS4plusIvEElEEDaPvRmT3_T4_T5_mT6_P12ihipStream_tbENKUlT_T0_E_clISt17integral_constantIbLb0EESQ_EEDaSL_SM_EUlSL_E0_NS1_11comp_targetILNS1_3genE5ELNS1_11target_archE942ELNS1_3gpuE9ELNS1_3repE0EEENS1_30default_config_static_selectorELNS0_4arch9wavefront6targetE1EEEvT1_
	.p2align	8
	.type	_ZN7rocprim17ROCPRIM_400000_NS6detail17trampoline_kernelINS0_14default_configENS1_20scan_config_selectorIlEEZZNS1_9scan_implILNS1_25lookback_scan_determinismE0ELb0ELb0ES3_PlS8_lN6thrust23THRUST_200600_302600_NS4plusIvEElEEDaPvRmT3_T4_T5_mT6_P12ihipStream_tbENKUlT_T0_E_clISt17integral_constantIbLb0EESQ_EEDaSL_SM_EUlSL_E0_NS1_11comp_targetILNS1_3genE5ELNS1_11target_archE942ELNS1_3gpuE9ELNS1_3repE0EEENS1_30default_config_static_selectorELNS0_4arch9wavefront6targetE1EEEvT1_,@function
_ZN7rocprim17ROCPRIM_400000_NS6detail17trampoline_kernelINS0_14default_configENS1_20scan_config_selectorIlEEZZNS1_9scan_implILNS1_25lookback_scan_determinismE0ELb0ELb0ES3_PlS8_lN6thrust23THRUST_200600_302600_NS4plusIvEElEEDaPvRmT3_T4_T5_mT6_P12ihipStream_tbENKUlT_T0_E_clISt17integral_constantIbLb0EESQ_EEDaSL_SM_EUlSL_E0_NS1_11comp_targetILNS1_3genE5ELNS1_11target_archE942ELNS1_3gpuE9ELNS1_3repE0EEENS1_30default_config_static_selectorELNS0_4arch9wavefront6targetE1EEEvT1_: ; @_ZN7rocprim17ROCPRIM_400000_NS6detail17trampoline_kernelINS0_14default_configENS1_20scan_config_selectorIlEEZZNS1_9scan_implILNS1_25lookback_scan_determinismE0ELb0ELb0ES3_PlS8_lN6thrust23THRUST_200600_302600_NS4plusIvEElEEDaPvRmT3_T4_T5_mT6_P12ihipStream_tbENKUlT_T0_E_clISt17integral_constantIbLb0EESQ_EEDaSL_SM_EUlSL_E0_NS1_11comp_targetILNS1_3genE5ELNS1_11target_archE942ELNS1_3gpuE9ELNS1_3repE0EEENS1_30default_config_static_selectorELNS0_4arch9wavefront6targetE1EEEvT1_
; %bb.0:
	.section	.rodata,"a",@progbits
	.p2align	6, 0x0
	.amdhsa_kernel _ZN7rocprim17ROCPRIM_400000_NS6detail17trampoline_kernelINS0_14default_configENS1_20scan_config_selectorIlEEZZNS1_9scan_implILNS1_25lookback_scan_determinismE0ELb0ELb0ES3_PlS8_lN6thrust23THRUST_200600_302600_NS4plusIvEElEEDaPvRmT3_T4_T5_mT6_P12ihipStream_tbENKUlT_T0_E_clISt17integral_constantIbLb0EESQ_EEDaSL_SM_EUlSL_E0_NS1_11comp_targetILNS1_3genE5ELNS1_11target_archE942ELNS1_3gpuE9ELNS1_3repE0EEENS1_30default_config_static_selectorELNS0_4arch9wavefront6targetE1EEEvT1_
		.amdhsa_group_segment_fixed_size 0
		.amdhsa_private_segment_fixed_size 0
		.amdhsa_kernarg_size 40
		.amdhsa_user_sgpr_count 6
		.amdhsa_user_sgpr_private_segment_buffer 1
		.amdhsa_user_sgpr_dispatch_ptr 0
		.amdhsa_user_sgpr_queue_ptr 0
		.amdhsa_user_sgpr_kernarg_segment_ptr 1
		.amdhsa_user_sgpr_dispatch_id 0
		.amdhsa_user_sgpr_flat_scratch_init 0
		.amdhsa_user_sgpr_kernarg_preload_length 0
		.amdhsa_user_sgpr_kernarg_preload_offset 0
		.amdhsa_user_sgpr_private_segment_size 0
		.amdhsa_uses_dynamic_stack 0
		.amdhsa_system_sgpr_private_segment_wavefront_offset 0
		.amdhsa_system_sgpr_workgroup_id_x 1
		.amdhsa_system_sgpr_workgroup_id_y 0
		.amdhsa_system_sgpr_workgroup_id_z 0
		.amdhsa_system_sgpr_workgroup_info 0
		.amdhsa_system_vgpr_workitem_id 0
		.amdhsa_next_free_vgpr 1
		.amdhsa_next_free_sgpr 0
		.amdhsa_accum_offset 4
		.amdhsa_reserve_vcc 0
		.amdhsa_reserve_flat_scratch 0
		.amdhsa_float_round_mode_32 0
		.amdhsa_float_round_mode_16_64 0
		.amdhsa_float_denorm_mode_32 3
		.amdhsa_float_denorm_mode_16_64 3
		.amdhsa_dx10_clamp 1
		.amdhsa_ieee_mode 1
		.amdhsa_fp16_overflow 0
		.amdhsa_tg_split 0
		.amdhsa_exception_fp_ieee_invalid_op 0
		.amdhsa_exception_fp_denorm_src 0
		.amdhsa_exception_fp_ieee_div_zero 0
		.amdhsa_exception_fp_ieee_overflow 0
		.amdhsa_exception_fp_ieee_underflow 0
		.amdhsa_exception_fp_ieee_inexact 0
		.amdhsa_exception_int_div_zero 0
	.end_amdhsa_kernel
	.section	.text._ZN7rocprim17ROCPRIM_400000_NS6detail17trampoline_kernelINS0_14default_configENS1_20scan_config_selectorIlEEZZNS1_9scan_implILNS1_25lookback_scan_determinismE0ELb0ELb0ES3_PlS8_lN6thrust23THRUST_200600_302600_NS4plusIvEElEEDaPvRmT3_T4_T5_mT6_P12ihipStream_tbENKUlT_T0_E_clISt17integral_constantIbLb0EESQ_EEDaSL_SM_EUlSL_E0_NS1_11comp_targetILNS1_3genE5ELNS1_11target_archE942ELNS1_3gpuE9ELNS1_3repE0EEENS1_30default_config_static_selectorELNS0_4arch9wavefront6targetE1EEEvT1_,"axG",@progbits,_ZN7rocprim17ROCPRIM_400000_NS6detail17trampoline_kernelINS0_14default_configENS1_20scan_config_selectorIlEEZZNS1_9scan_implILNS1_25lookback_scan_determinismE0ELb0ELb0ES3_PlS8_lN6thrust23THRUST_200600_302600_NS4plusIvEElEEDaPvRmT3_T4_T5_mT6_P12ihipStream_tbENKUlT_T0_E_clISt17integral_constantIbLb0EESQ_EEDaSL_SM_EUlSL_E0_NS1_11comp_targetILNS1_3genE5ELNS1_11target_archE942ELNS1_3gpuE9ELNS1_3repE0EEENS1_30default_config_static_selectorELNS0_4arch9wavefront6targetE1EEEvT1_,comdat
.Lfunc_end94:
	.size	_ZN7rocprim17ROCPRIM_400000_NS6detail17trampoline_kernelINS0_14default_configENS1_20scan_config_selectorIlEEZZNS1_9scan_implILNS1_25lookback_scan_determinismE0ELb0ELb0ES3_PlS8_lN6thrust23THRUST_200600_302600_NS4plusIvEElEEDaPvRmT3_T4_T5_mT6_P12ihipStream_tbENKUlT_T0_E_clISt17integral_constantIbLb0EESQ_EEDaSL_SM_EUlSL_E0_NS1_11comp_targetILNS1_3genE5ELNS1_11target_archE942ELNS1_3gpuE9ELNS1_3repE0EEENS1_30default_config_static_selectorELNS0_4arch9wavefront6targetE1EEEvT1_, .Lfunc_end94-_ZN7rocprim17ROCPRIM_400000_NS6detail17trampoline_kernelINS0_14default_configENS1_20scan_config_selectorIlEEZZNS1_9scan_implILNS1_25lookback_scan_determinismE0ELb0ELb0ES3_PlS8_lN6thrust23THRUST_200600_302600_NS4plusIvEElEEDaPvRmT3_T4_T5_mT6_P12ihipStream_tbENKUlT_T0_E_clISt17integral_constantIbLb0EESQ_EEDaSL_SM_EUlSL_E0_NS1_11comp_targetILNS1_3genE5ELNS1_11target_archE942ELNS1_3gpuE9ELNS1_3repE0EEENS1_30default_config_static_selectorELNS0_4arch9wavefront6targetE1EEEvT1_
                                        ; -- End function
	.section	.AMDGPU.csdata,"",@progbits
; Kernel info:
; codeLenInByte = 0
; NumSgprs: 4
; NumVgprs: 0
; NumAgprs: 0
; TotalNumVgprs: 0
; ScratchSize: 0
; MemoryBound: 0
; FloatMode: 240
; IeeeMode: 1
; LDSByteSize: 0 bytes/workgroup (compile time only)
; SGPRBlocks: 0
; VGPRBlocks: 0
; NumSGPRsForWavesPerEU: 4
; NumVGPRsForWavesPerEU: 1
; AccumOffset: 4
; Occupancy: 8
; WaveLimiterHint : 0
; COMPUTE_PGM_RSRC2:SCRATCH_EN: 0
; COMPUTE_PGM_RSRC2:USER_SGPR: 6
; COMPUTE_PGM_RSRC2:TRAP_HANDLER: 0
; COMPUTE_PGM_RSRC2:TGID_X_EN: 1
; COMPUTE_PGM_RSRC2:TGID_Y_EN: 0
; COMPUTE_PGM_RSRC2:TGID_Z_EN: 0
; COMPUTE_PGM_RSRC2:TIDIG_COMP_CNT: 0
; COMPUTE_PGM_RSRC3_GFX90A:ACCUM_OFFSET: 0
; COMPUTE_PGM_RSRC3_GFX90A:TG_SPLIT: 0
	.section	.text._ZN7rocprim17ROCPRIM_400000_NS6detail17trampoline_kernelINS0_14default_configENS1_20scan_config_selectorIlEEZZNS1_9scan_implILNS1_25lookback_scan_determinismE0ELb0ELb0ES3_PlS8_lN6thrust23THRUST_200600_302600_NS4plusIvEElEEDaPvRmT3_T4_T5_mT6_P12ihipStream_tbENKUlT_T0_E_clISt17integral_constantIbLb0EESQ_EEDaSL_SM_EUlSL_E0_NS1_11comp_targetILNS1_3genE4ELNS1_11target_archE910ELNS1_3gpuE8ELNS1_3repE0EEENS1_30default_config_static_selectorELNS0_4arch9wavefront6targetE1EEEvT1_,"axG",@progbits,_ZN7rocprim17ROCPRIM_400000_NS6detail17trampoline_kernelINS0_14default_configENS1_20scan_config_selectorIlEEZZNS1_9scan_implILNS1_25lookback_scan_determinismE0ELb0ELb0ES3_PlS8_lN6thrust23THRUST_200600_302600_NS4plusIvEElEEDaPvRmT3_T4_T5_mT6_P12ihipStream_tbENKUlT_T0_E_clISt17integral_constantIbLb0EESQ_EEDaSL_SM_EUlSL_E0_NS1_11comp_targetILNS1_3genE4ELNS1_11target_archE910ELNS1_3gpuE8ELNS1_3repE0EEENS1_30default_config_static_selectorELNS0_4arch9wavefront6targetE1EEEvT1_,comdat
	.protected	_ZN7rocprim17ROCPRIM_400000_NS6detail17trampoline_kernelINS0_14default_configENS1_20scan_config_selectorIlEEZZNS1_9scan_implILNS1_25lookback_scan_determinismE0ELb0ELb0ES3_PlS8_lN6thrust23THRUST_200600_302600_NS4plusIvEElEEDaPvRmT3_T4_T5_mT6_P12ihipStream_tbENKUlT_T0_E_clISt17integral_constantIbLb0EESQ_EEDaSL_SM_EUlSL_E0_NS1_11comp_targetILNS1_3genE4ELNS1_11target_archE910ELNS1_3gpuE8ELNS1_3repE0EEENS1_30default_config_static_selectorELNS0_4arch9wavefront6targetE1EEEvT1_ ; -- Begin function _ZN7rocprim17ROCPRIM_400000_NS6detail17trampoline_kernelINS0_14default_configENS1_20scan_config_selectorIlEEZZNS1_9scan_implILNS1_25lookback_scan_determinismE0ELb0ELb0ES3_PlS8_lN6thrust23THRUST_200600_302600_NS4plusIvEElEEDaPvRmT3_T4_T5_mT6_P12ihipStream_tbENKUlT_T0_E_clISt17integral_constantIbLb0EESQ_EEDaSL_SM_EUlSL_E0_NS1_11comp_targetILNS1_3genE4ELNS1_11target_archE910ELNS1_3gpuE8ELNS1_3repE0EEENS1_30default_config_static_selectorELNS0_4arch9wavefront6targetE1EEEvT1_
	.globl	_ZN7rocprim17ROCPRIM_400000_NS6detail17trampoline_kernelINS0_14default_configENS1_20scan_config_selectorIlEEZZNS1_9scan_implILNS1_25lookback_scan_determinismE0ELb0ELb0ES3_PlS8_lN6thrust23THRUST_200600_302600_NS4plusIvEElEEDaPvRmT3_T4_T5_mT6_P12ihipStream_tbENKUlT_T0_E_clISt17integral_constantIbLb0EESQ_EEDaSL_SM_EUlSL_E0_NS1_11comp_targetILNS1_3genE4ELNS1_11target_archE910ELNS1_3gpuE8ELNS1_3repE0EEENS1_30default_config_static_selectorELNS0_4arch9wavefront6targetE1EEEvT1_
	.p2align	8
	.type	_ZN7rocprim17ROCPRIM_400000_NS6detail17trampoline_kernelINS0_14default_configENS1_20scan_config_selectorIlEEZZNS1_9scan_implILNS1_25lookback_scan_determinismE0ELb0ELb0ES3_PlS8_lN6thrust23THRUST_200600_302600_NS4plusIvEElEEDaPvRmT3_T4_T5_mT6_P12ihipStream_tbENKUlT_T0_E_clISt17integral_constantIbLb0EESQ_EEDaSL_SM_EUlSL_E0_NS1_11comp_targetILNS1_3genE4ELNS1_11target_archE910ELNS1_3gpuE8ELNS1_3repE0EEENS1_30default_config_static_selectorELNS0_4arch9wavefront6targetE1EEEvT1_,@function
_ZN7rocprim17ROCPRIM_400000_NS6detail17trampoline_kernelINS0_14default_configENS1_20scan_config_selectorIlEEZZNS1_9scan_implILNS1_25lookback_scan_determinismE0ELb0ELb0ES3_PlS8_lN6thrust23THRUST_200600_302600_NS4plusIvEElEEDaPvRmT3_T4_T5_mT6_P12ihipStream_tbENKUlT_T0_E_clISt17integral_constantIbLb0EESQ_EEDaSL_SM_EUlSL_E0_NS1_11comp_targetILNS1_3genE4ELNS1_11target_archE910ELNS1_3gpuE8ELNS1_3repE0EEENS1_30default_config_static_selectorELNS0_4arch9wavefront6targetE1EEEvT1_: ; @_ZN7rocprim17ROCPRIM_400000_NS6detail17trampoline_kernelINS0_14default_configENS1_20scan_config_selectorIlEEZZNS1_9scan_implILNS1_25lookback_scan_determinismE0ELb0ELb0ES3_PlS8_lN6thrust23THRUST_200600_302600_NS4plusIvEElEEDaPvRmT3_T4_T5_mT6_P12ihipStream_tbENKUlT_T0_E_clISt17integral_constantIbLb0EESQ_EEDaSL_SM_EUlSL_E0_NS1_11comp_targetILNS1_3genE4ELNS1_11target_archE910ELNS1_3gpuE8ELNS1_3repE0EEENS1_30default_config_static_selectorELNS0_4arch9wavefront6targetE1EEEvT1_
; %bb.0:
	s_load_dwordx4 s[16:19], s[4:5], 0x0
	v_lshlrev_b32_e32 v21, 3, v0
	s_waitcnt lgkmcnt(0)
	s_load_dwordx2 s[14:15], s[16:17], 0x0
	v_cmp_gt_u32_e32 vcc, s18, v0
	s_waitcnt lgkmcnt(0)
	v_pk_mov_b32 v[2:3], s[14:15], s[14:15] op_sel:[0,1]
	s_and_saveexec_b64 s[0:1], vcc
	s_cbranch_execz .LBB95_2
; %bb.1:
	global_load_dwordx2 v[2:3], v21, s[16:17]
.LBB95_2:
	s_or_b64 exec, exec, s[0:1]
	v_or_b32_e32 v1, 0x80, v0
	v_cmp_gt_u32_e64 s[0:1], s18, v1
	v_pk_mov_b32 v[4:5], s[14:15], s[14:15] op_sel:[0,1]
	s_and_saveexec_b64 s[2:3], s[0:1]
	s_cbranch_execz .LBB95_4
; %bb.3:
	global_load_dwordx2 v[4:5], v21, s[16:17] offset:1024
.LBB95_4:
	s_or_b64 exec, exec, s[2:3]
	v_or_b32_e32 v1, 0x100, v0
	v_cmp_gt_u32_e64 s[2:3], s18, v1
	v_pk_mov_b32 v[6:7], s[14:15], s[14:15] op_sel:[0,1]
	s_and_saveexec_b64 s[6:7], s[2:3]
	s_cbranch_execz .LBB95_6
; %bb.5:
	global_load_dwordx2 v[6:7], v21, s[16:17] offset:2048
.LBB95_6:
	;; [unrolled: 9-line block ×3, first 2 shown]
	s_or_b64 exec, exec, s[6:7]
	v_or_b32_e32 v1, 0x200, v0
	v_cmp_gt_u32_e64 s[6:7], s18, v1
	v_pk_mov_b32 v[10:11], s[14:15], s[14:15] op_sel:[0,1]
	s_and_saveexec_b64 s[8:9], s[6:7]
	s_cbranch_execz .LBB95_10
; %bb.9:
	v_lshlrev_b32_e32 v1, 3, v1
	global_load_dwordx2 v[10:11], v1, s[16:17]
.LBB95_10:
	s_or_b64 exec, exec, s[8:9]
	v_or_b32_e32 v1, 0x280, v0
	v_cmp_gt_u32_e64 s[8:9], s18, v1
	v_pk_mov_b32 v[12:13], s[14:15], s[14:15] op_sel:[0,1]
	s_and_saveexec_b64 s[10:11], s[8:9]
	s_cbranch_execz .LBB95_12
; %bb.11:
	v_lshlrev_b32_e32 v1, 3, v1
	global_load_dwordx2 v[12:13], v1, s[16:17]
.LBB95_12:
	;; [unrolled: 10-line block ×3, first 2 shown]
	s_or_b64 exec, exec, s[14:15]
	v_mad_u32_u24 v1, v0, 48, v21
	s_waitcnt vmcnt(0)
	ds_write2st64_b64 v21, v[2:3], v[4:5] offset1:2
	ds_write2st64_b64 v21, v[6:7], v[8:9] offset0:4 offset1:6
	ds_write2st64_b64 v21, v[10:11], v[12:13] offset0:8 offset1:10
	ds_write_b64 v21, v[14:15] offset:6144
	s_waitcnt lgkmcnt(0)
	s_barrier
	ds_read2_b64 v[2:5], v1 offset1:1
	ds_read2_b64 v[6:9], v1 offset0:2 offset1:3
	ds_read2_b64 v[10:13], v1 offset0:4 offset1:5
	ds_read_b64 v[28:29], v1 offset:48
	s_load_dwordx2 s[16:17], s[4:5], 0x20
	s_waitcnt lgkmcnt(0)
	v_add_co_u32_e64 v20, s[4:5], v4, v2
	v_addc_co_u32_e64 v1, s[4:5], v5, v3, s[4:5]
	v_add_co_u32_e64 v18, s[4:5], v20, v6
	v_addc_co_u32_e64 v19, s[4:5], v1, v7, s[4:5]
	;; [unrolled: 2-line block ×5, first 2 shown]
	v_add_co_u32_e64 v30, s[4:5], v26, v28
	v_lshrrev_b32_e32 v14, 2, v0
	v_addc_co_u32_e64 v31, s[4:5], v27, v29, s[4:5]
	v_and_b32_e32 v14, 24, v14
	v_add_u32_e32 v14, v21, v14
	v_cmp_gt_u32_e64 s[4:5], 64, v0
	s_barrier
	ds_write_b64 v14, v[30:31]
	s_waitcnt lgkmcnt(0)
	s_barrier
	s_and_saveexec_b64 s[18:19], s[4:5]
	s_cbranch_execz .LBB95_18
; %bb.15:
	v_lshlrev_b32_e32 v14, 1, v0
	v_lshrrev_b32_e32 v15, 4, v0
	v_add_lshl_u32 v32, v15, v14, 3
	ds_read2_b64 v[14:17], v32 offset1:1
	s_waitcnt lgkmcnt(0)
	v_add_co_u32_e64 v34, s[4:5], v16, v14
	v_addc_co_u32_e64 v35, s[4:5], v17, v15, s[4:5]
	s_nop 0
	v_mov_b32_dpp v17, v34 row_shr:1 row_mask:0xf bank_mask:0xf
	v_add_co_u32_e64 v17, s[4:5], v34, v17
	v_mbcnt_lo_u32_b32 v16, -1, 0
	v_addc_co_u32_e64 v37, s[4:5], 0, v35, s[4:5]
	v_mbcnt_hi_u32_b32 v33, -1, v16
	v_mov_b32_dpp v36, v35 row_shr:1 row_mask:0xf bank_mask:0xf
	v_add_co_u32_e64 v38, s[4:5], 0, v17
	v_and_b32_e32 v16, 15, v33
	v_addc_co_u32_e64 v36, s[4:5], v36, v37, s[4:5]
	v_cmp_eq_u32_e64 s[4:5], 0, v16
	v_cndmask_b32_e64 v17, v17, v34, s[4:5]
	v_cndmask_b32_e64 v36, v36, v35, s[4:5]
	v_cndmask_b32_e64 v37, v38, v34, s[4:5]
	v_mov_b32_dpp v38, v17 row_shr:2 row_mask:0xf bank_mask:0xf
	v_mov_b32_dpp v39, v36 row_shr:2 row_mask:0xf bank_mask:0xf
	v_add_co_u32_e64 v38, s[4:5], v38, v37
	v_addc_co_u32_e64 v39, s[4:5], v39, v36, s[4:5]
	v_cmp_lt_u32_e64 s[4:5], 1, v16
	v_cndmask_b32_e64 v17, v17, v38, s[4:5]
	v_cndmask_b32_e64 v36, v36, v39, s[4:5]
	v_cndmask_b32_e64 v37, v37, v38, s[4:5]
	v_mov_b32_dpp v38, v17 row_shr:4 row_mask:0xf bank_mask:0xf
	v_mov_b32_dpp v39, v36 row_shr:4 row_mask:0xf bank_mask:0xf
	v_add_co_u32_e64 v38, s[4:5], v38, v37
	v_addc_co_u32_e64 v39, s[4:5], v39, v36, s[4:5]
	v_cmp_lt_u32_e64 s[4:5], 3, v16
	;; [unrolled: 8-line block ×3, first 2 shown]
	v_cndmask_b32_e64 v40, v17, v38, s[4:5]
	v_cndmask_b32_e64 v17, v36, v39, s[4:5]
	v_cndmask_b32_e64 v16, v37, v38, s[4:5]
	v_mov_b32_dpp v36, v40 row_bcast:15 row_mask:0xf bank_mask:0xf
	v_mov_b32_dpp v37, v17 row_bcast:15 row_mask:0xf bank_mask:0xf
	v_add_co_u32_e64 v36, s[4:5], v36, v16
	v_and_b32_e32 v39, 16, v33
	v_addc_co_u32_e64 v38, s[4:5], v37, v17, s[4:5]
	v_cmp_eq_u32_e64 s[4:5], 0, v39
	v_cndmask_b32_e64 v39, v38, v17, s[4:5]
	v_cndmask_b32_e64 v37, v36, v40, s[4:5]
	v_cmp_ne_u32_e64 s[14:15], 0, v33
	v_mov_b32_dpp v39, v39 row_bcast:31 row_mask:0xf bank_mask:0xf
	v_mov_b32_dpp v37, v37 row_bcast:31 row_mask:0xf bank_mask:0xf
	s_and_saveexec_b64 s[20:21], s[14:15]
; %bb.16:
	v_cndmask_b32_e64 v17, v38, v17, s[4:5]
	v_cndmask_b32_e64 v16, v36, v16, s[4:5]
	v_cmp_lt_u32_e64 s[4:5], 31, v33
	v_cndmask_b32_e64 v34, 0, v37, s[4:5]
	v_cndmask_b32_e64 v35, 0, v39, s[4:5]
	v_add_co_u32_e64 v34, s[4:5], v34, v16
	v_addc_co_u32_e64 v35, s[4:5], v35, v17, s[4:5]
; %bb.17:
	s_or_b64 exec, exec, s[20:21]
	v_add_u32_e32 v16, -1, v33
	v_and_b32_e32 v17, 64, v33
	v_cmp_lt_i32_e64 s[4:5], v16, v17
	v_cndmask_b32_e64 v16, v16, v33, s[4:5]
	v_lshlrev_b32_e32 v16, 2, v16
	ds_bpermute_b32 v17, v16, v34
	ds_bpermute_b32 v16, v16, v35
	; wave barrier
	s_waitcnt lgkmcnt(1)
	v_add_co_u32_e64 v14, s[4:5], v14, v17
	v_addc_co_u32_e64 v15, s[4:5], 0, v15, s[4:5]
	v_add_co_u32_e64 v14, s[4:5], 0, v14
	s_waitcnt lgkmcnt(0)
	v_addc_co_u32_e64 v15, s[4:5], v15, v16, s[4:5]
	v_cmp_eq_u32_e64 s[4:5], 0, v0
	v_cndmask_b32_e64 v15, v15, v31, s[4:5]
	v_cndmask_b32_e64 v14, v14, v30, s[4:5]
	ds_write_b64 v32, v[14:15]
	; wave barrier
	ds_read_b64 v[16:17], v32 offset:8
	s_waitcnt lgkmcnt(0)
	v_add_co_u32_e64 v14, s[4:5], v16, v14
	v_addc_co_u32_e64 v15, s[4:5], v17, v15, s[4:5]
	ds_write_b64 v32, v[14:15] offset:8
.LBB95_18:
	s_or_b64 exec, exec, s[18:19]
	v_mul_u32_u24_e32 v16, 48, v0
	v_cmp_ne_u32_e64 s[4:5], 0, v0
	v_pk_mov_b32 v[14:15], v[30:31], v[30:31] op_sel:[0,1]
	s_waitcnt lgkmcnt(0)
	s_barrier
	s_and_saveexec_b64 s[14:15], s[4:5]
	s_cbranch_execz .LBB95_20
; %bb.19:
	v_add_u32_e32 v0, -1, v0
	v_lshrrev_b32_e32 v14, 5, v0
	v_add_lshl_u32 v0, v14, v0, 3
	ds_read_b64 v[14:15], v0
.LBB95_20:
	s_or_b64 exec, exec, s[14:15]
	s_and_saveexec_b64 s[14:15], s[4:5]
	s_cbranch_execz .LBB95_22
; %bb.21:
	s_waitcnt lgkmcnt(0)
	v_add_co_u32_e64 v2, s[4:5], v14, v2
	v_addc_co_u32_e64 v3, s[4:5], v15, v3, s[4:5]
	v_add_co_u32_e64 v20, s[4:5], v2, v4
	v_addc_co_u32_e64 v1, s[4:5], v3, v5, s[4:5]
	;; [unrolled: 2-line block ×7, first 2 shown]
	;;#ASMSTART
	;;#ASMEND
.LBB95_22:
	s_or_b64 exec, exec, s[14:15]
	v_add_u32_e32 v4, v21, v16
	v_mov_b32_e32 v0, v20
	s_waitcnt lgkmcnt(0)
	s_barrier
	ds_write2_b64 v4, v[2:3], v[0:1] offset1:1
	ds_write2_b64 v4, v[18:19], v[24:25] offset0:2 offset1:3
	ds_write2_b64 v4, v[22:23], v[26:27] offset0:4 offset1:5
	ds_write_b64 v4, v[30:31] offset:48
	s_waitcnt lgkmcnt(0)
	s_barrier
	ds_read2st64_b64 v[8:11], v21 offset0:2 offset1:4
	ds_read2st64_b64 v[4:7], v21 offset0:6 offset1:8
	;; [unrolled: 1-line block ×3, first 2 shown]
	v_mov_b32_e32 v13, s17
	v_add_co_u32_e64 v12, s[4:5], s16, v21
	v_addc_co_u32_e64 v13, s[4:5], 0, v13, s[4:5]
	s_and_saveexec_b64 s[4:5], vcc
	s_cbranch_execnz .LBB95_30
; %bb.23:
	s_or_b64 exec, exec, s[4:5]
	s_and_saveexec_b64 s[4:5], s[0:1]
	s_cbranch_execnz .LBB95_31
.LBB95_24:
	s_or_b64 exec, exec, s[4:5]
	s_and_saveexec_b64 s[0:1], s[2:3]
	s_cbranch_execnz .LBB95_32
.LBB95_25:
	s_or_b64 exec, exec, s[0:1]
	s_and_saveexec_b64 s[0:1], s[12:13]
	s_cbranch_execnz .LBB95_33
.LBB95_26:
	s_or_b64 exec, exec, s[0:1]
	s_and_saveexec_b64 s[0:1], s[6:7]
	s_cbranch_execnz .LBB95_34
.LBB95_27:
	s_or_b64 exec, exec, s[0:1]
	s_and_saveexec_b64 s[0:1], s[8:9]
	s_cbranch_execnz .LBB95_35
.LBB95_28:
	s_or_b64 exec, exec, s[0:1]
	s_and_saveexec_b64 s[0:1], s[10:11]
	s_cbranch_execnz .LBB95_36
.LBB95_29:
	s_endpgm
.LBB95_30:
	ds_read_b64 v[14:15], v21
	s_waitcnt lgkmcnt(0)
	global_store_dwordx2 v[12:13], v[14:15], off
	s_or_b64 exec, exec, s[4:5]
	s_and_saveexec_b64 s[4:5], s[0:1]
	s_cbranch_execz .LBB95_24
.LBB95_31:
	s_waitcnt lgkmcnt(2)
	global_store_dwordx2 v[12:13], v[8:9], off offset:1024
	s_or_b64 exec, exec, s[4:5]
	s_and_saveexec_b64 s[0:1], s[2:3]
	s_cbranch_execz .LBB95_25
.LBB95_32:
	s_waitcnt lgkmcnt(2)
	global_store_dwordx2 v[12:13], v[10:11], off offset:2048
	s_or_b64 exec, exec, s[0:1]
	s_and_saveexec_b64 s[0:1], s[12:13]
	s_cbranch_execz .LBB95_26
.LBB95_33:
	s_waitcnt lgkmcnt(1)
	global_store_dwordx2 v[12:13], v[4:5], off offset:3072
	s_or_b64 exec, exec, s[0:1]
	s_and_saveexec_b64 s[0:1], s[6:7]
	s_cbranch_execz .LBB95_27
.LBB95_34:
	s_waitcnt lgkmcnt(1)
	v_add_co_u32_e32 v4, vcc, 0x1000, v12
	v_addc_co_u32_e32 v5, vcc, 0, v13, vcc
	global_store_dwordx2 v[4:5], v[6:7], off
	s_or_b64 exec, exec, s[0:1]
	s_and_saveexec_b64 s[0:1], s[8:9]
	s_cbranch_execz .LBB95_28
.LBB95_35:
	s_waitcnt lgkmcnt(1)
	v_add_co_u32_e32 v4, vcc, 0x1000, v12
	v_addc_co_u32_e32 v5, vcc, 0, v13, vcc
	s_waitcnt lgkmcnt(0)
	global_store_dwordx2 v[4:5], v[0:1], off offset:1024
	s_or_b64 exec, exec, s[0:1]
	s_and_saveexec_b64 s[0:1], s[10:11]
	s_cbranch_execz .LBB95_29
.LBB95_36:
	s_waitcnt lgkmcnt(0)
	v_add_co_u32_e32 v0, vcc, 0x1000, v12
	v_addc_co_u32_e32 v1, vcc, 0, v13, vcc
	global_store_dwordx2 v[0:1], v[2:3], off offset:2048
	s_endpgm
	.section	.rodata,"a",@progbits
	.p2align	6, 0x0
	.amdhsa_kernel _ZN7rocprim17ROCPRIM_400000_NS6detail17trampoline_kernelINS0_14default_configENS1_20scan_config_selectorIlEEZZNS1_9scan_implILNS1_25lookback_scan_determinismE0ELb0ELb0ES3_PlS8_lN6thrust23THRUST_200600_302600_NS4plusIvEElEEDaPvRmT3_T4_T5_mT6_P12ihipStream_tbENKUlT_T0_E_clISt17integral_constantIbLb0EESQ_EEDaSL_SM_EUlSL_E0_NS1_11comp_targetILNS1_3genE4ELNS1_11target_archE910ELNS1_3gpuE8ELNS1_3repE0EEENS1_30default_config_static_selectorELNS0_4arch9wavefront6targetE1EEEvT1_
		.amdhsa_group_segment_fixed_size 7168
		.amdhsa_private_segment_fixed_size 0
		.amdhsa_kernarg_size 40
		.amdhsa_user_sgpr_count 6
		.amdhsa_user_sgpr_private_segment_buffer 1
		.amdhsa_user_sgpr_dispatch_ptr 0
		.amdhsa_user_sgpr_queue_ptr 0
		.amdhsa_user_sgpr_kernarg_segment_ptr 1
		.amdhsa_user_sgpr_dispatch_id 0
		.amdhsa_user_sgpr_flat_scratch_init 0
		.amdhsa_user_sgpr_kernarg_preload_length 0
		.amdhsa_user_sgpr_kernarg_preload_offset 0
		.amdhsa_user_sgpr_private_segment_size 0
		.amdhsa_uses_dynamic_stack 0
		.amdhsa_system_sgpr_private_segment_wavefront_offset 0
		.amdhsa_system_sgpr_workgroup_id_x 1
		.amdhsa_system_sgpr_workgroup_id_y 0
		.amdhsa_system_sgpr_workgroup_id_z 0
		.amdhsa_system_sgpr_workgroup_info 0
		.amdhsa_system_vgpr_workitem_id 0
		.amdhsa_next_free_vgpr 41
		.amdhsa_next_free_sgpr 22
		.amdhsa_accum_offset 44
		.amdhsa_reserve_vcc 1
		.amdhsa_reserve_flat_scratch 0
		.amdhsa_float_round_mode_32 0
		.amdhsa_float_round_mode_16_64 0
		.amdhsa_float_denorm_mode_32 3
		.amdhsa_float_denorm_mode_16_64 3
		.amdhsa_dx10_clamp 1
		.amdhsa_ieee_mode 1
		.amdhsa_fp16_overflow 0
		.amdhsa_tg_split 0
		.amdhsa_exception_fp_ieee_invalid_op 0
		.amdhsa_exception_fp_denorm_src 0
		.amdhsa_exception_fp_ieee_div_zero 0
		.amdhsa_exception_fp_ieee_overflow 0
		.amdhsa_exception_fp_ieee_underflow 0
		.amdhsa_exception_fp_ieee_inexact 0
		.amdhsa_exception_int_div_zero 0
	.end_amdhsa_kernel
	.section	.text._ZN7rocprim17ROCPRIM_400000_NS6detail17trampoline_kernelINS0_14default_configENS1_20scan_config_selectorIlEEZZNS1_9scan_implILNS1_25lookback_scan_determinismE0ELb0ELb0ES3_PlS8_lN6thrust23THRUST_200600_302600_NS4plusIvEElEEDaPvRmT3_T4_T5_mT6_P12ihipStream_tbENKUlT_T0_E_clISt17integral_constantIbLb0EESQ_EEDaSL_SM_EUlSL_E0_NS1_11comp_targetILNS1_3genE4ELNS1_11target_archE910ELNS1_3gpuE8ELNS1_3repE0EEENS1_30default_config_static_selectorELNS0_4arch9wavefront6targetE1EEEvT1_,"axG",@progbits,_ZN7rocprim17ROCPRIM_400000_NS6detail17trampoline_kernelINS0_14default_configENS1_20scan_config_selectorIlEEZZNS1_9scan_implILNS1_25lookback_scan_determinismE0ELb0ELb0ES3_PlS8_lN6thrust23THRUST_200600_302600_NS4plusIvEElEEDaPvRmT3_T4_T5_mT6_P12ihipStream_tbENKUlT_T0_E_clISt17integral_constantIbLb0EESQ_EEDaSL_SM_EUlSL_E0_NS1_11comp_targetILNS1_3genE4ELNS1_11target_archE910ELNS1_3gpuE8ELNS1_3repE0EEENS1_30default_config_static_selectorELNS0_4arch9wavefront6targetE1EEEvT1_,comdat
.Lfunc_end95:
	.size	_ZN7rocprim17ROCPRIM_400000_NS6detail17trampoline_kernelINS0_14default_configENS1_20scan_config_selectorIlEEZZNS1_9scan_implILNS1_25lookback_scan_determinismE0ELb0ELb0ES3_PlS8_lN6thrust23THRUST_200600_302600_NS4plusIvEElEEDaPvRmT3_T4_T5_mT6_P12ihipStream_tbENKUlT_T0_E_clISt17integral_constantIbLb0EESQ_EEDaSL_SM_EUlSL_E0_NS1_11comp_targetILNS1_3genE4ELNS1_11target_archE910ELNS1_3gpuE8ELNS1_3repE0EEENS1_30default_config_static_selectorELNS0_4arch9wavefront6targetE1EEEvT1_, .Lfunc_end95-_ZN7rocprim17ROCPRIM_400000_NS6detail17trampoline_kernelINS0_14default_configENS1_20scan_config_selectorIlEEZZNS1_9scan_implILNS1_25lookback_scan_determinismE0ELb0ELb0ES3_PlS8_lN6thrust23THRUST_200600_302600_NS4plusIvEElEEDaPvRmT3_T4_T5_mT6_P12ihipStream_tbENKUlT_T0_E_clISt17integral_constantIbLb0EESQ_EEDaSL_SM_EUlSL_E0_NS1_11comp_targetILNS1_3genE4ELNS1_11target_archE910ELNS1_3gpuE8ELNS1_3repE0EEENS1_30default_config_static_selectorELNS0_4arch9wavefront6targetE1EEEvT1_
                                        ; -- End function
	.section	.AMDGPU.csdata,"",@progbits
; Kernel info:
; codeLenInByte = 1804
; NumSgprs: 26
; NumVgprs: 41
; NumAgprs: 0
; TotalNumVgprs: 41
; ScratchSize: 0
; MemoryBound: 0
; FloatMode: 240
; IeeeMode: 1
; LDSByteSize: 7168 bytes/workgroup (compile time only)
; SGPRBlocks: 3
; VGPRBlocks: 5
; NumSGPRsForWavesPerEU: 26
; NumVGPRsForWavesPerEU: 41
; AccumOffset: 44
; Occupancy: 5
; WaveLimiterHint : 0
; COMPUTE_PGM_RSRC2:SCRATCH_EN: 0
; COMPUTE_PGM_RSRC2:USER_SGPR: 6
; COMPUTE_PGM_RSRC2:TRAP_HANDLER: 0
; COMPUTE_PGM_RSRC2:TGID_X_EN: 1
; COMPUTE_PGM_RSRC2:TGID_Y_EN: 0
; COMPUTE_PGM_RSRC2:TGID_Z_EN: 0
; COMPUTE_PGM_RSRC2:TIDIG_COMP_CNT: 0
; COMPUTE_PGM_RSRC3_GFX90A:ACCUM_OFFSET: 10
; COMPUTE_PGM_RSRC3_GFX90A:TG_SPLIT: 0
	.section	.text._ZN7rocprim17ROCPRIM_400000_NS6detail17trampoline_kernelINS0_14default_configENS1_20scan_config_selectorIlEEZZNS1_9scan_implILNS1_25lookback_scan_determinismE0ELb0ELb0ES3_PlS8_lN6thrust23THRUST_200600_302600_NS4plusIvEElEEDaPvRmT3_T4_T5_mT6_P12ihipStream_tbENKUlT_T0_E_clISt17integral_constantIbLb0EESQ_EEDaSL_SM_EUlSL_E0_NS1_11comp_targetILNS1_3genE3ELNS1_11target_archE908ELNS1_3gpuE7ELNS1_3repE0EEENS1_30default_config_static_selectorELNS0_4arch9wavefront6targetE1EEEvT1_,"axG",@progbits,_ZN7rocprim17ROCPRIM_400000_NS6detail17trampoline_kernelINS0_14default_configENS1_20scan_config_selectorIlEEZZNS1_9scan_implILNS1_25lookback_scan_determinismE0ELb0ELb0ES3_PlS8_lN6thrust23THRUST_200600_302600_NS4plusIvEElEEDaPvRmT3_T4_T5_mT6_P12ihipStream_tbENKUlT_T0_E_clISt17integral_constantIbLb0EESQ_EEDaSL_SM_EUlSL_E0_NS1_11comp_targetILNS1_3genE3ELNS1_11target_archE908ELNS1_3gpuE7ELNS1_3repE0EEENS1_30default_config_static_selectorELNS0_4arch9wavefront6targetE1EEEvT1_,comdat
	.protected	_ZN7rocprim17ROCPRIM_400000_NS6detail17trampoline_kernelINS0_14default_configENS1_20scan_config_selectorIlEEZZNS1_9scan_implILNS1_25lookback_scan_determinismE0ELb0ELb0ES3_PlS8_lN6thrust23THRUST_200600_302600_NS4plusIvEElEEDaPvRmT3_T4_T5_mT6_P12ihipStream_tbENKUlT_T0_E_clISt17integral_constantIbLb0EESQ_EEDaSL_SM_EUlSL_E0_NS1_11comp_targetILNS1_3genE3ELNS1_11target_archE908ELNS1_3gpuE7ELNS1_3repE0EEENS1_30default_config_static_selectorELNS0_4arch9wavefront6targetE1EEEvT1_ ; -- Begin function _ZN7rocprim17ROCPRIM_400000_NS6detail17trampoline_kernelINS0_14default_configENS1_20scan_config_selectorIlEEZZNS1_9scan_implILNS1_25lookback_scan_determinismE0ELb0ELb0ES3_PlS8_lN6thrust23THRUST_200600_302600_NS4plusIvEElEEDaPvRmT3_T4_T5_mT6_P12ihipStream_tbENKUlT_T0_E_clISt17integral_constantIbLb0EESQ_EEDaSL_SM_EUlSL_E0_NS1_11comp_targetILNS1_3genE3ELNS1_11target_archE908ELNS1_3gpuE7ELNS1_3repE0EEENS1_30default_config_static_selectorELNS0_4arch9wavefront6targetE1EEEvT1_
	.globl	_ZN7rocprim17ROCPRIM_400000_NS6detail17trampoline_kernelINS0_14default_configENS1_20scan_config_selectorIlEEZZNS1_9scan_implILNS1_25lookback_scan_determinismE0ELb0ELb0ES3_PlS8_lN6thrust23THRUST_200600_302600_NS4plusIvEElEEDaPvRmT3_T4_T5_mT6_P12ihipStream_tbENKUlT_T0_E_clISt17integral_constantIbLb0EESQ_EEDaSL_SM_EUlSL_E0_NS1_11comp_targetILNS1_3genE3ELNS1_11target_archE908ELNS1_3gpuE7ELNS1_3repE0EEENS1_30default_config_static_selectorELNS0_4arch9wavefront6targetE1EEEvT1_
	.p2align	8
	.type	_ZN7rocprim17ROCPRIM_400000_NS6detail17trampoline_kernelINS0_14default_configENS1_20scan_config_selectorIlEEZZNS1_9scan_implILNS1_25lookback_scan_determinismE0ELb0ELb0ES3_PlS8_lN6thrust23THRUST_200600_302600_NS4plusIvEElEEDaPvRmT3_T4_T5_mT6_P12ihipStream_tbENKUlT_T0_E_clISt17integral_constantIbLb0EESQ_EEDaSL_SM_EUlSL_E0_NS1_11comp_targetILNS1_3genE3ELNS1_11target_archE908ELNS1_3gpuE7ELNS1_3repE0EEENS1_30default_config_static_selectorELNS0_4arch9wavefront6targetE1EEEvT1_,@function
_ZN7rocprim17ROCPRIM_400000_NS6detail17trampoline_kernelINS0_14default_configENS1_20scan_config_selectorIlEEZZNS1_9scan_implILNS1_25lookback_scan_determinismE0ELb0ELb0ES3_PlS8_lN6thrust23THRUST_200600_302600_NS4plusIvEElEEDaPvRmT3_T4_T5_mT6_P12ihipStream_tbENKUlT_T0_E_clISt17integral_constantIbLb0EESQ_EEDaSL_SM_EUlSL_E0_NS1_11comp_targetILNS1_3genE3ELNS1_11target_archE908ELNS1_3gpuE7ELNS1_3repE0EEENS1_30default_config_static_selectorELNS0_4arch9wavefront6targetE1EEEvT1_: ; @_ZN7rocprim17ROCPRIM_400000_NS6detail17trampoline_kernelINS0_14default_configENS1_20scan_config_selectorIlEEZZNS1_9scan_implILNS1_25lookback_scan_determinismE0ELb0ELb0ES3_PlS8_lN6thrust23THRUST_200600_302600_NS4plusIvEElEEDaPvRmT3_T4_T5_mT6_P12ihipStream_tbENKUlT_T0_E_clISt17integral_constantIbLb0EESQ_EEDaSL_SM_EUlSL_E0_NS1_11comp_targetILNS1_3genE3ELNS1_11target_archE908ELNS1_3gpuE7ELNS1_3repE0EEENS1_30default_config_static_selectorELNS0_4arch9wavefront6targetE1EEEvT1_
; %bb.0:
	.section	.rodata,"a",@progbits
	.p2align	6, 0x0
	.amdhsa_kernel _ZN7rocprim17ROCPRIM_400000_NS6detail17trampoline_kernelINS0_14default_configENS1_20scan_config_selectorIlEEZZNS1_9scan_implILNS1_25lookback_scan_determinismE0ELb0ELb0ES3_PlS8_lN6thrust23THRUST_200600_302600_NS4plusIvEElEEDaPvRmT3_T4_T5_mT6_P12ihipStream_tbENKUlT_T0_E_clISt17integral_constantIbLb0EESQ_EEDaSL_SM_EUlSL_E0_NS1_11comp_targetILNS1_3genE3ELNS1_11target_archE908ELNS1_3gpuE7ELNS1_3repE0EEENS1_30default_config_static_selectorELNS0_4arch9wavefront6targetE1EEEvT1_
		.amdhsa_group_segment_fixed_size 0
		.amdhsa_private_segment_fixed_size 0
		.amdhsa_kernarg_size 40
		.amdhsa_user_sgpr_count 6
		.amdhsa_user_sgpr_private_segment_buffer 1
		.amdhsa_user_sgpr_dispatch_ptr 0
		.amdhsa_user_sgpr_queue_ptr 0
		.amdhsa_user_sgpr_kernarg_segment_ptr 1
		.amdhsa_user_sgpr_dispatch_id 0
		.amdhsa_user_sgpr_flat_scratch_init 0
		.amdhsa_user_sgpr_kernarg_preload_length 0
		.amdhsa_user_sgpr_kernarg_preload_offset 0
		.amdhsa_user_sgpr_private_segment_size 0
		.amdhsa_uses_dynamic_stack 0
		.amdhsa_system_sgpr_private_segment_wavefront_offset 0
		.amdhsa_system_sgpr_workgroup_id_x 1
		.amdhsa_system_sgpr_workgroup_id_y 0
		.amdhsa_system_sgpr_workgroup_id_z 0
		.amdhsa_system_sgpr_workgroup_info 0
		.amdhsa_system_vgpr_workitem_id 0
		.amdhsa_next_free_vgpr 1
		.amdhsa_next_free_sgpr 0
		.amdhsa_accum_offset 4
		.amdhsa_reserve_vcc 0
		.amdhsa_reserve_flat_scratch 0
		.amdhsa_float_round_mode_32 0
		.amdhsa_float_round_mode_16_64 0
		.amdhsa_float_denorm_mode_32 3
		.amdhsa_float_denorm_mode_16_64 3
		.amdhsa_dx10_clamp 1
		.amdhsa_ieee_mode 1
		.amdhsa_fp16_overflow 0
		.amdhsa_tg_split 0
		.amdhsa_exception_fp_ieee_invalid_op 0
		.amdhsa_exception_fp_denorm_src 0
		.amdhsa_exception_fp_ieee_div_zero 0
		.amdhsa_exception_fp_ieee_overflow 0
		.amdhsa_exception_fp_ieee_underflow 0
		.amdhsa_exception_fp_ieee_inexact 0
		.amdhsa_exception_int_div_zero 0
	.end_amdhsa_kernel
	.section	.text._ZN7rocprim17ROCPRIM_400000_NS6detail17trampoline_kernelINS0_14default_configENS1_20scan_config_selectorIlEEZZNS1_9scan_implILNS1_25lookback_scan_determinismE0ELb0ELb0ES3_PlS8_lN6thrust23THRUST_200600_302600_NS4plusIvEElEEDaPvRmT3_T4_T5_mT6_P12ihipStream_tbENKUlT_T0_E_clISt17integral_constantIbLb0EESQ_EEDaSL_SM_EUlSL_E0_NS1_11comp_targetILNS1_3genE3ELNS1_11target_archE908ELNS1_3gpuE7ELNS1_3repE0EEENS1_30default_config_static_selectorELNS0_4arch9wavefront6targetE1EEEvT1_,"axG",@progbits,_ZN7rocprim17ROCPRIM_400000_NS6detail17trampoline_kernelINS0_14default_configENS1_20scan_config_selectorIlEEZZNS1_9scan_implILNS1_25lookback_scan_determinismE0ELb0ELb0ES3_PlS8_lN6thrust23THRUST_200600_302600_NS4plusIvEElEEDaPvRmT3_T4_T5_mT6_P12ihipStream_tbENKUlT_T0_E_clISt17integral_constantIbLb0EESQ_EEDaSL_SM_EUlSL_E0_NS1_11comp_targetILNS1_3genE3ELNS1_11target_archE908ELNS1_3gpuE7ELNS1_3repE0EEENS1_30default_config_static_selectorELNS0_4arch9wavefront6targetE1EEEvT1_,comdat
.Lfunc_end96:
	.size	_ZN7rocprim17ROCPRIM_400000_NS6detail17trampoline_kernelINS0_14default_configENS1_20scan_config_selectorIlEEZZNS1_9scan_implILNS1_25lookback_scan_determinismE0ELb0ELb0ES3_PlS8_lN6thrust23THRUST_200600_302600_NS4plusIvEElEEDaPvRmT3_T4_T5_mT6_P12ihipStream_tbENKUlT_T0_E_clISt17integral_constantIbLb0EESQ_EEDaSL_SM_EUlSL_E0_NS1_11comp_targetILNS1_3genE3ELNS1_11target_archE908ELNS1_3gpuE7ELNS1_3repE0EEENS1_30default_config_static_selectorELNS0_4arch9wavefront6targetE1EEEvT1_, .Lfunc_end96-_ZN7rocprim17ROCPRIM_400000_NS6detail17trampoline_kernelINS0_14default_configENS1_20scan_config_selectorIlEEZZNS1_9scan_implILNS1_25lookback_scan_determinismE0ELb0ELb0ES3_PlS8_lN6thrust23THRUST_200600_302600_NS4plusIvEElEEDaPvRmT3_T4_T5_mT6_P12ihipStream_tbENKUlT_T0_E_clISt17integral_constantIbLb0EESQ_EEDaSL_SM_EUlSL_E0_NS1_11comp_targetILNS1_3genE3ELNS1_11target_archE908ELNS1_3gpuE7ELNS1_3repE0EEENS1_30default_config_static_selectorELNS0_4arch9wavefront6targetE1EEEvT1_
                                        ; -- End function
	.section	.AMDGPU.csdata,"",@progbits
; Kernel info:
; codeLenInByte = 0
; NumSgprs: 4
; NumVgprs: 0
; NumAgprs: 0
; TotalNumVgprs: 0
; ScratchSize: 0
; MemoryBound: 0
; FloatMode: 240
; IeeeMode: 1
; LDSByteSize: 0 bytes/workgroup (compile time only)
; SGPRBlocks: 0
; VGPRBlocks: 0
; NumSGPRsForWavesPerEU: 4
; NumVGPRsForWavesPerEU: 1
; AccumOffset: 4
; Occupancy: 8
; WaveLimiterHint : 0
; COMPUTE_PGM_RSRC2:SCRATCH_EN: 0
; COMPUTE_PGM_RSRC2:USER_SGPR: 6
; COMPUTE_PGM_RSRC2:TRAP_HANDLER: 0
; COMPUTE_PGM_RSRC2:TGID_X_EN: 1
; COMPUTE_PGM_RSRC2:TGID_Y_EN: 0
; COMPUTE_PGM_RSRC2:TGID_Z_EN: 0
; COMPUTE_PGM_RSRC2:TIDIG_COMP_CNT: 0
; COMPUTE_PGM_RSRC3_GFX90A:ACCUM_OFFSET: 0
; COMPUTE_PGM_RSRC3_GFX90A:TG_SPLIT: 0
	.section	.text._ZN7rocprim17ROCPRIM_400000_NS6detail17trampoline_kernelINS0_14default_configENS1_20scan_config_selectorIlEEZZNS1_9scan_implILNS1_25lookback_scan_determinismE0ELb0ELb0ES3_PlS8_lN6thrust23THRUST_200600_302600_NS4plusIvEElEEDaPvRmT3_T4_T5_mT6_P12ihipStream_tbENKUlT_T0_E_clISt17integral_constantIbLb0EESQ_EEDaSL_SM_EUlSL_E0_NS1_11comp_targetILNS1_3genE2ELNS1_11target_archE906ELNS1_3gpuE6ELNS1_3repE0EEENS1_30default_config_static_selectorELNS0_4arch9wavefront6targetE1EEEvT1_,"axG",@progbits,_ZN7rocprim17ROCPRIM_400000_NS6detail17trampoline_kernelINS0_14default_configENS1_20scan_config_selectorIlEEZZNS1_9scan_implILNS1_25lookback_scan_determinismE0ELb0ELb0ES3_PlS8_lN6thrust23THRUST_200600_302600_NS4plusIvEElEEDaPvRmT3_T4_T5_mT6_P12ihipStream_tbENKUlT_T0_E_clISt17integral_constantIbLb0EESQ_EEDaSL_SM_EUlSL_E0_NS1_11comp_targetILNS1_3genE2ELNS1_11target_archE906ELNS1_3gpuE6ELNS1_3repE0EEENS1_30default_config_static_selectorELNS0_4arch9wavefront6targetE1EEEvT1_,comdat
	.protected	_ZN7rocprim17ROCPRIM_400000_NS6detail17trampoline_kernelINS0_14default_configENS1_20scan_config_selectorIlEEZZNS1_9scan_implILNS1_25lookback_scan_determinismE0ELb0ELb0ES3_PlS8_lN6thrust23THRUST_200600_302600_NS4plusIvEElEEDaPvRmT3_T4_T5_mT6_P12ihipStream_tbENKUlT_T0_E_clISt17integral_constantIbLb0EESQ_EEDaSL_SM_EUlSL_E0_NS1_11comp_targetILNS1_3genE2ELNS1_11target_archE906ELNS1_3gpuE6ELNS1_3repE0EEENS1_30default_config_static_selectorELNS0_4arch9wavefront6targetE1EEEvT1_ ; -- Begin function _ZN7rocprim17ROCPRIM_400000_NS6detail17trampoline_kernelINS0_14default_configENS1_20scan_config_selectorIlEEZZNS1_9scan_implILNS1_25lookback_scan_determinismE0ELb0ELb0ES3_PlS8_lN6thrust23THRUST_200600_302600_NS4plusIvEElEEDaPvRmT3_T4_T5_mT6_P12ihipStream_tbENKUlT_T0_E_clISt17integral_constantIbLb0EESQ_EEDaSL_SM_EUlSL_E0_NS1_11comp_targetILNS1_3genE2ELNS1_11target_archE906ELNS1_3gpuE6ELNS1_3repE0EEENS1_30default_config_static_selectorELNS0_4arch9wavefront6targetE1EEEvT1_
	.globl	_ZN7rocprim17ROCPRIM_400000_NS6detail17trampoline_kernelINS0_14default_configENS1_20scan_config_selectorIlEEZZNS1_9scan_implILNS1_25lookback_scan_determinismE0ELb0ELb0ES3_PlS8_lN6thrust23THRUST_200600_302600_NS4plusIvEElEEDaPvRmT3_T4_T5_mT6_P12ihipStream_tbENKUlT_T0_E_clISt17integral_constantIbLb0EESQ_EEDaSL_SM_EUlSL_E0_NS1_11comp_targetILNS1_3genE2ELNS1_11target_archE906ELNS1_3gpuE6ELNS1_3repE0EEENS1_30default_config_static_selectorELNS0_4arch9wavefront6targetE1EEEvT1_
	.p2align	8
	.type	_ZN7rocprim17ROCPRIM_400000_NS6detail17trampoline_kernelINS0_14default_configENS1_20scan_config_selectorIlEEZZNS1_9scan_implILNS1_25lookback_scan_determinismE0ELb0ELb0ES3_PlS8_lN6thrust23THRUST_200600_302600_NS4plusIvEElEEDaPvRmT3_T4_T5_mT6_P12ihipStream_tbENKUlT_T0_E_clISt17integral_constantIbLb0EESQ_EEDaSL_SM_EUlSL_E0_NS1_11comp_targetILNS1_3genE2ELNS1_11target_archE906ELNS1_3gpuE6ELNS1_3repE0EEENS1_30default_config_static_selectorELNS0_4arch9wavefront6targetE1EEEvT1_,@function
_ZN7rocprim17ROCPRIM_400000_NS6detail17trampoline_kernelINS0_14default_configENS1_20scan_config_selectorIlEEZZNS1_9scan_implILNS1_25lookback_scan_determinismE0ELb0ELb0ES3_PlS8_lN6thrust23THRUST_200600_302600_NS4plusIvEElEEDaPvRmT3_T4_T5_mT6_P12ihipStream_tbENKUlT_T0_E_clISt17integral_constantIbLb0EESQ_EEDaSL_SM_EUlSL_E0_NS1_11comp_targetILNS1_3genE2ELNS1_11target_archE906ELNS1_3gpuE6ELNS1_3repE0EEENS1_30default_config_static_selectorELNS0_4arch9wavefront6targetE1EEEvT1_: ; @_ZN7rocprim17ROCPRIM_400000_NS6detail17trampoline_kernelINS0_14default_configENS1_20scan_config_selectorIlEEZZNS1_9scan_implILNS1_25lookback_scan_determinismE0ELb0ELb0ES3_PlS8_lN6thrust23THRUST_200600_302600_NS4plusIvEElEEDaPvRmT3_T4_T5_mT6_P12ihipStream_tbENKUlT_T0_E_clISt17integral_constantIbLb0EESQ_EEDaSL_SM_EUlSL_E0_NS1_11comp_targetILNS1_3genE2ELNS1_11target_archE906ELNS1_3gpuE6ELNS1_3repE0EEENS1_30default_config_static_selectorELNS0_4arch9wavefront6targetE1EEEvT1_
; %bb.0:
	.section	.rodata,"a",@progbits
	.p2align	6, 0x0
	.amdhsa_kernel _ZN7rocprim17ROCPRIM_400000_NS6detail17trampoline_kernelINS0_14default_configENS1_20scan_config_selectorIlEEZZNS1_9scan_implILNS1_25lookback_scan_determinismE0ELb0ELb0ES3_PlS8_lN6thrust23THRUST_200600_302600_NS4plusIvEElEEDaPvRmT3_T4_T5_mT6_P12ihipStream_tbENKUlT_T0_E_clISt17integral_constantIbLb0EESQ_EEDaSL_SM_EUlSL_E0_NS1_11comp_targetILNS1_3genE2ELNS1_11target_archE906ELNS1_3gpuE6ELNS1_3repE0EEENS1_30default_config_static_selectorELNS0_4arch9wavefront6targetE1EEEvT1_
		.amdhsa_group_segment_fixed_size 0
		.amdhsa_private_segment_fixed_size 0
		.amdhsa_kernarg_size 40
		.amdhsa_user_sgpr_count 6
		.amdhsa_user_sgpr_private_segment_buffer 1
		.amdhsa_user_sgpr_dispatch_ptr 0
		.amdhsa_user_sgpr_queue_ptr 0
		.amdhsa_user_sgpr_kernarg_segment_ptr 1
		.amdhsa_user_sgpr_dispatch_id 0
		.amdhsa_user_sgpr_flat_scratch_init 0
		.amdhsa_user_sgpr_kernarg_preload_length 0
		.amdhsa_user_sgpr_kernarg_preload_offset 0
		.amdhsa_user_sgpr_private_segment_size 0
		.amdhsa_uses_dynamic_stack 0
		.amdhsa_system_sgpr_private_segment_wavefront_offset 0
		.amdhsa_system_sgpr_workgroup_id_x 1
		.amdhsa_system_sgpr_workgroup_id_y 0
		.amdhsa_system_sgpr_workgroup_id_z 0
		.amdhsa_system_sgpr_workgroup_info 0
		.amdhsa_system_vgpr_workitem_id 0
		.amdhsa_next_free_vgpr 1
		.amdhsa_next_free_sgpr 0
		.amdhsa_accum_offset 4
		.amdhsa_reserve_vcc 0
		.amdhsa_reserve_flat_scratch 0
		.amdhsa_float_round_mode_32 0
		.amdhsa_float_round_mode_16_64 0
		.amdhsa_float_denorm_mode_32 3
		.amdhsa_float_denorm_mode_16_64 3
		.amdhsa_dx10_clamp 1
		.amdhsa_ieee_mode 1
		.amdhsa_fp16_overflow 0
		.amdhsa_tg_split 0
		.amdhsa_exception_fp_ieee_invalid_op 0
		.amdhsa_exception_fp_denorm_src 0
		.amdhsa_exception_fp_ieee_div_zero 0
		.amdhsa_exception_fp_ieee_overflow 0
		.amdhsa_exception_fp_ieee_underflow 0
		.amdhsa_exception_fp_ieee_inexact 0
		.amdhsa_exception_int_div_zero 0
	.end_amdhsa_kernel
	.section	.text._ZN7rocprim17ROCPRIM_400000_NS6detail17trampoline_kernelINS0_14default_configENS1_20scan_config_selectorIlEEZZNS1_9scan_implILNS1_25lookback_scan_determinismE0ELb0ELb0ES3_PlS8_lN6thrust23THRUST_200600_302600_NS4plusIvEElEEDaPvRmT3_T4_T5_mT6_P12ihipStream_tbENKUlT_T0_E_clISt17integral_constantIbLb0EESQ_EEDaSL_SM_EUlSL_E0_NS1_11comp_targetILNS1_3genE2ELNS1_11target_archE906ELNS1_3gpuE6ELNS1_3repE0EEENS1_30default_config_static_selectorELNS0_4arch9wavefront6targetE1EEEvT1_,"axG",@progbits,_ZN7rocprim17ROCPRIM_400000_NS6detail17trampoline_kernelINS0_14default_configENS1_20scan_config_selectorIlEEZZNS1_9scan_implILNS1_25lookback_scan_determinismE0ELb0ELb0ES3_PlS8_lN6thrust23THRUST_200600_302600_NS4plusIvEElEEDaPvRmT3_T4_T5_mT6_P12ihipStream_tbENKUlT_T0_E_clISt17integral_constantIbLb0EESQ_EEDaSL_SM_EUlSL_E0_NS1_11comp_targetILNS1_3genE2ELNS1_11target_archE906ELNS1_3gpuE6ELNS1_3repE0EEENS1_30default_config_static_selectorELNS0_4arch9wavefront6targetE1EEEvT1_,comdat
.Lfunc_end97:
	.size	_ZN7rocprim17ROCPRIM_400000_NS6detail17trampoline_kernelINS0_14default_configENS1_20scan_config_selectorIlEEZZNS1_9scan_implILNS1_25lookback_scan_determinismE0ELb0ELb0ES3_PlS8_lN6thrust23THRUST_200600_302600_NS4plusIvEElEEDaPvRmT3_T4_T5_mT6_P12ihipStream_tbENKUlT_T0_E_clISt17integral_constantIbLb0EESQ_EEDaSL_SM_EUlSL_E0_NS1_11comp_targetILNS1_3genE2ELNS1_11target_archE906ELNS1_3gpuE6ELNS1_3repE0EEENS1_30default_config_static_selectorELNS0_4arch9wavefront6targetE1EEEvT1_, .Lfunc_end97-_ZN7rocprim17ROCPRIM_400000_NS6detail17trampoline_kernelINS0_14default_configENS1_20scan_config_selectorIlEEZZNS1_9scan_implILNS1_25lookback_scan_determinismE0ELb0ELb0ES3_PlS8_lN6thrust23THRUST_200600_302600_NS4plusIvEElEEDaPvRmT3_T4_T5_mT6_P12ihipStream_tbENKUlT_T0_E_clISt17integral_constantIbLb0EESQ_EEDaSL_SM_EUlSL_E0_NS1_11comp_targetILNS1_3genE2ELNS1_11target_archE906ELNS1_3gpuE6ELNS1_3repE0EEENS1_30default_config_static_selectorELNS0_4arch9wavefront6targetE1EEEvT1_
                                        ; -- End function
	.section	.AMDGPU.csdata,"",@progbits
; Kernel info:
; codeLenInByte = 0
; NumSgprs: 4
; NumVgprs: 0
; NumAgprs: 0
; TotalNumVgprs: 0
; ScratchSize: 0
; MemoryBound: 0
; FloatMode: 240
; IeeeMode: 1
; LDSByteSize: 0 bytes/workgroup (compile time only)
; SGPRBlocks: 0
; VGPRBlocks: 0
; NumSGPRsForWavesPerEU: 4
; NumVGPRsForWavesPerEU: 1
; AccumOffset: 4
; Occupancy: 8
; WaveLimiterHint : 0
; COMPUTE_PGM_RSRC2:SCRATCH_EN: 0
; COMPUTE_PGM_RSRC2:USER_SGPR: 6
; COMPUTE_PGM_RSRC2:TRAP_HANDLER: 0
; COMPUTE_PGM_RSRC2:TGID_X_EN: 1
; COMPUTE_PGM_RSRC2:TGID_Y_EN: 0
; COMPUTE_PGM_RSRC2:TGID_Z_EN: 0
; COMPUTE_PGM_RSRC2:TIDIG_COMP_CNT: 0
; COMPUTE_PGM_RSRC3_GFX90A:ACCUM_OFFSET: 0
; COMPUTE_PGM_RSRC3_GFX90A:TG_SPLIT: 0
	.section	.text._ZN7rocprim17ROCPRIM_400000_NS6detail17trampoline_kernelINS0_14default_configENS1_20scan_config_selectorIlEEZZNS1_9scan_implILNS1_25lookback_scan_determinismE0ELb0ELb0ES3_PlS8_lN6thrust23THRUST_200600_302600_NS4plusIvEElEEDaPvRmT3_T4_T5_mT6_P12ihipStream_tbENKUlT_T0_E_clISt17integral_constantIbLb0EESQ_EEDaSL_SM_EUlSL_E0_NS1_11comp_targetILNS1_3genE10ELNS1_11target_archE1201ELNS1_3gpuE5ELNS1_3repE0EEENS1_30default_config_static_selectorELNS0_4arch9wavefront6targetE1EEEvT1_,"axG",@progbits,_ZN7rocprim17ROCPRIM_400000_NS6detail17trampoline_kernelINS0_14default_configENS1_20scan_config_selectorIlEEZZNS1_9scan_implILNS1_25lookback_scan_determinismE0ELb0ELb0ES3_PlS8_lN6thrust23THRUST_200600_302600_NS4plusIvEElEEDaPvRmT3_T4_T5_mT6_P12ihipStream_tbENKUlT_T0_E_clISt17integral_constantIbLb0EESQ_EEDaSL_SM_EUlSL_E0_NS1_11comp_targetILNS1_3genE10ELNS1_11target_archE1201ELNS1_3gpuE5ELNS1_3repE0EEENS1_30default_config_static_selectorELNS0_4arch9wavefront6targetE1EEEvT1_,comdat
	.protected	_ZN7rocprim17ROCPRIM_400000_NS6detail17trampoline_kernelINS0_14default_configENS1_20scan_config_selectorIlEEZZNS1_9scan_implILNS1_25lookback_scan_determinismE0ELb0ELb0ES3_PlS8_lN6thrust23THRUST_200600_302600_NS4plusIvEElEEDaPvRmT3_T4_T5_mT6_P12ihipStream_tbENKUlT_T0_E_clISt17integral_constantIbLb0EESQ_EEDaSL_SM_EUlSL_E0_NS1_11comp_targetILNS1_3genE10ELNS1_11target_archE1201ELNS1_3gpuE5ELNS1_3repE0EEENS1_30default_config_static_selectorELNS0_4arch9wavefront6targetE1EEEvT1_ ; -- Begin function _ZN7rocprim17ROCPRIM_400000_NS6detail17trampoline_kernelINS0_14default_configENS1_20scan_config_selectorIlEEZZNS1_9scan_implILNS1_25lookback_scan_determinismE0ELb0ELb0ES3_PlS8_lN6thrust23THRUST_200600_302600_NS4plusIvEElEEDaPvRmT3_T4_T5_mT6_P12ihipStream_tbENKUlT_T0_E_clISt17integral_constantIbLb0EESQ_EEDaSL_SM_EUlSL_E0_NS1_11comp_targetILNS1_3genE10ELNS1_11target_archE1201ELNS1_3gpuE5ELNS1_3repE0EEENS1_30default_config_static_selectorELNS0_4arch9wavefront6targetE1EEEvT1_
	.globl	_ZN7rocprim17ROCPRIM_400000_NS6detail17trampoline_kernelINS0_14default_configENS1_20scan_config_selectorIlEEZZNS1_9scan_implILNS1_25lookback_scan_determinismE0ELb0ELb0ES3_PlS8_lN6thrust23THRUST_200600_302600_NS4plusIvEElEEDaPvRmT3_T4_T5_mT6_P12ihipStream_tbENKUlT_T0_E_clISt17integral_constantIbLb0EESQ_EEDaSL_SM_EUlSL_E0_NS1_11comp_targetILNS1_3genE10ELNS1_11target_archE1201ELNS1_3gpuE5ELNS1_3repE0EEENS1_30default_config_static_selectorELNS0_4arch9wavefront6targetE1EEEvT1_
	.p2align	8
	.type	_ZN7rocprim17ROCPRIM_400000_NS6detail17trampoline_kernelINS0_14default_configENS1_20scan_config_selectorIlEEZZNS1_9scan_implILNS1_25lookback_scan_determinismE0ELb0ELb0ES3_PlS8_lN6thrust23THRUST_200600_302600_NS4plusIvEElEEDaPvRmT3_T4_T5_mT6_P12ihipStream_tbENKUlT_T0_E_clISt17integral_constantIbLb0EESQ_EEDaSL_SM_EUlSL_E0_NS1_11comp_targetILNS1_3genE10ELNS1_11target_archE1201ELNS1_3gpuE5ELNS1_3repE0EEENS1_30default_config_static_selectorELNS0_4arch9wavefront6targetE1EEEvT1_,@function
_ZN7rocprim17ROCPRIM_400000_NS6detail17trampoline_kernelINS0_14default_configENS1_20scan_config_selectorIlEEZZNS1_9scan_implILNS1_25lookback_scan_determinismE0ELb0ELb0ES3_PlS8_lN6thrust23THRUST_200600_302600_NS4plusIvEElEEDaPvRmT3_T4_T5_mT6_P12ihipStream_tbENKUlT_T0_E_clISt17integral_constantIbLb0EESQ_EEDaSL_SM_EUlSL_E0_NS1_11comp_targetILNS1_3genE10ELNS1_11target_archE1201ELNS1_3gpuE5ELNS1_3repE0EEENS1_30default_config_static_selectorELNS0_4arch9wavefront6targetE1EEEvT1_: ; @_ZN7rocprim17ROCPRIM_400000_NS6detail17trampoline_kernelINS0_14default_configENS1_20scan_config_selectorIlEEZZNS1_9scan_implILNS1_25lookback_scan_determinismE0ELb0ELb0ES3_PlS8_lN6thrust23THRUST_200600_302600_NS4plusIvEElEEDaPvRmT3_T4_T5_mT6_P12ihipStream_tbENKUlT_T0_E_clISt17integral_constantIbLb0EESQ_EEDaSL_SM_EUlSL_E0_NS1_11comp_targetILNS1_3genE10ELNS1_11target_archE1201ELNS1_3gpuE5ELNS1_3repE0EEENS1_30default_config_static_selectorELNS0_4arch9wavefront6targetE1EEEvT1_
; %bb.0:
	.section	.rodata,"a",@progbits
	.p2align	6, 0x0
	.amdhsa_kernel _ZN7rocprim17ROCPRIM_400000_NS6detail17trampoline_kernelINS0_14default_configENS1_20scan_config_selectorIlEEZZNS1_9scan_implILNS1_25lookback_scan_determinismE0ELb0ELb0ES3_PlS8_lN6thrust23THRUST_200600_302600_NS4plusIvEElEEDaPvRmT3_T4_T5_mT6_P12ihipStream_tbENKUlT_T0_E_clISt17integral_constantIbLb0EESQ_EEDaSL_SM_EUlSL_E0_NS1_11comp_targetILNS1_3genE10ELNS1_11target_archE1201ELNS1_3gpuE5ELNS1_3repE0EEENS1_30default_config_static_selectorELNS0_4arch9wavefront6targetE1EEEvT1_
		.amdhsa_group_segment_fixed_size 0
		.amdhsa_private_segment_fixed_size 0
		.amdhsa_kernarg_size 40
		.amdhsa_user_sgpr_count 6
		.amdhsa_user_sgpr_private_segment_buffer 1
		.amdhsa_user_sgpr_dispatch_ptr 0
		.amdhsa_user_sgpr_queue_ptr 0
		.amdhsa_user_sgpr_kernarg_segment_ptr 1
		.amdhsa_user_sgpr_dispatch_id 0
		.amdhsa_user_sgpr_flat_scratch_init 0
		.amdhsa_user_sgpr_kernarg_preload_length 0
		.amdhsa_user_sgpr_kernarg_preload_offset 0
		.amdhsa_user_sgpr_private_segment_size 0
		.amdhsa_uses_dynamic_stack 0
		.amdhsa_system_sgpr_private_segment_wavefront_offset 0
		.amdhsa_system_sgpr_workgroup_id_x 1
		.amdhsa_system_sgpr_workgroup_id_y 0
		.amdhsa_system_sgpr_workgroup_id_z 0
		.amdhsa_system_sgpr_workgroup_info 0
		.amdhsa_system_vgpr_workitem_id 0
		.amdhsa_next_free_vgpr 1
		.amdhsa_next_free_sgpr 0
		.amdhsa_accum_offset 4
		.amdhsa_reserve_vcc 0
		.amdhsa_reserve_flat_scratch 0
		.amdhsa_float_round_mode_32 0
		.amdhsa_float_round_mode_16_64 0
		.amdhsa_float_denorm_mode_32 3
		.amdhsa_float_denorm_mode_16_64 3
		.amdhsa_dx10_clamp 1
		.amdhsa_ieee_mode 1
		.amdhsa_fp16_overflow 0
		.amdhsa_tg_split 0
		.amdhsa_exception_fp_ieee_invalid_op 0
		.amdhsa_exception_fp_denorm_src 0
		.amdhsa_exception_fp_ieee_div_zero 0
		.amdhsa_exception_fp_ieee_overflow 0
		.amdhsa_exception_fp_ieee_underflow 0
		.amdhsa_exception_fp_ieee_inexact 0
		.amdhsa_exception_int_div_zero 0
	.end_amdhsa_kernel
	.section	.text._ZN7rocprim17ROCPRIM_400000_NS6detail17trampoline_kernelINS0_14default_configENS1_20scan_config_selectorIlEEZZNS1_9scan_implILNS1_25lookback_scan_determinismE0ELb0ELb0ES3_PlS8_lN6thrust23THRUST_200600_302600_NS4plusIvEElEEDaPvRmT3_T4_T5_mT6_P12ihipStream_tbENKUlT_T0_E_clISt17integral_constantIbLb0EESQ_EEDaSL_SM_EUlSL_E0_NS1_11comp_targetILNS1_3genE10ELNS1_11target_archE1201ELNS1_3gpuE5ELNS1_3repE0EEENS1_30default_config_static_selectorELNS0_4arch9wavefront6targetE1EEEvT1_,"axG",@progbits,_ZN7rocprim17ROCPRIM_400000_NS6detail17trampoline_kernelINS0_14default_configENS1_20scan_config_selectorIlEEZZNS1_9scan_implILNS1_25lookback_scan_determinismE0ELb0ELb0ES3_PlS8_lN6thrust23THRUST_200600_302600_NS4plusIvEElEEDaPvRmT3_T4_T5_mT6_P12ihipStream_tbENKUlT_T0_E_clISt17integral_constantIbLb0EESQ_EEDaSL_SM_EUlSL_E0_NS1_11comp_targetILNS1_3genE10ELNS1_11target_archE1201ELNS1_3gpuE5ELNS1_3repE0EEENS1_30default_config_static_selectorELNS0_4arch9wavefront6targetE1EEEvT1_,comdat
.Lfunc_end98:
	.size	_ZN7rocprim17ROCPRIM_400000_NS6detail17trampoline_kernelINS0_14default_configENS1_20scan_config_selectorIlEEZZNS1_9scan_implILNS1_25lookback_scan_determinismE0ELb0ELb0ES3_PlS8_lN6thrust23THRUST_200600_302600_NS4plusIvEElEEDaPvRmT3_T4_T5_mT6_P12ihipStream_tbENKUlT_T0_E_clISt17integral_constantIbLb0EESQ_EEDaSL_SM_EUlSL_E0_NS1_11comp_targetILNS1_3genE10ELNS1_11target_archE1201ELNS1_3gpuE5ELNS1_3repE0EEENS1_30default_config_static_selectorELNS0_4arch9wavefront6targetE1EEEvT1_, .Lfunc_end98-_ZN7rocprim17ROCPRIM_400000_NS6detail17trampoline_kernelINS0_14default_configENS1_20scan_config_selectorIlEEZZNS1_9scan_implILNS1_25lookback_scan_determinismE0ELb0ELb0ES3_PlS8_lN6thrust23THRUST_200600_302600_NS4plusIvEElEEDaPvRmT3_T4_T5_mT6_P12ihipStream_tbENKUlT_T0_E_clISt17integral_constantIbLb0EESQ_EEDaSL_SM_EUlSL_E0_NS1_11comp_targetILNS1_3genE10ELNS1_11target_archE1201ELNS1_3gpuE5ELNS1_3repE0EEENS1_30default_config_static_selectorELNS0_4arch9wavefront6targetE1EEEvT1_
                                        ; -- End function
	.section	.AMDGPU.csdata,"",@progbits
; Kernel info:
; codeLenInByte = 0
; NumSgprs: 4
; NumVgprs: 0
; NumAgprs: 0
; TotalNumVgprs: 0
; ScratchSize: 0
; MemoryBound: 0
; FloatMode: 240
; IeeeMode: 1
; LDSByteSize: 0 bytes/workgroup (compile time only)
; SGPRBlocks: 0
; VGPRBlocks: 0
; NumSGPRsForWavesPerEU: 4
; NumVGPRsForWavesPerEU: 1
; AccumOffset: 4
; Occupancy: 8
; WaveLimiterHint : 0
; COMPUTE_PGM_RSRC2:SCRATCH_EN: 0
; COMPUTE_PGM_RSRC2:USER_SGPR: 6
; COMPUTE_PGM_RSRC2:TRAP_HANDLER: 0
; COMPUTE_PGM_RSRC2:TGID_X_EN: 1
; COMPUTE_PGM_RSRC2:TGID_Y_EN: 0
; COMPUTE_PGM_RSRC2:TGID_Z_EN: 0
; COMPUTE_PGM_RSRC2:TIDIG_COMP_CNT: 0
; COMPUTE_PGM_RSRC3_GFX90A:ACCUM_OFFSET: 0
; COMPUTE_PGM_RSRC3_GFX90A:TG_SPLIT: 0
	.section	.text._ZN7rocprim17ROCPRIM_400000_NS6detail17trampoline_kernelINS0_14default_configENS1_20scan_config_selectorIlEEZZNS1_9scan_implILNS1_25lookback_scan_determinismE0ELb0ELb0ES3_PlS8_lN6thrust23THRUST_200600_302600_NS4plusIvEElEEDaPvRmT3_T4_T5_mT6_P12ihipStream_tbENKUlT_T0_E_clISt17integral_constantIbLb0EESQ_EEDaSL_SM_EUlSL_E0_NS1_11comp_targetILNS1_3genE10ELNS1_11target_archE1200ELNS1_3gpuE4ELNS1_3repE0EEENS1_30default_config_static_selectorELNS0_4arch9wavefront6targetE1EEEvT1_,"axG",@progbits,_ZN7rocprim17ROCPRIM_400000_NS6detail17trampoline_kernelINS0_14default_configENS1_20scan_config_selectorIlEEZZNS1_9scan_implILNS1_25lookback_scan_determinismE0ELb0ELb0ES3_PlS8_lN6thrust23THRUST_200600_302600_NS4plusIvEElEEDaPvRmT3_T4_T5_mT6_P12ihipStream_tbENKUlT_T0_E_clISt17integral_constantIbLb0EESQ_EEDaSL_SM_EUlSL_E0_NS1_11comp_targetILNS1_3genE10ELNS1_11target_archE1200ELNS1_3gpuE4ELNS1_3repE0EEENS1_30default_config_static_selectorELNS0_4arch9wavefront6targetE1EEEvT1_,comdat
	.protected	_ZN7rocprim17ROCPRIM_400000_NS6detail17trampoline_kernelINS0_14default_configENS1_20scan_config_selectorIlEEZZNS1_9scan_implILNS1_25lookback_scan_determinismE0ELb0ELb0ES3_PlS8_lN6thrust23THRUST_200600_302600_NS4plusIvEElEEDaPvRmT3_T4_T5_mT6_P12ihipStream_tbENKUlT_T0_E_clISt17integral_constantIbLb0EESQ_EEDaSL_SM_EUlSL_E0_NS1_11comp_targetILNS1_3genE10ELNS1_11target_archE1200ELNS1_3gpuE4ELNS1_3repE0EEENS1_30default_config_static_selectorELNS0_4arch9wavefront6targetE1EEEvT1_ ; -- Begin function _ZN7rocprim17ROCPRIM_400000_NS6detail17trampoline_kernelINS0_14default_configENS1_20scan_config_selectorIlEEZZNS1_9scan_implILNS1_25lookback_scan_determinismE0ELb0ELb0ES3_PlS8_lN6thrust23THRUST_200600_302600_NS4plusIvEElEEDaPvRmT3_T4_T5_mT6_P12ihipStream_tbENKUlT_T0_E_clISt17integral_constantIbLb0EESQ_EEDaSL_SM_EUlSL_E0_NS1_11comp_targetILNS1_3genE10ELNS1_11target_archE1200ELNS1_3gpuE4ELNS1_3repE0EEENS1_30default_config_static_selectorELNS0_4arch9wavefront6targetE1EEEvT1_
	.globl	_ZN7rocprim17ROCPRIM_400000_NS6detail17trampoline_kernelINS0_14default_configENS1_20scan_config_selectorIlEEZZNS1_9scan_implILNS1_25lookback_scan_determinismE0ELb0ELb0ES3_PlS8_lN6thrust23THRUST_200600_302600_NS4plusIvEElEEDaPvRmT3_T4_T5_mT6_P12ihipStream_tbENKUlT_T0_E_clISt17integral_constantIbLb0EESQ_EEDaSL_SM_EUlSL_E0_NS1_11comp_targetILNS1_3genE10ELNS1_11target_archE1200ELNS1_3gpuE4ELNS1_3repE0EEENS1_30default_config_static_selectorELNS0_4arch9wavefront6targetE1EEEvT1_
	.p2align	8
	.type	_ZN7rocprim17ROCPRIM_400000_NS6detail17trampoline_kernelINS0_14default_configENS1_20scan_config_selectorIlEEZZNS1_9scan_implILNS1_25lookback_scan_determinismE0ELb0ELb0ES3_PlS8_lN6thrust23THRUST_200600_302600_NS4plusIvEElEEDaPvRmT3_T4_T5_mT6_P12ihipStream_tbENKUlT_T0_E_clISt17integral_constantIbLb0EESQ_EEDaSL_SM_EUlSL_E0_NS1_11comp_targetILNS1_3genE10ELNS1_11target_archE1200ELNS1_3gpuE4ELNS1_3repE0EEENS1_30default_config_static_selectorELNS0_4arch9wavefront6targetE1EEEvT1_,@function
_ZN7rocprim17ROCPRIM_400000_NS6detail17trampoline_kernelINS0_14default_configENS1_20scan_config_selectorIlEEZZNS1_9scan_implILNS1_25lookback_scan_determinismE0ELb0ELb0ES3_PlS8_lN6thrust23THRUST_200600_302600_NS4plusIvEElEEDaPvRmT3_T4_T5_mT6_P12ihipStream_tbENKUlT_T0_E_clISt17integral_constantIbLb0EESQ_EEDaSL_SM_EUlSL_E0_NS1_11comp_targetILNS1_3genE10ELNS1_11target_archE1200ELNS1_3gpuE4ELNS1_3repE0EEENS1_30default_config_static_selectorELNS0_4arch9wavefront6targetE1EEEvT1_: ; @_ZN7rocprim17ROCPRIM_400000_NS6detail17trampoline_kernelINS0_14default_configENS1_20scan_config_selectorIlEEZZNS1_9scan_implILNS1_25lookback_scan_determinismE0ELb0ELb0ES3_PlS8_lN6thrust23THRUST_200600_302600_NS4plusIvEElEEDaPvRmT3_T4_T5_mT6_P12ihipStream_tbENKUlT_T0_E_clISt17integral_constantIbLb0EESQ_EEDaSL_SM_EUlSL_E0_NS1_11comp_targetILNS1_3genE10ELNS1_11target_archE1200ELNS1_3gpuE4ELNS1_3repE0EEENS1_30default_config_static_selectorELNS0_4arch9wavefront6targetE1EEEvT1_
; %bb.0:
	.section	.rodata,"a",@progbits
	.p2align	6, 0x0
	.amdhsa_kernel _ZN7rocprim17ROCPRIM_400000_NS6detail17trampoline_kernelINS0_14default_configENS1_20scan_config_selectorIlEEZZNS1_9scan_implILNS1_25lookback_scan_determinismE0ELb0ELb0ES3_PlS8_lN6thrust23THRUST_200600_302600_NS4plusIvEElEEDaPvRmT3_T4_T5_mT6_P12ihipStream_tbENKUlT_T0_E_clISt17integral_constantIbLb0EESQ_EEDaSL_SM_EUlSL_E0_NS1_11comp_targetILNS1_3genE10ELNS1_11target_archE1200ELNS1_3gpuE4ELNS1_3repE0EEENS1_30default_config_static_selectorELNS0_4arch9wavefront6targetE1EEEvT1_
		.amdhsa_group_segment_fixed_size 0
		.amdhsa_private_segment_fixed_size 0
		.amdhsa_kernarg_size 40
		.amdhsa_user_sgpr_count 6
		.amdhsa_user_sgpr_private_segment_buffer 1
		.amdhsa_user_sgpr_dispatch_ptr 0
		.amdhsa_user_sgpr_queue_ptr 0
		.amdhsa_user_sgpr_kernarg_segment_ptr 1
		.amdhsa_user_sgpr_dispatch_id 0
		.amdhsa_user_sgpr_flat_scratch_init 0
		.amdhsa_user_sgpr_kernarg_preload_length 0
		.amdhsa_user_sgpr_kernarg_preload_offset 0
		.amdhsa_user_sgpr_private_segment_size 0
		.amdhsa_uses_dynamic_stack 0
		.amdhsa_system_sgpr_private_segment_wavefront_offset 0
		.amdhsa_system_sgpr_workgroup_id_x 1
		.amdhsa_system_sgpr_workgroup_id_y 0
		.amdhsa_system_sgpr_workgroup_id_z 0
		.amdhsa_system_sgpr_workgroup_info 0
		.amdhsa_system_vgpr_workitem_id 0
		.amdhsa_next_free_vgpr 1
		.amdhsa_next_free_sgpr 0
		.amdhsa_accum_offset 4
		.amdhsa_reserve_vcc 0
		.amdhsa_reserve_flat_scratch 0
		.amdhsa_float_round_mode_32 0
		.amdhsa_float_round_mode_16_64 0
		.amdhsa_float_denorm_mode_32 3
		.amdhsa_float_denorm_mode_16_64 3
		.amdhsa_dx10_clamp 1
		.amdhsa_ieee_mode 1
		.amdhsa_fp16_overflow 0
		.amdhsa_tg_split 0
		.amdhsa_exception_fp_ieee_invalid_op 0
		.amdhsa_exception_fp_denorm_src 0
		.amdhsa_exception_fp_ieee_div_zero 0
		.amdhsa_exception_fp_ieee_overflow 0
		.amdhsa_exception_fp_ieee_underflow 0
		.amdhsa_exception_fp_ieee_inexact 0
		.amdhsa_exception_int_div_zero 0
	.end_amdhsa_kernel
	.section	.text._ZN7rocprim17ROCPRIM_400000_NS6detail17trampoline_kernelINS0_14default_configENS1_20scan_config_selectorIlEEZZNS1_9scan_implILNS1_25lookback_scan_determinismE0ELb0ELb0ES3_PlS8_lN6thrust23THRUST_200600_302600_NS4plusIvEElEEDaPvRmT3_T4_T5_mT6_P12ihipStream_tbENKUlT_T0_E_clISt17integral_constantIbLb0EESQ_EEDaSL_SM_EUlSL_E0_NS1_11comp_targetILNS1_3genE10ELNS1_11target_archE1200ELNS1_3gpuE4ELNS1_3repE0EEENS1_30default_config_static_selectorELNS0_4arch9wavefront6targetE1EEEvT1_,"axG",@progbits,_ZN7rocprim17ROCPRIM_400000_NS6detail17trampoline_kernelINS0_14default_configENS1_20scan_config_selectorIlEEZZNS1_9scan_implILNS1_25lookback_scan_determinismE0ELb0ELb0ES3_PlS8_lN6thrust23THRUST_200600_302600_NS4plusIvEElEEDaPvRmT3_T4_T5_mT6_P12ihipStream_tbENKUlT_T0_E_clISt17integral_constantIbLb0EESQ_EEDaSL_SM_EUlSL_E0_NS1_11comp_targetILNS1_3genE10ELNS1_11target_archE1200ELNS1_3gpuE4ELNS1_3repE0EEENS1_30default_config_static_selectorELNS0_4arch9wavefront6targetE1EEEvT1_,comdat
.Lfunc_end99:
	.size	_ZN7rocprim17ROCPRIM_400000_NS6detail17trampoline_kernelINS0_14default_configENS1_20scan_config_selectorIlEEZZNS1_9scan_implILNS1_25lookback_scan_determinismE0ELb0ELb0ES3_PlS8_lN6thrust23THRUST_200600_302600_NS4plusIvEElEEDaPvRmT3_T4_T5_mT6_P12ihipStream_tbENKUlT_T0_E_clISt17integral_constantIbLb0EESQ_EEDaSL_SM_EUlSL_E0_NS1_11comp_targetILNS1_3genE10ELNS1_11target_archE1200ELNS1_3gpuE4ELNS1_3repE0EEENS1_30default_config_static_selectorELNS0_4arch9wavefront6targetE1EEEvT1_, .Lfunc_end99-_ZN7rocprim17ROCPRIM_400000_NS6detail17trampoline_kernelINS0_14default_configENS1_20scan_config_selectorIlEEZZNS1_9scan_implILNS1_25lookback_scan_determinismE0ELb0ELb0ES3_PlS8_lN6thrust23THRUST_200600_302600_NS4plusIvEElEEDaPvRmT3_T4_T5_mT6_P12ihipStream_tbENKUlT_T0_E_clISt17integral_constantIbLb0EESQ_EEDaSL_SM_EUlSL_E0_NS1_11comp_targetILNS1_3genE10ELNS1_11target_archE1200ELNS1_3gpuE4ELNS1_3repE0EEENS1_30default_config_static_selectorELNS0_4arch9wavefront6targetE1EEEvT1_
                                        ; -- End function
	.section	.AMDGPU.csdata,"",@progbits
; Kernel info:
; codeLenInByte = 0
; NumSgprs: 4
; NumVgprs: 0
; NumAgprs: 0
; TotalNumVgprs: 0
; ScratchSize: 0
; MemoryBound: 0
; FloatMode: 240
; IeeeMode: 1
; LDSByteSize: 0 bytes/workgroup (compile time only)
; SGPRBlocks: 0
; VGPRBlocks: 0
; NumSGPRsForWavesPerEU: 4
; NumVGPRsForWavesPerEU: 1
; AccumOffset: 4
; Occupancy: 8
; WaveLimiterHint : 0
; COMPUTE_PGM_RSRC2:SCRATCH_EN: 0
; COMPUTE_PGM_RSRC2:USER_SGPR: 6
; COMPUTE_PGM_RSRC2:TRAP_HANDLER: 0
; COMPUTE_PGM_RSRC2:TGID_X_EN: 1
; COMPUTE_PGM_RSRC2:TGID_Y_EN: 0
; COMPUTE_PGM_RSRC2:TGID_Z_EN: 0
; COMPUTE_PGM_RSRC2:TIDIG_COMP_CNT: 0
; COMPUTE_PGM_RSRC3_GFX90A:ACCUM_OFFSET: 0
; COMPUTE_PGM_RSRC3_GFX90A:TG_SPLIT: 0
	.section	.text._ZN7rocprim17ROCPRIM_400000_NS6detail17trampoline_kernelINS0_14default_configENS1_20scan_config_selectorIlEEZZNS1_9scan_implILNS1_25lookback_scan_determinismE0ELb0ELb0ES3_PlS8_lN6thrust23THRUST_200600_302600_NS4plusIvEElEEDaPvRmT3_T4_T5_mT6_P12ihipStream_tbENKUlT_T0_E_clISt17integral_constantIbLb0EESQ_EEDaSL_SM_EUlSL_E0_NS1_11comp_targetILNS1_3genE9ELNS1_11target_archE1100ELNS1_3gpuE3ELNS1_3repE0EEENS1_30default_config_static_selectorELNS0_4arch9wavefront6targetE1EEEvT1_,"axG",@progbits,_ZN7rocprim17ROCPRIM_400000_NS6detail17trampoline_kernelINS0_14default_configENS1_20scan_config_selectorIlEEZZNS1_9scan_implILNS1_25lookback_scan_determinismE0ELb0ELb0ES3_PlS8_lN6thrust23THRUST_200600_302600_NS4plusIvEElEEDaPvRmT3_T4_T5_mT6_P12ihipStream_tbENKUlT_T0_E_clISt17integral_constantIbLb0EESQ_EEDaSL_SM_EUlSL_E0_NS1_11comp_targetILNS1_3genE9ELNS1_11target_archE1100ELNS1_3gpuE3ELNS1_3repE0EEENS1_30default_config_static_selectorELNS0_4arch9wavefront6targetE1EEEvT1_,comdat
	.protected	_ZN7rocprim17ROCPRIM_400000_NS6detail17trampoline_kernelINS0_14default_configENS1_20scan_config_selectorIlEEZZNS1_9scan_implILNS1_25lookback_scan_determinismE0ELb0ELb0ES3_PlS8_lN6thrust23THRUST_200600_302600_NS4plusIvEElEEDaPvRmT3_T4_T5_mT6_P12ihipStream_tbENKUlT_T0_E_clISt17integral_constantIbLb0EESQ_EEDaSL_SM_EUlSL_E0_NS1_11comp_targetILNS1_3genE9ELNS1_11target_archE1100ELNS1_3gpuE3ELNS1_3repE0EEENS1_30default_config_static_selectorELNS0_4arch9wavefront6targetE1EEEvT1_ ; -- Begin function _ZN7rocprim17ROCPRIM_400000_NS6detail17trampoline_kernelINS0_14default_configENS1_20scan_config_selectorIlEEZZNS1_9scan_implILNS1_25lookback_scan_determinismE0ELb0ELb0ES3_PlS8_lN6thrust23THRUST_200600_302600_NS4plusIvEElEEDaPvRmT3_T4_T5_mT6_P12ihipStream_tbENKUlT_T0_E_clISt17integral_constantIbLb0EESQ_EEDaSL_SM_EUlSL_E0_NS1_11comp_targetILNS1_3genE9ELNS1_11target_archE1100ELNS1_3gpuE3ELNS1_3repE0EEENS1_30default_config_static_selectorELNS0_4arch9wavefront6targetE1EEEvT1_
	.globl	_ZN7rocprim17ROCPRIM_400000_NS6detail17trampoline_kernelINS0_14default_configENS1_20scan_config_selectorIlEEZZNS1_9scan_implILNS1_25lookback_scan_determinismE0ELb0ELb0ES3_PlS8_lN6thrust23THRUST_200600_302600_NS4plusIvEElEEDaPvRmT3_T4_T5_mT6_P12ihipStream_tbENKUlT_T0_E_clISt17integral_constantIbLb0EESQ_EEDaSL_SM_EUlSL_E0_NS1_11comp_targetILNS1_3genE9ELNS1_11target_archE1100ELNS1_3gpuE3ELNS1_3repE0EEENS1_30default_config_static_selectorELNS0_4arch9wavefront6targetE1EEEvT1_
	.p2align	8
	.type	_ZN7rocprim17ROCPRIM_400000_NS6detail17trampoline_kernelINS0_14default_configENS1_20scan_config_selectorIlEEZZNS1_9scan_implILNS1_25lookback_scan_determinismE0ELb0ELb0ES3_PlS8_lN6thrust23THRUST_200600_302600_NS4plusIvEElEEDaPvRmT3_T4_T5_mT6_P12ihipStream_tbENKUlT_T0_E_clISt17integral_constantIbLb0EESQ_EEDaSL_SM_EUlSL_E0_NS1_11comp_targetILNS1_3genE9ELNS1_11target_archE1100ELNS1_3gpuE3ELNS1_3repE0EEENS1_30default_config_static_selectorELNS0_4arch9wavefront6targetE1EEEvT1_,@function
_ZN7rocprim17ROCPRIM_400000_NS6detail17trampoline_kernelINS0_14default_configENS1_20scan_config_selectorIlEEZZNS1_9scan_implILNS1_25lookback_scan_determinismE0ELb0ELb0ES3_PlS8_lN6thrust23THRUST_200600_302600_NS4plusIvEElEEDaPvRmT3_T4_T5_mT6_P12ihipStream_tbENKUlT_T0_E_clISt17integral_constantIbLb0EESQ_EEDaSL_SM_EUlSL_E0_NS1_11comp_targetILNS1_3genE9ELNS1_11target_archE1100ELNS1_3gpuE3ELNS1_3repE0EEENS1_30default_config_static_selectorELNS0_4arch9wavefront6targetE1EEEvT1_: ; @_ZN7rocprim17ROCPRIM_400000_NS6detail17trampoline_kernelINS0_14default_configENS1_20scan_config_selectorIlEEZZNS1_9scan_implILNS1_25lookback_scan_determinismE0ELb0ELb0ES3_PlS8_lN6thrust23THRUST_200600_302600_NS4plusIvEElEEDaPvRmT3_T4_T5_mT6_P12ihipStream_tbENKUlT_T0_E_clISt17integral_constantIbLb0EESQ_EEDaSL_SM_EUlSL_E0_NS1_11comp_targetILNS1_3genE9ELNS1_11target_archE1100ELNS1_3gpuE3ELNS1_3repE0EEENS1_30default_config_static_selectorELNS0_4arch9wavefront6targetE1EEEvT1_
; %bb.0:
	.section	.rodata,"a",@progbits
	.p2align	6, 0x0
	.amdhsa_kernel _ZN7rocprim17ROCPRIM_400000_NS6detail17trampoline_kernelINS0_14default_configENS1_20scan_config_selectorIlEEZZNS1_9scan_implILNS1_25lookback_scan_determinismE0ELb0ELb0ES3_PlS8_lN6thrust23THRUST_200600_302600_NS4plusIvEElEEDaPvRmT3_T4_T5_mT6_P12ihipStream_tbENKUlT_T0_E_clISt17integral_constantIbLb0EESQ_EEDaSL_SM_EUlSL_E0_NS1_11comp_targetILNS1_3genE9ELNS1_11target_archE1100ELNS1_3gpuE3ELNS1_3repE0EEENS1_30default_config_static_selectorELNS0_4arch9wavefront6targetE1EEEvT1_
		.amdhsa_group_segment_fixed_size 0
		.amdhsa_private_segment_fixed_size 0
		.amdhsa_kernarg_size 40
		.amdhsa_user_sgpr_count 6
		.amdhsa_user_sgpr_private_segment_buffer 1
		.amdhsa_user_sgpr_dispatch_ptr 0
		.amdhsa_user_sgpr_queue_ptr 0
		.amdhsa_user_sgpr_kernarg_segment_ptr 1
		.amdhsa_user_sgpr_dispatch_id 0
		.amdhsa_user_sgpr_flat_scratch_init 0
		.amdhsa_user_sgpr_kernarg_preload_length 0
		.amdhsa_user_sgpr_kernarg_preload_offset 0
		.amdhsa_user_sgpr_private_segment_size 0
		.amdhsa_uses_dynamic_stack 0
		.amdhsa_system_sgpr_private_segment_wavefront_offset 0
		.amdhsa_system_sgpr_workgroup_id_x 1
		.amdhsa_system_sgpr_workgroup_id_y 0
		.amdhsa_system_sgpr_workgroup_id_z 0
		.amdhsa_system_sgpr_workgroup_info 0
		.amdhsa_system_vgpr_workitem_id 0
		.amdhsa_next_free_vgpr 1
		.amdhsa_next_free_sgpr 0
		.amdhsa_accum_offset 4
		.amdhsa_reserve_vcc 0
		.amdhsa_reserve_flat_scratch 0
		.amdhsa_float_round_mode_32 0
		.amdhsa_float_round_mode_16_64 0
		.amdhsa_float_denorm_mode_32 3
		.amdhsa_float_denorm_mode_16_64 3
		.amdhsa_dx10_clamp 1
		.amdhsa_ieee_mode 1
		.amdhsa_fp16_overflow 0
		.amdhsa_tg_split 0
		.amdhsa_exception_fp_ieee_invalid_op 0
		.amdhsa_exception_fp_denorm_src 0
		.amdhsa_exception_fp_ieee_div_zero 0
		.amdhsa_exception_fp_ieee_overflow 0
		.amdhsa_exception_fp_ieee_underflow 0
		.amdhsa_exception_fp_ieee_inexact 0
		.amdhsa_exception_int_div_zero 0
	.end_amdhsa_kernel
	.section	.text._ZN7rocprim17ROCPRIM_400000_NS6detail17trampoline_kernelINS0_14default_configENS1_20scan_config_selectorIlEEZZNS1_9scan_implILNS1_25lookback_scan_determinismE0ELb0ELb0ES3_PlS8_lN6thrust23THRUST_200600_302600_NS4plusIvEElEEDaPvRmT3_T4_T5_mT6_P12ihipStream_tbENKUlT_T0_E_clISt17integral_constantIbLb0EESQ_EEDaSL_SM_EUlSL_E0_NS1_11comp_targetILNS1_3genE9ELNS1_11target_archE1100ELNS1_3gpuE3ELNS1_3repE0EEENS1_30default_config_static_selectorELNS0_4arch9wavefront6targetE1EEEvT1_,"axG",@progbits,_ZN7rocprim17ROCPRIM_400000_NS6detail17trampoline_kernelINS0_14default_configENS1_20scan_config_selectorIlEEZZNS1_9scan_implILNS1_25lookback_scan_determinismE0ELb0ELb0ES3_PlS8_lN6thrust23THRUST_200600_302600_NS4plusIvEElEEDaPvRmT3_T4_T5_mT6_P12ihipStream_tbENKUlT_T0_E_clISt17integral_constantIbLb0EESQ_EEDaSL_SM_EUlSL_E0_NS1_11comp_targetILNS1_3genE9ELNS1_11target_archE1100ELNS1_3gpuE3ELNS1_3repE0EEENS1_30default_config_static_selectorELNS0_4arch9wavefront6targetE1EEEvT1_,comdat
.Lfunc_end100:
	.size	_ZN7rocprim17ROCPRIM_400000_NS6detail17trampoline_kernelINS0_14default_configENS1_20scan_config_selectorIlEEZZNS1_9scan_implILNS1_25lookback_scan_determinismE0ELb0ELb0ES3_PlS8_lN6thrust23THRUST_200600_302600_NS4plusIvEElEEDaPvRmT3_T4_T5_mT6_P12ihipStream_tbENKUlT_T0_E_clISt17integral_constantIbLb0EESQ_EEDaSL_SM_EUlSL_E0_NS1_11comp_targetILNS1_3genE9ELNS1_11target_archE1100ELNS1_3gpuE3ELNS1_3repE0EEENS1_30default_config_static_selectorELNS0_4arch9wavefront6targetE1EEEvT1_, .Lfunc_end100-_ZN7rocprim17ROCPRIM_400000_NS6detail17trampoline_kernelINS0_14default_configENS1_20scan_config_selectorIlEEZZNS1_9scan_implILNS1_25lookback_scan_determinismE0ELb0ELb0ES3_PlS8_lN6thrust23THRUST_200600_302600_NS4plusIvEElEEDaPvRmT3_T4_T5_mT6_P12ihipStream_tbENKUlT_T0_E_clISt17integral_constantIbLb0EESQ_EEDaSL_SM_EUlSL_E0_NS1_11comp_targetILNS1_3genE9ELNS1_11target_archE1100ELNS1_3gpuE3ELNS1_3repE0EEENS1_30default_config_static_selectorELNS0_4arch9wavefront6targetE1EEEvT1_
                                        ; -- End function
	.section	.AMDGPU.csdata,"",@progbits
; Kernel info:
; codeLenInByte = 0
; NumSgprs: 4
; NumVgprs: 0
; NumAgprs: 0
; TotalNumVgprs: 0
; ScratchSize: 0
; MemoryBound: 0
; FloatMode: 240
; IeeeMode: 1
; LDSByteSize: 0 bytes/workgroup (compile time only)
; SGPRBlocks: 0
; VGPRBlocks: 0
; NumSGPRsForWavesPerEU: 4
; NumVGPRsForWavesPerEU: 1
; AccumOffset: 4
; Occupancy: 8
; WaveLimiterHint : 0
; COMPUTE_PGM_RSRC2:SCRATCH_EN: 0
; COMPUTE_PGM_RSRC2:USER_SGPR: 6
; COMPUTE_PGM_RSRC2:TRAP_HANDLER: 0
; COMPUTE_PGM_RSRC2:TGID_X_EN: 1
; COMPUTE_PGM_RSRC2:TGID_Y_EN: 0
; COMPUTE_PGM_RSRC2:TGID_Z_EN: 0
; COMPUTE_PGM_RSRC2:TIDIG_COMP_CNT: 0
; COMPUTE_PGM_RSRC3_GFX90A:ACCUM_OFFSET: 0
; COMPUTE_PGM_RSRC3_GFX90A:TG_SPLIT: 0
	.section	.text._ZN7rocprim17ROCPRIM_400000_NS6detail17trampoline_kernelINS0_14default_configENS1_20scan_config_selectorIlEEZZNS1_9scan_implILNS1_25lookback_scan_determinismE0ELb0ELb0ES3_PlS8_lN6thrust23THRUST_200600_302600_NS4plusIvEElEEDaPvRmT3_T4_T5_mT6_P12ihipStream_tbENKUlT_T0_E_clISt17integral_constantIbLb0EESQ_EEDaSL_SM_EUlSL_E0_NS1_11comp_targetILNS1_3genE8ELNS1_11target_archE1030ELNS1_3gpuE2ELNS1_3repE0EEENS1_30default_config_static_selectorELNS0_4arch9wavefront6targetE1EEEvT1_,"axG",@progbits,_ZN7rocprim17ROCPRIM_400000_NS6detail17trampoline_kernelINS0_14default_configENS1_20scan_config_selectorIlEEZZNS1_9scan_implILNS1_25lookback_scan_determinismE0ELb0ELb0ES3_PlS8_lN6thrust23THRUST_200600_302600_NS4plusIvEElEEDaPvRmT3_T4_T5_mT6_P12ihipStream_tbENKUlT_T0_E_clISt17integral_constantIbLb0EESQ_EEDaSL_SM_EUlSL_E0_NS1_11comp_targetILNS1_3genE8ELNS1_11target_archE1030ELNS1_3gpuE2ELNS1_3repE0EEENS1_30default_config_static_selectorELNS0_4arch9wavefront6targetE1EEEvT1_,comdat
	.protected	_ZN7rocprim17ROCPRIM_400000_NS6detail17trampoline_kernelINS0_14default_configENS1_20scan_config_selectorIlEEZZNS1_9scan_implILNS1_25lookback_scan_determinismE0ELb0ELb0ES3_PlS8_lN6thrust23THRUST_200600_302600_NS4plusIvEElEEDaPvRmT3_T4_T5_mT6_P12ihipStream_tbENKUlT_T0_E_clISt17integral_constantIbLb0EESQ_EEDaSL_SM_EUlSL_E0_NS1_11comp_targetILNS1_3genE8ELNS1_11target_archE1030ELNS1_3gpuE2ELNS1_3repE0EEENS1_30default_config_static_selectorELNS0_4arch9wavefront6targetE1EEEvT1_ ; -- Begin function _ZN7rocprim17ROCPRIM_400000_NS6detail17trampoline_kernelINS0_14default_configENS1_20scan_config_selectorIlEEZZNS1_9scan_implILNS1_25lookback_scan_determinismE0ELb0ELb0ES3_PlS8_lN6thrust23THRUST_200600_302600_NS4plusIvEElEEDaPvRmT3_T4_T5_mT6_P12ihipStream_tbENKUlT_T0_E_clISt17integral_constantIbLb0EESQ_EEDaSL_SM_EUlSL_E0_NS1_11comp_targetILNS1_3genE8ELNS1_11target_archE1030ELNS1_3gpuE2ELNS1_3repE0EEENS1_30default_config_static_selectorELNS0_4arch9wavefront6targetE1EEEvT1_
	.globl	_ZN7rocprim17ROCPRIM_400000_NS6detail17trampoline_kernelINS0_14default_configENS1_20scan_config_selectorIlEEZZNS1_9scan_implILNS1_25lookback_scan_determinismE0ELb0ELb0ES3_PlS8_lN6thrust23THRUST_200600_302600_NS4plusIvEElEEDaPvRmT3_T4_T5_mT6_P12ihipStream_tbENKUlT_T0_E_clISt17integral_constantIbLb0EESQ_EEDaSL_SM_EUlSL_E0_NS1_11comp_targetILNS1_3genE8ELNS1_11target_archE1030ELNS1_3gpuE2ELNS1_3repE0EEENS1_30default_config_static_selectorELNS0_4arch9wavefront6targetE1EEEvT1_
	.p2align	8
	.type	_ZN7rocprim17ROCPRIM_400000_NS6detail17trampoline_kernelINS0_14default_configENS1_20scan_config_selectorIlEEZZNS1_9scan_implILNS1_25lookback_scan_determinismE0ELb0ELb0ES3_PlS8_lN6thrust23THRUST_200600_302600_NS4plusIvEElEEDaPvRmT3_T4_T5_mT6_P12ihipStream_tbENKUlT_T0_E_clISt17integral_constantIbLb0EESQ_EEDaSL_SM_EUlSL_E0_NS1_11comp_targetILNS1_3genE8ELNS1_11target_archE1030ELNS1_3gpuE2ELNS1_3repE0EEENS1_30default_config_static_selectorELNS0_4arch9wavefront6targetE1EEEvT1_,@function
_ZN7rocprim17ROCPRIM_400000_NS6detail17trampoline_kernelINS0_14default_configENS1_20scan_config_selectorIlEEZZNS1_9scan_implILNS1_25lookback_scan_determinismE0ELb0ELb0ES3_PlS8_lN6thrust23THRUST_200600_302600_NS4plusIvEElEEDaPvRmT3_T4_T5_mT6_P12ihipStream_tbENKUlT_T0_E_clISt17integral_constantIbLb0EESQ_EEDaSL_SM_EUlSL_E0_NS1_11comp_targetILNS1_3genE8ELNS1_11target_archE1030ELNS1_3gpuE2ELNS1_3repE0EEENS1_30default_config_static_selectorELNS0_4arch9wavefront6targetE1EEEvT1_: ; @_ZN7rocprim17ROCPRIM_400000_NS6detail17trampoline_kernelINS0_14default_configENS1_20scan_config_selectorIlEEZZNS1_9scan_implILNS1_25lookback_scan_determinismE0ELb0ELb0ES3_PlS8_lN6thrust23THRUST_200600_302600_NS4plusIvEElEEDaPvRmT3_T4_T5_mT6_P12ihipStream_tbENKUlT_T0_E_clISt17integral_constantIbLb0EESQ_EEDaSL_SM_EUlSL_E0_NS1_11comp_targetILNS1_3genE8ELNS1_11target_archE1030ELNS1_3gpuE2ELNS1_3repE0EEENS1_30default_config_static_selectorELNS0_4arch9wavefront6targetE1EEEvT1_
; %bb.0:
	.section	.rodata,"a",@progbits
	.p2align	6, 0x0
	.amdhsa_kernel _ZN7rocprim17ROCPRIM_400000_NS6detail17trampoline_kernelINS0_14default_configENS1_20scan_config_selectorIlEEZZNS1_9scan_implILNS1_25lookback_scan_determinismE0ELb0ELb0ES3_PlS8_lN6thrust23THRUST_200600_302600_NS4plusIvEElEEDaPvRmT3_T4_T5_mT6_P12ihipStream_tbENKUlT_T0_E_clISt17integral_constantIbLb0EESQ_EEDaSL_SM_EUlSL_E0_NS1_11comp_targetILNS1_3genE8ELNS1_11target_archE1030ELNS1_3gpuE2ELNS1_3repE0EEENS1_30default_config_static_selectorELNS0_4arch9wavefront6targetE1EEEvT1_
		.amdhsa_group_segment_fixed_size 0
		.amdhsa_private_segment_fixed_size 0
		.amdhsa_kernarg_size 40
		.amdhsa_user_sgpr_count 6
		.amdhsa_user_sgpr_private_segment_buffer 1
		.amdhsa_user_sgpr_dispatch_ptr 0
		.amdhsa_user_sgpr_queue_ptr 0
		.amdhsa_user_sgpr_kernarg_segment_ptr 1
		.amdhsa_user_sgpr_dispatch_id 0
		.amdhsa_user_sgpr_flat_scratch_init 0
		.amdhsa_user_sgpr_kernarg_preload_length 0
		.amdhsa_user_sgpr_kernarg_preload_offset 0
		.amdhsa_user_sgpr_private_segment_size 0
		.amdhsa_uses_dynamic_stack 0
		.amdhsa_system_sgpr_private_segment_wavefront_offset 0
		.amdhsa_system_sgpr_workgroup_id_x 1
		.amdhsa_system_sgpr_workgroup_id_y 0
		.amdhsa_system_sgpr_workgroup_id_z 0
		.amdhsa_system_sgpr_workgroup_info 0
		.amdhsa_system_vgpr_workitem_id 0
		.amdhsa_next_free_vgpr 1
		.amdhsa_next_free_sgpr 0
		.amdhsa_accum_offset 4
		.amdhsa_reserve_vcc 0
		.amdhsa_reserve_flat_scratch 0
		.amdhsa_float_round_mode_32 0
		.amdhsa_float_round_mode_16_64 0
		.amdhsa_float_denorm_mode_32 3
		.amdhsa_float_denorm_mode_16_64 3
		.amdhsa_dx10_clamp 1
		.amdhsa_ieee_mode 1
		.amdhsa_fp16_overflow 0
		.amdhsa_tg_split 0
		.amdhsa_exception_fp_ieee_invalid_op 0
		.amdhsa_exception_fp_denorm_src 0
		.amdhsa_exception_fp_ieee_div_zero 0
		.amdhsa_exception_fp_ieee_overflow 0
		.amdhsa_exception_fp_ieee_underflow 0
		.amdhsa_exception_fp_ieee_inexact 0
		.amdhsa_exception_int_div_zero 0
	.end_amdhsa_kernel
	.section	.text._ZN7rocprim17ROCPRIM_400000_NS6detail17trampoline_kernelINS0_14default_configENS1_20scan_config_selectorIlEEZZNS1_9scan_implILNS1_25lookback_scan_determinismE0ELb0ELb0ES3_PlS8_lN6thrust23THRUST_200600_302600_NS4plusIvEElEEDaPvRmT3_T4_T5_mT6_P12ihipStream_tbENKUlT_T0_E_clISt17integral_constantIbLb0EESQ_EEDaSL_SM_EUlSL_E0_NS1_11comp_targetILNS1_3genE8ELNS1_11target_archE1030ELNS1_3gpuE2ELNS1_3repE0EEENS1_30default_config_static_selectorELNS0_4arch9wavefront6targetE1EEEvT1_,"axG",@progbits,_ZN7rocprim17ROCPRIM_400000_NS6detail17trampoline_kernelINS0_14default_configENS1_20scan_config_selectorIlEEZZNS1_9scan_implILNS1_25lookback_scan_determinismE0ELb0ELb0ES3_PlS8_lN6thrust23THRUST_200600_302600_NS4plusIvEElEEDaPvRmT3_T4_T5_mT6_P12ihipStream_tbENKUlT_T0_E_clISt17integral_constantIbLb0EESQ_EEDaSL_SM_EUlSL_E0_NS1_11comp_targetILNS1_3genE8ELNS1_11target_archE1030ELNS1_3gpuE2ELNS1_3repE0EEENS1_30default_config_static_selectorELNS0_4arch9wavefront6targetE1EEEvT1_,comdat
.Lfunc_end101:
	.size	_ZN7rocprim17ROCPRIM_400000_NS6detail17trampoline_kernelINS0_14default_configENS1_20scan_config_selectorIlEEZZNS1_9scan_implILNS1_25lookback_scan_determinismE0ELb0ELb0ES3_PlS8_lN6thrust23THRUST_200600_302600_NS4plusIvEElEEDaPvRmT3_T4_T5_mT6_P12ihipStream_tbENKUlT_T0_E_clISt17integral_constantIbLb0EESQ_EEDaSL_SM_EUlSL_E0_NS1_11comp_targetILNS1_3genE8ELNS1_11target_archE1030ELNS1_3gpuE2ELNS1_3repE0EEENS1_30default_config_static_selectorELNS0_4arch9wavefront6targetE1EEEvT1_, .Lfunc_end101-_ZN7rocprim17ROCPRIM_400000_NS6detail17trampoline_kernelINS0_14default_configENS1_20scan_config_selectorIlEEZZNS1_9scan_implILNS1_25lookback_scan_determinismE0ELb0ELb0ES3_PlS8_lN6thrust23THRUST_200600_302600_NS4plusIvEElEEDaPvRmT3_T4_T5_mT6_P12ihipStream_tbENKUlT_T0_E_clISt17integral_constantIbLb0EESQ_EEDaSL_SM_EUlSL_E0_NS1_11comp_targetILNS1_3genE8ELNS1_11target_archE1030ELNS1_3gpuE2ELNS1_3repE0EEENS1_30default_config_static_selectorELNS0_4arch9wavefront6targetE1EEEvT1_
                                        ; -- End function
	.section	.AMDGPU.csdata,"",@progbits
; Kernel info:
; codeLenInByte = 0
; NumSgprs: 4
; NumVgprs: 0
; NumAgprs: 0
; TotalNumVgprs: 0
; ScratchSize: 0
; MemoryBound: 0
; FloatMode: 240
; IeeeMode: 1
; LDSByteSize: 0 bytes/workgroup (compile time only)
; SGPRBlocks: 0
; VGPRBlocks: 0
; NumSGPRsForWavesPerEU: 4
; NumVGPRsForWavesPerEU: 1
; AccumOffset: 4
; Occupancy: 8
; WaveLimiterHint : 0
; COMPUTE_PGM_RSRC2:SCRATCH_EN: 0
; COMPUTE_PGM_RSRC2:USER_SGPR: 6
; COMPUTE_PGM_RSRC2:TRAP_HANDLER: 0
; COMPUTE_PGM_RSRC2:TGID_X_EN: 1
; COMPUTE_PGM_RSRC2:TGID_Y_EN: 0
; COMPUTE_PGM_RSRC2:TGID_Z_EN: 0
; COMPUTE_PGM_RSRC2:TIDIG_COMP_CNT: 0
; COMPUTE_PGM_RSRC3_GFX90A:ACCUM_OFFSET: 0
; COMPUTE_PGM_RSRC3_GFX90A:TG_SPLIT: 0
	.section	.text._ZN7rocprim17ROCPRIM_400000_NS6detail31init_lookback_scan_state_kernelINS1_19lookback_scan_stateIlLb1ELb1EEENS1_16block_id_wrapperIjLb1EEEEEvT_jT0_jPNS7_10value_typeE,"axG",@progbits,_ZN7rocprim17ROCPRIM_400000_NS6detail31init_lookback_scan_state_kernelINS1_19lookback_scan_stateIlLb1ELb1EEENS1_16block_id_wrapperIjLb1EEEEEvT_jT0_jPNS7_10value_typeE,comdat
	.protected	_ZN7rocprim17ROCPRIM_400000_NS6detail31init_lookback_scan_state_kernelINS1_19lookback_scan_stateIlLb1ELb1EEENS1_16block_id_wrapperIjLb1EEEEEvT_jT0_jPNS7_10value_typeE ; -- Begin function _ZN7rocprim17ROCPRIM_400000_NS6detail31init_lookback_scan_state_kernelINS1_19lookback_scan_stateIlLb1ELb1EEENS1_16block_id_wrapperIjLb1EEEEEvT_jT0_jPNS7_10value_typeE
	.globl	_ZN7rocprim17ROCPRIM_400000_NS6detail31init_lookback_scan_state_kernelINS1_19lookback_scan_stateIlLb1ELb1EEENS1_16block_id_wrapperIjLb1EEEEEvT_jT0_jPNS7_10value_typeE
	.p2align	8
	.type	_ZN7rocprim17ROCPRIM_400000_NS6detail31init_lookback_scan_state_kernelINS1_19lookback_scan_stateIlLb1ELb1EEENS1_16block_id_wrapperIjLb1EEEEEvT_jT0_jPNS7_10value_typeE,@function
_ZN7rocprim17ROCPRIM_400000_NS6detail31init_lookback_scan_state_kernelINS1_19lookback_scan_stateIlLb1ELb1EEENS1_16block_id_wrapperIjLb1EEEEEvT_jT0_jPNS7_10value_typeE: ; @_ZN7rocprim17ROCPRIM_400000_NS6detail31init_lookback_scan_state_kernelINS1_19lookback_scan_stateIlLb1ELb1EEENS1_16block_id_wrapperIjLb1EEEEEvT_jT0_jPNS7_10value_typeE
; %bb.0:
	s_load_dword s7, s[4:5], 0x34
	s_load_dwordx2 s[2:3], s[4:5], 0x20
	s_load_dwordx2 s[0:1], s[4:5], 0x0
	s_load_dword s14, s[4:5], 0x8
	s_waitcnt lgkmcnt(0)
	s_and_b32 s7, s7, 0xffff
	s_mul_i32 s6, s6, s7
	s_cmp_eq_u64 s[2:3], 0
	v_add_u32_e32 v0, s6, v0
	s_cbranch_scc1 .LBB102_10
; %bb.1:
	s_load_dword s8, s[4:5], 0x18
	s_mov_b32 s9, 0
	s_waitcnt lgkmcnt(0)
	s_cmp_lt_u32 s8, s14
	s_cselect_b32 s6, s8, 0
	v_cmp_eq_u32_e32 vcc, s6, v0
	s_and_saveexec_b64 s[6:7], vcc
	s_cbranch_execz .LBB102_9
; %bb.2:
	s_add_i32 s8, s8, 64
	s_lshl_b64 s[8:9], s[8:9], 4
	s_add_u32 s12, s0, s8
	s_addc_u32 s13, s1, s9
	v_pk_mov_b32 v[2:3], s[12:13], s[12:13] op_sel:[0,1]
	;;#ASMSTART
	global_load_dwordx4 v[2:5], v[2:3] off glc	
s_waitcnt vmcnt(0)
	;;#ASMEND
	v_mov_b32_e32 v7, 0
	v_and_b32_e32 v6, 0xff, v4
	s_mov_b64 s[10:11], 0
	v_cmp_eq_u64_e32 vcc, 0, v[6:7]
	s_and_saveexec_b64 s[8:9], vcc
	s_cbranch_execz .LBB102_8
; %bb.3:
	s_mov_b32 s15, 1
	v_pk_mov_b32 v[8:9], s[12:13], s[12:13] op_sel:[0,1]
.LBB102_4:                              ; =>This Loop Header: Depth=1
                                        ;     Child Loop BB102_5 Depth 2
	s_max_u32 s12, s15, 1
.LBB102_5:                              ;   Parent Loop BB102_4 Depth=1
                                        ; =>  This Inner Loop Header: Depth=2
	s_add_i32 s12, s12, -1
	s_cmp_eq_u32 s12, 0
	s_sleep 1
	s_cbranch_scc0 .LBB102_5
; %bb.6:                                ;   in Loop: Header=BB102_4 Depth=1
	s_cmp_lt_u32 s15, 32
	s_cselect_b64 s[12:13], -1, 0
	s_cmp_lg_u64 s[12:13], 0
	;;#ASMSTART
	global_load_dwordx4 v[2:5], v[8:9] off glc	
s_waitcnt vmcnt(0)
	;;#ASMEND
	v_and_b32_e32 v6, 0xff, v4
	s_addc_u32 s15, s15, 0
	v_cmp_ne_u64_e32 vcc, 0, v[6:7]
	s_or_b64 s[10:11], vcc, s[10:11]
	s_andn2_b64 exec, exec, s[10:11]
	s_cbranch_execnz .LBB102_4
; %bb.7:
	s_or_b64 exec, exec, s[10:11]
.LBB102_8:
	s_or_b64 exec, exec, s[8:9]
	v_mov_b32_e32 v1, 0
	global_store_dwordx2 v1, v[2:3], s[2:3]
.LBB102_9:
	s_or_b64 exec, exec, s[6:7]
.LBB102_10:
	v_cmp_eq_u32_e32 vcc, 0, v0
	s_and_saveexec_b64 s[2:3], vcc
	s_cbranch_execnz .LBB102_14
; %bb.11:
	s_or_b64 exec, exec, s[2:3]
	v_cmp_gt_u32_e32 vcc, s14, v0
	s_and_saveexec_b64 s[2:3], vcc
	s_cbranch_execnz .LBB102_15
.LBB102_12:
	s_or_b64 exec, exec, s[2:3]
	v_cmp_gt_u32_e32 vcc, 64, v0
	s_and_saveexec_b64 s[2:3], vcc
	s_cbranch_execnz .LBB102_16
.LBB102_13:
	s_endpgm
.LBB102_14:
	s_load_dwordx2 s[4:5], s[4:5], 0x10
	v_mov_b32_e32 v1, 0
	s_waitcnt lgkmcnt(0)
	global_store_dword v1, v1, s[4:5]
	s_or_b64 exec, exec, s[2:3]
	v_cmp_gt_u32_e32 vcc, s14, v0
	s_and_saveexec_b64 s[2:3], vcc
	s_cbranch_execz .LBB102_12
.LBB102_15:
	v_add_u32_e32 v2, 64, v0
	v_mov_b32_e32 v3, 0
	v_lshlrev_b64 v[4:5], 4, v[2:3]
	v_mov_b32_e32 v1, s1
	v_add_co_u32_e32 v6, vcc, s0, v4
	v_addc_co_u32_e32 v7, vcc, v1, v5, vcc
	v_mov_b32_e32 v2, v3
	v_mov_b32_e32 v4, v3
	;; [unrolled: 1-line block ×3, first 2 shown]
	global_store_dwordx4 v[6:7], v[2:5], off
	s_or_b64 exec, exec, s[2:3]
	v_cmp_gt_u32_e32 vcc, 64, v0
	s_and_saveexec_b64 s[2:3], vcc
	s_cbranch_execz .LBB102_13
.LBB102_16:
	v_mov_b32_e32 v1, 0
	v_lshlrev_b64 v[2:3], 4, v[0:1]
	v_mov_b32_e32 v0, s1
	v_add_co_u32_e32 v4, vcc, s0, v2
	v_addc_co_u32_e32 v5, vcc, v0, v3, vcc
	v_mov_b32_e32 v2, 0xff
	v_mov_b32_e32 v0, v1
	;; [unrolled: 1-line block ×3, first 2 shown]
	global_store_dwordx4 v[4:5], v[0:3], off
	s_endpgm
	.section	.rodata,"a",@progbits
	.p2align	6, 0x0
	.amdhsa_kernel _ZN7rocprim17ROCPRIM_400000_NS6detail31init_lookback_scan_state_kernelINS1_19lookback_scan_stateIlLb1ELb1EEENS1_16block_id_wrapperIjLb1EEEEEvT_jT0_jPNS7_10value_typeE
		.amdhsa_group_segment_fixed_size 0
		.amdhsa_private_segment_fixed_size 0
		.amdhsa_kernarg_size 296
		.amdhsa_user_sgpr_count 6
		.amdhsa_user_sgpr_private_segment_buffer 1
		.amdhsa_user_sgpr_dispatch_ptr 0
		.amdhsa_user_sgpr_queue_ptr 0
		.amdhsa_user_sgpr_kernarg_segment_ptr 1
		.amdhsa_user_sgpr_dispatch_id 0
		.amdhsa_user_sgpr_flat_scratch_init 0
		.amdhsa_user_sgpr_kernarg_preload_length 0
		.amdhsa_user_sgpr_kernarg_preload_offset 0
		.amdhsa_user_sgpr_private_segment_size 0
		.amdhsa_uses_dynamic_stack 0
		.amdhsa_system_sgpr_private_segment_wavefront_offset 0
		.amdhsa_system_sgpr_workgroup_id_x 1
		.amdhsa_system_sgpr_workgroup_id_y 0
		.amdhsa_system_sgpr_workgroup_id_z 0
		.amdhsa_system_sgpr_workgroup_info 0
		.amdhsa_system_vgpr_workitem_id 0
		.amdhsa_next_free_vgpr 10
		.amdhsa_next_free_sgpr 16
		.amdhsa_accum_offset 12
		.amdhsa_reserve_vcc 1
		.amdhsa_reserve_flat_scratch 0
		.amdhsa_float_round_mode_32 0
		.amdhsa_float_round_mode_16_64 0
		.amdhsa_float_denorm_mode_32 3
		.amdhsa_float_denorm_mode_16_64 3
		.amdhsa_dx10_clamp 1
		.amdhsa_ieee_mode 1
		.amdhsa_fp16_overflow 0
		.amdhsa_tg_split 0
		.amdhsa_exception_fp_ieee_invalid_op 0
		.amdhsa_exception_fp_denorm_src 0
		.amdhsa_exception_fp_ieee_div_zero 0
		.amdhsa_exception_fp_ieee_overflow 0
		.amdhsa_exception_fp_ieee_underflow 0
		.amdhsa_exception_fp_ieee_inexact 0
		.amdhsa_exception_int_div_zero 0
	.end_amdhsa_kernel
	.section	.text._ZN7rocprim17ROCPRIM_400000_NS6detail31init_lookback_scan_state_kernelINS1_19lookback_scan_stateIlLb1ELb1EEENS1_16block_id_wrapperIjLb1EEEEEvT_jT0_jPNS7_10value_typeE,"axG",@progbits,_ZN7rocprim17ROCPRIM_400000_NS6detail31init_lookback_scan_state_kernelINS1_19lookback_scan_stateIlLb1ELb1EEENS1_16block_id_wrapperIjLb1EEEEEvT_jT0_jPNS7_10value_typeE,comdat
.Lfunc_end102:
	.size	_ZN7rocprim17ROCPRIM_400000_NS6detail31init_lookback_scan_state_kernelINS1_19lookback_scan_stateIlLb1ELb1EEENS1_16block_id_wrapperIjLb1EEEEEvT_jT0_jPNS7_10value_typeE, .Lfunc_end102-_ZN7rocprim17ROCPRIM_400000_NS6detail31init_lookback_scan_state_kernelINS1_19lookback_scan_stateIlLb1ELb1EEENS1_16block_id_wrapperIjLb1EEEEEvT_jT0_jPNS7_10value_typeE
                                        ; -- End function
	.section	.AMDGPU.csdata,"",@progbits
; Kernel info:
; codeLenInByte = 480
; NumSgprs: 20
; NumVgprs: 10
; NumAgprs: 0
; TotalNumVgprs: 10
; ScratchSize: 0
; MemoryBound: 0
; FloatMode: 240
; IeeeMode: 1
; LDSByteSize: 0 bytes/workgroup (compile time only)
; SGPRBlocks: 2
; VGPRBlocks: 1
; NumSGPRsForWavesPerEU: 20
; NumVGPRsForWavesPerEU: 10
; AccumOffset: 12
; Occupancy: 8
; WaveLimiterHint : 0
; COMPUTE_PGM_RSRC2:SCRATCH_EN: 0
; COMPUTE_PGM_RSRC2:USER_SGPR: 6
; COMPUTE_PGM_RSRC2:TRAP_HANDLER: 0
; COMPUTE_PGM_RSRC2:TGID_X_EN: 1
; COMPUTE_PGM_RSRC2:TGID_Y_EN: 0
; COMPUTE_PGM_RSRC2:TGID_Z_EN: 0
; COMPUTE_PGM_RSRC2:TIDIG_COMP_CNT: 0
; COMPUTE_PGM_RSRC3_GFX90A:ACCUM_OFFSET: 2
; COMPUTE_PGM_RSRC3_GFX90A:TG_SPLIT: 0
	.section	.text._ZN7rocprim17ROCPRIM_400000_NS6detail17trampoline_kernelINS0_14default_configENS1_20scan_config_selectorIlEEZZNS1_9scan_implILNS1_25lookback_scan_determinismE0ELb0ELb0ES3_PlS8_lN6thrust23THRUST_200600_302600_NS4plusIvEElEEDaPvRmT3_T4_T5_mT6_P12ihipStream_tbENKUlT_T0_E_clISt17integral_constantIbLb1EESQ_EEDaSL_SM_EUlSL_E_NS1_11comp_targetILNS1_3genE0ELNS1_11target_archE4294967295ELNS1_3gpuE0ELNS1_3repE0EEENS1_30default_config_static_selectorELNS0_4arch9wavefront6targetE1EEEvT1_,"axG",@progbits,_ZN7rocprim17ROCPRIM_400000_NS6detail17trampoline_kernelINS0_14default_configENS1_20scan_config_selectorIlEEZZNS1_9scan_implILNS1_25lookback_scan_determinismE0ELb0ELb0ES3_PlS8_lN6thrust23THRUST_200600_302600_NS4plusIvEElEEDaPvRmT3_T4_T5_mT6_P12ihipStream_tbENKUlT_T0_E_clISt17integral_constantIbLb1EESQ_EEDaSL_SM_EUlSL_E_NS1_11comp_targetILNS1_3genE0ELNS1_11target_archE4294967295ELNS1_3gpuE0ELNS1_3repE0EEENS1_30default_config_static_selectorELNS0_4arch9wavefront6targetE1EEEvT1_,comdat
	.protected	_ZN7rocprim17ROCPRIM_400000_NS6detail17trampoline_kernelINS0_14default_configENS1_20scan_config_selectorIlEEZZNS1_9scan_implILNS1_25lookback_scan_determinismE0ELb0ELb0ES3_PlS8_lN6thrust23THRUST_200600_302600_NS4plusIvEElEEDaPvRmT3_T4_T5_mT6_P12ihipStream_tbENKUlT_T0_E_clISt17integral_constantIbLb1EESQ_EEDaSL_SM_EUlSL_E_NS1_11comp_targetILNS1_3genE0ELNS1_11target_archE4294967295ELNS1_3gpuE0ELNS1_3repE0EEENS1_30default_config_static_selectorELNS0_4arch9wavefront6targetE1EEEvT1_ ; -- Begin function _ZN7rocprim17ROCPRIM_400000_NS6detail17trampoline_kernelINS0_14default_configENS1_20scan_config_selectorIlEEZZNS1_9scan_implILNS1_25lookback_scan_determinismE0ELb0ELb0ES3_PlS8_lN6thrust23THRUST_200600_302600_NS4plusIvEElEEDaPvRmT3_T4_T5_mT6_P12ihipStream_tbENKUlT_T0_E_clISt17integral_constantIbLb1EESQ_EEDaSL_SM_EUlSL_E_NS1_11comp_targetILNS1_3genE0ELNS1_11target_archE4294967295ELNS1_3gpuE0ELNS1_3repE0EEENS1_30default_config_static_selectorELNS0_4arch9wavefront6targetE1EEEvT1_
	.globl	_ZN7rocprim17ROCPRIM_400000_NS6detail17trampoline_kernelINS0_14default_configENS1_20scan_config_selectorIlEEZZNS1_9scan_implILNS1_25lookback_scan_determinismE0ELb0ELb0ES3_PlS8_lN6thrust23THRUST_200600_302600_NS4plusIvEElEEDaPvRmT3_T4_T5_mT6_P12ihipStream_tbENKUlT_T0_E_clISt17integral_constantIbLb1EESQ_EEDaSL_SM_EUlSL_E_NS1_11comp_targetILNS1_3genE0ELNS1_11target_archE4294967295ELNS1_3gpuE0ELNS1_3repE0EEENS1_30default_config_static_selectorELNS0_4arch9wavefront6targetE1EEEvT1_
	.p2align	8
	.type	_ZN7rocprim17ROCPRIM_400000_NS6detail17trampoline_kernelINS0_14default_configENS1_20scan_config_selectorIlEEZZNS1_9scan_implILNS1_25lookback_scan_determinismE0ELb0ELb0ES3_PlS8_lN6thrust23THRUST_200600_302600_NS4plusIvEElEEDaPvRmT3_T4_T5_mT6_P12ihipStream_tbENKUlT_T0_E_clISt17integral_constantIbLb1EESQ_EEDaSL_SM_EUlSL_E_NS1_11comp_targetILNS1_3genE0ELNS1_11target_archE4294967295ELNS1_3gpuE0ELNS1_3repE0EEENS1_30default_config_static_selectorELNS0_4arch9wavefront6targetE1EEEvT1_,@function
_ZN7rocprim17ROCPRIM_400000_NS6detail17trampoline_kernelINS0_14default_configENS1_20scan_config_selectorIlEEZZNS1_9scan_implILNS1_25lookback_scan_determinismE0ELb0ELb0ES3_PlS8_lN6thrust23THRUST_200600_302600_NS4plusIvEElEEDaPvRmT3_T4_T5_mT6_P12ihipStream_tbENKUlT_T0_E_clISt17integral_constantIbLb1EESQ_EEDaSL_SM_EUlSL_E_NS1_11comp_targetILNS1_3genE0ELNS1_11target_archE4294967295ELNS1_3gpuE0ELNS1_3repE0EEENS1_30default_config_static_selectorELNS0_4arch9wavefront6targetE1EEEvT1_: ; @_ZN7rocprim17ROCPRIM_400000_NS6detail17trampoline_kernelINS0_14default_configENS1_20scan_config_selectorIlEEZZNS1_9scan_implILNS1_25lookback_scan_determinismE0ELb0ELb0ES3_PlS8_lN6thrust23THRUST_200600_302600_NS4plusIvEElEEDaPvRmT3_T4_T5_mT6_P12ihipStream_tbENKUlT_T0_E_clISt17integral_constantIbLb1EESQ_EEDaSL_SM_EUlSL_E_NS1_11comp_targetILNS1_3genE0ELNS1_11target_archE4294967295ELNS1_3gpuE0ELNS1_3repE0EEENS1_30default_config_static_selectorELNS0_4arch9wavefront6targetE1EEEvT1_
; %bb.0:
	.section	.rodata,"a",@progbits
	.p2align	6, 0x0
	.amdhsa_kernel _ZN7rocprim17ROCPRIM_400000_NS6detail17trampoline_kernelINS0_14default_configENS1_20scan_config_selectorIlEEZZNS1_9scan_implILNS1_25lookback_scan_determinismE0ELb0ELb0ES3_PlS8_lN6thrust23THRUST_200600_302600_NS4plusIvEElEEDaPvRmT3_T4_T5_mT6_P12ihipStream_tbENKUlT_T0_E_clISt17integral_constantIbLb1EESQ_EEDaSL_SM_EUlSL_E_NS1_11comp_targetILNS1_3genE0ELNS1_11target_archE4294967295ELNS1_3gpuE0ELNS1_3repE0EEENS1_30default_config_static_selectorELNS0_4arch9wavefront6targetE1EEEvT1_
		.amdhsa_group_segment_fixed_size 0
		.amdhsa_private_segment_fixed_size 0
		.amdhsa_kernarg_size 104
		.amdhsa_user_sgpr_count 6
		.amdhsa_user_sgpr_private_segment_buffer 1
		.amdhsa_user_sgpr_dispatch_ptr 0
		.amdhsa_user_sgpr_queue_ptr 0
		.amdhsa_user_sgpr_kernarg_segment_ptr 1
		.amdhsa_user_sgpr_dispatch_id 0
		.amdhsa_user_sgpr_flat_scratch_init 0
		.amdhsa_user_sgpr_kernarg_preload_length 0
		.amdhsa_user_sgpr_kernarg_preload_offset 0
		.amdhsa_user_sgpr_private_segment_size 0
		.amdhsa_uses_dynamic_stack 0
		.amdhsa_system_sgpr_private_segment_wavefront_offset 0
		.amdhsa_system_sgpr_workgroup_id_x 1
		.amdhsa_system_sgpr_workgroup_id_y 0
		.amdhsa_system_sgpr_workgroup_id_z 0
		.amdhsa_system_sgpr_workgroup_info 0
		.amdhsa_system_vgpr_workitem_id 0
		.amdhsa_next_free_vgpr 1
		.amdhsa_next_free_sgpr 0
		.amdhsa_accum_offset 4
		.amdhsa_reserve_vcc 0
		.amdhsa_reserve_flat_scratch 0
		.amdhsa_float_round_mode_32 0
		.amdhsa_float_round_mode_16_64 0
		.amdhsa_float_denorm_mode_32 3
		.amdhsa_float_denorm_mode_16_64 3
		.amdhsa_dx10_clamp 1
		.amdhsa_ieee_mode 1
		.amdhsa_fp16_overflow 0
		.amdhsa_tg_split 0
		.amdhsa_exception_fp_ieee_invalid_op 0
		.amdhsa_exception_fp_denorm_src 0
		.amdhsa_exception_fp_ieee_div_zero 0
		.amdhsa_exception_fp_ieee_overflow 0
		.amdhsa_exception_fp_ieee_underflow 0
		.amdhsa_exception_fp_ieee_inexact 0
		.amdhsa_exception_int_div_zero 0
	.end_amdhsa_kernel
	.section	.text._ZN7rocprim17ROCPRIM_400000_NS6detail17trampoline_kernelINS0_14default_configENS1_20scan_config_selectorIlEEZZNS1_9scan_implILNS1_25lookback_scan_determinismE0ELb0ELb0ES3_PlS8_lN6thrust23THRUST_200600_302600_NS4plusIvEElEEDaPvRmT3_T4_T5_mT6_P12ihipStream_tbENKUlT_T0_E_clISt17integral_constantIbLb1EESQ_EEDaSL_SM_EUlSL_E_NS1_11comp_targetILNS1_3genE0ELNS1_11target_archE4294967295ELNS1_3gpuE0ELNS1_3repE0EEENS1_30default_config_static_selectorELNS0_4arch9wavefront6targetE1EEEvT1_,"axG",@progbits,_ZN7rocprim17ROCPRIM_400000_NS6detail17trampoline_kernelINS0_14default_configENS1_20scan_config_selectorIlEEZZNS1_9scan_implILNS1_25lookback_scan_determinismE0ELb0ELb0ES3_PlS8_lN6thrust23THRUST_200600_302600_NS4plusIvEElEEDaPvRmT3_T4_T5_mT6_P12ihipStream_tbENKUlT_T0_E_clISt17integral_constantIbLb1EESQ_EEDaSL_SM_EUlSL_E_NS1_11comp_targetILNS1_3genE0ELNS1_11target_archE4294967295ELNS1_3gpuE0ELNS1_3repE0EEENS1_30default_config_static_selectorELNS0_4arch9wavefront6targetE1EEEvT1_,comdat
.Lfunc_end103:
	.size	_ZN7rocprim17ROCPRIM_400000_NS6detail17trampoline_kernelINS0_14default_configENS1_20scan_config_selectorIlEEZZNS1_9scan_implILNS1_25lookback_scan_determinismE0ELb0ELb0ES3_PlS8_lN6thrust23THRUST_200600_302600_NS4plusIvEElEEDaPvRmT3_T4_T5_mT6_P12ihipStream_tbENKUlT_T0_E_clISt17integral_constantIbLb1EESQ_EEDaSL_SM_EUlSL_E_NS1_11comp_targetILNS1_3genE0ELNS1_11target_archE4294967295ELNS1_3gpuE0ELNS1_3repE0EEENS1_30default_config_static_selectorELNS0_4arch9wavefront6targetE1EEEvT1_, .Lfunc_end103-_ZN7rocprim17ROCPRIM_400000_NS6detail17trampoline_kernelINS0_14default_configENS1_20scan_config_selectorIlEEZZNS1_9scan_implILNS1_25lookback_scan_determinismE0ELb0ELb0ES3_PlS8_lN6thrust23THRUST_200600_302600_NS4plusIvEElEEDaPvRmT3_T4_T5_mT6_P12ihipStream_tbENKUlT_T0_E_clISt17integral_constantIbLb1EESQ_EEDaSL_SM_EUlSL_E_NS1_11comp_targetILNS1_3genE0ELNS1_11target_archE4294967295ELNS1_3gpuE0ELNS1_3repE0EEENS1_30default_config_static_selectorELNS0_4arch9wavefront6targetE1EEEvT1_
                                        ; -- End function
	.section	.AMDGPU.csdata,"",@progbits
; Kernel info:
; codeLenInByte = 0
; NumSgprs: 4
; NumVgprs: 0
; NumAgprs: 0
; TotalNumVgprs: 0
; ScratchSize: 0
; MemoryBound: 0
; FloatMode: 240
; IeeeMode: 1
; LDSByteSize: 0 bytes/workgroup (compile time only)
; SGPRBlocks: 0
; VGPRBlocks: 0
; NumSGPRsForWavesPerEU: 4
; NumVGPRsForWavesPerEU: 1
; AccumOffset: 4
; Occupancy: 8
; WaveLimiterHint : 0
; COMPUTE_PGM_RSRC2:SCRATCH_EN: 0
; COMPUTE_PGM_RSRC2:USER_SGPR: 6
; COMPUTE_PGM_RSRC2:TRAP_HANDLER: 0
; COMPUTE_PGM_RSRC2:TGID_X_EN: 1
; COMPUTE_PGM_RSRC2:TGID_Y_EN: 0
; COMPUTE_PGM_RSRC2:TGID_Z_EN: 0
; COMPUTE_PGM_RSRC2:TIDIG_COMP_CNT: 0
; COMPUTE_PGM_RSRC3_GFX90A:ACCUM_OFFSET: 0
; COMPUTE_PGM_RSRC3_GFX90A:TG_SPLIT: 0
	.section	.text._ZN7rocprim17ROCPRIM_400000_NS6detail17trampoline_kernelINS0_14default_configENS1_20scan_config_selectorIlEEZZNS1_9scan_implILNS1_25lookback_scan_determinismE0ELb0ELb0ES3_PlS8_lN6thrust23THRUST_200600_302600_NS4plusIvEElEEDaPvRmT3_T4_T5_mT6_P12ihipStream_tbENKUlT_T0_E_clISt17integral_constantIbLb1EESQ_EEDaSL_SM_EUlSL_E_NS1_11comp_targetILNS1_3genE5ELNS1_11target_archE942ELNS1_3gpuE9ELNS1_3repE0EEENS1_30default_config_static_selectorELNS0_4arch9wavefront6targetE1EEEvT1_,"axG",@progbits,_ZN7rocprim17ROCPRIM_400000_NS6detail17trampoline_kernelINS0_14default_configENS1_20scan_config_selectorIlEEZZNS1_9scan_implILNS1_25lookback_scan_determinismE0ELb0ELb0ES3_PlS8_lN6thrust23THRUST_200600_302600_NS4plusIvEElEEDaPvRmT3_T4_T5_mT6_P12ihipStream_tbENKUlT_T0_E_clISt17integral_constantIbLb1EESQ_EEDaSL_SM_EUlSL_E_NS1_11comp_targetILNS1_3genE5ELNS1_11target_archE942ELNS1_3gpuE9ELNS1_3repE0EEENS1_30default_config_static_selectorELNS0_4arch9wavefront6targetE1EEEvT1_,comdat
	.protected	_ZN7rocprim17ROCPRIM_400000_NS6detail17trampoline_kernelINS0_14default_configENS1_20scan_config_selectorIlEEZZNS1_9scan_implILNS1_25lookback_scan_determinismE0ELb0ELb0ES3_PlS8_lN6thrust23THRUST_200600_302600_NS4plusIvEElEEDaPvRmT3_T4_T5_mT6_P12ihipStream_tbENKUlT_T0_E_clISt17integral_constantIbLb1EESQ_EEDaSL_SM_EUlSL_E_NS1_11comp_targetILNS1_3genE5ELNS1_11target_archE942ELNS1_3gpuE9ELNS1_3repE0EEENS1_30default_config_static_selectorELNS0_4arch9wavefront6targetE1EEEvT1_ ; -- Begin function _ZN7rocprim17ROCPRIM_400000_NS6detail17trampoline_kernelINS0_14default_configENS1_20scan_config_selectorIlEEZZNS1_9scan_implILNS1_25lookback_scan_determinismE0ELb0ELb0ES3_PlS8_lN6thrust23THRUST_200600_302600_NS4plusIvEElEEDaPvRmT3_T4_T5_mT6_P12ihipStream_tbENKUlT_T0_E_clISt17integral_constantIbLb1EESQ_EEDaSL_SM_EUlSL_E_NS1_11comp_targetILNS1_3genE5ELNS1_11target_archE942ELNS1_3gpuE9ELNS1_3repE0EEENS1_30default_config_static_selectorELNS0_4arch9wavefront6targetE1EEEvT1_
	.globl	_ZN7rocprim17ROCPRIM_400000_NS6detail17trampoline_kernelINS0_14default_configENS1_20scan_config_selectorIlEEZZNS1_9scan_implILNS1_25lookback_scan_determinismE0ELb0ELb0ES3_PlS8_lN6thrust23THRUST_200600_302600_NS4plusIvEElEEDaPvRmT3_T4_T5_mT6_P12ihipStream_tbENKUlT_T0_E_clISt17integral_constantIbLb1EESQ_EEDaSL_SM_EUlSL_E_NS1_11comp_targetILNS1_3genE5ELNS1_11target_archE942ELNS1_3gpuE9ELNS1_3repE0EEENS1_30default_config_static_selectorELNS0_4arch9wavefront6targetE1EEEvT1_
	.p2align	8
	.type	_ZN7rocprim17ROCPRIM_400000_NS6detail17trampoline_kernelINS0_14default_configENS1_20scan_config_selectorIlEEZZNS1_9scan_implILNS1_25lookback_scan_determinismE0ELb0ELb0ES3_PlS8_lN6thrust23THRUST_200600_302600_NS4plusIvEElEEDaPvRmT3_T4_T5_mT6_P12ihipStream_tbENKUlT_T0_E_clISt17integral_constantIbLb1EESQ_EEDaSL_SM_EUlSL_E_NS1_11comp_targetILNS1_3genE5ELNS1_11target_archE942ELNS1_3gpuE9ELNS1_3repE0EEENS1_30default_config_static_selectorELNS0_4arch9wavefront6targetE1EEEvT1_,@function
_ZN7rocprim17ROCPRIM_400000_NS6detail17trampoline_kernelINS0_14default_configENS1_20scan_config_selectorIlEEZZNS1_9scan_implILNS1_25lookback_scan_determinismE0ELb0ELb0ES3_PlS8_lN6thrust23THRUST_200600_302600_NS4plusIvEElEEDaPvRmT3_T4_T5_mT6_P12ihipStream_tbENKUlT_T0_E_clISt17integral_constantIbLb1EESQ_EEDaSL_SM_EUlSL_E_NS1_11comp_targetILNS1_3genE5ELNS1_11target_archE942ELNS1_3gpuE9ELNS1_3repE0EEENS1_30default_config_static_selectorELNS0_4arch9wavefront6targetE1EEEvT1_: ; @_ZN7rocprim17ROCPRIM_400000_NS6detail17trampoline_kernelINS0_14default_configENS1_20scan_config_selectorIlEEZZNS1_9scan_implILNS1_25lookback_scan_determinismE0ELb0ELb0ES3_PlS8_lN6thrust23THRUST_200600_302600_NS4plusIvEElEEDaPvRmT3_T4_T5_mT6_P12ihipStream_tbENKUlT_T0_E_clISt17integral_constantIbLb1EESQ_EEDaSL_SM_EUlSL_E_NS1_11comp_targetILNS1_3genE5ELNS1_11target_archE942ELNS1_3gpuE9ELNS1_3repE0EEENS1_30default_config_static_selectorELNS0_4arch9wavefront6targetE1EEEvT1_
; %bb.0:
	.section	.rodata,"a",@progbits
	.p2align	6, 0x0
	.amdhsa_kernel _ZN7rocprim17ROCPRIM_400000_NS6detail17trampoline_kernelINS0_14default_configENS1_20scan_config_selectorIlEEZZNS1_9scan_implILNS1_25lookback_scan_determinismE0ELb0ELb0ES3_PlS8_lN6thrust23THRUST_200600_302600_NS4plusIvEElEEDaPvRmT3_T4_T5_mT6_P12ihipStream_tbENKUlT_T0_E_clISt17integral_constantIbLb1EESQ_EEDaSL_SM_EUlSL_E_NS1_11comp_targetILNS1_3genE5ELNS1_11target_archE942ELNS1_3gpuE9ELNS1_3repE0EEENS1_30default_config_static_selectorELNS0_4arch9wavefront6targetE1EEEvT1_
		.amdhsa_group_segment_fixed_size 0
		.amdhsa_private_segment_fixed_size 0
		.amdhsa_kernarg_size 104
		.amdhsa_user_sgpr_count 6
		.amdhsa_user_sgpr_private_segment_buffer 1
		.amdhsa_user_sgpr_dispatch_ptr 0
		.amdhsa_user_sgpr_queue_ptr 0
		.amdhsa_user_sgpr_kernarg_segment_ptr 1
		.amdhsa_user_sgpr_dispatch_id 0
		.amdhsa_user_sgpr_flat_scratch_init 0
		.amdhsa_user_sgpr_kernarg_preload_length 0
		.amdhsa_user_sgpr_kernarg_preload_offset 0
		.amdhsa_user_sgpr_private_segment_size 0
		.amdhsa_uses_dynamic_stack 0
		.amdhsa_system_sgpr_private_segment_wavefront_offset 0
		.amdhsa_system_sgpr_workgroup_id_x 1
		.amdhsa_system_sgpr_workgroup_id_y 0
		.amdhsa_system_sgpr_workgroup_id_z 0
		.amdhsa_system_sgpr_workgroup_info 0
		.amdhsa_system_vgpr_workitem_id 0
		.amdhsa_next_free_vgpr 1
		.amdhsa_next_free_sgpr 0
		.amdhsa_accum_offset 4
		.amdhsa_reserve_vcc 0
		.amdhsa_reserve_flat_scratch 0
		.amdhsa_float_round_mode_32 0
		.amdhsa_float_round_mode_16_64 0
		.amdhsa_float_denorm_mode_32 3
		.amdhsa_float_denorm_mode_16_64 3
		.amdhsa_dx10_clamp 1
		.amdhsa_ieee_mode 1
		.amdhsa_fp16_overflow 0
		.amdhsa_tg_split 0
		.amdhsa_exception_fp_ieee_invalid_op 0
		.amdhsa_exception_fp_denorm_src 0
		.amdhsa_exception_fp_ieee_div_zero 0
		.amdhsa_exception_fp_ieee_overflow 0
		.amdhsa_exception_fp_ieee_underflow 0
		.amdhsa_exception_fp_ieee_inexact 0
		.amdhsa_exception_int_div_zero 0
	.end_amdhsa_kernel
	.section	.text._ZN7rocprim17ROCPRIM_400000_NS6detail17trampoline_kernelINS0_14default_configENS1_20scan_config_selectorIlEEZZNS1_9scan_implILNS1_25lookback_scan_determinismE0ELb0ELb0ES3_PlS8_lN6thrust23THRUST_200600_302600_NS4plusIvEElEEDaPvRmT3_T4_T5_mT6_P12ihipStream_tbENKUlT_T0_E_clISt17integral_constantIbLb1EESQ_EEDaSL_SM_EUlSL_E_NS1_11comp_targetILNS1_3genE5ELNS1_11target_archE942ELNS1_3gpuE9ELNS1_3repE0EEENS1_30default_config_static_selectorELNS0_4arch9wavefront6targetE1EEEvT1_,"axG",@progbits,_ZN7rocprim17ROCPRIM_400000_NS6detail17trampoline_kernelINS0_14default_configENS1_20scan_config_selectorIlEEZZNS1_9scan_implILNS1_25lookback_scan_determinismE0ELb0ELb0ES3_PlS8_lN6thrust23THRUST_200600_302600_NS4plusIvEElEEDaPvRmT3_T4_T5_mT6_P12ihipStream_tbENKUlT_T0_E_clISt17integral_constantIbLb1EESQ_EEDaSL_SM_EUlSL_E_NS1_11comp_targetILNS1_3genE5ELNS1_11target_archE942ELNS1_3gpuE9ELNS1_3repE0EEENS1_30default_config_static_selectorELNS0_4arch9wavefront6targetE1EEEvT1_,comdat
.Lfunc_end104:
	.size	_ZN7rocprim17ROCPRIM_400000_NS6detail17trampoline_kernelINS0_14default_configENS1_20scan_config_selectorIlEEZZNS1_9scan_implILNS1_25lookback_scan_determinismE0ELb0ELb0ES3_PlS8_lN6thrust23THRUST_200600_302600_NS4plusIvEElEEDaPvRmT3_T4_T5_mT6_P12ihipStream_tbENKUlT_T0_E_clISt17integral_constantIbLb1EESQ_EEDaSL_SM_EUlSL_E_NS1_11comp_targetILNS1_3genE5ELNS1_11target_archE942ELNS1_3gpuE9ELNS1_3repE0EEENS1_30default_config_static_selectorELNS0_4arch9wavefront6targetE1EEEvT1_, .Lfunc_end104-_ZN7rocprim17ROCPRIM_400000_NS6detail17trampoline_kernelINS0_14default_configENS1_20scan_config_selectorIlEEZZNS1_9scan_implILNS1_25lookback_scan_determinismE0ELb0ELb0ES3_PlS8_lN6thrust23THRUST_200600_302600_NS4plusIvEElEEDaPvRmT3_T4_T5_mT6_P12ihipStream_tbENKUlT_T0_E_clISt17integral_constantIbLb1EESQ_EEDaSL_SM_EUlSL_E_NS1_11comp_targetILNS1_3genE5ELNS1_11target_archE942ELNS1_3gpuE9ELNS1_3repE0EEENS1_30default_config_static_selectorELNS0_4arch9wavefront6targetE1EEEvT1_
                                        ; -- End function
	.section	.AMDGPU.csdata,"",@progbits
; Kernel info:
; codeLenInByte = 0
; NumSgprs: 4
; NumVgprs: 0
; NumAgprs: 0
; TotalNumVgprs: 0
; ScratchSize: 0
; MemoryBound: 0
; FloatMode: 240
; IeeeMode: 1
; LDSByteSize: 0 bytes/workgroup (compile time only)
; SGPRBlocks: 0
; VGPRBlocks: 0
; NumSGPRsForWavesPerEU: 4
; NumVGPRsForWavesPerEU: 1
; AccumOffset: 4
; Occupancy: 8
; WaveLimiterHint : 0
; COMPUTE_PGM_RSRC2:SCRATCH_EN: 0
; COMPUTE_PGM_RSRC2:USER_SGPR: 6
; COMPUTE_PGM_RSRC2:TRAP_HANDLER: 0
; COMPUTE_PGM_RSRC2:TGID_X_EN: 1
; COMPUTE_PGM_RSRC2:TGID_Y_EN: 0
; COMPUTE_PGM_RSRC2:TGID_Z_EN: 0
; COMPUTE_PGM_RSRC2:TIDIG_COMP_CNT: 0
; COMPUTE_PGM_RSRC3_GFX90A:ACCUM_OFFSET: 0
; COMPUTE_PGM_RSRC3_GFX90A:TG_SPLIT: 0
	.section	.text._ZN7rocprim17ROCPRIM_400000_NS6detail17trampoline_kernelINS0_14default_configENS1_20scan_config_selectorIlEEZZNS1_9scan_implILNS1_25lookback_scan_determinismE0ELb0ELb0ES3_PlS8_lN6thrust23THRUST_200600_302600_NS4plusIvEElEEDaPvRmT3_T4_T5_mT6_P12ihipStream_tbENKUlT_T0_E_clISt17integral_constantIbLb1EESQ_EEDaSL_SM_EUlSL_E_NS1_11comp_targetILNS1_3genE4ELNS1_11target_archE910ELNS1_3gpuE8ELNS1_3repE0EEENS1_30default_config_static_selectorELNS0_4arch9wavefront6targetE1EEEvT1_,"axG",@progbits,_ZN7rocprim17ROCPRIM_400000_NS6detail17trampoline_kernelINS0_14default_configENS1_20scan_config_selectorIlEEZZNS1_9scan_implILNS1_25lookback_scan_determinismE0ELb0ELb0ES3_PlS8_lN6thrust23THRUST_200600_302600_NS4plusIvEElEEDaPvRmT3_T4_T5_mT6_P12ihipStream_tbENKUlT_T0_E_clISt17integral_constantIbLb1EESQ_EEDaSL_SM_EUlSL_E_NS1_11comp_targetILNS1_3genE4ELNS1_11target_archE910ELNS1_3gpuE8ELNS1_3repE0EEENS1_30default_config_static_selectorELNS0_4arch9wavefront6targetE1EEEvT1_,comdat
	.protected	_ZN7rocprim17ROCPRIM_400000_NS6detail17trampoline_kernelINS0_14default_configENS1_20scan_config_selectorIlEEZZNS1_9scan_implILNS1_25lookback_scan_determinismE0ELb0ELb0ES3_PlS8_lN6thrust23THRUST_200600_302600_NS4plusIvEElEEDaPvRmT3_T4_T5_mT6_P12ihipStream_tbENKUlT_T0_E_clISt17integral_constantIbLb1EESQ_EEDaSL_SM_EUlSL_E_NS1_11comp_targetILNS1_3genE4ELNS1_11target_archE910ELNS1_3gpuE8ELNS1_3repE0EEENS1_30default_config_static_selectorELNS0_4arch9wavefront6targetE1EEEvT1_ ; -- Begin function _ZN7rocprim17ROCPRIM_400000_NS6detail17trampoline_kernelINS0_14default_configENS1_20scan_config_selectorIlEEZZNS1_9scan_implILNS1_25lookback_scan_determinismE0ELb0ELb0ES3_PlS8_lN6thrust23THRUST_200600_302600_NS4plusIvEElEEDaPvRmT3_T4_T5_mT6_P12ihipStream_tbENKUlT_T0_E_clISt17integral_constantIbLb1EESQ_EEDaSL_SM_EUlSL_E_NS1_11comp_targetILNS1_3genE4ELNS1_11target_archE910ELNS1_3gpuE8ELNS1_3repE0EEENS1_30default_config_static_selectorELNS0_4arch9wavefront6targetE1EEEvT1_
	.globl	_ZN7rocprim17ROCPRIM_400000_NS6detail17trampoline_kernelINS0_14default_configENS1_20scan_config_selectorIlEEZZNS1_9scan_implILNS1_25lookback_scan_determinismE0ELb0ELb0ES3_PlS8_lN6thrust23THRUST_200600_302600_NS4plusIvEElEEDaPvRmT3_T4_T5_mT6_P12ihipStream_tbENKUlT_T0_E_clISt17integral_constantIbLb1EESQ_EEDaSL_SM_EUlSL_E_NS1_11comp_targetILNS1_3genE4ELNS1_11target_archE910ELNS1_3gpuE8ELNS1_3repE0EEENS1_30default_config_static_selectorELNS0_4arch9wavefront6targetE1EEEvT1_
	.p2align	8
	.type	_ZN7rocprim17ROCPRIM_400000_NS6detail17trampoline_kernelINS0_14default_configENS1_20scan_config_selectorIlEEZZNS1_9scan_implILNS1_25lookback_scan_determinismE0ELb0ELb0ES3_PlS8_lN6thrust23THRUST_200600_302600_NS4plusIvEElEEDaPvRmT3_T4_T5_mT6_P12ihipStream_tbENKUlT_T0_E_clISt17integral_constantIbLb1EESQ_EEDaSL_SM_EUlSL_E_NS1_11comp_targetILNS1_3genE4ELNS1_11target_archE910ELNS1_3gpuE8ELNS1_3repE0EEENS1_30default_config_static_selectorELNS0_4arch9wavefront6targetE1EEEvT1_,@function
_ZN7rocprim17ROCPRIM_400000_NS6detail17trampoline_kernelINS0_14default_configENS1_20scan_config_selectorIlEEZZNS1_9scan_implILNS1_25lookback_scan_determinismE0ELb0ELb0ES3_PlS8_lN6thrust23THRUST_200600_302600_NS4plusIvEElEEDaPvRmT3_T4_T5_mT6_P12ihipStream_tbENKUlT_T0_E_clISt17integral_constantIbLb1EESQ_EEDaSL_SM_EUlSL_E_NS1_11comp_targetILNS1_3genE4ELNS1_11target_archE910ELNS1_3gpuE8ELNS1_3repE0EEENS1_30default_config_static_selectorELNS0_4arch9wavefront6targetE1EEEvT1_: ; @_ZN7rocprim17ROCPRIM_400000_NS6detail17trampoline_kernelINS0_14default_configENS1_20scan_config_selectorIlEEZZNS1_9scan_implILNS1_25lookback_scan_determinismE0ELb0ELb0ES3_PlS8_lN6thrust23THRUST_200600_302600_NS4plusIvEElEEDaPvRmT3_T4_T5_mT6_P12ihipStream_tbENKUlT_T0_E_clISt17integral_constantIbLb1EESQ_EEDaSL_SM_EUlSL_E_NS1_11comp_targetILNS1_3genE4ELNS1_11target_archE910ELNS1_3gpuE8ELNS1_3repE0EEENS1_30default_config_static_selectorELNS0_4arch9wavefront6targetE1EEEvT1_
; %bb.0:
	s_load_dwordx2 s[10:11], s[4:5], 0x30
	v_cmp_ne_u32_e64 s[0:1], 0, v0
	v_cmp_eq_u32_e64 s[2:3], 0, v0
	s_and_saveexec_b64 s[6:7], s[2:3]
	s_cbranch_execz .LBB105_4
; %bb.1:
	s_mov_b64 s[12:13], exec
	v_mbcnt_lo_u32_b32 v1, s12, 0
	v_mbcnt_hi_u32_b32 v1, s13, v1
	v_cmp_eq_u32_e32 vcc, 0, v1
                                        ; implicit-def: $vgpr2
	s_and_saveexec_b64 s[8:9], vcc
	s_cbranch_execz .LBB105_3
; %bb.2:
	s_load_dwordx2 s[14:15], s[4:5], 0x60
	s_bcnt1_i32_b64 s12, s[12:13]
	v_mov_b32_e32 v2, 0
	v_mov_b32_e32 v3, s12
	s_waitcnt lgkmcnt(0)
	global_atomic_add v2, v2, v3, s[14:15] glc
.LBB105_3:
	s_or_b64 exec, exec, s[8:9]
	s_waitcnt vmcnt(0)
	v_readfirstlane_b32 s8, v2
	v_add_u32_e32 v1, s8, v1
	v_mov_b32_e32 v2, 0
	ds_write_b32 v2, v1
.LBB105_4:
	s_or_b64 exec, exec, s[6:7]
	s_load_dwordx8 s[20:27], s[4:5], 0x0
	s_load_dword s6, s[4:5], 0x38
	s_load_dwordx8 s[12:19], s[4:5], 0x40
	v_mov_b32_e32 v1, 0
	s_waitcnt lgkmcnt(0)
	s_barrier
	ds_read_b32 v1, v1
	s_lshl_b64 s[22:23], s[22:23], 3
	s_add_u32 s7, s20, s22
	s_addc_u32 s8, s21, s23
	s_add_i32 s6, s6, -1
	s_mul_i32 s9, s6, 0x380
	s_sub_u32 s30, s26, s9
	s_waitcnt lgkmcnt(0)
	v_readfirstlane_b32 s33, v1
	s_subb_u32 s31, s27, 0
	s_mul_i32 s4, s33, 0x380
	s_mov_b32 s5, 0
	s_cmp_lg_u32 s33, s6
	s_cselect_b64 s[20:21], -1, 0
	s_lshl_b64 s[26:27], s[4:5], 3
	s_add_u32 s6, s7, s26
	s_addc_u32 s7, s8, s27
	s_mov_b64 s[4:5], -1
	s_and_b64 vcc, exec, s[20:21]
	v_lshlrev_b32_e32 v36, 3, v0
	s_barrier
	s_cbranch_vccz .LBB105_6
; %bb.5:
	v_mov_b32_e32 v1, s7
	v_add_co_u32_e32 v10, vcc, s6, v36
	v_addc_co_u32_e32 v1, vcc, 0, v1, vcc
	v_add_co_u32_e32 v10, vcc, 0x1000, v10
	v_addc_co_u32_e32 v11, vcc, 0, v1, vcc
	global_load_dwordx2 v[2:3], v36, s[6:7]
	global_load_dwordx2 v[4:5], v36, s[6:7] offset:1024
	global_load_dwordx2 v[6:7], v36, s[6:7] offset:2048
	;; [unrolled: 1-line block ×3, first 2 shown]
	global_load_dwordx2 v[12:13], v[10:11], off
	global_load_dwordx2 v[14:15], v[10:11], off offset:1024
	global_load_dwordx2 v[16:17], v[10:11], off offset:2048
	s_mov_b64 s[4:5], 0
	s_waitcnt vmcnt(5)
	ds_write2st64_b64 v36, v[2:3], v[4:5] offset1:2
	s_waitcnt vmcnt(3)
	ds_write2st64_b64 v36, v[6:7], v[8:9] offset0:4 offset1:6
	s_waitcnt vmcnt(1)
	ds_write2st64_b64 v36, v[12:13], v[14:15] offset0:8 offset1:10
	s_waitcnt vmcnt(0)
	ds_write_b64 v36, v[16:17] offset:6144
	s_waitcnt lgkmcnt(0)
	s_barrier
.LBB105_6:
	s_andn2_b64 vcc, exec, s[4:5]
	v_cmp_gt_u32_e64 s[4:5], s30, v0
	s_cbranch_vccnz .LBB105_22
; %bb.7:
	v_mov_b32_e32 v1, 0
	global_load_dwordx2 v[2:3], v1, s[6:7]
	s_waitcnt vmcnt(0)
	v_mov_b32_e32 v4, v2
	v_mov_b32_e32 v5, v3
	;; [unrolled: 1-line block ×10, first 2 shown]
	v_pk_mov_b32 v[18:19], v[14:15], v[14:15] op_sel:[0,1]
	v_pk_mov_b32 v[16:17], v[12:13], v[12:13] op_sel:[0,1]
	v_pk_mov_b32 v[14:15], v[10:11], v[10:11] op_sel:[0,1]
	v_pk_mov_b32 v[12:13], v[8:9], v[8:9] op_sel:[0,1]
	v_pk_mov_b32 v[10:11], v[6:7], v[6:7] op_sel:[0,1]
	v_pk_mov_b32 v[8:9], v[4:5], v[4:5] op_sel:[0,1]
	v_pk_mov_b32 v[6:7], v[2:3], v[2:3] op_sel:[0,1]
	v_pk_mov_b32 v[4:5], v[0:1], v[0:1] op_sel:[0,1]
	s_and_saveexec_b64 s[8:9], s[4:5]
	s_cbranch_execz .LBB105_9
; %bb.8:
	global_load_dwordx2 v[20:21], v36, s[6:7]
	v_mov_b32_e32 v4, v2
	v_mov_b32_e32 v5, v3
	;; [unrolled: 1-line block ×10, first 2 shown]
	v_pk_mov_b32 v[18:19], v[14:15], v[14:15] op_sel:[0,1]
	v_pk_mov_b32 v[16:17], v[12:13], v[12:13] op_sel:[0,1]
	;; [unrolled: 1-line block ×8, first 2 shown]
	s_waitcnt vmcnt(0)
	v_pk_mov_b32 v[2:3], v[20:21], v[20:21] op_sel:[0,1]
.LBB105_9:
	s_or_b64 exec, exec, s[8:9]
	v_or_b32_e32 v1, 0x80, v0
	v_cmp_gt_u32_e32 vcc, s30, v1
	s_and_saveexec_b64 s[4:5], vcc
	s_cbranch_execz .LBB105_11
; %bb.10:
	global_load_dwordx2 v[6:7], v36, s[6:7] offset:1024
.LBB105_11:
	s_or_b64 exec, exec, s[4:5]
	v_or_b32_e32 v1, 0x100, v0
	v_cmp_gt_u32_e32 vcc, s30, v1
	s_and_saveexec_b64 s[4:5], vcc
	s_cbranch_execz .LBB105_13
; %bb.12:
	global_load_dwordx2 v[8:9], v36, s[6:7] offset:2048
.LBB105_13:
	;; [unrolled: 8-line block ×3, first 2 shown]
	s_or_b64 exec, exec, s[4:5]
	v_or_b32_e32 v1, 0x200, v0
	v_cmp_gt_u32_e32 vcc, s30, v1
	s_and_saveexec_b64 s[4:5], vcc
	s_cbranch_execz .LBB105_17
; %bb.16:
	v_lshlrev_b32_e32 v1, 3, v1
	global_load_dwordx2 v[12:13], v1, s[6:7]
.LBB105_17:
	s_or_b64 exec, exec, s[4:5]
	v_or_b32_e32 v1, 0x280, v0
	v_cmp_gt_u32_e32 vcc, s30, v1
	s_and_saveexec_b64 s[4:5], vcc
	s_cbranch_execz .LBB105_19
; %bb.18:
	v_lshlrev_b32_e32 v1, 3, v1
	global_load_dwordx2 v[14:15], v1, s[6:7]
.LBB105_19:
	s_or_b64 exec, exec, s[4:5]
	v_or_b32_e32 v1, 0x300, v0
	v_cmp_gt_u32_e32 vcc, s30, v1
	s_and_saveexec_b64 s[4:5], vcc
	s_cbranch_execz .LBB105_21
; %bb.20:
	v_lshlrev_b32_e32 v1, 3, v1
	global_load_dwordx2 v[16:17], v1, s[6:7]
.LBB105_21:
	s_or_b64 exec, exec, s[4:5]
	s_waitcnt vmcnt(0)
	ds_write2st64_b64 v36, v[2:3], v[6:7] offset1:2
	ds_write2st64_b64 v36, v[8:9], v[10:11] offset0:4 offset1:6
	ds_write2st64_b64 v36, v[12:13], v[14:15] offset0:8 offset1:10
	ds_write_b64 v36, v[16:17] offset:6144
	s_waitcnt lgkmcnt(0)
	s_barrier
.LBB105_22:
	v_mul_u32_u24_e32 v37, 7, v0
	v_lshlrev_b32_e32 v1, 3, v37
	ds_read2_b64 v[2:5], v1 offset1:1
	ds_read2_b64 v[10:13], v1 offset0:2 offset1:3
	ds_read2_b64 v[6:9], v1 offset0:4 offset1:5
	ds_read_b64 v[28:29], v1 offset:48
	s_cmp_lg_u32 s33, 0
	v_lshrrev_b32_e32 v38, 5, v0
	v_cmp_gt_u32_e32 vcc, 64, v0
	s_waitcnt lgkmcnt(0)
	s_barrier
	s_cbranch_scc0 .LBB105_53
; %bb.23:
	v_add_co_u32_e64 v1, s[4:5], v4, v2
	v_addc_co_u32_e64 v14, s[4:5], v5, v3, s[4:5]
	v_add_co_u32_e64 v1, s[4:5], v1, v10
	v_addc_co_u32_e64 v14, s[4:5], v14, v11, s[4:5]
	;; [unrolled: 2-line block ×6, first 2 shown]
	v_add_lshl_u32 v1, v38, v0, 3
	ds_write_b64 v1, v[18:19]
	s_waitcnt lgkmcnt(0)
	s_barrier
	s_and_saveexec_b64 s[8:9], vcc
	s_cbranch_execz .LBB105_27
; %bb.24:
	v_lshlrev_b32_e32 v1, 1, v0
	v_lshrrev_b32_e32 v14, 4, v0
	v_add_lshl_u32 v20, v14, v1, 3
	ds_read2_b64 v[14:17], v20 offset1:1
	v_mbcnt_lo_u32_b32 v1, -1, 0
	s_waitcnt lgkmcnt(0)
	v_add_co_u32_e64 v21, s[4:5], v16, v14
	v_addc_co_u32_e64 v22, s[4:5], v17, v15, s[4:5]
	s_nop 0
	v_mov_b32_dpp v16, v21 row_shr:1 row_mask:0xf bank_mask:0xf
	v_add_co_u32_e64 v16, s[4:5], v21, v16
	v_addc_co_u32_e64 v24, s[4:5], 0, v22, s[4:5]
	v_mbcnt_hi_u32_b32 v17, -1, v1
	v_mov_b32_dpp v23, v22 row_shr:1 row_mask:0xf bank_mask:0xf
	v_add_co_u32_e64 v25, s[4:5], 0, v16
	v_and_b32_e32 v1, 15, v17
	v_addc_co_u32_e64 v23, s[4:5], v23, v24, s[4:5]
	v_cmp_eq_u32_e64 s[4:5], 0, v1
	v_cndmask_b32_e64 v16, v16, v21, s[4:5]
	v_cndmask_b32_e64 v23, v23, v22, s[4:5]
	v_cndmask_b32_e64 v24, v25, v21, s[4:5]
	v_mov_b32_dpp v25, v16 row_shr:2 row_mask:0xf bank_mask:0xf
	v_mov_b32_dpp v26, v23 row_shr:2 row_mask:0xf bank_mask:0xf
	v_add_co_u32_e64 v25, s[4:5], v25, v24
	v_addc_co_u32_e64 v26, s[4:5], v26, v23, s[4:5]
	v_cmp_lt_u32_e64 s[4:5], 1, v1
	v_cndmask_b32_e64 v16, v16, v25, s[4:5]
	v_cndmask_b32_e64 v23, v23, v26, s[4:5]
	v_cndmask_b32_e64 v24, v24, v25, s[4:5]
	v_mov_b32_dpp v25, v16 row_shr:4 row_mask:0xf bank_mask:0xf
	v_mov_b32_dpp v26, v23 row_shr:4 row_mask:0xf bank_mask:0xf
	v_add_co_u32_e64 v25, s[4:5], v25, v24
	v_addc_co_u32_e64 v26, s[4:5], v26, v23, s[4:5]
	v_cmp_lt_u32_e64 s[4:5], 3, v1
	;; [unrolled: 8-line block ×3, first 2 shown]
	v_cndmask_b32_e64 v27, v16, v25, s[4:5]
	v_cndmask_b32_e64 v1, v23, v26, s[4:5]
	;; [unrolled: 1-line block ×3, first 2 shown]
	v_mov_b32_dpp v23, v27 row_bcast:15 row_mask:0xf bank_mask:0xf
	v_mov_b32_dpp v24, v1 row_bcast:15 row_mask:0xf bank_mask:0xf
	v_add_co_u32_e64 v23, s[4:5], v23, v16
	v_and_b32_e32 v26, 16, v17
	v_addc_co_u32_e64 v25, s[4:5], v24, v1, s[4:5]
	v_cmp_eq_u32_e64 s[4:5], 0, v26
	v_cndmask_b32_e64 v26, v25, v1, s[4:5]
	v_cndmask_b32_e64 v24, v23, v27, s[4:5]
	v_cmp_ne_u32_e64 s[6:7], 0, v17
	v_mov_b32_dpp v26, v26 row_bcast:31 row_mask:0xf bank_mask:0xf
	v_mov_b32_dpp v24, v24 row_bcast:31 row_mask:0xf bank_mask:0xf
	s_and_saveexec_b64 s[28:29], s[6:7]
; %bb.25:
	v_cndmask_b32_e64 v1, v25, v1, s[4:5]
	v_cndmask_b32_e64 v16, v23, v16, s[4:5]
	v_cmp_lt_u32_e64 s[4:5], 31, v17
	v_cndmask_b32_e64 v21, 0, v24, s[4:5]
	v_cndmask_b32_e64 v22, 0, v26, s[4:5]
	v_add_co_u32_e64 v21, s[4:5], v21, v16
	v_addc_co_u32_e64 v22, s[4:5], v22, v1, s[4:5]
; %bb.26:
	s_or_b64 exec, exec, s[28:29]
	v_add_u32_e32 v1, -1, v17
	v_and_b32_e32 v16, 64, v17
	v_cmp_lt_i32_e64 s[4:5], v1, v16
	v_cndmask_b32_e64 v1, v1, v17, s[4:5]
	v_lshlrev_b32_e32 v1, 2, v1
	ds_bpermute_b32 v16, v1, v21
	ds_bpermute_b32 v1, v1, v22
	; wave barrier
	s_waitcnt lgkmcnt(1)
	v_add_co_u32_e64 v14, s[4:5], v14, v16
	v_addc_co_u32_e64 v15, s[4:5], 0, v15, s[4:5]
	v_add_co_u32_e64 v14, s[4:5], 0, v14
	s_waitcnt lgkmcnt(0)
	v_addc_co_u32_e64 v1, s[4:5], v15, v1, s[4:5]
	v_cndmask_b32_e64 v15, v1, v19, s[2:3]
	v_cndmask_b32_e64 v14, v14, v18, s[2:3]
	ds_write_b64 v20, v[14:15]
	; wave barrier
	ds_read_b64 v[16:17], v20 offset:8
	s_waitcnt lgkmcnt(0)
	v_add_co_u32_e64 v14, s[4:5], v16, v14
	v_addc_co_u32_e64 v15, s[4:5], v17, v15, s[4:5]
	ds_write_b64 v20, v[14:15] offset:8
.LBB105_27:
	s_or_b64 exec, exec, s[8:9]
	v_pk_mov_b32 v[22:23], 0, 0
	s_waitcnt lgkmcnt(0)
	s_barrier
	s_and_saveexec_b64 s[4:5], s[0:1]
	s_cbranch_execz .LBB105_29
; %bb.28:
	v_add_u32_e32 v1, -1, v0
	v_lshrrev_b32_e32 v14, 5, v1
	v_add_lshl_u32 v1, v14, v1, 3
	ds_read_b64 v[22:23], v1
.LBB105_29:
	s_or_b64 exec, exec, s[4:5]
	s_and_saveexec_b64 s[28:29], vcc
	s_cbranch_execz .LBB105_52
; %bb.30:
	v_mov_b32_e32 v17, 0
	ds_read_b64 v[14:15], v17 offset:1040
	v_mbcnt_lo_u32_b32 v1, -1, 0
	v_mbcnt_hi_u32_b32 v30, -1, v1
	s_mov_b32 s9, 0
	v_cmp_eq_u32_e64 s[4:5], 0, v30
	s_and_saveexec_b64 s[6:7], s[4:5]
	s_cbranch_execz .LBB105_32
; %bb.31:
	s_add_i32 s8, s33, 64
	s_lshl_b64 s[8:9], s[8:9], 4
	s_add_u32 s8, s10, s8
	s_addc_u32 s9, s11, s9
	v_mov_b32_e32 v16, 1
	v_pk_mov_b32 v[18:19], s[8:9], s[8:9] op_sel:[0,1]
	s_waitcnt lgkmcnt(0)
	;;#ASMSTART
	global_store_dwordx4 v[18:19], v[14:17] off	
s_waitcnt vmcnt(0)
	;;#ASMEND
.LBB105_32:
	s_or_b64 exec, exec, s[6:7]
	v_xad_u32 v24, v30, -1, s33
	v_add_u32_e32 v16, 64, v24
	v_lshlrev_b64 v[18:19], 4, v[16:17]
	v_mov_b32_e32 v1, s11
	v_add_co_u32_e32 v26, vcc, s10, v18
	v_addc_co_u32_e32 v27, vcc, v1, v19, vcc
	;;#ASMSTART
	global_load_dwordx4 v[18:21], v[26:27] off glc	
s_waitcnt vmcnt(0)
	;;#ASMEND
	v_and_b32_e32 v1, 0xff, v19
	v_and_b32_e32 v16, 0xff00, v19
	v_or3_b32 v1, 0, v1, v16
	v_or3_b32 v16, v18, 0, 0
	v_and_b32_e32 v18, 0xff000000, v19
	v_and_b32_e32 v19, 0xff0000, v19
	v_or3_b32 v19, v1, v19, v18
	v_or3_b32 v18, v16, 0, 0
	v_cmp_eq_u16_sdwa s[8:9], v20, v17 src0_sel:BYTE_0 src1_sel:DWORD
	s_and_saveexec_b64 s[6:7], s[8:9]
	s_cbranch_execz .LBB105_38
; %bb.33:
	s_mov_b32 s34, 1
	s_mov_b64 s[8:9], 0
	v_mov_b32_e32 v1, 0
.LBB105_34:                             ; =>This Loop Header: Depth=1
                                        ;     Child Loop BB105_35 Depth 2
	s_max_u32 s35, s34, 1
.LBB105_35:                             ;   Parent Loop BB105_34 Depth=1
                                        ; =>  This Inner Loop Header: Depth=2
	s_add_i32 s35, s35, -1
	s_cmp_eq_u32 s35, 0
	s_sleep 1
	s_cbranch_scc0 .LBB105_35
; %bb.36:                               ;   in Loop: Header=BB105_34 Depth=1
	s_cmp_lt_u32 s34, 32
	s_cselect_b64 s[36:37], -1, 0
	s_cmp_lg_u64 s[36:37], 0
	s_addc_u32 s34, s34, 0
	;;#ASMSTART
	global_load_dwordx4 v[18:21], v[26:27] off glc	
s_waitcnt vmcnt(0)
	;;#ASMEND
	v_cmp_ne_u16_sdwa s[36:37], v20, v1 src0_sel:BYTE_0 src1_sel:DWORD
	s_or_b64 s[8:9], s[36:37], s[8:9]
	s_andn2_b64 exec, exec, s[8:9]
	s_cbranch_execnz .LBB105_34
; %bb.37:
	s_or_b64 exec, exec, s[8:9]
.LBB105_38:
	s_or_b64 exec, exec, s[6:7]
	v_and_b32_e32 v32, 63, v30
	v_cmp_ne_u32_e32 vcc, 63, v32
	v_addc_co_u32_e32 v26, vcc, 0, v30, vcc
	v_lshlrev_b32_e32 v33, 2, v26
	ds_bpermute_b32 v26, v33, v18
	v_mov_b32_e32 v1, 2
	v_cmp_eq_u16_sdwa s[6:7], v20, v1 src0_sel:BYTE_0 src1_sel:DWORD
	v_lshlrev_b64 v[16:17], v30, -1
	ds_bpermute_b32 v27, v33, v19
	v_and_b32_e32 v21, s7, v17
	v_or_b32_e32 v21, 0x80000000, v21
	s_waitcnt lgkmcnt(1)
	v_add_co_u32_e32 v26, vcc, v18, v26
	v_and_b32_e32 v25, s6, v16
	v_ffbl_b32_e32 v21, v21
	v_addc_co_u32_e32 v31, vcc, 0, v19, vcc
	v_add_u32_e32 v21, 32, v21
	v_ffbl_b32_e32 v25, v25
	v_add_co_u32_e32 v35, vcc, 0, v26
	v_cmp_gt_u32_e64 s[6:7], 62, v32
	v_min_u32_e32 v21, v25, v21
	s_waitcnt lgkmcnt(0)
	v_addc_co_u32_e32 v27, vcc, v27, v31, vcc
	v_cndmask_b32_e64 v31, 0, 1, s[6:7]
	v_cmp_lt_u32_e32 vcc, v32, v21
	v_lshlrev_b32_e32 v31, 1, v31
	v_cndmask_b32_e32 v26, v18, v26, vcc
	v_add_lshl_u32 v34, v31, v30, 2
	v_cndmask_b32_e32 v27, v19, v27, vcc
	ds_bpermute_b32 v31, v34, v26
	ds_bpermute_b32 v39, v34, v27
	v_cndmask_b32_e32 v40, v18, v35, vcc
	v_add_u32_e32 v35, 2, v32
	v_cmp_gt_u32_e64 s[8:9], 60, v32
	s_waitcnt lgkmcnt(1)
	v_add_co_u32_e64 v31, s[6:7], v31, v40
	s_waitcnt lgkmcnt(0)
	v_addc_co_u32_e64 v39, s[6:7], v39, v27, s[6:7]
	v_cmp_gt_u32_e64 s[6:7], v35, v21
	v_cndmask_b32_e64 v27, v39, v27, s[6:7]
	v_cndmask_b32_e64 v39, 0, 1, s[8:9]
	v_lshlrev_b32_e32 v39, 2, v39
	v_cndmask_b32_e64 v26, v31, v26, s[6:7]
	v_add_lshl_u32 v39, v39, v30, 2
	ds_bpermute_b32 v41, v39, v26
	ds_bpermute_b32 v42, v39, v27
	v_cndmask_b32_e64 v31, v31, v40, s[6:7]
	v_add_u32_e32 v40, 4, v32
	v_cmp_gt_u32_e64 s[8:9], 56, v32
	s_waitcnt lgkmcnt(1)
	v_add_co_u32_e64 v43, s[6:7], v41, v31
	s_waitcnt lgkmcnt(0)
	v_addc_co_u32_e64 v41, s[6:7], v42, v27, s[6:7]
	v_cmp_gt_u32_e64 s[6:7], v40, v21
	v_cndmask_b32_e64 v27, v41, v27, s[6:7]
	v_cndmask_b32_e64 v41, 0, 1, s[8:9]
	v_lshlrev_b32_e32 v41, 3, v41
	v_cndmask_b32_e64 v26, v43, v26, s[6:7]
	v_add_lshl_u32 v41, v41, v30, 2
	ds_bpermute_b32 v44, v41, v26
	v_cndmask_b32_e64 v31, v43, v31, s[6:7]
	ds_bpermute_b32 v43, v41, v27
	v_add_u32_e32 v42, 8, v32
	v_cmp_gt_u32_e64 s[8:9], 48, v32
	s_waitcnt lgkmcnt(1)
	v_add_co_u32_e64 v44, s[6:7], v44, v31
	s_waitcnt lgkmcnt(0)
	v_addc_co_u32_e64 v43, s[6:7], v43, v27, s[6:7]
	v_cmp_gt_u32_e64 s[6:7], v42, v21
	v_cndmask_b32_e64 v27, v43, v27, s[6:7]
	v_cndmask_b32_e64 v43, 0, 1, s[8:9]
	v_lshlrev_b32_e32 v43, 4, v43
	v_cndmask_b32_e64 v26, v44, v26, s[6:7]
	v_add_lshl_u32 v43, v43, v30, 2
	ds_bpermute_b32 v45, v43, v26
	ds_bpermute_b32 v46, v43, v27
	v_cndmask_b32_e64 v31, v44, v31, s[6:7]
	v_cmp_gt_u32_e64 s[8:9], 32, v32
	v_add_u32_e32 v44, 16, v32
	s_waitcnt lgkmcnt(1)
	v_add_co_u32_e64 v47, s[6:7], v45, v31
	s_waitcnt lgkmcnt(0)
	v_addc_co_u32_e64 v46, s[6:7], v46, v27, s[6:7]
	v_cndmask_b32_e64 v45, 0, 1, s[8:9]
	v_cmp_gt_u32_e64 s[6:7], v44, v21
	v_lshlrev_b32_e32 v45, 5, v45
	v_cndmask_b32_e64 v26, v47, v26, s[6:7]
	v_add_lshl_u32 v45, v45, v30, 2
	v_cndmask_b32_e64 v27, v46, v27, s[6:7]
	ds_bpermute_b32 v26, v45, v26
	ds_bpermute_b32 v30, v45, v27
	v_add_u32_e32 v46, 32, v32
	v_cndmask_b32_e64 v31, v47, v31, s[6:7]
	v_cmp_le_u32_e64 s[6:7], v46, v21
	s_waitcnt lgkmcnt(1)
	v_cndmask_b32_e64 v26, 0, v26, s[6:7]
	s_waitcnt lgkmcnt(0)
	v_cndmask_b32_e64 v21, 0, v30, s[6:7]
	v_add_co_u32_e64 v26, s[6:7], v26, v31
	v_addc_co_u32_e64 v21, s[6:7], v21, v27, s[6:7]
	v_mov_b32_e32 v25, 0
	v_cndmask_b32_e32 v19, v19, v21, vcc
	v_cndmask_b32_e32 v18, v18, v26, vcc
	s_branch .LBB105_40
.LBB105_39:                             ;   in Loop: Header=BB105_40 Depth=1
	s_or_b64 exec, exec, s[6:7]
	v_cmp_eq_u16_sdwa s[6:7], v20, v1 src0_sel:BYTE_0 src1_sel:DWORD
	v_and_b32_e32 v21, s7, v17
	v_or_b32_e32 v21, 0x80000000, v21
	ds_bpermute_b32 v31, v33, v18
	v_and_b32_e32 v30, s6, v16
	v_ffbl_b32_e32 v21, v21
	v_add_u32_e32 v21, 32, v21
	v_ffbl_b32_e32 v30, v30
	v_min_u32_e32 v21, v30, v21
	ds_bpermute_b32 v30, v33, v19
	s_waitcnt lgkmcnt(1)
	v_add_co_u32_e32 v31, vcc, v18, v31
	v_addc_co_u32_e32 v47, vcc, 0, v19, vcc
	v_add_co_u32_e32 v48, vcc, 0, v31
	s_waitcnt lgkmcnt(0)
	v_addc_co_u32_e32 v30, vcc, v30, v47, vcc
	v_cmp_lt_u32_e32 vcc, v32, v21
	v_cndmask_b32_e32 v31, v18, v31, vcc
	ds_bpermute_b32 v47, v34, v31
	v_cndmask_b32_e32 v30, v19, v30, vcc
	ds_bpermute_b32 v49, v34, v30
	v_cndmask_b32_e32 v48, v18, v48, vcc
	v_subrev_u32_e32 v24, 64, v24
	s_waitcnt lgkmcnt(1)
	v_add_co_u32_e64 v47, s[6:7], v47, v48
	s_waitcnt lgkmcnt(0)
	v_addc_co_u32_e64 v49, s[6:7], v49, v30, s[6:7]
	v_cmp_gt_u32_e64 s[6:7], v35, v21
	v_cndmask_b32_e64 v31, v47, v31, s[6:7]
	ds_bpermute_b32 v50, v39, v31
	v_cndmask_b32_e64 v30, v49, v30, s[6:7]
	ds_bpermute_b32 v49, v39, v30
	v_cndmask_b32_e64 v47, v47, v48, s[6:7]
	s_waitcnt lgkmcnt(1)
	v_add_co_u32_e64 v48, s[6:7], v50, v47
	s_waitcnt lgkmcnt(0)
	v_addc_co_u32_e64 v49, s[6:7], v49, v30, s[6:7]
	v_cmp_gt_u32_e64 s[6:7], v40, v21
	v_cndmask_b32_e64 v31, v48, v31, s[6:7]
	ds_bpermute_b32 v50, v41, v31
	v_cndmask_b32_e64 v30, v49, v30, s[6:7]
	ds_bpermute_b32 v49, v41, v30
	v_cndmask_b32_e64 v47, v48, v47, s[6:7]
	;; [unrolled: 10-line block ×3, first 2 shown]
	s_waitcnt lgkmcnt(1)
	v_add_co_u32_e64 v48, s[6:7], v50, v47
	s_waitcnt lgkmcnt(0)
	v_addc_co_u32_e64 v49, s[6:7], v49, v30, s[6:7]
	v_cmp_gt_u32_e64 s[6:7], v44, v21
	v_cndmask_b32_e64 v31, v48, v31, s[6:7]
	v_cndmask_b32_e64 v30, v49, v30, s[6:7]
	ds_bpermute_b32 v31, v45, v31
	ds_bpermute_b32 v49, v45, v30
	v_cndmask_b32_e64 v47, v48, v47, s[6:7]
	v_cmp_le_u32_e64 s[6:7], v46, v21
	s_waitcnt lgkmcnt(1)
	v_cndmask_b32_e64 v31, 0, v31, s[6:7]
	s_waitcnt lgkmcnt(0)
	v_cndmask_b32_e64 v21, 0, v49, s[6:7]
	v_add_co_u32_e64 v31, s[6:7], v31, v47
	v_addc_co_u32_e64 v21, s[6:7], v21, v30, s[6:7]
	v_cndmask_b32_e32 v18, v18, v31, vcc
	v_cndmask_b32_e32 v19, v19, v21, vcc
	v_add_co_u32_e32 v18, vcc, v18, v26
	v_addc_co_u32_e32 v19, vcc, v19, v27, vcc
.LBB105_40:                             ; =>This Loop Header: Depth=1
                                        ;     Child Loop BB105_43 Depth 2
                                        ;       Child Loop BB105_44 Depth 3
	v_cmp_ne_u16_sdwa s[6:7], v20, v1 src0_sel:BYTE_0 src1_sel:DWORD
	v_cndmask_b32_e64 v20, 0, 1, s[6:7]
	;;#ASMSTART
	;;#ASMEND
	v_cmp_ne_u32_e32 vcc, 0, v20
	s_cmp_lg_u64 vcc, exec
	v_pk_mov_b32 v[26:27], v[18:19], v[18:19] op_sel:[0,1]
	s_cbranch_scc1 .LBB105_47
; %bb.41:                               ;   in Loop: Header=BB105_40 Depth=1
	v_lshlrev_b64 v[18:19], 4, v[24:25]
	v_mov_b32_e32 v20, s11
	v_add_co_u32_e32 v30, vcc, s10, v18
	v_addc_co_u32_e32 v31, vcc, v20, v19, vcc
	;;#ASMSTART
	global_load_dwordx4 v[18:21], v[30:31] off glc	
s_waitcnt vmcnt(0)
	;;#ASMEND
	v_and_b32_e32 v21, 0xff, v19
	v_and_b32_e32 v47, 0xff00, v19
	v_or3_b32 v21, 0, v21, v47
	v_or3_b32 v18, v18, 0, 0
	v_and_b32_e32 v47, 0xff000000, v19
	v_and_b32_e32 v19, 0xff0000, v19
	v_or3_b32 v19, v21, v19, v47
	v_or3_b32 v18, v18, 0, 0
	v_cmp_eq_u16_sdwa s[8:9], v20, v25 src0_sel:BYTE_0 src1_sel:DWORD
	s_and_saveexec_b64 s[6:7], s[8:9]
	s_cbranch_execz .LBB105_39
; %bb.42:                               ;   in Loop: Header=BB105_40 Depth=1
	s_mov_b32 s34, 1
	s_mov_b64 s[8:9], 0
.LBB105_43:                             ;   Parent Loop BB105_40 Depth=1
                                        ; =>  This Loop Header: Depth=2
                                        ;       Child Loop BB105_44 Depth 3
	s_max_u32 s35, s34, 1
.LBB105_44:                             ;   Parent Loop BB105_40 Depth=1
                                        ;     Parent Loop BB105_43 Depth=2
                                        ; =>    This Inner Loop Header: Depth=3
	s_add_i32 s35, s35, -1
	s_cmp_eq_u32 s35, 0
	s_sleep 1
	s_cbranch_scc0 .LBB105_44
; %bb.45:                               ;   in Loop: Header=BB105_43 Depth=2
	s_cmp_lt_u32 s34, 32
	s_cselect_b64 s[36:37], -1, 0
	s_cmp_lg_u64 s[36:37], 0
	s_addc_u32 s34, s34, 0
	;;#ASMSTART
	global_load_dwordx4 v[18:21], v[30:31] off glc	
s_waitcnt vmcnt(0)
	;;#ASMEND
	v_cmp_ne_u16_sdwa s[36:37], v20, v25 src0_sel:BYTE_0 src1_sel:DWORD
	s_or_b64 s[8:9], s[36:37], s[8:9]
	s_andn2_b64 exec, exec, s[8:9]
	s_cbranch_execnz .LBB105_43
; %bb.46:                               ;   in Loop: Header=BB105_40 Depth=1
	s_or_b64 exec, exec, s[8:9]
	s_branch .LBB105_39
.LBB105_47:                             ;   in Loop: Header=BB105_40 Depth=1
                                        ; implicit-def: $vgpr18_vgpr19
                                        ; implicit-def: $vgpr20
	s_cbranch_execz .LBB105_40
; %bb.48:
	s_and_saveexec_b64 s[6:7], s[4:5]
	s_cbranch_execz .LBB105_50
; %bb.49:
	s_add_i32 s4, s33, 64
	s_mov_b32 s5, 0
	s_lshl_b64 s[4:5], s[4:5], 4
	s_add_u32 s4, s10, s4
	v_add_co_u32_e32 v14, vcc, v26, v14
	s_addc_u32 s5, s11, s5
	v_addc_co_u32_e32 v15, vcc, v27, v15, vcc
	v_mov_b32_e32 v16, 2
	v_mov_b32_e32 v17, 0
	v_pk_mov_b32 v[18:19], s[4:5], s[4:5] op_sel:[0,1]
	;;#ASMSTART
	global_store_dwordx4 v[18:19], v[14:17] off	
s_waitcnt vmcnt(0)
	;;#ASMEND
.LBB105_50:
	s_or_b64 exec, exec, s[6:7]
	s_and_b64 exec, exec, s[2:3]
	s_cbranch_execz .LBB105_52
; %bb.51:
	v_mov_b32_e32 v1, 0
	ds_write_b64 v1, v[26:27]
.LBB105_52:
	s_or_b64 exec, exec, s[28:29]
	v_mov_b32_e32 v1, 0
	s_waitcnt lgkmcnt(0)
	s_barrier
	ds_read_b64 v[14:15], v1
	v_add_co_u32_e32 v1, vcc, v22, v2
	v_addc_co_u32_e32 v16, vcc, v23, v3, vcc
	s_waitcnt lgkmcnt(0)
	v_add_co_u32_e32 v24, vcc, v1, v14
	v_addc_co_u32_e32 v25, vcc, v16, v15, vcc
	v_add_co_u32_e32 v30, vcc, v24, v4
	v_addc_co_u32_e32 v31, vcc, v25, v5, vcc
	;; [unrolled: 2-line block ×7, first 2 shown]
	s_branch .LBB105_67
.LBB105_53:
                                        ; implicit-def: $vgpr22_vgpr23
                                        ; implicit-def: $vgpr34_vgpr35
                                        ; implicit-def: $vgpr32_vgpr33
                                        ; implicit-def: $vgpr30_vgpr31
                                        ; implicit-def: $vgpr18_vgpr19_vgpr20_vgpr21
                                        ; implicit-def: $vgpr14_vgpr15_vgpr16_vgpr17
                                        ; implicit-def: $vgpr24_vgpr25_vgpr26_vgpr27
	s_cbranch_execz .LBB105_67
; %bb.54:
	s_cmp_lg_u64 s[16:17], 0
	s_cselect_b64 s[4:5], -1, 0
	s_and_b64 s[6:7], s[2:3], s[4:5]
	s_and_saveexec_b64 s[4:5], s[6:7]
	s_cbranch_execz .LBB105_56
; %bb.55:
	v_mov_b32_e32 v1, 0
	global_load_dwordx2 v[14:15], v1, s[12:13]
	s_waitcnt vmcnt(0)
	v_add_co_u32_e32 v2, vcc, v14, v2
	v_addc_co_u32_e32 v3, vcc, v15, v3, vcc
.LBB105_56:
	s_or_b64 exec, exec, s[4:5]
	v_add_co_u32_e32 v30, vcc, v4, v2
	v_addc_co_u32_e32 v31, vcc, v5, v3, vcc
	v_add_co_u32_e32 v14, vcc, v30, v10
	v_addc_co_u32_e32 v15, vcc, v31, v11, vcc
	;; [unrolled: 2-line block ×6, first 2 shown]
	v_add_lshl_u32 v1, v38, v0, 3
	v_cmp_gt_u32_e32 vcc, 64, v0
	ds_write_b64 v1, v[22:23]
	s_waitcnt lgkmcnt(0)
	s_barrier
	s_and_saveexec_b64 s[6:7], vcc
	s_cbranch_execz .LBB105_60
; %bb.57:
	v_lshlrev_b32_e32 v1, 1, v0
	v_lshrrev_b32_e32 v16, 4, v0
	v_add_lshl_u32 v17, v16, v1, 3
	ds_read2_b64 v[24:27], v17 offset1:1
	v_mbcnt_lo_u32_b32 v1, -1, 0
	v_mbcnt_hi_u32_b32 v20, -1, v1
	v_and_b32_e32 v1, 15, v20
	v_cmp_ne_u32_e64 s[4:5], 0, v20
	s_waitcnt lgkmcnt(0)
	v_add_co_u32_e32 v21, vcc, v26, v24
	v_addc_co_u32_e32 v26, vcc, v27, v25, vcc
	s_nop 0
	v_mov_b32_dpp v16, v21 row_shr:1 row_mask:0xf bank_mask:0xf
	v_add_co_u32_e32 v16, vcc, v21, v16
	v_addc_co_u32_e32 v38, vcc, 0, v26, vcc
	v_mov_b32_dpp v27, v26 row_shr:1 row_mask:0xf bank_mask:0xf
	v_add_co_u32_e32 v39, vcc, 0, v16
	v_addc_co_u32_e32 v27, vcc, v27, v38, vcc
	v_cmp_eq_u32_e32 vcc, 0, v1
	v_cndmask_b32_e32 v16, v16, v21, vcc
	v_cndmask_b32_e32 v27, v27, v26, vcc
	v_cndmask_b32_e32 v38, v39, v21, vcc
	v_mov_b32_dpp v39, v16 row_shr:2 row_mask:0xf bank_mask:0xf
	v_mov_b32_dpp v40, v27 row_shr:2 row_mask:0xf bank_mask:0xf
	v_add_co_u32_e32 v39, vcc, v39, v38
	v_addc_co_u32_e32 v40, vcc, v40, v27, vcc
	v_cmp_lt_u32_e32 vcc, 1, v1
	v_cndmask_b32_e32 v16, v16, v39, vcc
	v_cndmask_b32_e32 v27, v27, v40, vcc
	v_cndmask_b32_e32 v38, v38, v39, vcc
	v_mov_b32_dpp v39, v16 row_shr:4 row_mask:0xf bank_mask:0xf
	v_mov_b32_dpp v40, v27 row_shr:4 row_mask:0xf bank_mask:0xf
	v_add_co_u32_e32 v39, vcc, v39, v38
	v_addc_co_u32_e32 v40, vcc, v40, v27, vcc
	v_cmp_lt_u32_e32 vcc, 3, v1
	;; [unrolled: 8-line block ×3, first 2 shown]
	v_cndmask_b32_e32 v41, v16, v39, vcc
	v_cndmask_b32_e32 v1, v27, v40, vcc
	;; [unrolled: 1-line block ×3, first 2 shown]
	v_mov_b32_dpp v27, v41 row_bcast:15 row_mask:0xf bank_mask:0xf
	v_mov_b32_dpp v38, v1 row_bcast:15 row_mask:0xf bank_mask:0xf
	v_add_co_u32_e32 v27, vcc, v27, v16
	v_and_b32_e32 v40, 16, v20
	v_addc_co_u32_e32 v39, vcc, v38, v1, vcc
	v_cmp_eq_u32_e32 vcc, 0, v40
	v_cndmask_b32_e32 v40, v39, v1, vcc
	v_cndmask_b32_e32 v38, v27, v41, vcc
	s_nop 0
	v_mov_b32_dpp v40, v40 row_bcast:31 row_mask:0xf bank_mask:0xf
	v_mov_b32_dpp v38, v38 row_bcast:31 row_mask:0xf bank_mask:0xf
	s_and_saveexec_b64 s[8:9], s[4:5]
; %bb.58:
	v_cndmask_b32_e32 v1, v39, v1, vcc
	v_cndmask_b32_e32 v16, v27, v16, vcc
	v_cmp_lt_u32_e32 vcc, 31, v20
	v_cndmask_b32_e32 v21, 0, v38, vcc
	v_cndmask_b32_e32 v26, 0, v40, vcc
	v_add_co_u32_e32 v21, vcc, v21, v16
	v_addc_co_u32_e32 v26, vcc, v26, v1, vcc
; %bb.59:
	s_or_b64 exec, exec, s[8:9]
	v_add_u32_e32 v1, -1, v20
	v_and_b32_e32 v16, 64, v20
	v_cmp_lt_i32_e32 vcc, v1, v16
	v_cndmask_b32_e32 v1, v1, v20, vcc
	v_lshlrev_b32_e32 v1, 2, v1
	ds_bpermute_b32 v16, v1, v21
	ds_bpermute_b32 v1, v1, v26
	; wave barrier
	s_waitcnt lgkmcnt(1)
	v_add_co_u32_e32 v16, vcc, v24, v16
	v_addc_co_u32_e32 v20, vcc, 0, v25, vcc
	v_add_co_u32_e32 v16, vcc, 0, v16
	s_waitcnt lgkmcnt(0)
	v_addc_co_u32_e32 v1, vcc, v20, v1, vcc
	v_cndmask_b32_e64 v21, v1, v23, s[2:3]
	v_cndmask_b32_e64 v20, v16, v22, s[2:3]
	ds_write_b64 v17, v[20:21]
	; wave barrier
	ds_read_b64 v[24:25], v17 offset:8
	s_waitcnt lgkmcnt(0)
	v_add_co_u32_e32 v20, vcc, v24, v20
	v_addc_co_u32_e32 v21, vcc, v25, v21, vcc
	ds_write_b64 v17, v[20:21] offset:8
.LBB105_60:
	s_or_b64 exec, exec, s[6:7]
	v_pk_mov_b32 v[16:17], v[22:23], v[22:23] op_sel:[0,1]
	s_waitcnt lgkmcnt(0)
	s_barrier
	s_and_saveexec_b64 s[2:3], s[0:1]
	s_cbranch_execz .LBB105_62
; %bb.61:
	v_add_u32_e32 v1, -1, v0
	v_lshrrev_b32_e32 v16, 5, v1
	v_add_lshl_u32 v1, v16, v1, 3
	ds_read_b64 v[16:17], v1
.LBB105_62:
	s_or_b64 exec, exec, s[2:3]
	s_and_saveexec_b64 s[2:3], s[0:1]
	s_cbranch_execz .LBB105_64
; %bb.63:
	s_waitcnt lgkmcnt(0)
	v_add_co_u32_e32 v2, vcc, v16, v2
	v_addc_co_u32_e32 v3, vcc, v17, v3, vcc
	v_add_co_u32_e32 v30, vcc, v2, v4
	v_addc_co_u32_e32 v31, vcc, v3, v5, vcc
	;; [unrolled: 2-line block ×7, first 2 shown]
	;;#ASMSTART
	;;#ASMEND
.LBB105_64:
	s_or_b64 exec, exec, s[2:3]
	s_movk_i32 s0, 0x7f
	v_cmp_eq_u32_e32 vcc, s0, v0
	s_and_saveexec_b64 s[0:1], vcc
	s_cbranch_execz .LBB105_66
; %bb.65:
	s_add_u32 s2, s10, 0x400
	s_addc_u32 s3, s11, 0
	v_mov_b32_e32 v24, 2
	v_mov_b32_e32 v25, 0
	v_pk_mov_b32 v[4:5], s[2:3], s[2:3] op_sel:[0,1]
	;;#ASMSTART
	global_store_dwordx4 v[4:5], v[22:25] off	
s_waitcnt vmcnt(0)
	;;#ASMEND
.LBB105_66:
	s_or_b64 exec, exec, s[0:1]
	v_pk_mov_b32 v[24:25], v[2:3], v[2:3] op_sel:[0,1]
.LBB105_67:
	s_add_u32 s0, s24, s22
	s_addc_u32 s1, s25, s23
	s_add_u32 s0, s0, s26
	s_addc_u32 s1, s1, s27
	s_mov_b64 s[2:3], -1
	s_and_b64 vcc, exec, s[20:21]
	v_mul_u32_u24_e32 v1, 56, v0
	s_waitcnt lgkmcnt(0)
	s_barrier
	s_cbranch_vccz .LBB105_69
; %bb.68:
	v_mul_i32_i24_e32 v2, 0xffffffd0, v0
	v_mad_u32_u24 v16, v0, 56, v2
	ds_write2_b64 v1, v[24:25], v[30:31] offset1:1
	ds_write2_b64 v1, v[14:15], v[32:33] offset0:2 offset1:3
	ds_write2_b64 v1, v[18:19], v[34:35] offset0:4 offset1:5
	ds_write_b64 v1, v[22:23] offset:48
	s_waitcnt lgkmcnt(0)
	s_barrier
	ds_read2st64_b64 v[2:5], v16 offset1:2
	ds_read2st64_b64 v[6:9], v16 offset0:4 offset1:6
	ds_read2st64_b64 v[10:13], v16 offset0:8 offset1:10
	ds_read_b64 v[16:17], v16 offset:6144
	v_mov_b32_e32 v20, s1
	v_add_co_u32_e32 v21, vcc, s0, v36
	v_addc_co_u32_e32 v20, vcc, 0, v20, vcc
	s_waitcnt lgkmcnt(3)
	global_store_dwordx2 v36, v[2:3], s[0:1]
	global_store_dwordx2 v36, v[4:5], s[0:1] offset:1024
	s_waitcnt lgkmcnt(2)
	global_store_dwordx2 v36, v[6:7], s[0:1] offset:2048
	global_store_dwordx2 v36, v[8:9], s[0:1] offset:3072
	v_add_co_u32_e32 v2, vcc, 0x1000, v21
	v_addc_co_u32_e32 v3, vcc, 0, v20, vcc
	s_waitcnt lgkmcnt(1)
	global_store_dwordx2 v[2:3], v[10:11], off
	global_store_dwordx2 v[2:3], v[12:13], off offset:1024
	s_waitcnt lgkmcnt(0)
	global_store_dwordx2 v[2:3], v[16:17], off offset:2048
	s_mov_b64 s[2:3], 0
.LBB105_69:
	s_andn2_b64 vcc, exec, s[2:3]
	s_cbranch_vccnz .LBB105_108
; %bb.70:
	v_mul_i32_i24_e32 v2, 0xffffffd0, v0
	ds_write2_b64 v1, v[24:25], v[30:31] offset1:1
	ds_write2_b64 v1, v[14:15], v[32:33] offset0:2 offset1:3
	ds_write2_b64 v1, v[18:19], v[34:35] offset0:4 offset1:5
	ds_write_b64 v1, v[22:23] offset:48
	v_mad_u32_u24 v14, v0, 56, v2
	s_waitcnt lgkmcnt(0)
	s_barrier
	ds_read2st64_b64 v[2:5], v14 offset1:2
	ds_read2st64_b64 v[6:9], v14 offset0:4 offset1:6
	ds_read2st64_b64 v[10:13], v14 offset0:8 offset1:10
	ds_read_b64 v[14:15], v14 offset:6144
	v_mov_b32_e32 v17, s1
	v_add_co_u32_e32 v16, vcc, s0, v36
	v_addc_co_u32_e32 v17, vcc, 0, v17, vcc
	v_mov_b32_e32 v1, 0
	v_cmp_gt_u32_e32 vcc, s30, v0
	s_and_saveexec_b64 s[0:1], vcc
	s_cbranch_execz .LBB105_72
; %bb.71:
	s_waitcnt lgkmcnt(3)
	global_store_dwordx2 v[16:17], v[2:3], off
.LBB105_72:
	s_or_b64 exec, exec, s[0:1]
	v_or_b32_e32 v18, 0x80, v0
	v_cmp_gt_u32_e32 vcc, s30, v18
	s_and_saveexec_b64 s[0:1], vcc
	s_cbranch_execz .LBB105_74
; %bb.73:
	s_waitcnt lgkmcnt(3)
	global_store_dwordx2 v[16:17], v[4:5], off offset:1024
.LBB105_74:
	s_or_b64 exec, exec, s[0:1]
	v_or_b32_e32 v18, 0x100, v0
	v_cmp_gt_u32_e32 vcc, s30, v18
	s_and_saveexec_b64 s[0:1], vcc
	s_cbranch_execz .LBB105_76
; %bb.75:
	s_waitcnt lgkmcnt(2)
	global_store_dwordx2 v[16:17], v[6:7], off offset:2048
.LBB105_76:
	;; [unrolled: 9-line block ×3, first 2 shown]
	s_or_b64 exec, exec, s[0:1]
	v_or_b32_e32 v18, 0x200, v0
	v_cmp_gt_u32_e32 vcc, s30, v18
	s_and_saveexec_b64 s[0:1], vcc
	s_cbranch_execz .LBB105_80
; %bb.79:
	v_add_co_u32_e32 v18, vcc, 0x1000, v16
	v_addc_co_u32_e32 v19, vcc, 0, v17, vcc
	s_waitcnt lgkmcnt(1)
	global_store_dwordx2 v[18:19], v[10:11], off
.LBB105_80:
	s_or_b64 exec, exec, s[0:1]
	v_or_b32_e32 v18, 0x280, v0
	v_cmp_gt_u32_e32 vcc, s30, v18
	s_and_saveexec_b64 s[0:1], vcc
	s_cbranch_execz .LBB105_82
; %bb.81:
	v_add_co_u32_e32 v18, vcc, 0x1000, v16
	v_addc_co_u32_e32 v19, vcc, 0, v17, vcc
	s_waitcnt lgkmcnt(1)
	global_store_dwordx2 v[18:19], v[12:13], off offset:1024
.LBB105_82:
	s_or_b64 exec, exec, s[0:1]
	v_or_b32_e32 v18, 0x300, v0
	v_cmp_gt_u32_e32 vcc, s30, v18
	s_and_saveexec_b64 s[0:1], vcc
	s_cbranch_execz .LBB105_84
; %bb.83:
	v_add_co_u32_e32 v16, vcc, 0x1000, v16
	v_addc_co_u32_e32 v17, vcc, 0, v17, vcc
	s_waitcnt lgkmcnt(0)
	global_store_dwordx2 v[16:17], v[14:15], off offset:2048
.LBB105_84:
	s_or_b64 exec, exec, s[0:1]
	v_cmp_lt_u64_e64 s[0:1], s[18:19], 2
	s_and_b64 vcc, exec, s[0:1]
	s_cbranch_vccnz .LBB105_108
; %bb.85:
	s_add_u32 s0, s30, -1
	s_addc_u32 s1, s31, -1
	s_add_u32 s2, 0, 0x92481000
	s_addc_u32 s3, 0, 0x64
	s_add_i32 s3, s3, 0x249248c0
	s_mul_hi_u32 s7, s2, -7
	s_sub_i32 s7, s7, s2
	s_mul_i32 s8, s3, -7
	s_mul_i32 s4, s2, -7
	s_add_i32 s7, s7, s8
	s_mul_hi_u32 s5, s3, s4
	s_mul_i32 s6, s3, s4
	s_mul_i32 s9, s2, s7
	s_mul_hi_u32 s4, s2, s4
	s_mul_hi_u32 s8, s2, s7
	s_add_u32 s4, s4, s9
	s_addc_u32 s8, 0, s8
	s_add_u32 s4, s4, s6
	s_mul_hi_u32 s9, s3, s7
	s_addc_u32 s4, s8, s5
	s_addc_u32 s5, s9, 0
	s_mul_i32 s6, s3, s7
	s_add_u32 s4, s4, s6
	v_mov_b32_e32 v16, s4
	s_addc_u32 s5, 0, s5
	v_add_co_u32_e32 v16, vcc, s2, v16
	s_cmp_lg_u64 vcc, 0
	s_addc_u32 s2, s3, s5
	v_readfirstlane_b32 s5, v16
	s_mul_i32 s4, s0, s2
	s_mul_hi_u32 s6, s0, s5
	s_mul_hi_u32 s3, s0, s2
	s_add_u32 s4, s6, s4
	s_addc_u32 s3, 0, s3
	s_mul_hi_u32 s7, s1, s5
	s_mul_i32 s5, s1, s5
	s_add_u32 s4, s4, s5
	s_mul_hi_u32 s6, s1, s2
	s_addc_u32 s3, s3, s7
	s_addc_u32 s4, s6, 0
	s_mul_i32 s2, s1, s2
	s_add_u32 s2, s3, s2
	s_addc_u32 s3, 0, s4
	s_add_u32 s4, s2, 1
	s_addc_u32 s5, s3, 0
	s_add_u32 s6, s2, 2
	s_mul_i32 s8, s3, 7
	s_mul_hi_u32 s9, s2, 7
	s_addc_u32 s7, s3, 0
	s_add_i32 s9, s9, s8
	s_mul_i32 s8, s2, 7
	v_mov_b32_e32 v16, s8
	v_sub_co_u32_e32 v16, vcc, s0, v16
	s_cmp_lg_u64 vcc, 0
	s_subb_u32 s8, s1, s9
	v_subrev_co_u32_e32 v17, vcc, 7, v16
	s_cmp_lg_u64 vcc, 0
	s_subb_u32 s9, s8, 0
	v_readfirstlane_b32 s10, v17
	s_cmp_gt_u32 s10, 6
	s_cselect_b32 s10, -1, 0
	s_cmp_eq_u32 s9, 0
	s_cselect_b32 s9, s10, -1
	s_cmp_lg_u32 s9, 0
	s_cselect_b32 s4, s6, s4
	v_readfirstlane_b32 s6, v16
	s_cselect_b32 s5, s7, s5
	s_cmp_gt_u32 s6, 6
	s_cselect_b32 s6, -1, 0
	s_cmp_eq_u32 s8, 0
	s_cselect_b32 s6, s6, -1
	s_cmp_lg_u32 s6, 0
	s_cselect_b32 s3, s5, s3
	s_cselect_b32 s2, s4, s2
	v_cmp_eq_u64_e32 vcc, s[2:3], v[0:1]
	s_and_saveexec_b64 s[2:3], vcc
	s_cbranch_execz .LBB105_108
; %bb.86:
	v_mul_hi_u32_u24_e32 v1, 7, v0
	v_mov_b32_e32 v16, s1
	v_sub_co_u32_e32 v0, vcc, s0, v37
	v_subb_co_u32_e32 v1, vcc, v16, v1, vcc
	v_cmp_lt_i64_e32 vcc, 3, v[0:1]
	s_and_saveexec_b64 s[0:1], vcc
	s_xor_b64 s[0:1], exec, s[0:1]
	s_cbranch_execz .LBB105_96
; %bb.87:
	v_cmp_lt_i64_e32 vcc, 4, v[0:1]
	s_and_saveexec_b64 s[2:3], vcc
	s_xor_b64 s[2:3], exec, s[2:3]
	s_cbranch_execz .LBB105_93
; %bb.88:
	;; [unrolled: 5-line block ×3, first 2 shown]
	v_mov_b32_e32 v0, 0
	s_waitcnt lgkmcnt(0)
	global_store_dwordx2 v0, v[14:15], s[14:15]
                                        ; implicit-def: $vgpr10_vgpr11_vgpr12_vgpr13
.LBB105_90:
	s_andn2_saveexec_b64 s[4:5], s[4:5]
	s_cbranch_execz .LBB105_92
; %bb.91:
	v_mov_b32_e32 v0, 0
	s_waitcnt lgkmcnt(1)
	global_store_dwordx2 v0, v[12:13], s[14:15]
.LBB105_92:
	s_or_b64 exec, exec, s[4:5]
                                        ; implicit-def: $vgpr10_vgpr11_vgpr12_vgpr13
.LBB105_93:
	s_andn2_saveexec_b64 s[2:3], s[2:3]
	s_cbranch_execz .LBB105_95
; %bb.94:
	v_mov_b32_e32 v0, 0
	s_waitcnt lgkmcnt(1)
	global_store_dwordx2 v0, v[10:11], s[14:15]
.LBB105_95:
	s_or_b64 exec, exec, s[2:3]
                                        ; implicit-def: $vgpr0_vgpr1
                                        ; implicit-def: $vgpr2_vgpr3_vgpr4_vgpr5
                                        ; implicit-def: $vgpr6_vgpr7_vgpr8_vgpr9
.LBB105_96:
	s_andn2_saveexec_b64 s[0:1], s[0:1]
	s_cbranch_execz .LBB105_108
; %bb.97:
	v_cmp_lt_i64_e32 vcc, 1, v[0:1]
	s_and_saveexec_b64 s[0:1], vcc
	s_xor_b64 s[0:1], exec, s[0:1]
	s_cbranch_execz .LBB105_103
; %bb.98:
	v_cmp_lt_i64_e32 vcc, 2, v[0:1]
	s_and_saveexec_b64 s[2:3], vcc
	s_xor_b64 s[2:3], exec, s[2:3]
	s_cbranch_execz .LBB105_100
; %bb.99:
	v_mov_b32_e32 v0, 0
	s_waitcnt lgkmcnt(2)
	global_store_dwordx2 v0, v[8:9], s[14:15]
                                        ; implicit-def: $vgpr6_vgpr7_vgpr8_vgpr9
.LBB105_100:
	s_andn2_saveexec_b64 s[2:3], s[2:3]
	s_cbranch_execz .LBB105_102
; %bb.101:
	v_mov_b32_e32 v0, 0
	s_waitcnt lgkmcnt(2)
	global_store_dwordx2 v0, v[6:7], s[14:15]
.LBB105_102:
	s_or_b64 exec, exec, s[2:3]
                                        ; implicit-def: $vgpr2_vgpr3_vgpr4_vgpr5
                                        ; implicit-def: $vgpr0_vgpr1
.LBB105_103:
	s_andn2_saveexec_b64 s[0:1], s[0:1]
	s_cbranch_execz .LBB105_108
; %bb.104:
	v_cmp_ne_u64_e32 vcc, 1, v[0:1]
	s_and_saveexec_b64 s[0:1], vcc
	s_xor_b64 s[0:1], exec, s[0:1]
	s_cbranch_execz .LBB105_106
; %bb.105:
	v_mov_b32_e32 v0, 0
	s_waitcnt lgkmcnt(3)
	global_store_dwordx2 v0, v[2:3], s[14:15]
                                        ; implicit-def: $vgpr2_vgpr3_vgpr4_vgpr5
.LBB105_106:
	s_andn2_saveexec_b64 s[0:1], s[0:1]
	s_cbranch_execz .LBB105_108
; %bb.107:
	v_mov_b32_e32 v0, 0
	s_waitcnt lgkmcnt(3)
	global_store_dwordx2 v0, v[4:5], s[14:15]
.LBB105_108:
	s_endpgm
	.section	.rodata,"a",@progbits
	.p2align	6, 0x0
	.amdhsa_kernel _ZN7rocprim17ROCPRIM_400000_NS6detail17trampoline_kernelINS0_14default_configENS1_20scan_config_selectorIlEEZZNS1_9scan_implILNS1_25lookback_scan_determinismE0ELb0ELb0ES3_PlS8_lN6thrust23THRUST_200600_302600_NS4plusIvEElEEDaPvRmT3_T4_T5_mT6_P12ihipStream_tbENKUlT_T0_E_clISt17integral_constantIbLb1EESQ_EEDaSL_SM_EUlSL_E_NS1_11comp_targetILNS1_3genE4ELNS1_11target_archE910ELNS1_3gpuE8ELNS1_3repE0EEENS1_30default_config_static_selectorELNS0_4arch9wavefront6targetE1EEEvT1_
		.amdhsa_group_segment_fixed_size 7168
		.amdhsa_private_segment_fixed_size 0
		.amdhsa_kernarg_size 104
		.amdhsa_user_sgpr_count 6
		.amdhsa_user_sgpr_private_segment_buffer 1
		.amdhsa_user_sgpr_dispatch_ptr 0
		.amdhsa_user_sgpr_queue_ptr 0
		.amdhsa_user_sgpr_kernarg_segment_ptr 1
		.amdhsa_user_sgpr_dispatch_id 0
		.amdhsa_user_sgpr_flat_scratch_init 0
		.amdhsa_user_sgpr_kernarg_preload_length 0
		.amdhsa_user_sgpr_kernarg_preload_offset 0
		.amdhsa_user_sgpr_private_segment_size 0
		.amdhsa_uses_dynamic_stack 0
		.amdhsa_system_sgpr_private_segment_wavefront_offset 0
		.amdhsa_system_sgpr_workgroup_id_x 1
		.amdhsa_system_sgpr_workgroup_id_y 0
		.amdhsa_system_sgpr_workgroup_id_z 0
		.amdhsa_system_sgpr_workgroup_info 0
		.amdhsa_system_vgpr_workitem_id 0
		.amdhsa_next_free_vgpr 51
		.amdhsa_next_free_sgpr 38
		.amdhsa_accum_offset 52
		.amdhsa_reserve_vcc 1
		.amdhsa_reserve_flat_scratch 0
		.amdhsa_float_round_mode_32 0
		.amdhsa_float_round_mode_16_64 0
		.amdhsa_float_denorm_mode_32 3
		.amdhsa_float_denorm_mode_16_64 3
		.amdhsa_dx10_clamp 1
		.amdhsa_ieee_mode 1
		.amdhsa_fp16_overflow 0
		.amdhsa_tg_split 0
		.amdhsa_exception_fp_ieee_invalid_op 0
		.amdhsa_exception_fp_denorm_src 0
		.amdhsa_exception_fp_ieee_div_zero 0
		.amdhsa_exception_fp_ieee_overflow 0
		.amdhsa_exception_fp_ieee_underflow 0
		.amdhsa_exception_fp_ieee_inexact 0
		.amdhsa_exception_int_div_zero 0
	.end_amdhsa_kernel
	.section	.text._ZN7rocprim17ROCPRIM_400000_NS6detail17trampoline_kernelINS0_14default_configENS1_20scan_config_selectorIlEEZZNS1_9scan_implILNS1_25lookback_scan_determinismE0ELb0ELb0ES3_PlS8_lN6thrust23THRUST_200600_302600_NS4plusIvEElEEDaPvRmT3_T4_T5_mT6_P12ihipStream_tbENKUlT_T0_E_clISt17integral_constantIbLb1EESQ_EEDaSL_SM_EUlSL_E_NS1_11comp_targetILNS1_3genE4ELNS1_11target_archE910ELNS1_3gpuE8ELNS1_3repE0EEENS1_30default_config_static_selectorELNS0_4arch9wavefront6targetE1EEEvT1_,"axG",@progbits,_ZN7rocprim17ROCPRIM_400000_NS6detail17trampoline_kernelINS0_14default_configENS1_20scan_config_selectorIlEEZZNS1_9scan_implILNS1_25lookback_scan_determinismE0ELb0ELb0ES3_PlS8_lN6thrust23THRUST_200600_302600_NS4plusIvEElEEDaPvRmT3_T4_T5_mT6_P12ihipStream_tbENKUlT_T0_E_clISt17integral_constantIbLb1EESQ_EEDaSL_SM_EUlSL_E_NS1_11comp_targetILNS1_3genE4ELNS1_11target_archE910ELNS1_3gpuE8ELNS1_3repE0EEENS1_30default_config_static_selectorELNS0_4arch9wavefront6targetE1EEEvT1_,comdat
.Lfunc_end105:
	.size	_ZN7rocprim17ROCPRIM_400000_NS6detail17trampoline_kernelINS0_14default_configENS1_20scan_config_selectorIlEEZZNS1_9scan_implILNS1_25lookback_scan_determinismE0ELb0ELb0ES3_PlS8_lN6thrust23THRUST_200600_302600_NS4plusIvEElEEDaPvRmT3_T4_T5_mT6_P12ihipStream_tbENKUlT_T0_E_clISt17integral_constantIbLb1EESQ_EEDaSL_SM_EUlSL_E_NS1_11comp_targetILNS1_3genE4ELNS1_11target_archE910ELNS1_3gpuE8ELNS1_3repE0EEENS1_30default_config_static_selectorELNS0_4arch9wavefront6targetE1EEEvT1_, .Lfunc_end105-_ZN7rocprim17ROCPRIM_400000_NS6detail17trampoline_kernelINS0_14default_configENS1_20scan_config_selectorIlEEZZNS1_9scan_implILNS1_25lookback_scan_determinismE0ELb0ELb0ES3_PlS8_lN6thrust23THRUST_200600_302600_NS4plusIvEElEEDaPvRmT3_T4_T5_mT6_P12ihipStream_tbENKUlT_T0_E_clISt17integral_constantIbLb1EESQ_EEDaSL_SM_EUlSL_E_NS1_11comp_targetILNS1_3genE4ELNS1_11target_archE910ELNS1_3gpuE8ELNS1_3repE0EEENS1_30default_config_static_selectorELNS0_4arch9wavefront6targetE1EEEvT1_
                                        ; -- End function
	.section	.AMDGPU.csdata,"",@progbits
; Kernel info:
; codeLenInByte = 5712
; NumSgprs: 42
; NumVgprs: 51
; NumAgprs: 0
; TotalNumVgprs: 51
; ScratchSize: 0
; MemoryBound: 0
; FloatMode: 240
; IeeeMode: 1
; LDSByteSize: 7168 bytes/workgroup (compile time only)
; SGPRBlocks: 5
; VGPRBlocks: 6
; NumSGPRsForWavesPerEU: 42
; NumVGPRsForWavesPerEU: 51
; AccumOffset: 52
; Occupancy: 5
; WaveLimiterHint : 1
; COMPUTE_PGM_RSRC2:SCRATCH_EN: 0
; COMPUTE_PGM_RSRC2:USER_SGPR: 6
; COMPUTE_PGM_RSRC2:TRAP_HANDLER: 0
; COMPUTE_PGM_RSRC2:TGID_X_EN: 1
; COMPUTE_PGM_RSRC2:TGID_Y_EN: 0
; COMPUTE_PGM_RSRC2:TGID_Z_EN: 0
; COMPUTE_PGM_RSRC2:TIDIG_COMP_CNT: 0
; COMPUTE_PGM_RSRC3_GFX90A:ACCUM_OFFSET: 12
; COMPUTE_PGM_RSRC3_GFX90A:TG_SPLIT: 0
	.section	.text._ZN7rocprim17ROCPRIM_400000_NS6detail17trampoline_kernelINS0_14default_configENS1_20scan_config_selectorIlEEZZNS1_9scan_implILNS1_25lookback_scan_determinismE0ELb0ELb0ES3_PlS8_lN6thrust23THRUST_200600_302600_NS4plusIvEElEEDaPvRmT3_T4_T5_mT6_P12ihipStream_tbENKUlT_T0_E_clISt17integral_constantIbLb1EESQ_EEDaSL_SM_EUlSL_E_NS1_11comp_targetILNS1_3genE3ELNS1_11target_archE908ELNS1_3gpuE7ELNS1_3repE0EEENS1_30default_config_static_selectorELNS0_4arch9wavefront6targetE1EEEvT1_,"axG",@progbits,_ZN7rocprim17ROCPRIM_400000_NS6detail17trampoline_kernelINS0_14default_configENS1_20scan_config_selectorIlEEZZNS1_9scan_implILNS1_25lookback_scan_determinismE0ELb0ELb0ES3_PlS8_lN6thrust23THRUST_200600_302600_NS4plusIvEElEEDaPvRmT3_T4_T5_mT6_P12ihipStream_tbENKUlT_T0_E_clISt17integral_constantIbLb1EESQ_EEDaSL_SM_EUlSL_E_NS1_11comp_targetILNS1_3genE3ELNS1_11target_archE908ELNS1_3gpuE7ELNS1_3repE0EEENS1_30default_config_static_selectorELNS0_4arch9wavefront6targetE1EEEvT1_,comdat
	.protected	_ZN7rocprim17ROCPRIM_400000_NS6detail17trampoline_kernelINS0_14default_configENS1_20scan_config_selectorIlEEZZNS1_9scan_implILNS1_25lookback_scan_determinismE0ELb0ELb0ES3_PlS8_lN6thrust23THRUST_200600_302600_NS4plusIvEElEEDaPvRmT3_T4_T5_mT6_P12ihipStream_tbENKUlT_T0_E_clISt17integral_constantIbLb1EESQ_EEDaSL_SM_EUlSL_E_NS1_11comp_targetILNS1_3genE3ELNS1_11target_archE908ELNS1_3gpuE7ELNS1_3repE0EEENS1_30default_config_static_selectorELNS0_4arch9wavefront6targetE1EEEvT1_ ; -- Begin function _ZN7rocprim17ROCPRIM_400000_NS6detail17trampoline_kernelINS0_14default_configENS1_20scan_config_selectorIlEEZZNS1_9scan_implILNS1_25lookback_scan_determinismE0ELb0ELb0ES3_PlS8_lN6thrust23THRUST_200600_302600_NS4plusIvEElEEDaPvRmT3_T4_T5_mT6_P12ihipStream_tbENKUlT_T0_E_clISt17integral_constantIbLb1EESQ_EEDaSL_SM_EUlSL_E_NS1_11comp_targetILNS1_3genE3ELNS1_11target_archE908ELNS1_3gpuE7ELNS1_3repE0EEENS1_30default_config_static_selectorELNS0_4arch9wavefront6targetE1EEEvT1_
	.globl	_ZN7rocprim17ROCPRIM_400000_NS6detail17trampoline_kernelINS0_14default_configENS1_20scan_config_selectorIlEEZZNS1_9scan_implILNS1_25lookback_scan_determinismE0ELb0ELb0ES3_PlS8_lN6thrust23THRUST_200600_302600_NS4plusIvEElEEDaPvRmT3_T4_T5_mT6_P12ihipStream_tbENKUlT_T0_E_clISt17integral_constantIbLb1EESQ_EEDaSL_SM_EUlSL_E_NS1_11comp_targetILNS1_3genE3ELNS1_11target_archE908ELNS1_3gpuE7ELNS1_3repE0EEENS1_30default_config_static_selectorELNS0_4arch9wavefront6targetE1EEEvT1_
	.p2align	8
	.type	_ZN7rocprim17ROCPRIM_400000_NS6detail17trampoline_kernelINS0_14default_configENS1_20scan_config_selectorIlEEZZNS1_9scan_implILNS1_25lookback_scan_determinismE0ELb0ELb0ES3_PlS8_lN6thrust23THRUST_200600_302600_NS4plusIvEElEEDaPvRmT3_T4_T5_mT6_P12ihipStream_tbENKUlT_T0_E_clISt17integral_constantIbLb1EESQ_EEDaSL_SM_EUlSL_E_NS1_11comp_targetILNS1_3genE3ELNS1_11target_archE908ELNS1_3gpuE7ELNS1_3repE0EEENS1_30default_config_static_selectorELNS0_4arch9wavefront6targetE1EEEvT1_,@function
_ZN7rocprim17ROCPRIM_400000_NS6detail17trampoline_kernelINS0_14default_configENS1_20scan_config_selectorIlEEZZNS1_9scan_implILNS1_25lookback_scan_determinismE0ELb0ELb0ES3_PlS8_lN6thrust23THRUST_200600_302600_NS4plusIvEElEEDaPvRmT3_T4_T5_mT6_P12ihipStream_tbENKUlT_T0_E_clISt17integral_constantIbLb1EESQ_EEDaSL_SM_EUlSL_E_NS1_11comp_targetILNS1_3genE3ELNS1_11target_archE908ELNS1_3gpuE7ELNS1_3repE0EEENS1_30default_config_static_selectorELNS0_4arch9wavefront6targetE1EEEvT1_: ; @_ZN7rocprim17ROCPRIM_400000_NS6detail17trampoline_kernelINS0_14default_configENS1_20scan_config_selectorIlEEZZNS1_9scan_implILNS1_25lookback_scan_determinismE0ELb0ELb0ES3_PlS8_lN6thrust23THRUST_200600_302600_NS4plusIvEElEEDaPvRmT3_T4_T5_mT6_P12ihipStream_tbENKUlT_T0_E_clISt17integral_constantIbLb1EESQ_EEDaSL_SM_EUlSL_E_NS1_11comp_targetILNS1_3genE3ELNS1_11target_archE908ELNS1_3gpuE7ELNS1_3repE0EEENS1_30default_config_static_selectorELNS0_4arch9wavefront6targetE1EEEvT1_
; %bb.0:
	.section	.rodata,"a",@progbits
	.p2align	6, 0x0
	.amdhsa_kernel _ZN7rocprim17ROCPRIM_400000_NS6detail17trampoline_kernelINS0_14default_configENS1_20scan_config_selectorIlEEZZNS1_9scan_implILNS1_25lookback_scan_determinismE0ELb0ELb0ES3_PlS8_lN6thrust23THRUST_200600_302600_NS4plusIvEElEEDaPvRmT3_T4_T5_mT6_P12ihipStream_tbENKUlT_T0_E_clISt17integral_constantIbLb1EESQ_EEDaSL_SM_EUlSL_E_NS1_11comp_targetILNS1_3genE3ELNS1_11target_archE908ELNS1_3gpuE7ELNS1_3repE0EEENS1_30default_config_static_selectorELNS0_4arch9wavefront6targetE1EEEvT1_
		.amdhsa_group_segment_fixed_size 0
		.amdhsa_private_segment_fixed_size 0
		.amdhsa_kernarg_size 104
		.amdhsa_user_sgpr_count 6
		.amdhsa_user_sgpr_private_segment_buffer 1
		.amdhsa_user_sgpr_dispatch_ptr 0
		.amdhsa_user_sgpr_queue_ptr 0
		.amdhsa_user_sgpr_kernarg_segment_ptr 1
		.amdhsa_user_sgpr_dispatch_id 0
		.amdhsa_user_sgpr_flat_scratch_init 0
		.amdhsa_user_sgpr_kernarg_preload_length 0
		.amdhsa_user_sgpr_kernarg_preload_offset 0
		.amdhsa_user_sgpr_private_segment_size 0
		.amdhsa_uses_dynamic_stack 0
		.amdhsa_system_sgpr_private_segment_wavefront_offset 0
		.amdhsa_system_sgpr_workgroup_id_x 1
		.amdhsa_system_sgpr_workgroup_id_y 0
		.amdhsa_system_sgpr_workgroup_id_z 0
		.amdhsa_system_sgpr_workgroup_info 0
		.amdhsa_system_vgpr_workitem_id 0
		.amdhsa_next_free_vgpr 1
		.amdhsa_next_free_sgpr 0
		.amdhsa_accum_offset 4
		.amdhsa_reserve_vcc 0
		.amdhsa_reserve_flat_scratch 0
		.amdhsa_float_round_mode_32 0
		.amdhsa_float_round_mode_16_64 0
		.amdhsa_float_denorm_mode_32 3
		.amdhsa_float_denorm_mode_16_64 3
		.amdhsa_dx10_clamp 1
		.amdhsa_ieee_mode 1
		.amdhsa_fp16_overflow 0
		.amdhsa_tg_split 0
		.amdhsa_exception_fp_ieee_invalid_op 0
		.amdhsa_exception_fp_denorm_src 0
		.amdhsa_exception_fp_ieee_div_zero 0
		.amdhsa_exception_fp_ieee_overflow 0
		.amdhsa_exception_fp_ieee_underflow 0
		.amdhsa_exception_fp_ieee_inexact 0
		.amdhsa_exception_int_div_zero 0
	.end_amdhsa_kernel
	.section	.text._ZN7rocprim17ROCPRIM_400000_NS6detail17trampoline_kernelINS0_14default_configENS1_20scan_config_selectorIlEEZZNS1_9scan_implILNS1_25lookback_scan_determinismE0ELb0ELb0ES3_PlS8_lN6thrust23THRUST_200600_302600_NS4plusIvEElEEDaPvRmT3_T4_T5_mT6_P12ihipStream_tbENKUlT_T0_E_clISt17integral_constantIbLb1EESQ_EEDaSL_SM_EUlSL_E_NS1_11comp_targetILNS1_3genE3ELNS1_11target_archE908ELNS1_3gpuE7ELNS1_3repE0EEENS1_30default_config_static_selectorELNS0_4arch9wavefront6targetE1EEEvT1_,"axG",@progbits,_ZN7rocprim17ROCPRIM_400000_NS6detail17trampoline_kernelINS0_14default_configENS1_20scan_config_selectorIlEEZZNS1_9scan_implILNS1_25lookback_scan_determinismE0ELb0ELb0ES3_PlS8_lN6thrust23THRUST_200600_302600_NS4plusIvEElEEDaPvRmT3_T4_T5_mT6_P12ihipStream_tbENKUlT_T0_E_clISt17integral_constantIbLb1EESQ_EEDaSL_SM_EUlSL_E_NS1_11comp_targetILNS1_3genE3ELNS1_11target_archE908ELNS1_3gpuE7ELNS1_3repE0EEENS1_30default_config_static_selectorELNS0_4arch9wavefront6targetE1EEEvT1_,comdat
.Lfunc_end106:
	.size	_ZN7rocprim17ROCPRIM_400000_NS6detail17trampoline_kernelINS0_14default_configENS1_20scan_config_selectorIlEEZZNS1_9scan_implILNS1_25lookback_scan_determinismE0ELb0ELb0ES3_PlS8_lN6thrust23THRUST_200600_302600_NS4plusIvEElEEDaPvRmT3_T4_T5_mT6_P12ihipStream_tbENKUlT_T0_E_clISt17integral_constantIbLb1EESQ_EEDaSL_SM_EUlSL_E_NS1_11comp_targetILNS1_3genE3ELNS1_11target_archE908ELNS1_3gpuE7ELNS1_3repE0EEENS1_30default_config_static_selectorELNS0_4arch9wavefront6targetE1EEEvT1_, .Lfunc_end106-_ZN7rocprim17ROCPRIM_400000_NS6detail17trampoline_kernelINS0_14default_configENS1_20scan_config_selectorIlEEZZNS1_9scan_implILNS1_25lookback_scan_determinismE0ELb0ELb0ES3_PlS8_lN6thrust23THRUST_200600_302600_NS4plusIvEElEEDaPvRmT3_T4_T5_mT6_P12ihipStream_tbENKUlT_T0_E_clISt17integral_constantIbLb1EESQ_EEDaSL_SM_EUlSL_E_NS1_11comp_targetILNS1_3genE3ELNS1_11target_archE908ELNS1_3gpuE7ELNS1_3repE0EEENS1_30default_config_static_selectorELNS0_4arch9wavefront6targetE1EEEvT1_
                                        ; -- End function
	.section	.AMDGPU.csdata,"",@progbits
; Kernel info:
; codeLenInByte = 0
; NumSgprs: 4
; NumVgprs: 0
; NumAgprs: 0
; TotalNumVgprs: 0
; ScratchSize: 0
; MemoryBound: 0
; FloatMode: 240
; IeeeMode: 1
; LDSByteSize: 0 bytes/workgroup (compile time only)
; SGPRBlocks: 0
; VGPRBlocks: 0
; NumSGPRsForWavesPerEU: 4
; NumVGPRsForWavesPerEU: 1
; AccumOffset: 4
; Occupancy: 8
; WaveLimiterHint : 0
; COMPUTE_PGM_RSRC2:SCRATCH_EN: 0
; COMPUTE_PGM_RSRC2:USER_SGPR: 6
; COMPUTE_PGM_RSRC2:TRAP_HANDLER: 0
; COMPUTE_PGM_RSRC2:TGID_X_EN: 1
; COMPUTE_PGM_RSRC2:TGID_Y_EN: 0
; COMPUTE_PGM_RSRC2:TGID_Z_EN: 0
; COMPUTE_PGM_RSRC2:TIDIG_COMP_CNT: 0
; COMPUTE_PGM_RSRC3_GFX90A:ACCUM_OFFSET: 0
; COMPUTE_PGM_RSRC3_GFX90A:TG_SPLIT: 0
	.section	.text._ZN7rocprim17ROCPRIM_400000_NS6detail17trampoline_kernelINS0_14default_configENS1_20scan_config_selectorIlEEZZNS1_9scan_implILNS1_25lookback_scan_determinismE0ELb0ELb0ES3_PlS8_lN6thrust23THRUST_200600_302600_NS4plusIvEElEEDaPvRmT3_T4_T5_mT6_P12ihipStream_tbENKUlT_T0_E_clISt17integral_constantIbLb1EESQ_EEDaSL_SM_EUlSL_E_NS1_11comp_targetILNS1_3genE2ELNS1_11target_archE906ELNS1_3gpuE6ELNS1_3repE0EEENS1_30default_config_static_selectorELNS0_4arch9wavefront6targetE1EEEvT1_,"axG",@progbits,_ZN7rocprim17ROCPRIM_400000_NS6detail17trampoline_kernelINS0_14default_configENS1_20scan_config_selectorIlEEZZNS1_9scan_implILNS1_25lookback_scan_determinismE0ELb0ELb0ES3_PlS8_lN6thrust23THRUST_200600_302600_NS4plusIvEElEEDaPvRmT3_T4_T5_mT6_P12ihipStream_tbENKUlT_T0_E_clISt17integral_constantIbLb1EESQ_EEDaSL_SM_EUlSL_E_NS1_11comp_targetILNS1_3genE2ELNS1_11target_archE906ELNS1_3gpuE6ELNS1_3repE0EEENS1_30default_config_static_selectorELNS0_4arch9wavefront6targetE1EEEvT1_,comdat
	.protected	_ZN7rocprim17ROCPRIM_400000_NS6detail17trampoline_kernelINS0_14default_configENS1_20scan_config_selectorIlEEZZNS1_9scan_implILNS1_25lookback_scan_determinismE0ELb0ELb0ES3_PlS8_lN6thrust23THRUST_200600_302600_NS4plusIvEElEEDaPvRmT3_T4_T5_mT6_P12ihipStream_tbENKUlT_T0_E_clISt17integral_constantIbLb1EESQ_EEDaSL_SM_EUlSL_E_NS1_11comp_targetILNS1_3genE2ELNS1_11target_archE906ELNS1_3gpuE6ELNS1_3repE0EEENS1_30default_config_static_selectorELNS0_4arch9wavefront6targetE1EEEvT1_ ; -- Begin function _ZN7rocprim17ROCPRIM_400000_NS6detail17trampoline_kernelINS0_14default_configENS1_20scan_config_selectorIlEEZZNS1_9scan_implILNS1_25lookback_scan_determinismE0ELb0ELb0ES3_PlS8_lN6thrust23THRUST_200600_302600_NS4plusIvEElEEDaPvRmT3_T4_T5_mT6_P12ihipStream_tbENKUlT_T0_E_clISt17integral_constantIbLb1EESQ_EEDaSL_SM_EUlSL_E_NS1_11comp_targetILNS1_3genE2ELNS1_11target_archE906ELNS1_3gpuE6ELNS1_3repE0EEENS1_30default_config_static_selectorELNS0_4arch9wavefront6targetE1EEEvT1_
	.globl	_ZN7rocprim17ROCPRIM_400000_NS6detail17trampoline_kernelINS0_14default_configENS1_20scan_config_selectorIlEEZZNS1_9scan_implILNS1_25lookback_scan_determinismE0ELb0ELb0ES3_PlS8_lN6thrust23THRUST_200600_302600_NS4plusIvEElEEDaPvRmT3_T4_T5_mT6_P12ihipStream_tbENKUlT_T0_E_clISt17integral_constantIbLb1EESQ_EEDaSL_SM_EUlSL_E_NS1_11comp_targetILNS1_3genE2ELNS1_11target_archE906ELNS1_3gpuE6ELNS1_3repE0EEENS1_30default_config_static_selectorELNS0_4arch9wavefront6targetE1EEEvT1_
	.p2align	8
	.type	_ZN7rocprim17ROCPRIM_400000_NS6detail17trampoline_kernelINS0_14default_configENS1_20scan_config_selectorIlEEZZNS1_9scan_implILNS1_25lookback_scan_determinismE0ELb0ELb0ES3_PlS8_lN6thrust23THRUST_200600_302600_NS4plusIvEElEEDaPvRmT3_T4_T5_mT6_P12ihipStream_tbENKUlT_T0_E_clISt17integral_constantIbLb1EESQ_EEDaSL_SM_EUlSL_E_NS1_11comp_targetILNS1_3genE2ELNS1_11target_archE906ELNS1_3gpuE6ELNS1_3repE0EEENS1_30default_config_static_selectorELNS0_4arch9wavefront6targetE1EEEvT1_,@function
_ZN7rocprim17ROCPRIM_400000_NS6detail17trampoline_kernelINS0_14default_configENS1_20scan_config_selectorIlEEZZNS1_9scan_implILNS1_25lookback_scan_determinismE0ELb0ELb0ES3_PlS8_lN6thrust23THRUST_200600_302600_NS4plusIvEElEEDaPvRmT3_T4_T5_mT6_P12ihipStream_tbENKUlT_T0_E_clISt17integral_constantIbLb1EESQ_EEDaSL_SM_EUlSL_E_NS1_11comp_targetILNS1_3genE2ELNS1_11target_archE906ELNS1_3gpuE6ELNS1_3repE0EEENS1_30default_config_static_selectorELNS0_4arch9wavefront6targetE1EEEvT1_: ; @_ZN7rocprim17ROCPRIM_400000_NS6detail17trampoline_kernelINS0_14default_configENS1_20scan_config_selectorIlEEZZNS1_9scan_implILNS1_25lookback_scan_determinismE0ELb0ELb0ES3_PlS8_lN6thrust23THRUST_200600_302600_NS4plusIvEElEEDaPvRmT3_T4_T5_mT6_P12ihipStream_tbENKUlT_T0_E_clISt17integral_constantIbLb1EESQ_EEDaSL_SM_EUlSL_E_NS1_11comp_targetILNS1_3genE2ELNS1_11target_archE906ELNS1_3gpuE6ELNS1_3repE0EEENS1_30default_config_static_selectorELNS0_4arch9wavefront6targetE1EEEvT1_
; %bb.0:
	.section	.rodata,"a",@progbits
	.p2align	6, 0x0
	.amdhsa_kernel _ZN7rocprim17ROCPRIM_400000_NS6detail17trampoline_kernelINS0_14default_configENS1_20scan_config_selectorIlEEZZNS1_9scan_implILNS1_25lookback_scan_determinismE0ELb0ELb0ES3_PlS8_lN6thrust23THRUST_200600_302600_NS4plusIvEElEEDaPvRmT3_T4_T5_mT6_P12ihipStream_tbENKUlT_T0_E_clISt17integral_constantIbLb1EESQ_EEDaSL_SM_EUlSL_E_NS1_11comp_targetILNS1_3genE2ELNS1_11target_archE906ELNS1_3gpuE6ELNS1_3repE0EEENS1_30default_config_static_selectorELNS0_4arch9wavefront6targetE1EEEvT1_
		.amdhsa_group_segment_fixed_size 0
		.amdhsa_private_segment_fixed_size 0
		.amdhsa_kernarg_size 104
		.amdhsa_user_sgpr_count 6
		.amdhsa_user_sgpr_private_segment_buffer 1
		.amdhsa_user_sgpr_dispatch_ptr 0
		.amdhsa_user_sgpr_queue_ptr 0
		.amdhsa_user_sgpr_kernarg_segment_ptr 1
		.amdhsa_user_sgpr_dispatch_id 0
		.amdhsa_user_sgpr_flat_scratch_init 0
		.amdhsa_user_sgpr_kernarg_preload_length 0
		.amdhsa_user_sgpr_kernarg_preload_offset 0
		.amdhsa_user_sgpr_private_segment_size 0
		.amdhsa_uses_dynamic_stack 0
		.amdhsa_system_sgpr_private_segment_wavefront_offset 0
		.amdhsa_system_sgpr_workgroup_id_x 1
		.amdhsa_system_sgpr_workgroup_id_y 0
		.amdhsa_system_sgpr_workgroup_id_z 0
		.amdhsa_system_sgpr_workgroup_info 0
		.amdhsa_system_vgpr_workitem_id 0
		.amdhsa_next_free_vgpr 1
		.amdhsa_next_free_sgpr 0
		.amdhsa_accum_offset 4
		.amdhsa_reserve_vcc 0
		.amdhsa_reserve_flat_scratch 0
		.amdhsa_float_round_mode_32 0
		.amdhsa_float_round_mode_16_64 0
		.amdhsa_float_denorm_mode_32 3
		.amdhsa_float_denorm_mode_16_64 3
		.amdhsa_dx10_clamp 1
		.amdhsa_ieee_mode 1
		.amdhsa_fp16_overflow 0
		.amdhsa_tg_split 0
		.amdhsa_exception_fp_ieee_invalid_op 0
		.amdhsa_exception_fp_denorm_src 0
		.amdhsa_exception_fp_ieee_div_zero 0
		.amdhsa_exception_fp_ieee_overflow 0
		.amdhsa_exception_fp_ieee_underflow 0
		.amdhsa_exception_fp_ieee_inexact 0
		.amdhsa_exception_int_div_zero 0
	.end_amdhsa_kernel
	.section	.text._ZN7rocprim17ROCPRIM_400000_NS6detail17trampoline_kernelINS0_14default_configENS1_20scan_config_selectorIlEEZZNS1_9scan_implILNS1_25lookback_scan_determinismE0ELb0ELb0ES3_PlS8_lN6thrust23THRUST_200600_302600_NS4plusIvEElEEDaPvRmT3_T4_T5_mT6_P12ihipStream_tbENKUlT_T0_E_clISt17integral_constantIbLb1EESQ_EEDaSL_SM_EUlSL_E_NS1_11comp_targetILNS1_3genE2ELNS1_11target_archE906ELNS1_3gpuE6ELNS1_3repE0EEENS1_30default_config_static_selectorELNS0_4arch9wavefront6targetE1EEEvT1_,"axG",@progbits,_ZN7rocprim17ROCPRIM_400000_NS6detail17trampoline_kernelINS0_14default_configENS1_20scan_config_selectorIlEEZZNS1_9scan_implILNS1_25lookback_scan_determinismE0ELb0ELb0ES3_PlS8_lN6thrust23THRUST_200600_302600_NS4plusIvEElEEDaPvRmT3_T4_T5_mT6_P12ihipStream_tbENKUlT_T0_E_clISt17integral_constantIbLb1EESQ_EEDaSL_SM_EUlSL_E_NS1_11comp_targetILNS1_3genE2ELNS1_11target_archE906ELNS1_3gpuE6ELNS1_3repE0EEENS1_30default_config_static_selectorELNS0_4arch9wavefront6targetE1EEEvT1_,comdat
.Lfunc_end107:
	.size	_ZN7rocprim17ROCPRIM_400000_NS6detail17trampoline_kernelINS0_14default_configENS1_20scan_config_selectorIlEEZZNS1_9scan_implILNS1_25lookback_scan_determinismE0ELb0ELb0ES3_PlS8_lN6thrust23THRUST_200600_302600_NS4plusIvEElEEDaPvRmT3_T4_T5_mT6_P12ihipStream_tbENKUlT_T0_E_clISt17integral_constantIbLb1EESQ_EEDaSL_SM_EUlSL_E_NS1_11comp_targetILNS1_3genE2ELNS1_11target_archE906ELNS1_3gpuE6ELNS1_3repE0EEENS1_30default_config_static_selectorELNS0_4arch9wavefront6targetE1EEEvT1_, .Lfunc_end107-_ZN7rocprim17ROCPRIM_400000_NS6detail17trampoline_kernelINS0_14default_configENS1_20scan_config_selectorIlEEZZNS1_9scan_implILNS1_25lookback_scan_determinismE0ELb0ELb0ES3_PlS8_lN6thrust23THRUST_200600_302600_NS4plusIvEElEEDaPvRmT3_T4_T5_mT6_P12ihipStream_tbENKUlT_T0_E_clISt17integral_constantIbLb1EESQ_EEDaSL_SM_EUlSL_E_NS1_11comp_targetILNS1_3genE2ELNS1_11target_archE906ELNS1_3gpuE6ELNS1_3repE0EEENS1_30default_config_static_selectorELNS0_4arch9wavefront6targetE1EEEvT1_
                                        ; -- End function
	.section	.AMDGPU.csdata,"",@progbits
; Kernel info:
; codeLenInByte = 0
; NumSgprs: 4
; NumVgprs: 0
; NumAgprs: 0
; TotalNumVgprs: 0
; ScratchSize: 0
; MemoryBound: 0
; FloatMode: 240
; IeeeMode: 1
; LDSByteSize: 0 bytes/workgroup (compile time only)
; SGPRBlocks: 0
; VGPRBlocks: 0
; NumSGPRsForWavesPerEU: 4
; NumVGPRsForWavesPerEU: 1
; AccumOffset: 4
; Occupancy: 8
; WaveLimiterHint : 0
; COMPUTE_PGM_RSRC2:SCRATCH_EN: 0
; COMPUTE_PGM_RSRC2:USER_SGPR: 6
; COMPUTE_PGM_RSRC2:TRAP_HANDLER: 0
; COMPUTE_PGM_RSRC2:TGID_X_EN: 1
; COMPUTE_PGM_RSRC2:TGID_Y_EN: 0
; COMPUTE_PGM_RSRC2:TGID_Z_EN: 0
; COMPUTE_PGM_RSRC2:TIDIG_COMP_CNT: 0
; COMPUTE_PGM_RSRC3_GFX90A:ACCUM_OFFSET: 0
; COMPUTE_PGM_RSRC3_GFX90A:TG_SPLIT: 0
	.section	.text._ZN7rocprim17ROCPRIM_400000_NS6detail17trampoline_kernelINS0_14default_configENS1_20scan_config_selectorIlEEZZNS1_9scan_implILNS1_25lookback_scan_determinismE0ELb0ELb0ES3_PlS8_lN6thrust23THRUST_200600_302600_NS4plusIvEElEEDaPvRmT3_T4_T5_mT6_P12ihipStream_tbENKUlT_T0_E_clISt17integral_constantIbLb1EESQ_EEDaSL_SM_EUlSL_E_NS1_11comp_targetILNS1_3genE10ELNS1_11target_archE1201ELNS1_3gpuE5ELNS1_3repE0EEENS1_30default_config_static_selectorELNS0_4arch9wavefront6targetE1EEEvT1_,"axG",@progbits,_ZN7rocprim17ROCPRIM_400000_NS6detail17trampoline_kernelINS0_14default_configENS1_20scan_config_selectorIlEEZZNS1_9scan_implILNS1_25lookback_scan_determinismE0ELb0ELb0ES3_PlS8_lN6thrust23THRUST_200600_302600_NS4plusIvEElEEDaPvRmT3_T4_T5_mT6_P12ihipStream_tbENKUlT_T0_E_clISt17integral_constantIbLb1EESQ_EEDaSL_SM_EUlSL_E_NS1_11comp_targetILNS1_3genE10ELNS1_11target_archE1201ELNS1_3gpuE5ELNS1_3repE0EEENS1_30default_config_static_selectorELNS0_4arch9wavefront6targetE1EEEvT1_,comdat
	.protected	_ZN7rocprim17ROCPRIM_400000_NS6detail17trampoline_kernelINS0_14default_configENS1_20scan_config_selectorIlEEZZNS1_9scan_implILNS1_25lookback_scan_determinismE0ELb0ELb0ES3_PlS8_lN6thrust23THRUST_200600_302600_NS4plusIvEElEEDaPvRmT3_T4_T5_mT6_P12ihipStream_tbENKUlT_T0_E_clISt17integral_constantIbLb1EESQ_EEDaSL_SM_EUlSL_E_NS1_11comp_targetILNS1_3genE10ELNS1_11target_archE1201ELNS1_3gpuE5ELNS1_3repE0EEENS1_30default_config_static_selectorELNS0_4arch9wavefront6targetE1EEEvT1_ ; -- Begin function _ZN7rocprim17ROCPRIM_400000_NS6detail17trampoline_kernelINS0_14default_configENS1_20scan_config_selectorIlEEZZNS1_9scan_implILNS1_25lookback_scan_determinismE0ELb0ELb0ES3_PlS8_lN6thrust23THRUST_200600_302600_NS4plusIvEElEEDaPvRmT3_T4_T5_mT6_P12ihipStream_tbENKUlT_T0_E_clISt17integral_constantIbLb1EESQ_EEDaSL_SM_EUlSL_E_NS1_11comp_targetILNS1_3genE10ELNS1_11target_archE1201ELNS1_3gpuE5ELNS1_3repE0EEENS1_30default_config_static_selectorELNS0_4arch9wavefront6targetE1EEEvT1_
	.globl	_ZN7rocprim17ROCPRIM_400000_NS6detail17trampoline_kernelINS0_14default_configENS1_20scan_config_selectorIlEEZZNS1_9scan_implILNS1_25lookback_scan_determinismE0ELb0ELb0ES3_PlS8_lN6thrust23THRUST_200600_302600_NS4plusIvEElEEDaPvRmT3_T4_T5_mT6_P12ihipStream_tbENKUlT_T0_E_clISt17integral_constantIbLb1EESQ_EEDaSL_SM_EUlSL_E_NS1_11comp_targetILNS1_3genE10ELNS1_11target_archE1201ELNS1_3gpuE5ELNS1_3repE0EEENS1_30default_config_static_selectorELNS0_4arch9wavefront6targetE1EEEvT1_
	.p2align	8
	.type	_ZN7rocprim17ROCPRIM_400000_NS6detail17trampoline_kernelINS0_14default_configENS1_20scan_config_selectorIlEEZZNS1_9scan_implILNS1_25lookback_scan_determinismE0ELb0ELb0ES3_PlS8_lN6thrust23THRUST_200600_302600_NS4plusIvEElEEDaPvRmT3_T4_T5_mT6_P12ihipStream_tbENKUlT_T0_E_clISt17integral_constantIbLb1EESQ_EEDaSL_SM_EUlSL_E_NS1_11comp_targetILNS1_3genE10ELNS1_11target_archE1201ELNS1_3gpuE5ELNS1_3repE0EEENS1_30default_config_static_selectorELNS0_4arch9wavefront6targetE1EEEvT1_,@function
_ZN7rocprim17ROCPRIM_400000_NS6detail17trampoline_kernelINS0_14default_configENS1_20scan_config_selectorIlEEZZNS1_9scan_implILNS1_25lookback_scan_determinismE0ELb0ELb0ES3_PlS8_lN6thrust23THRUST_200600_302600_NS4plusIvEElEEDaPvRmT3_T4_T5_mT6_P12ihipStream_tbENKUlT_T0_E_clISt17integral_constantIbLb1EESQ_EEDaSL_SM_EUlSL_E_NS1_11comp_targetILNS1_3genE10ELNS1_11target_archE1201ELNS1_3gpuE5ELNS1_3repE0EEENS1_30default_config_static_selectorELNS0_4arch9wavefront6targetE1EEEvT1_: ; @_ZN7rocprim17ROCPRIM_400000_NS6detail17trampoline_kernelINS0_14default_configENS1_20scan_config_selectorIlEEZZNS1_9scan_implILNS1_25lookback_scan_determinismE0ELb0ELb0ES3_PlS8_lN6thrust23THRUST_200600_302600_NS4plusIvEElEEDaPvRmT3_T4_T5_mT6_P12ihipStream_tbENKUlT_T0_E_clISt17integral_constantIbLb1EESQ_EEDaSL_SM_EUlSL_E_NS1_11comp_targetILNS1_3genE10ELNS1_11target_archE1201ELNS1_3gpuE5ELNS1_3repE0EEENS1_30default_config_static_selectorELNS0_4arch9wavefront6targetE1EEEvT1_
; %bb.0:
	.section	.rodata,"a",@progbits
	.p2align	6, 0x0
	.amdhsa_kernel _ZN7rocprim17ROCPRIM_400000_NS6detail17trampoline_kernelINS0_14default_configENS1_20scan_config_selectorIlEEZZNS1_9scan_implILNS1_25lookback_scan_determinismE0ELb0ELb0ES3_PlS8_lN6thrust23THRUST_200600_302600_NS4plusIvEElEEDaPvRmT3_T4_T5_mT6_P12ihipStream_tbENKUlT_T0_E_clISt17integral_constantIbLb1EESQ_EEDaSL_SM_EUlSL_E_NS1_11comp_targetILNS1_3genE10ELNS1_11target_archE1201ELNS1_3gpuE5ELNS1_3repE0EEENS1_30default_config_static_selectorELNS0_4arch9wavefront6targetE1EEEvT1_
		.amdhsa_group_segment_fixed_size 0
		.amdhsa_private_segment_fixed_size 0
		.amdhsa_kernarg_size 104
		.amdhsa_user_sgpr_count 6
		.amdhsa_user_sgpr_private_segment_buffer 1
		.amdhsa_user_sgpr_dispatch_ptr 0
		.amdhsa_user_sgpr_queue_ptr 0
		.amdhsa_user_sgpr_kernarg_segment_ptr 1
		.amdhsa_user_sgpr_dispatch_id 0
		.amdhsa_user_sgpr_flat_scratch_init 0
		.amdhsa_user_sgpr_kernarg_preload_length 0
		.amdhsa_user_sgpr_kernarg_preload_offset 0
		.amdhsa_user_sgpr_private_segment_size 0
		.amdhsa_uses_dynamic_stack 0
		.amdhsa_system_sgpr_private_segment_wavefront_offset 0
		.amdhsa_system_sgpr_workgroup_id_x 1
		.amdhsa_system_sgpr_workgroup_id_y 0
		.amdhsa_system_sgpr_workgroup_id_z 0
		.amdhsa_system_sgpr_workgroup_info 0
		.amdhsa_system_vgpr_workitem_id 0
		.amdhsa_next_free_vgpr 1
		.amdhsa_next_free_sgpr 0
		.amdhsa_accum_offset 4
		.amdhsa_reserve_vcc 0
		.amdhsa_reserve_flat_scratch 0
		.amdhsa_float_round_mode_32 0
		.amdhsa_float_round_mode_16_64 0
		.amdhsa_float_denorm_mode_32 3
		.amdhsa_float_denorm_mode_16_64 3
		.amdhsa_dx10_clamp 1
		.amdhsa_ieee_mode 1
		.amdhsa_fp16_overflow 0
		.amdhsa_tg_split 0
		.amdhsa_exception_fp_ieee_invalid_op 0
		.amdhsa_exception_fp_denorm_src 0
		.amdhsa_exception_fp_ieee_div_zero 0
		.amdhsa_exception_fp_ieee_overflow 0
		.amdhsa_exception_fp_ieee_underflow 0
		.amdhsa_exception_fp_ieee_inexact 0
		.amdhsa_exception_int_div_zero 0
	.end_amdhsa_kernel
	.section	.text._ZN7rocprim17ROCPRIM_400000_NS6detail17trampoline_kernelINS0_14default_configENS1_20scan_config_selectorIlEEZZNS1_9scan_implILNS1_25lookback_scan_determinismE0ELb0ELb0ES3_PlS8_lN6thrust23THRUST_200600_302600_NS4plusIvEElEEDaPvRmT3_T4_T5_mT6_P12ihipStream_tbENKUlT_T0_E_clISt17integral_constantIbLb1EESQ_EEDaSL_SM_EUlSL_E_NS1_11comp_targetILNS1_3genE10ELNS1_11target_archE1201ELNS1_3gpuE5ELNS1_3repE0EEENS1_30default_config_static_selectorELNS0_4arch9wavefront6targetE1EEEvT1_,"axG",@progbits,_ZN7rocprim17ROCPRIM_400000_NS6detail17trampoline_kernelINS0_14default_configENS1_20scan_config_selectorIlEEZZNS1_9scan_implILNS1_25lookback_scan_determinismE0ELb0ELb0ES3_PlS8_lN6thrust23THRUST_200600_302600_NS4plusIvEElEEDaPvRmT3_T4_T5_mT6_P12ihipStream_tbENKUlT_T0_E_clISt17integral_constantIbLb1EESQ_EEDaSL_SM_EUlSL_E_NS1_11comp_targetILNS1_3genE10ELNS1_11target_archE1201ELNS1_3gpuE5ELNS1_3repE0EEENS1_30default_config_static_selectorELNS0_4arch9wavefront6targetE1EEEvT1_,comdat
.Lfunc_end108:
	.size	_ZN7rocprim17ROCPRIM_400000_NS6detail17trampoline_kernelINS0_14default_configENS1_20scan_config_selectorIlEEZZNS1_9scan_implILNS1_25lookback_scan_determinismE0ELb0ELb0ES3_PlS8_lN6thrust23THRUST_200600_302600_NS4plusIvEElEEDaPvRmT3_T4_T5_mT6_P12ihipStream_tbENKUlT_T0_E_clISt17integral_constantIbLb1EESQ_EEDaSL_SM_EUlSL_E_NS1_11comp_targetILNS1_3genE10ELNS1_11target_archE1201ELNS1_3gpuE5ELNS1_3repE0EEENS1_30default_config_static_selectorELNS0_4arch9wavefront6targetE1EEEvT1_, .Lfunc_end108-_ZN7rocprim17ROCPRIM_400000_NS6detail17trampoline_kernelINS0_14default_configENS1_20scan_config_selectorIlEEZZNS1_9scan_implILNS1_25lookback_scan_determinismE0ELb0ELb0ES3_PlS8_lN6thrust23THRUST_200600_302600_NS4plusIvEElEEDaPvRmT3_T4_T5_mT6_P12ihipStream_tbENKUlT_T0_E_clISt17integral_constantIbLb1EESQ_EEDaSL_SM_EUlSL_E_NS1_11comp_targetILNS1_3genE10ELNS1_11target_archE1201ELNS1_3gpuE5ELNS1_3repE0EEENS1_30default_config_static_selectorELNS0_4arch9wavefront6targetE1EEEvT1_
                                        ; -- End function
	.section	.AMDGPU.csdata,"",@progbits
; Kernel info:
; codeLenInByte = 0
; NumSgprs: 4
; NumVgprs: 0
; NumAgprs: 0
; TotalNumVgprs: 0
; ScratchSize: 0
; MemoryBound: 0
; FloatMode: 240
; IeeeMode: 1
; LDSByteSize: 0 bytes/workgroup (compile time only)
; SGPRBlocks: 0
; VGPRBlocks: 0
; NumSGPRsForWavesPerEU: 4
; NumVGPRsForWavesPerEU: 1
; AccumOffset: 4
; Occupancy: 8
; WaveLimiterHint : 0
; COMPUTE_PGM_RSRC2:SCRATCH_EN: 0
; COMPUTE_PGM_RSRC2:USER_SGPR: 6
; COMPUTE_PGM_RSRC2:TRAP_HANDLER: 0
; COMPUTE_PGM_RSRC2:TGID_X_EN: 1
; COMPUTE_PGM_RSRC2:TGID_Y_EN: 0
; COMPUTE_PGM_RSRC2:TGID_Z_EN: 0
; COMPUTE_PGM_RSRC2:TIDIG_COMP_CNT: 0
; COMPUTE_PGM_RSRC3_GFX90A:ACCUM_OFFSET: 0
; COMPUTE_PGM_RSRC3_GFX90A:TG_SPLIT: 0
	.section	.text._ZN7rocprim17ROCPRIM_400000_NS6detail17trampoline_kernelINS0_14default_configENS1_20scan_config_selectorIlEEZZNS1_9scan_implILNS1_25lookback_scan_determinismE0ELb0ELb0ES3_PlS8_lN6thrust23THRUST_200600_302600_NS4plusIvEElEEDaPvRmT3_T4_T5_mT6_P12ihipStream_tbENKUlT_T0_E_clISt17integral_constantIbLb1EESQ_EEDaSL_SM_EUlSL_E_NS1_11comp_targetILNS1_3genE10ELNS1_11target_archE1200ELNS1_3gpuE4ELNS1_3repE0EEENS1_30default_config_static_selectorELNS0_4arch9wavefront6targetE1EEEvT1_,"axG",@progbits,_ZN7rocprim17ROCPRIM_400000_NS6detail17trampoline_kernelINS0_14default_configENS1_20scan_config_selectorIlEEZZNS1_9scan_implILNS1_25lookback_scan_determinismE0ELb0ELb0ES3_PlS8_lN6thrust23THRUST_200600_302600_NS4plusIvEElEEDaPvRmT3_T4_T5_mT6_P12ihipStream_tbENKUlT_T0_E_clISt17integral_constantIbLb1EESQ_EEDaSL_SM_EUlSL_E_NS1_11comp_targetILNS1_3genE10ELNS1_11target_archE1200ELNS1_3gpuE4ELNS1_3repE0EEENS1_30default_config_static_selectorELNS0_4arch9wavefront6targetE1EEEvT1_,comdat
	.protected	_ZN7rocprim17ROCPRIM_400000_NS6detail17trampoline_kernelINS0_14default_configENS1_20scan_config_selectorIlEEZZNS1_9scan_implILNS1_25lookback_scan_determinismE0ELb0ELb0ES3_PlS8_lN6thrust23THRUST_200600_302600_NS4plusIvEElEEDaPvRmT3_T4_T5_mT6_P12ihipStream_tbENKUlT_T0_E_clISt17integral_constantIbLb1EESQ_EEDaSL_SM_EUlSL_E_NS1_11comp_targetILNS1_3genE10ELNS1_11target_archE1200ELNS1_3gpuE4ELNS1_3repE0EEENS1_30default_config_static_selectorELNS0_4arch9wavefront6targetE1EEEvT1_ ; -- Begin function _ZN7rocprim17ROCPRIM_400000_NS6detail17trampoline_kernelINS0_14default_configENS1_20scan_config_selectorIlEEZZNS1_9scan_implILNS1_25lookback_scan_determinismE0ELb0ELb0ES3_PlS8_lN6thrust23THRUST_200600_302600_NS4plusIvEElEEDaPvRmT3_T4_T5_mT6_P12ihipStream_tbENKUlT_T0_E_clISt17integral_constantIbLb1EESQ_EEDaSL_SM_EUlSL_E_NS1_11comp_targetILNS1_3genE10ELNS1_11target_archE1200ELNS1_3gpuE4ELNS1_3repE0EEENS1_30default_config_static_selectorELNS0_4arch9wavefront6targetE1EEEvT1_
	.globl	_ZN7rocprim17ROCPRIM_400000_NS6detail17trampoline_kernelINS0_14default_configENS1_20scan_config_selectorIlEEZZNS1_9scan_implILNS1_25lookback_scan_determinismE0ELb0ELb0ES3_PlS8_lN6thrust23THRUST_200600_302600_NS4plusIvEElEEDaPvRmT3_T4_T5_mT6_P12ihipStream_tbENKUlT_T0_E_clISt17integral_constantIbLb1EESQ_EEDaSL_SM_EUlSL_E_NS1_11comp_targetILNS1_3genE10ELNS1_11target_archE1200ELNS1_3gpuE4ELNS1_3repE0EEENS1_30default_config_static_selectorELNS0_4arch9wavefront6targetE1EEEvT1_
	.p2align	8
	.type	_ZN7rocprim17ROCPRIM_400000_NS6detail17trampoline_kernelINS0_14default_configENS1_20scan_config_selectorIlEEZZNS1_9scan_implILNS1_25lookback_scan_determinismE0ELb0ELb0ES3_PlS8_lN6thrust23THRUST_200600_302600_NS4plusIvEElEEDaPvRmT3_T4_T5_mT6_P12ihipStream_tbENKUlT_T0_E_clISt17integral_constantIbLb1EESQ_EEDaSL_SM_EUlSL_E_NS1_11comp_targetILNS1_3genE10ELNS1_11target_archE1200ELNS1_3gpuE4ELNS1_3repE0EEENS1_30default_config_static_selectorELNS0_4arch9wavefront6targetE1EEEvT1_,@function
_ZN7rocprim17ROCPRIM_400000_NS6detail17trampoline_kernelINS0_14default_configENS1_20scan_config_selectorIlEEZZNS1_9scan_implILNS1_25lookback_scan_determinismE0ELb0ELb0ES3_PlS8_lN6thrust23THRUST_200600_302600_NS4plusIvEElEEDaPvRmT3_T4_T5_mT6_P12ihipStream_tbENKUlT_T0_E_clISt17integral_constantIbLb1EESQ_EEDaSL_SM_EUlSL_E_NS1_11comp_targetILNS1_3genE10ELNS1_11target_archE1200ELNS1_3gpuE4ELNS1_3repE0EEENS1_30default_config_static_selectorELNS0_4arch9wavefront6targetE1EEEvT1_: ; @_ZN7rocprim17ROCPRIM_400000_NS6detail17trampoline_kernelINS0_14default_configENS1_20scan_config_selectorIlEEZZNS1_9scan_implILNS1_25lookback_scan_determinismE0ELb0ELb0ES3_PlS8_lN6thrust23THRUST_200600_302600_NS4plusIvEElEEDaPvRmT3_T4_T5_mT6_P12ihipStream_tbENKUlT_T0_E_clISt17integral_constantIbLb1EESQ_EEDaSL_SM_EUlSL_E_NS1_11comp_targetILNS1_3genE10ELNS1_11target_archE1200ELNS1_3gpuE4ELNS1_3repE0EEENS1_30default_config_static_selectorELNS0_4arch9wavefront6targetE1EEEvT1_
; %bb.0:
	.section	.rodata,"a",@progbits
	.p2align	6, 0x0
	.amdhsa_kernel _ZN7rocprim17ROCPRIM_400000_NS6detail17trampoline_kernelINS0_14default_configENS1_20scan_config_selectorIlEEZZNS1_9scan_implILNS1_25lookback_scan_determinismE0ELb0ELb0ES3_PlS8_lN6thrust23THRUST_200600_302600_NS4plusIvEElEEDaPvRmT3_T4_T5_mT6_P12ihipStream_tbENKUlT_T0_E_clISt17integral_constantIbLb1EESQ_EEDaSL_SM_EUlSL_E_NS1_11comp_targetILNS1_3genE10ELNS1_11target_archE1200ELNS1_3gpuE4ELNS1_3repE0EEENS1_30default_config_static_selectorELNS0_4arch9wavefront6targetE1EEEvT1_
		.amdhsa_group_segment_fixed_size 0
		.amdhsa_private_segment_fixed_size 0
		.amdhsa_kernarg_size 104
		.amdhsa_user_sgpr_count 6
		.amdhsa_user_sgpr_private_segment_buffer 1
		.amdhsa_user_sgpr_dispatch_ptr 0
		.amdhsa_user_sgpr_queue_ptr 0
		.amdhsa_user_sgpr_kernarg_segment_ptr 1
		.amdhsa_user_sgpr_dispatch_id 0
		.amdhsa_user_sgpr_flat_scratch_init 0
		.amdhsa_user_sgpr_kernarg_preload_length 0
		.amdhsa_user_sgpr_kernarg_preload_offset 0
		.amdhsa_user_sgpr_private_segment_size 0
		.amdhsa_uses_dynamic_stack 0
		.amdhsa_system_sgpr_private_segment_wavefront_offset 0
		.amdhsa_system_sgpr_workgroup_id_x 1
		.amdhsa_system_sgpr_workgroup_id_y 0
		.amdhsa_system_sgpr_workgroup_id_z 0
		.amdhsa_system_sgpr_workgroup_info 0
		.amdhsa_system_vgpr_workitem_id 0
		.amdhsa_next_free_vgpr 1
		.amdhsa_next_free_sgpr 0
		.amdhsa_accum_offset 4
		.amdhsa_reserve_vcc 0
		.amdhsa_reserve_flat_scratch 0
		.amdhsa_float_round_mode_32 0
		.amdhsa_float_round_mode_16_64 0
		.amdhsa_float_denorm_mode_32 3
		.amdhsa_float_denorm_mode_16_64 3
		.amdhsa_dx10_clamp 1
		.amdhsa_ieee_mode 1
		.amdhsa_fp16_overflow 0
		.amdhsa_tg_split 0
		.amdhsa_exception_fp_ieee_invalid_op 0
		.amdhsa_exception_fp_denorm_src 0
		.amdhsa_exception_fp_ieee_div_zero 0
		.amdhsa_exception_fp_ieee_overflow 0
		.amdhsa_exception_fp_ieee_underflow 0
		.amdhsa_exception_fp_ieee_inexact 0
		.amdhsa_exception_int_div_zero 0
	.end_amdhsa_kernel
	.section	.text._ZN7rocprim17ROCPRIM_400000_NS6detail17trampoline_kernelINS0_14default_configENS1_20scan_config_selectorIlEEZZNS1_9scan_implILNS1_25lookback_scan_determinismE0ELb0ELb0ES3_PlS8_lN6thrust23THRUST_200600_302600_NS4plusIvEElEEDaPvRmT3_T4_T5_mT6_P12ihipStream_tbENKUlT_T0_E_clISt17integral_constantIbLb1EESQ_EEDaSL_SM_EUlSL_E_NS1_11comp_targetILNS1_3genE10ELNS1_11target_archE1200ELNS1_3gpuE4ELNS1_3repE0EEENS1_30default_config_static_selectorELNS0_4arch9wavefront6targetE1EEEvT1_,"axG",@progbits,_ZN7rocprim17ROCPRIM_400000_NS6detail17trampoline_kernelINS0_14default_configENS1_20scan_config_selectorIlEEZZNS1_9scan_implILNS1_25lookback_scan_determinismE0ELb0ELb0ES3_PlS8_lN6thrust23THRUST_200600_302600_NS4plusIvEElEEDaPvRmT3_T4_T5_mT6_P12ihipStream_tbENKUlT_T0_E_clISt17integral_constantIbLb1EESQ_EEDaSL_SM_EUlSL_E_NS1_11comp_targetILNS1_3genE10ELNS1_11target_archE1200ELNS1_3gpuE4ELNS1_3repE0EEENS1_30default_config_static_selectorELNS0_4arch9wavefront6targetE1EEEvT1_,comdat
.Lfunc_end109:
	.size	_ZN7rocprim17ROCPRIM_400000_NS6detail17trampoline_kernelINS0_14default_configENS1_20scan_config_selectorIlEEZZNS1_9scan_implILNS1_25lookback_scan_determinismE0ELb0ELb0ES3_PlS8_lN6thrust23THRUST_200600_302600_NS4plusIvEElEEDaPvRmT3_T4_T5_mT6_P12ihipStream_tbENKUlT_T0_E_clISt17integral_constantIbLb1EESQ_EEDaSL_SM_EUlSL_E_NS1_11comp_targetILNS1_3genE10ELNS1_11target_archE1200ELNS1_3gpuE4ELNS1_3repE0EEENS1_30default_config_static_selectorELNS0_4arch9wavefront6targetE1EEEvT1_, .Lfunc_end109-_ZN7rocprim17ROCPRIM_400000_NS6detail17trampoline_kernelINS0_14default_configENS1_20scan_config_selectorIlEEZZNS1_9scan_implILNS1_25lookback_scan_determinismE0ELb0ELb0ES3_PlS8_lN6thrust23THRUST_200600_302600_NS4plusIvEElEEDaPvRmT3_T4_T5_mT6_P12ihipStream_tbENKUlT_T0_E_clISt17integral_constantIbLb1EESQ_EEDaSL_SM_EUlSL_E_NS1_11comp_targetILNS1_3genE10ELNS1_11target_archE1200ELNS1_3gpuE4ELNS1_3repE0EEENS1_30default_config_static_selectorELNS0_4arch9wavefront6targetE1EEEvT1_
                                        ; -- End function
	.section	.AMDGPU.csdata,"",@progbits
; Kernel info:
; codeLenInByte = 0
; NumSgprs: 4
; NumVgprs: 0
; NumAgprs: 0
; TotalNumVgprs: 0
; ScratchSize: 0
; MemoryBound: 0
; FloatMode: 240
; IeeeMode: 1
; LDSByteSize: 0 bytes/workgroup (compile time only)
; SGPRBlocks: 0
; VGPRBlocks: 0
; NumSGPRsForWavesPerEU: 4
; NumVGPRsForWavesPerEU: 1
; AccumOffset: 4
; Occupancy: 8
; WaveLimiterHint : 0
; COMPUTE_PGM_RSRC2:SCRATCH_EN: 0
; COMPUTE_PGM_RSRC2:USER_SGPR: 6
; COMPUTE_PGM_RSRC2:TRAP_HANDLER: 0
; COMPUTE_PGM_RSRC2:TGID_X_EN: 1
; COMPUTE_PGM_RSRC2:TGID_Y_EN: 0
; COMPUTE_PGM_RSRC2:TGID_Z_EN: 0
; COMPUTE_PGM_RSRC2:TIDIG_COMP_CNT: 0
; COMPUTE_PGM_RSRC3_GFX90A:ACCUM_OFFSET: 0
; COMPUTE_PGM_RSRC3_GFX90A:TG_SPLIT: 0
	.section	.text._ZN7rocprim17ROCPRIM_400000_NS6detail17trampoline_kernelINS0_14default_configENS1_20scan_config_selectorIlEEZZNS1_9scan_implILNS1_25lookback_scan_determinismE0ELb0ELb0ES3_PlS8_lN6thrust23THRUST_200600_302600_NS4plusIvEElEEDaPvRmT3_T4_T5_mT6_P12ihipStream_tbENKUlT_T0_E_clISt17integral_constantIbLb1EESQ_EEDaSL_SM_EUlSL_E_NS1_11comp_targetILNS1_3genE9ELNS1_11target_archE1100ELNS1_3gpuE3ELNS1_3repE0EEENS1_30default_config_static_selectorELNS0_4arch9wavefront6targetE1EEEvT1_,"axG",@progbits,_ZN7rocprim17ROCPRIM_400000_NS6detail17trampoline_kernelINS0_14default_configENS1_20scan_config_selectorIlEEZZNS1_9scan_implILNS1_25lookback_scan_determinismE0ELb0ELb0ES3_PlS8_lN6thrust23THRUST_200600_302600_NS4plusIvEElEEDaPvRmT3_T4_T5_mT6_P12ihipStream_tbENKUlT_T0_E_clISt17integral_constantIbLb1EESQ_EEDaSL_SM_EUlSL_E_NS1_11comp_targetILNS1_3genE9ELNS1_11target_archE1100ELNS1_3gpuE3ELNS1_3repE0EEENS1_30default_config_static_selectorELNS0_4arch9wavefront6targetE1EEEvT1_,comdat
	.protected	_ZN7rocprim17ROCPRIM_400000_NS6detail17trampoline_kernelINS0_14default_configENS1_20scan_config_selectorIlEEZZNS1_9scan_implILNS1_25lookback_scan_determinismE0ELb0ELb0ES3_PlS8_lN6thrust23THRUST_200600_302600_NS4plusIvEElEEDaPvRmT3_T4_T5_mT6_P12ihipStream_tbENKUlT_T0_E_clISt17integral_constantIbLb1EESQ_EEDaSL_SM_EUlSL_E_NS1_11comp_targetILNS1_3genE9ELNS1_11target_archE1100ELNS1_3gpuE3ELNS1_3repE0EEENS1_30default_config_static_selectorELNS0_4arch9wavefront6targetE1EEEvT1_ ; -- Begin function _ZN7rocprim17ROCPRIM_400000_NS6detail17trampoline_kernelINS0_14default_configENS1_20scan_config_selectorIlEEZZNS1_9scan_implILNS1_25lookback_scan_determinismE0ELb0ELb0ES3_PlS8_lN6thrust23THRUST_200600_302600_NS4plusIvEElEEDaPvRmT3_T4_T5_mT6_P12ihipStream_tbENKUlT_T0_E_clISt17integral_constantIbLb1EESQ_EEDaSL_SM_EUlSL_E_NS1_11comp_targetILNS1_3genE9ELNS1_11target_archE1100ELNS1_3gpuE3ELNS1_3repE0EEENS1_30default_config_static_selectorELNS0_4arch9wavefront6targetE1EEEvT1_
	.globl	_ZN7rocprim17ROCPRIM_400000_NS6detail17trampoline_kernelINS0_14default_configENS1_20scan_config_selectorIlEEZZNS1_9scan_implILNS1_25lookback_scan_determinismE0ELb0ELb0ES3_PlS8_lN6thrust23THRUST_200600_302600_NS4plusIvEElEEDaPvRmT3_T4_T5_mT6_P12ihipStream_tbENKUlT_T0_E_clISt17integral_constantIbLb1EESQ_EEDaSL_SM_EUlSL_E_NS1_11comp_targetILNS1_3genE9ELNS1_11target_archE1100ELNS1_3gpuE3ELNS1_3repE0EEENS1_30default_config_static_selectorELNS0_4arch9wavefront6targetE1EEEvT1_
	.p2align	8
	.type	_ZN7rocprim17ROCPRIM_400000_NS6detail17trampoline_kernelINS0_14default_configENS1_20scan_config_selectorIlEEZZNS1_9scan_implILNS1_25lookback_scan_determinismE0ELb0ELb0ES3_PlS8_lN6thrust23THRUST_200600_302600_NS4plusIvEElEEDaPvRmT3_T4_T5_mT6_P12ihipStream_tbENKUlT_T0_E_clISt17integral_constantIbLb1EESQ_EEDaSL_SM_EUlSL_E_NS1_11comp_targetILNS1_3genE9ELNS1_11target_archE1100ELNS1_3gpuE3ELNS1_3repE0EEENS1_30default_config_static_selectorELNS0_4arch9wavefront6targetE1EEEvT1_,@function
_ZN7rocprim17ROCPRIM_400000_NS6detail17trampoline_kernelINS0_14default_configENS1_20scan_config_selectorIlEEZZNS1_9scan_implILNS1_25lookback_scan_determinismE0ELb0ELb0ES3_PlS8_lN6thrust23THRUST_200600_302600_NS4plusIvEElEEDaPvRmT3_T4_T5_mT6_P12ihipStream_tbENKUlT_T0_E_clISt17integral_constantIbLb1EESQ_EEDaSL_SM_EUlSL_E_NS1_11comp_targetILNS1_3genE9ELNS1_11target_archE1100ELNS1_3gpuE3ELNS1_3repE0EEENS1_30default_config_static_selectorELNS0_4arch9wavefront6targetE1EEEvT1_: ; @_ZN7rocprim17ROCPRIM_400000_NS6detail17trampoline_kernelINS0_14default_configENS1_20scan_config_selectorIlEEZZNS1_9scan_implILNS1_25lookback_scan_determinismE0ELb0ELb0ES3_PlS8_lN6thrust23THRUST_200600_302600_NS4plusIvEElEEDaPvRmT3_T4_T5_mT6_P12ihipStream_tbENKUlT_T0_E_clISt17integral_constantIbLb1EESQ_EEDaSL_SM_EUlSL_E_NS1_11comp_targetILNS1_3genE9ELNS1_11target_archE1100ELNS1_3gpuE3ELNS1_3repE0EEENS1_30default_config_static_selectorELNS0_4arch9wavefront6targetE1EEEvT1_
; %bb.0:
	.section	.rodata,"a",@progbits
	.p2align	6, 0x0
	.amdhsa_kernel _ZN7rocprim17ROCPRIM_400000_NS6detail17trampoline_kernelINS0_14default_configENS1_20scan_config_selectorIlEEZZNS1_9scan_implILNS1_25lookback_scan_determinismE0ELb0ELb0ES3_PlS8_lN6thrust23THRUST_200600_302600_NS4plusIvEElEEDaPvRmT3_T4_T5_mT6_P12ihipStream_tbENKUlT_T0_E_clISt17integral_constantIbLb1EESQ_EEDaSL_SM_EUlSL_E_NS1_11comp_targetILNS1_3genE9ELNS1_11target_archE1100ELNS1_3gpuE3ELNS1_3repE0EEENS1_30default_config_static_selectorELNS0_4arch9wavefront6targetE1EEEvT1_
		.amdhsa_group_segment_fixed_size 0
		.amdhsa_private_segment_fixed_size 0
		.amdhsa_kernarg_size 104
		.amdhsa_user_sgpr_count 6
		.amdhsa_user_sgpr_private_segment_buffer 1
		.amdhsa_user_sgpr_dispatch_ptr 0
		.amdhsa_user_sgpr_queue_ptr 0
		.amdhsa_user_sgpr_kernarg_segment_ptr 1
		.amdhsa_user_sgpr_dispatch_id 0
		.amdhsa_user_sgpr_flat_scratch_init 0
		.amdhsa_user_sgpr_kernarg_preload_length 0
		.amdhsa_user_sgpr_kernarg_preload_offset 0
		.amdhsa_user_sgpr_private_segment_size 0
		.amdhsa_uses_dynamic_stack 0
		.amdhsa_system_sgpr_private_segment_wavefront_offset 0
		.amdhsa_system_sgpr_workgroup_id_x 1
		.amdhsa_system_sgpr_workgroup_id_y 0
		.amdhsa_system_sgpr_workgroup_id_z 0
		.amdhsa_system_sgpr_workgroup_info 0
		.amdhsa_system_vgpr_workitem_id 0
		.amdhsa_next_free_vgpr 1
		.amdhsa_next_free_sgpr 0
		.amdhsa_accum_offset 4
		.amdhsa_reserve_vcc 0
		.amdhsa_reserve_flat_scratch 0
		.amdhsa_float_round_mode_32 0
		.amdhsa_float_round_mode_16_64 0
		.amdhsa_float_denorm_mode_32 3
		.amdhsa_float_denorm_mode_16_64 3
		.amdhsa_dx10_clamp 1
		.amdhsa_ieee_mode 1
		.amdhsa_fp16_overflow 0
		.amdhsa_tg_split 0
		.amdhsa_exception_fp_ieee_invalid_op 0
		.amdhsa_exception_fp_denorm_src 0
		.amdhsa_exception_fp_ieee_div_zero 0
		.amdhsa_exception_fp_ieee_overflow 0
		.amdhsa_exception_fp_ieee_underflow 0
		.amdhsa_exception_fp_ieee_inexact 0
		.amdhsa_exception_int_div_zero 0
	.end_amdhsa_kernel
	.section	.text._ZN7rocprim17ROCPRIM_400000_NS6detail17trampoline_kernelINS0_14default_configENS1_20scan_config_selectorIlEEZZNS1_9scan_implILNS1_25lookback_scan_determinismE0ELb0ELb0ES3_PlS8_lN6thrust23THRUST_200600_302600_NS4plusIvEElEEDaPvRmT3_T4_T5_mT6_P12ihipStream_tbENKUlT_T0_E_clISt17integral_constantIbLb1EESQ_EEDaSL_SM_EUlSL_E_NS1_11comp_targetILNS1_3genE9ELNS1_11target_archE1100ELNS1_3gpuE3ELNS1_3repE0EEENS1_30default_config_static_selectorELNS0_4arch9wavefront6targetE1EEEvT1_,"axG",@progbits,_ZN7rocprim17ROCPRIM_400000_NS6detail17trampoline_kernelINS0_14default_configENS1_20scan_config_selectorIlEEZZNS1_9scan_implILNS1_25lookback_scan_determinismE0ELb0ELb0ES3_PlS8_lN6thrust23THRUST_200600_302600_NS4plusIvEElEEDaPvRmT3_T4_T5_mT6_P12ihipStream_tbENKUlT_T0_E_clISt17integral_constantIbLb1EESQ_EEDaSL_SM_EUlSL_E_NS1_11comp_targetILNS1_3genE9ELNS1_11target_archE1100ELNS1_3gpuE3ELNS1_3repE0EEENS1_30default_config_static_selectorELNS0_4arch9wavefront6targetE1EEEvT1_,comdat
.Lfunc_end110:
	.size	_ZN7rocprim17ROCPRIM_400000_NS6detail17trampoline_kernelINS0_14default_configENS1_20scan_config_selectorIlEEZZNS1_9scan_implILNS1_25lookback_scan_determinismE0ELb0ELb0ES3_PlS8_lN6thrust23THRUST_200600_302600_NS4plusIvEElEEDaPvRmT3_T4_T5_mT6_P12ihipStream_tbENKUlT_T0_E_clISt17integral_constantIbLb1EESQ_EEDaSL_SM_EUlSL_E_NS1_11comp_targetILNS1_3genE9ELNS1_11target_archE1100ELNS1_3gpuE3ELNS1_3repE0EEENS1_30default_config_static_selectorELNS0_4arch9wavefront6targetE1EEEvT1_, .Lfunc_end110-_ZN7rocprim17ROCPRIM_400000_NS6detail17trampoline_kernelINS0_14default_configENS1_20scan_config_selectorIlEEZZNS1_9scan_implILNS1_25lookback_scan_determinismE0ELb0ELb0ES3_PlS8_lN6thrust23THRUST_200600_302600_NS4plusIvEElEEDaPvRmT3_T4_T5_mT6_P12ihipStream_tbENKUlT_T0_E_clISt17integral_constantIbLb1EESQ_EEDaSL_SM_EUlSL_E_NS1_11comp_targetILNS1_3genE9ELNS1_11target_archE1100ELNS1_3gpuE3ELNS1_3repE0EEENS1_30default_config_static_selectorELNS0_4arch9wavefront6targetE1EEEvT1_
                                        ; -- End function
	.section	.AMDGPU.csdata,"",@progbits
; Kernel info:
; codeLenInByte = 0
; NumSgprs: 4
; NumVgprs: 0
; NumAgprs: 0
; TotalNumVgprs: 0
; ScratchSize: 0
; MemoryBound: 0
; FloatMode: 240
; IeeeMode: 1
; LDSByteSize: 0 bytes/workgroup (compile time only)
; SGPRBlocks: 0
; VGPRBlocks: 0
; NumSGPRsForWavesPerEU: 4
; NumVGPRsForWavesPerEU: 1
; AccumOffset: 4
; Occupancy: 8
; WaveLimiterHint : 0
; COMPUTE_PGM_RSRC2:SCRATCH_EN: 0
; COMPUTE_PGM_RSRC2:USER_SGPR: 6
; COMPUTE_PGM_RSRC2:TRAP_HANDLER: 0
; COMPUTE_PGM_RSRC2:TGID_X_EN: 1
; COMPUTE_PGM_RSRC2:TGID_Y_EN: 0
; COMPUTE_PGM_RSRC2:TGID_Z_EN: 0
; COMPUTE_PGM_RSRC2:TIDIG_COMP_CNT: 0
; COMPUTE_PGM_RSRC3_GFX90A:ACCUM_OFFSET: 0
; COMPUTE_PGM_RSRC3_GFX90A:TG_SPLIT: 0
	.section	.text._ZN7rocprim17ROCPRIM_400000_NS6detail17trampoline_kernelINS0_14default_configENS1_20scan_config_selectorIlEEZZNS1_9scan_implILNS1_25lookback_scan_determinismE0ELb0ELb0ES3_PlS8_lN6thrust23THRUST_200600_302600_NS4plusIvEElEEDaPvRmT3_T4_T5_mT6_P12ihipStream_tbENKUlT_T0_E_clISt17integral_constantIbLb1EESQ_EEDaSL_SM_EUlSL_E_NS1_11comp_targetILNS1_3genE8ELNS1_11target_archE1030ELNS1_3gpuE2ELNS1_3repE0EEENS1_30default_config_static_selectorELNS0_4arch9wavefront6targetE1EEEvT1_,"axG",@progbits,_ZN7rocprim17ROCPRIM_400000_NS6detail17trampoline_kernelINS0_14default_configENS1_20scan_config_selectorIlEEZZNS1_9scan_implILNS1_25lookback_scan_determinismE0ELb0ELb0ES3_PlS8_lN6thrust23THRUST_200600_302600_NS4plusIvEElEEDaPvRmT3_T4_T5_mT6_P12ihipStream_tbENKUlT_T0_E_clISt17integral_constantIbLb1EESQ_EEDaSL_SM_EUlSL_E_NS1_11comp_targetILNS1_3genE8ELNS1_11target_archE1030ELNS1_3gpuE2ELNS1_3repE0EEENS1_30default_config_static_selectorELNS0_4arch9wavefront6targetE1EEEvT1_,comdat
	.protected	_ZN7rocprim17ROCPRIM_400000_NS6detail17trampoline_kernelINS0_14default_configENS1_20scan_config_selectorIlEEZZNS1_9scan_implILNS1_25lookback_scan_determinismE0ELb0ELb0ES3_PlS8_lN6thrust23THRUST_200600_302600_NS4plusIvEElEEDaPvRmT3_T4_T5_mT6_P12ihipStream_tbENKUlT_T0_E_clISt17integral_constantIbLb1EESQ_EEDaSL_SM_EUlSL_E_NS1_11comp_targetILNS1_3genE8ELNS1_11target_archE1030ELNS1_3gpuE2ELNS1_3repE0EEENS1_30default_config_static_selectorELNS0_4arch9wavefront6targetE1EEEvT1_ ; -- Begin function _ZN7rocprim17ROCPRIM_400000_NS6detail17trampoline_kernelINS0_14default_configENS1_20scan_config_selectorIlEEZZNS1_9scan_implILNS1_25lookback_scan_determinismE0ELb0ELb0ES3_PlS8_lN6thrust23THRUST_200600_302600_NS4plusIvEElEEDaPvRmT3_T4_T5_mT6_P12ihipStream_tbENKUlT_T0_E_clISt17integral_constantIbLb1EESQ_EEDaSL_SM_EUlSL_E_NS1_11comp_targetILNS1_3genE8ELNS1_11target_archE1030ELNS1_3gpuE2ELNS1_3repE0EEENS1_30default_config_static_selectorELNS0_4arch9wavefront6targetE1EEEvT1_
	.globl	_ZN7rocprim17ROCPRIM_400000_NS6detail17trampoline_kernelINS0_14default_configENS1_20scan_config_selectorIlEEZZNS1_9scan_implILNS1_25lookback_scan_determinismE0ELb0ELb0ES3_PlS8_lN6thrust23THRUST_200600_302600_NS4plusIvEElEEDaPvRmT3_T4_T5_mT6_P12ihipStream_tbENKUlT_T0_E_clISt17integral_constantIbLb1EESQ_EEDaSL_SM_EUlSL_E_NS1_11comp_targetILNS1_3genE8ELNS1_11target_archE1030ELNS1_3gpuE2ELNS1_3repE0EEENS1_30default_config_static_selectorELNS0_4arch9wavefront6targetE1EEEvT1_
	.p2align	8
	.type	_ZN7rocprim17ROCPRIM_400000_NS6detail17trampoline_kernelINS0_14default_configENS1_20scan_config_selectorIlEEZZNS1_9scan_implILNS1_25lookback_scan_determinismE0ELb0ELb0ES3_PlS8_lN6thrust23THRUST_200600_302600_NS4plusIvEElEEDaPvRmT3_T4_T5_mT6_P12ihipStream_tbENKUlT_T0_E_clISt17integral_constantIbLb1EESQ_EEDaSL_SM_EUlSL_E_NS1_11comp_targetILNS1_3genE8ELNS1_11target_archE1030ELNS1_3gpuE2ELNS1_3repE0EEENS1_30default_config_static_selectorELNS0_4arch9wavefront6targetE1EEEvT1_,@function
_ZN7rocprim17ROCPRIM_400000_NS6detail17trampoline_kernelINS0_14default_configENS1_20scan_config_selectorIlEEZZNS1_9scan_implILNS1_25lookback_scan_determinismE0ELb0ELb0ES3_PlS8_lN6thrust23THRUST_200600_302600_NS4plusIvEElEEDaPvRmT3_T4_T5_mT6_P12ihipStream_tbENKUlT_T0_E_clISt17integral_constantIbLb1EESQ_EEDaSL_SM_EUlSL_E_NS1_11comp_targetILNS1_3genE8ELNS1_11target_archE1030ELNS1_3gpuE2ELNS1_3repE0EEENS1_30default_config_static_selectorELNS0_4arch9wavefront6targetE1EEEvT1_: ; @_ZN7rocprim17ROCPRIM_400000_NS6detail17trampoline_kernelINS0_14default_configENS1_20scan_config_selectorIlEEZZNS1_9scan_implILNS1_25lookback_scan_determinismE0ELb0ELb0ES3_PlS8_lN6thrust23THRUST_200600_302600_NS4plusIvEElEEDaPvRmT3_T4_T5_mT6_P12ihipStream_tbENKUlT_T0_E_clISt17integral_constantIbLb1EESQ_EEDaSL_SM_EUlSL_E_NS1_11comp_targetILNS1_3genE8ELNS1_11target_archE1030ELNS1_3gpuE2ELNS1_3repE0EEENS1_30default_config_static_selectorELNS0_4arch9wavefront6targetE1EEEvT1_
; %bb.0:
	.section	.rodata,"a",@progbits
	.p2align	6, 0x0
	.amdhsa_kernel _ZN7rocprim17ROCPRIM_400000_NS6detail17trampoline_kernelINS0_14default_configENS1_20scan_config_selectorIlEEZZNS1_9scan_implILNS1_25lookback_scan_determinismE0ELb0ELb0ES3_PlS8_lN6thrust23THRUST_200600_302600_NS4plusIvEElEEDaPvRmT3_T4_T5_mT6_P12ihipStream_tbENKUlT_T0_E_clISt17integral_constantIbLb1EESQ_EEDaSL_SM_EUlSL_E_NS1_11comp_targetILNS1_3genE8ELNS1_11target_archE1030ELNS1_3gpuE2ELNS1_3repE0EEENS1_30default_config_static_selectorELNS0_4arch9wavefront6targetE1EEEvT1_
		.amdhsa_group_segment_fixed_size 0
		.amdhsa_private_segment_fixed_size 0
		.amdhsa_kernarg_size 104
		.amdhsa_user_sgpr_count 6
		.amdhsa_user_sgpr_private_segment_buffer 1
		.amdhsa_user_sgpr_dispatch_ptr 0
		.amdhsa_user_sgpr_queue_ptr 0
		.amdhsa_user_sgpr_kernarg_segment_ptr 1
		.amdhsa_user_sgpr_dispatch_id 0
		.amdhsa_user_sgpr_flat_scratch_init 0
		.amdhsa_user_sgpr_kernarg_preload_length 0
		.amdhsa_user_sgpr_kernarg_preload_offset 0
		.amdhsa_user_sgpr_private_segment_size 0
		.amdhsa_uses_dynamic_stack 0
		.amdhsa_system_sgpr_private_segment_wavefront_offset 0
		.amdhsa_system_sgpr_workgroup_id_x 1
		.amdhsa_system_sgpr_workgroup_id_y 0
		.amdhsa_system_sgpr_workgroup_id_z 0
		.amdhsa_system_sgpr_workgroup_info 0
		.amdhsa_system_vgpr_workitem_id 0
		.amdhsa_next_free_vgpr 1
		.amdhsa_next_free_sgpr 0
		.amdhsa_accum_offset 4
		.amdhsa_reserve_vcc 0
		.amdhsa_reserve_flat_scratch 0
		.amdhsa_float_round_mode_32 0
		.amdhsa_float_round_mode_16_64 0
		.amdhsa_float_denorm_mode_32 3
		.amdhsa_float_denorm_mode_16_64 3
		.amdhsa_dx10_clamp 1
		.amdhsa_ieee_mode 1
		.amdhsa_fp16_overflow 0
		.amdhsa_tg_split 0
		.amdhsa_exception_fp_ieee_invalid_op 0
		.amdhsa_exception_fp_denorm_src 0
		.amdhsa_exception_fp_ieee_div_zero 0
		.amdhsa_exception_fp_ieee_overflow 0
		.amdhsa_exception_fp_ieee_underflow 0
		.amdhsa_exception_fp_ieee_inexact 0
		.amdhsa_exception_int_div_zero 0
	.end_amdhsa_kernel
	.section	.text._ZN7rocprim17ROCPRIM_400000_NS6detail17trampoline_kernelINS0_14default_configENS1_20scan_config_selectorIlEEZZNS1_9scan_implILNS1_25lookback_scan_determinismE0ELb0ELb0ES3_PlS8_lN6thrust23THRUST_200600_302600_NS4plusIvEElEEDaPvRmT3_T4_T5_mT6_P12ihipStream_tbENKUlT_T0_E_clISt17integral_constantIbLb1EESQ_EEDaSL_SM_EUlSL_E_NS1_11comp_targetILNS1_3genE8ELNS1_11target_archE1030ELNS1_3gpuE2ELNS1_3repE0EEENS1_30default_config_static_selectorELNS0_4arch9wavefront6targetE1EEEvT1_,"axG",@progbits,_ZN7rocprim17ROCPRIM_400000_NS6detail17trampoline_kernelINS0_14default_configENS1_20scan_config_selectorIlEEZZNS1_9scan_implILNS1_25lookback_scan_determinismE0ELb0ELb0ES3_PlS8_lN6thrust23THRUST_200600_302600_NS4plusIvEElEEDaPvRmT3_T4_T5_mT6_P12ihipStream_tbENKUlT_T0_E_clISt17integral_constantIbLb1EESQ_EEDaSL_SM_EUlSL_E_NS1_11comp_targetILNS1_3genE8ELNS1_11target_archE1030ELNS1_3gpuE2ELNS1_3repE0EEENS1_30default_config_static_selectorELNS0_4arch9wavefront6targetE1EEEvT1_,comdat
.Lfunc_end111:
	.size	_ZN7rocprim17ROCPRIM_400000_NS6detail17trampoline_kernelINS0_14default_configENS1_20scan_config_selectorIlEEZZNS1_9scan_implILNS1_25lookback_scan_determinismE0ELb0ELb0ES3_PlS8_lN6thrust23THRUST_200600_302600_NS4plusIvEElEEDaPvRmT3_T4_T5_mT6_P12ihipStream_tbENKUlT_T0_E_clISt17integral_constantIbLb1EESQ_EEDaSL_SM_EUlSL_E_NS1_11comp_targetILNS1_3genE8ELNS1_11target_archE1030ELNS1_3gpuE2ELNS1_3repE0EEENS1_30default_config_static_selectorELNS0_4arch9wavefront6targetE1EEEvT1_, .Lfunc_end111-_ZN7rocprim17ROCPRIM_400000_NS6detail17trampoline_kernelINS0_14default_configENS1_20scan_config_selectorIlEEZZNS1_9scan_implILNS1_25lookback_scan_determinismE0ELb0ELb0ES3_PlS8_lN6thrust23THRUST_200600_302600_NS4plusIvEElEEDaPvRmT3_T4_T5_mT6_P12ihipStream_tbENKUlT_T0_E_clISt17integral_constantIbLb1EESQ_EEDaSL_SM_EUlSL_E_NS1_11comp_targetILNS1_3genE8ELNS1_11target_archE1030ELNS1_3gpuE2ELNS1_3repE0EEENS1_30default_config_static_selectorELNS0_4arch9wavefront6targetE1EEEvT1_
                                        ; -- End function
	.section	.AMDGPU.csdata,"",@progbits
; Kernel info:
; codeLenInByte = 0
; NumSgprs: 4
; NumVgprs: 0
; NumAgprs: 0
; TotalNumVgprs: 0
; ScratchSize: 0
; MemoryBound: 0
; FloatMode: 240
; IeeeMode: 1
; LDSByteSize: 0 bytes/workgroup (compile time only)
; SGPRBlocks: 0
; VGPRBlocks: 0
; NumSGPRsForWavesPerEU: 4
; NumVGPRsForWavesPerEU: 1
; AccumOffset: 4
; Occupancy: 8
; WaveLimiterHint : 0
; COMPUTE_PGM_RSRC2:SCRATCH_EN: 0
; COMPUTE_PGM_RSRC2:USER_SGPR: 6
; COMPUTE_PGM_RSRC2:TRAP_HANDLER: 0
; COMPUTE_PGM_RSRC2:TGID_X_EN: 1
; COMPUTE_PGM_RSRC2:TGID_Y_EN: 0
; COMPUTE_PGM_RSRC2:TGID_Z_EN: 0
; COMPUTE_PGM_RSRC2:TIDIG_COMP_CNT: 0
; COMPUTE_PGM_RSRC3_GFX90A:ACCUM_OFFSET: 0
; COMPUTE_PGM_RSRC3_GFX90A:TG_SPLIT: 0
	.section	.text._ZN7rocprim17ROCPRIM_400000_NS6detail17trampoline_kernelINS0_14default_configENS1_20scan_config_selectorIlEEZZNS1_9scan_implILNS1_25lookback_scan_determinismE0ELb0ELb0ES3_PlS8_lN6thrust23THRUST_200600_302600_NS4plusIvEElEEDaPvRmT3_T4_T5_mT6_P12ihipStream_tbENKUlT_T0_E_clISt17integral_constantIbLb1EESQ_EEDaSL_SM_EUlSL_E0_NS1_11comp_targetILNS1_3genE0ELNS1_11target_archE4294967295ELNS1_3gpuE0ELNS1_3repE0EEENS1_30default_config_static_selectorELNS0_4arch9wavefront6targetE1EEEvT1_,"axG",@progbits,_ZN7rocprim17ROCPRIM_400000_NS6detail17trampoline_kernelINS0_14default_configENS1_20scan_config_selectorIlEEZZNS1_9scan_implILNS1_25lookback_scan_determinismE0ELb0ELb0ES3_PlS8_lN6thrust23THRUST_200600_302600_NS4plusIvEElEEDaPvRmT3_T4_T5_mT6_P12ihipStream_tbENKUlT_T0_E_clISt17integral_constantIbLb1EESQ_EEDaSL_SM_EUlSL_E0_NS1_11comp_targetILNS1_3genE0ELNS1_11target_archE4294967295ELNS1_3gpuE0ELNS1_3repE0EEENS1_30default_config_static_selectorELNS0_4arch9wavefront6targetE1EEEvT1_,comdat
	.protected	_ZN7rocprim17ROCPRIM_400000_NS6detail17trampoline_kernelINS0_14default_configENS1_20scan_config_selectorIlEEZZNS1_9scan_implILNS1_25lookback_scan_determinismE0ELb0ELb0ES3_PlS8_lN6thrust23THRUST_200600_302600_NS4plusIvEElEEDaPvRmT3_T4_T5_mT6_P12ihipStream_tbENKUlT_T0_E_clISt17integral_constantIbLb1EESQ_EEDaSL_SM_EUlSL_E0_NS1_11comp_targetILNS1_3genE0ELNS1_11target_archE4294967295ELNS1_3gpuE0ELNS1_3repE0EEENS1_30default_config_static_selectorELNS0_4arch9wavefront6targetE1EEEvT1_ ; -- Begin function _ZN7rocprim17ROCPRIM_400000_NS6detail17trampoline_kernelINS0_14default_configENS1_20scan_config_selectorIlEEZZNS1_9scan_implILNS1_25lookback_scan_determinismE0ELb0ELb0ES3_PlS8_lN6thrust23THRUST_200600_302600_NS4plusIvEElEEDaPvRmT3_T4_T5_mT6_P12ihipStream_tbENKUlT_T0_E_clISt17integral_constantIbLb1EESQ_EEDaSL_SM_EUlSL_E0_NS1_11comp_targetILNS1_3genE0ELNS1_11target_archE4294967295ELNS1_3gpuE0ELNS1_3repE0EEENS1_30default_config_static_selectorELNS0_4arch9wavefront6targetE1EEEvT1_
	.globl	_ZN7rocprim17ROCPRIM_400000_NS6detail17trampoline_kernelINS0_14default_configENS1_20scan_config_selectorIlEEZZNS1_9scan_implILNS1_25lookback_scan_determinismE0ELb0ELb0ES3_PlS8_lN6thrust23THRUST_200600_302600_NS4plusIvEElEEDaPvRmT3_T4_T5_mT6_P12ihipStream_tbENKUlT_T0_E_clISt17integral_constantIbLb1EESQ_EEDaSL_SM_EUlSL_E0_NS1_11comp_targetILNS1_3genE0ELNS1_11target_archE4294967295ELNS1_3gpuE0ELNS1_3repE0EEENS1_30default_config_static_selectorELNS0_4arch9wavefront6targetE1EEEvT1_
	.p2align	8
	.type	_ZN7rocprim17ROCPRIM_400000_NS6detail17trampoline_kernelINS0_14default_configENS1_20scan_config_selectorIlEEZZNS1_9scan_implILNS1_25lookback_scan_determinismE0ELb0ELb0ES3_PlS8_lN6thrust23THRUST_200600_302600_NS4plusIvEElEEDaPvRmT3_T4_T5_mT6_P12ihipStream_tbENKUlT_T0_E_clISt17integral_constantIbLb1EESQ_EEDaSL_SM_EUlSL_E0_NS1_11comp_targetILNS1_3genE0ELNS1_11target_archE4294967295ELNS1_3gpuE0ELNS1_3repE0EEENS1_30default_config_static_selectorELNS0_4arch9wavefront6targetE1EEEvT1_,@function
_ZN7rocprim17ROCPRIM_400000_NS6detail17trampoline_kernelINS0_14default_configENS1_20scan_config_selectorIlEEZZNS1_9scan_implILNS1_25lookback_scan_determinismE0ELb0ELb0ES3_PlS8_lN6thrust23THRUST_200600_302600_NS4plusIvEElEEDaPvRmT3_T4_T5_mT6_P12ihipStream_tbENKUlT_T0_E_clISt17integral_constantIbLb1EESQ_EEDaSL_SM_EUlSL_E0_NS1_11comp_targetILNS1_3genE0ELNS1_11target_archE4294967295ELNS1_3gpuE0ELNS1_3repE0EEENS1_30default_config_static_selectorELNS0_4arch9wavefront6targetE1EEEvT1_: ; @_ZN7rocprim17ROCPRIM_400000_NS6detail17trampoline_kernelINS0_14default_configENS1_20scan_config_selectorIlEEZZNS1_9scan_implILNS1_25lookback_scan_determinismE0ELb0ELb0ES3_PlS8_lN6thrust23THRUST_200600_302600_NS4plusIvEElEEDaPvRmT3_T4_T5_mT6_P12ihipStream_tbENKUlT_T0_E_clISt17integral_constantIbLb1EESQ_EEDaSL_SM_EUlSL_E0_NS1_11comp_targetILNS1_3genE0ELNS1_11target_archE4294967295ELNS1_3gpuE0ELNS1_3repE0EEENS1_30default_config_static_selectorELNS0_4arch9wavefront6targetE1EEEvT1_
; %bb.0:
	.section	.rodata,"a",@progbits
	.p2align	6, 0x0
	.amdhsa_kernel _ZN7rocprim17ROCPRIM_400000_NS6detail17trampoline_kernelINS0_14default_configENS1_20scan_config_selectorIlEEZZNS1_9scan_implILNS1_25lookback_scan_determinismE0ELb0ELb0ES3_PlS8_lN6thrust23THRUST_200600_302600_NS4plusIvEElEEDaPvRmT3_T4_T5_mT6_P12ihipStream_tbENKUlT_T0_E_clISt17integral_constantIbLb1EESQ_EEDaSL_SM_EUlSL_E0_NS1_11comp_targetILNS1_3genE0ELNS1_11target_archE4294967295ELNS1_3gpuE0ELNS1_3repE0EEENS1_30default_config_static_selectorELNS0_4arch9wavefront6targetE1EEEvT1_
		.amdhsa_group_segment_fixed_size 0
		.amdhsa_private_segment_fixed_size 0
		.amdhsa_kernarg_size 40
		.amdhsa_user_sgpr_count 6
		.amdhsa_user_sgpr_private_segment_buffer 1
		.amdhsa_user_sgpr_dispatch_ptr 0
		.amdhsa_user_sgpr_queue_ptr 0
		.amdhsa_user_sgpr_kernarg_segment_ptr 1
		.amdhsa_user_sgpr_dispatch_id 0
		.amdhsa_user_sgpr_flat_scratch_init 0
		.amdhsa_user_sgpr_kernarg_preload_length 0
		.amdhsa_user_sgpr_kernarg_preload_offset 0
		.amdhsa_user_sgpr_private_segment_size 0
		.amdhsa_uses_dynamic_stack 0
		.amdhsa_system_sgpr_private_segment_wavefront_offset 0
		.amdhsa_system_sgpr_workgroup_id_x 1
		.amdhsa_system_sgpr_workgroup_id_y 0
		.amdhsa_system_sgpr_workgroup_id_z 0
		.amdhsa_system_sgpr_workgroup_info 0
		.amdhsa_system_vgpr_workitem_id 0
		.amdhsa_next_free_vgpr 1
		.amdhsa_next_free_sgpr 0
		.amdhsa_accum_offset 4
		.amdhsa_reserve_vcc 0
		.amdhsa_reserve_flat_scratch 0
		.amdhsa_float_round_mode_32 0
		.amdhsa_float_round_mode_16_64 0
		.amdhsa_float_denorm_mode_32 3
		.amdhsa_float_denorm_mode_16_64 3
		.amdhsa_dx10_clamp 1
		.amdhsa_ieee_mode 1
		.amdhsa_fp16_overflow 0
		.amdhsa_tg_split 0
		.amdhsa_exception_fp_ieee_invalid_op 0
		.amdhsa_exception_fp_denorm_src 0
		.amdhsa_exception_fp_ieee_div_zero 0
		.amdhsa_exception_fp_ieee_overflow 0
		.amdhsa_exception_fp_ieee_underflow 0
		.amdhsa_exception_fp_ieee_inexact 0
		.amdhsa_exception_int_div_zero 0
	.end_amdhsa_kernel
	.section	.text._ZN7rocprim17ROCPRIM_400000_NS6detail17trampoline_kernelINS0_14default_configENS1_20scan_config_selectorIlEEZZNS1_9scan_implILNS1_25lookback_scan_determinismE0ELb0ELb0ES3_PlS8_lN6thrust23THRUST_200600_302600_NS4plusIvEElEEDaPvRmT3_T4_T5_mT6_P12ihipStream_tbENKUlT_T0_E_clISt17integral_constantIbLb1EESQ_EEDaSL_SM_EUlSL_E0_NS1_11comp_targetILNS1_3genE0ELNS1_11target_archE4294967295ELNS1_3gpuE0ELNS1_3repE0EEENS1_30default_config_static_selectorELNS0_4arch9wavefront6targetE1EEEvT1_,"axG",@progbits,_ZN7rocprim17ROCPRIM_400000_NS6detail17trampoline_kernelINS0_14default_configENS1_20scan_config_selectorIlEEZZNS1_9scan_implILNS1_25lookback_scan_determinismE0ELb0ELb0ES3_PlS8_lN6thrust23THRUST_200600_302600_NS4plusIvEElEEDaPvRmT3_T4_T5_mT6_P12ihipStream_tbENKUlT_T0_E_clISt17integral_constantIbLb1EESQ_EEDaSL_SM_EUlSL_E0_NS1_11comp_targetILNS1_3genE0ELNS1_11target_archE4294967295ELNS1_3gpuE0ELNS1_3repE0EEENS1_30default_config_static_selectorELNS0_4arch9wavefront6targetE1EEEvT1_,comdat
.Lfunc_end112:
	.size	_ZN7rocprim17ROCPRIM_400000_NS6detail17trampoline_kernelINS0_14default_configENS1_20scan_config_selectorIlEEZZNS1_9scan_implILNS1_25lookback_scan_determinismE0ELb0ELb0ES3_PlS8_lN6thrust23THRUST_200600_302600_NS4plusIvEElEEDaPvRmT3_T4_T5_mT6_P12ihipStream_tbENKUlT_T0_E_clISt17integral_constantIbLb1EESQ_EEDaSL_SM_EUlSL_E0_NS1_11comp_targetILNS1_3genE0ELNS1_11target_archE4294967295ELNS1_3gpuE0ELNS1_3repE0EEENS1_30default_config_static_selectorELNS0_4arch9wavefront6targetE1EEEvT1_, .Lfunc_end112-_ZN7rocprim17ROCPRIM_400000_NS6detail17trampoline_kernelINS0_14default_configENS1_20scan_config_selectorIlEEZZNS1_9scan_implILNS1_25lookback_scan_determinismE0ELb0ELb0ES3_PlS8_lN6thrust23THRUST_200600_302600_NS4plusIvEElEEDaPvRmT3_T4_T5_mT6_P12ihipStream_tbENKUlT_T0_E_clISt17integral_constantIbLb1EESQ_EEDaSL_SM_EUlSL_E0_NS1_11comp_targetILNS1_3genE0ELNS1_11target_archE4294967295ELNS1_3gpuE0ELNS1_3repE0EEENS1_30default_config_static_selectorELNS0_4arch9wavefront6targetE1EEEvT1_
                                        ; -- End function
	.section	.AMDGPU.csdata,"",@progbits
; Kernel info:
; codeLenInByte = 0
; NumSgprs: 4
; NumVgprs: 0
; NumAgprs: 0
; TotalNumVgprs: 0
; ScratchSize: 0
; MemoryBound: 0
; FloatMode: 240
; IeeeMode: 1
; LDSByteSize: 0 bytes/workgroup (compile time only)
; SGPRBlocks: 0
; VGPRBlocks: 0
; NumSGPRsForWavesPerEU: 4
; NumVGPRsForWavesPerEU: 1
; AccumOffset: 4
; Occupancy: 8
; WaveLimiterHint : 0
; COMPUTE_PGM_RSRC2:SCRATCH_EN: 0
; COMPUTE_PGM_RSRC2:USER_SGPR: 6
; COMPUTE_PGM_RSRC2:TRAP_HANDLER: 0
; COMPUTE_PGM_RSRC2:TGID_X_EN: 1
; COMPUTE_PGM_RSRC2:TGID_Y_EN: 0
; COMPUTE_PGM_RSRC2:TGID_Z_EN: 0
; COMPUTE_PGM_RSRC2:TIDIG_COMP_CNT: 0
; COMPUTE_PGM_RSRC3_GFX90A:ACCUM_OFFSET: 0
; COMPUTE_PGM_RSRC3_GFX90A:TG_SPLIT: 0
	.section	.text._ZN7rocprim17ROCPRIM_400000_NS6detail17trampoline_kernelINS0_14default_configENS1_20scan_config_selectorIlEEZZNS1_9scan_implILNS1_25lookback_scan_determinismE0ELb0ELb0ES3_PlS8_lN6thrust23THRUST_200600_302600_NS4plusIvEElEEDaPvRmT3_T4_T5_mT6_P12ihipStream_tbENKUlT_T0_E_clISt17integral_constantIbLb1EESQ_EEDaSL_SM_EUlSL_E0_NS1_11comp_targetILNS1_3genE5ELNS1_11target_archE942ELNS1_3gpuE9ELNS1_3repE0EEENS1_30default_config_static_selectorELNS0_4arch9wavefront6targetE1EEEvT1_,"axG",@progbits,_ZN7rocprim17ROCPRIM_400000_NS6detail17trampoline_kernelINS0_14default_configENS1_20scan_config_selectorIlEEZZNS1_9scan_implILNS1_25lookback_scan_determinismE0ELb0ELb0ES3_PlS8_lN6thrust23THRUST_200600_302600_NS4plusIvEElEEDaPvRmT3_T4_T5_mT6_P12ihipStream_tbENKUlT_T0_E_clISt17integral_constantIbLb1EESQ_EEDaSL_SM_EUlSL_E0_NS1_11comp_targetILNS1_3genE5ELNS1_11target_archE942ELNS1_3gpuE9ELNS1_3repE0EEENS1_30default_config_static_selectorELNS0_4arch9wavefront6targetE1EEEvT1_,comdat
	.protected	_ZN7rocprim17ROCPRIM_400000_NS6detail17trampoline_kernelINS0_14default_configENS1_20scan_config_selectorIlEEZZNS1_9scan_implILNS1_25lookback_scan_determinismE0ELb0ELb0ES3_PlS8_lN6thrust23THRUST_200600_302600_NS4plusIvEElEEDaPvRmT3_T4_T5_mT6_P12ihipStream_tbENKUlT_T0_E_clISt17integral_constantIbLb1EESQ_EEDaSL_SM_EUlSL_E0_NS1_11comp_targetILNS1_3genE5ELNS1_11target_archE942ELNS1_3gpuE9ELNS1_3repE0EEENS1_30default_config_static_selectorELNS0_4arch9wavefront6targetE1EEEvT1_ ; -- Begin function _ZN7rocprim17ROCPRIM_400000_NS6detail17trampoline_kernelINS0_14default_configENS1_20scan_config_selectorIlEEZZNS1_9scan_implILNS1_25lookback_scan_determinismE0ELb0ELb0ES3_PlS8_lN6thrust23THRUST_200600_302600_NS4plusIvEElEEDaPvRmT3_T4_T5_mT6_P12ihipStream_tbENKUlT_T0_E_clISt17integral_constantIbLb1EESQ_EEDaSL_SM_EUlSL_E0_NS1_11comp_targetILNS1_3genE5ELNS1_11target_archE942ELNS1_3gpuE9ELNS1_3repE0EEENS1_30default_config_static_selectorELNS0_4arch9wavefront6targetE1EEEvT1_
	.globl	_ZN7rocprim17ROCPRIM_400000_NS6detail17trampoline_kernelINS0_14default_configENS1_20scan_config_selectorIlEEZZNS1_9scan_implILNS1_25lookback_scan_determinismE0ELb0ELb0ES3_PlS8_lN6thrust23THRUST_200600_302600_NS4plusIvEElEEDaPvRmT3_T4_T5_mT6_P12ihipStream_tbENKUlT_T0_E_clISt17integral_constantIbLb1EESQ_EEDaSL_SM_EUlSL_E0_NS1_11comp_targetILNS1_3genE5ELNS1_11target_archE942ELNS1_3gpuE9ELNS1_3repE0EEENS1_30default_config_static_selectorELNS0_4arch9wavefront6targetE1EEEvT1_
	.p2align	8
	.type	_ZN7rocprim17ROCPRIM_400000_NS6detail17trampoline_kernelINS0_14default_configENS1_20scan_config_selectorIlEEZZNS1_9scan_implILNS1_25lookback_scan_determinismE0ELb0ELb0ES3_PlS8_lN6thrust23THRUST_200600_302600_NS4plusIvEElEEDaPvRmT3_T4_T5_mT6_P12ihipStream_tbENKUlT_T0_E_clISt17integral_constantIbLb1EESQ_EEDaSL_SM_EUlSL_E0_NS1_11comp_targetILNS1_3genE5ELNS1_11target_archE942ELNS1_3gpuE9ELNS1_3repE0EEENS1_30default_config_static_selectorELNS0_4arch9wavefront6targetE1EEEvT1_,@function
_ZN7rocprim17ROCPRIM_400000_NS6detail17trampoline_kernelINS0_14default_configENS1_20scan_config_selectorIlEEZZNS1_9scan_implILNS1_25lookback_scan_determinismE0ELb0ELb0ES3_PlS8_lN6thrust23THRUST_200600_302600_NS4plusIvEElEEDaPvRmT3_T4_T5_mT6_P12ihipStream_tbENKUlT_T0_E_clISt17integral_constantIbLb1EESQ_EEDaSL_SM_EUlSL_E0_NS1_11comp_targetILNS1_3genE5ELNS1_11target_archE942ELNS1_3gpuE9ELNS1_3repE0EEENS1_30default_config_static_selectorELNS0_4arch9wavefront6targetE1EEEvT1_: ; @_ZN7rocprim17ROCPRIM_400000_NS6detail17trampoline_kernelINS0_14default_configENS1_20scan_config_selectorIlEEZZNS1_9scan_implILNS1_25lookback_scan_determinismE0ELb0ELb0ES3_PlS8_lN6thrust23THRUST_200600_302600_NS4plusIvEElEEDaPvRmT3_T4_T5_mT6_P12ihipStream_tbENKUlT_T0_E_clISt17integral_constantIbLb1EESQ_EEDaSL_SM_EUlSL_E0_NS1_11comp_targetILNS1_3genE5ELNS1_11target_archE942ELNS1_3gpuE9ELNS1_3repE0EEENS1_30default_config_static_selectorELNS0_4arch9wavefront6targetE1EEEvT1_
; %bb.0:
	.section	.rodata,"a",@progbits
	.p2align	6, 0x0
	.amdhsa_kernel _ZN7rocprim17ROCPRIM_400000_NS6detail17trampoline_kernelINS0_14default_configENS1_20scan_config_selectorIlEEZZNS1_9scan_implILNS1_25lookback_scan_determinismE0ELb0ELb0ES3_PlS8_lN6thrust23THRUST_200600_302600_NS4plusIvEElEEDaPvRmT3_T4_T5_mT6_P12ihipStream_tbENKUlT_T0_E_clISt17integral_constantIbLb1EESQ_EEDaSL_SM_EUlSL_E0_NS1_11comp_targetILNS1_3genE5ELNS1_11target_archE942ELNS1_3gpuE9ELNS1_3repE0EEENS1_30default_config_static_selectorELNS0_4arch9wavefront6targetE1EEEvT1_
		.amdhsa_group_segment_fixed_size 0
		.amdhsa_private_segment_fixed_size 0
		.amdhsa_kernarg_size 40
		.amdhsa_user_sgpr_count 6
		.amdhsa_user_sgpr_private_segment_buffer 1
		.amdhsa_user_sgpr_dispatch_ptr 0
		.amdhsa_user_sgpr_queue_ptr 0
		.amdhsa_user_sgpr_kernarg_segment_ptr 1
		.amdhsa_user_sgpr_dispatch_id 0
		.amdhsa_user_sgpr_flat_scratch_init 0
		.amdhsa_user_sgpr_kernarg_preload_length 0
		.amdhsa_user_sgpr_kernarg_preload_offset 0
		.amdhsa_user_sgpr_private_segment_size 0
		.amdhsa_uses_dynamic_stack 0
		.amdhsa_system_sgpr_private_segment_wavefront_offset 0
		.amdhsa_system_sgpr_workgroup_id_x 1
		.amdhsa_system_sgpr_workgroup_id_y 0
		.amdhsa_system_sgpr_workgroup_id_z 0
		.amdhsa_system_sgpr_workgroup_info 0
		.amdhsa_system_vgpr_workitem_id 0
		.amdhsa_next_free_vgpr 1
		.amdhsa_next_free_sgpr 0
		.amdhsa_accum_offset 4
		.amdhsa_reserve_vcc 0
		.amdhsa_reserve_flat_scratch 0
		.amdhsa_float_round_mode_32 0
		.amdhsa_float_round_mode_16_64 0
		.amdhsa_float_denorm_mode_32 3
		.amdhsa_float_denorm_mode_16_64 3
		.amdhsa_dx10_clamp 1
		.amdhsa_ieee_mode 1
		.amdhsa_fp16_overflow 0
		.amdhsa_tg_split 0
		.amdhsa_exception_fp_ieee_invalid_op 0
		.amdhsa_exception_fp_denorm_src 0
		.amdhsa_exception_fp_ieee_div_zero 0
		.amdhsa_exception_fp_ieee_overflow 0
		.amdhsa_exception_fp_ieee_underflow 0
		.amdhsa_exception_fp_ieee_inexact 0
		.amdhsa_exception_int_div_zero 0
	.end_amdhsa_kernel
	.section	.text._ZN7rocprim17ROCPRIM_400000_NS6detail17trampoline_kernelINS0_14default_configENS1_20scan_config_selectorIlEEZZNS1_9scan_implILNS1_25lookback_scan_determinismE0ELb0ELb0ES3_PlS8_lN6thrust23THRUST_200600_302600_NS4plusIvEElEEDaPvRmT3_T4_T5_mT6_P12ihipStream_tbENKUlT_T0_E_clISt17integral_constantIbLb1EESQ_EEDaSL_SM_EUlSL_E0_NS1_11comp_targetILNS1_3genE5ELNS1_11target_archE942ELNS1_3gpuE9ELNS1_3repE0EEENS1_30default_config_static_selectorELNS0_4arch9wavefront6targetE1EEEvT1_,"axG",@progbits,_ZN7rocprim17ROCPRIM_400000_NS6detail17trampoline_kernelINS0_14default_configENS1_20scan_config_selectorIlEEZZNS1_9scan_implILNS1_25lookback_scan_determinismE0ELb0ELb0ES3_PlS8_lN6thrust23THRUST_200600_302600_NS4plusIvEElEEDaPvRmT3_T4_T5_mT6_P12ihipStream_tbENKUlT_T0_E_clISt17integral_constantIbLb1EESQ_EEDaSL_SM_EUlSL_E0_NS1_11comp_targetILNS1_3genE5ELNS1_11target_archE942ELNS1_3gpuE9ELNS1_3repE0EEENS1_30default_config_static_selectorELNS0_4arch9wavefront6targetE1EEEvT1_,comdat
.Lfunc_end113:
	.size	_ZN7rocprim17ROCPRIM_400000_NS6detail17trampoline_kernelINS0_14default_configENS1_20scan_config_selectorIlEEZZNS1_9scan_implILNS1_25lookback_scan_determinismE0ELb0ELb0ES3_PlS8_lN6thrust23THRUST_200600_302600_NS4plusIvEElEEDaPvRmT3_T4_T5_mT6_P12ihipStream_tbENKUlT_T0_E_clISt17integral_constantIbLb1EESQ_EEDaSL_SM_EUlSL_E0_NS1_11comp_targetILNS1_3genE5ELNS1_11target_archE942ELNS1_3gpuE9ELNS1_3repE0EEENS1_30default_config_static_selectorELNS0_4arch9wavefront6targetE1EEEvT1_, .Lfunc_end113-_ZN7rocprim17ROCPRIM_400000_NS6detail17trampoline_kernelINS0_14default_configENS1_20scan_config_selectorIlEEZZNS1_9scan_implILNS1_25lookback_scan_determinismE0ELb0ELb0ES3_PlS8_lN6thrust23THRUST_200600_302600_NS4plusIvEElEEDaPvRmT3_T4_T5_mT6_P12ihipStream_tbENKUlT_T0_E_clISt17integral_constantIbLb1EESQ_EEDaSL_SM_EUlSL_E0_NS1_11comp_targetILNS1_3genE5ELNS1_11target_archE942ELNS1_3gpuE9ELNS1_3repE0EEENS1_30default_config_static_selectorELNS0_4arch9wavefront6targetE1EEEvT1_
                                        ; -- End function
	.section	.AMDGPU.csdata,"",@progbits
; Kernel info:
; codeLenInByte = 0
; NumSgprs: 4
; NumVgprs: 0
; NumAgprs: 0
; TotalNumVgprs: 0
; ScratchSize: 0
; MemoryBound: 0
; FloatMode: 240
; IeeeMode: 1
; LDSByteSize: 0 bytes/workgroup (compile time only)
; SGPRBlocks: 0
; VGPRBlocks: 0
; NumSGPRsForWavesPerEU: 4
; NumVGPRsForWavesPerEU: 1
; AccumOffset: 4
; Occupancy: 8
; WaveLimiterHint : 0
; COMPUTE_PGM_RSRC2:SCRATCH_EN: 0
; COMPUTE_PGM_RSRC2:USER_SGPR: 6
; COMPUTE_PGM_RSRC2:TRAP_HANDLER: 0
; COMPUTE_PGM_RSRC2:TGID_X_EN: 1
; COMPUTE_PGM_RSRC2:TGID_Y_EN: 0
; COMPUTE_PGM_RSRC2:TGID_Z_EN: 0
; COMPUTE_PGM_RSRC2:TIDIG_COMP_CNT: 0
; COMPUTE_PGM_RSRC3_GFX90A:ACCUM_OFFSET: 0
; COMPUTE_PGM_RSRC3_GFX90A:TG_SPLIT: 0
	.section	.text._ZN7rocprim17ROCPRIM_400000_NS6detail17trampoline_kernelINS0_14default_configENS1_20scan_config_selectorIlEEZZNS1_9scan_implILNS1_25lookback_scan_determinismE0ELb0ELb0ES3_PlS8_lN6thrust23THRUST_200600_302600_NS4plusIvEElEEDaPvRmT3_T4_T5_mT6_P12ihipStream_tbENKUlT_T0_E_clISt17integral_constantIbLb1EESQ_EEDaSL_SM_EUlSL_E0_NS1_11comp_targetILNS1_3genE4ELNS1_11target_archE910ELNS1_3gpuE8ELNS1_3repE0EEENS1_30default_config_static_selectorELNS0_4arch9wavefront6targetE1EEEvT1_,"axG",@progbits,_ZN7rocprim17ROCPRIM_400000_NS6detail17trampoline_kernelINS0_14default_configENS1_20scan_config_selectorIlEEZZNS1_9scan_implILNS1_25lookback_scan_determinismE0ELb0ELb0ES3_PlS8_lN6thrust23THRUST_200600_302600_NS4plusIvEElEEDaPvRmT3_T4_T5_mT6_P12ihipStream_tbENKUlT_T0_E_clISt17integral_constantIbLb1EESQ_EEDaSL_SM_EUlSL_E0_NS1_11comp_targetILNS1_3genE4ELNS1_11target_archE910ELNS1_3gpuE8ELNS1_3repE0EEENS1_30default_config_static_selectorELNS0_4arch9wavefront6targetE1EEEvT1_,comdat
	.protected	_ZN7rocprim17ROCPRIM_400000_NS6detail17trampoline_kernelINS0_14default_configENS1_20scan_config_selectorIlEEZZNS1_9scan_implILNS1_25lookback_scan_determinismE0ELb0ELb0ES3_PlS8_lN6thrust23THRUST_200600_302600_NS4plusIvEElEEDaPvRmT3_T4_T5_mT6_P12ihipStream_tbENKUlT_T0_E_clISt17integral_constantIbLb1EESQ_EEDaSL_SM_EUlSL_E0_NS1_11comp_targetILNS1_3genE4ELNS1_11target_archE910ELNS1_3gpuE8ELNS1_3repE0EEENS1_30default_config_static_selectorELNS0_4arch9wavefront6targetE1EEEvT1_ ; -- Begin function _ZN7rocprim17ROCPRIM_400000_NS6detail17trampoline_kernelINS0_14default_configENS1_20scan_config_selectorIlEEZZNS1_9scan_implILNS1_25lookback_scan_determinismE0ELb0ELb0ES3_PlS8_lN6thrust23THRUST_200600_302600_NS4plusIvEElEEDaPvRmT3_T4_T5_mT6_P12ihipStream_tbENKUlT_T0_E_clISt17integral_constantIbLb1EESQ_EEDaSL_SM_EUlSL_E0_NS1_11comp_targetILNS1_3genE4ELNS1_11target_archE910ELNS1_3gpuE8ELNS1_3repE0EEENS1_30default_config_static_selectorELNS0_4arch9wavefront6targetE1EEEvT1_
	.globl	_ZN7rocprim17ROCPRIM_400000_NS6detail17trampoline_kernelINS0_14default_configENS1_20scan_config_selectorIlEEZZNS1_9scan_implILNS1_25lookback_scan_determinismE0ELb0ELb0ES3_PlS8_lN6thrust23THRUST_200600_302600_NS4plusIvEElEEDaPvRmT3_T4_T5_mT6_P12ihipStream_tbENKUlT_T0_E_clISt17integral_constantIbLb1EESQ_EEDaSL_SM_EUlSL_E0_NS1_11comp_targetILNS1_3genE4ELNS1_11target_archE910ELNS1_3gpuE8ELNS1_3repE0EEENS1_30default_config_static_selectorELNS0_4arch9wavefront6targetE1EEEvT1_
	.p2align	8
	.type	_ZN7rocprim17ROCPRIM_400000_NS6detail17trampoline_kernelINS0_14default_configENS1_20scan_config_selectorIlEEZZNS1_9scan_implILNS1_25lookback_scan_determinismE0ELb0ELb0ES3_PlS8_lN6thrust23THRUST_200600_302600_NS4plusIvEElEEDaPvRmT3_T4_T5_mT6_P12ihipStream_tbENKUlT_T0_E_clISt17integral_constantIbLb1EESQ_EEDaSL_SM_EUlSL_E0_NS1_11comp_targetILNS1_3genE4ELNS1_11target_archE910ELNS1_3gpuE8ELNS1_3repE0EEENS1_30default_config_static_selectorELNS0_4arch9wavefront6targetE1EEEvT1_,@function
_ZN7rocprim17ROCPRIM_400000_NS6detail17trampoline_kernelINS0_14default_configENS1_20scan_config_selectorIlEEZZNS1_9scan_implILNS1_25lookback_scan_determinismE0ELb0ELb0ES3_PlS8_lN6thrust23THRUST_200600_302600_NS4plusIvEElEEDaPvRmT3_T4_T5_mT6_P12ihipStream_tbENKUlT_T0_E_clISt17integral_constantIbLb1EESQ_EEDaSL_SM_EUlSL_E0_NS1_11comp_targetILNS1_3genE4ELNS1_11target_archE910ELNS1_3gpuE8ELNS1_3repE0EEENS1_30default_config_static_selectorELNS0_4arch9wavefront6targetE1EEEvT1_: ; @_ZN7rocprim17ROCPRIM_400000_NS6detail17trampoline_kernelINS0_14default_configENS1_20scan_config_selectorIlEEZZNS1_9scan_implILNS1_25lookback_scan_determinismE0ELb0ELb0ES3_PlS8_lN6thrust23THRUST_200600_302600_NS4plusIvEElEEDaPvRmT3_T4_T5_mT6_P12ihipStream_tbENKUlT_T0_E_clISt17integral_constantIbLb1EESQ_EEDaSL_SM_EUlSL_E0_NS1_11comp_targetILNS1_3genE4ELNS1_11target_archE910ELNS1_3gpuE8ELNS1_3repE0EEENS1_30default_config_static_selectorELNS0_4arch9wavefront6targetE1EEEvT1_
; %bb.0:
	s_load_dwordx4 s[16:19], s[4:5], 0x0
	v_lshlrev_b32_e32 v21, 3, v0
	s_waitcnt lgkmcnt(0)
	s_load_dwordx2 s[14:15], s[16:17], 0x0
	v_cmp_gt_u32_e32 vcc, s18, v0
	s_waitcnt lgkmcnt(0)
	v_pk_mov_b32 v[2:3], s[14:15], s[14:15] op_sel:[0,1]
	s_and_saveexec_b64 s[0:1], vcc
	s_cbranch_execz .LBB114_2
; %bb.1:
	global_load_dwordx2 v[2:3], v21, s[16:17]
.LBB114_2:
	s_or_b64 exec, exec, s[0:1]
	v_or_b32_e32 v1, 0x80, v0
	v_cmp_gt_u32_e64 s[0:1], s18, v1
	v_pk_mov_b32 v[4:5], s[14:15], s[14:15] op_sel:[0,1]
	s_and_saveexec_b64 s[2:3], s[0:1]
	s_cbranch_execz .LBB114_4
; %bb.3:
	global_load_dwordx2 v[4:5], v21, s[16:17] offset:1024
.LBB114_4:
	s_or_b64 exec, exec, s[2:3]
	v_or_b32_e32 v1, 0x100, v0
	v_cmp_gt_u32_e64 s[2:3], s18, v1
	v_pk_mov_b32 v[6:7], s[14:15], s[14:15] op_sel:[0,1]
	s_and_saveexec_b64 s[6:7], s[2:3]
	s_cbranch_execz .LBB114_6
; %bb.5:
	global_load_dwordx2 v[6:7], v21, s[16:17] offset:2048
.LBB114_6:
	;; [unrolled: 9-line block ×3, first 2 shown]
	s_or_b64 exec, exec, s[6:7]
	v_or_b32_e32 v1, 0x200, v0
	v_cmp_gt_u32_e64 s[6:7], s18, v1
	v_pk_mov_b32 v[10:11], s[14:15], s[14:15] op_sel:[0,1]
	s_and_saveexec_b64 s[8:9], s[6:7]
	s_cbranch_execz .LBB114_10
; %bb.9:
	v_lshlrev_b32_e32 v1, 3, v1
	global_load_dwordx2 v[10:11], v1, s[16:17]
.LBB114_10:
	s_or_b64 exec, exec, s[8:9]
	v_or_b32_e32 v1, 0x280, v0
	v_cmp_gt_u32_e64 s[8:9], s18, v1
	v_pk_mov_b32 v[12:13], s[14:15], s[14:15] op_sel:[0,1]
	s_and_saveexec_b64 s[10:11], s[8:9]
	s_cbranch_execz .LBB114_12
; %bb.11:
	v_lshlrev_b32_e32 v1, 3, v1
	global_load_dwordx2 v[12:13], v1, s[16:17]
.LBB114_12:
	;; [unrolled: 10-line block ×3, first 2 shown]
	s_or_b64 exec, exec, s[14:15]
	v_mad_u32_u24 v1, v0, 48, v21
	s_waitcnt vmcnt(0)
	ds_write2st64_b64 v21, v[2:3], v[4:5] offset1:2
	ds_write2st64_b64 v21, v[6:7], v[8:9] offset0:4 offset1:6
	ds_write2st64_b64 v21, v[10:11], v[12:13] offset0:8 offset1:10
	ds_write_b64 v21, v[14:15] offset:6144
	s_waitcnt lgkmcnt(0)
	s_barrier
	ds_read2_b64 v[2:5], v1 offset1:1
	ds_read2_b64 v[6:9], v1 offset0:2 offset1:3
	ds_read2_b64 v[10:13], v1 offset0:4 offset1:5
	ds_read_b64 v[28:29], v1 offset:48
	s_load_dwordx2 s[16:17], s[4:5], 0x20
	s_waitcnt lgkmcnt(0)
	v_add_co_u32_e64 v20, s[4:5], v4, v2
	v_addc_co_u32_e64 v1, s[4:5], v5, v3, s[4:5]
	v_add_co_u32_e64 v18, s[4:5], v20, v6
	v_addc_co_u32_e64 v19, s[4:5], v1, v7, s[4:5]
	;; [unrolled: 2-line block ×5, first 2 shown]
	v_add_co_u32_e64 v30, s[4:5], v26, v28
	v_lshrrev_b32_e32 v14, 2, v0
	v_addc_co_u32_e64 v31, s[4:5], v27, v29, s[4:5]
	v_and_b32_e32 v14, 24, v14
	v_add_u32_e32 v14, v21, v14
	v_cmp_gt_u32_e64 s[4:5], 64, v0
	s_barrier
	ds_write_b64 v14, v[30:31]
	s_waitcnt lgkmcnt(0)
	s_barrier
	s_and_saveexec_b64 s[18:19], s[4:5]
	s_cbranch_execz .LBB114_18
; %bb.15:
	v_lshlrev_b32_e32 v14, 1, v0
	v_lshrrev_b32_e32 v15, 4, v0
	v_add_lshl_u32 v32, v15, v14, 3
	ds_read2_b64 v[14:17], v32 offset1:1
	s_waitcnt lgkmcnt(0)
	v_add_co_u32_e64 v34, s[4:5], v16, v14
	v_addc_co_u32_e64 v35, s[4:5], v17, v15, s[4:5]
	s_nop 0
	v_mov_b32_dpp v17, v34 row_shr:1 row_mask:0xf bank_mask:0xf
	v_add_co_u32_e64 v17, s[4:5], v34, v17
	v_mbcnt_lo_u32_b32 v16, -1, 0
	v_addc_co_u32_e64 v37, s[4:5], 0, v35, s[4:5]
	v_mbcnt_hi_u32_b32 v33, -1, v16
	v_mov_b32_dpp v36, v35 row_shr:1 row_mask:0xf bank_mask:0xf
	v_add_co_u32_e64 v38, s[4:5], 0, v17
	v_and_b32_e32 v16, 15, v33
	v_addc_co_u32_e64 v36, s[4:5], v36, v37, s[4:5]
	v_cmp_eq_u32_e64 s[4:5], 0, v16
	v_cndmask_b32_e64 v17, v17, v34, s[4:5]
	v_cndmask_b32_e64 v36, v36, v35, s[4:5]
	v_cndmask_b32_e64 v37, v38, v34, s[4:5]
	v_mov_b32_dpp v38, v17 row_shr:2 row_mask:0xf bank_mask:0xf
	v_mov_b32_dpp v39, v36 row_shr:2 row_mask:0xf bank_mask:0xf
	v_add_co_u32_e64 v38, s[4:5], v38, v37
	v_addc_co_u32_e64 v39, s[4:5], v39, v36, s[4:5]
	v_cmp_lt_u32_e64 s[4:5], 1, v16
	v_cndmask_b32_e64 v17, v17, v38, s[4:5]
	v_cndmask_b32_e64 v36, v36, v39, s[4:5]
	v_cndmask_b32_e64 v37, v37, v38, s[4:5]
	v_mov_b32_dpp v38, v17 row_shr:4 row_mask:0xf bank_mask:0xf
	v_mov_b32_dpp v39, v36 row_shr:4 row_mask:0xf bank_mask:0xf
	v_add_co_u32_e64 v38, s[4:5], v38, v37
	v_addc_co_u32_e64 v39, s[4:5], v39, v36, s[4:5]
	v_cmp_lt_u32_e64 s[4:5], 3, v16
	;; [unrolled: 8-line block ×3, first 2 shown]
	v_cndmask_b32_e64 v40, v17, v38, s[4:5]
	v_cndmask_b32_e64 v17, v36, v39, s[4:5]
	v_cndmask_b32_e64 v16, v37, v38, s[4:5]
	v_mov_b32_dpp v36, v40 row_bcast:15 row_mask:0xf bank_mask:0xf
	v_mov_b32_dpp v37, v17 row_bcast:15 row_mask:0xf bank_mask:0xf
	v_add_co_u32_e64 v36, s[4:5], v36, v16
	v_and_b32_e32 v39, 16, v33
	v_addc_co_u32_e64 v38, s[4:5], v37, v17, s[4:5]
	v_cmp_eq_u32_e64 s[4:5], 0, v39
	v_cndmask_b32_e64 v39, v38, v17, s[4:5]
	v_cndmask_b32_e64 v37, v36, v40, s[4:5]
	v_cmp_ne_u32_e64 s[14:15], 0, v33
	v_mov_b32_dpp v39, v39 row_bcast:31 row_mask:0xf bank_mask:0xf
	v_mov_b32_dpp v37, v37 row_bcast:31 row_mask:0xf bank_mask:0xf
	s_and_saveexec_b64 s[20:21], s[14:15]
; %bb.16:
	v_cndmask_b32_e64 v17, v38, v17, s[4:5]
	v_cndmask_b32_e64 v16, v36, v16, s[4:5]
	v_cmp_lt_u32_e64 s[4:5], 31, v33
	v_cndmask_b32_e64 v34, 0, v37, s[4:5]
	v_cndmask_b32_e64 v35, 0, v39, s[4:5]
	v_add_co_u32_e64 v34, s[4:5], v34, v16
	v_addc_co_u32_e64 v35, s[4:5], v35, v17, s[4:5]
; %bb.17:
	s_or_b64 exec, exec, s[20:21]
	v_add_u32_e32 v16, -1, v33
	v_and_b32_e32 v17, 64, v33
	v_cmp_lt_i32_e64 s[4:5], v16, v17
	v_cndmask_b32_e64 v16, v16, v33, s[4:5]
	v_lshlrev_b32_e32 v16, 2, v16
	ds_bpermute_b32 v17, v16, v34
	ds_bpermute_b32 v16, v16, v35
	; wave barrier
	s_waitcnt lgkmcnt(1)
	v_add_co_u32_e64 v14, s[4:5], v14, v17
	v_addc_co_u32_e64 v15, s[4:5], 0, v15, s[4:5]
	v_add_co_u32_e64 v14, s[4:5], 0, v14
	s_waitcnt lgkmcnt(0)
	v_addc_co_u32_e64 v15, s[4:5], v15, v16, s[4:5]
	v_cmp_eq_u32_e64 s[4:5], 0, v0
	v_cndmask_b32_e64 v15, v15, v31, s[4:5]
	v_cndmask_b32_e64 v14, v14, v30, s[4:5]
	ds_write_b64 v32, v[14:15]
	; wave barrier
	ds_read_b64 v[16:17], v32 offset:8
	s_waitcnt lgkmcnt(0)
	v_add_co_u32_e64 v14, s[4:5], v16, v14
	v_addc_co_u32_e64 v15, s[4:5], v17, v15, s[4:5]
	ds_write_b64 v32, v[14:15] offset:8
.LBB114_18:
	s_or_b64 exec, exec, s[18:19]
	v_mul_u32_u24_e32 v16, 48, v0
	v_cmp_ne_u32_e64 s[4:5], 0, v0
	v_pk_mov_b32 v[14:15], v[30:31], v[30:31] op_sel:[0,1]
	s_waitcnt lgkmcnt(0)
	s_barrier
	s_and_saveexec_b64 s[14:15], s[4:5]
	s_cbranch_execz .LBB114_20
; %bb.19:
	v_add_u32_e32 v0, -1, v0
	v_lshrrev_b32_e32 v14, 5, v0
	v_add_lshl_u32 v0, v14, v0, 3
	ds_read_b64 v[14:15], v0
.LBB114_20:
	s_or_b64 exec, exec, s[14:15]
	s_and_saveexec_b64 s[14:15], s[4:5]
	s_cbranch_execz .LBB114_22
; %bb.21:
	s_waitcnt lgkmcnt(0)
	v_add_co_u32_e64 v2, s[4:5], v14, v2
	v_addc_co_u32_e64 v3, s[4:5], v15, v3, s[4:5]
	v_add_co_u32_e64 v20, s[4:5], v2, v4
	v_addc_co_u32_e64 v1, s[4:5], v3, v5, s[4:5]
	;; [unrolled: 2-line block ×7, first 2 shown]
	;;#ASMSTART
	;;#ASMEND
.LBB114_22:
	s_or_b64 exec, exec, s[14:15]
	v_add_u32_e32 v4, v21, v16
	v_mov_b32_e32 v0, v20
	s_waitcnt lgkmcnt(0)
	s_barrier
	ds_write2_b64 v4, v[2:3], v[0:1] offset1:1
	ds_write2_b64 v4, v[18:19], v[24:25] offset0:2 offset1:3
	ds_write2_b64 v4, v[22:23], v[26:27] offset0:4 offset1:5
	ds_write_b64 v4, v[30:31] offset:48
	s_waitcnt lgkmcnt(0)
	s_barrier
	ds_read2st64_b64 v[8:11], v21 offset0:2 offset1:4
	ds_read2st64_b64 v[4:7], v21 offset0:6 offset1:8
	;; [unrolled: 1-line block ×3, first 2 shown]
	v_mov_b32_e32 v13, s17
	v_add_co_u32_e64 v12, s[4:5], s16, v21
	v_addc_co_u32_e64 v13, s[4:5], 0, v13, s[4:5]
	s_and_saveexec_b64 s[4:5], vcc
	s_cbranch_execnz .LBB114_30
; %bb.23:
	s_or_b64 exec, exec, s[4:5]
	s_and_saveexec_b64 s[4:5], s[0:1]
	s_cbranch_execnz .LBB114_31
.LBB114_24:
	s_or_b64 exec, exec, s[4:5]
	s_and_saveexec_b64 s[0:1], s[2:3]
	s_cbranch_execnz .LBB114_32
.LBB114_25:
	s_or_b64 exec, exec, s[0:1]
	s_and_saveexec_b64 s[0:1], s[12:13]
	s_cbranch_execnz .LBB114_33
.LBB114_26:
	s_or_b64 exec, exec, s[0:1]
	s_and_saveexec_b64 s[0:1], s[6:7]
	s_cbranch_execnz .LBB114_34
.LBB114_27:
	s_or_b64 exec, exec, s[0:1]
	s_and_saveexec_b64 s[0:1], s[8:9]
	s_cbranch_execnz .LBB114_35
.LBB114_28:
	s_or_b64 exec, exec, s[0:1]
	s_and_saveexec_b64 s[0:1], s[10:11]
	s_cbranch_execnz .LBB114_36
.LBB114_29:
	s_endpgm
.LBB114_30:
	ds_read_b64 v[14:15], v21
	s_waitcnt lgkmcnt(0)
	global_store_dwordx2 v[12:13], v[14:15], off
	s_or_b64 exec, exec, s[4:5]
	s_and_saveexec_b64 s[4:5], s[0:1]
	s_cbranch_execz .LBB114_24
.LBB114_31:
	s_waitcnt lgkmcnt(2)
	global_store_dwordx2 v[12:13], v[8:9], off offset:1024
	s_or_b64 exec, exec, s[4:5]
	s_and_saveexec_b64 s[0:1], s[2:3]
	s_cbranch_execz .LBB114_25
.LBB114_32:
	s_waitcnt lgkmcnt(2)
	global_store_dwordx2 v[12:13], v[10:11], off offset:2048
	s_or_b64 exec, exec, s[0:1]
	s_and_saveexec_b64 s[0:1], s[12:13]
	s_cbranch_execz .LBB114_26
.LBB114_33:
	s_waitcnt lgkmcnt(1)
	global_store_dwordx2 v[12:13], v[4:5], off offset:3072
	s_or_b64 exec, exec, s[0:1]
	s_and_saveexec_b64 s[0:1], s[6:7]
	s_cbranch_execz .LBB114_27
.LBB114_34:
	s_waitcnt lgkmcnt(1)
	v_add_co_u32_e32 v4, vcc, 0x1000, v12
	v_addc_co_u32_e32 v5, vcc, 0, v13, vcc
	global_store_dwordx2 v[4:5], v[6:7], off
	s_or_b64 exec, exec, s[0:1]
	s_and_saveexec_b64 s[0:1], s[8:9]
	s_cbranch_execz .LBB114_28
.LBB114_35:
	s_waitcnt lgkmcnt(1)
	v_add_co_u32_e32 v4, vcc, 0x1000, v12
	v_addc_co_u32_e32 v5, vcc, 0, v13, vcc
	s_waitcnt lgkmcnt(0)
	global_store_dwordx2 v[4:5], v[0:1], off offset:1024
	s_or_b64 exec, exec, s[0:1]
	s_and_saveexec_b64 s[0:1], s[10:11]
	s_cbranch_execz .LBB114_29
.LBB114_36:
	s_waitcnt lgkmcnt(0)
	v_add_co_u32_e32 v0, vcc, 0x1000, v12
	v_addc_co_u32_e32 v1, vcc, 0, v13, vcc
	global_store_dwordx2 v[0:1], v[2:3], off offset:2048
	s_endpgm
	.section	.rodata,"a",@progbits
	.p2align	6, 0x0
	.amdhsa_kernel _ZN7rocprim17ROCPRIM_400000_NS6detail17trampoline_kernelINS0_14default_configENS1_20scan_config_selectorIlEEZZNS1_9scan_implILNS1_25lookback_scan_determinismE0ELb0ELb0ES3_PlS8_lN6thrust23THRUST_200600_302600_NS4plusIvEElEEDaPvRmT3_T4_T5_mT6_P12ihipStream_tbENKUlT_T0_E_clISt17integral_constantIbLb1EESQ_EEDaSL_SM_EUlSL_E0_NS1_11comp_targetILNS1_3genE4ELNS1_11target_archE910ELNS1_3gpuE8ELNS1_3repE0EEENS1_30default_config_static_selectorELNS0_4arch9wavefront6targetE1EEEvT1_
		.amdhsa_group_segment_fixed_size 7168
		.amdhsa_private_segment_fixed_size 0
		.amdhsa_kernarg_size 40
		.amdhsa_user_sgpr_count 6
		.amdhsa_user_sgpr_private_segment_buffer 1
		.amdhsa_user_sgpr_dispatch_ptr 0
		.amdhsa_user_sgpr_queue_ptr 0
		.amdhsa_user_sgpr_kernarg_segment_ptr 1
		.amdhsa_user_sgpr_dispatch_id 0
		.amdhsa_user_sgpr_flat_scratch_init 0
		.amdhsa_user_sgpr_kernarg_preload_length 0
		.amdhsa_user_sgpr_kernarg_preload_offset 0
		.amdhsa_user_sgpr_private_segment_size 0
		.amdhsa_uses_dynamic_stack 0
		.amdhsa_system_sgpr_private_segment_wavefront_offset 0
		.amdhsa_system_sgpr_workgroup_id_x 1
		.amdhsa_system_sgpr_workgroup_id_y 0
		.amdhsa_system_sgpr_workgroup_id_z 0
		.amdhsa_system_sgpr_workgroup_info 0
		.amdhsa_system_vgpr_workitem_id 0
		.amdhsa_next_free_vgpr 41
		.amdhsa_next_free_sgpr 22
		.amdhsa_accum_offset 44
		.amdhsa_reserve_vcc 1
		.amdhsa_reserve_flat_scratch 0
		.amdhsa_float_round_mode_32 0
		.amdhsa_float_round_mode_16_64 0
		.amdhsa_float_denorm_mode_32 3
		.amdhsa_float_denorm_mode_16_64 3
		.amdhsa_dx10_clamp 1
		.amdhsa_ieee_mode 1
		.amdhsa_fp16_overflow 0
		.amdhsa_tg_split 0
		.amdhsa_exception_fp_ieee_invalid_op 0
		.amdhsa_exception_fp_denorm_src 0
		.amdhsa_exception_fp_ieee_div_zero 0
		.amdhsa_exception_fp_ieee_overflow 0
		.amdhsa_exception_fp_ieee_underflow 0
		.amdhsa_exception_fp_ieee_inexact 0
		.amdhsa_exception_int_div_zero 0
	.end_amdhsa_kernel
	.section	.text._ZN7rocprim17ROCPRIM_400000_NS6detail17trampoline_kernelINS0_14default_configENS1_20scan_config_selectorIlEEZZNS1_9scan_implILNS1_25lookback_scan_determinismE0ELb0ELb0ES3_PlS8_lN6thrust23THRUST_200600_302600_NS4plusIvEElEEDaPvRmT3_T4_T5_mT6_P12ihipStream_tbENKUlT_T0_E_clISt17integral_constantIbLb1EESQ_EEDaSL_SM_EUlSL_E0_NS1_11comp_targetILNS1_3genE4ELNS1_11target_archE910ELNS1_3gpuE8ELNS1_3repE0EEENS1_30default_config_static_selectorELNS0_4arch9wavefront6targetE1EEEvT1_,"axG",@progbits,_ZN7rocprim17ROCPRIM_400000_NS6detail17trampoline_kernelINS0_14default_configENS1_20scan_config_selectorIlEEZZNS1_9scan_implILNS1_25lookback_scan_determinismE0ELb0ELb0ES3_PlS8_lN6thrust23THRUST_200600_302600_NS4plusIvEElEEDaPvRmT3_T4_T5_mT6_P12ihipStream_tbENKUlT_T0_E_clISt17integral_constantIbLb1EESQ_EEDaSL_SM_EUlSL_E0_NS1_11comp_targetILNS1_3genE4ELNS1_11target_archE910ELNS1_3gpuE8ELNS1_3repE0EEENS1_30default_config_static_selectorELNS0_4arch9wavefront6targetE1EEEvT1_,comdat
.Lfunc_end114:
	.size	_ZN7rocprim17ROCPRIM_400000_NS6detail17trampoline_kernelINS0_14default_configENS1_20scan_config_selectorIlEEZZNS1_9scan_implILNS1_25lookback_scan_determinismE0ELb0ELb0ES3_PlS8_lN6thrust23THRUST_200600_302600_NS4plusIvEElEEDaPvRmT3_T4_T5_mT6_P12ihipStream_tbENKUlT_T0_E_clISt17integral_constantIbLb1EESQ_EEDaSL_SM_EUlSL_E0_NS1_11comp_targetILNS1_3genE4ELNS1_11target_archE910ELNS1_3gpuE8ELNS1_3repE0EEENS1_30default_config_static_selectorELNS0_4arch9wavefront6targetE1EEEvT1_, .Lfunc_end114-_ZN7rocprim17ROCPRIM_400000_NS6detail17trampoline_kernelINS0_14default_configENS1_20scan_config_selectorIlEEZZNS1_9scan_implILNS1_25lookback_scan_determinismE0ELb0ELb0ES3_PlS8_lN6thrust23THRUST_200600_302600_NS4plusIvEElEEDaPvRmT3_T4_T5_mT6_P12ihipStream_tbENKUlT_T0_E_clISt17integral_constantIbLb1EESQ_EEDaSL_SM_EUlSL_E0_NS1_11comp_targetILNS1_3genE4ELNS1_11target_archE910ELNS1_3gpuE8ELNS1_3repE0EEENS1_30default_config_static_selectorELNS0_4arch9wavefront6targetE1EEEvT1_
                                        ; -- End function
	.section	.AMDGPU.csdata,"",@progbits
; Kernel info:
; codeLenInByte = 1804
; NumSgprs: 26
; NumVgprs: 41
; NumAgprs: 0
; TotalNumVgprs: 41
; ScratchSize: 0
; MemoryBound: 0
; FloatMode: 240
; IeeeMode: 1
; LDSByteSize: 7168 bytes/workgroup (compile time only)
; SGPRBlocks: 3
; VGPRBlocks: 5
; NumSGPRsForWavesPerEU: 26
; NumVGPRsForWavesPerEU: 41
; AccumOffset: 44
; Occupancy: 5
; WaveLimiterHint : 0
; COMPUTE_PGM_RSRC2:SCRATCH_EN: 0
; COMPUTE_PGM_RSRC2:USER_SGPR: 6
; COMPUTE_PGM_RSRC2:TRAP_HANDLER: 0
; COMPUTE_PGM_RSRC2:TGID_X_EN: 1
; COMPUTE_PGM_RSRC2:TGID_Y_EN: 0
; COMPUTE_PGM_RSRC2:TGID_Z_EN: 0
; COMPUTE_PGM_RSRC2:TIDIG_COMP_CNT: 0
; COMPUTE_PGM_RSRC3_GFX90A:ACCUM_OFFSET: 10
; COMPUTE_PGM_RSRC3_GFX90A:TG_SPLIT: 0
	.section	.text._ZN7rocprim17ROCPRIM_400000_NS6detail17trampoline_kernelINS0_14default_configENS1_20scan_config_selectorIlEEZZNS1_9scan_implILNS1_25lookback_scan_determinismE0ELb0ELb0ES3_PlS8_lN6thrust23THRUST_200600_302600_NS4plusIvEElEEDaPvRmT3_T4_T5_mT6_P12ihipStream_tbENKUlT_T0_E_clISt17integral_constantIbLb1EESQ_EEDaSL_SM_EUlSL_E0_NS1_11comp_targetILNS1_3genE3ELNS1_11target_archE908ELNS1_3gpuE7ELNS1_3repE0EEENS1_30default_config_static_selectorELNS0_4arch9wavefront6targetE1EEEvT1_,"axG",@progbits,_ZN7rocprim17ROCPRIM_400000_NS6detail17trampoline_kernelINS0_14default_configENS1_20scan_config_selectorIlEEZZNS1_9scan_implILNS1_25lookback_scan_determinismE0ELb0ELb0ES3_PlS8_lN6thrust23THRUST_200600_302600_NS4plusIvEElEEDaPvRmT3_T4_T5_mT6_P12ihipStream_tbENKUlT_T0_E_clISt17integral_constantIbLb1EESQ_EEDaSL_SM_EUlSL_E0_NS1_11comp_targetILNS1_3genE3ELNS1_11target_archE908ELNS1_3gpuE7ELNS1_3repE0EEENS1_30default_config_static_selectorELNS0_4arch9wavefront6targetE1EEEvT1_,comdat
	.protected	_ZN7rocprim17ROCPRIM_400000_NS6detail17trampoline_kernelINS0_14default_configENS1_20scan_config_selectorIlEEZZNS1_9scan_implILNS1_25lookback_scan_determinismE0ELb0ELb0ES3_PlS8_lN6thrust23THRUST_200600_302600_NS4plusIvEElEEDaPvRmT3_T4_T5_mT6_P12ihipStream_tbENKUlT_T0_E_clISt17integral_constantIbLb1EESQ_EEDaSL_SM_EUlSL_E0_NS1_11comp_targetILNS1_3genE3ELNS1_11target_archE908ELNS1_3gpuE7ELNS1_3repE0EEENS1_30default_config_static_selectorELNS0_4arch9wavefront6targetE1EEEvT1_ ; -- Begin function _ZN7rocprim17ROCPRIM_400000_NS6detail17trampoline_kernelINS0_14default_configENS1_20scan_config_selectorIlEEZZNS1_9scan_implILNS1_25lookback_scan_determinismE0ELb0ELb0ES3_PlS8_lN6thrust23THRUST_200600_302600_NS4plusIvEElEEDaPvRmT3_T4_T5_mT6_P12ihipStream_tbENKUlT_T0_E_clISt17integral_constantIbLb1EESQ_EEDaSL_SM_EUlSL_E0_NS1_11comp_targetILNS1_3genE3ELNS1_11target_archE908ELNS1_3gpuE7ELNS1_3repE0EEENS1_30default_config_static_selectorELNS0_4arch9wavefront6targetE1EEEvT1_
	.globl	_ZN7rocprim17ROCPRIM_400000_NS6detail17trampoline_kernelINS0_14default_configENS1_20scan_config_selectorIlEEZZNS1_9scan_implILNS1_25lookback_scan_determinismE0ELb0ELb0ES3_PlS8_lN6thrust23THRUST_200600_302600_NS4plusIvEElEEDaPvRmT3_T4_T5_mT6_P12ihipStream_tbENKUlT_T0_E_clISt17integral_constantIbLb1EESQ_EEDaSL_SM_EUlSL_E0_NS1_11comp_targetILNS1_3genE3ELNS1_11target_archE908ELNS1_3gpuE7ELNS1_3repE0EEENS1_30default_config_static_selectorELNS0_4arch9wavefront6targetE1EEEvT1_
	.p2align	8
	.type	_ZN7rocprim17ROCPRIM_400000_NS6detail17trampoline_kernelINS0_14default_configENS1_20scan_config_selectorIlEEZZNS1_9scan_implILNS1_25lookback_scan_determinismE0ELb0ELb0ES3_PlS8_lN6thrust23THRUST_200600_302600_NS4plusIvEElEEDaPvRmT3_T4_T5_mT6_P12ihipStream_tbENKUlT_T0_E_clISt17integral_constantIbLb1EESQ_EEDaSL_SM_EUlSL_E0_NS1_11comp_targetILNS1_3genE3ELNS1_11target_archE908ELNS1_3gpuE7ELNS1_3repE0EEENS1_30default_config_static_selectorELNS0_4arch9wavefront6targetE1EEEvT1_,@function
_ZN7rocprim17ROCPRIM_400000_NS6detail17trampoline_kernelINS0_14default_configENS1_20scan_config_selectorIlEEZZNS1_9scan_implILNS1_25lookback_scan_determinismE0ELb0ELb0ES3_PlS8_lN6thrust23THRUST_200600_302600_NS4plusIvEElEEDaPvRmT3_T4_T5_mT6_P12ihipStream_tbENKUlT_T0_E_clISt17integral_constantIbLb1EESQ_EEDaSL_SM_EUlSL_E0_NS1_11comp_targetILNS1_3genE3ELNS1_11target_archE908ELNS1_3gpuE7ELNS1_3repE0EEENS1_30default_config_static_selectorELNS0_4arch9wavefront6targetE1EEEvT1_: ; @_ZN7rocprim17ROCPRIM_400000_NS6detail17trampoline_kernelINS0_14default_configENS1_20scan_config_selectorIlEEZZNS1_9scan_implILNS1_25lookback_scan_determinismE0ELb0ELb0ES3_PlS8_lN6thrust23THRUST_200600_302600_NS4plusIvEElEEDaPvRmT3_T4_T5_mT6_P12ihipStream_tbENKUlT_T0_E_clISt17integral_constantIbLb1EESQ_EEDaSL_SM_EUlSL_E0_NS1_11comp_targetILNS1_3genE3ELNS1_11target_archE908ELNS1_3gpuE7ELNS1_3repE0EEENS1_30default_config_static_selectorELNS0_4arch9wavefront6targetE1EEEvT1_
; %bb.0:
	.section	.rodata,"a",@progbits
	.p2align	6, 0x0
	.amdhsa_kernel _ZN7rocprim17ROCPRIM_400000_NS6detail17trampoline_kernelINS0_14default_configENS1_20scan_config_selectorIlEEZZNS1_9scan_implILNS1_25lookback_scan_determinismE0ELb0ELb0ES3_PlS8_lN6thrust23THRUST_200600_302600_NS4plusIvEElEEDaPvRmT3_T4_T5_mT6_P12ihipStream_tbENKUlT_T0_E_clISt17integral_constantIbLb1EESQ_EEDaSL_SM_EUlSL_E0_NS1_11comp_targetILNS1_3genE3ELNS1_11target_archE908ELNS1_3gpuE7ELNS1_3repE0EEENS1_30default_config_static_selectorELNS0_4arch9wavefront6targetE1EEEvT1_
		.amdhsa_group_segment_fixed_size 0
		.amdhsa_private_segment_fixed_size 0
		.amdhsa_kernarg_size 40
		.amdhsa_user_sgpr_count 6
		.amdhsa_user_sgpr_private_segment_buffer 1
		.amdhsa_user_sgpr_dispatch_ptr 0
		.amdhsa_user_sgpr_queue_ptr 0
		.amdhsa_user_sgpr_kernarg_segment_ptr 1
		.amdhsa_user_sgpr_dispatch_id 0
		.amdhsa_user_sgpr_flat_scratch_init 0
		.amdhsa_user_sgpr_kernarg_preload_length 0
		.amdhsa_user_sgpr_kernarg_preload_offset 0
		.amdhsa_user_sgpr_private_segment_size 0
		.amdhsa_uses_dynamic_stack 0
		.amdhsa_system_sgpr_private_segment_wavefront_offset 0
		.amdhsa_system_sgpr_workgroup_id_x 1
		.amdhsa_system_sgpr_workgroup_id_y 0
		.amdhsa_system_sgpr_workgroup_id_z 0
		.amdhsa_system_sgpr_workgroup_info 0
		.amdhsa_system_vgpr_workitem_id 0
		.amdhsa_next_free_vgpr 1
		.amdhsa_next_free_sgpr 0
		.amdhsa_accum_offset 4
		.amdhsa_reserve_vcc 0
		.amdhsa_reserve_flat_scratch 0
		.amdhsa_float_round_mode_32 0
		.amdhsa_float_round_mode_16_64 0
		.amdhsa_float_denorm_mode_32 3
		.amdhsa_float_denorm_mode_16_64 3
		.amdhsa_dx10_clamp 1
		.amdhsa_ieee_mode 1
		.amdhsa_fp16_overflow 0
		.amdhsa_tg_split 0
		.amdhsa_exception_fp_ieee_invalid_op 0
		.amdhsa_exception_fp_denorm_src 0
		.amdhsa_exception_fp_ieee_div_zero 0
		.amdhsa_exception_fp_ieee_overflow 0
		.amdhsa_exception_fp_ieee_underflow 0
		.amdhsa_exception_fp_ieee_inexact 0
		.amdhsa_exception_int_div_zero 0
	.end_amdhsa_kernel
	.section	.text._ZN7rocprim17ROCPRIM_400000_NS6detail17trampoline_kernelINS0_14default_configENS1_20scan_config_selectorIlEEZZNS1_9scan_implILNS1_25lookback_scan_determinismE0ELb0ELb0ES3_PlS8_lN6thrust23THRUST_200600_302600_NS4plusIvEElEEDaPvRmT3_T4_T5_mT6_P12ihipStream_tbENKUlT_T0_E_clISt17integral_constantIbLb1EESQ_EEDaSL_SM_EUlSL_E0_NS1_11comp_targetILNS1_3genE3ELNS1_11target_archE908ELNS1_3gpuE7ELNS1_3repE0EEENS1_30default_config_static_selectorELNS0_4arch9wavefront6targetE1EEEvT1_,"axG",@progbits,_ZN7rocprim17ROCPRIM_400000_NS6detail17trampoline_kernelINS0_14default_configENS1_20scan_config_selectorIlEEZZNS1_9scan_implILNS1_25lookback_scan_determinismE0ELb0ELb0ES3_PlS8_lN6thrust23THRUST_200600_302600_NS4plusIvEElEEDaPvRmT3_T4_T5_mT6_P12ihipStream_tbENKUlT_T0_E_clISt17integral_constantIbLb1EESQ_EEDaSL_SM_EUlSL_E0_NS1_11comp_targetILNS1_3genE3ELNS1_11target_archE908ELNS1_3gpuE7ELNS1_3repE0EEENS1_30default_config_static_selectorELNS0_4arch9wavefront6targetE1EEEvT1_,comdat
.Lfunc_end115:
	.size	_ZN7rocprim17ROCPRIM_400000_NS6detail17trampoline_kernelINS0_14default_configENS1_20scan_config_selectorIlEEZZNS1_9scan_implILNS1_25lookback_scan_determinismE0ELb0ELb0ES3_PlS8_lN6thrust23THRUST_200600_302600_NS4plusIvEElEEDaPvRmT3_T4_T5_mT6_P12ihipStream_tbENKUlT_T0_E_clISt17integral_constantIbLb1EESQ_EEDaSL_SM_EUlSL_E0_NS1_11comp_targetILNS1_3genE3ELNS1_11target_archE908ELNS1_3gpuE7ELNS1_3repE0EEENS1_30default_config_static_selectorELNS0_4arch9wavefront6targetE1EEEvT1_, .Lfunc_end115-_ZN7rocprim17ROCPRIM_400000_NS6detail17trampoline_kernelINS0_14default_configENS1_20scan_config_selectorIlEEZZNS1_9scan_implILNS1_25lookback_scan_determinismE0ELb0ELb0ES3_PlS8_lN6thrust23THRUST_200600_302600_NS4plusIvEElEEDaPvRmT3_T4_T5_mT6_P12ihipStream_tbENKUlT_T0_E_clISt17integral_constantIbLb1EESQ_EEDaSL_SM_EUlSL_E0_NS1_11comp_targetILNS1_3genE3ELNS1_11target_archE908ELNS1_3gpuE7ELNS1_3repE0EEENS1_30default_config_static_selectorELNS0_4arch9wavefront6targetE1EEEvT1_
                                        ; -- End function
	.section	.AMDGPU.csdata,"",@progbits
; Kernel info:
; codeLenInByte = 0
; NumSgprs: 4
; NumVgprs: 0
; NumAgprs: 0
; TotalNumVgprs: 0
; ScratchSize: 0
; MemoryBound: 0
; FloatMode: 240
; IeeeMode: 1
; LDSByteSize: 0 bytes/workgroup (compile time only)
; SGPRBlocks: 0
; VGPRBlocks: 0
; NumSGPRsForWavesPerEU: 4
; NumVGPRsForWavesPerEU: 1
; AccumOffset: 4
; Occupancy: 8
; WaveLimiterHint : 0
; COMPUTE_PGM_RSRC2:SCRATCH_EN: 0
; COMPUTE_PGM_RSRC2:USER_SGPR: 6
; COMPUTE_PGM_RSRC2:TRAP_HANDLER: 0
; COMPUTE_PGM_RSRC2:TGID_X_EN: 1
; COMPUTE_PGM_RSRC2:TGID_Y_EN: 0
; COMPUTE_PGM_RSRC2:TGID_Z_EN: 0
; COMPUTE_PGM_RSRC2:TIDIG_COMP_CNT: 0
; COMPUTE_PGM_RSRC3_GFX90A:ACCUM_OFFSET: 0
; COMPUTE_PGM_RSRC3_GFX90A:TG_SPLIT: 0
	.section	.text._ZN7rocprim17ROCPRIM_400000_NS6detail17trampoline_kernelINS0_14default_configENS1_20scan_config_selectorIlEEZZNS1_9scan_implILNS1_25lookback_scan_determinismE0ELb0ELb0ES3_PlS8_lN6thrust23THRUST_200600_302600_NS4plusIvEElEEDaPvRmT3_T4_T5_mT6_P12ihipStream_tbENKUlT_T0_E_clISt17integral_constantIbLb1EESQ_EEDaSL_SM_EUlSL_E0_NS1_11comp_targetILNS1_3genE2ELNS1_11target_archE906ELNS1_3gpuE6ELNS1_3repE0EEENS1_30default_config_static_selectorELNS0_4arch9wavefront6targetE1EEEvT1_,"axG",@progbits,_ZN7rocprim17ROCPRIM_400000_NS6detail17trampoline_kernelINS0_14default_configENS1_20scan_config_selectorIlEEZZNS1_9scan_implILNS1_25lookback_scan_determinismE0ELb0ELb0ES3_PlS8_lN6thrust23THRUST_200600_302600_NS4plusIvEElEEDaPvRmT3_T4_T5_mT6_P12ihipStream_tbENKUlT_T0_E_clISt17integral_constantIbLb1EESQ_EEDaSL_SM_EUlSL_E0_NS1_11comp_targetILNS1_3genE2ELNS1_11target_archE906ELNS1_3gpuE6ELNS1_3repE0EEENS1_30default_config_static_selectorELNS0_4arch9wavefront6targetE1EEEvT1_,comdat
	.protected	_ZN7rocprim17ROCPRIM_400000_NS6detail17trampoline_kernelINS0_14default_configENS1_20scan_config_selectorIlEEZZNS1_9scan_implILNS1_25lookback_scan_determinismE0ELb0ELb0ES3_PlS8_lN6thrust23THRUST_200600_302600_NS4plusIvEElEEDaPvRmT3_T4_T5_mT6_P12ihipStream_tbENKUlT_T0_E_clISt17integral_constantIbLb1EESQ_EEDaSL_SM_EUlSL_E0_NS1_11comp_targetILNS1_3genE2ELNS1_11target_archE906ELNS1_3gpuE6ELNS1_3repE0EEENS1_30default_config_static_selectorELNS0_4arch9wavefront6targetE1EEEvT1_ ; -- Begin function _ZN7rocprim17ROCPRIM_400000_NS6detail17trampoline_kernelINS0_14default_configENS1_20scan_config_selectorIlEEZZNS1_9scan_implILNS1_25lookback_scan_determinismE0ELb0ELb0ES3_PlS8_lN6thrust23THRUST_200600_302600_NS4plusIvEElEEDaPvRmT3_T4_T5_mT6_P12ihipStream_tbENKUlT_T0_E_clISt17integral_constantIbLb1EESQ_EEDaSL_SM_EUlSL_E0_NS1_11comp_targetILNS1_3genE2ELNS1_11target_archE906ELNS1_3gpuE6ELNS1_3repE0EEENS1_30default_config_static_selectorELNS0_4arch9wavefront6targetE1EEEvT1_
	.globl	_ZN7rocprim17ROCPRIM_400000_NS6detail17trampoline_kernelINS0_14default_configENS1_20scan_config_selectorIlEEZZNS1_9scan_implILNS1_25lookback_scan_determinismE0ELb0ELb0ES3_PlS8_lN6thrust23THRUST_200600_302600_NS4plusIvEElEEDaPvRmT3_T4_T5_mT6_P12ihipStream_tbENKUlT_T0_E_clISt17integral_constantIbLb1EESQ_EEDaSL_SM_EUlSL_E0_NS1_11comp_targetILNS1_3genE2ELNS1_11target_archE906ELNS1_3gpuE6ELNS1_3repE0EEENS1_30default_config_static_selectorELNS0_4arch9wavefront6targetE1EEEvT1_
	.p2align	8
	.type	_ZN7rocprim17ROCPRIM_400000_NS6detail17trampoline_kernelINS0_14default_configENS1_20scan_config_selectorIlEEZZNS1_9scan_implILNS1_25lookback_scan_determinismE0ELb0ELb0ES3_PlS8_lN6thrust23THRUST_200600_302600_NS4plusIvEElEEDaPvRmT3_T4_T5_mT6_P12ihipStream_tbENKUlT_T0_E_clISt17integral_constantIbLb1EESQ_EEDaSL_SM_EUlSL_E0_NS1_11comp_targetILNS1_3genE2ELNS1_11target_archE906ELNS1_3gpuE6ELNS1_3repE0EEENS1_30default_config_static_selectorELNS0_4arch9wavefront6targetE1EEEvT1_,@function
_ZN7rocprim17ROCPRIM_400000_NS6detail17trampoline_kernelINS0_14default_configENS1_20scan_config_selectorIlEEZZNS1_9scan_implILNS1_25lookback_scan_determinismE0ELb0ELb0ES3_PlS8_lN6thrust23THRUST_200600_302600_NS4plusIvEElEEDaPvRmT3_T4_T5_mT6_P12ihipStream_tbENKUlT_T0_E_clISt17integral_constantIbLb1EESQ_EEDaSL_SM_EUlSL_E0_NS1_11comp_targetILNS1_3genE2ELNS1_11target_archE906ELNS1_3gpuE6ELNS1_3repE0EEENS1_30default_config_static_selectorELNS0_4arch9wavefront6targetE1EEEvT1_: ; @_ZN7rocprim17ROCPRIM_400000_NS6detail17trampoline_kernelINS0_14default_configENS1_20scan_config_selectorIlEEZZNS1_9scan_implILNS1_25lookback_scan_determinismE0ELb0ELb0ES3_PlS8_lN6thrust23THRUST_200600_302600_NS4plusIvEElEEDaPvRmT3_T4_T5_mT6_P12ihipStream_tbENKUlT_T0_E_clISt17integral_constantIbLb1EESQ_EEDaSL_SM_EUlSL_E0_NS1_11comp_targetILNS1_3genE2ELNS1_11target_archE906ELNS1_3gpuE6ELNS1_3repE0EEENS1_30default_config_static_selectorELNS0_4arch9wavefront6targetE1EEEvT1_
; %bb.0:
	.section	.rodata,"a",@progbits
	.p2align	6, 0x0
	.amdhsa_kernel _ZN7rocprim17ROCPRIM_400000_NS6detail17trampoline_kernelINS0_14default_configENS1_20scan_config_selectorIlEEZZNS1_9scan_implILNS1_25lookback_scan_determinismE0ELb0ELb0ES3_PlS8_lN6thrust23THRUST_200600_302600_NS4plusIvEElEEDaPvRmT3_T4_T5_mT6_P12ihipStream_tbENKUlT_T0_E_clISt17integral_constantIbLb1EESQ_EEDaSL_SM_EUlSL_E0_NS1_11comp_targetILNS1_3genE2ELNS1_11target_archE906ELNS1_3gpuE6ELNS1_3repE0EEENS1_30default_config_static_selectorELNS0_4arch9wavefront6targetE1EEEvT1_
		.amdhsa_group_segment_fixed_size 0
		.amdhsa_private_segment_fixed_size 0
		.amdhsa_kernarg_size 40
		.amdhsa_user_sgpr_count 6
		.amdhsa_user_sgpr_private_segment_buffer 1
		.amdhsa_user_sgpr_dispatch_ptr 0
		.amdhsa_user_sgpr_queue_ptr 0
		.amdhsa_user_sgpr_kernarg_segment_ptr 1
		.amdhsa_user_sgpr_dispatch_id 0
		.amdhsa_user_sgpr_flat_scratch_init 0
		.amdhsa_user_sgpr_kernarg_preload_length 0
		.amdhsa_user_sgpr_kernarg_preload_offset 0
		.amdhsa_user_sgpr_private_segment_size 0
		.amdhsa_uses_dynamic_stack 0
		.amdhsa_system_sgpr_private_segment_wavefront_offset 0
		.amdhsa_system_sgpr_workgroup_id_x 1
		.amdhsa_system_sgpr_workgroup_id_y 0
		.amdhsa_system_sgpr_workgroup_id_z 0
		.amdhsa_system_sgpr_workgroup_info 0
		.amdhsa_system_vgpr_workitem_id 0
		.amdhsa_next_free_vgpr 1
		.amdhsa_next_free_sgpr 0
		.amdhsa_accum_offset 4
		.amdhsa_reserve_vcc 0
		.amdhsa_reserve_flat_scratch 0
		.amdhsa_float_round_mode_32 0
		.amdhsa_float_round_mode_16_64 0
		.amdhsa_float_denorm_mode_32 3
		.amdhsa_float_denorm_mode_16_64 3
		.amdhsa_dx10_clamp 1
		.amdhsa_ieee_mode 1
		.amdhsa_fp16_overflow 0
		.amdhsa_tg_split 0
		.amdhsa_exception_fp_ieee_invalid_op 0
		.amdhsa_exception_fp_denorm_src 0
		.amdhsa_exception_fp_ieee_div_zero 0
		.amdhsa_exception_fp_ieee_overflow 0
		.amdhsa_exception_fp_ieee_underflow 0
		.amdhsa_exception_fp_ieee_inexact 0
		.amdhsa_exception_int_div_zero 0
	.end_amdhsa_kernel
	.section	.text._ZN7rocprim17ROCPRIM_400000_NS6detail17trampoline_kernelINS0_14default_configENS1_20scan_config_selectorIlEEZZNS1_9scan_implILNS1_25lookback_scan_determinismE0ELb0ELb0ES3_PlS8_lN6thrust23THRUST_200600_302600_NS4plusIvEElEEDaPvRmT3_T4_T5_mT6_P12ihipStream_tbENKUlT_T0_E_clISt17integral_constantIbLb1EESQ_EEDaSL_SM_EUlSL_E0_NS1_11comp_targetILNS1_3genE2ELNS1_11target_archE906ELNS1_3gpuE6ELNS1_3repE0EEENS1_30default_config_static_selectorELNS0_4arch9wavefront6targetE1EEEvT1_,"axG",@progbits,_ZN7rocprim17ROCPRIM_400000_NS6detail17trampoline_kernelINS0_14default_configENS1_20scan_config_selectorIlEEZZNS1_9scan_implILNS1_25lookback_scan_determinismE0ELb0ELb0ES3_PlS8_lN6thrust23THRUST_200600_302600_NS4plusIvEElEEDaPvRmT3_T4_T5_mT6_P12ihipStream_tbENKUlT_T0_E_clISt17integral_constantIbLb1EESQ_EEDaSL_SM_EUlSL_E0_NS1_11comp_targetILNS1_3genE2ELNS1_11target_archE906ELNS1_3gpuE6ELNS1_3repE0EEENS1_30default_config_static_selectorELNS0_4arch9wavefront6targetE1EEEvT1_,comdat
.Lfunc_end116:
	.size	_ZN7rocprim17ROCPRIM_400000_NS6detail17trampoline_kernelINS0_14default_configENS1_20scan_config_selectorIlEEZZNS1_9scan_implILNS1_25lookback_scan_determinismE0ELb0ELb0ES3_PlS8_lN6thrust23THRUST_200600_302600_NS4plusIvEElEEDaPvRmT3_T4_T5_mT6_P12ihipStream_tbENKUlT_T0_E_clISt17integral_constantIbLb1EESQ_EEDaSL_SM_EUlSL_E0_NS1_11comp_targetILNS1_3genE2ELNS1_11target_archE906ELNS1_3gpuE6ELNS1_3repE0EEENS1_30default_config_static_selectorELNS0_4arch9wavefront6targetE1EEEvT1_, .Lfunc_end116-_ZN7rocprim17ROCPRIM_400000_NS6detail17trampoline_kernelINS0_14default_configENS1_20scan_config_selectorIlEEZZNS1_9scan_implILNS1_25lookback_scan_determinismE0ELb0ELb0ES3_PlS8_lN6thrust23THRUST_200600_302600_NS4plusIvEElEEDaPvRmT3_T4_T5_mT6_P12ihipStream_tbENKUlT_T0_E_clISt17integral_constantIbLb1EESQ_EEDaSL_SM_EUlSL_E0_NS1_11comp_targetILNS1_3genE2ELNS1_11target_archE906ELNS1_3gpuE6ELNS1_3repE0EEENS1_30default_config_static_selectorELNS0_4arch9wavefront6targetE1EEEvT1_
                                        ; -- End function
	.section	.AMDGPU.csdata,"",@progbits
; Kernel info:
; codeLenInByte = 0
; NumSgprs: 4
; NumVgprs: 0
; NumAgprs: 0
; TotalNumVgprs: 0
; ScratchSize: 0
; MemoryBound: 0
; FloatMode: 240
; IeeeMode: 1
; LDSByteSize: 0 bytes/workgroup (compile time only)
; SGPRBlocks: 0
; VGPRBlocks: 0
; NumSGPRsForWavesPerEU: 4
; NumVGPRsForWavesPerEU: 1
; AccumOffset: 4
; Occupancy: 8
; WaveLimiterHint : 0
; COMPUTE_PGM_RSRC2:SCRATCH_EN: 0
; COMPUTE_PGM_RSRC2:USER_SGPR: 6
; COMPUTE_PGM_RSRC2:TRAP_HANDLER: 0
; COMPUTE_PGM_RSRC2:TGID_X_EN: 1
; COMPUTE_PGM_RSRC2:TGID_Y_EN: 0
; COMPUTE_PGM_RSRC2:TGID_Z_EN: 0
; COMPUTE_PGM_RSRC2:TIDIG_COMP_CNT: 0
; COMPUTE_PGM_RSRC3_GFX90A:ACCUM_OFFSET: 0
; COMPUTE_PGM_RSRC3_GFX90A:TG_SPLIT: 0
	.section	.text._ZN7rocprim17ROCPRIM_400000_NS6detail17trampoline_kernelINS0_14default_configENS1_20scan_config_selectorIlEEZZNS1_9scan_implILNS1_25lookback_scan_determinismE0ELb0ELb0ES3_PlS8_lN6thrust23THRUST_200600_302600_NS4plusIvEElEEDaPvRmT3_T4_T5_mT6_P12ihipStream_tbENKUlT_T0_E_clISt17integral_constantIbLb1EESQ_EEDaSL_SM_EUlSL_E0_NS1_11comp_targetILNS1_3genE10ELNS1_11target_archE1201ELNS1_3gpuE5ELNS1_3repE0EEENS1_30default_config_static_selectorELNS0_4arch9wavefront6targetE1EEEvT1_,"axG",@progbits,_ZN7rocprim17ROCPRIM_400000_NS6detail17trampoline_kernelINS0_14default_configENS1_20scan_config_selectorIlEEZZNS1_9scan_implILNS1_25lookback_scan_determinismE0ELb0ELb0ES3_PlS8_lN6thrust23THRUST_200600_302600_NS4plusIvEElEEDaPvRmT3_T4_T5_mT6_P12ihipStream_tbENKUlT_T0_E_clISt17integral_constantIbLb1EESQ_EEDaSL_SM_EUlSL_E0_NS1_11comp_targetILNS1_3genE10ELNS1_11target_archE1201ELNS1_3gpuE5ELNS1_3repE0EEENS1_30default_config_static_selectorELNS0_4arch9wavefront6targetE1EEEvT1_,comdat
	.protected	_ZN7rocprim17ROCPRIM_400000_NS6detail17trampoline_kernelINS0_14default_configENS1_20scan_config_selectorIlEEZZNS1_9scan_implILNS1_25lookback_scan_determinismE0ELb0ELb0ES3_PlS8_lN6thrust23THRUST_200600_302600_NS4plusIvEElEEDaPvRmT3_T4_T5_mT6_P12ihipStream_tbENKUlT_T0_E_clISt17integral_constantIbLb1EESQ_EEDaSL_SM_EUlSL_E0_NS1_11comp_targetILNS1_3genE10ELNS1_11target_archE1201ELNS1_3gpuE5ELNS1_3repE0EEENS1_30default_config_static_selectorELNS0_4arch9wavefront6targetE1EEEvT1_ ; -- Begin function _ZN7rocprim17ROCPRIM_400000_NS6detail17trampoline_kernelINS0_14default_configENS1_20scan_config_selectorIlEEZZNS1_9scan_implILNS1_25lookback_scan_determinismE0ELb0ELb0ES3_PlS8_lN6thrust23THRUST_200600_302600_NS4plusIvEElEEDaPvRmT3_T4_T5_mT6_P12ihipStream_tbENKUlT_T0_E_clISt17integral_constantIbLb1EESQ_EEDaSL_SM_EUlSL_E0_NS1_11comp_targetILNS1_3genE10ELNS1_11target_archE1201ELNS1_3gpuE5ELNS1_3repE0EEENS1_30default_config_static_selectorELNS0_4arch9wavefront6targetE1EEEvT1_
	.globl	_ZN7rocprim17ROCPRIM_400000_NS6detail17trampoline_kernelINS0_14default_configENS1_20scan_config_selectorIlEEZZNS1_9scan_implILNS1_25lookback_scan_determinismE0ELb0ELb0ES3_PlS8_lN6thrust23THRUST_200600_302600_NS4plusIvEElEEDaPvRmT3_T4_T5_mT6_P12ihipStream_tbENKUlT_T0_E_clISt17integral_constantIbLb1EESQ_EEDaSL_SM_EUlSL_E0_NS1_11comp_targetILNS1_3genE10ELNS1_11target_archE1201ELNS1_3gpuE5ELNS1_3repE0EEENS1_30default_config_static_selectorELNS0_4arch9wavefront6targetE1EEEvT1_
	.p2align	8
	.type	_ZN7rocprim17ROCPRIM_400000_NS6detail17trampoline_kernelINS0_14default_configENS1_20scan_config_selectorIlEEZZNS1_9scan_implILNS1_25lookback_scan_determinismE0ELb0ELb0ES3_PlS8_lN6thrust23THRUST_200600_302600_NS4plusIvEElEEDaPvRmT3_T4_T5_mT6_P12ihipStream_tbENKUlT_T0_E_clISt17integral_constantIbLb1EESQ_EEDaSL_SM_EUlSL_E0_NS1_11comp_targetILNS1_3genE10ELNS1_11target_archE1201ELNS1_3gpuE5ELNS1_3repE0EEENS1_30default_config_static_selectorELNS0_4arch9wavefront6targetE1EEEvT1_,@function
_ZN7rocprim17ROCPRIM_400000_NS6detail17trampoline_kernelINS0_14default_configENS1_20scan_config_selectorIlEEZZNS1_9scan_implILNS1_25lookback_scan_determinismE0ELb0ELb0ES3_PlS8_lN6thrust23THRUST_200600_302600_NS4plusIvEElEEDaPvRmT3_T4_T5_mT6_P12ihipStream_tbENKUlT_T0_E_clISt17integral_constantIbLb1EESQ_EEDaSL_SM_EUlSL_E0_NS1_11comp_targetILNS1_3genE10ELNS1_11target_archE1201ELNS1_3gpuE5ELNS1_3repE0EEENS1_30default_config_static_selectorELNS0_4arch9wavefront6targetE1EEEvT1_: ; @_ZN7rocprim17ROCPRIM_400000_NS6detail17trampoline_kernelINS0_14default_configENS1_20scan_config_selectorIlEEZZNS1_9scan_implILNS1_25lookback_scan_determinismE0ELb0ELb0ES3_PlS8_lN6thrust23THRUST_200600_302600_NS4plusIvEElEEDaPvRmT3_T4_T5_mT6_P12ihipStream_tbENKUlT_T0_E_clISt17integral_constantIbLb1EESQ_EEDaSL_SM_EUlSL_E0_NS1_11comp_targetILNS1_3genE10ELNS1_11target_archE1201ELNS1_3gpuE5ELNS1_3repE0EEENS1_30default_config_static_selectorELNS0_4arch9wavefront6targetE1EEEvT1_
; %bb.0:
	.section	.rodata,"a",@progbits
	.p2align	6, 0x0
	.amdhsa_kernel _ZN7rocprim17ROCPRIM_400000_NS6detail17trampoline_kernelINS0_14default_configENS1_20scan_config_selectorIlEEZZNS1_9scan_implILNS1_25lookback_scan_determinismE0ELb0ELb0ES3_PlS8_lN6thrust23THRUST_200600_302600_NS4plusIvEElEEDaPvRmT3_T4_T5_mT6_P12ihipStream_tbENKUlT_T0_E_clISt17integral_constantIbLb1EESQ_EEDaSL_SM_EUlSL_E0_NS1_11comp_targetILNS1_3genE10ELNS1_11target_archE1201ELNS1_3gpuE5ELNS1_3repE0EEENS1_30default_config_static_selectorELNS0_4arch9wavefront6targetE1EEEvT1_
		.amdhsa_group_segment_fixed_size 0
		.amdhsa_private_segment_fixed_size 0
		.amdhsa_kernarg_size 40
		.amdhsa_user_sgpr_count 6
		.amdhsa_user_sgpr_private_segment_buffer 1
		.amdhsa_user_sgpr_dispatch_ptr 0
		.amdhsa_user_sgpr_queue_ptr 0
		.amdhsa_user_sgpr_kernarg_segment_ptr 1
		.amdhsa_user_sgpr_dispatch_id 0
		.amdhsa_user_sgpr_flat_scratch_init 0
		.amdhsa_user_sgpr_kernarg_preload_length 0
		.amdhsa_user_sgpr_kernarg_preload_offset 0
		.amdhsa_user_sgpr_private_segment_size 0
		.amdhsa_uses_dynamic_stack 0
		.amdhsa_system_sgpr_private_segment_wavefront_offset 0
		.amdhsa_system_sgpr_workgroup_id_x 1
		.amdhsa_system_sgpr_workgroup_id_y 0
		.amdhsa_system_sgpr_workgroup_id_z 0
		.amdhsa_system_sgpr_workgroup_info 0
		.amdhsa_system_vgpr_workitem_id 0
		.amdhsa_next_free_vgpr 1
		.amdhsa_next_free_sgpr 0
		.amdhsa_accum_offset 4
		.amdhsa_reserve_vcc 0
		.amdhsa_reserve_flat_scratch 0
		.amdhsa_float_round_mode_32 0
		.amdhsa_float_round_mode_16_64 0
		.amdhsa_float_denorm_mode_32 3
		.amdhsa_float_denorm_mode_16_64 3
		.amdhsa_dx10_clamp 1
		.amdhsa_ieee_mode 1
		.amdhsa_fp16_overflow 0
		.amdhsa_tg_split 0
		.amdhsa_exception_fp_ieee_invalid_op 0
		.amdhsa_exception_fp_denorm_src 0
		.amdhsa_exception_fp_ieee_div_zero 0
		.amdhsa_exception_fp_ieee_overflow 0
		.amdhsa_exception_fp_ieee_underflow 0
		.amdhsa_exception_fp_ieee_inexact 0
		.amdhsa_exception_int_div_zero 0
	.end_amdhsa_kernel
	.section	.text._ZN7rocprim17ROCPRIM_400000_NS6detail17trampoline_kernelINS0_14default_configENS1_20scan_config_selectorIlEEZZNS1_9scan_implILNS1_25lookback_scan_determinismE0ELb0ELb0ES3_PlS8_lN6thrust23THRUST_200600_302600_NS4plusIvEElEEDaPvRmT3_T4_T5_mT6_P12ihipStream_tbENKUlT_T0_E_clISt17integral_constantIbLb1EESQ_EEDaSL_SM_EUlSL_E0_NS1_11comp_targetILNS1_3genE10ELNS1_11target_archE1201ELNS1_3gpuE5ELNS1_3repE0EEENS1_30default_config_static_selectorELNS0_4arch9wavefront6targetE1EEEvT1_,"axG",@progbits,_ZN7rocprim17ROCPRIM_400000_NS6detail17trampoline_kernelINS0_14default_configENS1_20scan_config_selectorIlEEZZNS1_9scan_implILNS1_25lookback_scan_determinismE0ELb0ELb0ES3_PlS8_lN6thrust23THRUST_200600_302600_NS4plusIvEElEEDaPvRmT3_T4_T5_mT6_P12ihipStream_tbENKUlT_T0_E_clISt17integral_constantIbLb1EESQ_EEDaSL_SM_EUlSL_E0_NS1_11comp_targetILNS1_3genE10ELNS1_11target_archE1201ELNS1_3gpuE5ELNS1_3repE0EEENS1_30default_config_static_selectorELNS0_4arch9wavefront6targetE1EEEvT1_,comdat
.Lfunc_end117:
	.size	_ZN7rocprim17ROCPRIM_400000_NS6detail17trampoline_kernelINS0_14default_configENS1_20scan_config_selectorIlEEZZNS1_9scan_implILNS1_25lookback_scan_determinismE0ELb0ELb0ES3_PlS8_lN6thrust23THRUST_200600_302600_NS4plusIvEElEEDaPvRmT3_T4_T5_mT6_P12ihipStream_tbENKUlT_T0_E_clISt17integral_constantIbLb1EESQ_EEDaSL_SM_EUlSL_E0_NS1_11comp_targetILNS1_3genE10ELNS1_11target_archE1201ELNS1_3gpuE5ELNS1_3repE0EEENS1_30default_config_static_selectorELNS0_4arch9wavefront6targetE1EEEvT1_, .Lfunc_end117-_ZN7rocprim17ROCPRIM_400000_NS6detail17trampoline_kernelINS0_14default_configENS1_20scan_config_selectorIlEEZZNS1_9scan_implILNS1_25lookback_scan_determinismE0ELb0ELb0ES3_PlS8_lN6thrust23THRUST_200600_302600_NS4plusIvEElEEDaPvRmT3_T4_T5_mT6_P12ihipStream_tbENKUlT_T0_E_clISt17integral_constantIbLb1EESQ_EEDaSL_SM_EUlSL_E0_NS1_11comp_targetILNS1_3genE10ELNS1_11target_archE1201ELNS1_3gpuE5ELNS1_3repE0EEENS1_30default_config_static_selectorELNS0_4arch9wavefront6targetE1EEEvT1_
                                        ; -- End function
	.section	.AMDGPU.csdata,"",@progbits
; Kernel info:
; codeLenInByte = 0
; NumSgprs: 4
; NumVgprs: 0
; NumAgprs: 0
; TotalNumVgprs: 0
; ScratchSize: 0
; MemoryBound: 0
; FloatMode: 240
; IeeeMode: 1
; LDSByteSize: 0 bytes/workgroup (compile time only)
; SGPRBlocks: 0
; VGPRBlocks: 0
; NumSGPRsForWavesPerEU: 4
; NumVGPRsForWavesPerEU: 1
; AccumOffset: 4
; Occupancy: 8
; WaveLimiterHint : 0
; COMPUTE_PGM_RSRC2:SCRATCH_EN: 0
; COMPUTE_PGM_RSRC2:USER_SGPR: 6
; COMPUTE_PGM_RSRC2:TRAP_HANDLER: 0
; COMPUTE_PGM_RSRC2:TGID_X_EN: 1
; COMPUTE_PGM_RSRC2:TGID_Y_EN: 0
; COMPUTE_PGM_RSRC2:TGID_Z_EN: 0
; COMPUTE_PGM_RSRC2:TIDIG_COMP_CNT: 0
; COMPUTE_PGM_RSRC3_GFX90A:ACCUM_OFFSET: 0
; COMPUTE_PGM_RSRC3_GFX90A:TG_SPLIT: 0
	.section	.text._ZN7rocprim17ROCPRIM_400000_NS6detail17trampoline_kernelINS0_14default_configENS1_20scan_config_selectorIlEEZZNS1_9scan_implILNS1_25lookback_scan_determinismE0ELb0ELb0ES3_PlS8_lN6thrust23THRUST_200600_302600_NS4plusIvEElEEDaPvRmT3_T4_T5_mT6_P12ihipStream_tbENKUlT_T0_E_clISt17integral_constantIbLb1EESQ_EEDaSL_SM_EUlSL_E0_NS1_11comp_targetILNS1_3genE10ELNS1_11target_archE1200ELNS1_3gpuE4ELNS1_3repE0EEENS1_30default_config_static_selectorELNS0_4arch9wavefront6targetE1EEEvT1_,"axG",@progbits,_ZN7rocprim17ROCPRIM_400000_NS6detail17trampoline_kernelINS0_14default_configENS1_20scan_config_selectorIlEEZZNS1_9scan_implILNS1_25lookback_scan_determinismE0ELb0ELb0ES3_PlS8_lN6thrust23THRUST_200600_302600_NS4plusIvEElEEDaPvRmT3_T4_T5_mT6_P12ihipStream_tbENKUlT_T0_E_clISt17integral_constantIbLb1EESQ_EEDaSL_SM_EUlSL_E0_NS1_11comp_targetILNS1_3genE10ELNS1_11target_archE1200ELNS1_3gpuE4ELNS1_3repE0EEENS1_30default_config_static_selectorELNS0_4arch9wavefront6targetE1EEEvT1_,comdat
	.protected	_ZN7rocprim17ROCPRIM_400000_NS6detail17trampoline_kernelINS0_14default_configENS1_20scan_config_selectorIlEEZZNS1_9scan_implILNS1_25lookback_scan_determinismE0ELb0ELb0ES3_PlS8_lN6thrust23THRUST_200600_302600_NS4plusIvEElEEDaPvRmT3_T4_T5_mT6_P12ihipStream_tbENKUlT_T0_E_clISt17integral_constantIbLb1EESQ_EEDaSL_SM_EUlSL_E0_NS1_11comp_targetILNS1_3genE10ELNS1_11target_archE1200ELNS1_3gpuE4ELNS1_3repE0EEENS1_30default_config_static_selectorELNS0_4arch9wavefront6targetE1EEEvT1_ ; -- Begin function _ZN7rocprim17ROCPRIM_400000_NS6detail17trampoline_kernelINS0_14default_configENS1_20scan_config_selectorIlEEZZNS1_9scan_implILNS1_25lookback_scan_determinismE0ELb0ELb0ES3_PlS8_lN6thrust23THRUST_200600_302600_NS4plusIvEElEEDaPvRmT3_T4_T5_mT6_P12ihipStream_tbENKUlT_T0_E_clISt17integral_constantIbLb1EESQ_EEDaSL_SM_EUlSL_E0_NS1_11comp_targetILNS1_3genE10ELNS1_11target_archE1200ELNS1_3gpuE4ELNS1_3repE0EEENS1_30default_config_static_selectorELNS0_4arch9wavefront6targetE1EEEvT1_
	.globl	_ZN7rocprim17ROCPRIM_400000_NS6detail17trampoline_kernelINS0_14default_configENS1_20scan_config_selectorIlEEZZNS1_9scan_implILNS1_25lookback_scan_determinismE0ELb0ELb0ES3_PlS8_lN6thrust23THRUST_200600_302600_NS4plusIvEElEEDaPvRmT3_T4_T5_mT6_P12ihipStream_tbENKUlT_T0_E_clISt17integral_constantIbLb1EESQ_EEDaSL_SM_EUlSL_E0_NS1_11comp_targetILNS1_3genE10ELNS1_11target_archE1200ELNS1_3gpuE4ELNS1_3repE0EEENS1_30default_config_static_selectorELNS0_4arch9wavefront6targetE1EEEvT1_
	.p2align	8
	.type	_ZN7rocprim17ROCPRIM_400000_NS6detail17trampoline_kernelINS0_14default_configENS1_20scan_config_selectorIlEEZZNS1_9scan_implILNS1_25lookback_scan_determinismE0ELb0ELb0ES3_PlS8_lN6thrust23THRUST_200600_302600_NS4plusIvEElEEDaPvRmT3_T4_T5_mT6_P12ihipStream_tbENKUlT_T0_E_clISt17integral_constantIbLb1EESQ_EEDaSL_SM_EUlSL_E0_NS1_11comp_targetILNS1_3genE10ELNS1_11target_archE1200ELNS1_3gpuE4ELNS1_3repE0EEENS1_30default_config_static_selectorELNS0_4arch9wavefront6targetE1EEEvT1_,@function
_ZN7rocprim17ROCPRIM_400000_NS6detail17trampoline_kernelINS0_14default_configENS1_20scan_config_selectorIlEEZZNS1_9scan_implILNS1_25lookback_scan_determinismE0ELb0ELb0ES3_PlS8_lN6thrust23THRUST_200600_302600_NS4plusIvEElEEDaPvRmT3_T4_T5_mT6_P12ihipStream_tbENKUlT_T0_E_clISt17integral_constantIbLb1EESQ_EEDaSL_SM_EUlSL_E0_NS1_11comp_targetILNS1_3genE10ELNS1_11target_archE1200ELNS1_3gpuE4ELNS1_3repE0EEENS1_30default_config_static_selectorELNS0_4arch9wavefront6targetE1EEEvT1_: ; @_ZN7rocprim17ROCPRIM_400000_NS6detail17trampoline_kernelINS0_14default_configENS1_20scan_config_selectorIlEEZZNS1_9scan_implILNS1_25lookback_scan_determinismE0ELb0ELb0ES3_PlS8_lN6thrust23THRUST_200600_302600_NS4plusIvEElEEDaPvRmT3_T4_T5_mT6_P12ihipStream_tbENKUlT_T0_E_clISt17integral_constantIbLb1EESQ_EEDaSL_SM_EUlSL_E0_NS1_11comp_targetILNS1_3genE10ELNS1_11target_archE1200ELNS1_3gpuE4ELNS1_3repE0EEENS1_30default_config_static_selectorELNS0_4arch9wavefront6targetE1EEEvT1_
; %bb.0:
	.section	.rodata,"a",@progbits
	.p2align	6, 0x0
	.amdhsa_kernel _ZN7rocprim17ROCPRIM_400000_NS6detail17trampoline_kernelINS0_14default_configENS1_20scan_config_selectorIlEEZZNS1_9scan_implILNS1_25lookback_scan_determinismE0ELb0ELb0ES3_PlS8_lN6thrust23THRUST_200600_302600_NS4plusIvEElEEDaPvRmT3_T4_T5_mT6_P12ihipStream_tbENKUlT_T0_E_clISt17integral_constantIbLb1EESQ_EEDaSL_SM_EUlSL_E0_NS1_11comp_targetILNS1_3genE10ELNS1_11target_archE1200ELNS1_3gpuE4ELNS1_3repE0EEENS1_30default_config_static_selectorELNS0_4arch9wavefront6targetE1EEEvT1_
		.amdhsa_group_segment_fixed_size 0
		.amdhsa_private_segment_fixed_size 0
		.amdhsa_kernarg_size 40
		.amdhsa_user_sgpr_count 6
		.amdhsa_user_sgpr_private_segment_buffer 1
		.amdhsa_user_sgpr_dispatch_ptr 0
		.amdhsa_user_sgpr_queue_ptr 0
		.amdhsa_user_sgpr_kernarg_segment_ptr 1
		.amdhsa_user_sgpr_dispatch_id 0
		.amdhsa_user_sgpr_flat_scratch_init 0
		.amdhsa_user_sgpr_kernarg_preload_length 0
		.amdhsa_user_sgpr_kernarg_preload_offset 0
		.amdhsa_user_sgpr_private_segment_size 0
		.amdhsa_uses_dynamic_stack 0
		.amdhsa_system_sgpr_private_segment_wavefront_offset 0
		.amdhsa_system_sgpr_workgroup_id_x 1
		.amdhsa_system_sgpr_workgroup_id_y 0
		.amdhsa_system_sgpr_workgroup_id_z 0
		.amdhsa_system_sgpr_workgroup_info 0
		.amdhsa_system_vgpr_workitem_id 0
		.amdhsa_next_free_vgpr 1
		.amdhsa_next_free_sgpr 0
		.amdhsa_accum_offset 4
		.amdhsa_reserve_vcc 0
		.amdhsa_reserve_flat_scratch 0
		.amdhsa_float_round_mode_32 0
		.amdhsa_float_round_mode_16_64 0
		.amdhsa_float_denorm_mode_32 3
		.amdhsa_float_denorm_mode_16_64 3
		.amdhsa_dx10_clamp 1
		.amdhsa_ieee_mode 1
		.amdhsa_fp16_overflow 0
		.amdhsa_tg_split 0
		.amdhsa_exception_fp_ieee_invalid_op 0
		.amdhsa_exception_fp_denorm_src 0
		.amdhsa_exception_fp_ieee_div_zero 0
		.amdhsa_exception_fp_ieee_overflow 0
		.amdhsa_exception_fp_ieee_underflow 0
		.amdhsa_exception_fp_ieee_inexact 0
		.amdhsa_exception_int_div_zero 0
	.end_amdhsa_kernel
	.section	.text._ZN7rocprim17ROCPRIM_400000_NS6detail17trampoline_kernelINS0_14default_configENS1_20scan_config_selectorIlEEZZNS1_9scan_implILNS1_25lookback_scan_determinismE0ELb0ELb0ES3_PlS8_lN6thrust23THRUST_200600_302600_NS4plusIvEElEEDaPvRmT3_T4_T5_mT6_P12ihipStream_tbENKUlT_T0_E_clISt17integral_constantIbLb1EESQ_EEDaSL_SM_EUlSL_E0_NS1_11comp_targetILNS1_3genE10ELNS1_11target_archE1200ELNS1_3gpuE4ELNS1_3repE0EEENS1_30default_config_static_selectorELNS0_4arch9wavefront6targetE1EEEvT1_,"axG",@progbits,_ZN7rocprim17ROCPRIM_400000_NS6detail17trampoline_kernelINS0_14default_configENS1_20scan_config_selectorIlEEZZNS1_9scan_implILNS1_25lookback_scan_determinismE0ELb0ELb0ES3_PlS8_lN6thrust23THRUST_200600_302600_NS4plusIvEElEEDaPvRmT3_T4_T5_mT6_P12ihipStream_tbENKUlT_T0_E_clISt17integral_constantIbLb1EESQ_EEDaSL_SM_EUlSL_E0_NS1_11comp_targetILNS1_3genE10ELNS1_11target_archE1200ELNS1_3gpuE4ELNS1_3repE0EEENS1_30default_config_static_selectorELNS0_4arch9wavefront6targetE1EEEvT1_,comdat
.Lfunc_end118:
	.size	_ZN7rocprim17ROCPRIM_400000_NS6detail17trampoline_kernelINS0_14default_configENS1_20scan_config_selectorIlEEZZNS1_9scan_implILNS1_25lookback_scan_determinismE0ELb0ELb0ES3_PlS8_lN6thrust23THRUST_200600_302600_NS4plusIvEElEEDaPvRmT3_T4_T5_mT6_P12ihipStream_tbENKUlT_T0_E_clISt17integral_constantIbLb1EESQ_EEDaSL_SM_EUlSL_E0_NS1_11comp_targetILNS1_3genE10ELNS1_11target_archE1200ELNS1_3gpuE4ELNS1_3repE0EEENS1_30default_config_static_selectorELNS0_4arch9wavefront6targetE1EEEvT1_, .Lfunc_end118-_ZN7rocprim17ROCPRIM_400000_NS6detail17trampoline_kernelINS0_14default_configENS1_20scan_config_selectorIlEEZZNS1_9scan_implILNS1_25lookback_scan_determinismE0ELb0ELb0ES3_PlS8_lN6thrust23THRUST_200600_302600_NS4plusIvEElEEDaPvRmT3_T4_T5_mT6_P12ihipStream_tbENKUlT_T0_E_clISt17integral_constantIbLb1EESQ_EEDaSL_SM_EUlSL_E0_NS1_11comp_targetILNS1_3genE10ELNS1_11target_archE1200ELNS1_3gpuE4ELNS1_3repE0EEENS1_30default_config_static_selectorELNS0_4arch9wavefront6targetE1EEEvT1_
                                        ; -- End function
	.section	.AMDGPU.csdata,"",@progbits
; Kernel info:
; codeLenInByte = 0
; NumSgprs: 4
; NumVgprs: 0
; NumAgprs: 0
; TotalNumVgprs: 0
; ScratchSize: 0
; MemoryBound: 0
; FloatMode: 240
; IeeeMode: 1
; LDSByteSize: 0 bytes/workgroup (compile time only)
; SGPRBlocks: 0
; VGPRBlocks: 0
; NumSGPRsForWavesPerEU: 4
; NumVGPRsForWavesPerEU: 1
; AccumOffset: 4
; Occupancy: 8
; WaveLimiterHint : 0
; COMPUTE_PGM_RSRC2:SCRATCH_EN: 0
; COMPUTE_PGM_RSRC2:USER_SGPR: 6
; COMPUTE_PGM_RSRC2:TRAP_HANDLER: 0
; COMPUTE_PGM_RSRC2:TGID_X_EN: 1
; COMPUTE_PGM_RSRC2:TGID_Y_EN: 0
; COMPUTE_PGM_RSRC2:TGID_Z_EN: 0
; COMPUTE_PGM_RSRC2:TIDIG_COMP_CNT: 0
; COMPUTE_PGM_RSRC3_GFX90A:ACCUM_OFFSET: 0
; COMPUTE_PGM_RSRC3_GFX90A:TG_SPLIT: 0
	.section	.text._ZN7rocprim17ROCPRIM_400000_NS6detail17trampoline_kernelINS0_14default_configENS1_20scan_config_selectorIlEEZZNS1_9scan_implILNS1_25lookback_scan_determinismE0ELb0ELb0ES3_PlS8_lN6thrust23THRUST_200600_302600_NS4plusIvEElEEDaPvRmT3_T4_T5_mT6_P12ihipStream_tbENKUlT_T0_E_clISt17integral_constantIbLb1EESQ_EEDaSL_SM_EUlSL_E0_NS1_11comp_targetILNS1_3genE9ELNS1_11target_archE1100ELNS1_3gpuE3ELNS1_3repE0EEENS1_30default_config_static_selectorELNS0_4arch9wavefront6targetE1EEEvT1_,"axG",@progbits,_ZN7rocprim17ROCPRIM_400000_NS6detail17trampoline_kernelINS0_14default_configENS1_20scan_config_selectorIlEEZZNS1_9scan_implILNS1_25lookback_scan_determinismE0ELb0ELb0ES3_PlS8_lN6thrust23THRUST_200600_302600_NS4plusIvEElEEDaPvRmT3_T4_T5_mT6_P12ihipStream_tbENKUlT_T0_E_clISt17integral_constantIbLb1EESQ_EEDaSL_SM_EUlSL_E0_NS1_11comp_targetILNS1_3genE9ELNS1_11target_archE1100ELNS1_3gpuE3ELNS1_3repE0EEENS1_30default_config_static_selectorELNS0_4arch9wavefront6targetE1EEEvT1_,comdat
	.protected	_ZN7rocprim17ROCPRIM_400000_NS6detail17trampoline_kernelINS0_14default_configENS1_20scan_config_selectorIlEEZZNS1_9scan_implILNS1_25lookback_scan_determinismE0ELb0ELb0ES3_PlS8_lN6thrust23THRUST_200600_302600_NS4plusIvEElEEDaPvRmT3_T4_T5_mT6_P12ihipStream_tbENKUlT_T0_E_clISt17integral_constantIbLb1EESQ_EEDaSL_SM_EUlSL_E0_NS1_11comp_targetILNS1_3genE9ELNS1_11target_archE1100ELNS1_3gpuE3ELNS1_3repE0EEENS1_30default_config_static_selectorELNS0_4arch9wavefront6targetE1EEEvT1_ ; -- Begin function _ZN7rocprim17ROCPRIM_400000_NS6detail17trampoline_kernelINS0_14default_configENS1_20scan_config_selectorIlEEZZNS1_9scan_implILNS1_25lookback_scan_determinismE0ELb0ELb0ES3_PlS8_lN6thrust23THRUST_200600_302600_NS4plusIvEElEEDaPvRmT3_T4_T5_mT6_P12ihipStream_tbENKUlT_T0_E_clISt17integral_constantIbLb1EESQ_EEDaSL_SM_EUlSL_E0_NS1_11comp_targetILNS1_3genE9ELNS1_11target_archE1100ELNS1_3gpuE3ELNS1_3repE0EEENS1_30default_config_static_selectorELNS0_4arch9wavefront6targetE1EEEvT1_
	.globl	_ZN7rocprim17ROCPRIM_400000_NS6detail17trampoline_kernelINS0_14default_configENS1_20scan_config_selectorIlEEZZNS1_9scan_implILNS1_25lookback_scan_determinismE0ELb0ELb0ES3_PlS8_lN6thrust23THRUST_200600_302600_NS4plusIvEElEEDaPvRmT3_T4_T5_mT6_P12ihipStream_tbENKUlT_T0_E_clISt17integral_constantIbLb1EESQ_EEDaSL_SM_EUlSL_E0_NS1_11comp_targetILNS1_3genE9ELNS1_11target_archE1100ELNS1_3gpuE3ELNS1_3repE0EEENS1_30default_config_static_selectorELNS0_4arch9wavefront6targetE1EEEvT1_
	.p2align	8
	.type	_ZN7rocprim17ROCPRIM_400000_NS6detail17trampoline_kernelINS0_14default_configENS1_20scan_config_selectorIlEEZZNS1_9scan_implILNS1_25lookback_scan_determinismE0ELb0ELb0ES3_PlS8_lN6thrust23THRUST_200600_302600_NS4plusIvEElEEDaPvRmT3_T4_T5_mT6_P12ihipStream_tbENKUlT_T0_E_clISt17integral_constantIbLb1EESQ_EEDaSL_SM_EUlSL_E0_NS1_11comp_targetILNS1_3genE9ELNS1_11target_archE1100ELNS1_3gpuE3ELNS1_3repE0EEENS1_30default_config_static_selectorELNS0_4arch9wavefront6targetE1EEEvT1_,@function
_ZN7rocprim17ROCPRIM_400000_NS6detail17trampoline_kernelINS0_14default_configENS1_20scan_config_selectorIlEEZZNS1_9scan_implILNS1_25lookback_scan_determinismE0ELb0ELb0ES3_PlS8_lN6thrust23THRUST_200600_302600_NS4plusIvEElEEDaPvRmT3_T4_T5_mT6_P12ihipStream_tbENKUlT_T0_E_clISt17integral_constantIbLb1EESQ_EEDaSL_SM_EUlSL_E0_NS1_11comp_targetILNS1_3genE9ELNS1_11target_archE1100ELNS1_3gpuE3ELNS1_3repE0EEENS1_30default_config_static_selectorELNS0_4arch9wavefront6targetE1EEEvT1_: ; @_ZN7rocprim17ROCPRIM_400000_NS6detail17trampoline_kernelINS0_14default_configENS1_20scan_config_selectorIlEEZZNS1_9scan_implILNS1_25lookback_scan_determinismE0ELb0ELb0ES3_PlS8_lN6thrust23THRUST_200600_302600_NS4plusIvEElEEDaPvRmT3_T4_T5_mT6_P12ihipStream_tbENKUlT_T0_E_clISt17integral_constantIbLb1EESQ_EEDaSL_SM_EUlSL_E0_NS1_11comp_targetILNS1_3genE9ELNS1_11target_archE1100ELNS1_3gpuE3ELNS1_3repE0EEENS1_30default_config_static_selectorELNS0_4arch9wavefront6targetE1EEEvT1_
; %bb.0:
	.section	.rodata,"a",@progbits
	.p2align	6, 0x0
	.amdhsa_kernel _ZN7rocprim17ROCPRIM_400000_NS6detail17trampoline_kernelINS0_14default_configENS1_20scan_config_selectorIlEEZZNS1_9scan_implILNS1_25lookback_scan_determinismE0ELb0ELb0ES3_PlS8_lN6thrust23THRUST_200600_302600_NS4plusIvEElEEDaPvRmT3_T4_T5_mT6_P12ihipStream_tbENKUlT_T0_E_clISt17integral_constantIbLb1EESQ_EEDaSL_SM_EUlSL_E0_NS1_11comp_targetILNS1_3genE9ELNS1_11target_archE1100ELNS1_3gpuE3ELNS1_3repE0EEENS1_30default_config_static_selectorELNS0_4arch9wavefront6targetE1EEEvT1_
		.amdhsa_group_segment_fixed_size 0
		.amdhsa_private_segment_fixed_size 0
		.amdhsa_kernarg_size 40
		.amdhsa_user_sgpr_count 6
		.amdhsa_user_sgpr_private_segment_buffer 1
		.amdhsa_user_sgpr_dispatch_ptr 0
		.amdhsa_user_sgpr_queue_ptr 0
		.amdhsa_user_sgpr_kernarg_segment_ptr 1
		.amdhsa_user_sgpr_dispatch_id 0
		.amdhsa_user_sgpr_flat_scratch_init 0
		.amdhsa_user_sgpr_kernarg_preload_length 0
		.amdhsa_user_sgpr_kernarg_preload_offset 0
		.amdhsa_user_sgpr_private_segment_size 0
		.amdhsa_uses_dynamic_stack 0
		.amdhsa_system_sgpr_private_segment_wavefront_offset 0
		.amdhsa_system_sgpr_workgroup_id_x 1
		.amdhsa_system_sgpr_workgroup_id_y 0
		.amdhsa_system_sgpr_workgroup_id_z 0
		.amdhsa_system_sgpr_workgroup_info 0
		.amdhsa_system_vgpr_workitem_id 0
		.amdhsa_next_free_vgpr 1
		.amdhsa_next_free_sgpr 0
		.amdhsa_accum_offset 4
		.amdhsa_reserve_vcc 0
		.amdhsa_reserve_flat_scratch 0
		.amdhsa_float_round_mode_32 0
		.amdhsa_float_round_mode_16_64 0
		.amdhsa_float_denorm_mode_32 3
		.amdhsa_float_denorm_mode_16_64 3
		.amdhsa_dx10_clamp 1
		.amdhsa_ieee_mode 1
		.amdhsa_fp16_overflow 0
		.amdhsa_tg_split 0
		.amdhsa_exception_fp_ieee_invalid_op 0
		.amdhsa_exception_fp_denorm_src 0
		.amdhsa_exception_fp_ieee_div_zero 0
		.amdhsa_exception_fp_ieee_overflow 0
		.amdhsa_exception_fp_ieee_underflow 0
		.amdhsa_exception_fp_ieee_inexact 0
		.amdhsa_exception_int_div_zero 0
	.end_amdhsa_kernel
	.section	.text._ZN7rocprim17ROCPRIM_400000_NS6detail17trampoline_kernelINS0_14default_configENS1_20scan_config_selectorIlEEZZNS1_9scan_implILNS1_25lookback_scan_determinismE0ELb0ELb0ES3_PlS8_lN6thrust23THRUST_200600_302600_NS4plusIvEElEEDaPvRmT3_T4_T5_mT6_P12ihipStream_tbENKUlT_T0_E_clISt17integral_constantIbLb1EESQ_EEDaSL_SM_EUlSL_E0_NS1_11comp_targetILNS1_3genE9ELNS1_11target_archE1100ELNS1_3gpuE3ELNS1_3repE0EEENS1_30default_config_static_selectorELNS0_4arch9wavefront6targetE1EEEvT1_,"axG",@progbits,_ZN7rocprim17ROCPRIM_400000_NS6detail17trampoline_kernelINS0_14default_configENS1_20scan_config_selectorIlEEZZNS1_9scan_implILNS1_25lookback_scan_determinismE0ELb0ELb0ES3_PlS8_lN6thrust23THRUST_200600_302600_NS4plusIvEElEEDaPvRmT3_T4_T5_mT6_P12ihipStream_tbENKUlT_T0_E_clISt17integral_constantIbLb1EESQ_EEDaSL_SM_EUlSL_E0_NS1_11comp_targetILNS1_3genE9ELNS1_11target_archE1100ELNS1_3gpuE3ELNS1_3repE0EEENS1_30default_config_static_selectorELNS0_4arch9wavefront6targetE1EEEvT1_,comdat
.Lfunc_end119:
	.size	_ZN7rocprim17ROCPRIM_400000_NS6detail17trampoline_kernelINS0_14default_configENS1_20scan_config_selectorIlEEZZNS1_9scan_implILNS1_25lookback_scan_determinismE0ELb0ELb0ES3_PlS8_lN6thrust23THRUST_200600_302600_NS4plusIvEElEEDaPvRmT3_T4_T5_mT6_P12ihipStream_tbENKUlT_T0_E_clISt17integral_constantIbLb1EESQ_EEDaSL_SM_EUlSL_E0_NS1_11comp_targetILNS1_3genE9ELNS1_11target_archE1100ELNS1_3gpuE3ELNS1_3repE0EEENS1_30default_config_static_selectorELNS0_4arch9wavefront6targetE1EEEvT1_, .Lfunc_end119-_ZN7rocprim17ROCPRIM_400000_NS6detail17trampoline_kernelINS0_14default_configENS1_20scan_config_selectorIlEEZZNS1_9scan_implILNS1_25lookback_scan_determinismE0ELb0ELb0ES3_PlS8_lN6thrust23THRUST_200600_302600_NS4plusIvEElEEDaPvRmT3_T4_T5_mT6_P12ihipStream_tbENKUlT_T0_E_clISt17integral_constantIbLb1EESQ_EEDaSL_SM_EUlSL_E0_NS1_11comp_targetILNS1_3genE9ELNS1_11target_archE1100ELNS1_3gpuE3ELNS1_3repE0EEENS1_30default_config_static_selectorELNS0_4arch9wavefront6targetE1EEEvT1_
                                        ; -- End function
	.section	.AMDGPU.csdata,"",@progbits
; Kernel info:
; codeLenInByte = 0
; NumSgprs: 4
; NumVgprs: 0
; NumAgprs: 0
; TotalNumVgprs: 0
; ScratchSize: 0
; MemoryBound: 0
; FloatMode: 240
; IeeeMode: 1
; LDSByteSize: 0 bytes/workgroup (compile time only)
; SGPRBlocks: 0
; VGPRBlocks: 0
; NumSGPRsForWavesPerEU: 4
; NumVGPRsForWavesPerEU: 1
; AccumOffset: 4
; Occupancy: 8
; WaveLimiterHint : 0
; COMPUTE_PGM_RSRC2:SCRATCH_EN: 0
; COMPUTE_PGM_RSRC2:USER_SGPR: 6
; COMPUTE_PGM_RSRC2:TRAP_HANDLER: 0
; COMPUTE_PGM_RSRC2:TGID_X_EN: 1
; COMPUTE_PGM_RSRC2:TGID_Y_EN: 0
; COMPUTE_PGM_RSRC2:TGID_Z_EN: 0
; COMPUTE_PGM_RSRC2:TIDIG_COMP_CNT: 0
; COMPUTE_PGM_RSRC3_GFX90A:ACCUM_OFFSET: 0
; COMPUTE_PGM_RSRC3_GFX90A:TG_SPLIT: 0
	.section	.text._ZN7rocprim17ROCPRIM_400000_NS6detail17trampoline_kernelINS0_14default_configENS1_20scan_config_selectorIlEEZZNS1_9scan_implILNS1_25lookback_scan_determinismE0ELb0ELb0ES3_PlS8_lN6thrust23THRUST_200600_302600_NS4plusIvEElEEDaPvRmT3_T4_T5_mT6_P12ihipStream_tbENKUlT_T0_E_clISt17integral_constantIbLb1EESQ_EEDaSL_SM_EUlSL_E0_NS1_11comp_targetILNS1_3genE8ELNS1_11target_archE1030ELNS1_3gpuE2ELNS1_3repE0EEENS1_30default_config_static_selectorELNS0_4arch9wavefront6targetE1EEEvT1_,"axG",@progbits,_ZN7rocprim17ROCPRIM_400000_NS6detail17trampoline_kernelINS0_14default_configENS1_20scan_config_selectorIlEEZZNS1_9scan_implILNS1_25lookback_scan_determinismE0ELb0ELb0ES3_PlS8_lN6thrust23THRUST_200600_302600_NS4plusIvEElEEDaPvRmT3_T4_T5_mT6_P12ihipStream_tbENKUlT_T0_E_clISt17integral_constantIbLb1EESQ_EEDaSL_SM_EUlSL_E0_NS1_11comp_targetILNS1_3genE8ELNS1_11target_archE1030ELNS1_3gpuE2ELNS1_3repE0EEENS1_30default_config_static_selectorELNS0_4arch9wavefront6targetE1EEEvT1_,comdat
	.protected	_ZN7rocprim17ROCPRIM_400000_NS6detail17trampoline_kernelINS0_14default_configENS1_20scan_config_selectorIlEEZZNS1_9scan_implILNS1_25lookback_scan_determinismE0ELb0ELb0ES3_PlS8_lN6thrust23THRUST_200600_302600_NS4plusIvEElEEDaPvRmT3_T4_T5_mT6_P12ihipStream_tbENKUlT_T0_E_clISt17integral_constantIbLb1EESQ_EEDaSL_SM_EUlSL_E0_NS1_11comp_targetILNS1_3genE8ELNS1_11target_archE1030ELNS1_3gpuE2ELNS1_3repE0EEENS1_30default_config_static_selectorELNS0_4arch9wavefront6targetE1EEEvT1_ ; -- Begin function _ZN7rocprim17ROCPRIM_400000_NS6detail17trampoline_kernelINS0_14default_configENS1_20scan_config_selectorIlEEZZNS1_9scan_implILNS1_25lookback_scan_determinismE0ELb0ELb0ES3_PlS8_lN6thrust23THRUST_200600_302600_NS4plusIvEElEEDaPvRmT3_T4_T5_mT6_P12ihipStream_tbENKUlT_T0_E_clISt17integral_constantIbLb1EESQ_EEDaSL_SM_EUlSL_E0_NS1_11comp_targetILNS1_3genE8ELNS1_11target_archE1030ELNS1_3gpuE2ELNS1_3repE0EEENS1_30default_config_static_selectorELNS0_4arch9wavefront6targetE1EEEvT1_
	.globl	_ZN7rocprim17ROCPRIM_400000_NS6detail17trampoline_kernelINS0_14default_configENS1_20scan_config_selectorIlEEZZNS1_9scan_implILNS1_25lookback_scan_determinismE0ELb0ELb0ES3_PlS8_lN6thrust23THRUST_200600_302600_NS4plusIvEElEEDaPvRmT3_T4_T5_mT6_P12ihipStream_tbENKUlT_T0_E_clISt17integral_constantIbLb1EESQ_EEDaSL_SM_EUlSL_E0_NS1_11comp_targetILNS1_3genE8ELNS1_11target_archE1030ELNS1_3gpuE2ELNS1_3repE0EEENS1_30default_config_static_selectorELNS0_4arch9wavefront6targetE1EEEvT1_
	.p2align	8
	.type	_ZN7rocprim17ROCPRIM_400000_NS6detail17trampoline_kernelINS0_14default_configENS1_20scan_config_selectorIlEEZZNS1_9scan_implILNS1_25lookback_scan_determinismE0ELb0ELb0ES3_PlS8_lN6thrust23THRUST_200600_302600_NS4plusIvEElEEDaPvRmT3_T4_T5_mT6_P12ihipStream_tbENKUlT_T0_E_clISt17integral_constantIbLb1EESQ_EEDaSL_SM_EUlSL_E0_NS1_11comp_targetILNS1_3genE8ELNS1_11target_archE1030ELNS1_3gpuE2ELNS1_3repE0EEENS1_30default_config_static_selectorELNS0_4arch9wavefront6targetE1EEEvT1_,@function
_ZN7rocprim17ROCPRIM_400000_NS6detail17trampoline_kernelINS0_14default_configENS1_20scan_config_selectorIlEEZZNS1_9scan_implILNS1_25lookback_scan_determinismE0ELb0ELb0ES3_PlS8_lN6thrust23THRUST_200600_302600_NS4plusIvEElEEDaPvRmT3_T4_T5_mT6_P12ihipStream_tbENKUlT_T0_E_clISt17integral_constantIbLb1EESQ_EEDaSL_SM_EUlSL_E0_NS1_11comp_targetILNS1_3genE8ELNS1_11target_archE1030ELNS1_3gpuE2ELNS1_3repE0EEENS1_30default_config_static_selectorELNS0_4arch9wavefront6targetE1EEEvT1_: ; @_ZN7rocprim17ROCPRIM_400000_NS6detail17trampoline_kernelINS0_14default_configENS1_20scan_config_selectorIlEEZZNS1_9scan_implILNS1_25lookback_scan_determinismE0ELb0ELb0ES3_PlS8_lN6thrust23THRUST_200600_302600_NS4plusIvEElEEDaPvRmT3_T4_T5_mT6_P12ihipStream_tbENKUlT_T0_E_clISt17integral_constantIbLb1EESQ_EEDaSL_SM_EUlSL_E0_NS1_11comp_targetILNS1_3genE8ELNS1_11target_archE1030ELNS1_3gpuE2ELNS1_3repE0EEENS1_30default_config_static_selectorELNS0_4arch9wavefront6targetE1EEEvT1_
; %bb.0:
	.section	.rodata,"a",@progbits
	.p2align	6, 0x0
	.amdhsa_kernel _ZN7rocprim17ROCPRIM_400000_NS6detail17trampoline_kernelINS0_14default_configENS1_20scan_config_selectorIlEEZZNS1_9scan_implILNS1_25lookback_scan_determinismE0ELb0ELb0ES3_PlS8_lN6thrust23THRUST_200600_302600_NS4plusIvEElEEDaPvRmT3_T4_T5_mT6_P12ihipStream_tbENKUlT_T0_E_clISt17integral_constantIbLb1EESQ_EEDaSL_SM_EUlSL_E0_NS1_11comp_targetILNS1_3genE8ELNS1_11target_archE1030ELNS1_3gpuE2ELNS1_3repE0EEENS1_30default_config_static_selectorELNS0_4arch9wavefront6targetE1EEEvT1_
		.amdhsa_group_segment_fixed_size 0
		.amdhsa_private_segment_fixed_size 0
		.amdhsa_kernarg_size 40
		.amdhsa_user_sgpr_count 6
		.amdhsa_user_sgpr_private_segment_buffer 1
		.amdhsa_user_sgpr_dispatch_ptr 0
		.amdhsa_user_sgpr_queue_ptr 0
		.amdhsa_user_sgpr_kernarg_segment_ptr 1
		.amdhsa_user_sgpr_dispatch_id 0
		.amdhsa_user_sgpr_flat_scratch_init 0
		.amdhsa_user_sgpr_kernarg_preload_length 0
		.amdhsa_user_sgpr_kernarg_preload_offset 0
		.amdhsa_user_sgpr_private_segment_size 0
		.amdhsa_uses_dynamic_stack 0
		.amdhsa_system_sgpr_private_segment_wavefront_offset 0
		.amdhsa_system_sgpr_workgroup_id_x 1
		.amdhsa_system_sgpr_workgroup_id_y 0
		.amdhsa_system_sgpr_workgroup_id_z 0
		.amdhsa_system_sgpr_workgroup_info 0
		.amdhsa_system_vgpr_workitem_id 0
		.amdhsa_next_free_vgpr 1
		.amdhsa_next_free_sgpr 0
		.amdhsa_accum_offset 4
		.amdhsa_reserve_vcc 0
		.amdhsa_reserve_flat_scratch 0
		.amdhsa_float_round_mode_32 0
		.amdhsa_float_round_mode_16_64 0
		.amdhsa_float_denorm_mode_32 3
		.amdhsa_float_denorm_mode_16_64 3
		.amdhsa_dx10_clamp 1
		.amdhsa_ieee_mode 1
		.amdhsa_fp16_overflow 0
		.amdhsa_tg_split 0
		.amdhsa_exception_fp_ieee_invalid_op 0
		.amdhsa_exception_fp_denorm_src 0
		.amdhsa_exception_fp_ieee_div_zero 0
		.amdhsa_exception_fp_ieee_overflow 0
		.amdhsa_exception_fp_ieee_underflow 0
		.amdhsa_exception_fp_ieee_inexact 0
		.amdhsa_exception_int_div_zero 0
	.end_amdhsa_kernel
	.section	.text._ZN7rocprim17ROCPRIM_400000_NS6detail17trampoline_kernelINS0_14default_configENS1_20scan_config_selectorIlEEZZNS1_9scan_implILNS1_25lookback_scan_determinismE0ELb0ELb0ES3_PlS8_lN6thrust23THRUST_200600_302600_NS4plusIvEElEEDaPvRmT3_T4_T5_mT6_P12ihipStream_tbENKUlT_T0_E_clISt17integral_constantIbLb1EESQ_EEDaSL_SM_EUlSL_E0_NS1_11comp_targetILNS1_3genE8ELNS1_11target_archE1030ELNS1_3gpuE2ELNS1_3repE0EEENS1_30default_config_static_selectorELNS0_4arch9wavefront6targetE1EEEvT1_,"axG",@progbits,_ZN7rocprim17ROCPRIM_400000_NS6detail17trampoline_kernelINS0_14default_configENS1_20scan_config_selectorIlEEZZNS1_9scan_implILNS1_25lookback_scan_determinismE0ELb0ELb0ES3_PlS8_lN6thrust23THRUST_200600_302600_NS4plusIvEElEEDaPvRmT3_T4_T5_mT6_P12ihipStream_tbENKUlT_T0_E_clISt17integral_constantIbLb1EESQ_EEDaSL_SM_EUlSL_E0_NS1_11comp_targetILNS1_3genE8ELNS1_11target_archE1030ELNS1_3gpuE2ELNS1_3repE0EEENS1_30default_config_static_selectorELNS0_4arch9wavefront6targetE1EEEvT1_,comdat
.Lfunc_end120:
	.size	_ZN7rocprim17ROCPRIM_400000_NS6detail17trampoline_kernelINS0_14default_configENS1_20scan_config_selectorIlEEZZNS1_9scan_implILNS1_25lookback_scan_determinismE0ELb0ELb0ES3_PlS8_lN6thrust23THRUST_200600_302600_NS4plusIvEElEEDaPvRmT3_T4_T5_mT6_P12ihipStream_tbENKUlT_T0_E_clISt17integral_constantIbLb1EESQ_EEDaSL_SM_EUlSL_E0_NS1_11comp_targetILNS1_3genE8ELNS1_11target_archE1030ELNS1_3gpuE2ELNS1_3repE0EEENS1_30default_config_static_selectorELNS0_4arch9wavefront6targetE1EEEvT1_, .Lfunc_end120-_ZN7rocprim17ROCPRIM_400000_NS6detail17trampoline_kernelINS0_14default_configENS1_20scan_config_selectorIlEEZZNS1_9scan_implILNS1_25lookback_scan_determinismE0ELb0ELb0ES3_PlS8_lN6thrust23THRUST_200600_302600_NS4plusIvEElEEDaPvRmT3_T4_T5_mT6_P12ihipStream_tbENKUlT_T0_E_clISt17integral_constantIbLb1EESQ_EEDaSL_SM_EUlSL_E0_NS1_11comp_targetILNS1_3genE8ELNS1_11target_archE1030ELNS1_3gpuE2ELNS1_3repE0EEENS1_30default_config_static_selectorELNS0_4arch9wavefront6targetE1EEEvT1_
                                        ; -- End function
	.section	.AMDGPU.csdata,"",@progbits
; Kernel info:
; codeLenInByte = 0
; NumSgprs: 4
; NumVgprs: 0
; NumAgprs: 0
; TotalNumVgprs: 0
; ScratchSize: 0
; MemoryBound: 0
; FloatMode: 240
; IeeeMode: 1
; LDSByteSize: 0 bytes/workgroup (compile time only)
; SGPRBlocks: 0
; VGPRBlocks: 0
; NumSGPRsForWavesPerEU: 4
; NumVGPRsForWavesPerEU: 1
; AccumOffset: 4
; Occupancy: 8
; WaveLimiterHint : 0
; COMPUTE_PGM_RSRC2:SCRATCH_EN: 0
; COMPUTE_PGM_RSRC2:USER_SGPR: 6
; COMPUTE_PGM_RSRC2:TRAP_HANDLER: 0
; COMPUTE_PGM_RSRC2:TGID_X_EN: 1
; COMPUTE_PGM_RSRC2:TGID_Y_EN: 0
; COMPUTE_PGM_RSRC2:TGID_Z_EN: 0
; COMPUTE_PGM_RSRC2:TIDIG_COMP_CNT: 0
; COMPUTE_PGM_RSRC3_GFX90A:ACCUM_OFFSET: 0
; COMPUTE_PGM_RSRC3_GFX90A:TG_SPLIT: 0
	.section	.text._ZN7rocprim17ROCPRIM_400000_NS6detail31init_lookback_scan_state_kernelINS1_19lookback_scan_stateIlLb1ELb1EEENS1_16block_id_wrapperIjLb0EEEEEvT_jT0_jPNS7_10value_typeE,"axG",@progbits,_ZN7rocprim17ROCPRIM_400000_NS6detail31init_lookback_scan_state_kernelINS1_19lookback_scan_stateIlLb1ELb1EEENS1_16block_id_wrapperIjLb0EEEEEvT_jT0_jPNS7_10value_typeE,comdat
	.protected	_ZN7rocprim17ROCPRIM_400000_NS6detail31init_lookback_scan_state_kernelINS1_19lookback_scan_stateIlLb1ELb1EEENS1_16block_id_wrapperIjLb0EEEEEvT_jT0_jPNS7_10value_typeE ; -- Begin function _ZN7rocprim17ROCPRIM_400000_NS6detail31init_lookback_scan_state_kernelINS1_19lookback_scan_stateIlLb1ELb1EEENS1_16block_id_wrapperIjLb0EEEEEvT_jT0_jPNS7_10value_typeE
	.globl	_ZN7rocprim17ROCPRIM_400000_NS6detail31init_lookback_scan_state_kernelINS1_19lookback_scan_stateIlLb1ELb1EEENS1_16block_id_wrapperIjLb0EEEEEvT_jT0_jPNS7_10value_typeE
	.p2align	8
	.type	_ZN7rocprim17ROCPRIM_400000_NS6detail31init_lookback_scan_state_kernelINS1_19lookback_scan_stateIlLb1ELb1EEENS1_16block_id_wrapperIjLb0EEEEEvT_jT0_jPNS7_10value_typeE,@function
_ZN7rocprim17ROCPRIM_400000_NS6detail31init_lookback_scan_state_kernelINS1_19lookback_scan_stateIlLb1ELb1EEENS1_16block_id_wrapperIjLb0EEEEEvT_jT0_jPNS7_10value_typeE: ; @_ZN7rocprim17ROCPRIM_400000_NS6detail31init_lookback_scan_state_kernelINS1_19lookback_scan_stateIlLb1ELb1EEENS1_16block_id_wrapperIjLb0EEEEEvT_jT0_jPNS7_10value_typeE
; %bb.0:
	s_load_dword s7, s[4:5], 0x2c
	s_load_dwordx2 s[2:3], s[4:5], 0x18
	s_load_dwordx2 s[0:1], s[4:5], 0x0
	s_load_dword s12, s[4:5], 0x8
	s_waitcnt lgkmcnt(0)
	s_and_b32 s7, s7, 0xffff
	s_mul_i32 s6, s6, s7
	s_cmp_eq_u64 s[2:3], 0
	v_add_u32_e32 v0, s6, v0
	s_cbranch_scc1 .LBB121_10
; %bb.1:
	s_load_dword s6, s[4:5], 0x10
	s_mov_b32 s7, 0
	s_waitcnt lgkmcnt(0)
	s_cmp_lt_u32 s6, s12
	s_cselect_b32 s4, s6, 0
	v_cmp_eq_u32_e32 vcc, s4, v0
	s_and_saveexec_b64 s[4:5], vcc
	s_cbranch_execz .LBB121_9
; %bb.2:
	s_add_i32 s6, s6, 64
	s_lshl_b64 s[6:7], s[6:7], 4
	s_add_u32 s10, s0, s6
	s_addc_u32 s11, s1, s7
	v_pk_mov_b32 v[2:3], s[10:11], s[10:11] op_sel:[0,1]
	;;#ASMSTART
	global_load_dwordx4 v[2:5], v[2:3] off glc	
s_waitcnt vmcnt(0)
	;;#ASMEND
	v_mov_b32_e32 v7, 0
	v_and_b32_e32 v6, 0xff, v4
	s_mov_b64 s[8:9], 0
	v_cmp_eq_u64_e32 vcc, 0, v[6:7]
	s_and_saveexec_b64 s[6:7], vcc
	s_cbranch_execz .LBB121_8
; %bb.3:
	s_mov_b32 s13, 1
	v_pk_mov_b32 v[8:9], s[10:11], s[10:11] op_sel:[0,1]
.LBB121_4:                              ; =>This Loop Header: Depth=1
                                        ;     Child Loop BB121_5 Depth 2
	s_max_u32 s10, s13, 1
.LBB121_5:                              ;   Parent Loop BB121_4 Depth=1
                                        ; =>  This Inner Loop Header: Depth=2
	s_add_i32 s10, s10, -1
	s_cmp_eq_u32 s10, 0
	s_sleep 1
	s_cbranch_scc0 .LBB121_5
; %bb.6:                                ;   in Loop: Header=BB121_4 Depth=1
	s_cmp_lt_u32 s13, 32
	s_cselect_b64 s[10:11], -1, 0
	s_cmp_lg_u64 s[10:11], 0
	;;#ASMSTART
	global_load_dwordx4 v[2:5], v[8:9] off glc	
s_waitcnt vmcnt(0)
	;;#ASMEND
	v_and_b32_e32 v6, 0xff, v4
	s_addc_u32 s13, s13, 0
	v_cmp_ne_u64_e32 vcc, 0, v[6:7]
	s_or_b64 s[8:9], vcc, s[8:9]
	s_andn2_b64 exec, exec, s[8:9]
	s_cbranch_execnz .LBB121_4
; %bb.7:
	s_or_b64 exec, exec, s[8:9]
.LBB121_8:
	s_or_b64 exec, exec, s[6:7]
	v_mov_b32_e32 v1, 0
	global_store_dwordx2 v1, v[2:3], s[2:3]
.LBB121_9:
	s_or_b64 exec, exec, s[4:5]
.LBB121_10:
	v_cmp_gt_u32_e32 vcc, s12, v0
	s_and_saveexec_b64 s[2:3], vcc
	s_cbranch_execnz .LBB121_13
; %bb.11:
	s_or_b64 exec, exec, s[2:3]
	v_cmp_gt_u32_e32 vcc, 64, v0
	s_and_saveexec_b64 s[2:3], vcc
	s_cbranch_execnz .LBB121_14
.LBB121_12:
	s_endpgm
.LBB121_13:
	v_add_u32_e32 v2, 64, v0
	v_mov_b32_e32 v3, 0
	v_lshlrev_b64 v[4:5], 4, v[2:3]
	v_mov_b32_e32 v1, s1
	v_add_co_u32_e32 v6, vcc, s0, v4
	v_addc_co_u32_e32 v7, vcc, v1, v5, vcc
	v_mov_b32_e32 v2, v3
	v_mov_b32_e32 v4, v3
	;; [unrolled: 1-line block ×3, first 2 shown]
	global_store_dwordx4 v[6:7], v[2:5], off
	s_or_b64 exec, exec, s[2:3]
	v_cmp_gt_u32_e32 vcc, 64, v0
	s_and_saveexec_b64 s[2:3], vcc
	s_cbranch_execz .LBB121_12
.LBB121_14:
	v_mov_b32_e32 v1, 0
	v_lshlrev_b64 v[2:3], 4, v[0:1]
	v_mov_b32_e32 v0, s1
	v_add_co_u32_e32 v4, vcc, s0, v2
	v_addc_co_u32_e32 v5, vcc, v0, v3, vcc
	v_mov_b32_e32 v2, 0xff
	v_mov_b32_e32 v0, v1
	;; [unrolled: 1-line block ×3, first 2 shown]
	global_store_dwordx4 v[4:5], v[0:3], off
	s_endpgm
	.section	.rodata,"a",@progbits
	.p2align	6, 0x0
	.amdhsa_kernel _ZN7rocprim17ROCPRIM_400000_NS6detail31init_lookback_scan_state_kernelINS1_19lookback_scan_stateIlLb1ELb1EEENS1_16block_id_wrapperIjLb0EEEEEvT_jT0_jPNS7_10value_typeE
		.amdhsa_group_segment_fixed_size 0
		.amdhsa_private_segment_fixed_size 0
		.amdhsa_kernarg_size 288
		.amdhsa_user_sgpr_count 6
		.amdhsa_user_sgpr_private_segment_buffer 1
		.amdhsa_user_sgpr_dispatch_ptr 0
		.amdhsa_user_sgpr_queue_ptr 0
		.amdhsa_user_sgpr_kernarg_segment_ptr 1
		.amdhsa_user_sgpr_dispatch_id 0
		.amdhsa_user_sgpr_flat_scratch_init 0
		.amdhsa_user_sgpr_kernarg_preload_length 0
		.amdhsa_user_sgpr_kernarg_preload_offset 0
		.amdhsa_user_sgpr_private_segment_size 0
		.amdhsa_uses_dynamic_stack 0
		.amdhsa_system_sgpr_private_segment_wavefront_offset 0
		.amdhsa_system_sgpr_workgroup_id_x 1
		.amdhsa_system_sgpr_workgroup_id_y 0
		.amdhsa_system_sgpr_workgroup_id_z 0
		.amdhsa_system_sgpr_workgroup_info 0
		.amdhsa_system_vgpr_workitem_id 0
		.amdhsa_next_free_vgpr 10
		.amdhsa_next_free_sgpr 14
		.amdhsa_accum_offset 12
		.amdhsa_reserve_vcc 1
		.amdhsa_reserve_flat_scratch 0
		.amdhsa_float_round_mode_32 0
		.amdhsa_float_round_mode_16_64 0
		.amdhsa_float_denorm_mode_32 3
		.amdhsa_float_denorm_mode_16_64 3
		.amdhsa_dx10_clamp 1
		.amdhsa_ieee_mode 1
		.amdhsa_fp16_overflow 0
		.amdhsa_tg_split 0
		.amdhsa_exception_fp_ieee_invalid_op 0
		.amdhsa_exception_fp_denorm_src 0
		.amdhsa_exception_fp_ieee_div_zero 0
		.amdhsa_exception_fp_ieee_overflow 0
		.amdhsa_exception_fp_ieee_underflow 0
		.amdhsa_exception_fp_ieee_inexact 0
		.amdhsa_exception_int_div_zero 0
	.end_amdhsa_kernel
	.section	.text._ZN7rocprim17ROCPRIM_400000_NS6detail31init_lookback_scan_state_kernelINS1_19lookback_scan_stateIlLb1ELb1EEENS1_16block_id_wrapperIjLb0EEEEEvT_jT0_jPNS7_10value_typeE,"axG",@progbits,_ZN7rocprim17ROCPRIM_400000_NS6detail31init_lookback_scan_state_kernelINS1_19lookback_scan_stateIlLb1ELb1EEENS1_16block_id_wrapperIjLb0EEEEEvT_jT0_jPNS7_10value_typeE,comdat
.Lfunc_end121:
	.size	_ZN7rocprim17ROCPRIM_400000_NS6detail31init_lookback_scan_state_kernelINS1_19lookback_scan_stateIlLb1ELb1EEENS1_16block_id_wrapperIjLb0EEEEEvT_jT0_jPNS7_10value_typeE, .Lfunc_end121-_ZN7rocprim17ROCPRIM_400000_NS6detail31init_lookback_scan_state_kernelINS1_19lookback_scan_stateIlLb1ELb1EEENS1_16block_id_wrapperIjLb0EEEEEvT_jT0_jPNS7_10value_typeE
                                        ; -- End function
	.section	.AMDGPU.csdata,"",@progbits
; Kernel info:
; codeLenInByte = 424
; NumSgprs: 18
; NumVgprs: 10
; NumAgprs: 0
; TotalNumVgprs: 10
; ScratchSize: 0
; MemoryBound: 0
; FloatMode: 240
; IeeeMode: 1
; LDSByteSize: 0 bytes/workgroup (compile time only)
; SGPRBlocks: 2
; VGPRBlocks: 1
; NumSGPRsForWavesPerEU: 18
; NumVGPRsForWavesPerEU: 10
; AccumOffset: 12
; Occupancy: 8
; WaveLimiterHint : 0
; COMPUTE_PGM_RSRC2:SCRATCH_EN: 0
; COMPUTE_PGM_RSRC2:USER_SGPR: 6
; COMPUTE_PGM_RSRC2:TRAP_HANDLER: 0
; COMPUTE_PGM_RSRC2:TGID_X_EN: 1
; COMPUTE_PGM_RSRC2:TGID_Y_EN: 0
; COMPUTE_PGM_RSRC2:TGID_Z_EN: 0
; COMPUTE_PGM_RSRC2:TIDIG_COMP_CNT: 0
; COMPUTE_PGM_RSRC3_GFX90A:ACCUM_OFFSET: 2
; COMPUTE_PGM_RSRC3_GFX90A:TG_SPLIT: 0
	.section	.text._ZN7rocprim17ROCPRIM_400000_NS6detail17trampoline_kernelINS0_14default_configENS1_20scan_config_selectorIlEEZZNS1_9scan_implILNS1_25lookback_scan_determinismE0ELb0ELb0ES3_PlS8_lN6thrust23THRUST_200600_302600_NS4plusIvEElEEDaPvRmT3_T4_T5_mT6_P12ihipStream_tbENKUlT_T0_E_clISt17integral_constantIbLb1EESP_IbLb0EEEEDaSL_SM_EUlSL_E_NS1_11comp_targetILNS1_3genE0ELNS1_11target_archE4294967295ELNS1_3gpuE0ELNS1_3repE0EEENS1_30default_config_static_selectorELNS0_4arch9wavefront6targetE1EEEvT1_,"axG",@progbits,_ZN7rocprim17ROCPRIM_400000_NS6detail17trampoline_kernelINS0_14default_configENS1_20scan_config_selectorIlEEZZNS1_9scan_implILNS1_25lookback_scan_determinismE0ELb0ELb0ES3_PlS8_lN6thrust23THRUST_200600_302600_NS4plusIvEElEEDaPvRmT3_T4_T5_mT6_P12ihipStream_tbENKUlT_T0_E_clISt17integral_constantIbLb1EESP_IbLb0EEEEDaSL_SM_EUlSL_E_NS1_11comp_targetILNS1_3genE0ELNS1_11target_archE4294967295ELNS1_3gpuE0ELNS1_3repE0EEENS1_30default_config_static_selectorELNS0_4arch9wavefront6targetE1EEEvT1_,comdat
	.protected	_ZN7rocprim17ROCPRIM_400000_NS6detail17trampoline_kernelINS0_14default_configENS1_20scan_config_selectorIlEEZZNS1_9scan_implILNS1_25lookback_scan_determinismE0ELb0ELb0ES3_PlS8_lN6thrust23THRUST_200600_302600_NS4plusIvEElEEDaPvRmT3_T4_T5_mT6_P12ihipStream_tbENKUlT_T0_E_clISt17integral_constantIbLb1EESP_IbLb0EEEEDaSL_SM_EUlSL_E_NS1_11comp_targetILNS1_3genE0ELNS1_11target_archE4294967295ELNS1_3gpuE0ELNS1_3repE0EEENS1_30default_config_static_selectorELNS0_4arch9wavefront6targetE1EEEvT1_ ; -- Begin function _ZN7rocprim17ROCPRIM_400000_NS6detail17trampoline_kernelINS0_14default_configENS1_20scan_config_selectorIlEEZZNS1_9scan_implILNS1_25lookback_scan_determinismE0ELb0ELb0ES3_PlS8_lN6thrust23THRUST_200600_302600_NS4plusIvEElEEDaPvRmT3_T4_T5_mT6_P12ihipStream_tbENKUlT_T0_E_clISt17integral_constantIbLb1EESP_IbLb0EEEEDaSL_SM_EUlSL_E_NS1_11comp_targetILNS1_3genE0ELNS1_11target_archE4294967295ELNS1_3gpuE0ELNS1_3repE0EEENS1_30default_config_static_selectorELNS0_4arch9wavefront6targetE1EEEvT1_
	.globl	_ZN7rocprim17ROCPRIM_400000_NS6detail17trampoline_kernelINS0_14default_configENS1_20scan_config_selectorIlEEZZNS1_9scan_implILNS1_25lookback_scan_determinismE0ELb0ELb0ES3_PlS8_lN6thrust23THRUST_200600_302600_NS4plusIvEElEEDaPvRmT3_T4_T5_mT6_P12ihipStream_tbENKUlT_T0_E_clISt17integral_constantIbLb1EESP_IbLb0EEEEDaSL_SM_EUlSL_E_NS1_11comp_targetILNS1_3genE0ELNS1_11target_archE4294967295ELNS1_3gpuE0ELNS1_3repE0EEENS1_30default_config_static_selectorELNS0_4arch9wavefront6targetE1EEEvT1_
	.p2align	8
	.type	_ZN7rocprim17ROCPRIM_400000_NS6detail17trampoline_kernelINS0_14default_configENS1_20scan_config_selectorIlEEZZNS1_9scan_implILNS1_25lookback_scan_determinismE0ELb0ELb0ES3_PlS8_lN6thrust23THRUST_200600_302600_NS4plusIvEElEEDaPvRmT3_T4_T5_mT6_P12ihipStream_tbENKUlT_T0_E_clISt17integral_constantIbLb1EESP_IbLb0EEEEDaSL_SM_EUlSL_E_NS1_11comp_targetILNS1_3genE0ELNS1_11target_archE4294967295ELNS1_3gpuE0ELNS1_3repE0EEENS1_30default_config_static_selectorELNS0_4arch9wavefront6targetE1EEEvT1_,@function
_ZN7rocprim17ROCPRIM_400000_NS6detail17trampoline_kernelINS0_14default_configENS1_20scan_config_selectorIlEEZZNS1_9scan_implILNS1_25lookback_scan_determinismE0ELb0ELb0ES3_PlS8_lN6thrust23THRUST_200600_302600_NS4plusIvEElEEDaPvRmT3_T4_T5_mT6_P12ihipStream_tbENKUlT_T0_E_clISt17integral_constantIbLb1EESP_IbLb0EEEEDaSL_SM_EUlSL_E_NS1_11comp_targetILNS1_3genE0ELNS1_11target_archE4294967295ELNS1_3gpuE0ELNS1_3repE0EEENS1_30default_config_static_selectorELNS0_4arch9wavefront6targetE1EEEvT1_: ; @_ZN7rocprim17ROCPRIM_400000_NS6detail17trampoline_kernelINS0_14default_configENS1_20scan_config_selectorIlEEZZNS1_9scan_implILNS1_25lookback_scan_determinismE0ELb0ELb0ES3_PlS8_lN6thrust23THRUST_200600_302600_NS4plusIvEElEEDaPvRmT3_T4_T5_mT6_P12ihipStream_tbENKUlT_T0_E_clISt17integral_constantIbLb1EESP_IbLb0EEEEDaSL_SM_EUlSL_E_NS1_11comp_targetILNS1_3genE0ELNS1_11target_archE4294967295ELNS1_3gpuE0ELNS1_3repE0EEENS1_30default_config_static_selectorELNS0_4arch9wavefront6targetE1EEEvT1_
; %bb.0:
	.section	.rodata,"a",@progbits
	.p2align	6, 0x0
	.amdhsa_kernel _ZN7rocprim17ROCPRIM_400000_NS6detail17trampoline_kernelINS0_14default_configENS1_20scan_config_selectorIlEEZZNS1_9scan_implILNS1_25lookback_scan_determinismE0ELb0ELb0ES3_PlS8_lN6thrust23THRUST_200600_302600_NS4plusIvEElEEDaPvRmT3_T4_T5_mT6_P12ihipStream_tbENKUlT_T0_E_clISt17integral_constantIbLb1EESP_IbLb0EEEEDaSL_SM_EUlSL_E_NS1_11comp_targetILNS1_3genE0ELNS1_11target_archE4294967295ELNS1_3gpuE0ELNS1_3repE0EEENS1_30default_config_static_selectorELNS0_4arch9wavefront6targetE1EEEvT1_
		.amdhsa_group_segment_fixed_size 0
		.amdhsa_private_segment_fixed_size 0
		.amdhsa_kernarg_size 104
		.amdhsa_user_sgpr_count 6
		.amdhsa_user_sgpr_private_segment_buffer 1
		.amdhsa_user_sgpr_dispatch_ptr 0
		.amdhsa_user_sgpr_queue_ptr 0
		.amdhsa_user_sgpr_kernarg_segment_ptr 1
		.amdhsa_user_sgpr_dispatch_id 0
		.amdhsa_user_sgpr_flat_scratch_init 0
		.amdhsa_user_sgpr_kernarg_preload_length 0
		.amdhsa_user_sgpr_kernarg_preload_offset 0
		.amdhsa_user_sgpr_private_segment_size 0
		.amdhsa_uses_dynamic_stack 0
		.amdhsa_system_sgpr_private_segment_wavefront_offset 0
		.amdhsa_system_sgpr_workgroup_id_x 1
		.amdhsa_system_sgpr_workgroup_id_y 0
		.amdhsa_system_sgpr_workgroup_id_z 0
		.amdhsa_system_sgpr_workgroup_info 0
		.amdhsa_system_vgpr_workitem_id 0
		.amdhsa_next_free_vgpr 1
		.amdhsa_next_free_sgpr 0
		.amdhsa_accum_offset 4
		.amdhsa_reserve_vcc 0
		.amdhsa_reserve_flat_scratch 0
		.amdhsa_float_round_mode_32 0
		.amdhsa_float_round_mode_16_64 0
		.amdhsa_float_denorm_mode_32 3
		.amdhsa_float_denorm_mode_16_64 3
		.amdhsa_dx10_clamp 1
		.amdhsa_ieee_mode 1
		.amdhsa_fp16_overflow 0
		.amdhsa_tg_split 0
		.amdhsa_exception_fp_ieee_invalid_op 0
		.amdhsa_exception_fp_denorm_src 0
		.amdhsa_exception_fp_ieee_div_zero 0
		.amdhsa_exception_fp_ieee_overflow 0
		.amdhsa_exception_fp_ieee_underflow 0
		.amdhsa_exception_fp_ieee_inexact 0
		.amdhsa_exception_int_div_zero 0
	.end_amdhsa_kernel
	.section	.text._ZN7rocprim17ROCPRIM_400000_NS6detail17trampoline_kernelINS0_14default_configENS1_20scan_config_selectorIlEEZZNS1_9scan_implILNS1_25lookback_scan_determinismE0ELb0ELb0ES3_PlS8_lN6thrust23THRUST_200600_302600_NS4plusIvEElEEDaPvRmT3_T4_T5_mT6_P12ihipStream_tbENKUlT_T0_E_clISt17integral_constantIbLb1EESP_IbLb0EEEEDaSL_SM_EUlSL_E_NS1_11comp_targetILNS1_3genE0ELNS1_11target_archE4294967295ELNS1_3gpuE0ELNS1_3repE0EEENS1_30default_config_static_selectorELNS0_4arch9wavefront6targetE1EEEvT1_,"axG",@progbits,_ZN7rocprim17ROCPRIM_400000_NS6detail17trampoline_kernelINS0_14default_configENS1_20scan_config_selectorIlEEZZNS1_9scan_implILNS1_25lookback_scan_determinismE0ELb0ELb0ES3_PlS8_lN6thrust23THRUST_200600_302600_NS4plusIvEElEEDaPvRmT3_T4_T5_mT6_P12ihipStream_tbENKUlT_T0_E_clISt17integral_constantIbLb1EESP_IbLb0EEEEDaSL_SM_EUlSL_E_NS1_11comp_targetILNS1_3genE0ELNS1_11target_archE4294967295ELNS1_3gpuE0ELNS1_3repE0EEENS1_30default_config_static_selectorELNS0_4arch9wavefront6targetE1EEEvT1_,comdat
.Lfunc_end122:
	.size	_ZN7rocprim17ROCPRIM_400000_NS6detail17trampoline_kernelINS0_14default_configENS1_20scan_config_selectorIlEEZZNS1_9scan_implILNS1_25lookback_scan_determinismE0ELb0ELb0ES3_PlS8_lN6thrust23THRUST_200600_302600_NS4plusIvEElEEDaPvRmT3_T4_T5_mT6_P12ihipStream_tbENKUlT_T0_E_clISt17integral_constantIbLb1EESP_IbLb0EEEEDaSL_SM_EUlSL_E_NS1_11comp_targetILNS1_3genE0ELNS1_11target_archE4294967295ELNS1_3gpuE0ELNS1_3repE0EEENS1_30default_config_static_selectorELNS0_4arch9wavefront6targetE1EEEvT1_, .Lfunc_end122-_ZN7rocprim17ROCPRIM_400000_NS6detail17trampoline_kernelINS0_14default_configENS1_20scan_config_selectorIlEEZZNS1_9scan_implILNS1_25lookback_scan_determinismE0ELb0ELb0ES3_PlS8_lN6thrust23THRUST_200600_302600_NS4plusIvEElEEDaPvRmT3_T4_T5_mT6_P12ihipStream_tbENKUlT_T0_E_clISt17integral_constantIbLb1EESP_IbLb0EEEEDaSL_SM_EUlSL_E_NS1_11comp_targetILNS1_3genE0ELNS1_11target_archE4294967295ELNS1_3gpuE0ELNS1_3repE0EEENS1_30default_config_static_selectorELNS0_4arch9wavefront6targetE1EEEvT1_
                                        ; -- End function
	.section	.AMDGPU.csdata,"",@progbits
; Kernel info:
; codeLenInByte = 0
; NumSgprs: 4
; NumVgprs: 0
; NumAgprs: 0
; TotalNumVgprs: 0
; ScratchSize: 0
; MemoryBound: 0
; FloatMode: 240
; IeeeMode: 1
; LDSByteSize: 0 bytes/workgroup (compile time only)
; SGPRBlocks: 0
; VGPRBlocks: 0
; NumSGPRsForWavesPerEU: 4
; NumVGPRsForWavesPerEU: 1
; AccumOffset: 4
; Occupancy: 8
; WaveLimiterHint : 0
; COMPUTE_PGM_RSRC2:SCRATCH_EN: 0
; COMPUTE_PGM_RSRC2:USER_SGPR: 6
; COMPUTE_PGM_RSRC2:TRAP_HANDLER: 0
; COMPUTE_PGM_RSRC2:TGID_X_EN: 1
; COMPUTE_PGM_RSRC2:TGID_Y_EN: 0
; COMPUTE_PGM_RSRC2:TGID_Z_EN: 0
; COMPUTE_PGM_RSRC2:TIDIG_COMP_CNT: 0
; COMPUTE_PGM_RSRC3_GFX90A:ACCUM_OFFSET: 0
; COMPUTE_PGM_RSRC3_GFX90A:TG_SPLIT: 0
	.section	.text._ZN7rocprim17ROCPRIM_400000_NS6detail17trampoline_kernelINS0_14default_configENS1_20scan_config_selectorIlEEZZNS1_9scan_implILNS1_25lookback_scan_determinismE0ELb0ELb0ES3_PlS8_lN6thrust23THRUST_200600_302600_NS4plusIvEElEEDaPvRmT3_T4_T5_mT6_P12ihipStream_tbENKUlT_T0_E_clISt17integral_constantIbLb1EESP_IbLb0EEEEDaSL_SM_EUlSL_E_NS1_11comp_targetILNS1_3genE5ELNS1_11target_archE942ELNS1_3gpuE9ELNS1_3repE0EEENS1_30default_config_static_selectorELNS0_4arch9wavefront6targetE1EEEvT1_,"axG",@progbits,_ZN7rocprim17ROCPRIM_400000_NS6detail17trampoline_kernelINS0_14default_configENS1_20scan_config_selectorIlEEZZNS1_9scan_implILNS1_25lookback_scan_determinismE0ELb0ELb0ES3_PlS8_lN6thrust23THRUST_200600_302600_NS4plusIvEElEEDaPvRmT3_T4_T5_mT6_P12ihipStream_tbENKUlT_T0_E_clISt17integral_constantIbLb1EESP_IbLb0EEEEDaSL_SM_EUlSL_E_NS1_11comp_targetILNS1_3genE5ELNS1_11target_archE942ELNS1_3gpuE9ELNS1_3repE0EEENS1_30default_config_static_selectorELNS0_4arch9wavefront6targetE1EEEvT1_,comdat
	.protected	_ZN7rocprim17ROCPRIM_400000_NS6detail17trampoline_kernelINS0_14default_configENS1_20scan_config_selectorIlEEZZNS1_9scan_implILNS1_25lookback_scan_determinismE0ELb0ELb0ES3_PlS8_lN6thrust23THRUST_200600_302600_NS4plusIvEElEEDaPvRmT3_T4_T5_mT6_P12ihipStream_tbENKUlT_T0_E_clISt17integral_constantIbLb1EESP_IbLb0EEEEDaSL_SM_EUlSL_E_NS1_11comp_targetILNS1_3genE5ELNS1_11target_archE942ELNS1_3gpuE9ELNS1_3repE0EEENS1_30default_config_static_selectorELNS0_4arch9wavefront6targetE1EEEvT1_ ; -- Begin function _ZN7rocprim17ROCPRIM_400000_NS6detail17trampoline_kernelINS0_14default_configENS1_20scan_config_selectorIlEEZZNS1_9scan_implILNS1_25lookback_scan_determinismE0ELb0ELb0ES3_PlS8_lN6thrust23THRUST_200600_302600_NS4plusIvEElEEDaPvRmT3_T4_T5_mT6_P12ihipStream_tbENKUlT_T0_E_clISt17integral_constantIbLb1EESP_IbLb0EEEEDaSL_SM_EUlSL_E_NS1_11comp_targetILNS1_3genE5ELNS1_11target_archE942ELNS1_3gpuE9ELNS1_3repE0EEENS1_30default_config_static_selectorELNS0_4arch9wavefront6targetE1EEEvT1_
	.globl	_ZN7rocprim17ROCPRIM_400000_NS6detail17trampoline_kernelINS0_14default_configENS1_20scan_config_selectorIlEEZZNS1_9scan_implILNS1_25lookback_scan_determinismE0ELb0ELb0ES3_PlS8_lN6thrust23THRUST_200600_302600_NS4plusIvEElEEDaPvRmT3_T4_T5_mT6_P12ihipStream_tbENKUlT_T0_E_clISt17integral_constantIbLb1EESP_IbLb0EEEEDaSL_SM_EUlSL_E_NS1_11comp_targetILNS1_3genE5ELNS1_11target_archE942ELNS1_3gpuE9ELNS1_3repE0EEENS1_30default_config_static_selectorELNS0_4arch9wavefront6targetE1EEEvT1_
	.p2align	8
	.type	_ZN7rocprim17ROCPRIM_400000_NS6detail17trampoline_kernelINS0_14default_configENS1_20scan_config_selectorIlEEZZNS1_9scan_implILNS1_25lookback_scan_determinismE0ELb0ELb0ES3_PlS8_lN6thrust23THRUST_200600_302600_NS4plusIvEElEEDaPvRmT3_T4_T5_mT6_P12ihipStream_tbENKUlT_T0_E_clISt17integral_constantIbLb1EESP_IbLb0EEEEDaSL_SM_EUlSL_E_NS1_11comp_targetILNS1_3genE5ELNS1_11target_archE942ELNS1_3gpuE9ELNS1_3repE0EEENS1_30default_config_static_selectorELNS0_4arch9wavefront6targetE1EEEvT1_,@function
_ZN7rocprim17ROCPRIM_400000_NS6detail17trampoline_kernelINS0_14default_configENS1_20scan_config_selectorIlEEZZNS1_9scan_implILNS1_25lookback_scan_determinismE0ELb0ELb0ES3_PlS8_lN6thrust23THRUST_200600_302600_NS4plusIvEElEEDaPvRmT3_T4_T5_mT6_P12ihipStream_tbENKUlT_T0_E_clISt17integral_constantIbLb1EESP_IbLb0EEEEDaSL_SM_EUlSL_E_NS1_11comp_targetILNS1_3genE5ELNS1_11target_archE942ELNS1_3gpuE9ELNS1_3repE0EEENS1_30default_config_static_selectorELNS0_4arch9wavefront6targetE1EEEvT1_: ; @_ZN7rocprim17ROCPRIM_400000_NS6detail17trampoline_kernelINS0_14default_configENS1_20scan_config_selectorIlEEZZNS1_9scan_implILNS1_25lookback_scan_determinismE0ELb0ELb0ES3_PlS8_lN6thrust23THRUST_200600_302600_NS4plusIvEElEEDaPvRmT3_T4_T5_mT6_P12ihipStream_tbENKUlT_T0_E_clISt17integral_constantIbLb1EESP_IbLb0EEEEDaSL_SM_EUlSL_E_NS1_11comp_targetILNS1_3genE5ELNS1_11target_archE942ELNS1_3gpuE9ELNS1_3repE0EEENS1_30default_config_static_selectorELNS0_4arch9wavefront6targetE1EEEvT1_
; %bb.0:
	.section	.rodata,"a",@progbits
	.p2align	6, 0x0
	.amdhsa_kernel _ZN7rocprim17ROCPRIM_400000_NS6detail17trampoline_kernelINS0_14default_configENS1_20scan_config_selectorIlEEZZNS1_9scan_implILNS1_25lookback_scan_determinismE0ELb0ELb0ES3_PlS8_lN6thrust23THRUST_200600_302600_NS4plusIvEElEEDaPvRmT3_T4_T5_mT6_P12ihipStream_tbENKUlT_T0_E_clISt17integral_constantIbLb1EESP_IbLb0EEEEDaSL_SM_EUlSL_E_NS1_11comp_targetILNS1_3genE5ELNS1_11target_archE942ELNS1_3gpuE9ELNS1_3repE0EEENS1_30default_config_static_selectorELNS0_4arch9wavefront6targetE1EEEvT1_
		.amdhsa_group_segment_fixed_size 0
		.amdhsa_private_segment_fixed_size 0
		.amdhsa_kernarg_size 104
		.amdhsa_user_sgpr_count 6
		.amdhsa_user_sgpr_private_segment_buffer 1
		.amdhsa_user_sgpr_dispatch_ptr 0
		.amdhsa_user_sgpr_queue_ptr 0
		.amdhsa_user_sgpr_kernarg_segment_ptr 1
		.amdhsa_user_sgpr_dispatch_id 0
		.amdhsa_user_sgpr_flat_scratch_init 0
		.amdhsa_user_sgpr_kernarg_preload_length 0
		.amdhsa_user_sgpr_kernarg_preload_offset 0
		.amdhsa_user_sgpr_private_segment_size 0
		.amdhsa_uses_dynamic_stack 0
		.amdhsa_system_sgpr_private_segment_wavefront_offset 0
		.amdhsa_system_sgpr_workgroup_id_x 1
		.amdhsa_system_sgpr_workgroup_id_y 0
		.amdhsa_system_sgpr_workgroup_id_z 0
		.amdhsa_system_sgpr_workgroup_info 0
		.amdhsa_system_vgpr_workitem_id 0
		.amdhsa_next_free_vgpr 1
		.amdhsa_next_free_sgpr 0
		.amdhsa_accum_offset 4
		.amdhsa_reserve_vcc 0
		.amdhsa_reserve_flat_scratch 0
		.amdhsa_float_round_mode_32 0
		.amdhsa_float_round_mode_16_64 0
		.amdhsa_float_denorm_mode_32 3
		.amdhsa_float_denorm_mode_16_64 3
		.amdhsa_dx10_clamp 1
		.amdhsa_ieee_mode 1
		.amdhsa_fp16_overflow 0
		.amdhsa_tg_split 0
		.amdhsa_exception_fp_ieee_invalid_op 0
		.amdhsa_exception_fp_denorm_src 0
		.amdhsa_exception_fp_ieee_div_zero 0
		.amdhsa_exception_fp_ieee_overflow 0
		.amdhsa_exception_fp_ieee_underflow 0
		.amdhsa_exception_fp_ieee_inexact 0
		.amdhsa_exception_int_div_zero 0
	.end_amdhsa_kernel
	.section	.text._ZN7rocprim17ROCPRIM_400000_NS6detail17trampoline_kernelINS0_14default_configENS1_20scan_config_selectorIlEEZZNS1_9scan_implILNS1_25lookback_scan_determinismE0ELb0ELb0ES3_PlS8_lN6thrust23THRUST_200600_302600_NS4plusIvEElEEDaPvRmT3_T4_T5_mT6_P12ihipStream_tbENKUlT_T0_E_clISt17integral_constantIbLb1EESP_IbLb0EEEEDaSL_SM_EUlSL_E_NS1_11comp_targetILNS1_3genE5ELNS1_11target_archE942ELNS1_3gpuE9ELNS1_3repE0EEENS1_30default_config_static_selectorELNS0_4arch9wavefront6targetE1EEEvT1_,"axG",@progbits,_ZN7rocprim17ROCPRIM_400000_NS6detail17trampoline_kernelINS0_14default_configENS1_20scan_config_selectorIlEEZZNS1_9scan_implILNS1_25lookback_scan_determinismE0ELb0ELb0ES3_PlS8_lN6thrust23THRUST_200600_302600_NS4plusIvEElEEDaPvRmT3_T4_T5_mT6_P12ihipStream_tbENKUlT_T0_E_clISt17integral_constantIbLb1EESP_IbLb0EEEEDaSL_SM_EUlSL_E_NS1_11comp_targetILNS1_3genE5ELNS1_11target_archE942ELNS1_3gpuE9ELNS1_3repE0EEENS1_30default_config_static_selectorELNS0_4arch9wavefront6targetE1EEEvT1_,comdat
.Lfunc_end123:
	.size	_ZN7rocprim17ROCPRIM_400000_NS6detail17trampoline_kernelINS0_14default_configENS1_20scan_config_selectorIlEEZZNS1_9scan_implILNS1_25lookback_scan_determinismE0ELb0ELb0ES3_PlS8_lN6thrust23THRUST_200600_302600_NS4plusIvEElEEDaPvRmT3_T4_T5_mT6_P12ihipStream_tbENKUlT_T0_E_clISt17integral_constantIbLb1EESP_IbLb0EEEEDaSL_SM_EUlSL_E_NS1_11comp_targetILNS1_3genE5ELNS1_11target_archE942ELNS1_3gpuE9ELNS1_3repE0EEENS1_30default_config_static_selectorELNS0_4arch9wavefront6targetE1EEEvT1_, .Lfunc_end123-_ZN7rocprim17ROCPRIM_400000_NS6detail17trampoline_kernelINS0_14default_configENS1_20scan_config_selectorIlEEZZNS1_9scan_implILNS1_25lookback_scan_determinismE0ELb0ELb0ES3_PlS8_lN6thrust23THRUST_200600_302600_NS4plusIvEElEEDaPvRmT3_T4_T5_mT6_P12ihipStream_tbENKUlT_T0_E_clISt17integral_constantIbLb1EESP_IbLb0EEEEDaSL_SM_EUlSL_E_NS1_11comp_targetILNS1_3genE5ELNS1_11target_archE942ELNS1_3gpuE9ELNS1_3repE0EEENS1_30default_config_static_selectorELNS0_4arch9wavefront6targetE1EEEvT1_
                                        ; -- End function
	.section	.AMDGPU.csdata,"",@progbits
; Kernel info:
; codeLenInByte = 0
; NumSgprs: 4
; NumVgprs: 0
; NumAgprs: 0
; TotalNumVgprs: 0
; ScratchSize: 0
; MemoryBound: 0
; FloatMode: 240
; IeeeMode: 1
; LDSByteSize: 0 bytes/workgroup (compile time only)
; SGPRBlocks: 0
; VGPRBlocks: 0
; NumSGPRsForWavesPerEU: 4
; NumVGPRsForWavesPerEU: 1
; AccumOffset: 4
; Occupancy: 8
; WaveLimiterHint : 0
; COMPUTE_PGM_RSRC2:SCRATCH_EN: 0
; COMPUTE_PGM_RSRC2:USER_SGPR: 6
; COMPUTE_PGM_RSRC2:TRAP_HANDLER: 0
; COMPUTE_PGM_RSRC2:TGID_X_EN: 1
; COMPUTE_PGM_RSRC2:TGID_Y_EN: 0
; COMPUTE_PGM_RSRC2:TGID_Z_EN: 0
; COMPUTE_PGM_RSRC2:TIDIG_COMP_CNT: 0
; COMPUTE_PGM_RSRC3_GFX90A:ACCUM_OFFSET: 0
; COMPUTE_PGM_RSRC3_GFX90A:TG_SPLIT: 0
	.section	.text._ZN7rocprim17ROCPRIM_400000_NS6detail17trampoline_kernelINS0_14default_configENS1_20scan_config_selectorIlEEZZNS1_9scan_implILNS1_25lookback_scan_determinismE0ELb0ELb0ES3_PlS8_lN6thrust23THRUST_200600_302600_NS4plusIvEElEEDaPvRmT3_T4_T5_mT6_P12ihipStream_tbENKUlT_T0_E_clISt17integral_constantIbLb1EESP_IbLb0EEEEDaSL_SM_EUlSL_E_NS1_11comp_targetILNS1_3genE4ELNS1_11target_archE910ELNS1_3gpuE8ELNS1_3repE0EEENS1_30default_config_static_selectorELNS0_4arch9wavefront6targetE1EEEvT1_,"axG",@progbits,_ZN7rocprim17ROCPRIM_400000_NS6detail17trampoline_kernelINS0_14default_configENS1_20scan_config_selectorIlEEZZNS1_9scan_implILNS1_25lookback_scan_determinismE0ELb0ELb0ES3_PlS8_lN6thrust23THRUST_200600_302600_NS4plusIvEElEEDaPvRmT3_T4_T5_mT6_P12ihipStream_tbENKUlT_T0_E_clISt17integral_constantIbLb1EESP_IbLb0EEEEDaSL_SM_EUlSL_E_NS1_11comp_targetILNS1_3genE4ELNS1_11target_archE910ELNS1_3gpuE8ELNS1_3repE0EEENS1_30default_config_static_selectorELNS0_4arch9wavefront6targetE1EEEvT1_,comdat
	.protected	_ZN7rocprim17ROCPRIM_400000_NS6detail17trampoline_kernelINS0_14default_configENS1_20scan_config_selectorIlEEZZNS1_9scan_implILNS1_25lookback_scan_determinismE0ELb0ELb0ES3_PlS8_lN6thrust23THRUST_200600_302600_NS4plusIvEElEEDaPvRmT3_T4_T5_mT6_P12ihipStream_tbENKUlT_T0_E_clISt17integral_constantIbLb1EESP_IbLb0EEEEDaSL_SM_EUlSL_E_NS1_11comp_targetILNS1_3genE4ELNS1_11target_archE910ELNS1_3gpuE8ELNS1_3repE0EEENS1_30default_config_static_selectorELNS0_4arch9wavefront6targetE1EEEvT1_ ; -- Begin function _ZN7rocprim17ROCPRIM_400000_NS6detail17trampoline_kernelINS0_14default_configENS1_20scan_config_selectorIlEEZZNS1_9scan_implILNS1_25lookback_scan_determinismE0ELb0ELb0ES3_PlS8_lN6thrust23THRUST_200600_302600_NS4plusIvEElEEDaPvRmT3_T4_T5_mT6_P12ihipStream_tbENKUlT_T0_E_clISt17integral_constantIbLb1EESP_IbLb0EEEEDaSL_SM_EUlSL_E_NS1_11comp_targetILNS1_3genE4ELNS1_11target_archE910ELNS1_3gpuE8ELNS1_3repE0EEENS1_30default_config_static_selectorELNS0_4arch9wavefront6targetE1EEEvT1_
	.globl	_ZN7rocprim17ROCPRIM_400000_NS6detail17trampoline_kernelINS0_14default_configENS1_20scan_config_selectorIlEEZZNS1_9scan_implILNS1_25lookback_scan_determinismE0ELb0ELb0ES3_PlS8_lN6thrust23THRUST_200600_302600_NS4plusIvEElEEDaPvRmT3_T4_T5_mT6_P12ihipStream_tbENKUlT_T0_E_clISt17integral_constantIbLb1EESP_IbLb0EEEEDaSL_SM_EUlSL_E_NS1_11comp_targetILNS1_3genE4ELNS1_11target_archE910ELNS1_3gpuE8ELNS1_3repE0EEENS1_30default_config_static_selectorELNS0_4arch9wavefront6targetE1EEEvT1_
	.p2align	8
	.type	_ZN7rocprim17ROCPRIM_400000_NS6detail17trampoline_kernelINS0_14default_configENS1_20scan_config_selectorIlEEZZNS1_9scan_implILNS1_25lookback_scan_determinismE0ELb0ELb0ES3_PlS8_lN6thrust23THRUST_200600_302600_NS4plusIvEElEEDaPvRmT3_T4_T5_mT6_P12ihipStream_tbENKUlT_T0_E_clISt17integral_constantIbLb1EESP_IbLb0EEEEDaSL_SM_EUlSL_E_NS1_11comp_targetILNS1_3genE4ELNS1_11target_archE910ELNS1_3gpuE8ELNS1_3repE0EEENS1_30default_config_static_selectorELNS0_4arch9wavefront6targetE1EEEvT1_,@function
_ZN7rocprim17ROCPRIM_400000_NS6detail17trampoline_kernelINS0_14default_configENS1_20scan_config_selectorIlEEZZNS1_9scan_implILNS1_25lookback_scan_determinismE0ELb0ELb0ES3_PlS8_lN6thrust23THRUST_200600_302600_NS4plusIvEElEEDaPvRmT3_T4_T5_mT6_P12ihipStream_tbENKUlT_T0_E_clISt17integral_constantIbLb1EESP_IbLb0EEEEDaSL_SM_EUlSL_E_NS1_11comp_targetILNS1_3genE4ELNS1_11target_archE910ELNS1_3gpuE8ELNS1_3repE0EEENS1_30default_config_static_selectorELNS0_4arch9wavefront6targetE1EEEvT1_: ; @_ZN7rocprim17ROCPRIM_400000_NS6detail17trampoline_kernelINS0_14default_configENS1_20scan_config_selectorIlEEZZNS1_9scan_implILNS1_25lookback_scan_determinismE0ELb0ELb0ES3_PlS8_lN6thrust23THRUST_200600_302600_NS4plusIvEElEEDaPvRmT3_T4_T5_mT6_P12ihipStream_tbENKUlT_T0_E_clISt17integral_constantIbLb1EESP_IbLb0EEEEDaSL_SM_EUlSL_E_NS1_11comp_targetILNS1_3genE4ELNS1_11target_archE910ELNS1_3gpuE8ELNS1_3repE0EEENS1_30default_config_static_selectorELNS0_4arch9wavefront6targetE1EEEvT1_
; %bb.0:
	s_load_dwordx8 s[20:27], s[4:5], 0x0
	s_load_dword s1, s[4:5], 0x38
	s_mul_i32 s0, s6, 0x380
	v_lshlrev_b32_e32 v36, 3, v0
	s_waitcnt lgkmcnt(0)
	s_lshl_b64 s[22:23], s[22:23], 3
	s_add_u32 s2, s20, s22
	s_addc_u32 s3, s21, s23
	s_add_i32 s7, s1, -1
	s_mul_i32 s8, s7, 0x380
	s_sub_u32 s33, s26, s8
	s_subb_u32 s34, s27, 0
	s_mov_b32 s1, 0
	s_cmp_lg_u32 s6, s7
	s_cselect_b64 s[26:27], -1, 0
	s_lshl_b64 s[28:29], s[0:1], 3
	s_add_u32 s2, s2, s28
	s_addc_u32 s3, s3, s29
	s_mov_b64 s[0:1], -1
	s_and_b64 vcc, exec, s[26:27]
	s_cbranch_vccz .LBB124_2
; %bb.1:
	v_mov_b32_e32 v1, s3
	v_add_co_u32_e32 v10, vcc, s2, v36
	v_addc_co_u32_e32 v1, vcc, 0, v1, vcc
	v_add_co_u32_e32 v10, vcc, 0x1000, v10
	v_addc_co_u32_e32 v11, vcc, 0, v1, vcc
	global_load_dwordx2 v[2:3], v36, s[2:3]
	global_load_dwordx2 v[4:5], v36, s[2:3] offset:1024
	global_load_dwordx2 v[6:7], v36, s[2:3] offset:2048
	;; [unrolled: 1-line block ×3, first 2 shown]
	global_load_dwordx2 v[12:13], v[10:11], off
	global_load_dwordx2 v[14:15], v[10:11], off offset:1024
	global_load_dwordx2 v[16:17], v[10:11], off offset:2048
	s_mov_b64 s[0:1], 0
	s_waitcnt vmcnt(5)
	ds_write2st64_b64 v36, v[2:3], v[4:5] offset1:2
	s_waitcnt vmcnt(3)
	ds_write2st64_b64 v36, v[6:7], v[8:9] offset0:4 offset1:6
	s_waitcnt vmcnt(1)
	ds_write2st64_b64 v36, v[12:13], v[14:15] offset0:8 offset1:10
	s_waitcnt vmcnt(0)
	ds_write_b64 v36, v[16:17] offset:6144
	s_waitcnt lgkmcnt(0)
	s_barrier
.LBB124_2:
	s_load_dwordx2 s[30:31], s[4:5], 0x30
	s_andn2_b64 vcc, exec, s[0:1]
	v_cmp_gt_u32_e64 s[0:1], s33, v0
	s_cbranch_vccnz .LBB124_18
; %bb.3:
	s_load_dwordx2 s[8:9], s[2:3], 0x0
	s_waitcnt lgkmcnt(0)
	s_mov_b32 s10, s8
	s_mov_b32 s11, s9
	;; [unrolled: 1-line block ×12, first 2 shown]
	v_pk_mov_b32 v[2:3], s[8:9], s[8:9] op_sel:[0,1]
	v_pk_mov_b32 v[4:5], s[10:11], s[10:11] op_sel:[0,1]
	;; [unrolled: 1-line block ×8, first 2 shown]
	s_and_saveexec_b64 s[10:11], s[0:1]
	s_cbranch_execz .LBB124_5
; %bb.4:
	global_load_dwordx2 v[2:3], v36, s[2:3]
	v_mov_b32_e32 v4, s8
	v_mov_b32_e32 v5, s9
	;; [unrolled: 1-line block ×12, first 2 shown]
.LBB124_5:
	s_or_b64 exec, exec, s[10:11]
	v_or_b32_e32 v1, 0x80, v0
	v_cmp_gt_u32_e32 vcc, s33, v1
	s_and_saveexec_b64 s[0:1], vcc
	s_cbranch_execz .LBB124_7
; %bb.6:
	global_load_dwordx2 v[4:5], v36, s[2:3] offset:1024
.LBB124_7:
	s_or_b64 exec, exec, s[0:1]
	v_or_b32_e32 v1, 0x100, v0
	v_cmp_gt_u32_e32 vcc, s33, v1
	s_and_saveexec_b64 s[0:1], vcc
	s_cbranch_execz .LBB124_9
; %bb.8:
	global_load_dwordx2 v[6:7], v36, s[2:3] offset:2048
.LBB124_9:
	;; [unrolled: 8-line block ×3, first 2 shown]
	s_or_b64 exec, exec, s[0:1]
	v_or_b32_e32 v1, 0x200, v0
	v_cmp_gt_u32_e32 vcc, s33, v1
	s_and_saveexec_b64 s[0:1], vcc
	s_cbranch_execz .LBB124_13
; %bb.12:
	v_lshlrev_b32_e32 v1, 3, v1
	global_load_dwordx2 v[10:11], v1, s[2:3]
.LBB124_13:
	s_or_b64 exec, exec, s[0:1]
	v_or_b32_e32 v1, 0x280, v0
	v_cmp_gt_u32_e32 vcc, s33, v1
	s_and_saveexec_b64 s[0:1], vcc
	s_cbranch_execz .LBB124_15
; %bb.14:
	v_lshlrev_b32_e32 v1, 3, v1
	global_load_dwordx2 v[12:13], v1, s[2:3]
.LBB124_15:
	;; [unrolled: 9-line block ×3, first 2 shown]
	s_or_b64 exec, exec, s[0:1]
	s_waitcnt vmcnt(0)
	ds_write2st64_b64 v36, v[2:3], v[4:5] offset1:2
	ds_write2st64_b64 v36, v[6:7], v[8:9] offset0:4 offset1:6
	ds_write2st64_b64 v36, v[10:11], v[12:13] offset0:8 offset1:10
	ds_write_b64 v36, v[14:15] offset:6144
	s_waitcnt lgkmcnt(0)
	s_barrier
.LBB124_18:
	v_mul_u32_u24_e32 v37, 7, v0
	v_lshlrev_b32_e32 v1, 3, v37
	s_waitcnt lgkmcnt(0)
	ds_read2_b64 v[2:5], v1 offset1:1
	ds_read2_b64 v[10:13], v1 offset0:2 offset1:3
	ds_read2_b64 v[6:9], v1 offset0:4 offset1:5
	ds_read_b64 v[28:29], v1 offset:48
	s_cmp_lg_u32 s6, 0
	v_lshrrev_b32_e32 v38, 5, v0
	v_cmp_gt_u32_e32 vcc, 64, v0
	s_waitcnt lgkmcnt(0)
	s_barrier
	s_cbranch_scc0 .LBB124_49
; %bb.19:
	v_add_co_u32_e64 v1, s[0:1], v4, v2
	v_addc_co_u32_e64 v14, s[0:1], v5, v3, s[0:1]
	v_add_co_u32_e64 v1, s[0:1], v1, v10
	v_addc_co_u32_e64 v14, s[0:1], v14, v11, s[0:1]
	;; [unrolled: 2-line block ×6, first 2 shown]
	v_add_lshl_u32 v1, v38, v0, 3
	ds_write_b64 v1, v[18:19]
	s_waitcnt lgkmcnt(0)
	s_barrier
	s_and_saveexec_b64 s[8:9], vcc
	s_cbranch_execz .LBB124_23
; %bb.20:
	v_lshlrev_b32_e32 v1, 1, v0
	v_lshrrev_b32_e32 v14, 4, v0
	v_add_lshl_u32 v20, v14, v1, 3
	ds_read2_b64 v[14:17], v20 offset1:1
	v_mbcnt_lo_u32_b32 v1, -1, 0
	s_waitcnt lgkmcnt(0)
	v_add_co_u32_e64 v21, s[0:1], v16, v14
	v_addc_co_u32_e64 v22, s[0:1], v17, v15, s[0:1]
	s_nop 0
	v_mov_b32_dpp v16, v21 row_shr:1 row_mask:0xf bank_mask:0xf
	v_add_co_u32_e64 v16, s[0:1], v21, v16
	v_addc_co_u32_e64 v24, s[0:1], 0, v22, s[0:1]
	v_mbcnt_hi_u32_b32 v17, -1, v1
	v_mov_b32_dpp v23, v22 row_shr:1 row_mask:0xf bank_mask:0xf
	v_add_co_u32_e64 v25, s[0:1], 0, v16
	v_and_b32_e32 v1, 15, v17
	v_addc_co_u32_e64 v23, s[0:1], v23, v24, s[0:1]
	v_cmp_eq_u32_e64 s[0:1], 0, v1
	v_cndmask_b32_e64 v16, v16, v21, s[0:1]
	v_cndmask_b32_e64 v23, v23, v22, s[0:1]
	v_cndmask_b32_e64 v24, v25, v21, s[0:1]
	v_mov_b32_dpp v25, v16 row_shr:2 row_mask:0xf bank_mask:0xf
	v_mov_b32_dpp v26, v23 row_shr:2 row_mask:0xf bank_mask:0xf
	v_add_co_u32_e64 v25, s[0:1], v25, v24
	v_addc_co_u32_e64 v26, s[0:1], v26, v23, s[0:1]
	v_cmp_lt_u32_e64 s[0:1], 1, v1
	v_cndmask_b32_e64 v16, v16, v25, s[0:1]
	v_cndmask_b32_e64 v23, v23, v26, s[0:1]
	v_cndmask_b32_e64 v24, v24, v25, s[0:1]
	v_mov_b32_dpp v25, v16 row_shr:4 row_mask:0xf bank_mask:0xf
	v_mov_b32_dpp v26, v23 row_shr:4 row_mask:0xf bank_mask:0xf
	v_add_co_u32_e64 v25, s[0:1], v25, v24
	v_addc_co_u32_e64 v26, s[0:1], v26, v23, s[0:1]
	v_cmp_lt_u32_e64 s[0:1], 3, v1
	;; [unrolled: 8-line block ×3, first 2 shown]
	v_cndmask_b32_e64 v27, v16, v25, s[0:1]
	v_cndmask_b32_e64 v1, v23, v26, s[0:1]
	;; [unrolled: 1-line block ×3, first 2 shown]
	v_mov_b32_dpp v23, v27 row_bcast:15 row_mask:0xf bank_mask:0xf
	v_mov_b32_dpp v24, v1 row_bcast:15 row_mask:0xf bank_mask:0xf
	v_add_co_u32_e64 v23, s[0:1], v23, v16
	v_and_b32_e32 v26, 16, v17
	v_addc_co_u32_e64 v25, s[0:1], v24, v1, s[0:1]
	v_cmp_eq_u32_e64 s[0:1], 0, v26
	v_cndmask_b32_e64 v26, v25, v1, s[0:1]
	v_cndmask_b32_e64 v24, v23, v27, s[0:1]
	v_cmp_ne_u32_e64 s[2:3], 0, v17
	v_mov_b32_dpp v26, v26 row_bcast:31 row_mask:0xf bank_mask:0xf
	v_mov_b32_dpp v24, v24 row_bcast:31 row_mask:0xf bank_mask:0xf
	s_and_saveexec_b64 s[10:11], s[2:3]
; %bb.21:
	v_cndmask_b32_e64 v1, v25, v1, s[0:1]
	v_cndmask_b32_e64 v16, v23, v16, s[0:1]
	v_cmp_lt_u32_e64 s[0:1], 31, v17
	v_cndmask_b32_e64 v21, 0, v24, s[0:1]
	v_cndmask_b32_e64 v22, 0, v26, s[0:1]
	v_add_co_u32_e64 v21, s[0:1], v21, v16
	v_addc_co_u32_e64 v22, s[0:1], v22, v1, s[0:1]
; %bb.22:
	s_or_b64 exec, exec, s[10:11]
	v_add_u32_e32 v1, -1, v17
	v_and_b32_e32 v16, 64, v17
	v_cmp_lt_i32_e64 s[0:1], v1, v16
	v_cndmask_b32_e64 v1, v1, v17, s[0:1]
	v_lshlrev_b32_e32 v1, 2, v1
	ds_bpermute_b32 v16, v1, v21
	ds_bpermute_b32 v1, v1, v22
	; wave barrier
	s_waitcnt lgkmcnt(1)
	v_add_co_u32_e64 v14, s[0:1], v14, v16
	v_addc_co_u32_e64 v15, s[0:1], 0, v15, s[0:1]
	v_add_co_u32_e64 v14, s[0:1], 0, v14
	s_waitcnt lgkmcnt(0)
	v_addc_co_u32_e64 v1, s[0:1], v15, v1, s[0:1]
	v_cmp_eq_u32_e64 s[0:1], 0, v0
	v_cndmask_b32_e64 v15, v1, v19, s[0:1]
	v_cndmask_b32_e64 v14, v14, v18, s[0:1]
	ds_write_b64 v20, v[14:15]
	; wave barrier
	ds_read_b64 v[16:17], v20 offset:8
	s_waitcnt lgkmcnt(0)
	v_add_co_u32_e64 v14, s[0:1], v16, v14
	v_addc_co_u32_e64 v15, s[0:1], v17, v15, s[0:1]
	ds_write_b64 v20, v[14:15] offset:8
.LBB124_23:
	s_or_b64 exec, exec, s[8:9]
	v_cmp_eq_u32_e64 s[0:1], 0, v0
	v_cmp_ne_u32_e64 s[2:3], 0, v0
	v_pk_mov_b32 v[22:23], 0, 0
	s_waitcnt lgkmcnt(0)
	s_barrier
	s_and_saveexec_b64 s[8:9], s[2:3]
	s_cbranch_execz .LBB124_25
; %bb.24:
	v_add_u32_e32 v1, -1, v0
	v_lshrrev_b32_e32 v14, 5, v1
	v_add_lshl_u32 v1, v14, v1, 3
	ds_read_b64 v[22:23], v1
.LBB124_25:
	s_or_b64 exec, exec, s[8:9]
	s_and_saveexec_b64 s[12:13], vcc
	s_cbranch_execz .LBB124_48
; %bb.26:
	v_mov_b32_e32 v17, 0
	ds_read_b64 v[14:15], v17 offset:1040
	v_mbcnt_lo_u32_b32 v1, -1, 0
	v_mbcnt_hi_u32_b32 v30, -1, v1
	s_mov_b32 s11, 0
	v_cmp_eq_u32_e64 s[2:3], 0, v30
	s_and_saveexec_b64 s[8:9], s[2:3]
	s_cbranch_execz .LBB124_28
; %bb.27:
	s_add_i32 s10, s6, 64
	s_lshl_b64 s[10:11], s[10:11], 4
	s_add_u32 s10, s30, s10
	s_addc_u32 s11, s31, s11
	v_mov_b32_e32 v16, 1
	v_pk_mov_b32 v[18:19], s[10:11], s[10:11] op_sel:[0,1]
	s_waitcnt lgkmcnt(0)
	;;#ASMSTART
	global_store_dwordx4 v[18:19], v[14:17] off	
s_waitcnt vmcnt(0)
	;;#ASMEND
.LBB124_28:
	s_or_b64 exec, exec, s[8:9]
	v_xad_u32 v24, v30, -1, s6
	v_add_u32_e32 v16, 64, v24
	v_lshlrev_b64 v[18:19], 4, v[16:17]
	v_mov_b32_e32 v1, s31
	v_add_co_u32_e32 v26, vcc, s30, v18
	v_addc_co_u32_e32 v27, vcc, v1, v19, vcc
	;;#ASMSTART
	global_load_dwordx4 v[18:21], v[26:27] off glc	
s_waitcnt vmcnt(0)
	;;#ASMEND
	v_and_b32_e32 v1, 0xff, v19
	v_and_b32_e32 v16, 0xff00, v19
	v_or3_b32 v1, 0, v1, v16
	v_or3_b32 v16, v18, 0, 0
	v_and_b32_e32 v18, 0xff000000, v19
	v_and_b32_e32 v19, 0xff0000, v19
	v_or3_b32 v19, v1, v19, v18
	v_or3_b32 v18, v16, 0, 0
	v_cmp_eq_u16_sdwa s[10:11], v20, v17 src0_sel:BYTE_0 src1_sel:DWORD
	s_and_saveexec_b64 s[8:9], s[10:11]
	s_cbranch_execz .LBB124_34
; %bb.29:
	s_mov_b32 s7, 1
	s_mov_b64 s[10:11], 0
	v_mov_b32_e32 v1, 0
.LBB124_30:                             ; =>This Loop Header: Depth=1
                                        ;     Child Loop BB124_31 Depth 2
	s_max_u32 s14, s7, 1
.LBB124_31:                             ;   Parent Loop BB124_30 Depth=1
                                        ; =>  This Inner Loop Header: Depth=2
	s_add_i32 s14, s14, -1
	s_cmp_eq_u32 s14, 0
	s_sleep 1
	s_cbranch_scc0 .LBB124_31
; %bb.32:                               ;   in Loop: Header=BB124_30 Depth=1
	s_cmp_lt_u32 s7, 32
	s_cselect_b64 s[14:15], -1, 0
	s_cmp_lg_u64 s[14:15], 0
	s_addc_u32 s7, s7, 0
	;;#ASMSTART
	global_load_dwordx4 v[18:21], v[26:27] off glc	
s_waitcnt vmcnt(0)
	;;#ASMEND
	v_cmp_ne_u16_sdwa s[14:15], v20, v1 src0_sel:BYTE_0 src1_sel:DWORD
	s_or_b64 s[10:11], s[14:15], s[10:11]
	s_andn2_b64 exec, exec, s[10:11]
	s_cbranch_execnz .LBB124_30
; %bb.33:
	s_or_b64 exec, exec, s[10:11]
.LBB124_34:
	s_or_b64 exec, exec, s[8:9]
	v_and_b32_e32 v32, 63, v30
	v_cmp_ne_u32_e32 vcc, 63, v32
	v_addc_co_u32_e32 v26, vcc, 0, v30, vcc
	v_lshlrev_b32_e32 v33, 2, v26
	ds_bpermute_b32 v26, v33, v18
	v_mov_b32_e32 v1, 2
	v_cmp_eq_u16_sdwa s[8:9], v20, v1 src0_sel:BYTE_0 src1_sel:DWORD
	v_lshlrev_b64 v[16:17], v30, -1
	ds_bpermute_b32 v27, v33, v19
	v_and_b32_e32 v21, s9, v17
	v_or_b32_e32 v21, 0x80000000, v21
	s_waitcnt lgkmcnt(1)
	v_add_co_u32_e32 v26, vcc, v18, v26
	v_and_b32_e32 v25, s8, v16
	v_ffbl_b32_e32 v21, v21
	v_addc_co_u32_e32 v31, vcc, 0, v19, vcc
	v_add_u32_e32 v21, 32, v21
	v_ffbl_b32_e32 v25, v25
	v_add_co_u32_e32 v35, vcc, 0, v26
	v_cmp_gt_u32_e64 s[8:9], 62, v32
	v_min_u32_e32 v21, v25, v21
	s_waitcnt lgkmcnt(0)
	v_addc_co_u32_e32 v27, vcc, v27, v31, vcc
	v_cndmask_b32_e64 v31, 0, 1, s[8:9]
	v_cmp_lt_u32_e32 vcc, v32, v21
	v_lshlrev_b32_e32 v31, 1, v31
	v_cndmask_b32_e32 v26, v18, v26, vcc
	v_add_lshl_u32 v34, v31, v30, 2
	v_cndmask_b32_e32 v27, v19, v27, vcc
	ds_bpermute_b32 v31, v34, v26
	ds_bpermute_b32 v39, v34, v27
	v_cndmask_b32_e32 v40, v18, v35, vcc
	v_add_u32_e32 v35, 2, v32
	v_cmp_gt_u32_e64 s[10:11], 60, v32
	s_waitcnt lgkmcnt(1)
	v_add_co_u32_e64 v31, s[8:9], v31, v40
	s_waitcnt lgkmcnt(0)
	v_addc_co_u32_e64 v39, s[8:9], v39, v27, s[8:9]
	v_cmp_gt_u32_e64 s[8:9], v35, v21
	v_cndmask_b32_e64 v27, v39, v27, s[8:9]
	v_cndmask_b32_e64 v39, 0, 1, s[10:11]
	v_lshlrev_b32_e32 v39, 2, v39
	v_cndmask_b32_e64 v26, v31, v26, s[8:9]
	v_add_lshl_u32 v39, v39, v30, 2
	ds_bpermute_b32 v41, v39, v26
	ds_bpermute_b32 v42, v39, v27
	v_cndmask_b32_e64 v31, v31, v40, s[8:9]
	v_add_u32_e32 v40, 4, v32
	v_cmp_gt_u32_e64 s[10:11], 56, v32
	s_waitcnt lgkmcnt(1)
	v_add_co_u32_e64 v43, s[8:9], v41, v31
	s_waitcnt lgkmcnt(0)
	v_addc_co_u32_e64 v41, s[8:9], v42, v27, s[8:9]
	v_cmp_gt_u32_e64 s[8:9], v40, v21
	v_cndmask_b32_e64 v27, v41, v27, s[8:9]
	v_cndmask_b32_e64 v41, 0, 1, s[10:11]
	v_lshlrev_b32_e32 v41, 3, v41
	v_cndmask_b32_e64 v26, v43, v26, s[8:9]
	v_add_lshl_u32 v41, v41, v30, 2
	ds_bpermute_b32 v44, v41, v26
	v_cndmask_b32_e64 v31, v43, v31, s[8:9]
	ds_bpermute_b32 v43, v41, v27
	v_add_u32_e32 v42, 8, v32
	v_cmp_gt_u32_e64 s[10:11], 48, v32
	s_waitcnt lgkmcnt(1)
	v_add_co_u32_e64 v44, s[8:9], v44, v31
	s_waitcnt lgkmcnt(0)
	v_addc_co_u32_e64 v43, s[8:9], v43, v27, s[8:9]
	v_cmp_gt_u32_e64 s[8:9], v42, v21
	v_cndmask_b32_e64 v27, v43, v27, s[8:9]
	v_cndmask_b32_e64 v43, 0, 1, s[10:11]
	v_lshlrev_b32_e32 v43, 4, v43
	v_cndmask_b32_e64 v26, v44, v26, s[8:9]
	v_add_lshl_u32 v43, v43, v30, 2
	ds_bpermute_b32 v45, v43, v26
	ds_bpermute_b32 v46, v43, v27
	v_cndmask_b32_e64 v31, v44, v31, s[8:9]
	v_cmp_gt_u32_e64 s[10:11], 32, v32
	v_add_u32_e32 v44, 16, v32
	s_waitcnt lgkmcnt(1)
	v_add_co_u32_e64 v47, s[8:9], v45, v31
	s_waitcnt lgkmcnt(0)
	v_addc_co_u32_e64 v46, s[8:9], v46, v27, s[8:9]
	v_cndmask_b32_e64 v45, 0, 1, s[10:11]
	v_cmp_gt_u32_e64 s[8:9], v44, v21
	v_lshlrev_b32_e32 v45, 5, v45
	v_cndmask_b32_e64 v26, v47, v26, s[8:9]
	v_add_lshl_u32 v45, v45, v30, 2
	v_cndmask_b32_e64 v27, v46, v27, s[8:9]
	ds_bpermute_b32 v26, v45, v26
	ds_bpermute_b32 v30, v45, v27
	v_add_u32_e32 v46, 32, v32
	v_cndmask_b32_e64 v31, v47, v31, s[8:9]
	v_cmp_le_u32_e64 s[8:9], v46, v21
	s_waitcnt lgkmcnt(1)
	v_cndmask_b32_e64 v26, 0, v26, s[8:9]
	s_waitcnt lgkmcnt(0)
	v_cndmask_b32_e64 v21, 0, v30, s[8:9]
	v_add_co_u32_e64 v26, s[8:9], v26, v31
	v_addc_co_u32_e64 v21, s[8:9], v21, v27, s[8:9]
	v_mov_b32_e32 v25, 0
	v_cndmask_b32_e32 v19, v19, v21, vcc
	v_cndmask_b32_e32 v18, v18, v26, vcc
	s_branch .LBB124_36
.LBB124_35:                             ;   in Loop: Header=BB124_36 Depth=1
	s_or_b64 exec, exec, s[8:9]
	v_cmp_eq_u16_sdwa s[8:9], v20, v1 src0_sel:BYTE_0 src1_sel:DWORD
	v_and_b32_e32 v21, s9, v17
	v_or_b32_e32 v21, 0x80000000, v21
	ds_bpermute_b32 v31, v33, v18
	v_and_b32_e32 v30, s8, v16
	v_ffbl_b32_e32 v21, v21
	v_add_u32_e32 v21, 32, v21
	v_ffbl_b32_e32 v30, v30
	v_min_u32_e32 v21, v30, v21
	ds_bpermute_b32 v30, v33, v19
	s_waitcnt lgkmcnt(1)
	v_add_co_u32_e32 v31, vcc, v18, v31
	v_addc_co_u32_e32 v47, vcc, 0, v19, vcc
	v_add_co_u32_e32 v48, vcc, 0, v31
	s_waitcnt lgkmcnt(0)
	v_addc_co_u32_e32 v30, vcc, v30, v47, vcc
	v_cmp_lt_u32_e32 vcc, v32, v21
	v_cndmask_b32_e32 v31, v18, v31, vcc
	ds_bpermute_b32 v47, v34, v31
	v_cndmask_b32_e32 v30, v19, v30, vcc
	ds_bpermute_b32 v49, v34, v30
	v_cndmask_b32_e32 v48, v18, v48, vcc
	v_subrev_u32_e32 v24, 64, v24
	s_waitcnt lgkmcnt(1)
	v_add_co_u32_e64 v47, s[8:9], v47, v48
	s_waitcnt lgkmcnt(0)
	v_addc_co_u32_e64 v49, s[8:9], v49, v30, s[8:9]
	v_cmp_gt_u32_e64 s[8:9], v35, v21
	v_cndmask_b32_e64 v31, v47, v31, s[8:9]
	ds_bpermute_b32 v50, v39, v31
	v_cndmask_b32_e64 v30, v49, v30, s[8:9]
	ds_bpermute_b32 v49, v39, v30
	v_cndmask_b32_e64 v47, v47, v48, s[8:9]
	s_waitcnt lgkmcnt(1)
	v_add_co_u32_e64 v48, s[8:9], v50, v47
	s_waitcnt lgkmcnt(0)
	v_addc_co_u32_e64 v49, s[8:9], v49, v30, s[8:9]
	v_cmp_gt_u32_e64 s[8:9], v40, v21
	v_cndmask_b32_e64 v31, v48, v31, s[8:9]
	ds_bpermute_b32 v50, v41, v31
	v_cndmask_b32_e64 v30, v49, v30, s[8:9]
	ds_bpermute_b32 v49, v41, v30
	v_cndmask_b32_e64 v47, v48, v47, s[8:9]
	;; [unrolled: 10-line block ×3, first 2 shown]
	s_waitcnt lgkmcnt(1)
	v_add_co_u32_e64 v48, s[8:9], v50, v47
	s_waitcnt lgkmcnt(0)
	v_addc_co_u32_e64 v49, s[8:9], v49, v30, s[8:9]
	v_cmp_gt_u32_e64 s[8:9], v44, v21
	v_cndmask_b32_e64 v31, v48, v31, s[8:9]
	v_cndmask_b32_e64 v30, v49, v30, s[8:9]
	ds_bpermute_b32 v31, v45, v31
	ds_bpermute_b32 v49, v45, v30
	v_cndmask_b32_e64 v47, v48, v47, s[8:9]
	v_cmp_le_u32_e64 s[8:9], v46, v21
	s_waitcnt lgkmcnt(1)
	v_cndmask_b32_e64 v31, 0, v31, s[8:9]
	s_waitcnt lgkmcnt(0)
	v_cndmask_b32_e64 v21, 0, v49, s[8:9]
	v_add_co_u32_e64 v31, s[8:9], v31, v47
	v_addc_co_u32_e64 v21, s[8:9], v21, v30, s[8:9]
	v_cndmask_b32_e32 v18, v18, v31, vcc
	v_cndmask_b32_e32 v19, v19, v21, vcc
	v_add_co_u32_e32 v18, vcc, v18, v26
	v_addc_co_u32_e32 v19, vcc, v19, v27, vcc
.LBB124_36:                             ; =>This Loop Header: Depth=1
                                        ;     Child Loop BB124_39 Depth 2
                                        ;       Child Loop BB124_40 Depth 3
	v_cmp_ne_u16_sdwa s[8:9], v20, v1 src0_sel:BYTE_0 src1_sel:DWORD
	v_cndmask_b32_e64 v20, 0, 1, s[8:9]
	;;#ASMSTART
	;;#ASMEND
	v_cmp_ne_u32_e32 vcc, 0, v20
	s_cmp_lg_u64 vcc, exec
	v_pk_mov_b32 v[26:27], v[18:19], v[18:19] op_sel:[0,1]
	s_cbranch_scc1 .LBB124_43
; %bb.37:                               ;   in Loop: Header=BB124_36 Depth=1
	v_lshlrev_b64 v[18:19], 4, v[24:25]
	v_mov_b32_e32 v20, s31
	v_add_co_u32_e32 v30, vcc, s30, v18
	v_addc_co_u32_e32 v31, vcc, v20, v19, vcc
	;;#ASMSTART
	global_load_dwordx4 v[18:21], v[30:31] off glc	
s_waitcnt vmcnt(0)
	;;#ASMEND
	v_and_b32_e32 v21, 0xff, v19
	v_and_b32_e32 v47, 0xff00, v19
	v_or3_b32 v21, 0, v21, v47
	v_or3_b32 v18, v18, 0, 0
	v_and_b32_e32 v47, 0xff000000, v19
	v_and_b32_e32 v19, 0xff0000, v19
	v_or3_b32 v19, v21, v19, v47
	v_or3_b32 v18, v18, 0, 0
	v_cmp_eq_u16_sdwa s[10:11], v20, v25 src0_sel:BYTE_0 src1_sel:DWORD
	s_and_saveexec_b64 s[8:9], s[10:11]
	s_cbranch_execz .LBB124_35
; %bb.38:                               ;   in Loop: Header=BB124_36 Depth=1
	s_mov_b32 s7, 1
	s_mov_b64 s[10:11], 0
.LBB124_39:                             ;   Parent Loop BB124_36 Depth=1
                                        ; =>  This Loop Header: Depth=2
                                        ;       Child Loop BB124_40 Depth 3
	s_max_u32 s14, s7, 1
.LBB124_40:                             ;   Parent Loop BB124_36 Depth=1
                                        ;     Parent Loop BB124_39 Depth=2
                                        ; =>    This Inner Loop Header: Depth=3
	s_add_i32 s14, s14, -1
	s_cmp_eq_u32 s14, 0
	s_sleep 1
	s_cbranch_scc0 .LBB124_40
; %bb.41:                               ;   in Loop: Header=BB124_39 Depth=2
	s_cmp_lt_u32 s7, 32
	s_cselect_b64 s[14:15], -1, 0
	s_cmp_lg_u64 s[14:15], 0
	s_addc_u32 s7, s7, 0
	;;#ASMSTART
	global_load_dwordx4 v[18:21], v[30:31] off glc	
s_waitcnt vmcnt(0)
	;;#ASMEND
	v_cmp_ne_u16_sdwa s[14:15], v20, v25 src0_sel:BYTE_0 src1_sel:DWORD
	s_or_b64 s[10:11], s[14:15], s[10:11]
	s_andn2_b64 exec, exec, s[10:11]
	s_cbranch_execnz .LBB124_39
; %bb.42:                               ;   in Loop: Header=BB124_36 Depth=1
	s_or_b64 exec, exec, s[10:11]
	s_branch .LBB124_35
.LBB124_43:                             ;   in Loop: Header=BB124_36 Depth=1
                                        ; implicit-def: $vgpr18_vgpr19
                                        ; implicit-def: $vgpr20
	s_cbranch_execz .LBB124_36
; %bb.44:
	s_and_saveexec_b64 s[8:9], s[2:3]
	s_cbranch_execz .LBB124_46
; %bb.45:
	s_add_i32 s2, s6, 64
	s_mov_b32 s3, 0
	s_lshl_b64 s[2:3], s[2:3], 4
	s_add_u32 s2, s30, s2
	v_add_co_u32_e32 v14, vcc, v26, v14
	s_addc_u32 s3, s31, s3
	v_addc_co_u32_e32 v15, vcc, v27, v15, vcc
	v_mov_b32_e32 v16, 2
	v_mov_b32_e32 v17, 0
	v_pk_mov_b32 v[18:19], s[2:3], s[2:3] op_sel:[0,1]
	;;#ASMSTART
	global_store_dwordx4 v[18:19], v[14:17] off	
s_waitcnt vmcnt(0)
	;;#ASMEND
.LBB124_46:
	s_or_b64 exec, exec, s[8:9]
	s_and_b64 exec, exec, s[0:1]
	s_cbranch_execz .LBB124_48
; %bb.47:
	v_mov_b32_e32 v1, 0
	ds_write_b64 v1, v[26:27]
.LBB124_48:
	s_or_b64 exec, exec, s[12:13]
	v_mov_b32_e32 v1, 0
	s_waitcnt lgkmcnt(0)
	s_barrier
	ds_read_b64 v[14:15], v1
	v_add_co_u32_e32 v1, vcc, v22, v2
	v_addc_co_u32_e32 v16, vcc, v23, v3, vcc
	s_waitcnt lgkmcnt(0)
	v_add_co_u32_e32 v24, vcc, v1, v14
	v_addc_co_u32_e32 v25, vcc, v16, v15, vcc
	v_add_co_u32_e32 v30, vcc, v24, v4
	v_addc_co_u32_e32 v31, vcc, v25, v5, vcc
	;; [unrolled: 2-line block ×7, first 2 shown]
	s_load_dwordx8 s[4:11], s[4:5], 0x40
	s_branch .LBB124_63
.LBB124_49:
                                        ; implicit-def: $vgpr22_vgpr23
                                        ; implicit-def: $vgpr34_vgpr35
                                        ; implicit-def: $vgpr32_vgpr33
                                        ; implicit-def: $vgpr30_vgpr31
                                        ; implicit-def: $vgpr18_vgpr19_vgpr20_vgpr21
                                        ; implicit-def: $vgpr14_vgpr15_vgpr16_vgpr17
                                        ; implicit-def: $vgpr24_vgpr25_vgpr26_vgpr27
	s_load_dwordx8 s[4:11], s[4:5], 0x40
	s_cbranch_execz .LBB124_63
; %bb.50:
	s_waitcnt lgkmcnt(0)
	s_cmp_lg_u64 s[8:9], 0
	s_cselect_b64 s[2:3], -1, 0
	v_cmp_eq_u32_e64 s[0:1], 0, v0
	v_cmp_ne_u32_e32 vcc, 0, v0
	s_and_b64 s[2:3], s[0:1], s[2:3]
	s_and_saveexec_b64 s[8:9], s[2:3]
	s_cbranch_execz .LBB124_52
; %bb.51:
	v_mov_b32_e32 v1, 0
	global_load_dwordx2 v[14:15], v1, s[4:5]
	s_waitcnt vmcnt(0)
	v_add_co_u32_e64 v2, s[2:3], v14, v2
	v_addc_co_u32_e64 v3, s[2:3], v15, v3, s[2:3]
.LBB124_52:
	s_or_b64 exec, exec, s[8:9]
	v_add_co_u32_e64 v30, s[2:3], v4, v2
	v_addc_co_u32_e64 v31, s[2:3], v5, v3, s[2:3]
	v_add_co_u32_e64 v14, s[2:3], v30, v10
	v_addc_co_u32_e64 v15, s[2:3], v31, v11, s[2:3]
	;; [unrolled: 2-line block ×6, first 2 shown]
	v_add_lshl_u32 v1, v38, v0, 3
	v_cmp_gt_u32_e64 s[2:3], 64, v0
	ds_write_b64 v1, v[22:23]
	s_waitcnt lgkmcnt(0)
	s_barrier
	s_and_saveexec_b64 s[8:9], s[2:3]
	s_cbranch_execz .LBB124_56
; %bb.53:
	v_lshlrev_b32_e32 v1, 1, v0
	v_lshrrev_b32_e32 v16, 4, v0
	v_add_lshl_u32 v17, v16, v1, 3
	ds_read2_b64 v[24:27], v17 offset1:1
	v_mbcnt_lo_u32_b32 v1, -1, 0
	v_mbcnt_hi_u32_b32 v20, -1, v1
	v_and_b32_e32 v1, 15, v20
	v_cmp_ne_u32_e64 s[4:5], 0, v20
	s_waitcnt lgkmcnt(0)
	v_add_co_u32_e64 v21, s[2:3], v26, v24
	v_addc_co_u32_e64 v26, s[2:3], v27, v25, s[2:3]
	s_nop 0
	v_mov_b32_dpp v16, v21 row_shr:1 row_mask:0xf bank_mask:0xf
	v_add_co_u32_e64 v16, s[2:3], v21, v16
	v_addc_co_u32_e64 v38, s[2:3], 0, v26, s[2:3]
	v_mov_b32_dpp v27, v26 row_shr:1 row_mask:0xf bank_mask:0xf
	v_add_co_u32_e64 v39, s[2:3], 0, v16
	v_addc_co_u32_e64 v27, s[2:3], v27, v38, s[2:3]
	v_cmp_eq_u32_e64 s[2:3], 0, v1
	v_cndmask_b32_e64 v16, v16, v21, s[2:3]
	v_cndmask_b32_e64 v27, v27, v26, s[2:3]
	v_cndmask_b32_e64 v38, v39, v21, s[2:3]
	v_mov_b32_dpp v39, v16 row_shr:2 row_mask:0xf bank_mask:0xf
	v_mov_b32_dpp v40, v27 row_shr:2 row_mask:0xf bank_mask:0xf
	v_add_co_u32_e64 v39, s[2:3], v39, v38
	v_addc_co_u32_e64 v40, s[2:3], v40, v27, s[2:3]
	v_cmp_lt_u32_e64 s[2:3], 1, v1
	v_cndmask_b32_e64 v16, v16, v39, s[2:3]
	v_cndmask_b32_e64 v27, v27, v40, s[2:3]
	v_cndmask_b32_e64 v38, v38, v39, s[2:3]
	v_mov_b32_dpp v39, v16 row_shr:4 row_mask:0xf bank_mask:0xf
	v_mov_b32_dpp v40, v27 row_shr:4 row_mask:0xf bank_mask:0xf
	v_add_co_u32_e64 v39, s[2:3], v39, v38
	v_addc_co_u32_e64 v40, s[2:3], v40, v27, s[2:3]
	v_cmp_lt_u32_e64 s[2:3], 3, v1
	v_cndmask_b32_e64 v16, v16, v39, s[2:3]
	v_cndmask_b32_e64 v27, v27, v40, s[2:3]
	v_cndmask_b32_e64 v38, v38, v39, s[2:3]
	v_mov_b32_dpp v39, v16 row_shr:8 row_mask:0xf bank_mask:0xf
	v_mov_b32_dpp v40, v27 row_shr:8 row_mask:0xf bank_mask:0xf
	v_add_co_u32_e64 v39, s[2:3], v39, v38
	v_addc_co_u32_e64 v40, s[2:3], v40, v27, s[2:3]
	v_cmp_lt_u32_e64 s[2:3], 7, v1
	v_cndmask_b32_e64 v41, v16, v39, s[2:3]
	v_cndmask_b32_e64 v1, v27, v40, s[2:3]
	;; [unrolled: 1-line block ×3, first 2 shown]
	v_mov_b32_dpp v27, v41 row_bcast:15 row_mask:0xf bank_mask:0xf
	v_mov_b32_dpp v38, v1 row_bcast:15 row_mask:0xf bank_mask:0xf
	v_add_co_u32_e64 v27, s[2:3], v27, v16
	v_and_b32_e32 v40, 16, v20
	v_addc_co_u32_e64 v39, s[2:3], v38, v1, s[2:3]
	v_cmp_eq_u32_e64 s[2:3], 0, v40
	v_cndmask_b32_e64 v40, v39, v1, s[2:3]
	v_cndmask_b32_e64 v38, v27, v41, s[2:3]
	s_nop 0
	v_mov_b32_dpp v40, v40 row_bcast:31 row_mask:0xf bank_mask:0xf
	v_mov_b32_dpp v38, v38 row_bcast:31 row_mask:0xf bank_mask:0xf
	s_and_saveexec_b64 s[12:13], s[4:5]
; %bb.54:
	v_cndmask_b32_e64 v1, v39, v1, s[2:3]
	v_cndmask_b32_e64 v16, v27, v16, s[2:3]
	v_cmp_lt_u32_e64 s[2:3], 31, v20
	v_cndmask_b32_e64 v21, 0, v38, s[2:3]
	v_cndmask_b32_e64 v26, 0, v40, s[2:3]
	v_add_co_u32_e64 v21, s[2:3], v21, v16
	v_addc_co_u32_e64 v26, s[2:3], v26, v1, s[2:3]
; %bb.55:
	s_or_b64 exec, exec, s[12:13]
	v_add_u32_e32 v1, -1, v20
	v_and_b32_e32 v16, 64, v20
	v_cmp_lt_i32_e64 s[2:3], v1, v16
	v_cndmask_b32_e64 v1, v1, v20, s[2:3]
	v_lshlrev_b32_e32 v1, 2, v1
	ds_bpermute_b32 v16, v1, v21
	ds_bpermute_b32 v1, v1, v26
	; wave barrier
	s_waitcnt lgkmcnt(1)
	v_add_co_u32_e64 v16, s[2:3], v24, v16
	v_addc_co_u32_e64 v20, s[2:3], 0, v25, s[2:3]
	v_add_co_u32_e64 v16, s[2:3], 0, v16
	s_waitcnt lgkmcnt(0)
	v_addc_co_u32_e64 v1, s[2:3], v20, v1, s[2:3]
	v_cndmask_b32_e64 v21, v1, v23, s[0:1]
	v_cndmask_b32_e64 v20, v16, v22, s[0:1]
	ds_write_b64 v17, v[20:21]
	; wave barrier
	ds_read_b64 v[24:25], v17 offset:8
	s_waitcnt lgkmcnt(0)
	v_add_co_u32_e64 v20, s[0:1], v24, v20
	v_addc_co_u32_e64 v21, s[0:1], v25, v21, s[0:1]
	ds_write_b64 v17, v[20:21] offset:8
.LBB124_56:
	s_or_b64 exec, exec, s[8:9]
	v_pk_mov_b32 v[16:17], v[22:23], v[22:23] op_sel:[0,1]
	s_waitcnt lgkmcnt(0)
	s_barrier
	s_and_saveexec_b64 s[0:1], vcc
	s_cbranch_execz .LBB124_58
; %bb.57:
	v_add_u32_e32 v1, -1, v0
	v_lshrrev_b32_e32 v16, 5, v1
	v_add_lshl_u32 v1, v16, v1, 3
	ds_read_b64 v[16:17], v1
.LBB124_58:
	s_or_b64 exec, exec, s[0:1]
	s_and_saveexec_b64 s[0:1], vcc
	s_cbranch_execz .LBB124_60
; %bb.59:
	s_waitcnt lgkmcnt(0)
	v_add_co_u32_e32 v2, vcc, v16, v2
	v_addc_co_u32_e32 v3, vcc, v17, v3, vcc
	v_add_co_u32_e32 v30, vcc, v2, v4
	v_addc_co_u32_e32 v31, vcc, v3, v5, vcc
	;; [unrolled: 2-line block ×7, first 2 shown]
	;;#ASMSTART
	;;#ASMEND
.LBB124_60:
	s_or_b64 exec, exec, s[0:1]
	s_movk_i32 s0, 0x7f
	v_cmp_eq_u32_e32 vcc, s0, v0
	s_and_saveexec_b64 s[0:1], vcc
	s_cbranch_execz .LBB124_62
; %bb.61:
	s_add_u32 s2, s30, 0x400
	s_addc_u32 s3, s31, 0
	v_mov_b32_e32 v24, 2
	v_mov_b32_e32 v25, 0
	v_pk_mov_b32 v[4:5], s[2:3], s[2:3] op_sel:[0,1]
	;;#ASMSTART
	global_store_dwordx4 v[4:5], v[22:25] off	
s_waitcnt vmcnt(0)
	;;#ASMEND
.LBB124_62:
	s_or_b64 exec, exec, s[0:1]
	v_pk_mov_b32 v[24:25], v[2:3], v[2:3] op_sel:[0,1]
.LBB124_63:
	s_add_u32 s0, s24, s22
	s_addc_u32 s1, s25, s23
	s_add_u32 s0, s0, s28
	s_addc_u32 s1, s1, s29
	s_mov_b64 s[2:3], -1
	s_and_b64 vcc, exec, s[26:27]
	v_mul_u32_u24_e32 v1, 56, v0
	s_waitcnt lgkmcnt(0)
	s_barrier
	s_cbranch_vccz .LBB124_65
; %bb.64:
	v_mul_i32_i24_e32 v2, 0xffffffd0, v0
	v_mad_u32_u24 v16, v0, 56, v2
	ds_write2_b64 v1, v[24:25], v[30:31] offset1:1
	ds_write2_b64 v1, v[14:15], v[32:33] offset0:2 offset1:3
	ds_write2_b64 v1, v[18:19], v[34:35] offset0:4 offset1:5
	ds_write_b64 v1, v[22:23] offset:48
	s_waitcnt lgkmcnt(0)
	s_barrier
	ds_read2st64_b64 v[2:5], v16 offset1:2
	ds_read2st64_b64 v[6:9], v16 offset0:4 offset1:6
	ds_read2st64_b64 v[10:13], v16 offset0:8 offset1:10
	ds_read_b64 v[16:17], v16 offset:6144
	v_mov_b32_e32 v20, s1
	v_add_co_u32_e32 v21, vcc, s0, v36
	v_addc_co_u32_e32 v20, vcc, 0, v20, vcc
	s_waitcnt lgkmcnt(3)
	global_store_dwordx2 v36, v[2:3], s[0:1]
	global_store_dwordx2 v36, v[4:5], s[0:1] offset:1024
	s_waitcnt lgkmcnt(2)
	global_store_dwordx2 v36, v[6:7], s[0:1] offset:2048
	global_store_dwordx2 v36, v[8:9], s[0:1] offset:3072
	v_add_co_u32_e32 v2, vcc, 0x1000, v21
	v_addc_co_u32_e32 v3, vcc, 0, v20, vcc
	s_waitcnt lgkmcnt(1)
	global_store_dwordx2 v[2:3], v[10:11], off
	global_store_dwordx2 v[2:3], v[12:13], off offset:1024
	s_waitcnt lgkmcnt(0)
	global_store_dwordx2 v[2:3], v[16:17], off offset:2048
	s_mov_b64 s[2:3], 0
.LBB124_65:
	s_andn2_b64 vcc, exec, s[2:3]
	s_cbranch_vccnz .LBB124_104
; %bb.66:
	v_mul_i32_i24_e32 v2, 0xffffffd0, v0
	ds_write2_b64 v1, v[24:25], v[30:31] offset1:1
	ds_write2_b64 v1, v[14:15], v[32:33] offset0:2 offset1:3
	ds_write2_b64 v1, v[18:19], v[34:35] offset0:4 offset1:5
	ds_write_b64 v1, v[22:23] offset:48
	v_mad_u32_u24 v14, v0, 56, v2
	s_waitcnt lgkmcnt(0)
	s_barrier
	ds_read2st64_b64 v[2:5], v14 offset1:2
	ds_read2st64_b64 v[6:9], v14 offset0:4 offset1:6
	ds_read2st64_b64 v[10:13], v14 offset0:8 offset1:10
	ds_read_b64 v[14:15], v14 offset:6144
	v_mov_b32_e32 v17, s1
	v_add_co_u32_e32 v16, vcc, s0, v36
	v_addc_co_u32_e32 v17, vcc, 0, v17, vcc
	v_mov_b32_e32 v1, 0
	v_cmp_gt_u32_e32 vcc, s33, v0
	s_and_saveexec_b64 s[0:1], vcc
	s_cbranch_execz .LBB124_68
; %bb.67:
	s_waitcnt lgkmcnt(3)
	global_store_dwordx2 v[16:17], v[2:3], off
.LBB124_68:
	s_or_b64 exec, exec, s[0:1]
	v_or_b32_e32 v18, 0x80, v0
	v_cmp_gt_u32_e32 vcc, s33, v18
	s_and_saveexec_b64 s[0:1], vcc
	s_cbranch_execz .LBB124_70
; %bb.69:
	s_waitcnt lgkmcnt(3)
	global_store_dwordx2 v[16:17], v[4:5], off offset:1024
.LBB124_70:
	s_or_b64 exec, exec, s[0:1]
	v_or_b32_e32 v18, 0x100, v0
	v_cmp_gt_u32_e32 vcc, s33, v18
	s_and_saveexec_b64 s[0:1], vcc
	s_cbranch_execz .LBB124_72
; %bb.71:
	s_waitcnt lgkmcnt(2)
	global_store_dwordx2 v[16:17], v[6:7], off offset:2048
.LBB124_72:
	;; [unrolled: 9-line block ×3, first 2 shown]
	s_or_b64 exec, exec, s[0:1]
	v_or_b32_e32 v18, 0x200, v0
	v_cmp_gt_u32_e32 vcc, s33, v18
	s_and_saveexec_b64 s[0:1], vcc
	s_cbranch_execz .LBB124_76
; %bb.75:
	v_add_co_u32_e32 v18, vcc, 0x1000, v16
	v_addc_co_u32_e32 v19, vcc, 0, v17, vcc
	s_waitcnt lgkmcnt(1)
	global_store_dwordx2 v[18:19], v[10:11], off
.LBB124_76:
	s_or_b64 exec, exec, s[0:1]
	v_or_b32_e32 v18, 0x280, v0
	v_cmp_gt_u32_e32 vcc, s33, v18
	s_and_saveexec_b64 s[0:1], vcc
	s_cbranch_execz .LBB124_78
; %bb.77:
	v_add_co_u32_e32 v18, vcc, 0x1000, v16
	v_addc_co_u32_e32 v19, vcc, 0, v17, vcc
	s_waitcnt lgkmcnt(1)
	global_store_dwordx2 v[18:19], v[12:13], off offset:1024
.LBB124_78:
	s_or_b64 exec, exec, s[0:1]
	v_or_b32_e32 v18, 0x300, v0
	v_cmp_gt_u32_e32 vcc, s33, v18
	s_and_saveexec_b64 s[0:1], vcc
	s_cbranch_execz .LBB124_80
; %bb.79:
	v_add_co_u32_e32 v16, vcc, 0x1000, v16
	v_addc_co_u32_e32 v17, vcc, 0, v17, vcc
	s_waitcnt lgkmcnt(0)
	global_store_dwordx2 v[16:17], v[14:15], off offset:2048
.LBB124_80:
	s_or_b64 exec, exec, s[0:1]
	v_cmp_lt_u64_e64 s[0:1], s[10:11], 2
	s_and_b64 vcc, exec, s[0:1]
	s_cbranch_vccnz .LBB124_104
; %bb.81:
	s_add_u32 s0, s33, -1
	s_addc_u32 s1, s34, -1
	s_add_u32 s2, 0, 0x92481000
	s_addc_u32 s3, 0, 0x64
	s_add_i32 s3, s3, 0x249248c0
	s_mul_hi_u32 s9, s2, -7
	s_sub_i32 s9, s9, s2
	s_mul_i32 s10, s3, -7
	s_mul_i32 s4, s2, -7
	s_add_i32 s9, s9, s10
	s_mul_hi_u32 s5, s3, s4
	s_mul_i32 s8, s3, s4
	s_mul_i32 s11, s2, s9
	s_mul_hi_u32 s4, s2, s4
	s_mul_hi_u32 s10, s2, s9
	s_add_u32 s4, s4, s11
	s_addc_u32 s10, 0, s10
	s_add_u32 s4, s4, s8
	s_mul_hi_u32 s11, s3, s9
	s_addc_u32 s4, s10, s5
	s_addc_u32 s5, s11, 0
	s_mul_i32 s8, s3, s9
	s_add_u32 s4, s4, s8
	v_mov_b32_e32 v16, s4
	s_addc_u32 s5, 0, s5
	v_add_co_u32_e32 v16, vcc, s2, v16
	s_cmp_lg_u64 vcc, 0
	s_addc_u32 s2, s3, s5
	v_readfirstlane_b32 s5, v16
	s_mul_i32 s4, s0, s2
	s_mul_hi_u32 s8, s0, s5
	s_mul_hi_u32 s3, s0, s2
	s_add_u32 s4, s8, s4
	s_addc_u32 s3, 0, s3
	s_mul_hi_u32 s9, s1, s5
	s_mul_i32 s5, s1, s5
	s_add_u32 s4, s4, s5
	s_mul_hi_u32 s8, s1, s2
	s_addc_u32 s3, s3, s9
	s_addc_u32 s4, s8, 0
	s_mul_i32 s2, s1, s2
	s_add_u32 s2, s3, s2
	s_addc_u32 s3, 0, s4
	s_add_u32 s4, s2, 1
	s_addc_u32 s5, s3, 0
	s_add_u32 s8, s2, 2
	s_mul_i32 s10, s3, 7
	s_mul_hi_u32 s11, s2, 7
	s_addc_u32 s9, s3, 0
	s_add_i32 s11, s11, s10
	s_mul_i32 s10, s2, 7
	v_mov_b32_e32 v16, s10
	v_sub_co_u32_e32 v16, vcc, s0, v16
	s_cmp_lg_u64 vcc, 0
	s_subb_u32 s10, s1, s11
	v_subrev_co_u32_e32 v17, vcc, 7, v16
	s_cmp_lg_u64 vcc, 0
	s_subb_u32 s11, s10, 0
	v_readfirstlane_b32 s12, v17
	s_cmp_gt_u32 s12, 6
	s_cselect_b32 s12, -1, 0
	s_cmp_eq_u32 s11, 0
	s_cselect_b32 s11, s12, -1
	s_cmp_lg_u32 s11, 0
	s_cselect_b32 s4, s8, s4
	v_readfirstlane_b32 s8, v16
	s_cselect_b32 s5, s9, s5
	s_cmp_gt_u32 s8, 6
	s_cselect_b32 s8, -1, 0
	s_cmp_eq_u32 s10, 0
	s_cselect_b32 s8, s8, -1
	s_cmp_lg_u32 s8, 0
	s_cselect_b32 s3, s5, s3
	s_cselect_b32 s2, s4, s2
	v_cmp_eq_u64_e32 vcc, s[2:3], v[0:1]
	s_and_saveexec_b64 s[2:3], vcc
	s_cbranch_execz .LBB124_104
; %bb.82:
	v_mul_hi_u32_u24_e32 v1, 7, v0
	v_mov_b32_e32 v16, s1
	v_sub_co_u32_e32 v0, vcc, s0, v37
	v_subb_co_u32_e32 v1, vcc, v16, v1, vcc
	v_cmp_lt_i64_e32 vcc, 3, v[0:1]
	s_and_saveexec_b64 s[0:1], vcc
	s_xor_b64 s[0:1], exec, s[0:1]
	s_cbranch_execz .LBB124_92
; %bb.83:
	v_cmp_lt_i64_e32 vcc, 4, v[0:1]
	s_and_saveexec_b64 s[2:3], vcc
	s_xor_b64 s[2:3], exec, s[2:3]
	s_cbranch_execz .LBB124_89
; %bb.84:
	;; [unrolled: 5-line block ×3, first 2 shown]
	v_mov_b32_e32 v0, 0
	s_waitcnt lgkmcnt(0)
	global_store_dwordx2 v0, v[14:15], s[6:7]
                                        ; implicit-def: $vgpr10_vgpr11_vgpr12_vgpr13
.LBB124_86:
	s_andn2_saveexec_b64 s[4:5], s[4:5]
	s_cbranch_execz .LBB124_88
; %bb.87:
	v_mov_b32_e32 v0, 0
	s_waitcnt lgkmcnt(1)
	global_store_dwordx2 v0, v[12:13], s[6:7]
.LBB124_88:
	s_or_b64 exec, exec, s[4:5]
                                        ; implicit-def: $vgpr10_vgpr11_vgpr12_vgpr13
.LBB124_89:
	s_andn2_saveexec_b64 s[2:3], s[2:3]
	s_cbranch_execz .LBB124_91
; %bb.90:
	v_mov_b32_e32 v0, 0
	s_waitcnt lgkmcnt(1)
	global_store_dwordx2 v0, v[10:11], s[6:7]
.LBB124_91:
	s_or_b64 exec, exec, s[2:3]
                                        ; implicit-def: $vgpr0_vgpr1
                                        ; implicit-def: $vgpr2_vgpr3_vgpr4_vgpr5
                                        ; implicit-def: $vgpr6_vgpr7_vgpr8_vgpr9
.LBB124_92:
	s_andn2_saveexec_b64 s[0:1], s[0:1]
	s_cbranch_execz .LBB124_104
; %bb.93:
	v_cmp_lt_i64_e32 vcc, 1, v[0:1]
	s_and_saveexec_b64 s[0:1], vcc
	s_xor_b64 s[0:1], exec, s[0:1]
	s_cbranch_execz .LBB124_99
; %bb.94:
	v_cmp_lt_i64_e32 vcc, 2, v[0:1]
	s_and_saveexec_b64 s[2:3], vcc
	s_xor_b64 s[2:3], exec, s[2:3]
	s_cbranch_execz .LBB124_96
; %bb.95:
	v_mov_b32_e32 v0, 0
	s_waitcnt lgkmcnt(2)
	global_store_dwordx2 v0, v[8:9], s[6:7]
                                        ; implicit-def: $vgpr6_vgpr7_vgpr8_vgpr9
.LBB124_96:
	s_andn2_saveexec_b64 s[2:3], s[2:3]
	s_cbranch_execz .LBB124_98
; %bb.97:
	v_mov_b32_e32 v0, 0
	s_waitcnt lgkmcnt(2)
	global_store_dwordx2 v0, v[6:7], s[6:7]
.LBB124_98:
	s_or_b64 exec, exec, s[2:3]
                                        ; implicit-def: $vgpr2_vgpr3_vgpr4_vgpr5
                                        ; implicit-def: $vgpr0_vgpr1
.LBB124_99:
	s_andn2_saveexec_b64 s[0:1], s[0:1]
	s_cbranch_execz .LBB124_104
; %bb.100:
	v_cmp_ne_u64_e32 vcc, 1, v[0:1]
	s_and_saveexec_b64 s[0:1], vcc
	s_xor_b64 s[0:1], exec, s[0:1]
	s_cbranch_execz .LBB124_102
; %bb.101:
	v_mov_b32_e32 v0, 0
	s_waitcnt lgkmcnt(3)
	global_store_dwordx2 v0, v[2:3], s[6:7]
                                        ; implicit-def: $vgpr2_vgpr3_vgpr4_vgpr5
.LBB124_102:
	s_andn2_saveexec_b64 s[0:1], s[0:1]
	s_cbranch_execz .LBB124_104
; %bb.103:
	v_mov_b32_e32 v0, 0
	s_waitcnt lgkmcnt(3)
	global_store_dwordx2 v0, v[4:5], s[6:7]
.LBB124_104:
	s_endpgm
	.section	.rodata,"a",@progbits
	.p2align	6, 0x0
	.amdhsa_kernel _ZN7rocprim17ROCPRIM_400000_NS6detail17trampoline_kernelINS0_14default_configENS1_20scan_config_selectorIlEEZZNS1_9scan_implILNS1_25lookback_scan_determinismE0ELb0ELb0ES3_PlS8_lN6thrust23THRUST_200600_302600_NS4plusIvEElEEDaPvRmT3_T4_T5_mT6_P12ihipStream_tbENKUlT_T0_E_clISt17integral_constantIbLb1EESP_IbLb0EEEEDaSL_SM_EUlSL_E_NS1_11comp_targetILNS1_3genE4ELNS1_11target_archE910ELNS1_3gpuE8ELNS1_3repE0EEENS1_30default_config_static_selectorELNS0_4arch9wavefront6targetE1EEEvT1_
		.amdhsa_group_segment_fixed_size 7168
		.amdhsa_private_segment_fixed_size 0
		.amdhsa_kernarg_size 104
		.amdhsa_user_sgpr_count 6
		.amdhsa_user_sgpr_private_segment_buffer 1
		.amdhsa_user_sgpr_dispatch_ptr 0
		.amdhsa_user_sgpr_queue_ptr 0
		.amdhsa_user_sgpr_kernarg_segment_ptr 1
		.amdhsa_user_sgpr_dispatch_id 0
		.amdhsa_user_sgpr_flat_scratch_init 0
		.amdhsa_user_sgpr_kernarg_preload_length 0
		.amdhsa_user_sgpr_kernarg_preload_offset 0
		.amdhsa_user_sgpr_private_segment_size 0
		.amdhsa_uses_dynamic_stack 0
		.amdhsa_system_sgpr_private_segment_wavefront_offset 0
		.amdhsa_system_sgpr_workgroup_id_x 1
		.amdhsa_system_sgpr_workgroup_id_y 0
		.amdhsa_system_sgpr_workgroup_id_z 0
		.amdhsa_system_sgpr_workgroup_info 0
		.amdhsa_system_vgpr_workitem_id 0
		.amdhsa_next_free_vgpr 51
		.amdhsa_next_free_sgpr 35
		.amdhsa_accum_offset 52
		.amdhsa_reserve_vcc 1
		.amdhsa_reserve_flat_scratch 0
		.amdhsa_float_round_mode_32 0
		.amdhsa_float_round_mode_16_64 0
		.amdhsa_float_denorm_mode_32 3
		.amdhsa_float_denorm_mode_16_64 3
		.amdhsa_dx10_clamp 1
		.amdhsa_ieee_mode 1
		.amdhsa_fp16_overflow 0
		.amdhsa_tg_split 0
		.amdhsa_exception_fp_ieee_invalid_op 0
		.amdhsa_exception_fp_denorm_src 0
		.amdhsa_exception_fp_ieee_div_zero 0
		.amdhsa_exception_fp_ieee_overflow 0
		.amdhsa_exception_fp_ieee_underflow 0
		.amdhsa_exception_fp_ieee_inexact 0
		.amdhsa_exception_int_div_zero 0
	.end_amdhsa_kernel
	.section	.text._ZN7rocprim17ROCPRIM_400000_NS6detail17trampoline_kernelINS0_14default_configENS1_20scan_config_selectorIlEEZZNS1_9scan_implILNS1_25lookback_scan_determinismE0ELb0ELb0ES3_PlS8_lN6thrust23THRUST_200600_302600_NS4plusIvEElEEDaPvRmT3_T4_T5_mT6_P12ihipStream_tbENKUlT_T0_E_clISt17integral_constantIbLb1EESP_IbLb0EEEEDaSL_SM_EUlSL_E_NS1_11comp_targetILNS1_3genE4ELNS1_11target_archE910ELNS1_3gpuE8ELNS1_3repE0EEENS1_30default_config_static_selectorELNS0_4arch9wavefront6targetE1EEEvT1_,"axG",@progbits,_ZN7rocprim17ROCPRIM_400000_NS6detail17trampoline_kernelINS0_14default_configENS1_20scan_config_selectorIlEEZZNS1_9scan_implILNS1_25lookback_scan_determinismE0ELb0ELb0ES3_PlS8_lN6thrust23THRUST_200600_302600_NS4plusIvEElEEDaPvRmT3_T4_T5_mT6_P12ihipStream_tbENKUlT_T0_E_clISt17integral_constantIbLb1EESP_IbLb0EEEEDaSL_SM_EUlSL_E_NS1_11comp_targetILNS1_3genE4ELNS1_11target_archE910ELNS1_3gpuE8ELNS1_3repE0EEENS1_30default_config_static_selectorELNS0_4arch9wavefront6targetE1EEEvT1_,comdat
.Lfunc_end124:
	.size	_ZN7rocprim17ROCPRIM_400000_NS6detail17trampoline_kernelINS0_14default_configENS1_20scan_config_selectorIlEEZZNS1_9scan_implILNS1_25lookback_scan_determinismE0ELb0ELb0ES3_PlS8_lN6thrust23THRUST_200600_302600_NS4plusIvEElEEDaPvRmT3_T4_T5_mT6_P12ihipStream_tbENKUlT_T0_E_clISt17integral_constantIbLb1EESP_IbLb0EEEEDaSL_SM_EUlSL_E_NS1_11comp_targetILNS1_3genE4ELNS1_11target_archE910ELNS1_3gpuE8ELNS1_3repE0EEENS1_30default_config_static_selectorELNS0_4arch9wavefront6targetE1EEEvT1_, .Lfunc_end124-_ZN7rocprim17ROCPRIM_400000_NS6detail17trampoline_kernelINS0_14default_configENS1_20scan_config_selectorIlEEZZNS1_9scan_implILNS1_25lookback_scan_determinismE0ELb0ELb0ES3_PlS8_lN6thrust23THRUST_200600_302600_NS4plusIvEElEEDaPvRmT3_T4_T5_mT6_P12ihipStream_tbENKUlT_T0_E_clISt17integral_constantIbLb1EESP_IbLb0EEEEDaSL_SM_EUlSL_E_NS1_11comp_targetILNS1_3genE4ELNS1_11target_archE910ELNS1_3gpuE8ELNS1_3repE0EEENS1_30default_config_static_selectorELNS0_4arch9wavefront6targetE1EEEvT1_
                                        ; -- End function
	.section	.AMDGPU.csdata,"",@progbits
; Kernel info:
; codeLenInByte = 5804
; NumSgprs: 39
; NumVgprs: 51
; NumAgprs: 0
; TotalNumVgprs: 51
; ScratchSize: 0
; MemoryBound: 0
; FloatMode: 240
; IeeeMode: 1
; LDSByteSize: 7168 bytes/workgroup (compile time only)
; SGPRBlocks: 4
; VGPRBlocks: 6
; NumSGPRsForWavesPerEU: 39
; NumVGPRsForWavesPerEU: 51
; AccumOffset: 52
; Occupancy: 5
; WaveLimiterHint : 1
; COMPUTE_PGM_RSRC2:SCRATCH_EN: 0
; COMPUTE_PGM_RSRC2:USER_SGPR: 6
; COMPUTE_PGM_RSRC2:TRAP_HANDLER: 0
; COMPUTE_PGM_RSRC2:TGID_X_EN: 1
; COMPUTE_PGM_RSRC2:TGID_Y_EN: 0
; COMPUTE_PGM_RSRC2:TGID_Z_EN: 0
; COMPUTE_PGM_RSRC2:TIDIG_COMP_CNT: 0
; COMPUTE_PGM_RSRC3_GFX90A:ACCUM_OFFSET: 12
; COMPUTE_PGM_RSRC3_GFX90A:TG_SPLIT: 0
	.section	.text._ZN7rocprim17ROCPRIM_400000_NS6detail17trampoline_kernelINS0_14default_configENS1_20scan_config_selectorIlEEZZNS1_9scan_implILNS1_25lookback_scan_determinismE0ELb0ELb0ES3_PlS8_lN6thrust23THRUST_200600_302600_NS4plusIvEElEEDaPvRmT3_T4_T5_mT6_P12ihipStream_tbENKUlT_T0_E_clISt17integral_constantIbLb1EESP_IbLb0EEEEDaSL_SM_EUlSL_E_NS1_11comp_targetILNS1_3genE3ELNS1_11target_archE908ELNS1_3gpuE7ELNS1_3repE0EEENS1_30default_config_static_selectorELNS0_4arch9wavefront6targetE1EEEvT1_,"axG",@progbits,_ZN7rocprim17ROCPRIM_400000_NS6detail17trampoline_kernelINS0_14default_configENS1_20scan_config_selectorIlEEZZNS1_9scan_implILNS1_25lookback_scan_determinismE0ELb0ELb0ES3_PlS8_lN6thrust23THRUST_200600_302600_NS4plusIvEElEEDaPvRmT3_T4_T5_mT6_P12ihipStream_tbENKUlT_T0_E_clISt17integral_constantIbLb1EESP_IbLb0EEEEDaSL_SM_EUlSL_E_NS1_11comp_targetILNS1_3genE3ELNS1_11target_archE908ELNS1_3gpuE7ELNS1_3repE0EEENS1_30default_config_static_selectorELNS0_4arch9wavefront6targetE1EEEvT1_,comdat
	.protected	_ZN7rocprim17ROCPRIM_400000_NS6detail17trampoline_kernelINS0_14default_configENS1_20scan_config_selectorIlEEZZNS1_9scan_implILNS1_25lookback_scan_determinismE0ELb0ELb0ES3_PlS8_lN6thrust23THRUST_200600_302600_NS4plusIvEElEEDaPvRmT3_T4_T5_mT6_P12ihipStream_tbENKUlT_T0_E_clISt17integral_constantIbLb1EESP_IbLb0EEEEDaSL_SM_EUlSL_E_NS1_11comp_targetILNS1_3genE3ELNS1_11target_archE908ELNS1_3gpuE7ELNS1_3repE0EEENS1_30default_config_static_selectorELNS0_4arch9wavefront6targetE1EEEvT1_ ; -- Begin function _ZN7rocprim17ROCPRIM_400000_NS6detail17trampoline_kernelINS0_14default_configENS1_20scan_config_selectorIlEEZZNS1_9scan_implILNS1_25lookback_scan_determinismE0ELb0ELb0ES3_PlS8_lN6thrust23THRUST_200600_302600_NS4plusIvEElEEDaPvRmT3_T4_T5_mT6_P12ihipStream_tbENKUlT_T0_E_clISt17integral_constantIbLb1EESP_IbLb0EEEEDaSL_SM_EUlSL_E_NS1_11comp_targetILNS1_3genE3ELNS1_11target_archE908ELNS1_3gpuE7ELNS1_3repE0EEENS1_30default_config_static_selectorELNS0_4arch9wavefront6targetE1EEEvT1_
	.globl	_ZN7rocprim17ROCPRIM_400000_NS6detail17trampoline_kernelINS0_14default_configENS1_20scan_config_selectorIlEEZZNS1_9scan_implILNS1_25lookback_scan_determinismE0ELb0ELb0ES3_PlS8_lN6thrust23THRUST_200600_302600_NS4plusIvEElEEDaPvRmT3_T4_T5_mT6_P12ihipStream_tbENKUlT_T0_E_clISt17integral_constantIbLb1EESP_IbLb0EEEEDaSL_SM_EUlSL_E_NS1_11comp_targetILNS1_3genE3ELNS1_11target_archE908ELNS1_3gpuE7ELNS1_3repE0EEENS1_30default_config_static_selectorELNS0_4arch9wavefront6targetE1EEEvT1_
	.p2align	8
	.type	_ZN7rocprim17ROCPRIM_400000_NS6detail17trampoline_kernelINS0_14default_configENS1_20scan_config_selectorIlEEZZNS1_9scan_implILNS1_25lookback_scan_determinismE0ELb0ELb0ES3_PlS8_lN6thrust23THRUST_200600_302600_NS4plusIvEElEEDaPvRmT3_T4_T5_mT6_P12ihipStream_tbENKUlT_T0_E_clISt17integral_constantIbLb1EESP_IbLb0EEEEDaSL_SM_EUlSL_E_NS1_11comp_targetILNS1_3genE3ELNS1_11target_archE908ELNS1_3gpuE7ELNS1_3repE0EEENS1_30default_config_static_selectorELNS0_4arch9wavefront6targetE1EEEvT1_,@function
_ZN7rocprim17ROCPRIM_400000_NS6detail17trampoline_kernelINS0_14default_configENS1_20scan_config_selectorIlEEZZNS1_9scan_implILNS1_25lookback_scan_determinismE0ELb0ELb0ES3_PlS8_lN6thrust23THRUST_200600_302600_NS4plusIvEElEEDaPvRmT3_T4_T5_mT6_P12ihipStream_tbENKUlT_T0_E_clISt17integral_constantIbLb1EESP_IbLb0EEEEDaSL_SM_EUlSL_E_NS1_11comp_targetILNS1_3genE3ELNS1_11target_archE908ELNS1_3gpuE7ELNS1_3repE0EEENS1_30default_config_static_selectorELNS0_4arch9wavefront6targetE1EEEvT1_: ; @_ZN7rocprim17ROCPRIM_400000_NS6detail17trampoline_kernelINS0_14default_configENS1_20scan_config_selectorIlEEZZNS1_9scan_implILNS1_25lookback_scan_determinismE0ELb0ELb0ES3_PlS8_lN6thrust23THRUST_200600_302600_NS4plusIvEElEEDaPvRmT3_T4_T5_mT6_P12ihipStream_tbENKUlT_T0_E_clISt17integral_constantIbLb1EESP_IbLb0EEEEDaSL_SM_EUlSL_E_NS1_11comp_targetILNS1_3genE3ELNS1_11target_archE908ELNS1_3gpuE7ELNS1_3repE0EEENS1_30default_config_static_selectorELNS0_4arch9wavefront6targetE1EEEvT1_
; %bb.0:
	.section	.rodata,"a",@progbits
	.p2align	6, 0x0
	.amdhsa_kernel _ZN7rocprim17ROCPRIM_400000_NS6detail17trampoline_kernelINS0_14default_configENS1_20scan_config_selectorIlEEZZNS1_9scan_implILNS1_25lookback_scan_determinismE0ELb0ELb0ES3_PlS8_lN6thrust23THRUST_200600_302600_NS4plusIvEElEEDaPvRmT3_T4_T5_mT6_P12ihipStream_tbENKUlT_T0_E_clISt17integral_constantIbLb1EESP_IbLb0EEEEDaSL_SM_EUlSL_E_NS1_11comp_targetILNS1_3genE3ELNS1_11target_archE908ELNS1_3gpuE7ELNS1_3repE0EEENS1_30default_config_static_selectorELNS0_4arch9wavefront6targetE1EEEvT1_
		.amdhsa_group_segment_fixed_size 0
		.amdhsa_private_segment_fixed_size 0
		.amdhsa_kernarg_size 104
		.amdhsa_user_sgpr_count 6
		.amdhsa_user_sgpr_private_segment_buffer 1
		.amdhsa_user_sgpr_dispatch_ptr 0
		.amdhsa_user_sgpr_queue_ptr 0
		.amdhsa_user_sgpr_kernarg_segment_ptr 1
		.amdhsa_user_sgpr_dispatch_id 0
		.amdhsa_user_sgpr_flat_scratch_init 0
		.amdhsa_user_sgpr_kernarg_preload_length 0
		.amdhsa_user_sgpr_kernarg_preload_offset 0
		.amdhsa_user_sgpr_private_segment_size 0
		.amdhsa_uses_dynamic_stack 0
		.amdhsa_system_sgpr_private_segment_wavefront_offset 0
		.amdhsa_system_sgpr_workgroup_id_x 1
		.amdhsa_system_sgpr_workgroup_id_y 0
		.amdhsa_system_sgpr_workgroup_id_z 0
		.amdhsa_system_sgpr_workgroup_info 0
		.amdhsa_system_vgpr_workitem_id 0
		.amdhsa_next_free_vgpr 1
		.amdhsa_next_free_sgpr 0
		.amdhsa_accum_offset 4
		.amdhsa_reserve_vcc 0
		.amdhsa_reserve_flat_scratch 0
		.amdhsa_float_round_mode_32 0
		.amdhsa_float_round_mode_16_64 0
		.amdhsa_float_denorm_mode_32 3
		.amdhsa_float_denorm_mode_16_64 3
		.amdhsa_dx10_clamp 1
		.amdhsa_ieee_mode 1
		.amdhsa_fp16_overflow 0
		.amdhsa_tg_split 0
		.amdhsa_exception_fp_ieee_invalid_op 0
		.amdhsa_exception_fp_denorm_src 0
		.amdhsa_exception_fp_ieee_div_zero 0
		.amdhsa_exception_fp_ieee_overflow 0
		.amdhsa_exception_fp_ieee_underflow 0
		.amdhsa_exception_fp_ieee_inexact 0
		.amdhsa_exception_int_div_zero 0
	.end_amdhsa_kernel
	.section	.text._ZN7rocprim17ROCPRIM_400000_NS6detail17trampoline_kernelINS0_14default_configENS1_20scan_config_selectorIlEEZZNS1_9scan_implILNS1_25lookback_scan_determinismE0ELb0ELb0ES3_PlS8_lN6thrust23THRUST_200600_302600_NS4plusIvEElEEDaPvRmT3_T4_T5_mT6_P12ihipStream_tbENKUlT_T0_E_clISt17integral_constantIbLb1EESP_IbLb0EEEEDaSL_SM_EUlSL_E_NS1_11comp_targetILNS1_3genE3ELNS1_11target_archE908ELNS1_3gpuE7ELNS1_3repE0EEENS1_30default_config_static_selectorELNS0_4arch9wavefront6targetE1EEEvT1_,"axG",@progbits,_ZN7rocprim17ROCPRIM_400000_NS6detail17trampoline_kernelINS0_14default_configENS1_20scan_config_selectorIlEEZZNS1_9scan_implILNS1_25lookback_scan_determinismE0ELb0ELb0ES3_PlS8_lN6thrust23THRUST_200600_302600_NS4plusIvEElEEDaPvRmT3_T4_T5_mT6_P12ihipStream_tbENKUlT_T0_E_clISt17integral_constantIbLb1EESP_IbLb0EEEEDaSL_SM_EUlSL_E_NS1_11comp_targetILNS1_3genE3ELNS1_11target_archE908ELNS1_3gpuE7ELNS1_3repE0EEENS1_30default_config_static_selectorELNS0_4arch9wavefront6targetE1EEEvT1_,comdat
.Lfunc_end125:
	.size	_ZN7rocprim17ROCPRIM_400000_NS6detail17trampoline_kernelINS0_14default_configENS1_20scan_config_selectorIlEEZZNS1_9scan_implILNS1_25lookback_scan_determinismE0ELb0ELb0ES3_PlS8_lN6thrust23THRUST_200600_302600_NS4plusIvEElEEDaPvRmT3_T4_T5_mT6_P12ihipStream_tbENKUlT_T0_E_clISt17integral_constantIbLb1EESP_IbLb0EEEEDaSL_SM_EUlSL_E_NS1_11comp_targetILNS1_3genE3ELNS1_11target_archE908ELNS1_3gpuE7ELNS1_3repE0EEENS1_30default_config_static_selectorELNS0_4arch9wavefront6targetE1EEEvT1_, .Lfunc_end125-_ZN7rocprim17ROCPRIM_400000_NS6detail17trampoline_kernelINS0_14default_configENS1_20scan_config_selectorIlEEZZNS1_9scan_implILNS1_25lookback_scan_determinismE0ELb0ELb0ES3_PlS8_lN6thrust23THRUST_200600_302600_NS4plusIvEElEEDaPvRmT3_T4_T5_mT6_P12ihipStream_tbENKUlT_T0_E_clISt17integral_constantIbLb1EESP_IbLb0EEEEDaSL_SM_EUlSL_E_NS1_11comp_targetILNS1_3genE3ELNS1_11target_archE908ELNS1_3gpuE7ELNS1_3repE0EEENS1_30default_config_static_selectorELNS0_4arch9wavefront6targetE1EEEvT1_
                                        ; -- End function
	.section	.AMDGPU.csdata,"",@progbits
; Kernel info:
; codeLenInByte = 0
; NumSgprs: 4
; NumVgprs: 0
; NumAgprs: 0
; TotalNumVgprs: 0
; ScratchSize: 0
; MemoryBound: 0
; FloatMode: 240
; IeeeMode: 1
; LDSByteSize: 0 bytes/workgroup (compile time only)
; SGPRBlocks: 0
; VGPRBlocks: 0
; NumSGPRsForWavesPerEU: 4
; NumVGPRsForWavesPerEU: 1
; AccumOffset: 4
; Occupancy: 8
; WaveLimiterHint : 0
; COMPUTE_PGM_RSRC2:SCRATCH_EN: 0
; COMPUTE_PGM_RSRC2:USER_SGPR: 6
; COMPUTE_PGM_RSRC2:TRAP_HANDLER: 0
; COMPUTE_PGM_RSRC2:TGID_X_EN: 1
; COMPUTE_PGM_RSRC2:TGID_Y_EN: 0
; COMPUTE_PGM_RSRC2:TGID_Z_EN: 0
; COMPUTE_PGM_RSRC2:TIDIG_COMP_CNT: 0
; COMPUTE_PGM_RSRC3_GFX90A:ACCUM_OFFSET: 0
; COMPUTE_PGM_RSRC3_GFX90A:TG_SPLIT: 0
	.section	.text._ZN7rocprim17ROCPRIM_400000_NS6detail17trampoline_kernelINS0_14default_configENS1_20scan_config_selectorIlEEZZNS1_9scan_implILNS1_25lookback_scan_determinismE0ELb0ELb0ES3_PlS8_lN6thrust23THRUST_200600_302600_NS4plusIvEElEEDaPvRmT3_T4_T5_mT6_P12ihipStream_tbENKUlT_T0_E_clISt17integral_constantIbLb1EESP_IbLb0EEEEDaSL_SM_EUlSL_E_NS1_11comp_targetILNS1_3genE2ELNS1_11target_archE906ELNS1_3gpuE6ELNS1_3repE0EEENS1_30default_config_static_selectorELNS0_4arch9wavefront6targetE1EEEvT1_,"axG",@progbits,_ZN7rocprim17ROCPRIM_400000_NS6detail17trampoline_kernelINS0_14default_configENS1_20scan_config_selectorIlEEZZNS1_9scan_implILNS1_25lookback_scan_determinismE0ELb0ELb0ES3_PlS8_lN6thrust23THRUST_200600_302600_NS4plusIvEElEEDaPvRmT3_T4_T5_mT6_P12ihipStream_tbENKUlT_T0_E_clISt17integral_constantIbLb1EESP_IbLb0EEEEDaSL_SM_EUlSL_E_NS1_11comp_targetILNS1_3genE2ELNS1_11target_archE906ELNS1_3gpuE6ELNS1_3repE0EEENS1_30default_config_static_selectorELNS0_4arch9wavefront6targetE1EEEvT1_,comdat
	.protected	_ZN7rocprim17ROCPRIM_400000_NS6detail17trampoline_kernelINS0_14default_configENS1_20scan_config_selectorIlEEZZNS1_9scan_implILNS1_25lookback_scan_determinismE0ELb0ELb0ES3_PlS8_lN6thrust23THRUST_200600_302600_NS4plusIvEElEEDaPvRmT3_T4_T5_mT6_P12ihipStream_tbENKUlT_T0_E_clISt17integral_constantIbLb1EESP_IbLb0EEEEDaSL_SM_EUlSL_E_NS1_11comp_targetILNS1_3genE2ELNS1_11target_archE906ELNS1_3gpuE6ELNS1_3repE0EEENS1_30default_config_static_selectorELNS0_4arch9wavefront6targetE1EEEvT1_ ; -- Begin function _ZN7rocprim17ROCPRIM_400000_NS6detail17trampoline_kernelINS0_14default_configENS1_20scan_config_selectorIlEEZZNS1_9scan_implILNS1_25lookback_scan_determinismE0ELb0ELb0ES3_PlS8_lN6thrust23THRUST_200600_302600_NS4plusIvEElEEDaPvRmT3_T4_T5_mT6_P12ihipStream_tbENKUlT_T0_E_clISt17integral_constantIbLb1EESP_IbLb0EEEEDaSL_SM_EUlSL_E_NS1_11comp_targetILNS1_3genE2ELNS1_11target_archE906ELNS1_3gpuE6ELNS1_3repE0EEENS1_30default_config_static_selectorELNS0_4arch9wavefront6targetE1EEEvT1_
	.globl	_ZN7rocprim17ROCPRIM_400000_NS6detail17trampoline_kernelINS0_14default_configENS1_20scan_config_selectorIlEEZZNS1_9scan_implILNS1_25lookback_scan_determinismE0ELb0ELb0ES3_PlS8_lN6thrust23THRUST_200600_302600_NS4plusIvEElEEDaPvRmT3_T4_T5_mT6_P12ihipStream_tbENKUlT_T0_E_clISt17integral_constantIbLb1EESP_IbLb0EEEEDaSL_SM_EUlSL_E_NS1_11comp_targetILNS1_3genE2ELNS1_11target_archE906ELNS1_3gpuE6ELNS1_3repE0EEENS1_30default_config_static_selectorELNS0_4arch9wavefront6targetE1EEEvT1_
	.p2align	8
	.type	_ZN7rocprim17ROCPRIM_400000_NS6detail17trampoline_kernelINS0_14default_configENS1_20scan_config_selectorIlEEZZNS1_9scan_implILNS1_25lookback_scan_determinismE0ELb0ELb0ES3_PlS8_lN6thrust23THRUST_200600_302600_NS4plusIvEElEEDaPvRmT3_T4_T5_mT6_P12ihipStream_tbENKUlT_T0_E_clISt17integral_constantIbLb1EESP_IbLb0EEEEDaSL_SM_EUlSL_E_NS1_11comp_targetILNS1_3genE2ELNS1_11target_archE906ELNS1_3gpuE6ELNS1_3repE0EEENS1_30default_config_static_selectorELNS0_4arch9wavefront6targetE1EEEvT1_,@function
_ZN7rocprim17ROCPRIM_400000_NS6detail17trampoline_kernelINS0_14default_configENS1_20scan_config_selectorIlEEZZNS1_9scan_implILNS1_25lookback_scan_determinismE0ELb0ELb0ES3_PlS8_lN6thrust23THRUST_200600_302600_NS4plusIvEElEEDaPvRmT3_T4_T5_mT6_P12ihipStream_tbENKUlT_T0_E_clISt17integral_constantIbLb1EESP_IbLb0EEEEDaSL_SM_EUlSL_E_NS1_11comp_targetILNS1_3genE2ELNS1_11target_archE906ELNS1_3gpuE6ELNS1_3repE0EEENS1_30default_config_static_selectorELNS0_4arch9wavefront6targetE1EEEvT1_: ; @_ZN7rocprim17ROCPRIM_400000_NS6detail17trampoline_kernelINS0_14default_configENS1_20scan_config_selectorIlEEZZNS1_9scan_implILNS1_25lookback_scan_determinismE0ELb0ELb0ES3_PlS8_lN6thrust23THRUST_200600_302600_NS4plusIvEElEEDaPvRmT3_T4_T5_mT6_P12ihipStream_tbENKUlT_T0_E_clISt17integral_constantIbLb1EESP_IbLb0EEEEDaSL_SM_EUlSL_E_NS1_11comp_targetILNS1_3genE2ELNS1_11target_archE906ELNS1_3gpuE6ELNS1_3repE0EEENS1_30default_config_static_selectorELNS0_4arch9wavefront6targetE1EEEvT1_
; %bb.0:
	.section	.rodata,"a",@progbits
	.p2align	6, 0x0
	.amdhsa_kernel _ZN7rocprim17ROCPRIM_400000_NS6detail17trampoline_kernelINS0_14default_configENS1_20scan_config_selectorIlEEZZNS1_9scan_implILNS1_25lookback_scan_determinismE0ELb0ELb0ES3_PlS8_lN6thrust23THRUST_200600_302600_NS4plusIvEElEEDaPvRmT3_T4_T5_mT6_P12ihipStream_tbENKUlT_T0_E_clISt17integral_constantIbLb1EESP_IbLb0EEEEDaSL_SM_EUlSL_E_NS1_11comp_targetILNS1_3genE2ELNS1_11target_archE906ELNS1_3gpuE6ELNS1_3repE0EEENS1_30default_config_static_selectorELNS0_4arch9wavefront6targetE1EEEvT1_
		.amdhsa_group_segment_fixed_size 0
		.amdhsa_private_segment_fixed_size 0
		.amdhsa_kernarg_size 104
		.amdhsa_user_sgpr_count 6
		.amdhsa_user_sgpr_private_segment_buffer 1
		.amdhsa_user_sgpr_dispatch_ptr 0
		.amdhsa_user_sgpr_queue_ptr 0
		.amdhsa_user_sgpr_kernarg_segment_ptr 1
		.amdhsa_user_sgpr_dispatch_id 0
		.amdhsa_user_sgpr_flat_scratch_init 0
		.amdhsa_user_sgpr_kernarg_preload_length 0
		.amdhsa_user_sgpr_kernarg_preload_offset 0
		.amdhsa_user_sgpr_private_segment_size 0
		.amdhsa_uses_dynamic_stack 0
		.amdhsa_system_sgpr_private_segment_wavefront_offset 0
		.amdhsa_system_sgpr_workgroup_id_x 1
		.amdhsa_system_sgpr_workgroup_id_y 0
		.amdhsa_system_sgpr_workgroup_id_z 0
		.amdhsa_system_sgpr_workgroup_info 0
		.amdhsa_system_vgpr_workitem_id 0
		.amdhsa_next_free_vgpr 1
		.amdhsa_next_free_sgpr 0
		.amdhsa_accum_offset 4
		.amdhsa_reserve_vcc 0
		.amdhsa_reserve_flat_scratch 0
		.amdhsa_float_round_mode_32 0
		.amdhsa_float_round_mode_16_64 0
		.amdhsa_float_denorm_mode_32 3
		.amdhsa_float_denorm_mode_16_64 3
		.amdhsa_dx10_clamp 1
		.amdhsa_ieee_mode 1
		.amdhsa_fp16_overflow 0
		.amdhsa_tg_split 0
		.amdhsa_exception_fp_ieee_invalid_op 0
		.amdhsa_exception_fp_denorm_src 0
		.amdhsa_exception_fp_ieee_div_zero 0
		.amdhsa_exception_fp_ieee_overflow 0
		.amdhsa_exception_fp_ieee_underflow 0
		.amdhsa_exception_fp_ieee_inexact 0
		.amdhsa_exception_int_div_zero 0
	.end_amdhsa_kernel
	.section	.text._ZN7rocprim17ROCPRIM_400000_NS6detail17trampoline_kernelINS0_14default_configENS1_20scan_config_selectorIlEEZZNS1_9scan_implILNS1_25lookback_scan_determinismE0ELb0ELb0ES3_PlS8_lN6thrust23THRUST_200600_302600_NS4plusIvEElEEDaPvRmT3_T4_T5_mT6_P12ihipStream_tbENKUlT_T0_E_clISt17integral_constantIbLb1EESP_IbLb0EEEEDaSL_SM_EUlSL_E_NS1_11comp_targetILNS1_3genE2ELNS1_11target_archE906ELNS1_3gpuE6ELNS1_3repE0EEENS1_30default_config_static_selectorELNS0_4arch9wavefront6targetE1EEEvT1_,"axG",@progbits,_ZN7rocprim17ROCPRIM_400000_NS6detail17trampoline_kernelINS0_14default_configENS1_20scan_config_selectorIlEEZZNS1_9scan_implILNS1_25lookback_scan_determinismE0ELb0ELb0ES3_PlS8_lN6thrust23THRUST_200600_302600_NS4plusIvEElEEDaPvRmT3_T4_T5_mT6_P12ihipStream_tbENKUlT_T0_E_clISt17integral_constantIbLb1EESP_IbLb0EEEEDaSL_SM_EUlSL_E_NS1_11comp_targetILNS1_3genE2ELNS1_11target_archE906ELNS1_3gpuE6ELNS1_3repE0EEENS1_30default_config_static_selectorELNS0_4arch9wavefront6targetE1EEEvT1_,comdat
.Lfunc_end126:
	.size	_ZN7rocprim17ROCPRIM_400000_NS6detail17trampoline_kernelINS0_14default_configENS1_20scan_config_selectorIlEEZZNS1_9scan_implILNS1_25lookback_scan_determinismE0ELb0ELb0ES3_PlS8_lN6thrust23THRUST_200600_302600_NS4plusIvEElEEDaPvRmT3_T4_T5_mT6_P12ihipStream_tbENKUlT_T0_E_clISt17integral_constantIbLb1EESP_IbLb0EEEEDaSL_SM_EUlSL_E_NS1_11comp_targetILNS1_3genE2ELNS1_11target_archE906ELNS1_3gpuE6ELNS1_3repE0EEENS1_30default_config_static_selectorELNS0_4arch9wavefront6targetE1EEEvT1_, .Lfunc_end126-_ZN7rocprim17ROCPRIM_400000_NS6detail17trampoline_kernelINS0_14default_configENS1_20scan_config_selectorIlEEZZNS1_9scan_implILNS1_25lookback_scan_determinismE0ELb0ELb0ES3_PlS8_lN6thrust23THRUST_200600_302600_NS4plusIvEElEEDaPvRmT3_T4_T5_mT6_P12ihipStream_tbENKUlT_T0_E_clISt17integral_constantIbLb1EESP_IbLb0EEEEDaSL_SM_EUlSL_E_NS1_11comp_targetILNS1_3genE2ELNS1_11target_archE906ELNS1_3gpuE6ELNS1_3repE0EEENS1_30default_config_static_selectorELNS0_4arch9wavefront6targetE1EEEvT1_
                                        ; -- End function
	.section	.AMDGPU.csdata,"",@progbits
; Kernel info:
; codeLenInByte = 0
; NumSgprs: 4
; NumVgprs: 0
; NumAgprs: 0
; TotalNumVgprs: 0
; ScratchSize: 0
; MemoryBound: 0
; FloatMode: 240
; IeeeMode: 1
; LDSByteSize: 0 bytes/workgroup (compile time only)
; SGPRBlocks: 0
; VGPRBlocks: 0
; NumSGPRsForWavesPerEU: 4
; NumVGPRsForWavesPerEU: 1
; AccumOffset: 4
; Occupancy: 8
; WaveLimiterHint : 0
; COMPUTE_PGM_RSRC2:SCRATCH_EN: 0
; COMPUTE_PGM_RSRC2:USER_SGPR: 6
; COMPUTE_PGM_RSRC2:TRAP_HANDLER: 0
; COMPUTE_PGM_RSRC2:TGID_X_EN: 1
; COMPUTE_PGM_RSRC2:TGID_Y_EN: 0
; COMPUTE_PGM_RSRC2:TGID_Z_EN: 0
; COMPUTE_PGM_RSRC2:TIDIG_COMP_CNT: 0
; COMPUTE_PGM_RSRC3_GFX90A:ACCUM_OFFSET: 0
; COMPUTE_PGM_RSRC3_GFX90A:TG_SPLIT: 0
	.section	.text._ZN7rocprim17ROCPRIM_400000_NS6detail17trampoline_kernelINS0_14default_configENS1_20scan_config_selectorIlEEZZNS1_9scan_implILNS1_25lookback_scan_determinismE0ELb0ELb0ES3_PlS8_lN6thrust23THRUST_200600_302600_NS4plusIvEElEEDaPvRmT3_T4_T5_mT6_P12ihipStream_tbENKUlT_T0_E_clISt17integral_constantIbLb1EESP_IbLb0EEEEDaSL_SM_EUlSL_E_NS1_11comp_targetILNS1_3genE10ELNS1_11target_archE1201ELNS1_3gpuE5ELNS1_3repE0EEENS1_30default_config_static_selectorELNS0_4arch9wavefront6targetE1EEEvT1_,"axG",@progbits,_ZN7rocprim17ROCPRIM_400000_NS6detail17trampoline_kernelINS0_14default_configENS1_20scan_config_selectorIlEEZZNS1_9scan_implILNS1_25lookback_scan_determinismE0ELb0ELb0ES3_PlS8_lN6thrust23THRUST_200600_302600_NS4plusIvEElEEDaPvRmT3_T4_T5_mT6_P12ihipStream_tbENKUlT_T0_E_clISt17integral_constantIbLb1EESP_IbLb0EEEEDaSL_SM_EUlSL_E_NS1_11comp_targetILNS1_3genE10ELNS1_11target_archE1201ELNS1_3gpuE5ELNS1_3repE0EEENS1_30default_config_static_selectorELNS0_4arch9wavefront6targetE1EEEvT1_,comdat
	.protected	_ZN7rocprim17ROCPRIM_400000_NS6detail17trampoline_kernelINS0_14default_configENS1_20scan_config_selectorIlEEZZNS1_9scan_implILNS1_25lookback_scan_determinismE0ELb0ELb0ES3_PlS8_lN6thrust23THRUST_200600_302600_NS4plusIvEElEEDaPvRmT3_T4_T5_mT6_P12ihipStream_tbENKUlT_T0_E_clISt17integral_constantIbLb1EESP_IbLb0EEEEDaSL_SM_EUlSL_E_NS1_11comp_targetILNS1_3genE10ELNS1_11target_archE1201ELNS1_3gpuE5ELNS1_3repE0EEENS1_30default_config_static_selectorELNS0_4arch9wavefront6targetE1EEEvT1_ ; -- Begin function _ZN7rocprim17ROCPRIM_400000_NS6detail17trampoline_kernelINS0_14default_configENS1_20scan_config_selectorIlEEZZNS1_9scan_implILNS1_25lookback_scan_determinismE0ELb0ELb0ES3_PlS8_lN6thrust23THRUST_200600_302600_NS4plusIvEElEEDaPvRmT3_T4_T5_mT6_P12ihipStream_tbENKUlT_T0_E_clISt17integral_constantIbLb1EESP_IbLb0EEEEDaSL_SM_EUlSL_E_NS1_11comp_targetILNS1_3genE10ELNS1_11target_archE1201ELNS1_3gpuE5ELNS1_3repE0EEENS1_30default_config_static_selectorELNS0_4arch9wavefront6targetE1EEEvT1_
	.globl	_ZN7rocprim17ROCPRIM_400000_NS6detail17trampoline_kernelINS0_14default_configENS1_20scan_config_selectorIlEEZZNS1_9scan_implILNS1_25lookback_scan_determinismE0ELb0ELb0ES3_PlS8_lN6thrust23THRUST_200600_302600_NS4plusIvEElEEDaPvRmT3_T4_T5_mT6_P12ihipStream_tbENKUlT_T0_E_clISt17integral_constantIbLb1EESP_IbLb0EEEEDaSL_SM_EUlSL_E_NS1_11comp_targetILNS1_3genE10ELNS1_11target_archE1201ELNS1_3gpuE5ELNS1_3repE0EEENS1_30default_config_static_selectorELNS0_4arch9wavefront6targetE1EEEvT1_
	.p2align	8
	.type	_ZN7rocprim17ROCPRIM_400000_NS6detail17trampoline_kernelINS0_14default_configENS1_20scan_config_selectorIlEEZZNS1_9scan_implILNS1_25lookback_scan_determinismE0ELb0ELb0ES3_PlS8_lN6thrust23THRUST_200600_302600_NS4plusIvEElEEDaPvRmT3_T4_T5_mT6_P12ihipStream_tbENKUlT_T0_E_clISt17integral_constantIbLb1EESP_IbLb0EEEEDaSL_SM_EUlSL_E_NS1_11comp_targetILNS1_3genE10ELNS1_11target_archE1201ELNS1_3gpuE5ELNS1_3repE0EEENS1_30default_config_static_selectorELNS0_4arch9wavefront6targetE1EEEvT1_,@function
_ZN7rocprim17ROCPRIM_400000_NS6detail17trampoline_kernelINS0_14default_configENS1_20scan_config_selectorIlEEZZNS1_9scan_implILNS1_25lookback_scan_determinismE0ELb0ELb0ES3_PlS8_lN6thrust23THRUST_200600_302600_NS4plusIvEElEEDaPvRmT3_T4_T5_mT6_P12ihipStream_tbENKUlT_T0_E_clISt17integral_constantIbLb1EESP_IbLb0EEEEDaSL_SM_EUlSL_E_NS1_11comp_targetILNS1_3genE10ELNS1_11target_archE1201ELNS1_3gpuE5ELNS1_3repE0EEENS1_30default_config_static_selectorELNS0_4arch9wavefront6targetE1EEEvT1_: ; @_ZN7rocprim17ROCPRIM_400000_NS6detail17trampoline_kernelINS0_14default_configENS1_20scan_config_selectorIlEEZZNS1_9scan_implILNS1_25lookback_scan_determinismE0ELb0ELb0ES3_PlS8_lN6thrust23THRUST_200600_302600_NS4plusIvEElEEDaPvRmT3_T4_T5_mT6_P12ihipStream_tbENKUlT_T0_E_clISt17integral_constantIbLb1EESP_IbLb0EEEEDaSL_SM_EUlSL_E_NS1_11comp_targetILNS1_3genE10ELNS1_11target_archE1201ELNS1_3gpuE5ELNS1_3repE0EEENS1_30default_config_static_selectorELNS0_4arch9wavefront6targetE1EEEvT1_
; %bb.0:
	.section	.rodata,"a",@progbits
	.p2align	6, 0x0
	.amdhsa_kernel _ZN7rocprim17ROCPRIM_400000_NS6detail17trampoline_kernelINS0_14default_configENS1_20scan_config_selectorIlEEZZNS1_9scan_implILNS1_25lookback_scan_determinismE0ELb0ELb0ES3_PlS8_lN6thrust23THRUST_200600_302600_NS4plusIvEElEEDaPvRmT3_T4_T5_mT6_P12ihipStream_tbENKUlT_T0_E_clISt17integral_constantIbLb1EESP_IbLb0EEEEDaSL_SM_EUlSL_E_NS1_11comp_targetILNS1_3genE10ELNS1_11target_archE1201ELNS1_3gpuE5ELNS1_3repE0EEENS1_30default_config_static_selectorELNS0_4arch9wavefront6targetE1EEEvT1_
		.amdhsa_group_segment_fixed_size 0
		.amdhsa_private_segment_fixed_size 0
		.amdhsa_kernarg_size 104
		.amdhsa_user_sgpr_count 6
		.amdhsa_user_sgpr_private_segment_buffer 1
		.amdhsa_user_sgpr_dispatch_ptr 0
		.amdhsa_user_sgpr_queue_ptr 0
		.amdhsa_user_sgpr_kernarg_segment_ptr 1
		.amdhsa_user_sgpr_dispatch_id 0
		.amdhsa_user_sgpr_flat_scratch_init 0
		.amdhsa_user_sgpr_kernarg_preload_length 0
		.amdhsa_user_sgpr_kernarg_preload_offset 0
		.amdhsa_user_sgpr_private_segment_size 0
		.amdhsa_uses_dynamic_stack 0
		.amdhsa_system_sgpr_private_segment_wavefront_offset 0
		.amdhsa_system_sgpr_workgroup_id_x 1
		.amdhsa_system_sgpr_workgroup_id_y 0
		.amdhsa_system_sgpr_workgroup_id_z 0
		.amdhsa_system_sgpr_workgroup_info 0
		.amdhsa_system_vgpr_workitem_id 0
		.amdhsa_next_free_vgpr 1
		.amdhsa_next_free_sgpr 0
		.amdhsa_accum_offset 4
		.amdhsa_reserve_vcc 0
		.amdhsa_reserve_flat_scratch 0
		.amdhsa_float_round_mode_32 0
		.amdhsa_float_round_mode_16_64 0
		.amdhsa_float_denorm_mode_32 3
		.amdhsa_float_denorm_mode_16_64 3
		.amdhsa_dx10_clamp 1
		.amdhsa_ieee_mode 1
		.amdhsa_fp16_overflow 0
		.amdhsa_tg_split 0
		.amdhsa_exception_fp_ieee_invalid_op 0
		.amdhsa_exception_fp_denorm_src 0
		.amdhsa_exception_fp_ieee_div_zero 0
		.amdhsa_exception_fp_ieee_overflow 0
		.amdhsa_exception_fp_ieee_underflow 0
		.amdhsa_exception_fp_ieee_inexact 0
		.amdhsa_exception_int_div_zero 0
	.end_amdhsa_kernel
	.section	.text._ZN7rocprim17ROCPRIM_400000_NS6detail17trampoline_kernelINS0_14default_configENS1_20scan_config_selectorIlEEZZNS1_9scan_implILNS1_25lookback_scan_determinismE0ELb0ELb0ES3_PlS8_lN6thrust23THRUST_200600_302600_NS4plusIvEElEEDaPvRmT3_T4_T5_mT6_P12ihipStream_tbENKUlT_T0_E_clISt17integral_constantIbLb1EESP_IbLb0EEEEDaSL_SM_EUlSL_E_NS1_11comp_targetILNS1_3genE10ELNS1_11target_archE1201ELNS1_3gpuE5ELNS1_3repE0EEENS1_30default_config_static_selectorELNS0_4arch9wavefront6targetE1EEEvT1_,"axG",@progbits,_ZN7rocprim17ROCPRIM_400000_NS6detail17trampoline_kernelINS0_14default_configENS1_20scan_config_selectorIlEEZZNS1_9scan_implILNS1_25lookback_scan_determinismE0ELb0ELb0ES3_PlS8_lN6thrust23THRUST_200600_302600_NS4plusIvEElEEDaPvRmT3_T4_T5_mT6_P12ihipStream_tbENKUlT_T0_E_clISt17integral_constantIbLb1EESP_IbLb0EEEEDaSL_SM_EUlSL_E_NS1_11comp_targetILNS1_3genE10ELNS1_11target_archE1201ELNS1_3gpuE5ELNS1_3repE0EEENS1_30default_config_static_selectorELNS0_4arch9wavefront6targetE1EEEvT1_,comdat
.Lfunc_end127:
	.size	_ZN7rocprim17ROCPRIM_400000_NS6detail17trampoline_kernelINS0_14default_configENS1_20scan_config_selectorIlEEZZNS1_9scan_implILNS1_25lookback_scan_determinismE0ELb0ELb0ES3_PlS8_lN6thrust23THRUST_200600_302600_NS4plusIvEElEEDaPvRmT3_T4_T5_mT6_P12ihipStream_tbENKUlT_T0_E_clISt17integral_constantIbLb1EESP_IbLb0EEEEDaSL_SM_EUlSL_E_NS1_11comp_targetILNS1_3genE10ELNS1_11target_archE1201ELNS1_3gpuE5ELNS1_3repE0EEENS1_30default_config_static_selectorELNS0_4arch9wavefront6targetE1EEEvT1_, .Lfunc_end127-_ZN7rocprim17ROCPRIM_400000_NS6detail17trampoline_kernelINS0_14default_configENS1_20scan_config_selectorIlEEZZNS1_9scan_implILNS1_25lookback_scan_determinismE0ELb0ELb0ES3_PlS8_lN6thrust23THRUST_200600_302600_NS4plusIvEElEEDaPvRmT3_T4_T5_mT6_P12ihipStream_tbENKUlT_T0_E_clISt17integral_constantIbLb1EESP_IbLb0EEEEDaSL_SM_EUlSL_E_NS1_11comp_targetILNS1_3genE10ELNS1_11target_archE1201ELNS1_3gpuE5ELNS1_3repE0EEENS1_30default_config_static_selectorELNS0_4arch9wavefront6targetE1EEEvT1_
                                        ; -- End function
	.section	.AMDGPU.csdata,"",@progbits
; Kernel info:
; codeLenInByte = 0
; NumSgprs: 4
; NumVgprs: 0
; NumAgprs: 0
; TotalNumVgprs: 0
; ScratchSize: 0
; MemoryBound: 0
; FloatMode: 240
; IeeeMode: 1
; LDSByteSize: 0 bytes/workgroup (compile time only)
; SGPRBlocks: 0
; VGPRBlocks: 0
; NumSGPRsForWavesPerEU: 4
; NumVGPRsForWavesPerEU: 1
; AccumOffset: 4
; Occupancy: 8
; WaveLimiterHint : 0
; COMPUTE_PGM_RSRC2:SCRATCH_EN: 0
; COMPUTE_PGM_RSRC2:USER_SGPR: 6
; COMPUTE_PGM_RSRC2:TRAP_HANDLER: 0
; COMPUTE_PGM_RSRC2:TGID_X_EN: 1
; COMPUTE_PGM_RSRC2:TGID_Y_EN: 0
; COMPUTE_PGM_RSRC2:TGID_Z_EN: 0
; COMPUTE_PGM_RSRC2:TIDIG_COMP_CNT: 0
; COMPUTE_PGM_RSRC3_GFX90A:ACCUM_OFFSET: 0
; COMPUTE_PGM_RSRC3_GFX90A:TG_SPLIT: 0
	.section	.text._ZN7rocprim17ROCPRIM_400000_NS6detail17trampoline_kernelINS0_14default_configENS1_20scan_config_selectorIlEEZZNS1_9scan_implILNS1_25lookback_scan_determinismE0ELb0ELb0ES3_PlS8_lN6thrust23THRUST_200600_302600_NS4plusIvEElEEDaPvRmT3_T4_T5_mT6_P12ihipStream_tbENKUlT_T0_E_clISt17integral_constantIbLb1EESP_IbLb0EEEEDaSL_SM_EUlSL_E_NS1_11comp_targetILNS1_3genE10ELNS1_11target_archE1200ELNS1_3gpuE4ELNS1_3repE0EEENS1_30default_config_static_selectorELNS0_4arch9wavefront6targetE1EEEvT1_,"axG",@progbits,_ZN7rocprim17ROCPRIM_400000_NS6detail17trampoline_kernelINS0_14default_configENS1_20scan_config_selectorIlEEZZNS1_9scan_implILNS1_25lookback_scan_determinismE0ELb0ELb0ES3_PlS8_lN6thrust23THRUST_200600_302600_NS4plusIvEElEEDaPvRmT3_T4_T5_mT6_P12ihipStream_tbENKUlT_T0_E_clISt17integral_constantIbLb1EESP_IbLb0EEEEDaSL_SM_EUlSL_E_NS1_11comp_targetILNS1_3genE10ELNS1_11target_archE1200ELNS1_3gpuE4ELNS1_3repE0EEENS1_30default_config_static_selectorELNS0_4arch9wavefront6targetE1EEEvT1_,comdat
	.protected	_ZN7rocprim17ROCPRIM_400000_NS6detail17trampoline_kernelINS0_14default_configENS1_20scan_config_selectorIlEEZZNS1_9scan_implILNS1_25lookback_scan_determinismE0ELb0ELb0ES3_PlS8_lN6thrust23THRUST_200600_302600_NS4plusIvEElEEDaPvRmT3_T4_T5_mT6_P12ihipStream_tbENKUlT_T0_E_clISt17integral_constantIbLb1EESP_IbLb0EEEEDaSL_SM_EUlSL_E_NS1_11comp_targetILNS1_3genE10ELNS1_11target_archE1200ELNS1_3gpuE4ELNS1_3repE0EEENS1_30default_config_static_selectorELNS0_4arch9wavefront6targetE1EEEvT1_ ; -- Begin function _ZN7rocprim17ROCPRIM_400000_NS6detail17trampoline_kernelINS0_14default_configENS1_20scan_config_selectorIlEEZZNS1_9scan_implILNS1_25lookback_scan_determinismE0ELb0ELb0ES3_PlS8_lN6thrust23THRUST_200600_302600_NS4plusIvEElEEDaPvRmT3_T4_T5_mT6_P12ihipStream_tbENKUlT_T0_E_clISt17integral_constantIbLb1EESP_IbLb0EEEEDaSL_SM_EUlSL_E_NS1_11comp_targetILNS1_3genE10ELNS1_11target_archE1200ELNS1_3gpuE4ELNS1_3repE0EEENS1_30default_config_static_selectorELNS0_4arch9wavefront6targetE1EEEvT1_
	.globl	_ZN7rocprim17ROCPRIM_400000_NS6detail17trampoline_kernelINS0_14default_configENS1_20scan_config_selectorIlEEZZNS1_9scan_implILNS1_25lookback_scan_determinismE0ELb0ELb0ES3_PlS8_lN6thrust23THRUST_200600_302600_NS4plusIvEElEEDaPvRmT3_T4_T5_mT6_P12ihipStream_tbENKUlT_T0_E_clISt17integral_constantIbLb1EESP_IbLb0EEEEDaSL_SM_EUlSL_E_NS1_11comp_targetILNS1_3genE10ELNS1_11target_archE1200ELNS1_3gpuE4ELNS1_3repE0EEENS1_30default_config_static_selectorELNS0_4arch9wavefront6targetE1EEEvT1_
	.p2align	8
	.type	_ZN7rocprim17ROCPRIM_400000_NS6detail17trampoline_kernelINS0_14default_configENS1_20scan_config_selectorIlEEZZNS1_9scan_implILNS1_25lookback_scan_determinismE0ELb0ELb0ES3_PlS8_lN6thrust23THRUST_200600_302600_NS4plusIvEElEEDaPvRmT3_T4_T5_mT6_P12ihipStream_tbENKUlT_T0_E_clISt17integral_constantIbLb1EESP_IbLb0EEEEDaSL_SM_EUlSL_E_NS1_11comp_targetILNS1_3genE10ELNS1_11target_archE1200ELNS1_3gpuE4ELNS1_3repE0EEENS1_30default_config_static_selectorELNS0_4arch9wavefront6targetE1EEEvT1_,@function
_ZN7rocprim17ROCPRIM_400000_NS6detail17trampoline_kernelINS0_14default_configENS1_20scan_config_selectorIlEEZZNS1_9scan_implILNS1_25lookback_scan_determinismE0ELb0ELb0ES3_PlS8_lN6thrust23THRUST_200600_302600_NS4plusIvEElEEDaPvRmT3_T4_T5_mT6_P12ihipStream_tbENKUlT_T0_E_clISt17integral_constantIbLb1EESP_IbLb0EEEEDaSL_SM_EUlSL_E_NS1_11comp_targetILNS1_3genE10ELNS1_11target_archE1200ELNS1_3gpuE4ELNS1_3repE0EEENS1_30default_config_static_selectorELNS0_4arch9wavefront6targetE1EEEvT1_: ; @_ZN7rocprim17ROCPRIM_400000_NS6detail17trampoline_kernelINS0_14default_configENS1_20scan_config_selectorIlEEZZNS1_9scan_implILNS1_25lookback_scan_determinismE0ELb0ELb0ES3_PlS8_lN6thrust23THRUST_200600_302600_NS4plusIvEElEEDaPvRmT3_T4_T5_mT6_P12ihipStream_tbENKUlT_T0_E_clISt17integral_constantIbLb1EESP_IbLb0EEEEDaSL_SM_EUlSL_E_NS1_11comp_targetILNS1_3genE10ELNS1_11target_archE1200ELNS1_3gpuE4ELNS1_3repE0EEENS1_30default_config_static_selectorELNS0_4arch9wavefront6targetE1EEEvT1_
; %bb.0:
	.section	.rodata,"a",@progbits
	.p2align	6, 0x0
	.amdhsa_kernel _ZN7rocprim17ROCPRIM_400000_NS6detail17trampoline_kernelINS0_14default_configENS1_20scan_config_selectorIlEEZZNS1_9scan_implILNS1_25lookback_scan_determinismE0ELb0ELb0ES3_PlS8_lN6thrust23THRUST_200600_302600_NS4plusIvEElEEDaPvRmT3_T4_T5_mT6_P12ihipStream_tbENKUlT_T0_E_clISt17integral_constantIbLb1EESP_IbLb0EEEEDaSL_SM_EUlSL_E_NS1_11comp_targetILNS1_3genE10ELNS1_11target_archE1200ELNS1_3gpuE4ELNS1_3repE0EEENS1_30default_config_static_selectorELNS0_4arch9wavefront6targetE1EEEvT1_
		.amdhsa_group_segment_fixed_size 0
		.amdhsa_private_segment_fixed_size 0
		.amdhsa_kernarg_size 104
		.amdhsa_user_sgpr_count 6
		.amdhsa_user_sgpr_private_segment_buffer 1
		.amdhsa_user_sgpr_dispatch_ptr 0
		.amdhsa_user_sgpr_queue_ptr 0
		.amdhsa_user_sgpr_kernarg_segment_ptr 1
		.amdhsa_user_sgpr_dispatch_id 0
		.amdhsa_user_sgpr_flat_scratch_init 0
		.amdhsa_user_sgpr_kernarg_preload_length 0
		.amdhsa_user_sgpr_kernarg_preload_offset 0
		.amdhsa_user_sgpr_private_segment_size 0
		.amdhsa_uses_dynamic_stack 0
		.amdhsa_system_sgpr_private_segment_wavefront_offset 0
		.amdhsa_system_sgpr_workgroup_id_x 1
		.amdhsa_system_sgpr_workgroup_id_y 0
		.amdhsa_system_sgpr_workgroup_id_z 0
		.amdhsa_system_sgpr_workgroup_info 0
		.amdhsa_system_vgpr_workitem_id 0
		.amdhsa_next_free_vgpr 1
		.amdhsa_next_free_sgpr 0
		.amdhsa_accum_offset 4
		.amdhsa_reserve_vcc 0
		.amdhsa_reserve_flat_scratch 0
		.amdhsa_float_round_mode_32 0
		.amdhsa_float_round_mode_16_64 0
		.amdhsa_float_denorm_mode_32 3
		.amdhsa_float_denorm_mode_16_64 3
		.amdhsa_dx10_clamp 1
		.amdhsa_ieee_mode 1
		.amdhsa_fp16_overflow 0
		.amdhsa_tg_split 0
		.amdhsa_exception_fp_ieee_invalid_op 0
		.amdhsa_exception_fp_denorm_src 0
		.amdhsa_exception_fp_ieee_div_zero 0
		.amdhsa_exception_fp_ieee_overflow 0
		.amdhsa_exception_fp_ieee_underflow 0
		.amdhsa_exception_fp_ieee_inexact 0
		.amdhsa_exception_int_div_zero 0
	.end_amdhsa_kernel
	.section	.text._ZN7rocprim17ROCPRIM_400000_NS6detail17trampoline_kernelINS0_14default_configENS1_20scan_config_selectorIlEEZZNS1_9scan_implILNS1_25lookback_scan_determinismE0ELb0ELb0ES3_PlS8_lN6thrust23THRUST_200600_302600_NS4plusIvEElEEDaPvRmT3_T4_T5_mT6_P12ihipStream_tbENKUlT_T0_E_clISt17integral_constantIbLb1EESP_IbLb0EEEEDaSL_SM_EUlSL_E_NS1_11comp_targetILNS1_3genE10ELNS1_11target_archE1200ELNS1_3gpuE4ELNS1_3repE0EEENS1_30default_config_static_selectorELNS0_4arch9wavefront6targetE1EEEvT1_,"axG",@progbits,_ZN7rocprim17ROCPRIM_400000_NS6detail17trampoline_kernelINS0_14default_configENS1_20scan_config_selectorIlEEZZNS1_9scan_implILNS1_25lookback_scan_determinismE0ELb0ELb0ES3_PlS8_lN6thrust23THRUST_200600_302600_NS4plusIvEElEEDaPvRmT3_T4_T5_mT6_P12ihipStream_tbENKUlT_T0_E_clISt17integral_constantIbLb1EESP_IbLb0EEEEDaSL_SM_EUlSL_E_NS1_11comp_targetILNS1_3genE10ELNS1_11target_archE1200ELNS1_3gpuE4ELNS1_3repE0EEENS1_30default_config_static_selectorELNS0_4arch9wavefront6targetE1EEEvT1_,comdat
.Lfunc_end128:
	.size	_ZN7rocprim17ROCPRIM_400000_NS6detail17trampoline_kernelINS0_14default_configENS1_20scan_config_selectorIlEEZZNS1_9scan_implILNS1_25lookback_scan_determinismE0ELb0ELb0ES3_PlS8_lN6thrust23THRUST_200600_302600_NS4plusIvEElEEDaPvRmT3_T4_T5_mT6_P12ihipStream_tbENKUlT_T0_E_clISt17integral_constantIbLb1EESP_IbLb0EEEEDaSL_SM_EUlSL_E_NS1_11comp_targetILNS1_3genE10ELNS1_11target_archE1200ELNS1_3gpuE4ELNS1_3repE0EEENS1_30default_config_static_selectorELNS0_4arch9wavefront6targetE1EEEvT1_, .Lfunc_end128-_ZN7rocprim17ROCPRIM_400000_NS6detail17trampoline_kernelINS0_14default_configENS1_20scan_config_selectorIlEEZZNS1_9scan_implILNS1_25lookback_scan_determinismE0ELb0ELb0ES3_PlS8_lN6thrust23THRUST_200600_302600_NS4plusIvEElEEDaPvRmT3_T4_T5_mT6_P12ihipStream_tbENKUlT_T0_E_clISt17integral_constantIbLb1EESP_IbLb0EEEEDaSL_SM_EUlSL_E_NS1_11comp_targetILNS1_3genE10ELNS1_11target_archE1200ELNS1_3gpuE4ELNS1_3repE0EEENS1_30default_config_static_selectorELNS0_4arch9wavefront6targetE1EEEvT1_
                                        ; -- End function
	.section	.AMDGPU.csdata,"",@progbits
; Kernel info:
; codeLenInByte = 0
; NumSgprs: 4
; NumVgprs: 0
; NumAgprs: 0
; TotalNumVgprs: 0
; ScratchSize: 0
; MemoryBound: 0
; FloatMode: 240
; IeeeMode: 1
; LDSByteSize: 0 bytes/workgroup (compile time only)
; SGPRBlocks: 0
; VGPRBlocks: 0
; NumSGPRsForWavesPerEU: 4
; NumVGPRsForWavesPerEU: 1
; AccumOffset: 4
; Occupancy: 8
; WaveLimiterHint : 0
; COMPUTE_PGM_RSRC2:SCRATCH_EN: 0
; COMPUTE_PGM_RSRC2:USER_SGPR: 6
; COMPUTE_PGM_RSRC2:TRAP_HANDLER: 0
; COMPUTE_PGM_RSRC2:TGID_X_EN: 1
; COMPUTE_PGM_RSRC2:TGID_Y_EN: 0
; COMPUTE_PGM_RSRC2:TGID_Z_EN: 0
; COMPUTE_PGM_RSRC2:TIDIG_COMP_CNT: 0
; COMPUTE_PGM_RSRC3_GFX90A:ACCUM_OFFSET: 0
; COMPUTE_PGM_RSRC3_GFX90A:TG_SPLIT: 0
	.section	.text._ZN7rocprim17ROCPRIM_400000_NS6detail17trampoline_kernelINS0_14default_configENS1_20scan_config_selectorIlEEZZNS1_9scan_implILNS1_25lookback_scan_determinismE0ELb0ELb0ES3_PlS8_lN6thrust23THRUST_200600_302600_NS4plusIvEElEEDaPvRmT3_T4_T5_mT6_P12ihipStream_tbENKUlT_T0_E_clISt17integral_constantIbLb1EESP_IbLb0EEEEDaSL_SM_EUlSL_E_NS1_11comp_targetILNS1_3genE9ELNS1_11target_archE1100ELNS1_3gpuE3ELNS1_3repE0EEENS1_30default_config_static_selectorELNS0_4arch9wavefront6targetE1EEEvT1_,"axG",@progbits,_ZN7rocprim17ROCPRIM_400000_NS6detail17trampoline_kernelINS0_14default_configENS1_20scan_config_selectorIlEEZZNS1_9scan_implILNS1_25lookback_scan_determinismE0ELb0ELb0ES3_PlS8_lN6thrust23THRUST_200600_302600_NS4plusIvEElEEDaPvRmT3_T4_T5_mT6_P12ihipStream_tbENKUlT_T0_E_clISt17integral_constantIbLb1EESP_IbLb0EEEEDaSL_SM_EUlSL_E_NS1_11comp_targetILNS1_3genE9ELNS1_11target_archE1100ELNS1_3gpuE3ELNS1_3repE0EEENS1_30default_config_static_selectorELNS0_4arch9wavefront6targetE1EEEvT1_,comdat
	.protected	_ZN7rocprim17ROCPRIM_400000_NS6detail17trampoline_kernelINS0_14default_configENS1_20scan_config_selectorIlEEZZNS1_9scan_implILNS1_25lookback_scan_determinismE0ELb0ELb0ES3_PlS8_lN6thrust23THRUST_200600_302600_NS4plusIvEElEEDaPvRmT3_T4_T5_mT6_P12ihipStream_tbENKUlT_T0_E_clISt17integral_constantIbLb1EESP_IbLb0EEEEDaSL_SM_EUlSL_E_NS1_11comp_targetILNS1_3genE9ELNS1_11target_archE1100ELNS1_3gpuE3ELNS1_3repE0EEENS1_30default_config_static_selectorELNS0_4arch9wavefront6targetE1EEEvT1_ ; -- Begin function _ZN7rocprim17ROCPRIM_400000_NS6detail17trampoline_kernelINS0_14default_configENS1_20scan_config_selectorIlEEZZNS1_9scan_implILNS1_25lookback_scan_determinismE0ELb0ELb0ES3_PlS8_lN6thrust23THRUST_200600_302600_NS4plusIvEElEEDaPvRmT3_T4_T5_mT6_P12ihipStream_tbENKUlT_T0_E_clISt17integral_constantIbLb1EESP_IbLb0EEEEDaSL_SM_EUlSL_E_NS1_11comp_targetILNS1_3genE9ELNS1_11target_archE1100ELNS1_3gpuE3ELNS1_3repE0EEENS1_30default_config_static_selectorELNS0_4arch9wavefront6targetE1EEEvT1_
	.globl	_ZN7rocprim17ROCPRIM_400000_NS6detail17trampoline_kernelINS0_14default_configENS1_20scan_config_selectorIlEEZZNS1_9scan_implILNS1_25lookback_scan_determinismE0ELb0ELb0ES3_PlS8_lN6thrust23THRUST_200600_302600_NS4plusIvEElEEDaPvRmT3_T4_T5_mT6_P12ihipStream_tbENKUlT_T0_E_clISt17integral_constantIbLb1EESP_IbLb0EEEEDaSL_SM_EUlSL_E_NS1_11comp_targetILNS1_3genE9ELNS1_11target_archE1100ELNS1_3gpuE3ELNS1_3repE0EEENS1_30default_config_static_selectorELNS0_4arch9wavefront6targetE1EEEvT1_
	.p2align	8
	.type	_ZN7rocprim17ROCPRIM_400000_NS6detail17trampoline_kernelINS0_14default_configENS1_20scan_config_selectorIlEEZZNS1_9scan_implILNS1_25lookback_scan_determinismE0ELb0ELb0ES3_PlS8_lN6thrust23THRUST_200600_302600_NS4plusIvEElEEDaPvRmT3_T4_T5_mT6_P12ihipStream_tbENKUlT_T0_E_clISt17integral_constantIbLb1EESP_IbLb0EEEEDaSL_SM_EUlSL_E_NS1_11comp_targetILNS1_3genE9ELNS1_11target_archE1100ELNS1_3gpuE3ELNS1_3repE0EEENS1_30default_config_static_selectorELNS0_4arch9wavefront6targetE1EEEvT1_,@function
_ZN7rocprim17ROCPRIM_400000_NS6detail17trampoline_kernelINS0_14default_configENS1_20scan_config_selectorIlEEZZNS1_9scan_implILNS1_25lookback_scan_determinismE0ELb0ELb0ES3_PlS8_lN6thrust23THRUST_200600_302600_NS4plusIvEElEEDaPvRmT3_T4_T5_mT6_P12ihipStream_tbENKUlT_T0_E_clISt17integral_constantIbLb1EESP_IbLb0EEEEDaSL_SM_EUlSL_E_NS1_11comp_targetILNS1_3genE9ELNS1_11target_archE1100ELNS1_3gpuE3ELNS1_3repE0EEENS1_30default_config_static_selectorELNS0_4arch9wavefront6targetE1EEEvT1_: ; @_ZN7rocprim17ROCPRIM_400000_NS6detail17trampoline_kernelINS0_14default_configENS1_20scan_config_selectorIlEEZZNS1_9scan_implILNS1_25lookback_scan_determinismE0ELb0ELb0ES3_PlS8_lN6thrust23THRUST_200600_302600_NS4plusIvEElEEDaPvRmT3_T4_T5_mT6_P12ihipStream_tbENKUlT_T0_E_clISt17integral_constantIbLb1EESP_IbLb0EEEEDaSL_SM_EUlSL_E_NS1_11comp_targetILNS1_3genE9ELNS1_11target_archE1100ELNS1_3gpuE3ELNS1_3repE0EEENS1_30default_config_static_selectorELNS0_4arch9wavefront6targetE1EEEvT1_
; %bb.0:
	.section	.rodata,"a",@progbits
	.p2align	6, 0x0
	.amdhsa_kernel _ZN7rocprim17ROCPRIM_400000_NS6detail17trampoline_kernelINS0_14default_configENS1_20scan_config_selectorIlEEZZNS1_9scan_implILNS1_25lookback_scan_determinismE0ELb0ELb0ES3_PlS8_lN6thrust23THRUST_200600_302600_NS4plusIvEElEEDaPvRmT3_T4_T5_mT6_P12ihipStream_tbENKUlT_T0_E_clISt17integral_constantIbLb1EESP_IbLb0EEEEDaSL_SM_EUlSL_E_NS1_11comp_targetILNS1_3genE9ELNS1_11target_archE1100ELNS1_3gpuE3ELNS1_3repE0EEENS1_30default_config_static_selectorELNS0_4arch9wavefront6targetE1EEEvT1_
		.amdhsa_group_segment_fixed_size 0
		.amdhsa_private_segment_fixed_size 0
		.amdhsa_kernarg_size 104
		.amdhsa_user_sgpr_count 6
		.amdhsa_user_sgpr_private_segment_buffer 1
		.amdhsa_user_sgpr_dispatch_ptr 0
		.amdhsa_user_sgpr_queue_ptr 0
		.amdhsa_user_sgpr_kernarg_segment_ptr 1
		.amdhsa_user_sgpr_dispatch_id 0
		.amdhsa_user_sgpr_flat_scratch_init 0
		.amdhsa_user_sgpr_kernarg_preload_length 0
		.amdhsa_user_sgpr_kernarg_preload_offset 0
		.amdhsa_user_sgpr_private_segment_size 0
		.amdhsa_uses_dynamic_stack 0
		.amdhsa_system_sgpr_private_segment_wavefront_offset 0
		.amdhsa_system_sgpr_workgroup_id_x 1
		.amdhsa_system_sgpr_workgroup_id_y 0
		.amdhsa_system_sgpr_workgroup_id_z 0
		.amdhsa_system_sgpr_workgroup_info 0
		.amdhsa_system_vgpr_workitem_id 0
		.amdhsa_next_free_vgpr 1
		.amdhsa_next_free_sgpr 0
		.amdhsa_accum_offset 4
		.amdhsa_reserve_vcc 0
		.amdhsa_reserve_flat_scratch 0
		.amdhsa_float_round_mode_32 0
		.amdhsa_float_round_mode_16_64 0
		.amdhsa_float_denorm_mode_32 3
		.amdhsa_float_denorm_mode_16_64 3
		.amdhsa_dx10_clamp 1
		.amdhsa_ieee_mode 1
		.amdhsa_fp16_overflow 0
		.amdhsa_tg_split 0
		.amdhsa_exception_fp_ieee_invalid_op 0
		.amdhsa_exception_fp_denorm_src 0
		.amdhsa_exception_fp_ieee_div_zero 0
		.amdhsa_exception_fp_ieee_overflow 0
		.amdhsa_exception_fp_ieee_underflow 0
		.amdhsa_exception_fp_ieee_inexact 0
		.amdhsa_exception_int_div_zero 0
	.end_amdhsa_kernel
	.section	.text._ZN7rocprim17ROCPRIM_400000_NS6detail17trampoline_kernelINS0_14default_configENS1_20scan_config_selectorIlEEZZNS1_9scan_implILNS1_25lookback_scan_determinismE0ELb0ELb0ES3_PlS8_lN6thrust23THRUST_200600_302600_NS4plusIvEElEEDaPvRmT3_T4_T5_mT6_P12ihipStream_tbENKUlT_T0_E_clISt17integral_constantIbLb1EESP_IbLb0EEEEDaSL_SM_EUlSL_E_NS1_11comp_targetILNS1_3genE9ELNS1_11target_archE1100ELNS1_3gpuE3ELNS1_3repE0EEENS1_30default_config_static_selectorELNS0_4arch9wavefront6targetE1EEEvT1_,"axG",@progbits,_ZN7rocprim17ROCPRIM_400000_NS6detail17trampoline_kernelINS0_14default_configENS1_20scan_config_selectorIlEEZZNS1_9scan_implILNS1_25lookback_scan_determinismE0ELb0ELb0ES3_PlS8_lN6thrust23THRUST_200600_302600_NS4plusIvEElEEDaPvRmT3_T4_T5_mT6_P12ihipStream_tbENKUlT_T0_E_clISt17integral_constantIbLb1EESP_IbLb0EEEEDaSL_SM_EUlSL_E_NS1_11comp_targetILNS1_3genE9ELNS1_11target_archE1100ELNS1_3gpuE3ELNS1_3repE0EEENS1_30default_config_static_selectorELNS0_4arch9wavefront6targetE1EEEvT1_,comdat
.Lfunc_end129:
	.size	_ZN7rocprim17ROCPRIM_400000_NS6detail17trampoline_kernelINS0_14default_configENS1_20scan_config_selectorIlEEZZNS1_9scan_implILNS1_25lookback_scan_determinismE0ELb0ELb0ES3_PlS8_lN6thrust23THRUST_200600_302600_NS4plusIvEElEEDaPvRmT3_T4_T5_mT6_P12ihipStream_tbENKUlT_T0_E_clISt17integral_constantIbLb1EESP_IbLb0EEEEDaSL_SM_EUlSL_E_NS1_11comp_targetILNS1_3genE9ELNS1_11target_archE1100ELNS1_3gpuE3ELNS1_3repE0EEENS1_30default_config_static_selectorELNS0_4arch9wavefront6targetE1EEEvT1_, .Lfunc_end129-_ZN7rocprim17ROCPRIM_400000_NS6detail17trampoline_kernelINS0_14default_configENS1_20scan_config_selectorIlEEZZNS1_9scan_implILNS1_25lookback_scan_determinismE0ELb0ELb0ES3_PlS8_lN6thrust23THRUST_200600_302600_NS4plusIvEElEEDaPvRmT3_T4_T5_mT6_P12ihipStream_tbENKUlT_T0_E_clISt17integral_constantIbLb1EESP_IbLb0EEEEDaSL_SM_EUlSL_E_NS1_11comp_targetILNS1_3genE9ELNS1_11target_archE1100ELNS1_3gpuE3ELNS1_3repE0EEENS1_30default_config_static_selectorELNS0_4arch9wavefront6targetE1EEEvT1_
                                        ; -- End function
	.section	.AMDGPU.csdata,"",@progbits
; Kernel info:
; codeLenInByte = 0
; NumSgprs: 4
; NumVgprs: 0
; NumAgprs: 0
; TotalNumVgprs: 0
; ScratchSize: 0
; MemoryBound: 0
; FloatMode: 240
; IeeeMode: 1
; LDSByteSize: 0 bytes/workgroup (compile time only)
; SGPRBlocks: 0
; VGPRBlocks: 0
; NumSGPRsForWavesPerEU: 4
; NumVGPRsForWavesPerEU: 1
; AccumOffset: 4
; Occupancy: 8
; WaveLimiterHint : 0
; COMPUTE_PGM_RSRC2:SCRATCH_EN: 0
; COMPUTE_PGM_RSRC2:USER_SGPR: 6
; COMPUTE_PGM_RSRC2:TRAP_HANDLER: 0
; COMPUTE_PGM_RSRC2:TGID_X_EN: 1
; COMPUTE_PGM_RSRC2:TGID_Y_EN: 0
; COMPUTE_PGM_RSRC2:TGID_Z_EN: 0
; COMPUTE_PGM_RSRC2:TIDIG_COMP_CNT: 0
; COMPUTE_PGM_RSRC3_GFX90A:ACCUM_OFFSET: 0
; COMPUTE_PGM_RSRC3_GFX90A:TG_SPLIT: 0
	.section	.text._ZN7rocprim17ROCPRIM_400000_NS6detail17trampoline_kernelINS0_14default_configENS1_20scan_config_selectorIlEEZZNS1_9scan_implILNS1_25lookback_scan_determinismE0ELb0ELb0ES3_PlS8_lN6thrust23THRUST_200600_302600_NS4plusIvEElEEDaPvRmT3_T4_T5_mT6_P12ihipStream_tbENKUlT_T0_E_clISt17integral_constantIbLb1EESP_IbLb0EEEEDaSL_SM_EUlSL_E_NS1_11comp_targetILNS1_3genE8ELNS1_11target_archE1030ELNS1_3gpuE2ELNS1_3repE0EEENS1_30default_config_static_selectorELNS0_4arch9wavefront6targetE1EEEvT1_,"axG",@progbits,_ZN7rocprim17ROCPRIM_400000_NS6detail17trampoline_kernelINS0_14default_configENS1_20scan_config_selectorIlEEZZNS1_9scan_implILNS1_25lookback_scan_determinismE0ELb0ELb0ES3_PlS8_lN6thrust23THRUST_200600_302600_NS4plusIvEElEEDaPvRmT3_T4_T5_mT6_P12ihipStream_tbENKUlT_T0_E_clISt17integral_constantIbLb1EESP_IbLb0EEEEDaSL_SM_EUlSL_E_NS1_11comp_targetILNS1_3genE8ELNS1_11target_archE1030ELNS1_3gpuE2ELNS1_3repE0EEENS1_30default_config_static_selectorELNS0_4arch9wavefront6targetE1EEEvT1_,comdat
	.protected	_ZN7rocprim17ROCPRIM_400000_NS6detail17trampoline_kernelINS0_14default_configENS1_20scan_config_selectorIlEEZZNS1_9scan_implILNS1_25lookback_scan_determinismE0ELb0ELb0ES3_PlS8_lN6thrust23THRUST_200600_302600_NS4plusIvEElEEDaPvRmT3_T4_T5_mT6_P12ihipStream_tbENKUlT_T0_E_clISt17integral_constantIbLb1EESP_IbLb0EEEEDaSL_SM_EUlSL_E_NS1_11comp_targetILNS1_3genE8ELNS1_11target_archE1030ELNS1_3gpuE2ELNS1_3repE0EEENS1_30default_config_static_selectorELNS0_4arch9wavefront6targetE1EEEvT1_ ; -- Begin function _ZN7rocprim17ROCPRIM_400000_NS6detail17trampoline_kernelINS0_14default_configENS1_20scan_config_selectorIlEEZZNS1_9scan_implILNS1_25lookback_scan_determinismE0ELb0ELb0ES3_PlS8_lN6thrust23THRUST_200600_302600_NS4plusIvEElEEDaPvRmT3_T4_T5_mT6_P12ihipStream_tbENKUlT_T0_E_clISt17integral_constantIbLb1EESP_IbLb0EEEEDaSL_SM_EUlSL_E_NS1_11comp_targetILNS1_3genE8ELNS1_11target_archE1030ELNS1_3gpuE2ELNS1_3repE0EEENS1_30default_config_static_selectorELNS0_4arch9wavefront6targetE1EEEvT1_
	.globl	_ZN7rocprim17ROCPRIM_400000_NS6detail17trampoline_kernelINS0_14default_configENS1_20scan_config_selectorIlEEZZNS1_9scan_implILNS1_25lookback_scan_determinismE0ELb0ELb0ES3_PlS8_lN6thrust23THRUST_200600_302600_NS4plusIvEElEEDaPvRmT3_T4_T5_mT6_P12ihipStream_tbENKUlT_T0_E_clISt17integral_constantIbLb1EESP_IbLb0EEEEDaSL_SM_EUlSL_E_NS1_11comp_targetILNS1_3genE8ELNS1_11target_archE1030ELNS1_3gpuE2ELNS1_3repE0EEENS1_30default_config_static_selectorELNS0_4arch9wavefront6targetE1EEEvT1_
	.p2align	8
	.type	_ZN7rocprim17ROCPRIM_400000_NS6detail17trampoline_kernelINS0_14default_configENS1_20scan_config_selectorIlEEZZNS1_9scan_implILNS1_25lookback_scan_determinismE0ELb0ELb0ES3_PlS8_lN6thrust23THRUST_200600_302600_NS4plusIvEElEEDaPvRmT3_T4_T5_mT6_P12ihipStream_tbENKUlT_T0_E_clISt17integral_constantIbLb1EESP_IbLb0EEEEDaSL_SM_EUlSL_E_NS1_11comp_targetILNS1_3genE8ELNS1_11target_archE1030ELNS1_3gpuE2ELNS1_3repE0EEENS1_30default_config_static_selectorELNS0_4arch9wavefront6targetE1EEEvT1_,@function
_ZN7rocprim17ROCPRIM_400000_NS6detail17trampoline_kernelINS0_14default_configENS1_20scan_config_selectorIlEEZZNS1_9scan_implILNS1_25lookback_scan_determinismE0ELb0ELb0ES3_PlS8_lN6thrust23THRUST_200600_302600_NS4plusIvEElEEDaPvRmT3_T4_T5_mT6_P12ihipStream_tbENKUlT_T0_E_clISt17integral_constantIbLb1EESP_IbLb0EEEEDaSL_SM_EUlSL_E_NS1_11comp_targetILNS1_3genE8ELNS1_11target_archE1030ELNS1_3gpuE2ELNS1_3repE0EEENS1_30default_config_static_selectorELNS0_4arch9wavefront6targetE1EEEvT1_: ; @_ZN7rocprim17ROCPRIM_400000_NS6detail17trampoline_kernelINS0_14default_configENS1_20scan_config_selectorIlEEZZNS1_9scan_implILNS1_25lookback_scan_determinismE0ELb0ELb0ES3_PlS8_lN6thrust23THRUST_200600_302600_NS4plusIvEElEEDaPvRmT3_T4_T5_mT6_P12ihipStream_tbENKUlT_T0_E_clISt17integral_constantIbLb1EESP_IbLb0EEEEDaSL_SM_EUlSL_E_NS1_11comp_targetILNS1_3genE8ELNS1_11target_archE1030ELNS1_3gpuE2ELNS1_3repE0EEENS1_30default_config_static_selectorELNS0_4arch9wavefront6targetE1EEEvT1_
; %bb.0:
	.section	.rodata,"a",@progbits
	.p2align	6, 0x0
	.amdhsa_kernel _ZN7rocprim17ROCPRIM_400000_NS6detail17trampoline_kernelINS0_14default_configENS1_20scan_config_selectorIlEEZZNS1_9scan_implILNS1_25lookback_scan_determinismE0ELb0ELb0ES3_PlS8_lN6thrust23THRUST_200600_302600_NS4plusIvEElEEDaPvRmT3_T4_T5_mT6_P12ihipStream_tbENKUlT_T0_E_clISt17integral_constantIbLb1EESP_IbLb0EEEEDaSL_SM_EUlSL_E_NS1_11comp_targetILNS1_3genE8ELNS1_11target_archE1030ELNS1_3gpuE2ELNS1_3repE0EEENS1_30default_config_static_selectorELNS0_4arch9wavefront6targetE1EEEvT1_
		.amdhsa_group_segment_fixed_size 0
		.amdhsa_private_segment_fixed_size 0
		.amdhsa_kernarg_size 104
		.amdhsa_user_sgpr_count 6
		.amdhsa_user_sgpr_private_segment_buffer 1
		.amdhsa_user_sgpr_dispatch_ptr 0
		.amdhsa_user_sgpr_queue_ptr 0
		.amdhsa_user_sgpr_kernarg_segment_ptr 1
		.amdhsa_user_sgpr_dispatch_id 0
		.amdhsa_user_sgpr_flat_scratch_init 0
		.amdhsa_user_sgpr_kernarg_preload_length 0
		.amdhsa_user_sgpr_kernarg_preload_offset 0
		.amdhsa_user_sgpr_private_segment_size 0
		.amdhsa_uses_dynamic_stack 0
		.amdhsa_system_sgpr_private_segment_wavefront_offset 0
		.amdhsa_system_sgpr_workgroup_id_x 1
		.amdhsa_system_sgpr_workgroup_id_y 0
		.amdhsa_system_sgpr_workgroup_id_z 0
		.amdhsa_system_sgpr_workgroup_info 0
		.amdhsa_system_vgpr_workitem_id 0
		.amdhsa_next_free_vgpr 1
		.amdhsa_next_free_sgpr 0
		.amdhsa_accum_offset 4
		.amdhsa_reserve_vcc 0
		.amdhsa_reserve_flat_scratch 0
		.amdhsa_float_round_mode_32 0
		.amdhsa_float_round_mode_16_64 0
		.amdhsa_float_denorm_mode_32 3
		.amdhsa_float_denorm_mode_16_64 3
		.amdhsa_dx10_clamp 1
		.amdhsa_ieee_mode 1
		.amdhsa_fp16_overflow 0
		.amdhsa_tg_split 0
		.amdhsa_exception_fp_ieee_invalid_op 0
		.amdhsa_exception_fp_denorm_src 0
		.amdhsa_exception_fp_ieee_div_zero 0
		.amdhsa_exception_fp_ieee_overflow 0
		.amdhsa_exception_fp_ieee_underflow 0
		.amdhsa_exception_fp_ieee_inexact 0
		.amdhsa_exception_int_div_zero 0
	.end_amdhsa_kernel
	.section	.text._ZN7rocprim17ROCPRIM_400000_NS6detail17trampoline_kernelINS0_14default_configENS1_20scan_config_selectorIlEEZZNS1_9scan_implILNS1_25lookback_scan_determinismE0ELb0ELb0ES3_PlS8_lN6thrust23THRUST_200600_302600_NS4plusIvEElEEDaPvRmT3_T4_T5_mT6_P12ihipStream_tbENKUlT_T0_E_clISt17integral_constantIbLb1EESP_IbLb0EEEEDaSL_SM_EUlSL_E_NS1_11comp_targetILNS1_3genE8ELNS1_11target_archE1030ELNS1_3gpuE2ELNS1_3repE0EEENS1_30default_config_static_selectorELNS0_4arch9wavefront6targetE1EEEvT1_,"axG",@progbits,_ZN7rocprim17ROCPRIM_400000_NS6detail17trampoline_kernelINS0_14default_configENS1_20scan_config_selectorIlEEZZNS1_9scan_implILNS1_25lookback_scan_determinismE0ELb0ELb0ES3_PlS8_lN6thrust23THRUST_200600_302600_NS4plusIvEElEEDaPvRmT3_T4_T5_mT6_P12ihipStream_tbENKUlT_T0_E_clISt17integral_constantIbLb1EESP_IbLb0EEEEDaSL_SM_EUlSL_E_NS1_11comp_targetILNS1_3genE8ELNS1_11target_archE1030ELNS1_3gpuE2ELNS1_3repE0EEENS1_30default_config_static_selectorELNS0_4arch9wavefront6targetE1EEEvT1_,comdat
.Lfunc_end130:
	.size	_ZN7rocprim17ROCPRIM_400000_NS6detail17trampoline_kernelINS0_14default_configENS1_20scan_config_selectorIlEEZZNS1_9scan_implILNS1_25lookback_scan_determinismE0ELb0ELb0ES3_PlS8_lN6thrust23THRUST_200600_302600_NS4plusIvEElEEDaPvRmT3_T4_T5_mT6_P12ihipStream_tbENKUlT_T0_E_clISt17integral_constantIbLb1EESP_IbLb0EEEEDaSL_SM_EUlSL_E_NS1_11comp_targetILNS1_3genE8ELNS1_11target_archE1030ELNS1_3gpuE2ELNS1_3repE0EEENS1_30default_config_static_selectorELNS0_4arch9wavefront6targetE1EEEvT1_, .Lfunc_end130-_ZN7rocprim17ROCPRIM_400000_NS6detail17trampoline_kernelINS0_14default_configENS1_20scan_config_selectorIlEEZZNS1_9scan_implILNS1_25lookback_scan_determinismE0ELb0ELb0ES3_PlS8_lN6thrust23THRUST_200600_302600_NS4plusIvEElEEDaPvRmT3_T4_T5_mT6_P12ihipStream_tbENKUlT_T0_E_clISt17integral_constantIbLb1EESP_IbLb0EEEEDaSL_SM_EUlSL_E_NS1_11comp_targetILNS1_3genE8ELNS1_11target_archE1030ELNS1_3gpuE2ELNS1_3repE0EEENS1_30default_config_static_selectorELNS0_4arch9wavefront6targetE1EEEvT1_
                                        ; -- End function
	.section	.AMDGPU.csdata,"",@progbits
; Kernel info:
; codeLenInByte = 0
; NumSgprs: 4
; NumVgprs: 0
; NumAgprs: 0
; TotalNumVgprs: 0
; ScratchSize: 0
; MemoryBound: 0
; FloatMode: 240
; IeeeMode: 1
; LDSByteSize: 0 bytes/workgroup (compile time only)
; SGPRBlocks: 0
; VGPRBlocks: 0
; NumSGPRsForWavesPerEU: 4
; NumVGPRsForWavesPerEU: 1
; AccumOffset: 4
; Occupancy: 8
; WaveLimiterHint : 0
; COMPUTE_PGM_RSRC2:SCRATCH_EN: 0
; COMPUTE_PGM_RSRC2:USER_SGPR: 6
; COMPUTE_PGM_RSRC2:TRAP_HANDLER: 0
; COMPUTE_PGM_RSRC2:TGID_X_EN: 1
; COMPUTE_PGM_RSRC2:TGID_Y_EN: 0
; COMPUTE_PGM_RSRC2:TGID_Z_EN: 0
; COMPUTE_PGM_RSRC2:TIDIG_COMP_CNT: 0
; COMPUTE_PGM_RSRC3_GFX90A:ACCUM_OFFSET: 0
; COMPUTE_PGM_RSRC3_GFX90A:TG_SPLIT: 0
	.section	.text._ZN7rocprim17ROCPRIM_400000_NS6detail17trampoline_kernelINS0_14default_configENS1_20scan_config_selectorIlEEZZNS1_9scan_implILNS1_25lookback_scan_determinismE0ELb0ELb0ES3_PlS8_lN6thrust23THRUST_200600_302600_NS4plusIvEElEEDaPvRmT3_T4_T5_mT6_P12ihipStream_tbENKUlT_T0_E_clISt17integral_constantIbLb1EESP_IbLb0EEEEDaSL_SM_EUlSL_E0_NS1_11comp_targetILNS1_3genE0ELNS1_11target_archE4294967295ELNS1_3gpuE0ELNS1_3repE0EEENS1_30default_config_static_selectorELNS0_4arch9wavefront6targetE1EEEvT1_,"axG",@progbits,_ZN7rocprim17ROCPRIM_400000_NS6detail17trampoline_kernelINS0_14default_configENS1_20scan_config_selectorIlEEZZNS1_9scan_implILNS1_25lookback_scan_determinismE0ELb0ELb0ES3_PlS8_lN6thrust23THRUST_200600_302600_NS4plusIvEElEEDaPvRmT3_T4_T5_mT6_P12ihipStream_tbENKUlT_T0_E_clISt17integral_constantIbLb1EESP_IbLb0EEEEDaSL_SM_EUlSL_E0_NS1_11comp_targetILNS1_3genE0ELNS1_11target_archE4294967295ELNS1_3gpuE0ELNS1_3repE0EEENS1_30default_config_static_selectorELNS0_4arch9wavefront6targetE1EEEvT1_,comdat
	.protected	_ZN7rocprim17ROCPRIM_400000_NS6detail17trampoline_kernelINS0_14default_configENS1_20scan_config_selectorIlEEZZNS1_9scan_implILNS1_25lookback_scan_determinismE0ELb0ELb0ES3_PlS8_lN6thrust23THRUST_200600_302600_NS4plusIvEElEEDaPvRmT3_T4_T5_mT6_P12ihipStream_tbENKUlT_T0_E_clISt17integral_constantIbLb1EESP_IbLb0EEEEDaSL_SM_EUlSL_E0_NS1_11comp_targetILNS1_3genE0ELNS1_11target_archE4294967295ELNS1_3gpuE0ELNS1_3repE0EEENS1_30default_config_static_selectorELNS0_4arch9wavefront6targetE1EEEvT1_ ; -- Begin function _ZN7rocprim17ROCPRIM_400000_NS6detail17trampoline_kernelINS0_14default_configENS1_20scan_config_selectorIlEEZZNS1_9scan_implILNS1_25lookback_scan_determinismE0ELb0ELb0ES3_PlS8_lN6thrust23THRUST_200600_302600_NS4plusIvEElEEDaPvRmT3_T4_T5_mT6_P12ihipStream_tbENKUlT_T0_E_clISt17integral_constantIbLb1EESP_IbLb0EEEEDaSL_SM_EUlSL_E0_NS1_11comp_targetILNS1_3genE0ELNS1_11target_archE4294967295ELNS1_3gpuE0ELNS1_3repE0EEENS1_30default_config_static_selectorELNS0_4arch9wavefront6targetE1EEEvT1_
	.globl	_ZN7rocprim17ROCPRIM_400000_NS6detail17trampoline_kernelINS0_14default_configENS1_20scan_config_selectorIlEEZZNS1_9scan_implILNS1_25lookback_scan_determinismE0ELb0ELb0ES3_PlS8_lN6thrust23THRUST_200600_302600_NS4plusIvEElEEDaPvRmT3_T4_T5_mT6_P12ihipStream_tbENKUlT_T0_E_clISt17integral_constantIbLb1EESP_IbLb0EEEEDaSL_SM_EUlSL_E0_NS1_11comp_targetILNS1_3genE0ELNS1_11target_archE4294967295ELNS1_3gpuE0ELNS1_3repE0EEENS1_30default_config_static_selectorELNS0_4arch9wavefront6targetE1EEEvT1_
	.p2align	8
	.type	_ZN7rocprim17ROCPRIM_400000_NS6detail17trampoline_kernelINS0_14default_configENS1_20scan_config_selectorIlEEZZNS1_9scan_implILNS1_25lookback_scan_determinismE0ELb0ELb0ES3_PlS8_lN6thrust23THRUST_200600_302600_NS4plusIvEElEEDaPvRmT3_T4_T5_mT6_P12ihipStream_tbENKUlT_T0_E_clISt17integral_constantIbLb1EESP_IbLb0EEEEDaSL_SM_EUlSL_E0_NS1_11comp_targetILNS1_3genE0ELNS1_11target_archE4294967295ELNS1_3gpuE0ELNS1_3repE0EEENS1_30default_config_static_selectorELNS0_4arch9wavefront6targetE1EEEvT1_,@function
_ZN7rocprim17ROCPRIM_400000_NS6detail17trampoline_kernelINS0_14default_configENS1_20scan_config_selectorIlEEZZNS1_9scan_implILNS1_25lookback_scan_determinismE0ELb0ELb0ES3_PlS8_lN6thrust23THRUST_200600_302600_NS4plusIvEElEEDaPvRmT3_T4_T5_mT6_P12ihipStream_tbENKUlT_T0_E_clISt17integral_constantIbLb1EESP_IbLb0EEEEDaSL_SM_EUlSL_E0_NS1_11comp_targetILNS1_3genE0ELNS1_11target_archE4294967295ELNS1_3gpuE0ELNS1_3repE0EEENS1_30default_config_static_selectorELNS0_4arch9wavefront6targetE1EEEvT1_: ; @_ZN7rocprim17ROCPRIM_400000_NS6detail17trampoline_kernelINS0_14default_configENS1_20scan_config_selectorIlEEZZNS1_9scan_implILNS1_25lookback_scan_determinismE0ELb0ELb0ES3_PlS8_lN6thrust23THRUST_200600_302600_NS4plusIvEElEEDaPvRmT3_T4_T5_mT6_P12ihipStream_tbENKUlT_T0_E_clISt17integral_constantIbLb1EESP_IbLb0EEEEDaSL_SM_EUlSL_E0_NS1_11comp_targetILNS1_3genE0ELNS1_11target_archE4294967295ELNS1_3gpuE0ELNS1_3repE0EEENS1_30default_config_static_selectorELNS0_4arch9wavefront6targetE1EEEvT1_
; %bb.0:
	.section	.rodata,"a",@progbits
	.p2align	6, 0x0
	.amdhsa_kernel _ZN7rocprim17ROCPRIM_400000_NS6detail17trampoline_kernelINS0_14default_configENS1_20scan_config_selectorIlEEZZNS1_9scan_implILNS1_25lookback_scan_determinismE0ELb0ELb0ES3_PlS8_lN6thrust23THRUST_200600_302600_NS4plusIvEElEEDaPvRmT3_T4_T5_mT6_P12ihipStream_tbENKUlT_T0_E_clISt17integral_constantIbLb1EESP_IbLb0EEEEDaSL_SM_EUlSL_E0_NS1_11comp_targetILNS1_3genE0ELNS1_11target_archE4294967295ELNS1_3gpuE0ELNS1_3repE0EEENS1_30default_config_static_selectorELNS0_4arch9wavefront6targetE1EEEvT1_
		.amdhsa_group_segment_fixed_size 0
		.amdhsa_private_segment_fixed_size 0
		.amdhsa_kernarg_size 40
		.amdhsa_user_sgpr_count 6
		.amdhsa_user_sgpr_private_segment_buffer 1
		.amdhsa_user_sgpr_dispatch_ptr 0
		.amdhsa_user_sgpr_queue_ptr 0
		.amdhsa_user_sgpr_kernarg_segment_ptr 1
		.amdhsa_user_sgpr_dispatch_id 0
		.amdhsa_user_sgpr_flat_scratch_init 0
		.amdhsa_user_sgpr_kernarg_preload_length 0
		.amdhsa_user_sgpr_kernarg_preload_offset 0
		.amdhsa_user_sgpr_private_segment_size 0
		.amdhsa_uses_dynamic_stack 0
		.amdhsa_system_sgpr_private_segment_wavefront_offset 0
		.amdhsa_system_sgpr_workgroup_id_x 1
		.amdhsa_system_sgpr_workgroup_id_y 0
		.amdhsa_system_sgpr_workgroup_id_z 0
		.amdhsa_system_sgpr_workgroup_info 0
		.amdhsa_system_vgpr_workitem_id 0
		.amdhsa_next_free_vgpr 1
		.amdhsa_next_free_sgpr 0
		.amdhsa_accum_offset 4
		.amdhsa_reserve_vcc 0
		.amdhsa_reserve_flat_scratch 0
		.amdhsa_float_round_mode_32 0
		.amdhsa_float_round_mode_16_64 0
		.amdhsa_float_denorm_mode_32 3
		.amdhsa_float_denorm_mode_16_64 3
		.amdhsa_dx10_clamp 1
		.amdhsa_ieee_mode 1
		.amdhsa_fp16_overflow 0
		.amdhsa_tg_split 0
		.amdhsa_exception_fp_ieee_invalid_op 0
		.amdhsa_exception_fp_denorm_src 0
		.amdhsa_exception_fp_ieee_div_zero 0
		.amdhsa_exception_fp_ieee_overflow 0
		.amdhsa_exception_fp_ieee_underflow 0
		.amdhsa_exception_fp_ieee_inexact 0
		.amdhsa_exception_int_div_zero 0
	.end_amdhsa_kernel
	.section	.text._ZN7rocprim17ROCPRIM_400000_NS6detail17trampoline_kernelINS0_14default_configENS1_20scan_config_selectorIlEEZZNS1_9scan_implILNS1_25lookback_scan_determinismE0ELb0ELb0ES3_PlS8_lN6thrust23THRUST_200600_302600_NS4plusIvEElEEDaPvRmT3_T4_T5_mT6_P12ihipStream_tbENKUlT_T0_E_clISt17integral_constantIbLb1EESP_IbLb0EEEEDaSL_SM_EUlSL_E0_NS1_11comp_targetILNS1_3genE0ELNS1_11target_archE4294967295ELNS1_3gpuE0ELNS1_3repE0EEENS1_30default_config_static_selectorELNS0_4arch9wavefront6targetE1EEEvT1_,"axG",@progbits,_ZN7rocprim17ROCPRIM_400000_NS6detail17trampoline_kernelINS0_14default_configENS1_20scan_config_selectorIlEEZZNS1_9scan_implILNS1_25lookback_scan_determinismE0ELb0ELb0ES3_PlS8_lN6thrust23THRUST_200600_302600_NS4plusIvEElEEDaPvRmT3_T4_T5_mT6_P12ihipStream_tbENKUlT_T0_E_clISt17integral_constantIbLb1EESP_IbLb0EEEEDaSL_SM_EUlSL_E0_NS1_11comp_targetILNS1_3genE0ELNS1_11target_archE4294967295ELNS1_3gpuE0ELNS1_3repE0EEENS1_30default_config_static_selectorELNS0_4arch9wavefront6targetE1EEEvT1_,comdat
.Lfunc_end131:
	.size	_ZN7rocprim17ROCPRIM_400000_NS6detail17trampoline_kernelINS0_14default_configENS1_20scan_config_selectorIlEEZZNS1_9scan_implILNS1_25lookback_scan_determinismE0ELb0ELb0ES3_PlS8_lN6thrust23THRUST_200600_302600_NS4plusIvEElEEDaPvRmT3_T4_T5_mT6_P12ihipStream_tbENKUlT_T0_E_clISt17integral_constantIbLb1EESP_IbLb0EEEEDaSL_SM_EUlSL_E0_NS1_11comp_targetILNS1_3genE0ELNS1_11target_archE4294967295ELNS1_3gpuE0ELNS1_3repE0EEENS1_30default_config_static_selectorELNS0_4arch9wavefront6targetE1EEEvT1_, .Lfunc_end131-_ZN7rocprim17ROCPRIM_400000_NS6detail17trampoline_kernelINS0_14default_configENS1_20scan_config_selectorIlEEZZNS1_9scan_implILNS1_25lookback_scan_determinismE0ELb0ELb0ES3_PlS8_lN6thrust23THRUST_200600_302600_NS4plusIvEElEEDaPvRmT3_T4_T5_mT6_P12ihipStream_tbENKUlT_T0_E_clISt17integral_constantIbLb1EESP_IbLb0EEEEDaSL_SM_EUlSL_E0_NS1_11comp_targetILNS1_3genE0ELNS1_11target_archE4294967295ELNS1_3gpuE0ELNS1_3repE0EEENS1_30default_config_static_selectorELNS0_4arch9wavefront6targetE1EEEvT1_
                                        ; -- End function
	.section	.AMDGPU.csdata,"",@progbits
; Kernel info:
; codeLenInByte = 0
; NumSgprs: 4
; NumVgprs: 0
; NumAgprs: 0
; TotalNumVgprs: 0
; ScratchSize: 0
; MemoryBound: 0
; FloatMode: 240
; IeeeMode: 1
; LDSByteSize: 0 bytes/workgroup (compile time only)
; SGPRBlocks: 0
; VGPRBlocks: 0
; NumSGPRsForWavesPerEU: 4
; NumVGPRsForWavesPerEU: 1
; AccumOffset: 4
; Occupancy: 8
; WaveLimiterHint : 0
; COMPUTE_PGM_RSRC2:SCRATCH_EN: 0
; COMPUTE_PGM_RSRC2:USER_SGPR: 6
; COMPUTE_PGM_RSRC2:TRAP_HANDLER: 0
; COMPUTE_PGM_RSRC2:TGID_X_EN: 1
; COMPUTE_PGM_RSRC2:TGID_Y_EN: 0
; COMPUTE_PGM_RSRC2:TGID_Z_EN: 0
; COMPUTE_PGM_RSRC2:TIDIG_COMP_CNT: 0
; COMPUTE_PGM_RSRC3_GFX90A:ACCUM_OFFSET: 0
; COMPUTE_PGM_RSRC3_GFX90A:TG_SPLIT: 0
	.section	.text._ZN7rocprim17ROCPRIM_400000_NS6detail17trampoline_kernelINS0_14default_configENS1_20scan_config_selectorIlEEZZNS1_9scan_implILNS1_25lookback_scan_determinismE0ELb0ELb0ES3_PlS8_lN6thrust23THRUST_200600_302600_NS4plusIvEElEEDaPvRmT3_T4_T5_mT6_P12ihipStream_tbENKUlT_T0_E_clISt17integral_constantIbLb1EESP_IbLb0EEEEDaSL_SM_EUlSL_E0_NS1_11comp_targetILNS1_3genE5ELNS1_11target_archE942ELNS1_3gpuE9ELNS1_3repE0EEENS1_30default_config_static_selectorELNS0_4arch9wavefront6targetE1EEEvT1_,"axG",@progbits,_ZN7rocprim17ROCPRIM_400000_NS6detail17trampoline_kernelINS0_14default_configENS1_20scan_config_selectorIlEEZZNS1_9scan_implILNS1_25lookback_scan_determinismE0ELb0ELb0ES3_PlS8_lN6thrust23THRUST_200600_302600_NS4plusIvEElEEDaPvRmT3_T4_T5_mT6_P12ihipStream_tbENKUlT_T0_E_clISt17integral_constantIbLb1EESP_IbLb0EEEEDaSL_SM_EUlSL_E0_NS1_11comp_targetILNS1_3genE5ELNS1_11target_archE942ELNS1_3gpuE9ELNS1_3repE0EEENS1_30default_config_static_selectorELNS0_4arch9wavefront6targetE1EEEvT1_,comdat
	.protected	_ZN7rocprim17ROCPRIM_400000_NS6detail17trampoline_kernelINS0_14default_configENS1_20scan_config_selectorIlEEZZNS1_9scan_implILNS1_25lookback_scan_determinismE0ELb0ELb0ES3_PlS8_lN6thrust23THRUST_200600_302600_NS4plusIvEElEEDaPvRmT3_T4_T5_mT6_P12ihipStream_tbENKUlT_T0_E_clISt17integral_constantIbLb1EESP_IbLb0EEEEDaSL_SM_EUlSL_E0_NS1_11comp_targetILNS1_3genE5ELNS1_11target_archE942ELNS1_3gpuE9ELNS1_3repE0EEENS1_30default_config_static_selectorELNS0_4arch9wavefront6targetE1EEEvT1_ ; -- Begin function _ZN7rocprim17ROCPRIM_400000_NS6detail17trampoline_kernelINS0_14default_configENS1_20scan_config_selectorIlEEZZNS1_9scan_implILNS1_25lookback_scan_determinismE0ELb0ELb0ES3_PlS8_lN6thrust23THRUST_200600_302600_NS4plusIvEElEEDaPvRmT3_T4_T5_mT6_P12ihipStream_tbENKUlT_T0_E_clISt17integral_constantIbLb1EESP_IbLb0EEEEDaSL_SM_EUlSL_E0_NS1_11comp_targetILNS1_3genE5ELNS1_11target_archE942ELNS1_3gpuE9ELNS1_3repE0EEENS1_30default_config_static_selectorELNS0_4arch9wavefront6targetE1EEEvT1_
	.globl	_ZN7rocprim17ROCPRIM_400000_NS6detail17trampoline_kernelINS0_14default_configENS1_20scan_config_selectorIlEEZZNS1_9scan_implILNS1_25lookback_scan_determinismE0ELb0ELb0ES3_PlS8_lN6thrust23THRUST_200600_302600_NS4plusIvEElEEDaPvRmT3_T4_T5_mT6_P12ihipStream_tbENKUlT_T0_E_clISt17integral_constantIbLb1EESP_IbLb0EEEEDaSL_SM_EUlSL_E0_NS1_11comp_targetILNS1_3genE5ELNS1_11target_archE942ELNS1_3gpuE9ELNS1_3repE0EEENS1_30default_config_static_selectorELNS0_4arch9wavefront6targetE1EEEvT1_
	.p2align	8
	.type	_ZN7rocprim17ROCPRIM_400000_NS6detail17trampoline_kernelINS0_14default_configENS1_20scan_config_selectorIlEEZZNS1_9scan_implILNS1_25lookback_scan_determinismE0ELb0ELb0ES3_PlS8_lN6thrust23THRUST_200600_302600_NS4plusIvEElEEDaPvRmT3_T4_T5_mT6_P12ihipStream_tbENKUlT_T0_E_clISt17integral_constantIbLb1EESP_IbLb0EEEEDaSL_SM_EUlSL_E0_NS1_11comp_targetILNS1_3genE5ELNS1_11target_archE942ELNS1_3gpuE9ELNS1_3repE0EEENS1_30default_config_static_selectorELNS0_4arch9wavefront6targetE1EEEvT1_,@function
_ZN7rocprim17ROCPRIM_400000_NS6detail17trampoline_kernelINS0_14default_configENS1_20scan_config_selectorIlEEZZNS1_9scan_implILNS1_25lookback_scan_determinismE0ELb0ELb0ES3_PlS8_lN6thrust23THRUST_200600_302600_NS4plusIvEElEEDaPvRmT3_T4_T5_mT6_P12ihipStream_tbENKUlT_T0_E_clISt17integral_constantIbLb1EESP_IbLb0EEEEDaSL_SM_EUlSL_E0_NS1_11comp_targetILNS1_3genE5ELNS1_11target_archE942ELNS1_3gpuE9ELNS1_3repE0EEENS1_30default_config_static_selectorELNS0_4arch9wavefront6targetE1EEEvT1_: ; @_ZN7rocprim17ROCPRIM_400000_NS6detail17trampoline_kernelINS0_14default_configENS1_20scan_config_selectorIlEEZZNS1_9scan_implILNS1_25lookback_scan_determinismE0ELb0ELb0ES3_PlS8_lN6thrust23THRUST_200600_302600_NS4plusIvEElEEDaPvRmT3_T4_T5_mT6_P12ihipStream_tbENKUlT_T0_E_clISt17integral_constantIbLb1EESP_IbLb0EEEEDaSL_SM_EUlSL_E0_NS1_11comp_targetILNS1_3genE5ELNS1_11target_archE942ELNS1_3gpuE9ELNS1_3repE0EEENS1_30default_config_static_selectorELNS0_4arch9wavefront6targetE1EEEvT1_
; %bb.0:
	.section	.rodata,"a",@progbits
	.p2align	6, 0x0
	.amdhsa_kernel _ZN7rocprim17ROCPRIM_400000_NS6detail17trampoline_kernelINS0_14default_configENS1_20scan_config_selectorIlEEZZNS1_9scan_implILNS1_25lookback_scan_determinismE0ELb0ELb0ES3_PlS8_lN6thrust23THRUST_200600_302600_NS4plusIvEElEEDaPvRmT3_T4_T5_mT6_P12ihipStream_tbENKUlT_T0_E_clISt17integral_constantIbLb1EESP_IbLb0EEEEDaSL_SM_EUlSL_E0_NS1_11comp_targetILNS1_3genE5ELNS1_11target_archE942ELNS1_3gpuE9ELNS1_3repE0EEENS1_30default_config_static_selectorELNS0_4arch9wavefront6targetE1EEEvT1_
		.amdhsa_group_segment_fixed_size 0
		.amdhsa_private_segment_fixed_size 0
		.amdhsa_kernarg_size 40
		.amdhsa_user_sgpr_count 6
		.amdhsa_user_sgpr_private_segment_buffer 1
		.amdhsa_user_sgpr_dispatch_ptr 0
		.amdhsa_user_sgpr_queue_ptr 0
		.amdhsa_user_sgpr_kernarg_segment_ptr 1
		.amdhsa_user_sgpr_dispatch_id 0
		.amdhsa_user_sgpr_flat_scratch_init 0
		.amdhsa_user_sgpr_kernarg_preload_length 0
		.amdhsa_user_sgpr_kernarg_preload_offset 0
		.amdhsa_user_sgpr_private_segment_size 0
		.amdhsa_uses_dynamic_stack 0
		.amdhsa_system_sgpr_private_segment_wavefront_offset 0
		.amdhsa_system_sgpr_workgroup_id_x 1
		.amdhsa_system_sgpr_workgroup_id_y 0
		.amdhsa_system_sgpr_workgroup_id_z 0
		.amdhsa_system_sgpr_workgroup_info 0
		.amdhsa_system_vgpr_workitem_id 0
		.amdhsa_next_free_vgpr 1
		.amdhsa_next_free_sgpr 0
		.amdhsa_accum_offset 4
		.amdhsa_reserve_vcc 0
		.amdhsa_reserve_flat_scratch 0
		.amdhsa_float_round_mode_32 0
		.amdhsa_float_round_mode_16_64 0
		.amdhsa_float_denorm_mode_32 3
		.amdhsa_float_denorm_mode_16_64 3
		.amdhsa_dx10_clamp 1
		.amdhsa_ieee_mode 1
		.amdhsa_fp16_overflow 0
		.amdhsa_tg_split 0
		.amdhsa_exception_fp_ieee_invalid_op 0
		.amdhsa_exception_fp_denorm_src 0
		.amdhsa_exception_fp_ieee_div_zero 0
		.amdhsa_exception_fp_ieee_overflow 0
		.amdhsa_exception_fp_ieee_underflow 0
		.amdhsa_exception_fp_ieee_inexact 0
		.amdhsa_exception_int_div_zero 0
	.end_amdhsa_kernel
	.section	.text._ZN7rocprim17ROCPRIM_400000_NS6detail17trampoline_kernelINS0_14default_configENS1_20scan_config_selectorIlEEZZNS1_9scan_implILNS1_25lookback_scan_determinismE0ELb0ELb0ES3_PlS8_lN6thrust23THRUST_200600_302600_NS4plusIvEElEEDaPvRmT3_T4_T5_mT6_P12ihipStream_tbENKUlT_T0_E_clISt17integral_constantIbLb1EESP_IbLb0EEEEDaSL_SM_EUlSL_E0_NS1_11comp_targetILNS1_3genE5ELNS1_11target_archE942ELNS1_3gpuE9ELNS1_3repE0EEENS1_30default_config_static_selectorELNS0_4arch9wavefront6targetE1EEEvT1_,"axG",@progbits,_ZN7rocprim17ROCPRIM_400000_NS6detail17trampoline_kernelINS0_14default_configENS1_20scan_config_selectorIlEEZZNS1_9scan_implILNS1_25lookback_scan_determinismE0ELb0ELb0ES3_PlS8_lN6thrust23THRUST_200600_302600_NS4plusIvEElEEDaPvRmT3_T4_T5_mT6_P12ihipStream_tbENKUlT_T0_E_clISt17integral_constantIbLb1EESP_IbLb0EEEEDaSL_SM_EUlSL_E0_NS1_11comp_targetILNS1_3genE5ELNS1_11target_archE942ELNS1_3gpuE9ELNS1_3repE0EEENS1_30default_config_static_selectorELNS0_4arch9wavefront6targetE1EEEvT1_,comdat
.Lfunc_end132:
	.size	_ZN7rocprim17ROCPRIM_400000_NS6detail17trampoline_kernelINS0_14default_configENS1_20scan_config_selectorIlEEZZNS1_9scan_implILNS1_25lookback_scan_determinismE0ELb0ELb0ES3_PlS8_lN6thrust23THRUST_200600_302600_NS4plusIvEElEEDaPvRmT3_T4_T5_mT6_P12ihipStream_tbENKUlT_T0_E_clISt17integral_constantIbLb1EESP_IbLb0EEEEDaSL_SM_EUlSL_E0_NS1_11comp_targetILNS1_3genE5ELNS1_11target_archE942ELNS1_3gpuE9ELNS1_3repE0EEENS1_30default_config_static_selectorELNS0_4arch9wavefront6targetE1EEEvT1_, .Lfunc_end132-_ZN7rocprim17ROCPRIM_400000_NS6detail17trampoline_kernelINS0_14default_configENS1_20scan_config_selectorIlEEZZNS1_9scan_implILNS1_25lookback_scan_determinismE0ELb0ELb0ES3_PlS8_lN6thrust23THRUST_200600_302600_NS4plusIvEElEEDaPvRmT3_T4_T5_mT6_P12ihipStream_tbENKUlT_T0_E_clISt17integral_constantIbLb1EESP_IbLb0EEEEDaSL_SM_EUlSL_E0_NS1_11comp_targetILNS1_3genE5ELNS1_11target_archE942ELNS1_3gpuE9ELNS1_3repE0EEENS1_30default_config_static_selectorELNS0_4arch9wavefront6targetE1EEEvT1_
                                        ; -- End function
	.section	.AMDGPU.csdata,"",@progbits
; Kernel info:
; codeLenInByte = 0
; NumSgprs: 4
; NumVgprs: 0
; NumAgprs: 0
; TotalNumVgprs: 0
; ScratchSize: 0
; MemoryBound: 0
; FloatMode: 240
; IeeeMode: 1
; LDSByteSize: 0 bytes/workgroup (compile time only)
; SGPRBlocks: 0
; VGPRBlocks: 0
; NumSGPRsForWavesPerEU: 4
; NumVGPRsForWavesPerEU: 1
; AccumOffset: 4
; Occupancy: 8
; WaveLimiterHint : 0
; COMPUTE_PGM_RSRC2:SCRATCH_EN: 0
; COMPUTE_PGM_RSRC2:USER_SGPR: 6
; COMPUTE_PGM_RSRC2:TRAP_HANDLER: 0
; COMPUTE_PGM_RSRC2:TGID_X_EN: 1
; COMPUTE_PGM_RSRC2:TGID_Y_EN: 0
; COMPUTE_PGM_RSRC2:TGID_Z_EN: 0
; COMPUTE_PGM_RSRC2:TIDIG_COMP_CNT: 0
; COMPUTE_PGM_RSRC3_GFX90A:ACCUM_OFFSET: 0
; COMPUTE_PGM_RSRC3_GFX90A:TG_SPLIT: 0
	.section	.text._ZN7rocprim17ROCPRIM_400000_NS6detail17trampoline_kernelINS0_14default_configENS1_20scan_config_selectorIlEEZZNS1_9scan_implILNS1_25lookback_scan_determinismE0ELb0ELb0ES3_PlS8_lN6thrust23THRUST_200600_302600_NS4plusIvEElEEDaPvRmT3_T4_T5_mT6_P12ihipStream_tbENKUlT_T0_E_clISt17integral_constantIbLb1EESP_IbLb0EEEEDaSL_SM_EUlSL_E0_NS1_11comp_targetILNS1_3genE4ELNS1_11target_archE910ELNS1_3gpuE8ELNS1_3repE0EEENS1_30default_config_static_selectorELNS0_4arch9wavefront6targetE1EEEvT1_,"axG",@progbits,_ZN7rocprim17ROCPRIM_400000_NS6detail17trampoline_kernelINS0_14default_configENS1_20scan_config_selectorIlEEZZNS1_9scan_implILNS1_25lookback_scan_determinismE0ELb0ELb0ES3_PlS8_lN6thrust23THRUST_200600_302600_NS4plusIvEElEEDaPvRmT3_T4_T5_mT6_P12ihipStream_tbENKUlT_T0_E_clISt17integral_constantIbLb1EESP_IbLb0EEEEDaSL_SM_EUlSL_E0_NS1_11comp_targetILNS1_3genE4ELNS1_11target_archE910ELNS1_3gpuE8ELNS1_3repE0EEENS1_30default_config_static_selectorELNS0_4arch9wavefront6targetE1EEEvT1_,comdat
	.protected	_ZN7rocprim17ROCPRIM_400000_NS6detail17trampoline_kernelINS0_14default_configENS1_20scan_config_selectorIlEEZZNS1_9scan_implILNS1_25lookback_scan_determinismE0ELb0ELb0ES3_PlS8_lN6thrust23THRUST_200600_302600_NS4plusIvEElEEDaPvRmT3_T4_T5_mT6_P12ihipStream_tbENKUlT_T0_E_clISt17integral_constantIbLb1EESP_IbLb0EEEEDaSL_SM_EUlSL_E0_NS1_11comp_targetILNS1_3genE4ELNS1_11target_archE910ELNS1_3gpuE8ELNS1_3repE0EEENS1_30default_config_static_selectorELNS0_4arch9wavefront6targetE1EEEvT1_ ; -- Begin function _ZN7rocprim17ROCPRIM_400000_NS6detail17trampoline_kernelINS0_14default_configENS1_20scan_config_selectorIlEEZZNS1_9scan_implILNS1_25lookback_scan_determinismE0ELb0ELb0ES3_PlS8_lN6thrust23THRUST_200600_302600_NS4plusIvEElEEDaPvRmT3_T4_T5_mT6_P12ihipStream_tbENKUlT_T0_E_clISt17integral_constantIbLb1EESP_IbLb0EEEEDaSL_SM_EUlSL_E0_NS1_11comp_targetILNS1_3genE4ELNS1_11target_archE910ELNS1_3gpuE8ELNS1_3repE0EEENS1_30default_config_static_selectorELNS0_4arch9wavefront6targetE1EEEvT1_
	.globl	_ZN7rocprim17ROCPRIM_400000_NS6detail17trampoline_kernelINS0_14default_configENS1_20scan_config_selectorIlEEZZNS1_9scan_implILNS1_25lookback_scan_determinismE0ELb0ELb0ES3_PlS8_lN6thrust23THRUST_200600_302600_NS4plusIvEElEEDaPvRmT3_T4_T5_mT6_P12ihipStream_tbENKUlT_T0_E_clISt17integral_constantIbLb1EESP_IbLb0EEEEDaSL_SM_EUlSL_E0_NS1_11comp_targetILNS1_3genE4ELNS1_11target_archE910ELNS1_3gpuE8ELNS1_3repE0EEENS1_30default_config_static_selectorELNS0_4arch9wavefront6targetE1EEEvT1_
	.p2align	8
	.type	_ZN7rocprim17ROCPRIM_400000_NS6detail17trampoline_kernelINS0_14default_configENS1_20scan_config_selectorIlEEZZNS1_9scan_implILNS1_25lookback_scan_determinismE0ELb0ELb0ES3_PlS8_lN6thrust23THRUST_200600_302600_NS4plusIvEElEEDaPvRmT3_T4_T5_mT6_P12ihipStream_tbENKUlT_T0_E_clISt17integral_constantIbLb1EESP_IbLb0EEEEDaSL_SM_EUlSL_E0_NS1_11comp_targetILNS1_3genE4ELNS1_11target_archE910ELNS1_3gpuE8ELNS1_3repE0EEENS1_30default_config_static_selectorELNS0_4arch9wavefront6targetE1EEEvT1_,@function
_ZN7rocprim17ROCPRIM_400000_NS6detail17trampoline_kernelINS0_14default_configENS1_20scan_config_selectorIlEEZZNS1_9scan_implILNS1_25lookback_scan_determinismE0ELb0ELb0ES3_PlS8_lN6thrust23THRUST_200600_302600_NS4plusIvEElEEDaPvRmT3_T4_T5_mT6_P12ihipStream_tbENKUlT_T0_E_clISt17integral_constantIbLb1EESP_IbLb0EEEEDaSL_SM_EUlSL_E0_NS1_11comp_targetILNS1_3genE4ELNS1_11target_archE910ELNS1_3gpuE8ELNS1_3repE0EEENS1_30default_config_static_selectorELNS0_4arch9wavefront6targetE1EEEvT1_: ; @_ZN7rocprim17ROCPRIM_400000_NS6detail17trampoline_kernelINS0_14default_configENS1_20scan_config_selectorIlEEZZNS1_9scan_implILNS1_25lookback_scan_determinismE0ELb0ELb0ES3_PlS8_lN6thrust23THRUST_200600_302600_NS4plusIvEElEEDaPvRmT3_T4_T5_mT6_P12ihipStream_tbENKUlT_T0_E_clISt17integral_constantIbLb1EESP_IbLb0EEEEDaSL_SM_EUlSL_E0_NS1_11comp_targetILNS1_3genE4ELNS1_11target_archE910ELNS1_3gpuE8ELNS1_3repE0EEENS1_30default_config_static_selectorELNS0_4arch9wavefront6targetE1EEEvT1_
; %bb.0:
	s_load_dwordx4 s[16:19], s[4:5], 0x0
	v_lshlrev_b32_e32 v21, 3, v0
	s_waitcnt lgkmcnt(0)
	s_load_dwordx2 s[14:15], s[16:17], 0x0
	v_cmp_gt_u32_e32 vcc, s18, v0
	s_waitcnt lgkmcnt(0)
	v_pk_mov_b32 v[2:3], s[14:15], s[14:15] op_sel:[0,1]
	s_and_saveexec_b64 s[0:1], vcc
	s_cbranch_execz .LBB133_2
; %bb.1:
	global_load_dwordx2 v[2:3], v21, s[16:17]
.LBB133_2:
	s_or_b64 exec, exec, s[0:1]
	v_or_b32_e32 v1, 0x80, v0
	v_cmp_gt_u32_e64 s[0:1], s18, v1
	v_pk_mov_b32 v[4:5], s[14:15], s[14:15] op_sel:[0,1]
	s_and_saveexec_b64 s[2:3], s[0:1]
	s_cbranch_execz .LBB133_4
; %bb.3:
	global_load_dwordx2 v[4:5], v21, s[16:17] offset:1024
.LBB133_4:
	s_or_b64 exec, exec, s[2:3]
	v_or_b32_e32 v1, 0x100, v0
	v_cmp_gt_u32_e64 s[2:3], s18, v1
	v_pk_mov_b32 v[6:7], s[14:15], s[14:15] op_sel:[0,1]
	s_and_saveexec_b64 s[6:7], s[2:3]
	s_cbranch_execz .LBB133_6
; %bb.5:
	global_load_dwordx2 v[6:7], v21, s[16:17] offset:2048
.LBB133_6:
	;; [unrolled: 9-line block ×3, first 2 shown]
	s_or_b64 exec, exec, s[6:7]
	v_or_b32_e32 v1, 0x200, v0
	v_cmp_gt_u32_e64 s[6:7], s18, v1
	v_pk_mov_b32 v[10:11], s[14:15], s[14:15] op_sel:[0,1]
	s_and_saveexec_b64 s[8:9], s[6:7]
	s_cbranch_execz .LBB133_10
; %bb.9:
	v_lshlrev_b32_e32 v1, 3, v1
	global_load_dwordx2 v[10:11], v1, s[16:17]
.LBB133_10:
	s_or_b64 exec, exec, s[8:9]
	v_or_b32_e32 v1, 0x280, v0
	v_cmp_gt_u32_e64 s[8:9], s18, v1
	v_pk_mov_b32 v[12:13], s[14:15], s[14:15] op_sel:[0,1]
	s_and_saveexec_b64 s[10:11], s[8:9]
	s_cbranch_execz .LBB133_12
; %bb.11:
	v_lshlrev_b32_e32 v1, 3, v1
	global_load_dwordx2 v[12:13], v1, s[16:17]
.LBB133_12:
	;; [unrolled: 10-line block ×3, first 2 shown]
	s_or_b64 exec, exec, s[14:15]
	v_mad_u32_u24 v1, v0, 48, v21
	s_waitcnt vmcnt(0)
	ds_write2st64_b64 v21, v[2:3], v[4:5] offset1:2
	ds_write2st64_b64 v21, v[6:7], v[8:9] offset0:4 offset1:6
	ds_write2st64_b64 v21, v[10:11], v[12:13] offset0:8 offset1:10
	ds_write_b64 v21, v[14:15] offset:6144
	s_waitcnt lgkmcnt(0)
	s_barrier
	ds_read2_b64 v[2:5], v1 offset1:1
	ds_read2_b64 v[6:9], v1 offset0:2 offset1:3
	ds_read2_b64 v[10:13], v1 offset0:4 offset1:5
	ds_read_b64 v[28:29], v1 offset:48
	s_load_dwordx2 s[16:17], s[4:5], 0x20
	s_waitcnt lgkmcnt(0)
	v_add_co_u32_e64 v20, s[4:5], v4, v2
	v_addc_co_u32_e64 v1, s[4:5], v5, v3, s[4:5]
	v_add_co_u32_e64 v18, s[4:5], v20, v6
	v_addc_co_u32_e64 v19, s[4:5], v1, v7, s[4:5]
	;; [unrolled: 2-line block ×5, first 2 shown]
	v_add_co_u32_e64 v30, s[4:5], v26, v28
	v_lshrrev_b32_e32 v14, 2, v0
	v_addc_co_u32_e64 v31, s[4:5], v27, v29, s[4:5]
	v_and_b32_e32 v14, 24, v14
	v_add_u32_e32 v14, v21, v14
	v_cmp_gt_u32_e64 s[4:5], 64, v0
	s_barrier
	ds_write_b64 v14, v[30:31]
	s_waitcnt lgkmcnt(0)
	s_barrier
	s_and_saveexec_b64 s[18:19], s[4:5]
	s_cbranch_execz .LBB133_18
; %bb.15:
	v_lshlrev_b32_e32 v14, 1, v0
	v_lshrrev_b32_e32 v15, 4, v0
	v_add_lshl_u32 v32, v15, v14, 3
	ds_read2_b64 v[14:17], v32 offset1:1
	s_waitcnt lgkmcnt(0)
	v_add_co_u32_e64 v34, s[4:5], v16, v14
	v_addc_co_u32_e64 v35, s[4:5], v17, v15, s[4:5]
	s_nop 0
	v_mov_b32_dpp v17, v34 row_shr:1 row_mask:0xf bank_mask:0xf
	v_add_co_u32_e64 v17, s[4:5], v34, v17
	v_mbcnt_lo_u32_b32 v16, -1, 0
	v_addc_co_u32_e64 v37, s[4:5], 0, v35, s[4:5]
	v_mbcnt_hi_u32_b32 v33, -1, v16
	v_mov_b32_dpp v36, v35 row_shr:1 row_mask:0xf bank_mask:0xf
	v_add_co_u32_e64 v38, s[4:5], 0, v17
	v_and_b32_e32 v16, 15, v33
	v_addc_co_u32_e64 v36, s[4:5], v36, v37, s[4:5]
	v_cmp_eq_u32_e64 s[4:5], 0, v16
	v_cndmask_b32_e64 v17, v17, v34, s[4:5]
	v_cndmask_b32_e64 v36, v36, v35, s[4:5]
	v_cndmask_b32_e64 v37, v38, v34, s[4:5]
	v_mov_b32_dpp v38, v17 row_shr:2 row_mask:0xf bank_mask:0xf
	v_mov_b32_dpp v39, v36 row_shr:2 row_mask:0xf bank_mask:0xf
	v_add_co_u32_e64 v38, s[4:5], v38, v37
	v_addc_co_u32_e64 v39, s[4:5], v39, v36, s[4:5]
	v_cmp_lt_u32_e64 s[4:5], 1, v16
	v_cndmask_b32_e64 v17, v17, v38, s[4:5]
	v_cndmask_b32_e64 v36, v36, v39, s[4:5]
	v_cndmask_b32_e64 v37, v37, v38, s[4:5]
	v_mov_b32_dpp v38, v17 row_shr:4 row_mask:0xf bank_mask:0xf
	v_mov_b32_dpp v39, v36 row_shr:4 row_mask:0xf bank_mask:0xf
	v_add_co_u32_e64 v38, s[4:5], v38, v37
	v_addc_co_u32_e64 v39, s[4:5], v39, v36, s[4:5]
	v_cmp_lt_u32_e64 s[4:5], 3, v16
	;; [unrolled: 8-line block ×3, first 2 shown]
	v_cndmask_b32_e64 v40, v17, v38, s[4:5]
	v_cndmask_b32_e64 v17, v36, v39, s[4:5]
	;; [unrolled: 1-line block ×3, first 2 shown]
	v_mov_b32_dpp v36, v40 row_bcast:15 row_mask:0xf bank_mask:0xf
	v_mov_b32_dpp v37, v17 row_bcast:15 row_mask:0xf bank_mask:0xf
	v_add_co_u32_e64 v36, s[4:5], v36, v16
	v_and_b32_e32 v39, 16, v33
	v_addc_co_u32_e64 v38, s[4:5], v37, v17, s[4:5]
	v_cmp_eq_u32_e64 s[4:5], 0, v39
	v_cndmask_b32_e64 v39, v38, v17, s[4:5]
	v_cndmask_b32_e64 v37, v36, v40, s[4:5]
	v_cmp_ne_u32_e64 s[14:15], 0, v33
	v_mov_b32_dpp v39, v39 row_bcast:31 row_mask:0xf bank_mask:0xf
	v_mov_b32_dpp v37, v37 row_bcast:31 row_mask:0xf bank_mask:0xf
	s_and_saveexec_b64 s[20:21], s[14:15]
; %bb.16:
	v_cndmask_b32_e64 v17, v38, v17, s[4:5]
	v_cndmask_b32_e64 v16, v36, v16, s[4:5]
	v_cmp_lt_u32_e64 s[4:5], 31, v33
	v_cndmask_b32_e64 v34, 0, v37, s[4:5]
	v_cndmask_b32_e64 v35, 0, v39, s[4:5]
	v_add_co_u32_e64 v34, s[4:5], v34, v16
	v_addc_co_u32_e64 v35, s[4:5], v35, v17, s[4:5]
; %bb.17:
	s_or_b64 exec, exec, s[20:21]
	v_add_u32_e32 v16, -1, v33
	v_and_b32_e32 v17, 64, v33
	v_cmp_lt_i32_e64 s[4:5], v16, v17
	v_cndmask_b32_e64 v16, v16, v33, s[4:5]
	v_lshlrev_b32_e32 v16, 2, v16
	ds_bpermute_b32 v17, v16, v34
	ds_bpermute_b32 v16, v16, v35
	; wave barrier
	s_waitcnt lgkmcnt(1)
	v_add_co_u32_e64 v14, s[4:5], v14, v17
	v_addc_co_u32_e64 v15, s[4:5], 0, v15, s[4:5]
	v_add_co_u32_e64 v14, s[4:5], 0, v14
	s_waitcnt lgkmcnt(0)
	v_addc_co_u32_e64 v15, s[4:5], v15, v16, s[4:5]
	v_cmp_eq_u32_e64 s[4:5], 0, v0
	v_cndmask_b32_e64 v15, v15, v31, s[4:5]
	v_cndmask_b32_e64 v14, v14, v30, s[4:5]
	ds_write_b64 v32, v[14:15]
	; wave barrier
	ds_read_b64 v[16:17], v32 offset:8
	s_waitcnt lgkmcnt(0)
	v_add_co_u32_e64 v14, s[4:5], v16, v14
	v_addc_co_u32_e64 v15, s[4:5], v17, v15, s[4:5]
	ds_write_b64 v32, v[14:15] offset:8
.LBB133_18:
	s_or_b64 exec, exec, s[18:19]
	v_mul_u32_u24_e32 v16, 48, v0
	v_cmp_ne_u32_e64 s[4:5], 0, v0
	v_pk_mov_b32 v[14:15], v[30:31], v[30:31] op_sel:[0,1]
	s_waitcnt lgkmcnt(0)
	s_barrier
	s_and_saveexec_b64 s[14:15], s[4:5]
	s_cbranch_execz .LBB133_20
; %bb.19:
	v_add_u32_e32 v0, -1, v0
	v_lshrrev_b32_e32 v14, 5, v0
	v_add_lshl_u32 v0, v14, v0, 3
	ds_read_b64 v[14:15], v0
.LBB133_20:
	s_or_b64 exec, exec, s[14:15]
	s_and_saveexec_b64 s[14:15], s[4:5]
	s_cbranch_execz .LBB133_22
; %bb.21:
	s_waitcnt lgkmcnt(0)
	v_add_co_u32_e64 v2, s[4:5], v14, v2
	v_addc_co_u32_e64 v3, s[4:5], v15, v3, s[4:5]
	v_add_co_u32_e64 v20, s[4:5], v2, v4
	v_addc_co_u32_e64 v1, s[4:5], v3, v5, s[4:5]
	;; [unrolled: 2-line block ×7, first 2 shown]
	;;#ASMSTART
	;;#ASMEND
.LBB133_22:
	s_or_b64 exec, exec, s[14:15]
	v_add_u32_e32 v4, v21, v16
	v_mov_b32_e32 v0, v20
	s_waitcnt lgkmcnt(0)
	s_barrier
	ds_write2_b64 v4, v[2:3], v[0:1] offset1:1
	ds_write2_b64 v4, v[18:19], v[24:25] offset0:2 offset1:3
	ds_write2_b64 v4, v[22:23], v[26:27] offset0:4 offset1:5
	ds_write_b64 v4, v[30:31] offset:48
	s_waitcnt lgkmcnt(0)
	s_barrier
	ds_read2st64_b64 v[8:11], v21 offset0:2 offset1:4
	ds_read2st64_b64 v[4:7], v21 offset0:6 offset1:8
	;; [unrolled: 1-line block ×3, first 2 shown]
	v_mov_b32_e32 v13, s17
	v_add_co_u32_e64 v12, s[4:5], s16, v21
	v_addc_co_u32_e64 v13, s[4:5], 0, v13, s[4:5]
	s_and_saveexec_b64 s[4:5], vcc
	s_cbranch_execnz .LBB133_30
; %bb.23:
	s_or_b64 exec, exec, s[4:5]
	s_and_saveexec_b64 s[4:5], s[0:1]
	s_cbranch_execnz .LBB133_31
.LBB133_24:
	s_or_b64 exec, exec, s[4:5]
	s_and_saveexec_b64 s[0:1], s[2:3]
	s_cbranch_execnz .LBB133_32
.LBB133_25:
	s_or_b64 exec, exec, s[0:1]
	s_and_saveexec_b64 s[0:1], s[12:13]
	s_cbranch_execnz .LBB133_33
.LBB133_26:
	s_or_b64 exec, exec, s[0:1]
	s_and_saveexec_b64 s[0:1], s[6:7]
	s_cbranch_execnz .LBB133_34
.LBB133_27:
	s_or_b64 exec, exec, s[0:1]
	s_and_saveexec_b64 s[0:1], s[8:9]
	s_cbranch_execnz .LBB133_35
.LBB133_28:
	s_or_b64 exec, exec, s[0:1]
	s_and_saveexec_b64 s[0:1], s[10:11]
	s_cbranch_execnz .LBB133_36
.LBB133_29:
	s_endpgm
.LBB133_30:
	ds_read_b64 v[14:15], v21
	s_waitcnt lgkmcnt(0)
	global_store_dwordx2 v[12:13], v[14:15], off
	s_or_b64 exec, exec, s[4:5]
	s_and_saveexec_b64 s[4:5], s[0:1]
	s_cbranch_execz .LBB133_24
.LBB133_31:
	s_waitcnt lgkmcnt(2)
	global_store_dwordx2 v[12:13], v[8:9], off offset:1024
	s_or_b64 exec, exec, s[4:5]
	s_and_saveexec_b64 s[0:1], s[2:3]
	s_cbranch_execz .LBB133_25
.LBB133_32:
	s_waitcnt lgkmcnt(2)
	global_store_dwordx2 v[12:13], v[10:11], off offset:2048
	s_or_b64 exec, exec, s[0:1]
	s_and_saveexec_b64 s[0:1], s[12:13]
	s_cbranch_execz .LBB133_26
.LBB133_33:
	s_waitcnt lgkmcnt(1)
	global_store_dwordx2 v[12:13], v[4:5], off offset:3072
	s_or_b64 exec, exec, s[0:1]
	s_and_saveexec_b64 s[0:1], s[6:7]
	s_cbranch_execz .LBB133_27
.LBB133_34:
	s_waitcnt lgkmcnt(1)
	v_add_co_u32_e32 v4, vcc, 0x1000, v12
	v_addc_co_u32_e32 v5, vcc, 0, v13, vcc
	global_store_dwordx2 v[4:5], v[6:7], off
	s_or_b64 exec, exec, s[0:1]
	s_and_saveexec_b64 s[0:1], s[8:9]
	s_cbranch_execz .LBB133_28
.LBB133_35:
	s_waitcnt lgkmcnt(1)
	v_add_co_u32_e32 v4, vcc, 0x1000, v12
	v_addc_co_u32_e32 v5, vcc, 0, v13, vcc
	s_waitcnt lgkmcnt(0)
	global_store_dwordx2 v[4:5], v[0:1], off offset:1024
	s_or_b64 exec, exec, s[0:1]
	s_and_saveexec_b64 s[0:1], s[10:11]
	s_cbranch_execz .LBB133_29
.LBB133_36:
	s_waitcnt lgkmcnt(0)
	v_add_co_u32_e32 v0, vcc, 0x1000, v12
	v_addc_co_u32_e32 v1, vcc, 0, v13, vcc
	global_store_dwordx2 v[0:1], v[2:3], off offset:2048
	s_endpgm
	.section	.rodata,"a",@progbits
	.p2align	6, 0x0
	.amdhsa_kernel _ZN7rocprim17ROCPRIM_400000_NS6detail17trampoline_kernelINS0_14default_configENS1_20scan_config_selectorIlEEZZNS1_9scan_implILNS1_25lookback_scan_determinismE0ELb0ELb0ES3_PlS8_lN6thrust23THRUST_200600_302600_NS4plusIvEElEEDaPvRmT3_T4_T5_mT6_P12ihipStream_tbENKUlT_T0_E_clISt17integral_constantIbLb1EESP_IbLb0EEEEDaSL_SM_EUlSL_E0_NS1_11comp_targetILNS1_3genE4ELNS1_11target_archE910ELNS1_3gpuE8ELNS1_3repE0EEENS1_30default_config_static_selectorELNS0_4arch9wavefront6targetE1EEEvT1_
		.amdhsa_group_segment_fixed_size 7168
		.amdhsa_private_segment_fixed_size 0
		.amdhsa_kernarg_size 40
		.amdhsa_user_sgpr_count 6
		.amdhsa_user_sgpr_private_segment_buffer 1
		.amdhsa_user_sgpr_dispatch_ptr 0
		.amdhsa_user_sgpr_queue_ptr 0
		.amdhsa_user_sgpr_kernarg_segment_ptr 1
		.amdhsa_user_sgpr_dispatch_id 0
		.amdhsa_user_sgpr_flat_scratch_init 0
		.amdhsa_user_sgpr_kernarg_preload_length 0
		.amdhsa_user_sgpr_kernarg_preload_offset 0
		.amdhsa_user_sgpr_private_segment_size 0
		.amdhsa_uses_dynamic_stack 0
		.amdhsa_system_sgpr_private_segment_wavefront_offset 0
		.amdhsa_system_sgpr_workgroup_id_x 1
		.amdhsa_system_sgpr_workgroup_id_y 0
		.amdhsa_system_sgpr_workgroup_id_z 0
		.amdhsa_system_sgpr_workgroup_info 0
		.amdhsa_system_vgpr_workitem_id 0
		.amdhsa_next_free_vgpr 41
		.amdhsa_next_free_sgpr 22
		.amdhsa_accum_offset 44
		.amdhsa_reserve_vcc 1
		.amdhsa_reserve_flat_scratch 0
		.amdhsa_float_round_mode_32 0
		.amdhsa_float_round_mode_16_64 0
		.amdhsa_float_denorm_mode_32 3
		.amdhsa_float_denorm_mode_16_64 3
		.amdhsa_dx10_clamp 1
		.amdhsa_ieee_mode 1
		.amdhsa_fp16_overflow 0
		.amdhsa_tg_split 0
		.amdhsa_exception_fp_ieee_invalid_op 0
		.amdhsa_exception_fp_denorm_src 0
		.amdhsa_exception_fp_ieee_div_zero 0
		.amdhsa_exception_fp_ieee_overflow 0
		.amdhsa_exception_fp_ieee_underflow 0
		.amdhsa_exception_fp_ieee_inexact 0
		.amdhsa_exception_int_div_zero 0
	.end_amdhsa_kernel
	.section	.text._ZN7rocprim17ROCPRIM_400000_NS6detail17trampoline_kernelINS0_14default_configENS1_20scan_config_selectorIlEEZZNS1_9scan_implILNS1_25lookback_scan_determinismE0ELb0ELb0ES3_PlS8_lN6thrust23THRUST_200600_302600_NS4plusIvEElEEDaPvRmT3_T4_T5_mT6_P12ihipStream_tbENKUlT_T0_E_clISt17integral_constantIbLb1EESP_IbLb0EEEEDaSL_SM_EUlSL_E0_NS1_11comp_targetILNS1_3genE4ELNS1_11target_archE910ELNS1_3gpuE8ELNS1_3repE0EEENS1_30default_config_static_selectorELNS0_4arch9wavefront6targetE1EEEvT1_,"axG",@progbits,_ZN7rocprim17ROCPRIM_400000_NS6detail17trampoline_kernelINS0_14default_configENS1_20scan_config_selectorIlEEZZNS1_9scan_implILNS1_25lookback_scan_determinismE0ELb0ELb0ES3_PlS8_lN6thrust23THRUST_200600_302600_NS4plusIvEElEEDaPvRmT3_T4_T5_mT6_P12ihipStream_tbENKUlT_T0_E_clISt17integral_constantIbLb1EESP_IbLb0EEEEDaSL_SM_EUlSL_E0_NS1_11comp_targetILNS1_3genE4ELNS1_11target_archE910ELNS1_3gpuE8ELNS1_3repE0EEENS1_30default_config_static_selectorELNS0_4arch9wavefront6targetE1EEEvT1_,comdat
.Lfunc_end133:
	.size	_ZN7rocprim17ROCPRIM_400000_NS6detail17trampoline_kernelINS0_14default_configENS1_20scan_config_selectorIlEEZZNS1_9scan_implILNS1_25lookback_scan_determinismE0ELb0ELb0ES3_PlS8_lN6thrust23THRUST_200600_302600_NS4plusIvEElEEDaPvRmT3_T4_T5_mT6_P12ihipStream_tbENKUlT_T0_E_clISt17integral_constantIbLb1EESP_IbLb0EEEEDaSL_SM_EUlSL_E0_NS1_11comp_targetILNS1_3genE4ELNS1_11target_archE910ELNS1_3gpuE8ELNS1_3repE0EEENS1_30default_config_static_selectorELNS0_4arch9wavefront6targetE1EEEvT1_, .Lfunc_end133-_ZN7rocprim17ROCPRIM_400000_NS6detail17trampoline_kernelINS0_14default_configENS1_20scan_config_selectorIlEEZZNS1_9scan_implILNS1_25lookback_scan_determinismE0ELb0ELb0ES3_PlS8_lN6thrust23THRUST_200600_302600_NS4plusIvEElEEDaPvRmT3_T4_T5_mT6_P12ihipStream_tbENKUlT_T0_E_clISt17integral_constantIbLb1EESP_IbLb0EEEEDaSL_SM_EUlSL_E0_NS1_11comp_targetILNS1_3genE4ELNS1_11target_archE910ELNS1_3gpuE8ELNS1_3repE0EEENS1_30default_config_static_selectorELNS0_4arch9wavefront6targetE1EEEvT1_
                                        ; -- End function
	.section	.AMDGPU.csdata,"",@progbits
; Kernel info:
; codeLenInByte = 1804
; NumSgprs: 26
; NumVgprs: 41
; NumAgprs: 0
; TotalNumVgprs: 41
; ScratchSize: 0
; MemoryBound: 0
; FloatMode: 240
; IeeeMode: 1
; LDSByteSize: 7168 bytes/workgroup (compile time only)
; SGPRBlocks: 3
; VGPRBlocks: 5
; NumSGPRsForWavesPerEU: 26
; NumVGPRsForWavesPerEU: 41
; AccumOffset: 44
; Occupancy: 5
; WaveLimiterHint : 0
; COMPUTE_PGM_RSRC2:SCRATCH_EN: 0
; COMPUTE_PGM_RSRC2:USER_SGPR: 6
; COMPUTE_PGM_RSRC2:TRAP_HANDLER: 0
; COMPUTE_PGM_RSRC2:TGID_X_EN: 1
; COMPUTE_PGM_RSRC2:TGID_Y_EN: 0
; COMPUTE_PGM_RSRC2:TGID_Z_EN: 0
; COMPUTE_PGM_RSRC2:TIDIG_COMP_CNT: 0
; COMPUTE_PGM_RSRC3_GFX90A:ACCUM_OFFSET: 10
; COMPUTE_PGM_RSRC3_GFX90A:TG_SPLIT: 0
	.section	.text._ZN7rocprim17ROCPRIM_400000_NS6detail17trampoline_kernelINS0_14default_configENS1_20scan_config_selectorIlEEZZNS1_9scan_implILNS1_25lookback_scan_determinismE0ELb0ELb0ES3_PlS8_lN6thrust23THRUST_200600_302600_NS4plusIvEElEEDaPvRmT3_T4_T5_mT6_P12ihipStream_tbENKUlT_T0_E_clISt17integral_constantIbLb1EESP_IbLb0EEEEDaSL_SM_EUlSL_E0_NS1_11comp_targetILNS1_3genE3ELNS1_11target_archE908ELNS1_3gpuE7ELNS1_3repE0EEENS1_30default_config_static_selectorELNS0_4arch9wavefront6targetE1EEEvT1_,"axG",@progbits,_ZN7rocprim17ROCPRIM_400000_NS6detail17trampoline_kernelINS0_14default_configENS1_20scan_config_selectorIlEEZZNS1_9scan_implILNS1_25lookback_scan_determinismE0ELb0ELb0ES3_PlS8_lN6thrust23THRUST_200600_302600_NS4plusIvEElEEDaPvRmT3_T4_T5_mT6_P12ihipStream_tbENKUlT_T0_E_clISt17integral_constantIbLb1EESP_IbLb0EEEEDaSL_SM_EUlSL_E0_NS1_11comp_targetILNS1_3genE3ELNS1_11target_archE908ELNS1_3gpuE7ELNS1_3repE0EEENS1_30default_config_static_selectorELNS0_4arch9wavefront6targetE1EEEvT1_,comdat
	.protected	_ZN7rocprim17ROCPRIM_400000_NS6detail17trampoline_kernelINS0_14default_configENS1_20scan_config_selectorIlEEZZNS1_9scan_implILNS1_25lookback_scan_determinismE0ELb0ELb0ES3_PlS8_lN6thrust23THRUST_200600_302600_NS4plusIvEElEEDaPvRmT3_T4_T5_mT6_P12ihipStream_tbENKUlT_T0_E_clISt17integral_constantIbLb1EESP_IbLb0EEEEDaSL_SM_EUlSL_E0_NS1_11comp_targetILNS1_3genE3ELNS1_11target_archE908ELNS1_3gpuE7ELNS1_3repE0EEENS1_30default_config_static_selectorELNS0_4arch9wavefront6targetE1EEEvT1_ ; -- Begin function _ZN7rocprim17ROCPRIM_400000_NS6detail17trampoline_kernelINS0_14default_configENS1_20scan_config_selectorIlEEZZNS1_9scan_implILNS1_25lookback_scan_determinismE0ELb0ELb0ES3_PlS8_lN6thrust23THRUST_200600_302600_NS4plusIvEElEEDaPvRmT3_T4_T5_mT6_P12ihipStream_tbENKUlT_T0_E_clISt17integral_constantIbLb1EESP_IbLb0EEEEDaSL_SM_EUlSL_E0_NS1_11comp_targetILNS1_3genE3ELNS1_11target_archE908ELNS1_3gpuE7ELNS1_3repE0EEENS1_30default_config_static_selectorELNS0_4arch9wavefront6targetE1EEEvT1_
	.globl	_ZN7rocprim17ROCPRIM_400000_NS6detail17trampoline_kernelINS0_14default_configENS1_20scan_config_selectorIlEEZZNS1_9scan_implILNS1_25lookback_scan_determinismE0ELb0ELb0ES3_PlS8_lN6thrust23THRUST_200600_302600_NS4plusIvEElEEDaPvRmT3_T4_T5_mT6_P12ihipStream_tbENKUlT_T0_E_clISt17integral_constantIbLb1EESP_IbLb0EEEEDaSL_SM_EUlSL_E0_NS1_11comp_targetILNS1_3genE3ELNS1_11target_archE908ELNS1_3gpuE7ELNS1_3repE0EEENS1_30default_config_static_selectorELNS0_4arch9wavefront6targetE1EEEvT1_
	.p2align	8
	.type	_ZN7rocprim17ROCPRIM_400000_NS6detail17trampoline_kernelINS0_14default_configENS1_20scan_config_selectorIlEEZZNS1_9scan_implILNS1_25lookback_scan_determinismE0ELb0ELb0ES3_PlS8_lN6thrust23THRUST_200600_302600_NS4plusIvEElEEDaPvRmT3_T4_T5_mT6_P12ihipStream_tbENKUlT_T0_E_clISt17integral_constantIbLb1EESP_IbLb0EEEEDaSL_SM_EUlSL_E0_NS1_11comp_targetILNS1_3genE3ELNS1_11target_archE908ELNS1_3gpuE7ELNS1_3repE0EEENS1_30default_config_static_selectorELNS0_4arch9wavefront6targetE1EEEvT1_,@function
_ZN7rocprim17ROCPRIM_400000_NS6detail17trampoline_kernelINS0_14default_configENS1_20scan_config_selectorIlEEZZNS1_9scan_implILNS1_25lookback_scan_determinismE0ELb0ELb0ES3_PlS8_lN6thrust23THRUST_200600_302600_NS4plusIvEElEEDaPvRmT3_T4_T5_mT6_P12ihipStream_tbENKUlT_T0_E_clISt17integral_constantIbLb1EESP_IbLb0EEEEDaSL_SM_EUlSL_E0_NS1_11comp_targetILNS1_3genE3ELNS1_11target_archE908ELNS1_3gpuE7ELNS1_3repE0EEENS1_30default_config_static_selectorELNS0_4arch9wavefront6targetE1EEEvT1_: ; @_ZN7rocprim17ROCPRIM_400000_NS6detail17trampoline_kernelINS0_14default_configENS1_20scan_config_selectorIlEEZZNS1_9scan_implILNS1_25lookback_scan_determinismE0ELb0ELb0ES3_PlS8_lN6thrust23THRUST_200600_302600_NS4plusIvEElEEDaPvRmT3_T4_T5_mT6_P12ihipStream_tbENKUlT_T0_E_clISt17integral_constantIbLb1EESP_IbLb0EEEEDaSL_SM_EUlSL_E0_NS1_11comp_targetILNS1_3genE3ELNS1_11target_archE908ELNS1_3gpuE7ELNS1_3repE0EEENS1_30default_config_static_selectorELNS0_4arch9wavefront6targetE1EEEvT1_
; %bb.0:
	.section	.rodata,"a",@progbits
	.p2align	6, 0x0
	.amdhsa_kernel _ZN7rocprim17ROCPRIM_400000_NS6detail17trampoline_kernelINS0_14default_configENS1_20scan_config_selectorIlEEZZNS1_9scan_implILNS1_25lookback_scan_determinismE0ELb0ELb0ES3_PlS8_lN6thrust23THRUST_200600_302600_NS4plusIvEElEEDaPvRmT3_T4_T5_mT6_P12ihipStream_tbENKUlT_T0_E_clISt17integral_constantIbLb1EESP_IbLb0EEEEDaSL_SM_EUlSL_E0_NS1_11comp_targetILNS1_3genE3ELNS1_11target_archE908ELNS1_3gpuE7ELNS1_3repE0EEENS1_30default_config_static_selectorELNS0_4arch9wavefront6targetE1EEEvT1_
		.amdhsa_group_segment_fixed_size 0
		.amdhsa_private_segment_fixed_size 0
		.amdhsa_kernarg_size 40
		.amdhsa_user_sgpr_count 6
		.amdhsa_user_sgpr_private_segment_buffer 1
		.amdhsa_user_sgpr_dispatch_ptr 0
		.amdhsa_user_sgpr_queue_ptr 0
		.amdhsa_user_sgpr_kernarg_segment_ptr 1
		.amdhsa_user_sgpr_dispatch_id 0
		.amdhsa_user_sgpr_flat_scratch_init 0
		.amdhsa_user_sgpr_kernarg_preload_length 0
		.amdhsa_user_sgpr_kernarg_preload_offset 0
		.amdhsa_user_sgpr_private_segment_size 0
		.amdhsa_uses_dynamic_stack 0
		.amdhsa_system_sgpr_private_segment_wavefront_offset 0
		.amdhsa_system_sgpr_workgroup_id_x 1
		.amdhsa_system_sgpr_workgroup_id_y 0
		.amdhsa_system_sgpr_workgroup_id_z 0
		.amdhsa_system_sgpr_workgroup_info 0
		.amdhsa_system_vgpr_workitem_id 0
		.amdhsa_next_free_vgpr 1
		.amdhsa_next_free_sgpr 0
		.amdhsa_accum_offset 4
		.amdhsa_reserve_vcc 0
		.amdhsa_reserve_flat_scratch 0
		.amdhsa_float_round_mode_32 0
		.amdhsa_float_round_mode_16_64 0
		.amdhsa_float_denorm_mode_32 3
		.amdhsa_float_denorm_mode_16_64 3
		.amdhsa_dx10_clamp 1
		.amdhsa_ieee_mode 1
		.amdhsa_fp16_overflow 0
		.amdhsa_tg_split 0
		.amdhsa_exception_fp_ieee_invalid_op 0
		.amdhsa_exception_fp_denorm_src 0
		.amdhsa_exception_fp_ieee_div_zero 0
		.amdhsa_exception_fp_ieee_overflow 0
		.amdhsa_exception_fp_ieee_underflow 0
		.amdhsa_exception_fp_ieee_inexact 0
		.amdhsa_exception_int_div_zero 0
	.end_amdhsa_kernel
	.section	.text._ZN7rocprim17ROCPRIM_400000_NS6detail17trampoline_kernelINS0_14default_configENS1_20scan_config_selectorIlEEZZNS1_9scan_implILNS1_25lookback_scan_determinismE0ELb0ELb0ES3_PlS8_lN6thrust23THRUST_200600_302600_NS4plusIvEElEEDaPvRmT3_T4_T5_mT6_P12ihipStream_tbENKUlT_T0_E_clISt17integral_constantIbLb1EESP_IbLb0EEEEDaSL_SM_EUlSL_E0_NS1_11comp_targetILNS1_3genE3ELNS1_11target_archE908ELNS1_3gpuE7ELNS1_3repE0EEENS1_30default_config_static_selectorELNS0_4arch9wavefront6targetE1EEEvT1_,"axG",@progbits,_ZN7rocprim17ROCPRIM_400000_NS6detail17trampoline_kernelINS0_14default_configENS1_20scan_config_selectorIlEEZZNS1_9scan_implILNS1_25lookback_scan_determinismE0ELb0ELb0ES3_PlS8_lN6thrust23THRUST_200600_302600_NS4plusIvEElEEDaPvRmT3_T4_T5_mT6_P12ihipStream_tbENKUlT_T0_E_clISt17integral_constantIbLb1EESP_IbLb0EEEEDaSL_SM_EUlSL_E0_NS1_11comp_targetILNS1_3genE3ELNS1_11target_archE908ELNS1_3gpuE7ELNS1_3repE0EEENS1_30default_config_static_selectorELNS0_4arch9wavefront6targetE1EEEvT1_,comdat
.Lfunc_end134:
	.size	_ZN7rocprim17ROCPRIM_400000_NS6detail17trampoline_kernelINS0_14default_configENS1_20scan_config_selectorIlEEZZNS1_9scan_implILNS1_25lookback_scan_determinismE0ELb0ELb0ES3_PlS8_lN6thrust23THRUST_200600_302600_NS4plusIvEElEEDaPvRmT3_T4_T5_mT6_P12ihipStream_tbENKUlT_T0_E_clISt17integral_constantIbLb1EESP_IbLb0EEEEDaSL_SM_EUlSL_E0_NS1_11comp_targetILNS1_3genE3ELNS1_11target_archE908ELNS1_3gpuE7ELNS1_3repE0EEENS1_30default_config_static_selectorELNS0_4arch9wavefront6targetE1EEEvT1_, .Lfunc_end134-_ZN7rocprim17ROCPRIM_400000_NS6detail17trampoline_kernelINS0_14default_configENS1_20scan_config_selectorIlEEZZNS1_9scan_implILNS1_25lookback_scan_determinismE0ELb0ELb0ES3_PlS8_lN6thrust23THRUST_200600_302600_NS4plusIvEElEEDaPvRmT3_T4_T5_mT6_P12ihipStream_tbENKUlT_T0_E_clISt17integral_constantIbLb1EESP_IbLb0EEEEDaSL_SM_EUlSL_E0_NS1_11comp_targetILNS1_3genE3ELNS1_11target_archE908ELNS1_3gpuE7ELNS1_3repE0EEENS1_30default_config_static_selectorELNS0_4arch9wavefront6targetE1EEEvT1_
                                        ; -- End function
	.section	.AMDGPU.csdata,"",@progbits
; Kernel info:
; codeLenInByte = 0
; NumSgprs: 4
; NumVgprs: 0
; NumAgprs: 0
; TotalNumVgprs: 0
; ScratchSize: 0
; MemoryBound: 0
; FloatMode: 240
; IeeeMode: 1
; LDSByteSize: 0 bytes/workgroup (compile time only)
; SGPRBlocks: 0
; VGPRBlocks: 0
; NumSGPRsForWavesPerEU: 4
; NumVGPRsForWavesPerEU: 1
; AccumOffset: 4
; Occupancy: 8
; WaveLimiterHint : 0
; COMPUTE_PGM_RSRC2:SCRATCH_EN: 0
; COMPUTE_PGM_RSRC2:USER_SGPR: 6
; COMPUTE_PGM_RSRC2:TRAP_HANDLER: 0
; COMPUTE_PGM_RSRC2:TGID_X_EN: 1
; COMPUTE_PGM_RSRC2:TGID_Y_EN: 0
; COMPUTE_PGM_RSRC2:TGID_Z_EN: 0
; COMPUTE_PGM_RSRC2:TIDIG_COMP_CNT: 0
; COMPUTE_PGM_RSRC3_GFX90A:ACCUM_OFFSET: 0
; COMPUTE_PGM_RSRC3_GFX90A:TG_SPLIT: 0
	.section	.text._ZN7rocprim17ROCPRIM_400000_NS6detail17trampoline_kernelINS0_14default_configENS1_20scan_config_selectorIlEEZZNS1_9scan_implILNS1_25lookback_scan_determinismE0ELb0ELb0ES3_PlS8_lN6thrust23THRUST_200600_302600_NS4plusIvEElEEDaPvRmT3_T4_T5_mT6_P12ihipStream_tbENKUlT_T0_E_clISt17integral_constantIbLb1EESP_IbLb0EEEEDaSL_SM_EUlSL_E0_NS1_11comp_targetILNS1_3genE2ELNS1_11target_archE906ELNS1_3gpuE6ELNS1_3repE0EEENS1_30default_config_static_selectorELNS0_4arch9wavefront6targetE1EEEvT1_,"axG",@progbits,_ZN7rocprim17ROCPRIM_400000_NS6detail17trampoline_kernelINS0_14default_configENS1_20scan_config_selectorIlEEZZNS1_9scan_implILNS1_25lookback_scan_determinismE0ELb0ELb0ES3_PlS8_lN6thrust23THRUST_200600_302600_NS4plusIvEElEEDaPvRmT3_T4_T5_mT6_P12ihipStream_tbENKUlT_T0_E_clISt17integral_constantIbLb1EESP_IbLb0EEEEDaSL_SM_EUlSL_E0_NS1_11comp_targetILNS1_3genE2ELNS1_11target_archE906ELNS1_3gpuE6ELNS1_3repE0EEENS1_30default_config_static_selectorELNS0_4arch9wavefront6targetE1EEEvT1_,comdat
	.protected	_ZN7rocprim17ROCPRIM_400000_NS6detail17trampoline_kernelINS0_14default_configENS1_20scan_config_selectorIlEEZZNS1_9scan_implILNS1_25lookback_scan_determinismE0ELb0ELb0ES3_PlS8_lN6thrust23THRUST_200600_302600_NS4plusIvEElEEDaPvRmT3_T4_T5_mT6_P12ihipStream_tbENKUlT_T0_E_clISt17integral_constantIbLb1EESP_IbLb0EEEEDaSL_SM_EUlSL_E0_NS1_11comp_targetILNS1_3genE2ELNS1_11target_archE906ELNS1_3gpuE6ELNS1_3repE0EEENS1_30default_config_static_selectorELNS0_4arch9wavefront6targetE1EEEvT1_ ; -- Begin function _ZN7rocprim17ROCPRIM_400000_NS6detail17trampoline_kernelINS0_14default_configENS1_20scan_config_selectorIlEEZZNS1_9scan_implILNS1_25lookback_scan_determinismE0ELb0ELb0ES3_PlS8_lN6thrust23THRUST_200600_302600_NS4plusIvEElEEDaPvRmT3_T4_T5_mT6_P12ihipStream_tbENKUlT_T0_E_clISt17integral_constantIbLb1EESP_IbLb0EEEEDaSL_SM_EUlSL_E0_NS1_11comp_targetILNS1_3genE2ELNS1_11target_archE906ELNS1_3gpuE6ELNS1_3repE0EEENS1_30default_config_static_selectorELNS0_4arch9wavefront6targetE1EEEvT1_
	.globl	_ZN7rocprim17ROCPRIM_400000_NS6detail17trampoline_kernelINS0_14default_configENS1_20scan_config_selectorIlEEZZNS1_9scan_implILNS1_25lookback_scan_determinismE0ELb0ELb0ES3_PlS8_lN6thrust23THRUST_200600_302600_NS4plusIvEElEEDaPvRmT3_T4_T5_mT6_P12ihipStream_tbENKUlT_T0_E_clISt17integral_constantIbLb1EESP_IbLb0EEEEDaSL_SM_EUlSL_E0_NS1_11comp_targetILNS1_3genE2ELNS1_11target_archE906ELNS1_3gpuE6ELNS1_3repE0EEENS1_30default_config_static_selectorELNS0_4arch9wavefront6targetE1EEEvT1_
	.p2align	8
	.type	_ZN7rocprim17ROCPRIM_400000_NS6detail17trampoline_kernelINS0_14default_configENS1_20scan_config_selectorIlEEZZNS1_9scan_implILNS1_25lookback_scan_determinismE0ELb0ELb0ES3_PlS8_lN6thrust23THRUST_200600_302600_NS4plusIvEElEEDaPvRmT3_T4_T5_mT6_P12ihipStream_tbENKUlT_T0_E_clISt17integral_constantIbLb1EESP_IbLb0EEEEDaSL_SM_EUlSL_E0_NS1_11comp_targetILNS1_3genE2ELNS1_11target_archE906ELNS1_3gpuE6ELNS1_3repE0EEENS1_30default_config_static_selectorELNS0_4arch9wavefront6targetE1EEEvT1_,@function
_ZN7rocprim17ROCPRIM_400000_NS6detail17trampoline_kernelINS0_14default_configENS1_20scan_config_selectorIlEEZZNS1_9scan_implILNS1_25lookback_scan_determinismE0ELb0ELb0ES3_PlS8_lN6thrust23THRUST_200600_302600_NS4plusIvEElEEDaPvRmT3_T4_T5_mT6_P12ihipStream_tbENKUlT_T0_E_clISt17integral_constantIbLb1EESP_IbLb0EEEEDaSL_SM_EUlSL_E0_NS1_11comp_targetILNS1_3genE2ELNS1_11target_archE906ELNS1_3gpuE6ELNS1_3repE0EEENS1_30default_config_static_selectorELNS0_4arch9wavefront6targetE1EEEvT1_: ; @_ZN7rocprim17ROCPRIM_400000_NS6detail17trampoline_kernelINS0_14default_configENS1_20scan_config_selectorIlEEZZNS1_9scan_implILNS1_25lookback_scan_determinismE0ELb0ELb0ES3_PlS8_lN6thrust23THRUST_200600_302600_NS4plusIvEElEEDaPvRmT3_T4_T5_mT6_P12ihipStream_tbENKUlT_T0_E_clISt17integral_constantIbLb1EESP_IbLb0EEEEDaSL_SM_EUlSL_E0_NS1_11comp_targetILNS1_3genE2ELNS1_11target_archE906ELNS1_3gpuE6ELNS1_3repE0EEENS1_30default_config_static_selectorELNS0_4arch9wavefront6targetE1EEEvT1_
; %bb.0:
	.section	.rodata,"a",@progbits
	.p2align	6, 0x0
	.amdhsa_kernel _ZN7rocprim17ROCPRIM_400000_NS6detail17trampoline_kernelINS0_14default_configENS1_20scan_config_selectorIlEEZZNS1_9scan_implILNS1_25lookback_scan_determinismE0ELb0ELb0ES3_PlS8_lN6thrust23THRUST_200600_302600_NS4plusIvEElEEDaPvRmT3_T4_T5_mT6_P12ihipStream_tbENKUlT_T0_E_clISt17integral_constantIbLb1EESP_IbLb0EEEEDaSL_SM_EUlSL_E0_NS1_11comp_targetILNS1_3genE2ELNS1_11target_archE906ELNS1_3gpuE6ELNS1_3repE0EEENS1_30default_config_static_selectorELNS0_4arch9wavefront6targetE1EEEvT1_
		.amdhsa_group_segment_fixed_size 0
		.amdhsa_private_segment_fixed_size 0
		.amdhsa_kernarg_size 40
		.amdhsa_user_sgpr_count 6
		.amdhsa_user_sgpr_private_segment_buffer 1
		.amdhsa_user_sgpr_dispatch_ptr 0
		.amdhsa_user_sgpr_queue_ptr 0
		.amdhsa_user_sgpr_kernarg_segment_ptr 1
		.amdhsa_user_sgpr_dispatch_id 0
		.amdhsa_user_sgpr_flat_scratch_init 0
		.amdhsa_user_sgpr_kernarg_preload_length 0
		.amdhsa_user_sgpr_kernarg_preload_offset 0
		.amdhsa_user_sgpr_private_segment_size 0
		.amdhsa_uses_dynamic_stack 0
		.amdhsa_system_sgpr_private_segment_wavefront_offset 0
		.amdhsa_system_sgpr_workgroup_id_x 1
		.amdhsa_system_sgpr_workgroup_id_y 0
		.amdhsa_system_sgpr_workgroup_id_z 0
		.amdhsa_system_sgpr_workgroup_info 0
		.amdhsa_system_vgpr_workitem_id 0
		.amdhsa_next_free_vgpr 1
		.amdhsa_next_free_sgpr 0
		.amdhsa_accum_offset 4
		.amdhsa_reserve_vcc 0
		.amdhsa_reserve_flat_scratch 0
		.amdhsa_float_round_mode_32 0
		.amdhsa_float_round_mode_16_64 0
		.amdhsa_float_denorm_mode_32 3
		.amdhsa_float_denorm_mode_16_64 3
		.amdhsa_dx10_clamp 1
		.amdhsa_ieee_mode 1
		.amdhsa_fp16_overflow 0
		.amdhsa_tg_split 0
		.amdhsa_exception_fp_ieee_invalid_op 0
		.amdhsa_exception_fp_denorm_src 0
		.amdhsa_exception_fp_ieee_div_zero 0
		.amdhsa_exception_fp_ieee_overflow 0
		.amdhsa_exception_fp_ieee_underflow 0
		.amdhsa_exception_fp_ieee_inexact 0
		.amdhsa_exception_int_div_zero 0
	.end_amdhsa_kernel
	.section	.text._ZN7rocprim17ROCPRIM_400000_NS6detail17trampoline_kernelINS0_14default_configENS1_20scan_config_selectorIlEEZZNS1_9scan_implILNS1_25lookback_scan_determinismE0ELb0ELb0ES3_PlS8_lN6thrust23THRUST_200600_302600_NS4plusIvEElEEDaPvRmT3_T4_T5_mT6_P12ihipStream_tbENKUlT_T0_E_clISt17integral_constantIbLb1EESP_IbLb0EEEEDaSL_SM_EUlSL_E0_NS1_11comp_targetILNS1_3genE2ELNS1_11target_archE906ELNS1_3gpuE6ELNS1_3repE0EEENS1_30default_config_static_selectorELNS0_4arch9wavefront6targetE1EEEvT1_,"axG",@progbits,_ZN7rocprim17ROCPRIM_400000_NS6detail17trampoline_kernelINS0_14default_configENS1_20scan_config_selectorIlEEZZNS1_9scan_implILNS1_25lookback_scan_determinismE0ELb0ELb0ES3_PlS8_lN6thrust23THRUST_200600_302600_NS4plusIvEElEEDaPvRmT3_T4_T5_mT6_P12ihipStream_tbENKUlT_T0_E_clISt17integral_constantIbLb1EESP_IbLb0EEEEDaSL_SM_EUlSL_E0_NS1_11comp_targetILNS1_3genE2ELNS1_11target_archE906ELNS1_3gpuE6ELNS1_3repE0EEENS1_30default_config_static_selectorELNS0_4arch9wavefront6targetE1EEEvT1_,comdat
.Lfunc_end135:
	.size	_ZN7rocprim17ROCPRIM_400000_NS6detail17trampoline_kernelINS0_14default_configENS1_20scan_config_selectorIlEEZZNS1_9scan_implILNS1_25lookback_scan_determinismE0ELb0ELb0ES3_PlS8_lN6thrust23THRUST_200600_302600_NS4plusIvEElEEDaPvRmT3_T4_T5_mT6_P12ihipStream_tbENKUlT_T0_E_clISt17integral_constantIbLb1EESP_IbLb0EEEEDaSL_SM_EUlSL_E0_NS1_11comp_targetILNS1_3genE2ELNS1_11target_archE906ELNS1_3gpuE6ELNS1_3repE0EEENS1_30default_config_static_selectorELNS0_4arch9wavefront6targetE1EEEvT1_, .Lfunc_end135-_ZN7rocprim17ROCPRIM_400000_NS6detail17trampoline_kernelINS0_14default_configENS1_20scan_config_selectorIlEEZZNS1_9scan_implILNS1_25lookback_scan_determinismE0ELb0ELb0ES3_PlS8_lN6thrust23THRUST_200600_302600_NS4plusIvEElEEDaPvRmT3_T4_T5_mT6_P12ihipStream_tbENKUlT_T0_E_clISt17integral_constantIbLb1EESP_IbLb0EEEEDaSL_SM_EUlSL_E0_NS1_11comp_targetILNS1_3genE2ELNS1_11target_archE906ELNS1_3gpuE6ELNS1_3repE0EEENS1_30default_config_static_selectorELNS0_4arch9wavefront6targetE1EEEvT1_
                                        ; -- End function
	.section	.AMDGPU.csdata,"",@progbits
; Kernel info:
; codeLenInByte = 0
; NumSgprs: 4
; NumVgprs: 0
; NumAgprs: 0
; TotalNumVgprs: 0
; ScratchSize: 0
; MemoryBound: 0
; FloatMode: 240
; IeeeMode: 1
; LDSByteSize: 0 bytes/workgroup (compile time only)
; SGPRBlocks: 0
; VGPRBlocks: 0
; NumSGPRsForWavesPerEU: 4
; NumVGPRsForWavesPerEU: 1
; AccumOffset: 4
; Occupancy: 8
; WaveLimiterHint : 0
; COMPUTE_PGM_RSRC2:SCRATCH_EN: 0
; COMPUTE_PGM_RSRC2:USER_SGPR: 6
; COMPUTE_PGM_RSRC2:TRAP_HANDLER: 0
; COMPUTE_PGM_RSRC2:TGID_X_EN: 1
; COMPUTE_PGM_RSRC2:TGID_Y_EN: 0
; COMPUTE_PGM_RSRC2:TGID_Z_EN: 0
; COMPUTE_PGM_RSRC2:TIDIG_COMP_CNT: 0
; COMPUTE_PGM_RSRC3_GFX90A:ACCUM_OFFSET: 0
; COMPUTE_PGM_RSRC3_GFX90A:TG_SPLIT: 0
	.section	.text._ZN7rocprim17ROCPRIM_400000_NS6detail17trampoline_kernelINS0_14default_configENS1_20scan_config_selectorIlEEZZNS1_9scan_implILNS1_25lookback_scan_determinismE0ELb0ELb0ES3_PlS8_lN6thrust23THRUST_200600_302600_NS4plusIvEElEEDaPvRmT3_T4_T5_mT6_P12ihipStream_tbENKUlT_T0_E_clISt17integral_constantIbLb1EESP_IbLb0EEEEDaSL_SM_EUlSL_E0_NS1_11comp_targetILNS1_3genE10ELNS1_11target_archE1201ELNS1_3gpuE5ELNS1_3repE0EEENS1_30default_config_static_selectorELNS0_4arch9wavefront6targetE1EEEvT1_,"axG",@progbits,_ZN7rocprim17ROCPRIM_400000_NS6detail17trampoline_kernelINS0_14default_configENS1_20scan_config_selectorIlEEZZNS1_9scan_implILNS1_25lookback_scan_determinismE0ELb0ELb0ES3_PlS8_lN6thrust23THRUST_200600_302600_NS4plusIvEElEEDaPvRmT3_T4_T5_mT6_P12ihipStream_tbENKUlT_T0_E_clISt17integral_constantIbLb1EESP_IbLb0EEEEDaSL_SM_EUlSL_E0_NS1_11comp_targetILNS1_3genE10ELNS1_11target_archE1201ELNS1_3gpuE5ELNS1_3repE0EEENS1_30default_config_static_selectorELNS0_4arch9wavefront6targetE1EEEvT1_,comdat
	.protected	_ZN7rocprim17ROCPRIM_400000_NS6detail17trampoline_kernelINS0_14default_configENS1_20scan_config_selectorIlEEZZNS1_9scan_implILNS1_25lookback_scan_determinismE0ELb0ELb0ES3_PlS8_lN6thrust23THRUST_200600_302600_NS4plusIvEElEEDaPvRmT3_T4_T5_mT6_P12ihipStream_tbENKUlT_T0_E_clISt17integral_constantIbLb1EESP_IbLb0EEEEDaSL_SM_EUlSL_E0_NS1_11comp_targetILNS1_3genE10ELNS1_11target_archE1201ELNS1_3gpuE5ELNS1_3repE0EEENS1_30default_config_static_selectorELNS0_4arch9wavefront6targetE1EEEvT1_ ; -- Begin function _ZN7rocprim17ROCPRIM_400000_NS6detail17trampoline_kernelINS0_14default_configENS1_20scan_config_selectorIlEEZZNS1_9scan_implILNS1_25lookback_scan_determinismE0ELb0ELb0ES3_PlS8_lN6thrust23THRUST_200600_302600_NS4plusIvEElEEDaPvRmT3_T4_T5_mT6_P12ihipStream_tbENKUlT_T0_E_clISt17integral_constantIbLb1EESP_IbLb0EEEEDaSL_SM_EUlSL_E0_NS1_11comp_targetILNS1_3genE10ELNS1_11target_archE1201ELNS1_3gpuE5ELNS1_3repE0EEENS1_30default_config_static_selectorELNS0_4arch9wavefront6targetE1EEEvT1_
	.globl	_ZN7rocprim17ROCPRIM_400000_NS6detail17trampoline_kernelINS0_14default_configENS1_20scan_config_selectorIlEEZZNS1_9scan_implILNS1_25lookback_scan_determinismE0ELb0ELb0ES3_PlS8_lN6thrust23THRUST_200600_302600_NS4plusIvEElEEDaPvRmT3_T4_T5_mT6_P12ihipStream_tbENKUlT_T0_E_clISt17integral_constantIbLb1EESP_IbLb0EEEEDaSL_SM_EUlSL_E0_NS1_11comp_targetILNS1_3genE10ELNS1_11target_archE1201ELNS1_3gpuE5ELNS1_3repE0EEENS1_30default_config_static_selectorELNS0_4arch9wavefront6targetE1EEEvT1_
	.p2align	8
	.type	_ZN7rocprim17ROCPRIM_400000_NS6detail17trampoline_kernelINS0_14default_configENS1_20scan_config_selectorIlEEZZNS1_9scan_implILNS1_25lookback_scan_determinismE0ELb0ELb0ES3_PlS8_lN6thrust23THRUST_200600_302600_NS4plusIvEElEEDaPvRmT3_T4_T5_mT6_P12ihipStream_tbENKUlT_T0_E_clISt17integral_constantIbLb1EESP_IbLb0EEEEDaSL_SM_EUlSL_E0_NS1_11comp_targetILNS1_3genE10ELNS1_11target_archE1201ELNS1_3gpuE5ELNS1_3repE0EEENS1_30default_config_static_selectorELNS0_4arch9wavefront6targetE1EEEvT1_,@function
_ZN7rocprim17ROCPRIM_400000_NS6detail17trampoline_kernelINS0_14default_configENS1_20scan_config_selectorIlEEZZNS1_9scan_implILNS1_25lookback_scan_determinismE0ELb0ELb0ES3_PlS8_lN6thrust23THRUST_200600_302600_NS4plusIvEElEEDaPvRmT3_T4_T5_mT6_P12ihipStream_tbENKUlT_T0_E_clISt17integral_constantIbLb1EESP_IbLb0EEEEDaSL_SM_EUlSL_E0_NS1_11comp_targetILNS1_3genE10ELNS1_11target_archE1201ELNS1_3gpuE5ELNS1_3repE0EEENS1_30default_config_static_selectorELNS0_4arch9wavefront6targetE1EEEvT1_: ; @_ZN7rocprim17ROCPRIM_400000_NS6detail17trampoline_kernelINS0_14default_configENS1_20scan_config_selectorIlEEZZNS1_9scan_implILNS1_25lookback_scan_determinismE0ELb0ELb0ES3_PlS8_lN6thrust23THRUST_200600_302600_NS4plusIvEElEEDaPvRmT3_T4_T5_mT6_P12ihipStream_tbENKUlT_T0_E_clISt17integral_constantIbLb1EESP_IbLb0EEEEDaSL_SM_EUlSL_E0_NS1_11comp_targetILNS1_3genE10ELNS1_11target_archE1201ELNS1_3gpuE5ELNS1_3repE0EEENS1_30default_config_static_selectorELNS0_4arch9wavefront6targetE1EEEvT1_
; %bb.0:
	.section	.rodata,"a",@progbits
	.p2align	6, 0x0
	.amdhsa_kernel _ZN7rocprim17ROCPRIM_400000_NS6detail17trampoline_kernelINS0_14default_configENS1_20scan_config_selectorIlEEZZNS1_9scan_implILNS1_25lookback_scan_determinismE0ELb0ELb0ES3_PlS8_lN6thrust23THRUST_200600_302600_NS4plusIvEElEEDaPvRmT3_T4_T5_mT6_P12ihipStream_tbENKUlT_T0_E_clISt17integral_constantIbLb1EESP_IbLb0EEEEDaSL_SM_EUlSL_E0_NS1_11comp_targetILNS1_3genE10ELNS1_11target_archE1201ELNS1_3gpuE5ELNS1_3repE0EEENS1_30default_config_static_selectorELNS0_4arch9wavefront6targetE1EEEvT1_
		.amdhsa_group_segment_fixed_size 0
		.amdhsa_private_segment_fixed_size 0
		.amdhsa_kernarg_size 40
		.amdhsa_user_sgpr_count 6
		.amdhsa_user_sgpr_private_segment_buffer 1
		.amdhsa_user_sgpr_dispatch_ptr 0
		.amdhsa_user_sgpr_queue_ptr 0
		.amdhsa_user_sgpr_kernarg_segment_ptr 1
		.amdhsa_user_sgpr_dispatch_id 0
		.amdhsa_user_sgpr_flat_scratch_init 0
		.amdhsa_user_sgpr_kernarg_preload_length 0
		.amdhsa_user_sgpr_kernarg_preload_offset 0
		.amdhsa_user_sgpr_private_segment_size 0
		.amdhsa_uses_dynamic_stack 0
		.amdhsa_system_sgpr_private_segment_wavefront_offset 0
		.amdhsa_system_sgpr_workgroup_id_x 1
		.amdhsa_system_sgpr_workgroup_id_y 0
		.amdhsa_system_sgpr_workgroup_id_z 0
		.amdhsa_system_sgpr_workgroup_info 0
		.amdhsa_system_vgpr_workitem_id 0
		.amdhsa_next_free_vgpr 1
		.amdhsa_next_free_sgpr 0
		.amdhsa_accum_offset 4
		.amdhsa_reserve_vcc 0
		.amdhsa_reserve_flat_scratch 0
		.amdhsa_float_round_mode_32 0
		.amdhsa_float_round_mode_16_64 0
		.amdhsa_float_denorm_mode_32 3
		.amdhsa_float_denorm_mode_16_64 3
		.amdhsa_dx10_clamp 1
		.amdhsa_ieee_mode 1
		.amdhsa_fp16_overflow 0
		.amdhsa_tg_split 0
		.amdhsa_exception_fp_ieee_invalid_op 0
		.amdhsa_exception_fp_denorm_src 0
		.amdhsa_exception_fp_ieee_div_zero 0
		.amdhsa_exception_fp_ieee_overflow 0
		.amdhsa_exception_fp_ieee_underflow 0
		.amdhsa_exception_fp_ieee_inexact 0
		.amdhsa_exception_int_div_zero 0
	.end_amdhsa_kernel
	.section	.text._ZN7rocprim17ROCPRIM_400000_NS6detail17trampoline_kernelINS0_14default_configENS1_20scan_config_selectorIlEEZZNS1_9scan_implILNS1_25lookback_scan_determinismE0ELb0ELb0ES3_PlS8_lN6thrust23THRUST_200600_302600_NS4plusIvEElEEDaPvRmT3_T4_T5_mT6_P12ihipStream_tbENKUlT_T0_E_clISt17integral_constantIbLb1EESP_IbLb0EEEEDaSL_SM_EUlSL_E0_NS1_11comp_targetILNS1_3genE10ELNS1_11target_archE1201ELNS1_3gpuE5ELNS1_3repE0EEENS1_30default_config_static_selectorELNS0_4arch9wavefront6targetE1EEEvT1_,"axG",@progbits,_ZN7rocprim17ROCPRIM_400000_NS6detail17trampoline_kernelINS0_14default_configENS1_20scan_config_selectorIlEEZZNS1_9scan_implILNS1_25lookback_scan_determinismE0ELb0ELb0ES3_PlS8_lN6thrust23THRUST_200600_302600_NS4plusIvEElEEDaPvRmT3_T4_T5_mT6_P12ihipStream_tbENKUlT_T0_E_clISt17integral_constantIbLb1EESP_IbLb0EEEEDaSL_SM_EUlSL_E0_NS1_11comp_targetILNS1_3genE10ELNS1_11target_archE1201ELNS1_3gpuE5ELNS1_3repE0EEENS1_30default_config_static_selectorELNS0_4arch9wavefront6targetE1EEEvT1_,comdat
.Lfunc_end136:
	.size	_ZN7rocprim17ROCPRIM_400000_NS6detail17trampoline_kernelINS0_14default_configENS1_20scan_config_selectorIlEEZZNS1_9scan_implILNS1_25lookback_scan_determinismE0ELb0ELb0ES3_PlS8_lN6thrust23THRUST_200600_302600_NS4plusIvEElEEDaPvRmT3_T4_T5_mT6_P12ihipStream_tbENKUlT_T0_E_clISt17integral_constantIbLb1EESP_IbLb0EEEEDaSL_SM_EUlSL_E0_NS1_11comp_targetILNS1_3genE10ELNS1_11target_archE1201ELNS1_3gpuE5ELNS1_3repE0EEENS1_30default_config_static_selectorELNS0_4arch9wavefront6targetE1EEEvT1_, .Lfunc_end136-_ZN7rocprim17ROCPRIM_400000_NS6detail17trampoline_kernelINS0_14default_configENS1_20scan_config_selectorIlEEZZNS1_9scan_implILNS1_25lookback_scan_determinismE0ELb0ELb0ES3_PlS8_lN6thrust23THRUST_200600_302600_NS4plusIvEElEEDaPvRmT3_T4_T5_mT6_P12ihipStream_tbENKUlT_T0_E_clISt17integral_constantIbLb1EESP_IbLb0EEEEDaSL_SM_EUlSL_E0_NS1_11comp_targetILNS1_3genE10ELNS1_11target_archE1201ELNS1_3gpuE5ELNS1_3repE0EEENS1_30default_config_static_selectorELNS0_4arch9wavefront6targetE1EEEvT1_
                                        ; -- End function
	.section	.AMDGPU.csdata,"",@progbits
; Kernel info:
; codeLenInByte = 0
; NumSgprs: 4
; NumVgprs: 0
; NumAgprs: 0
; TotalNumVgprs: 0
; ScratchSize: 0
; MemoryBound: 0
; FloatMode: 240
; IeeeMode: 1
; LDSByteSize: 0 bytes/workgroup (compile time only)
; SGPRBlocks: 0
; VGPRBlocks: 0
; NumSGPRsForWavesPerEU: 4
; NumVGPRsForWavesPerEU: 1
; AccumOffset: 4
; Occupancy: 8
; WaveLimiterHint : 0
; COMPUTE_PGM_RSRC2:SCRATCH_EN: 0
; COMPUTE_PGM_RSRC2:USER_SGPR: 6
; COMPUTE_PGM_RSRC2:TRAP_HANDLER: 0
; COMPUTE_PGM_RSRC2:TGID_X_EN: 1
; COMPUTE_PGM_RSRC2:TGID_Y_EN: 0
; COMPUTE_PGM_RSRC2:TGID_Z_EN: 0
; COMPUTE_PGM_RSRC2:TIDIG_COMP_CNT: 0
; COMPUTE_PGM_RSRC3_GFX90A:ACCUM_OFFSET: 0
; COMPUTE_PGM_RSRC3_GFX90A:TG_SPLIT: 0
	.section	.text._ZN7rocprim17ROCPRIM_400000_NS6detail17trampoline_kernelINS0_14default_configENS1_20scan_config_selectorIlEEZZNS1_9scan_implILNS1_25lookback_scan_determinismE0ELb0ELb0ES3_PlS8_lN6thrust23THRUST_200600_302600_NS4plusIvEElEEDaPvRmT3_T4_T5_mT6_P12ihipStream_tbENKUlT_T0_E_clISt17integral_constantIbLb1EESP_IbLb0EEEEDaSL_SM_EUlSL_E0_NS1_11comp_targetILNS1_3genE10ELNS1_11target_archE1200ELNS1_3gpuE4ELNS1_3repE0EEENS1_30default_config_static_selectorELNS0_4arch9wavefront6targetE1EEEvT1_,"axG",@progbits,_ZN7rocprim17ROCPRIM_400000_NS6detail17trampoline_kernelINS0_14default_configENS1_20scan_config_selectorIlEEZZNS1_9scan_implILNS1_25lookback_scan_determinismE0ELb0ELb0ES3_PlS8_lN6thrust23THRUST_200600_302600_NS4plusIvEElEEDaPvRmT3_T4_T5_mT6_P12ihipStream_tbENKUlT_T0_E_clISt17integral_constantIbLb1EESP_IbLb0EEEEDaSL_SM_EUlSL_E0_NS1_11comp_targetILNS1_3genE10ELNS1_11target_archE1200ELNS1_3gpuE4ELNS1_3repE0EEENS1_30default_config_static_selectorELNS0_4arch9wavefront6targetE1EEEvT1_,comdat
	.protected	_ZN7rocprim17ROCPRIM_400000_NS6detail17trampoline_kernelINS0_14default_configENS1_20scan_config_selectorIlEEZZNS1_9scan_implILNS1_25lookback_scan_determinismE0ELb0ELb0ES3_PlS8_lN6thrust23THRUST_200600_302600_NS4plusIvEElEEDaPvRmT3_T4_T5_mT6_P12ihipStream_tbENKUlT_T0_E_clISt17integral_constantIbLb1EESP_IbLb0EEEEDaSL_SM_EUlSL_E0_NS1_11comp_targetILNS1_3genE10ELNS1_11target_archE1200ELNS1_3gpuE4ELNS1_3repE0EEENS1_30default_config_static_selectorELNS0_4arch9wavefront6targetE1EEEvT1_ ; -- Begin function _ZN7rocprim17ROCPRIM_400000_NS6detail17trampoline_kernelINS0_14default_configENS1_20scan_config_selectorIlEEZZNS1_9scan_implILNS1_25lookback_scan_determinismE0ELb0ELb0ES3_PlS8_lN6thrust23THRUST_200600_302600_NS4plusIvEElEEDaPvRmT3_T4_T5_mT6_P12ihipStream_tbENKUlT_T0_E_clISt17integral_constantIbLb1EESP_IbLb0EEEEDaSL_SM_EUlSL_E0_NS1_11comp_targetILNS1_3genE10ELNS1_11target_archE1200ELNS1_3gpuE4ELNS1_3repE0EEENS1_30default_config_static_selectorELNS0_4arch9wavefront6targetE1EEEvT1_
	.globl	_ZN7rocprim17ROCPRIM_400000_NS6detail17trampoline_kernelINS0_14default_configENS1_20scan_config_selectorIlEEZZNS1_9scan_implILNS1_25lookback_scan_determinismE0ELb0ELb0ES3_PlS8_lN6thrust23THRUST_200600_302600_NS4plusIvEElEEDaPvRmT3_T4_T5_mT6_P12ihipStream_tbENKUlT_T0_E_clISt17integral_constantIbLb1EESP_IbLb0EEEEDaSL_SM_EUlSL_E0_NS1_11comp_targetILNS1_3genE10ELNS1_11target_archE1200ELNS1_3gpuE4ELNS1_3repE0EEENS1_30default_config_static_selectorELNS0_4arch9wavefront6targetE1EEEvT1_
	.p2align	8
	.type	_ZN7rocprim17ROCPRIM_400000_NS6detail17trampoline_kernelINS0_14default_configENS1_20scan_config_selectorIlEEZZNS1_9scan_implILNS1_25lookback_scan_determinismE0ELb0ELb0ES3_PlS8_lN6thrust23THRUST_200600_302600_NS4plusIvEElEEDaPvRmT3_T4_T5_mT6_P12ihipStream_tbENKUlT_T0_E_clISt17integral_constantIbLb1EESP_IbLb0EEEEDaSL_SM_EUlSL_E0_NS1_11comp_targetILNS1_3genE10ELNS1_11target_archE1200ELNS1_3gpuE4ELNS1_3repE0EEENS1_30default_config_static_selectorELNS0_4arch9wavefront6targetE1EEEvT1_,@function
_ZN7rocprim17ROCPRIM_400000_NS6detail17trampoline_kernelINS0_14default_configENS1_20scan_config_selectorIlEEZZNS1_9scan_implILNS1_25lookback_scan_determinismE0ELb0ELb0ES3_PlS8_lN6thrust23THRUST_200600_302600_NS4plusIvEElEEDaPvRmT3_T4_T5_mT6_P12ihipStream_tbENKUlT_T0_E_clISt17integral_constantIbLb1EESP_IbLb0EEEEDaSL_SM_EUlSL_E0_NS1_11comp_targetILNS1_3genE10ELNS1_11target_archE1200ELNS1_3gpuE4ELNS1_3repE0EEENS1_30default_config_static_selectorELNS0_4arch9wavefront6targetE1EEEvT1_: ; @_ZN7rocprim17ROCPRIM_400000_NS6detail17trampoline_kernelINS0_14default_configENS1_20scan_config_selectorIlEEZZNS1_9scan_implILNS1_25lookback_scan_determinismE0ELb0ELb0ES3_PlS8_lN6thrust23THRUST_200600_302600_NS4plusIvEElEEDaPvRmT3_T4_T5_mT6_P12ihipStream_tbENKUlT_T0_E_clISt17integral_constantIbLb1EESP_IbLb0EEEEDaSL_SM_EUlSL_E0_NS1_11comp_targetILNS1_3genE10ELNS1_11target_archE1200ELNS1_3gpuE4ELNS1_3repE0EEENS1_30default_config_static_selectorELNS0_4arch9wavefront6targetE1EEEvT1_
; %bb.0:
	.section	.rodata,"a",@progbits
	.p2align	6, 0x0
	.amdhsa_kernel _ZN7rocprim17ROCPRIM_400000_NS6detail17trampoline_kernelINS0_14default_configENS1_20scan_config_selectorIlEEZZNS1_9scan_implILNS1_25lookback_scan_determinismE0ELb0ELb0ES3_PlS8_lN6thrust23THRUST_200600_302600_NS4plusIvEElEEDaPvRmT3_T4_T5_mT6_P12ihipStream_tbENKUlT_T0_E_clISt17integral_constantIbLb1EESP_IbLb0EEEEDaSL_SM_EUlSL_E0_NS1_11comp_targetILNS1_3genE10ELNS1_11target_archE1200ELNS1_3gpuE4ELNS1_3repE0EEENS1_30default_config_static_selectorELNS0_4arch9wavefront6targetE1EEEvT1_
		.amdhsa_group_segment_fixed_size 0
		.amdhsa_private_segment_fixed_size 0
		.amdhsa_kernarg_size 40
		.amdhsa_user_sgpr_count 6
		.amdhsa_user_sgpr_private_segment_buffer 1
		.amdhsa_user_sgpr_dispatch_ptr 0
		.amdhsa_user_sgpr_queue_ptr 0
		.amdhsa_user_sgpr_kernarg_segment_ptr 1
		.amdhsa_user_sgpr_dispatch_id 0
		.amdhsa_user_sgpr_flat_scratch_init 0
		.amdhsa_user_sgpr_kernarg_preload_length 0
		.amdhsa_user_sgpr_kernarg_preload_offset 0
		.amdhsa_user_sgpr_private_segment_size 0
		.amdhsa_uses_dynamic_stack 0
		.amdhsa_system_sgpr_private_segment_wavefront_offset 0
		.amdhsa_system_sgpr_workgroup_id_x 1
		.amdhsa_system_sgpr_workgroup_id_y 0
		.amdhsa_system_sgpr_workgroup_id_z 0
		.amdhsa_system_sgpr_workgroup_info 0
		.amdhsa_system_vgpr_workitem_id 0
		.amdhsa_next_free_vgpr 1
		.amdhsa_next_free_sgpr 0
		.amdhsa_accum_offset 4
		.amdhsa_reserve_vcc 0
		.amdhsa_reserve_flat_scratch 0
		.amdhsa_float_round_mode_32 0
		.amdhsa_float_round_mode_16_64 0
		.amdhsa_float_denorm_mode_32 3
		.amdhsa_float_denorm_mode_16_64 3
		.amdhsa_dx10_clamp 1
		.amdhsa_ieee_mode 1
		.amdhsa_fp16_overflow 0
		.amdhsa_tg_split 0
		.amdhsa_exception_fp_ieee_invalid_op 0
		.amdhsa_exception_fp_denorm_src 0
		.amdhsa_exception_fp_ieee_div_zero 0
		.amdhsa_exception_fp_ieee_overflow 0
		.amdhsa_exception_fp_ieee_underflow 0
		.amdhsa_exception_fp_ieee_inexact 0
		.amdhsa_exception_int_div_zero 0
	.end_amdhsa_kernel
	.section	.text._ZN7rocprim17ROCPRIM_400000_NS6detail17trampoline_kernelINS0_14default_configENS1_20scan_config_selectorIlEEZZNS1_9scan_implILNS1_25lookback_scan_determinismE0ELb0ELb0ES3_PlS8_lN6thrust23THRUST_200600_302600_NS4plusIvEElEEDaPvRmT3_T4_T5_mT6_P12ihipStream_tbENKUlT_T0_E_clISt17integral_constantIbLb1EESP_IbLb0EEEEDaSL_SM_EUlSL_E0_NS1_11comp_targetILNS1_3genE10ELNS1_11target_archE1200ELNS1_3gpuE4ELNS1_3repE0EEENS1_30default_config_static_selectorELNS0_4arch9wavefront6targetE1EEEvT1_,"axG",@progbits,_ZN7rocprim17ROCPRIM_400000_NS6detail17trampoline_kernelINS0_14default_configENS1_20scan_config_selectorIlEEZZNS1_9scan_implILNS1_25lookback_scan_determinismE0ELb0ELb0ES3_PlS8_lN6thrust23THRUST_200600_302600_NS4plusIvEElEEDaPvRmT3_T4_T5_mT6_P12ihipStream_tbENKUlT_T0_E_clISt17integral_constantIbLb1EESP_IbLb0EEEEDaSL_SM_EUlSL_E0_NS1_11comp_targetILNS1_3genE10ELNS1_11target_archE1200ELNS1_3gpuE4ELNS1_3repE0EEENS1_30default_config_static_selectorELNS0_4arch9wavefront6targetE1EEEvT1_,comdat
.Lfunc_end137:
	.size	_ZN7rocprim17ROCPRIM_400000_NS6detail17trampoline_kernelINS0_14default_configENS1_20scan_config_selectorIlEEZZNS1_9scan_implILNS1_25lookback_scan_determinismE0ELb0ELb0ES3_PlS8_lN6thrust23THRUST_200600_302600_NS4plusIvEElEEDaPvRmT3_T4_T5_mT6_P12ihipStream_tbENKUlT_T0_E_clISt17integral_constantIbLb1EESP_IbLb0EEEEDaSL_SM_EUlSL_E0_NS1_11comp_targetILNS1_3genE10ELNS1_11target_archE1200ELNS1_3gpuE4ELNS1_3repE0EEENS1_30default_config_static_selectorELNS0_4arch9wavefront6targetE1EEEvT1_, .Lfunc_end137-_ZN7rocprim17ROCPRIM_400000_NS6detail17trampoline_kernelINS0_14default_configENS1_20scan_config_selectorIlEEZZNS1_9scan_implILNS1_25lookback_scan_determinismE0ELb0ELb0ES3_PlS8_lN6thrust23THRUST_200600_302600_NS4plusIvEElEEDaPvRmT3_T4_T5_mT6_P12ihipStream_tbENKUlT_T0_E_clISt17integral_constantIbLb1EESP_IbLb0EEEEDaSL_SM_EUlSL_E0_NS1_11comp_targetILNS1_3genE10ELNS1_11target_archE1200ELNS1_3gpuE4ELNS1_3repE0EEENS1_30default_config_static_selectorELNS0_4arch9wavefront6targetE1EEEvT1_
                                        ; -- End function
	.section	.AMDGPU.csdata,"",@progbits
; Kernel info:
; codeLenInByte = 0
; NumSgprs: 4
; NumVgprs: 0
; NumAgprs: 0
; TotalNumVgprs: 0
; ScratchSize: 0
; MemoryBound: 0
; FloatMode: 240
; IeeeMode: 1
; LDSByteSize: 0 bytes/workgroup (compile time only)
; SGPRBlocks: 0
; VGPRBlocks: 0
; NumSGPRsForWavesPerEU: 4
; NumVGPRsForWavesPerEU: 1
; AccumOffset: 4
; Occupancy: 8
; WaveLimiterHint : 0
; COMPUTE_PGM_RSRC2:SCRATCH_EN: 0
; COMPUTE_PGM_RSRC2:USER_SGPR: 6
; COMPUTE_PGM_RSRC2:TRAP_HANDLER: 0
; COMPUTE_PGM_RSRC2:TGID_X_EN: 1
; COMPUTE_PGM_RSRC2:TGID_Y_EN: 0
; COMPUTE_PGM_RSRC2:TGID_Z_EN: 0
; COMPUTE_PGM_RSRC2:TIDIG_COMP_CNT: 0
; COMPUTE_PGM_RSRC3_GFX90A:ACCUM_OFFSET: 0
; COMPUTE_PGM_RSRC3_GFX90A:TG_SPLIT: 0
	.section	.text._ZN7rocprim17ROCPRIM_400000_NS6detail17trampoline_kernelINS0_14default_configENS1_20scan_config_selectorIlEEZZNS1_9scan_implILNS1_25lookback_scan_determinismE0ELb0ELb0ES3_PlS8_lN6thrust23THRUST_200600_302600_NS4plusIvEElEEDaPvRmT3_T4_T5_mT6_P12ihipStream_tbENKUlT_T0_E_clISt17integral_constantIbLb1EESP_IbLb0EEEEDaSL_SM_EUlSL_E0_NS1_11comp_targetILNS1_3genE9ELNS1_11target_archE1100ELNS1_3gpuE3ELNS1_3repE0EEENS1_30default_config_static_selectorELNS0_4arch9wavefront6targetE1EEEvT1_,"axG",@progbits,_ZN7rocprim17ROCPRIM_400000_NS6detail17trampoline_kernelINS0_14default_configENS1_20scan_config_selectorIlEEZZNS1_9scan_implILNS1_25lookback_scan_determinismE0ELb0ELb0ES3_PlS8_lN6thrust23THRUST_200600_302600_NS4plusIvEElEEDaPvRmT3_T4_T5_mT6_P12ihipStream_tbENKUlT_T0_E_clISt17integral_constantIbLb1EESP_IbLb0EEEEDaSL_SM_EUlSL_E0_NS1_11comp_targetILNS1_3genE9ELNS1_11target_archE1100ELNS1_3gpuE3ELNS1_3repE0EEENS1_30default_config_static_selectorELNS0_4arch9wavefront6targetE1EEEvT1_,comdat
	.protected	_ZN7rocprim17ROCPRIM_400000_NS6detail17trampoline_kernelINS0_14default_configENS1_20scan_config_selectorIlEEZZNS1_9scan_implILNS1_25lookback_scan_determinismE0ELb0ELb0ES3_PlS8_lN6thrust23THRUST_200600_302600_NS4plusIvEElEEDaPvRmT3_T4_T5_mT6_P12ihipStream_tbENKUlT_T0_E_clISt17integral_constantIbLb1EESP_IbLb0EEEEDaSL_SM_EUlSL_E0_NS1_11comp_targetILNS1_3genE9ELNS1_11target_archE1100ELNS1_3gpuE3ELNS1_3repE0EEENS1_30default_config_static_selectorELNS0_4arch9wavefront6targetE1EEEvT1_ ; -- Begin function _ZN7rocprim17ROCPRIM_400000_NS6detail17trampoline_kernelINS0_14default_configENS1_20scan_config_selectorIlEEZZNS1_9scan_implILNS1_25lookback_scan_determinismE0ELb0ELb0ES3_PlS8_lN6thrust23THRUST_200600_302600_NS4plusIvEElEEDaPvRmT3_T4_T5_mT6_P12ihipStream_tbENKUlT_T0_E_clISt17integral_constantIbLb1EESP_IbLb0EEEEDaSL_SM_EUlSL_E0_NS1_11comp_targetILNS1_3genE9ELNS1_11target_archE1100ELNS1_3gpuE3ELNS1_3repE0EEENS1_30default_config_static_selectorELNS0_4arch9wavefront6targetE1EEEvT1_
	.globl	_ZN7rocprim17ROCPRIM_400000_NS6detail17trampoline_kernelINS0_14default_configENS1_20scan_config_selectorIlEEZZNS1_9scan_implILNS1_25lookback_scan_determinismE0ELb0ELb0ES3_PlS8_lN6thrust23THRUST_200600_302600_NS4plusIvEElEEDaPvRmT3_T4_T5_mT6_P12ihipStream_tbENKUlT_T0_E_clISt17integral_constantIbLb1EESP_IbLb0EEEEDaSL_SM_EUlSL_E0_NS1_11comp_targetILNS1_3genE9ELNS1_11target_archE1100ELNS1_3gpuE3ELNS1_3repE0EEENS1_30default_config_static_selectorELNS0_4arch9wavefront6targetE1EEEvT1_
	.p2align	8
	.type	_ZN7rocprim17ROCPRIM_400000_NS6detail17trampoline_kernelINS0_14default_configENS1_20scan_config_selectorIlEEZZNS1_9scan_implILNS1_25lookback_scan_determinismE0ELb0ELb0ES3_PlS8_lN6thrust23THRUST_200600_302600_NS4plusIvEElEEDaPvRmT3_T4_T5_mT6_P12ihipStream_tbENKUlT_T0_E_clISt17integral_constantIbLb1EESP_IbLb0EEEEDaSL_SM_EUlSL_E0_NS1_11comp_targetILNS1_3genE9ELNS1_11target_archE1100ELNS1_3gpuE3ELNS1_3repE0EEENS1_30default_config_static_selectorELNS0_4arch9wavefront6targetE1EEEvT1_,@function
_ZN7rocprim17ROCPRIM_400000_NS6detail17trampoline_kernelINS0_14default_configENS1_20scan_config_selectorIlEEZZNS1_9scan_implILNS1_25lookback_scan_determinismE0ELb0ELb0ES3_PlS8_lN6thrust23THRUST_200600_302600_NS4plusIvEElEEDaPvRmT3_T4_T5_mT6_P12ihipStream_tbENKUlT_T0_E_clISt17integral_constantIbLb1EESP_IbLb0EEEEDaSL_SM_EUlSL_E0_NS1_11comp_targetILNS1_3genE9ELNS1_11target_archE1100ELNS1_3gpuE3ELNS1_3repE0EEENS1_30default_config_static_selectorELNS0_4arch9wavefront6targetE1EEEvT1_: ; @_ZN7rocprim17ROCPRIM_400000_NS6detail17trampoline_kernelINS0_14default_configENS1_20scan_config_selectorIlEEZZNS1_9scan_implILNS1_25lookback_scan_determinismE0ELb0ELb0ES3_PlS8_lN6thrust23THRUST_200600_302600_NS4plusIvEElEEDaPvRmT3_T4_T5_mT6_P12ihipStream_tbENKUlT_T0_E_clISt17integral_constantIbLb1EESP_IbLb0EEEEDaSL_SM_EUlSL_E0_NS1_11comp_targetILNS1_3genE9ELNS1_11target_archE1100ELNS1_3gpuE3ELNS1_3repE0EEENS1_30default_config_static_selectorELNS0_4arch9wavefront6targetE1EEEvT1_
; %bb.0:
	.section	.rodata,"a",@progbits
	.p2align	6, 0x0
	.amdhsa_kernel _ZN7rocprim17ROCPRIM_400000_NS6detail17trampoline_kernelINS0_14default_configENS1_20scan_config_selectorIlEEZZNS1_9scan_implILNS1_25lookback_scan_determinismE0ELb0ELb0ES3_PlS8_lN6thrust23THRUST_200600_302600_NS4plusIvEElEEDaPvRmT3_T4_T5_mT6_P12ihipStream_tbENKUlT_T0_E_clISt17integral_constantIbLb1EESP_IbLb0EEEEDaSL_SM_EUlSL_E0_NS1_11comp_targetILNS1_3genE9ELNS1_11target_archE1100ELNS1_3gpuE3ELNS1_3repE0EEENS1_30default_config_static_selectorELNS0_4arch9wavefront6targetE1EEEvT1_
		.amdhsa_group_segment_fixed_size 0
		.amdhsa_private_segment_fixed_size 0
		.amdhsa_kernarg_size 40
		.amdhsa_user_sgpr_count 6
		.amdhsa_user_sgpr_private_segment_buffer 1
		.amdhsa_user_sgpr_dispatch_ptr 0
		.amdhsa_user_sgpr_queue_ptr 0
		.amdhsa_user_sgpr_kernarg_segment_ptr 1
		.amdhsa_user_sgpr_dispatch_id 0
		.amdhsa_user_sgpr_flat_scratch_init 0
		.amdhsa_user_sgpr_kernarg_preload_length 0
		.amdhsa_user_sgpr_kernarg_preload_offset 0
		.amdhsa_user_sgpr_private_segment_size 0
		.amdhsa_uses_dynamic_stack 0
		.amdhsa_system_sgpr_private_segment_wavefront_offset 0
		.amdhsa_system_sgpr_workgroup_id_x 1
		.amdhsa_system_sgpr_workgroup_id_y 0
		.amdhsa_system_sgpr_workgroup_id_z 0
		.amdhsa_system_sgpr_workgroup_info 0
		.amdhsa_system_vgpr_workitem_id 0
		.amdhsa_next_free_vgpr 1
		.amdhsa_next_free_sgpr 0
		.amdhsa_accum_offset 4
		.amdhsa_reserve_vcc 0
		.amdhsa_reserve_flat_scratch 0
		.amdhsa_float_round_mode_32 0
		.amdhsa_float_round_mode_16_64 0
		.amdhsa_float_denorm_mode_32 3
		.amdhsa_float_denorm_mode_16_64 3
		.amdhsa_dx10_clamp 1
		.amdhsa_ieee_mode 1
		.amdhsa_fp16_overflow 0
		.amdhsa_tg_split 0
		.amdhsa_exception_fp_ieee_invalid_op 0
		.amdhsa_exception_fp_denorm_src 0
		.amdhsa_exception_fp_ieee_div_zero 0
		.amdhsa_exception_fp_ieee_overflow 0
		.amdhsa_exception_fp_ieee_underflow 0
		.amdhsa_exception_fp_ieee_inexact 0
		.amdhsa_exception_int_div_zero 0
	.end_amdhsa_kernel
	.section	.text._ZN7rocprim17ROCPRIM_400000_NS6detail17trampoline_kernelINS0_14default_configENS1_20scan_config_selectorIlEEZZNS1_9scan_implILNS1_25lookback_scan_determinismE0ELb0ELb0ES3_PlS8_lN6thrust23THRUST_200600_302600_NS4plusIvEElEEDaPvRmT3_T4_T5_mT6_P12ihipStream_tbENKUlT_T0_E_clISt17integral_constantIbLb1EESP_IbLb0EEEEDaSL_SM_EUlSL_E0_NS1_11comp_targetILNS1_3genE9ELNS1_11target_archE1100ELNS1_3gpuE3ELNS1_3repE0EEENS1_30default_config_static_selectorELNS0_4arch9wavefront6targetE1EEEvT1_,"axG",@progbits,_ZN7rocprim17ROCPRIM_400000_NS6detail17trampoline_kernelINS0_14default_configENS1_20scan_config_selectorIlEEZZNS1_9scan_implILNS1_25lookback_scan_determinismE0ELb0ELb0ES3_PlS8_lN6thrust23THRUST_200600_302600_NS4plusIvEElEEDaPvRmT3_T4_T5_mT6_P12ihipStream_tbENKUlT_T0_E_clISt17integral_constantIbLb1EESP_IbLb0EEEEDaSL_SM_EUlSL_E0_NS1_11comp_targetILNS1_3genE9ELNS1_11target_archE1100ELNS1_3gpuE3ELNS1_3repE0EEENS1_30default_config_static_selectorELNS0_4arch9wavefront6targetE1EEEvT1_,comdat
.Lfunc_end138:
	.size	_ZN7rocprim17ROCPRIM_400000_NS6detail17trampoline_kernelINS0_14default_configENS1_20scan_config_selectorIlEEZZNS1_9scan_implILNS1_25lookback_scan_determinismE0ELb0ELb0ES3_PlS8_lN6thrust23THRUST_200600_302600_NS4plusIvEElEEDaPvRmT3_T4_T5_mT6_P12ihipStream_tbENKUlT_T0_E_clISt17integral_constantIbLb1EESP_IbLb0EEEEDaSL_SM_EUlSL_E0_NS1_11comp_targetILNS1_3genE9ELNS1_11target_archE1100ELNS1_3gpuE3ELNS1_3repE0EEENS1_30default_config_static_selectorELNS0_4arch9wavefront6targetE1EEEvT1_, .Lfunc_end138-_ZN7rocprim17ROCPRIM_400000_NS6detail17trampoline_kernelINS0_14default_configENS1_20scan_config_selectorIlEEZZNS1_9scan_implILNS1_25lookback_scan_determinismE0ELb0ELb0ES3_PlS8_lN6thrust23THRUST_200600_302600_NS4plusIvEElEEDaPvRmT3_T4_T5_mT6_P12ihipStream_tbENKUlT_T0_E_clISt17integral_constantIbLb1EESP_IbLb0EEEEDaSL_SM_EUlSL_E0_NS1_11comp_targetILNS1_3genE9ELNS1_11target_archE1100ELNS1_3gpuE3ELNS1_3repE0EEENS1_30default_config_static_selectorELNS0_4arch9wavefront6targetE1EEEvT1_
                                        ; -- End function
	.section	.AMDGPU.csdata,"",@progbits
; Kernel info:
; codeLenInByte = 0
; NumSgprs: 4
; NumVgprs: 0
; NumAgprs: 0
; TotalNumVgprs: 0
; ScratchSize: 0
; MemoryBound: 0
; FloatMode: 240
; IeeeMode: 1
; LDSByteSize: 0 bytes/workgroup (compile time only)
; SGPRBlocks: 0
; VGPRBlocks: 0
; NumSGPRsForWavesPerEU: 4
; NumVGPRsForWavesPerEU: 1
; AccumOffset: 4
; Occupancy: 8
; WaveLimiterHint : 0
; COMPUTE_PGM_RSRC2:SCRATCH_EN: 0
; COMPUTE_PGM_RSRC2:USER_SGPR: 6
; COMPUTE_PGM_RSRC2:TRAP_HANDLER: 0
; COMPUTE_PGM_RSRC2:TGID_X_EN: 1
; COMPUTE_PGM_RSRC2:TGID_Y_EN: 0
; COMPUTE_PGM_RSRC2:TGID_Z_EN: 0
; COMPUTE_PGM_RSRC2:TIDIG_COMP_CNT: 0
; COMPUTE_PGM_RSRC3_GFX90A:ACCUM_OFFSET: 0
; COMPUTE_PGM_RSRC3_GFX90A:TG_SPLIT: 0
	.section	.text._ZN7rocprim17ROCPRIM_400000_NS6detail17trampoline_kernelINS0_14default_configENS1_20scan_config_selectorIlEEZZNS1_9scan_implILNS1_25lookback_scan_determinismE0ELb0ELb0ES3_PlS8_lN6thrust23THRUST_200600_302600_NS4plusIvEElEEDaPvRmT3_T4_T5_mT6_P12ihipStream_tbENKUlT_T0_E_clISt17integral_constantIbLb1EESP_IbLb0EEEEDaSL_SM_EUlSL_E0_NS1_11comp_targetILNS1_3genE8ELNS1_11target_archE1030ELNS1_3gpuE2ELNS1_3repE0EEENS1_30default_config_static_selectorELNS0_4arch9wavefront6targetE1EEEvT1_,"axG",@progbits,_ZN7rocprim17ROCPRIM_400000_NS6detail17trampoline_kernelINS0_14default_configENS1_20scan_config_selectorIlEEZZNS1_9scan_implILNS1_25lookback_scan_determinismE0ELb0ELb0ES3_PlS8_lN6thrust23THRUST_200600_302600_NS4plusIvEElEEDaPvRmT3_T4_T5_mT6_P12ihipStream_tbENKUlT_T0_E_clISt17integral_constantIbLb1EESP_IbLb0EEEEDaSL_SM_EUlSL_E0_NS1_11comp_targetILNS1_3genE8ELNS1_11target_archE1030ELNS1_3gpuE2ELNS1_3repE0EEENS1_30default_config_static_selectorELNS0_4arch9wavefront6targetE1EEEvT1_,comdat
	.protected	_ZN7rocprim17ROCPRIM_400000_NS6detail17trampoline_kernelINS0_14default_configENS1_20scan_config_selectorIlEEZZNS1_9scan_implILNS1_25lookback_scan_determinismE0ELb0ELb0ES3_PlS8_lN6thrust23THRUST_200600_302600_NS4plusIvEElEEDaPvRmT3_T4_T5_mT6_P12ihipStream_tbENKUlT_T0_E_clISt17integral_constantIbLb1EESP_IbLb0EEEEDaSL_SM_EUlSL_E0_NS1_11comp_targetILNS1_3genE8ELNS1_11target_archE1030ELNS1_3gpuE2ELNS1_3repE0EEENS1_30default_config_static_selectorELNS0_4arch9wavefront6targetE1EEEvT1_ ; -- Begin function _ZN7rocprim17ROCPRIM_400000_NS6detail17trampoline_kernelINS0_14default_configENS1_20scan_config_selectorIlEEZZNS1_9scan_implILNS1_25lookback_scan_determinismE0ELb0ELb0ES3_PlS8_lN6thrust23THRUST_200600_302600_NS4plusIvEElEEDaPvRmT3_T4_T5_mT6_P12ihipStream_tbENKUlT_T0_E_clISt17integral_constantIbLb1EESP_IbLb0EEEEDaSL_SM_EUlSL_E0_NS1_11comp_targetILNS1_3genE8ELNS1_11target_archE1030ELNS1_3gpuE2ELNS1_3repE0EEENS1_30default_config_static_selectorELNS0_4arch9wavefront6targetE1EEEvT1_
	.globl	_ZN7rocprim17ROCPRIM_400000_NS6detail17trampoline_kernelINS0_14default_configENS1_20scan_config_selectorIlEEZZNS1_9scan_implILNS1_25lookback_scan_determinismE0ELb0ELb0ES3_PlS8_lN6thrust23THRUST_200600_302600_NS4plusIvEElEEDaPvRmT3_T4_T5_mT6_P12ihipStream_tbENKUlT_T0_E_clISt17integral_constantIbLb1EESP_IbLb0EEEEDaSL_SM_EUlSL_E0_NS1_11comp_targetILNS1_3genE8ELNS1_11target_archE1030ELNS1_3gpuE2ELNS1_3repE0EEENS1_30default_config_static_selectorELNS0_4arch9wavefront6targetE1EEEvT1_
	.p2align	8
	.type	_ZN7rocprim17ROCPRIM_400000_NS6detail17trampoline_kernelINS0_14default_configENS1_20scan_config_selectorIlEEZZNS1_9scan_implILNS1_25lookback_scan_determinismE0ELb0ELb0ES3_PlS8_lN6thrust23THRUST_200600_302600_NS4plusIvEElEEDaPvRmT3_T4_T5_mT6_P12ihipStream_tbENKUlT_T0_E_clISt17integral_constantIbLb1EESP_IbLb0EEEEDaSL_SM_EUlSL_E0_NS1_11comp_targetILNS1_3genE8ELNS1_11target_archE1030ELNS1_3gpuE2ELNS1_3repE0EEENS1_30default_config_static_selectorELNS0_4arch9wavefront6targetE1EEEvT1_,@function
_ZN7rocprim17ROCPRIM_400000_NS6detail17trampoline_kernelINS0_14default_configENS1_20scan_config_selectorIlEEZZNS1_9scan_implILNS1_25lookback_scan_determinismE0ELb0ELb0ES3_PlS8_lN6thrust23THRUST_200600_302600_NS4plusIvEElEEDaPvRmT3_T4_T5_mT6_P12ihipStream_tbENKUlT_T0_E_clISt17integral_constantIbLb1EESP_IbLb0EEEEDaSL_SM_EUlSL_E0_NS1_11comp_targetILNS1_3genE8ELNS1_11target_archE1030ELNS1_3gpuE2ELNS1_3repE0EEENS1_30default_config_static_selectorELNS0_4arch9wavefront6targetE1EEEvT1_: ; @_ZN7rocprim17ROCPRIM_400000_NS6detail17trampoline_kernelINS0_14default_configENS1_20scan_config_selectorIlEEZZNS1_9scan_implILNS1_25lookback_scan_determinismE0ELb0ELb0ES3_PlS8_lN6thrust23THRUST_200600_302600_NS4plusIvEElEEDaPvRmT3_T4_T5_mT6_P12ihipStream_tbENKUlT_T0_E_clISt17integral_constantIbLb1EESP_IbLb0EEEEDaSL_SM_EUlSL_E0_NS1_11comp_targetILNS1_3genE8ELNS1_11target_archE1030ELNS1_3gpuE2ELNS1_3repE0EEENS1_30default_config_static_selectorELNS0_4arch9wavefront6targetE1EEEvT1_
; %bb.0:
	.section	.rodata,"a",@progbits
	.p2align	6, 0x0
	.amdhsa_kernel _ZN7rocprim17ROCPRIM_400000_NS6detail17trampoline_kernelINS0_14default_configENS1_20scan_config_selectorIlEEZZNS1_9scan_implILNS1_25lookback_scan_determinismE0ELb0ELb0ES3_PlS8_lN6thrust23THRUST_200600_302600_NS4plusIvEElEEDaPvRmT3_T4_T5_mT6_P12ihipStream_tbENKUlT_T0_E_clISt17integral_constantIbLb1EESP_IbLb0EEEEDaSL_SM_EUlSL_E0_NS1_11comp_targetILNS1_3genE8ELNS1_11target_archE1030ELNS1_3gpuE2ELNS1_3repE0EEENS1_30default_config_static_selectorELNS0_4arch9wavefront6targetE1EEEvT1_
		.amdhsa_group_segment_fixed_size 0
		.amdhsa_private_segment_fixed_size 0
		.amdhsa_kernarg_size 40
		.amdhsa_user_sgpr_count 6
		.amdhsa_user_sgpr_private_segment_buffer 1
		.amdhsa_user_sgpr_dispatch_ptr 0
		.amdhsa_user_sgpr_queue_ptr 0
		.amdhsa_user_sgpr_kernarg_segment_ptr 1
		.amdhsa_user_sgpr_dispatch_id 0
		.amdhsa_user_sgpr_flat_scratch_init 0
		.amdhsa_user_sgpr_kernarg_preload_length 0
		.amdhsa_user_sgpr_kernarg_preload_offset 0
		.amdhsa_user_sgpr_private_segment_size 0
		.amdhsa_uses_dynamic_stack 0
		.amdhsa_system_sgpr_private_segment_wavefront_offset 0
		.amdhsa_system_sgpr_workgroup_id_x 1
		.amdhsa_system_sgpr_workgroup_id_y 0
		.amdhsa_system_sgpr_workgroup_id_z 0
		.amdhsa_system_sgpr_workgroup_info 0
		.amdhsa_system_vgpr_workitem_id 0
		.amdhsa_next_free_vgpr 1
		.amdhsa_next_free_sgpr 0
		.amdhsa_accum_offset 4
		.amdhsa_reserve_vcc 0
		.amdhsa_reserve_flat_scratch 0
		.amdhsa_float_round_mode_32 0
		.amdhsa_float_round_mode_16_64 0
		.amdhsa_float_denorm_mode_32 3
		.amdhsa_float_denorm_mode_16_64 3
		.amdhsa_dx10_clamp 1
		.amdhsa_ieee_mode 1
		.amdhsa_fp16_overflow 0
		.amdhsa_tg_split 0
		.amdhsa_exception_fp_ieee_invalid_op 0
		.amdhsa_exception_fp_denorm_src 0
		.amdhsa_exception_fp_ieee_div_zero 0
		.amdhsa_exception_fp_ieee_overflow 0
		.amdhsa_exception_fp_ieee_underflow 0
		.amdhsa_exception_fp_ieee_inexact 0
		.amdhsa_exception_int_div_zero 0
	.end_amdhsa_kernel
	.section	.text._ZN7rocprim17ROCPRIM_400000_NS6detail17trampoline_kernelINS0_14default_configENS1_20scan_config_selectorIlEEZZNS1_9scan_implILNS1_25lookback_scan_determinismE0ELb0ELb0ES3_PlS8_lN6thrust23THRUST_200600_302600_NS4plusIvEElEEDaPvRmT3_T4_T5_mT6_P12ihipStream_tbENKUlT_T0_E_clISt17integral_constantIbLb1EESP_IbLb0EEEEDaSL_SM_EUlSL_E0_NS1_11comp_targetILNS1_3genE8ELNS1_11target_archE1030ELNS1_3gpuE2ELNS1_3repE0EEENS1_30default_config_static_selectorELNS0_4arch9wavefront6targetE1EEEvT1_,"axG",@progbits,_ZN7rocprim17ROCPRIM_400000_NS6detail17trampoline_kernelINS0_14default_configENS1_20scan_config_selectorIlEEZZNS1_9scan_implILNS1_25lookback_scan_determinismE0ELb0ELb0ES3_PlS8_lN6thrust23THRUST_200600_302600_NS4plusIvEElEEDaPvRmT3_T4_T5_mT6_P12ihipStream_tbENKUlT_T0_E_clISt17integral_constantIbLb1EESP_IbLb0EEEEDaSL_SM_EUlSL_E0_NS1_11comp_targetILNS1_3genE8ELNS1_11target_archE1030ELNS1_3gpuE2ELNS1_3repE0EEENS1_30default_config_static_selectorELNS0_4arch9wavefront6targetE1EEEvT1_,comdat
.Lfunc_end139:
	.size	_ZN7rocprim17ROCPRIM_400000_NS6detail17trampoline_kernelINS0_14default_configENS1_20scan_config_selectorIlEEZZNS1_9scan_implILNS1_25lookback_scan_determinismE0ELb0ELb0ES3_PlS8_lN6thrust23THRUST_200600_302600_NS4plusIvEElEEDaPvRmT3_T4_T5_mT6_P12ihipStream_tbENKUlT_T0_E_clISt17integral_constantIbLb1EESP_IbLb0EEEEDaSL_SM_EUlSL_E0_NS1_11comp_targetILNS1_3genE8ELNS1_11target_archE1030ELNS1_3gpuE2ELNS1_3repE0EEENS1_30default_config_static_selectorELNS0_4arch9wavefront6targetE1EEEvT1_, .Lfunc_end139-_ZN7rocprim17ROCPRIM_400000_NS6detail17trampoline_kernelINS0_14default_configENS1_20scan_config_selectorIlEEZZNS1_9scan_implILNS1_25lookback_scan_determinismE0ELb0ELb0ES3_PlS8_lN6thrust23THRUST_200600_302600_NS4plusIvEElEEDaPvRmT3_T4_T5_mT6_P12ihipStream_tbENKUlT_T0_E_clISt17integral_constantIbLb1EESP_IbLb0EEEEDaSL_SM_EUlSL_E0_NS1_11comp_targetILNS1_3genE8ELNS1_11target_archE1030ELNS1_3gpuE2ELNS1_3repE0EEENS1_30default_config_static_selectorELNS0_4arch9wavefront6targetE1EEEvT1_
                                        ; -- End function
	.section	.AMDGPU.csdata,"",@progbits
; Kernel info:
; codeLenInByte = 0
; NumSgprs: 4
; NumVgprs: 0
; NumAgprs: 0
; TotalNumVgprs: 0
; ScratchSize: 0
; MemoryBound: 0
; FloatMode: 240
; IeeeMode: 1
; LDSByteSize: 0 bytes/workgroup (compile time only)
; SGPRBlocks: 0
; VGPRBlocks: 0
; NumSGPRsForWavesPerEU: 4
; NumVGPRsForWavesPerEU: 1
; AccumOffset: 4
; Occupancy: 8
; WaveLimiterHint : 0
; COMPUTE_PGM_RSRC2:SCRATCH_EN: 0
; COMPUTE_PGM_RSRC2:USER_SGPR: 6
; COMPUTE_PGM_RSRC2:TRAP_HANDLER: 0
; COMPUTE_PGM_RSRC2:TGID_X_EN: 1
; COMPUTE_PGM_RSRC2:TGID_Y_EN: 0
; COMPUTE_PGM_RSRC2:TGID_Z_EN: 0
; COMPUTE_PGM_RSRC2:TIDIG_COMP_CNT: 0
; COMPUTE_PGM_RSRC3_GFX90A:ACCUM_OFFSET: 0
; COMPUTE_PGM_RSRC3_GFX90A:TG_SPLIT: 0
	.section	.text._ZN7rocprim17ROCPRIM_400000_NS6detail31init_lookback_scan_state_kernelINS1_19lookback_scan_stateIlLb0ELb1EEENS1_16block_id_wrapperIjLb1EEEEEvT_jT0_jPNS7_10value_typeE,"axG",@progbits,_ZN7rocprim17ROCPRIM_400000_NS6detail31init_lookback_scan_state_kernelINS1_19lookback_scan_stateIlLb0ELb1EEENS1_16block_id_wrapperIjLb1EEEEEvT_jT0_jPNS7_10value_typeE,comdat
	.protected	_ZN7rocprim17ROCPRIM_400000_NS6detail31init_lookback_scan_state_kernelINS1_19lookback_scan_stateIlLb0ELb1EEENS1_16block_id_wrapperIjLb1EEEEEvT_jT0_jPNS7_10value_typeE ; -- Begin function _ZN7rocprim17ROCPRIM_400000_NS6detail31init_lookback_scan_state_kernelINS1_19lookback_scan_stateIlLb0ELb1EEENS1_16block_id_wrapperIjLb1EEEEEvT_jT0_jPNS7_10value_typeE
	.globl	_ZN7rocprim17ROCPRIM_400000_NS6detail31init_lookback_scan_state_kernelINS1_19lookback_scan_stateIlLb0ELb1EEENS1_16block_id_wrapperIjLb1EEEEEvT_jT0_jPNS7_10value_typeE
	.p2align	8
	.type	_ZN7rocprim17ROCPRIM_400000_NS6detail31init_lookback_scan_state_kernelINS1_19lookback_scan_stateIlLb0ELb1EEENS1_16block_id_wrapperIjLb1EEEEEvT_jT0_jPNS7_10value_typeE,@function
_ZN7rocprim17ROCPRIM_400000_NS6detail31init_lookback_scan_state_kernelINS1_19lookback_scan_stateIlLb0ELb1EEENS1_16block_id_wrapperIjLb1EEEEEvT_jT0_jPNS7_10value_typeE: ; @_ZN7rocprim17ROCPRIM_400000_NS6detail31init_lookback_scan_state_kernelINS1_19lookback_scan_stateIlLb0ELb1EEENS1_16block_id_wrapperIjLb1EEEEEvT_jT0_jPNS7_10value_typeE
; %bb.0:
	s_load_dword s7, s[4:5], 0x34
	s_load_dwordx2 s[2:3], s[4:5], 0x20
	s_load_dwordx2 s[0:1], s[4:5], 0x0
	s_load_dword s14, s[4:5], 0x8
	s_waitcnt lgkmcnt(0)
	s_and_b32 s7, s7, 0xffff
	s_mul_i32 s6, s6, s7
	s_cmp_eq_u64 s[2:3], 0
	v_add_u32_e32 v0, s6, v0
	s_cbranch_scc1 .LBB140_8
; %bb.1:
	s_load_dword s8, s[4:5], 0x18
	s_mov_b32 s9, 0
	s_waitcnt lgkmcnt(0)
	s_cmp_lt_u32 s8, s14
	s_cselect_b32 s6, s8, 0
	v_cmp_eq_u32_e32 vcc, s6, v0
	s_and_saveexec_b64 s[6:7], vcc
	s_cbranch_execz .LBB140_7
; %bb.2:
	s_add_i32 s8, s8, 64
	s_lshl_b64 s[8:9], s[8:9], 4
	s_add_u32 s12, s0, s8
	s_addc_u32 s13, s1, s9
	v_pk_mov_b32 v[2:3], s[12:13], s[12:13] op_sel:[0,1]
	;;#ASMSTART
	global_load_dwordx4 v[2:5], v[2:3] off glc	
s_waitcnt vmcnt(0)
	;;#ASMEND
	v_mov_b32_e32 v7, 0
	v_and_b32_e32 v6, 0xff, v4
	s_mov_b64 s[10:11], 0
	v_cmp_eq_u64_e32 vcc, 0, v[6:7]
	s_and_saveexec_b64 s[8:9], vcc
	s_cbranch_execz .LBB140_6
; %bb.3:
	v_pk_mov_b32 v[8:9], s[12:13], s[12:13] op_sel:[0,1]
.LBB140_4:                              ; =>This Inner Loop Header: Depth=1
	;;#ASMSTART
	global_load_dwordx4 v[2:5], v[8:9] off glc	
s_waitcnt vmcnt(0)
	;;#ASMEND
	v_and_b32_e32 v6, 0xff, v4
	v_cmp_ne_u64_e32 vcc, 0, v[6:7]
	s_or_b64 s[10:11], vcc, s[10:11]
	s_andn2_b64 exec, exec, s[10:11]
	s_cbranch_execnz .LBB140_4
; %bb.5:
	s_or_b64 exec, exec, s[10:11]
.LBB140_6:
	s_or_b64 exec, exec, s[8:9]
	v_mov_b32_e32 v1, 0
	global_store_dwordx2 v1, v[2:3], s[2:3]
.LBB140_7:
	s_or_b64 exec, exec, s[6:7]
.LBB140_8:
	v_cmp_eq_u32_e32 vcc, 0, v0
	s_and_saveexec_b64 s[2:3], vcc
	s_cbranch_execnz .LBB140_12
; %bb.9:
	s_or_b64 exec, exec, s[2:3]
	v_cmp_gt_u32_e32 vcc, s14, v0
	s_and_saveexec_b64 s[2:3], vcc
	s_cbranch_execnz .LBB140_13
.LBB140_10:
	s_or_b64 exec, exec, s[2:3]
	v_cmp_gt_u32_e32 vcc, 64, v0
	s_and_saveexec_b64 s[2:3], vcc
	s_cbranch_execnz .LBB140_14
.LBB140_11:
	s_endpgm
.LBB140_12:
	s_load_dwordx2 s[4:5], s[4:5], 0x10
	v_mov_b32_e32 v1, 0
	s_waitcnt lgkmcnt(0)
	global_store_dword v1, v1, s[4:5]
	s_or_b64 exec, exec, s[2:3]
	v_cmp_gt_u32_e32 vcc, s14, v0
	s_and_saveexec_b64 s[2:3], vcc
	s_cbranch_execz .LBB140_10
.LBB140_13:
	v_add_u32_e32 v2, 64, v0
	v_mov_b32_e32 v3, 0
	v_lshlrev_b64 v[4:5], 4, v[2:3]
	v_mov_b32_e32 v1, s1
	v_add_co_u32_e32 v6, vcc, s0, v4
	v_addc_co_u32_e32 v7, vcc, v1, v5, vcc
	v_mov_b32_e32 v2, v3
	v_mov_b32_e32 v4, v3
	;; [unrolled: 1-line block ×3, first 2 shown]
	global_store_dwordx4 v[6:7], v[2:5], off
	s_or_b64 exec, exec, s[2:3]
	v_cmp_gt_u32_e32 vcc, 64, v0
	s_and_saveexec_b64 s[2:3], vcc
	s_cbranch_execz .LBB140_11
.LBB140_14:
	v_mov_b32_e32 v1, 0
	v_lshlrev_b64 v[2:3], 4, v[0:1]
	v_mov_b32_e32 v0, s1
	v_add_co_u32_e32 v4, vcc, s0, v2
	v_addc_co_u32_e32 v5, vcc, v0, v3, vcc
	v_mov_b32_e32 v2, 0xff
	v_mov_b32_e32 v0, v1
	;; [unrolled: 1-line block ×3, first 2 shown]
	global_store_dwordx4 v[4:5], v[0:3], off
	s_endpgm
	.section	.rodata,"a",@progbits
	.p2align	6, 0x0
	.amdhsa_kernel _ZN7rocprim17ROCPRIM_400000_NS6detail31init_lookback_scan_state_kernelINS1_19lookback_scan_stateIlLb0ELb1EEENS1_16block_id_wrapperIjLb1EEEEEvT_jT0_jPNS7_10value_typeE
		.amdhsa_group_segment_fixed_size 0
		.amdhsa_private_segment_fixed_size 0
		.amdhsa_kernarg_size 296
		.amdhsa_user_sgpr_count 6
		.amdhsa_user_sgpr_private_segment_buffer 1
		.amdhsa_user_sgpr_dispatch_ptr 0
		.amdhsa_user_sgpr_queue_ptr 0
		.amdhsa_user_sgpr_kernarg_segment_ptr 1
		.amdhsa_user_sgpr_dispatch_id 0
		.amdhsa_user_sgpr_flat_scratch_init 0
		.amdhsa_user_sgpr_kernarg_preload_length 0
		.amdhsa_user_sgpr_kernarg_preload_offset 0
		.amdhsa_user_sgpr_private_segment_size 0
		.amdhsa_uses_dynamic_stack 0
		.amdhsa_system_sgpr_private_segment_wavefront_offset 0
		.amdhsa_system_sgpr_workgroup_id_x 1
		.amdhsa_system_sgpr_workgroup_id_y 0
		.amdhsa_system_sgpr_workgroup_id_z 0
		.amdhsa_system_sgpr_workgroup_info 0
		.amdhsa_system_vgpr_workitem_id 0
		.amdhsa_next_free_vgpr 10
		.amdhsa_next_free_sgpr 15
		.amdhsa_accum_offset 12
		.amdhsa_reserve_vcc 1
		.amdhsa_reserve_flat_scratch 0
		.amdhsa_float_round_mode_32 0
		.amdhsa_float_round_mode_16_64 0
		.amdhsa_float_denorm_mode_32 3
		.amdhsa_float_denorm_mode_16_64 3
		.amdhsa_dx10_clamp 1
		.amdhsa_ieee_mode 1
		.amdhsa_fp16_overflow 0
		.amdhsa_tg_split 0
		.amdhsa_exception_fp_ieee_invalid_op 0
		.amdhsa_exception_fp_denorm_src 0
		.amdhsa_exception_fp_ieee_div_zero 0
		.amdhsa_exception_fp_ieee_overflow 0
		.amdhsa_exception_fp_ieee_underflow 0
		.amdhsa_exception_fp_ieee_inexact 0
		.amdhsa_exception_int_div_zero 0
	.end_amdhsa_kernel
	.section	.text._ZN7rocprim17ROCPRIM_400000_NS6detail31init_lookback_scan_state_kernelINS1_19lookback_scan_stateIlLb0ELb1EEENS1_16block_id_wrapperIjLb1EEEEEvT_jT0_jPNS7_10value_typeE,"axG",@progbits,_ZN7rocprim17ROCPRIM_400000_NS6detail31init_lookback_scan_state_kernelINS1_19lookback_scan_stateIlLb0ELb1EEENS1_16block_id_wrapperIjLb1EEEEEvT_jT0_jPNS7_10value_typeE,comdat
.Lfunc_end140:
	.size	_ZN7rocprim17ROCPRIM_400000_NS6detail31init_lookback_scan_state_kernelINS1_19lookback_scan_stateIlLb0ELb1EEENS1_16block_id_wrapperIjLb1EEEEEvT_jT0_jPNS7_10value_typeE, .Lfunc_end140-_ZN7rocprim17ROCPRIM_400000_NS6detail31init_lookback_scan_state_kernelINS1_19lookback_scan_stateIlLb0ELb1EEENS1_16block_id_wrapperIjLb1EEEEEvT_jT0_jPNS7_10value_typeE
                                        ; -- End function
	.section	.AMDGPU.csdata,"",@progbits
; Kernel info:
; codeLenInByte = 440
; NumSgprs: 19
; NumVgprs: 10
; NumAgprs: 0
; TotalNumVgprs: 10
; ScratchSize: 0
; MemoryBound: 0
; FloatMode: 240
; IeeeMode: 1
; LDSByteSize: 0 bytes/workgroup (compile time only)
; SGPRBlocks: 2
; VGPRBlocks: 1
; NumSGPRsForWavesPerEU: 19
; NumVGPRsForWavesPerEU: 10
; AccumOffset: 12
; Occupancy: 8
; WaveLimiterHint : 0
; COMPUTE_PGM_RSRC2:SCRATCH_EN: 0
; COMPUTE_PGM_RSRC2:USER_SGPR: 6
; COMPUTE_PGM_RSRC2:TRAP_HANDLER: 0
; COMPUTE_PGM_RSRC2:TGID_X_EN: 1
; COMPUTE_PGM_RSRC2:TGID_Y_EN: 0
; COMPUTE_PGM_RSRC2:TGID_Z_EN: 0
; COMPUTE_PGM_RSRC2:TIDIG_COMP_CNT: 0
; COMPUTE_PGM_RSRC3_GFX90A:ACCUM_OFFSET: 2
; COMPUTE_PGM_RSRC3_GFX90A:TG_SPLIT: 0
	.section	.text._ZN7rocprim17ROCPRIM_400000_NS6detail17trampoline_kernelINS0_14default_configENS1_20scan_config_selectorIlEEZZNS1_9scan_implILNS1_25lookback_scan_determinismE0ELb0ELb0ES3_PlS8_lN6thrust23THRUST_200600_302600_NS4plusIvEElEEDaPvRmT3_T4_T5_mT6_P12ihipStream_tbENKUlT_T0_E_clISt17integral_constantIbLb0EESP_IbLb1EEEEDaSL_SM_EUlSL_E_NS1_11comp_targetILNS1_3genE0ELNS1_11target_archE4294967295ELNS1_3gpuE0ELNS1_3repE0EEENS1_30default_config_static_selectorELNS0_4arch9wavefront6targetE1EEEvT1_,"axG",@progbits,_ZN7rocprim17ROCPRIM_400000_NS6detail17trampoline_kernelINS0_14default_configENS1_20scan_config_selectorIlEEZZNS1_9scan_implILNS1_25lookback_scan_determinismE0ELb0ELb0ES3_PlS8_lN6thrust23THRUST_200600_302600_NS4plusIvEElEEDaPvRmT3_T4_T5_mT6_P12ihipStream_tbENKUlT_T0_E_clISt17integral_constantIbLb0EESP_IbLb1EEEEDaSL_SM_EUlSL_E_NS1_11comp_targetILNS1_3genE0ELNS1_11target_archE4294967295ELNS1_3gpuE0ELNS1_3repE0EEENS1_30default_config_static_selectorELNS0_4arch9wavefront6targetE1EEEvT1_,comdat
	.protected	_ZN7rocprim17ROCPRIM_400000_NS6detail17trampoline_kernelINS0_14default_configENS1_20scan_config_selectorIlEEZZNS1_9scan_implILNS1_25lookback_scan_determinismE0ELb0ELb0ES3_PlS8_lN6thrust23THRUST_200600_302600_NS4plusIvEElEEDaPvRmT3_T4_T5_mT6_P12ihipStream_tbENKUlT_T0_E_clISt17integral_constantIbLb0EESP_IbLb1EEEEDaSL_SM_EUlSL_E_NS1_11comp_targetILNS1_3genE0ELNS1_11target_archE4294967295ELNS1_3gpuE0ELNS1_3repE0EEENS1_30default_config_static_selectorELNS0_4arch9wavefront6targetE1EEEvT1_ ; -- Begin function _ZN7rocprim17ROCPRIM_400000_NS6detail17trampoline_kernelINS0_14default_configENS1_20scan_config_selectorIlEEZZNS1_9scan_implILNS1_25lookback_scan_determinismE0ELb0ELb0ES3_PlS8_lN6thrust23THRUST_200600_302600_NS4plusIvEElEEDaPvRmT3_T4_T5_mT6_P12ihipStream_tbENKUlT_T0_E_clISt17integral_constantIbLb0EESP_IbLb1EEEEDaSL_SM_EUlSL_E_NS1_11comp_targetILNS1_3genE0ELNS1_11target_archE4294967295ELNS1_3gpuE0ELNS1_3repE0EEENS1_30default_config_static_selectorELNS0_4arch9wavefront6targetE1EEEvT1_
	.globl	_ZN7rocprim17ROCPRIM_400000_NS6detail17trampoline_kernelINS0_14default_configENS1_20scan_config_selectorIlEEZZNS1_9scan_implILNS1_25lookback_scan_determinismE0ELb0ELb0ES3_PlS8_lN6thrust23THRUST_200600_302600_NS4plusIvEElEEDaPvRmT3_T4_T5_mT6_P12ihipStream_tbENKUlT_T0_E_clISt17integral_constantIbLb0EESP_IbLb1EEEEDaSL_SM_EUlSL_E_NS1_11comp_targetILNS1_3genE0ELNS1_11target_archE4294967295ELNS1_3gpuE0ELNS1_3repE0EEENS1_30default_config_static_selectorELNS0_4arch9wavefront6targetE1EEEvT1_
	.p2align	8
	.type	_ZN7rocprim17ROCPRIM_400000_NS6detail17trampoline_kernelINS0_14default_configENS1_20scan_config_selectorIlEEZZNS1_9scan_implILNS1_25lookback_scan_determinismE0ELb0ELb0ES3_PlS8_lN6thrust23THRUST_200600_302600_NS4plusIvEElEEDaPvRmT3_T4_T5_mT6_P12ihipStream_tbENKUlT_T0_E_clISt17integral_constantIbLb0EESP_IbLb1EEEEDaSL_SM_EUlSL_E_NS1_11comp_targetILNS1_3genE0ELNS1_11target_archE4294967295ELNS1_3gpuE0ELNS1_3repE0EEENS1_30default_config_static_selectorELNS0_4arch9wavefront6targetE1EEEvT1_,@function
_ZN7rocprim17ROCPRIM_400000_NS6detail17trampoline_kernelINS0_14default_configENS1_20scan_config_selectorIlEEZZNS1_9scan_implILNS1_25lookback_scan_determinismE0ELb0ELb0ES3_PlS8_lN6thrust23THRUST_200600_302600_NS4plusIvEElEEDaPvRmT3_T4_T5_mT6_P12ihipStream_tbENKUlT_T0_E_clISt17integral_constantIbLb0EESP_IbLb1EEEEDaSL_SM_EUlSL_E_NS1_11comp_targetILNS1_3genE0ELNS1_11target_archE4294967295ELNS1_3gpuE0ELNS1_3repE0EEENS1_30default_config_static_selectorELNS0_4arch9wavefront6targetE1EEEvT1_: ; @_ZN7rocprim17ROCPRIM_400000_NS6detail17trampoline_kernelINS0_14default_configENS1_20scan_config_selectorIlEEZZNS1_9scan_implILNS1_25lookback_scan_determinismE0ELb0ELb0ES3_PlS8_lN6thrust23THRUST_200600_302600_NS4plusIvEElEEDaPvRmT3_T4_T5_mT6_P12ihipStream_tbENKUlT_T0_E_clISt17integral_constantIbLb0EESP_IbLb1EEEEDaSL_SM_EUlSL_E_NS1_11comp_targetILNS1_3genE0ELNS1_11target_archE4294967295ELNS1_3gpuE0ELNS1_3repE0EEENS1_30default_config_static_selectorELNS0_4arch9wavefront6targetE1EEEvT1_
; %bb.0:
	.section	.rodata,"a",@progbits
	.p2align	6, 0x0
	.amdhsa_kernel _ZN7rocprim17ROCPRIM_400000_NS6detail17trampoline_kernelINS0_14default_configENS1_20scan_config_selectorIlEEZZNS1_9scan_implILNS1_25lookback_scan_determinismE0ELb0ELb0ES3_PlS8_lN6thrust23THRUST_200600_302600_NS4plusIvEElEEDaPvRmT3_T4_T5_mT6_P12ihipStream_tbENKUlT_T0_E_clISt17integral_constantIbLb0EESP_IbLb1EEEEDaSL_SM_EUlSL_E_NS1_11comp_targetILNS1_3genE0ELNS1_11target_archE4294967295ELNS1_3gpuE0ELNS1_3repE0EEENS1_30default_config_static_selectorELNS0_4arch9wavefront6targetE1EEEvT1_
		.amdhsa_group_segment_fixed_size 0
		.amdhsa_private_segment_fixed_size 0
		.amdhsa_kernarg_size 104
		.amdhsa_user_sgpr_count 6
		.amdhsa_user_sgpr_private_segment_buffer 1
		.amdhsa_user_sgpr_dispatch_ptr 0
		.amdhsa_user_sgpr_queue_ptr 0
		.amdhsa_user_sgpr_kernarg_segment_ptr 1
		.amdhsa_user_sgpr_dispatch_id 0
		.amdhsa_user_sgpr_flat_scratch_init 0
		.amdhsa_user_sgpr_kernarg_preload_length 0
		.amdhsa_user_sgpr_kernarg_preload_offset 0
		.amdhsa_user_sgpr_private_segment_size 0
		.amdhsa_uses_dynamic_stack 0
		.amdhsa_system_sgpr_private_segment_wavefront_offset 0
		.amdhsa_system_sgpr_workgroup_id_x 1
		.amdhsa_system_sgpr_workgroup_id_y 0
		.amdhsa_system_sgpr_workgroup_id_z 0
		.amdhsa_system_sgpr_workgroup_info 0
		.amdhsa_system_vgpr_workitem_id 0
		.amdhsa_next_free_vgpr 1
		.amdhsa_next_free_sgpr 0
		.amdhsa_accum_offset 4
		.amdhsa_reserve_vcc 0
		.amdhsa_reserve_flat_scratch 0
		.amdhsa_float_round_mode_32 0
		.amdhsa_float_round_mode_16_64 0
		.amdhsa_float_denorm_mode_32 3
		.amdhsa_float_denorm_mode_16_64 3
		.amdhsa_dx10_clamp 1
		.amdhsa_ieee_mode 1
		.amdhsa_fp16_overflow 0
		.amdhsa_tg_split 0
		.amdhsa_exception_fp_ieee_invalid_op 0
		.amdhsa_exception_fp_denorm_src 0
		.amdhsa_exception_fp_ieee_div_zero 0
		.amdhsa_exception_fp_ieee_overflow 0
		.amdhsa_exception_fp_ieee_underflow 0
		.amdhsa_exception_fp_ieee_inexact 0
		.amdhsa_exception_int_div_zero 0
	.end_amdhsa_kernel
	.section	.text._ZN7rocprim17ROCPRIM_400000_NS6detail17trampoline_kernelINS0_14default_configENS1_20scan_config_selectorIlEEZZNS1_9scan_implILNS1_25lookback_scan_determinismE0ELb0ELb0ES3_PlS8_lN6thrust23THRUST_200600_302600_NS4plusIvEElEEDaPvRmT3_T4_T5_mT6_P12ihipStream_tbENKUlT_T0_E_clISt17integral_constantIbLb0EESP_IbLb1EEEEDaSL_SM_EUlSL_E_NS1_11comp_targetILNS1_3genE0ELNS1_11target_archE4294967295ELNS1_3gpuE0ELNS1_3repE0EEENS1_30default_config_static_selectorELNS0_4arch9wavefront6targetE1EEEvT1_,"axG",@progbits,_ZN7rocprim17ROCPRIM_400000_NS6detail17trampoline_kernelINS0_14default_configENS1_20scan_config_selectorIlEEZZNS1_9scan_implILNS1_25lookback_scan_determinismE0ELb0ELb0ES3_PlS8_lN6thrust23THRUST_200600_302600_NS4plusIvEElEEDaPvRmT3_T4_T5_mT6_P12ihipStream_tbENKUlT_T0_E_clISt17integral_constantIbLb0EESP_IbLb1EEEEDaSL_SM_EUlSL_E_NS1_11comp_targetILNS1_3genE0ELNS1_11target_archE4294967295ELNS1_3gpuE0ELNS1_3repE0EEENS1_30default_config_static_selectorELNS0_4arch9wavefront6targetE1EEEvT1_,comdat
.Lfunc_end141:
	.size	_ZN7rocprim17ROCPRIM_400000_NS6detail17trampoline_kernelINS0_14default_configENS1_20scan_config_selectorIlEEZZNS1_9scan_implILNS1_25lookback_scan_determinismE0ELb0ELb0ES3_PlS8_lN6thrust23THRUST_200600_302600_NS4plusIvEElEEDaPvRmT3_T4_T5_mT6_P12ihipStream_tbENKUlT_T0_E_clISt17integral_constantIbLb0EESP_IbLb1EEEEDaSL_SM_EUlSL_E_NS1_11comp_targetILNS1_3genE0ELNS1_11target_archE4294967295ELNS1_3gpuE0ELNS1_3repE0EEENS1_30default_config_static_selectorELNS0_4arch9wavefront6targetE1EEEvT1_, .Lfunc_end141-_ZN7rocprim17ROCPRIM_400000_NS6detail17trampoline_kernelINS0_14default_configENS1_20scan_config_selectorIlEEZZNS1_9scan_implILNS1_25lookback_scan_determinismE0ELb0ELb0ES3_PlS8_lN6thrust23THRUST_200600_302600_NS4plusIvEElEEDaPvRmT3_T4_T5_mT6_P12ihipStream_tbENKUlT_T0_E_clISt17integral_constantIbLb0EESP_IbLb1EEEEDaSL_SM_EUlSL_E_NS1_11comp_targetILNS1_3genE0ELNS1_11target_archE4294967295ELNS1_3gpuE0ELNS1_3repE0EEENS1_30default_config_static_selectorELNS0_4arch9wavefront6targetE1EEEvT1_
                                        ; -- End function
	.section	.AMDGPU.csdata,"",@progbits
; Kernel info:
; codeLenInByte = 0
; NumSgprs: 4
; NumVgprs: 0
; NumAgprs: 0
; TotalNumVgprs: 0
; ScratchSize: 0
; MemoryBound: 0
; FloatMode: 240
; IeeeMode: 1
; LDSByteSize: 0 bytes/workgroup (compile time only)
; SGPRBlocks: 0
; VGPRBlocks: 0
; NumSGPRsForWavesPerEU: 4
; NumVGPRsForWavesPerEU: 1
; AccumOffset: 4
; Occupancy: 8
; WaveLimiterHint : 0
; COMPUTE_PGM_RSRC2:SCRATCH_EN: 0
; COMPUTE_PGM_RSRC2:USER_SGPR: 6
; COMPUTE_PGM_RSRC2:TRAP_HANDLER: 0
; COMPUTE_PGM_RSRC2:TGID_X_EN: 1
; COMPUTE_PGM_RSRC2:TGID_Y_EN: 0
; COMPUTE_PGM_RSRC2:TGID_Z_EN: 0
; COMPUTE_PGM_RSRC2:TIDIG_COMP_CNT: 0
; COMPUTE_PGM_RSRC3_GFX90A:ACCUM_OFFSET: 0
; COMPUTE_PGM_RSRC3_GFX90A:TG_SPLIT: 0
	.section	.text._ZN7rocprim17ROCPRIM_400000_NS6detail17trampoline_kernelINS0_14default_configENS1_20scan_config_selectorIlEEZZNS1_9scan_implILNS1_25lookback_scan_determinismE0ELb0ELb0ES3_PlS8_lN6thrust23THRUST_200600_302600_NS4plusIvEElEEDaPvRmT3_T4_T5_mT6_P12ihipStream_tbENKUlT_T0_E_clISt17integral_constantIbLb0EESP_IbLb1EEEEDaSL_SM_EUlSL_E_NS1_11comp_targetILNS1_3genE5ELNS1_11target_archE942ELNS1_3gpuE9ELNS1_3repE0EEENS1_30default_config_static_selectorELNS0_4arch9wavefront6targetE1EEEvT1_,"axG",@progbits,_ZN7rocprim17ROCPRIM_400000_NS6detail17trampoline_kernelINS0_14default_configENS1_20scan_config_selectorIlEEZZNS1_9scan_implILNS1_25lookback_scan_determinismE0ELb0ELb0ES3_PlS8_lN6thrust23THRUST_200600_302600_NS4plusIvEElEEDaPvRmT3_T4_T5_mT6_P12ihipStream_tbENKUlT_T0_E_clISt17integral_constantIbLb0EESP_IbLb1EEEEDaSL_SM_EUlSL_E_NS1_11comp_targetILNS1_3genE5ELNS1_11target_archE942ELNS1_3gpuE9ELNS1_3repE0EEENS1_30default_config_static_selectorELNS0_4arch9wavefront6targetE1EEEvT1_,comdat
	.protected	_ZN7rocprim17ROCPRIM_400000_NS6detail17trampoline_kernelINS0_14default_configENS1_20scan_config_selectorIlEEZZNS1_9scan_implILNS1_25lookback_scan_determinismE0ELb0ELb0ES3_PlS8_lN6thrust23THRUST_200600_302600_NS4plusIvEElEEDaPvRmT3_T4_T5_mT6_P12ihipStream_tbENKUlT_T0_E_clISt17integral_constantIbLb0EESP_IbLb1EEEEDaSL_SM_EUlSL_E_NS1_11comp_targetILNS1_3genE5ELNS1_11target_archE942ELNS1_3gpuE9ELNS1_3repE0EEENS1_30default_config_static_selectorELNS0_4arch9wavefront6targetE1EEEvT1_ ; -- Begin function _ZN7rocprim17ROCPRIM_400000_NS6detail17trampoline_kernelINS0_14default_configENS1_20scan_config_selectorIlEEZZNS1_9scan_implILNS1_25lookback_scan_determinismE0ELb0ELb0ES3_PlS8_lN6thrust23THRUST_200600_302600_NS4plusIvEElEEDaPvRmT3_T4_T5_mT6_P12ihipStream_tbENKUlT_T0_E_clISt17integral_constantIbLb0EESP_IbLb1EEEEDaSL_SM_EUlSL_E_NS1_11comp_targetILNS1_3genE5ELNS1_11target_archE942ELNS1_3gpuE9ELNS1_3repE0EEENS1_30default_config_static_selectorELNS0_4arch9wavefront6targetE1EEEvT1_
	.globl	_ZN7rocprim17ROCPRIM_400000_NS6detail17trampoline_kernelINS0_14default_configENS1_20scan_config_selectorIlEEZZNS1_9scan_implILNS1_25lookback_scan_determinismE0ELb0ELb0ES3_PlS8_lN6thrust23THRUST_200600_302600_NS4plusIvEElEEDaPvRmT3_T4_T5_mT6_P12ihipStream_tbENKUlT_T0_E_clISt17integral_constantIbLb0EESP_IbLb1EEEEDaSL_SM_EUlSL_E_NS1_11comp_targetILNS1_3genE5ELNS1_11target_archE942ELNS1_3gpuE9ELNS1_3repE0EEENS1_30default_config_static_selectorELNS0_4arch9wavefront6targetE1EEEvT1_
	.p2align	8
	.type	_ZN7rocprim17ROCPRIM_400000_NS6detail17trampoline_kernelINS0_14default_configENS1_20scan_config_selectorIlEEZZNS1_9scan_implILNS1_25lookback_scan_determinismE0ELb0ELb0ES3_PlS8_lN6thrust23THRUST_200600_302600_NS4plusIvEElEEDaPvRmT3_T4_T5_mT6_P12ihipStream_tbENKUlT_T0_E_clISt17integral_constantIbLb0EESP_IbLb1EEEEDaSL_SM_EUlSL_E_NS1_11comp_targetILNS1_3genE5ELNS1_11target_archE942ELNS1_3gpuE9ELNS1_3repE0EEENS1_30default_config_static_selectorELNS0_4arch9wavefront6targetE1EEEvT1_,@function
_ZN7rocprim17ROCPRIM_400000_NS6detail17trampoline_kernelINS0_14default_configENS1_20scan_config_selectorIlEEZZNS1_9scan_implILNS1_25lookback_scan_determinismE0ELb0ELb0ES3_PlS8_lN6thrust23THRUST_200600_302600_NS4plusIvEElEEDaPvRmT3_T4_T5_mT6_P12ihipStream_tbENKUlT_T0_E_clISt17integral_constantIbLb0EESP_IbLb1EEEEDaSL_SM_EUlSL_E_NS1_11comp_targetILNS1_3genE5ELNS1_11target_archE942ELNS1_3gpuE9ELNS1_3repE0EEENS1_30default_config_static_selectorELNS0_4arch9wavefront6targetE1EEEvT1_: ; @_ZN7rocprim17ROCPRIM_400000_NS6detail17trampoline_kernelINS0_14default_configENS1_20scan_config_selectorIlEEZZNS1_9scan_implILNS1_25lookback_scan_determinismE0ELb0ELb0ES3_PlS8_lN6thrust23THRUST_200600_302600_NS4plusIvEElEEDaPvRmT3_T4_T5_mT6_P12ihipStream_tbENKUlT_T0_E_clISt17integral_constantIbLb0EESP_IbLb1EEEEDaSL_SM_EUlSL_E_NS1_11comp_targetILNS1_3genE5ELNS1_11target_archE942ELNS1_3gpuE9ELNS1_3repE0EEENS1_30default_config_static_selectorELNS0_4arch9wavefront6targetE1EEEvT1_
; %bb.0:
	.section	.rodata,"a",@progbits
	.p2align	6, 0x0
	.amdhsa_kernel _ZN7rocprim17ROCPRIM_400000_NS6detail17trampoline_kernelINS0_14default_configENS1_20scan_config_selectorIlEEZZNS1_9scan_implILNS1_25lookback_scan_determinismE0ELb0ELb0ES3_PlS8_lN6thrust23THRUST_200600_302600_NS4plusIvEElEEDaPvRmT3_T4_T5_mT6_P12ihipStream_tbENKUlT_T0_E_clISt17integral_constantIbLb0EESP_IbLb1EEEEDaSL_SM_EUlSL_E_NS1_11comp_targetILNS1_3genE5ELNS1_11target_archE942ELNS1_3gpuE9ELNS1_3repE0EEENS1_30default_config_static_selectorELNS0_4arch9wavefront6targetE1EEEvT1_
		.amdhsa_group_segment_fixed_size 0
		.amdhsa_private_segment_fixed_size 0
		.amdhsa_kernarg_size 104
		.amdhsa_user_sgpr_count 6
		.amdhsa_user_sgpr_private_segment_buffer 1
		.amdhsa_user_sgpr_dispatch_ptr 0
		.amdhsa_user_sgpr_queue_ptr 0
		.amdhsa_user_sgpr_kernarg_segment_ptr 1
		.amdhsa_user_sgpr_dispatch_id 0
		.amdhsa_user_sgpr_flat_scratch_init 0
		.amdhsa_user_sgpr_kernarg_preload_length 0
		.amdhsa_user_sgpr_kernarg_preload_offset 0
		.amdhsa_user_sgpr_private_segment_size 0
		.amdhsa_uses_dynamic_stack 0
		.amdhsa_system_sgpr_private_segment_wavefront_offset 0
		.amdhsa_system_sgpr_workgroup_id_x 1
		.amdhsa_system_sgpr_workgroup_id_y 0
		.amdhsa_system_sgpr_workgroup_id_z 0
		.amdhsa_system_sgpr_workgroup_info 0
		.amdhsa_system_vgpr_workitem_id 0
		.amdhsa_next_free_vgpr 1
		.amdhsa_next_free_sgpr 0
		.amdhsa_accum_offset 4
		.amdhsa_reserve_vcc 0
		.amdhsa_reserve_flat_scratch 0
		.amdhsa_float_round_mode_32 0
		.amdhsa_float_round_mode_16_64 0
		.amdhsa_float_denorm_mode_32 3
		.amdhsa_float_denorm_mode_16_64 3
		.amdhsa_dx10_clamp 1
		.amdhsa_ieee_mode 1
		.amdhsa_fp16_overflow 0
		.amdhsa_tg_split 0
		.amdhsa_exception_fp_ieee_invalid_op 0
		.amdhsa_exception_fp_denorm_src 0
		.amdhsa_exception_fp_ieee_div_zero 0
		.amdhsa_exception_fp_ieee_overflow 0
		.amdhsa_exception_fp_ieee_underflow 0
		.amdhsa_exception_fp_ieee_inexact 0
		.amdhsa_exception_int_div_zero 0
	.end_amdhsa_kernel
	.section	.text._ZN7rocprim17ROCPRIM_400000_NS6detail17trampoline_kernelINS0_14default_configENS1_20scan_config_selectorIlEEZZNS1_9scan_implILNS1_25lookback_scan_determinismE0ELb0ELb0ES3_PlS8_lN6thrust23THRUST_200600_302600_NS4plusIvEElEEDaPvRmT3_T4_T5_mT6_P12ihipStream_tbENKUlT_T0_E_clISt17integral_constantIbLb0EESP_IbLb1EEEEDaSL_SM_EUlSL_E_NS1_11comp_targetILNS1_3genE5ELNS1_11target_archE942ELNS1_3gpuE9ELNS1_3repE0EEENS1_30default_config_static_selectorELNS0_4arch9wavefront6targetE1EEEvT1_,"axG",@progbits,_ZN7rocprim17ROCPRIM_400000_NS6detail17trampoline_kernelINS0_14default_configENS1_20scan_config_selectorIlEEZZNS1_9scan_implILNS1_25lookback_scan_determinismE0ELb0ELb0ES3_PlS8_lN6thrust23THRUST_200600_302600_NS4plusIvEElEEDaPvRmT3_T4_T5_mT6_P12ihipStream_tbENKUlT_T0_E_clISt17integral_constantIbLb0EESP_IbLb1EEEEDaSL_SM_EUlSL_E_NS1_11comp_targetILNS1_3genE5ELNS1_11target_archE942ELNS1_3gpuE9ELNS1_3repE0EEENS1_30default_config_static_selectorELNS0_4arch9wavefront6targetE1EEEvT1_,comdat
.Lfunc_end142:
	.size	_ZN7rocprim17ROCPRIM_400000_NS6detail17trampoline_kernelINS0_14default_configENS1_20scan_config_selectorIlEEZZNS1_9scan_implILNS1_25lookback_scan_determinismE0ELb0ELb0ES3_PlS8_lN6thrust23THRUST_200600_302600_NS4plusIvEElEEDaPvRmT3_T4_T5_mT6_P12ihipStream_tbENKUlT_T0_E_clISt17integral_constantIbLb0EESP_IbLb1EEEEDaSL_SM_EUlSL_E_NS1_11comp_targetILNS1_3genE5ELNS1_11target_archE942ELNS1_3gpuE9ELNS1_3repE0EEENS1_30default_config_static_selectorELNS0_4arch9wavefront6targetE1EEEvT1_, .Lfunc_end142-_ZN7rocprim17ROCPRIM_400000_NS6detail17trampoline_kernelINS0_14default_configENS1_20scan_config_selectorIlEEZZNS1_9scan_implILNS1_25lookback_scan_determinismE0ELb0ELb0ES3_PlS8_lN6thrust23THRUST_200600_302600_NS4plusIvEElEEDaPvRmT3_T4_T5_mT6_P12ihipStream_tbENKUlT_T0_E_clISt17integral_constantIbLb0EESP_IbLb1EEEEDaSL_SM_EUlSL_E_NS1_11comp_targetILNS1_3genE5ELNS1_11target_archE942ELNS1_3gpuE9ELNS1_3repE0EEENS1_30default_config_static_selectorELNS0_4arch9wavefront6targetE1EEEvT1_
                                        ; -- End function
	.section	.AMDGPU.csdata,"",@progbits
; Kernel info:
; codeLenInByte = 0
; NumSgprs: 4
; NumVgprs: 0
; NumAgprs: 0
; TotalNumVgprs: 0
; ScratchSize: 0
; MemoryBound: 0
; FloatMode: 240
; IeeeMode: 1
; LDSByteSize: 0 bytes/workgroup (compile time only)
; SGPRBlocks: 0
; VGPRBlocks: 0
; NumSGPRsForWavesPerEU: 4
; NumVGPRsForWavesPerEU: 1
; AccumOffset: 4
; Occupancy: 8
; WaveLimiterHint : 0
; COMPUTE_PGM_RSRC2:SCRATCH_EN: 0
; COMPUTE_PGM_RSRC2:USER_SGPR: 6
; COMPUTE_PGM_RSRC2:TRAP_HANDLER: 0
; COMPUTE_PGM_RSRC2:TGID_X_EN: 1
; COMPUTE_PGM_RSRC2:TGID_Y_EN: 0
; COMPUTE_PGM_RSRC2:TGID_Z_EN: 0
; COMPUTE_PGM_RSRC2:TIDIG_COMP_CNT: 0
; COMPUTE_PGM_RSRC3_GFX90A:ACCUM_OFFSET: 0
; COMPUTE_PGM_RSRC3_GFX90A:TG_SPLIT: 0
	.section	.text._ZN7rocprim17ROCPRIM_400000_NS6detail17trampoline_kernelINS0_14default_configENS1_20scan_config_selectorIlEEZZNS1_9scan_implILNS1_25lookback_scan_determinismE0ELb0ELb0ES3_PlS8_lN6thrust23THRUST_200600_302600_NS4plusIvEElEEDaPvRmT3_T4_T5_mT6_P12ihipStream_tbENKUlT_T0_E_clISt17integral_constantIbLb0EESP_IbLb1EEEEDaSL_SM_EUlSL_E_NS1_11comp_targetILNS1_3genE4ELNS1_11target_archE910ELNS1_3gpuE8ELNS1_3repE0EEENS1_30default_config_static_selectorELNS0_4arch9wavefront6targetE1EEEvT1_,"axG",@progbits,_ZN7rocprim17ROCPRIM_400000_NS6detail17trampoline_kernelINS0_14default_configENS1_20scan_config_selectorIlEEZZNS1_9scan_implILNS1_25lookback_scan_determinismE0ELb0ELb0ES3_PlS8_lN6thrust23THRUST_200600_302600_NS4plusIvEElEEDaPvRmT3_T4_T5_mT6_P12ihipStream_tbENKUlT_T0_E_clISt17integral_constantIbLb0EESP_IbLb1EEEEDaSL_SM_EUlSL_E_NS1_11comp_targetILNS1_3genE4ELNS1_11target_archE910ELNS1_3gpuE8ELNS1_3repE0EEENS1_30default_config_static_selectorELNS0_4arch9wavefront6targetE1EEEvT1_,comdat
	.protected	_ZN7rocprim17ROCPRIM_400000_NS6detail17trampoline_kernelINS0_14default_configENS1_20scan_config_selectorIlEEZZNS1_9scan_implILNS1_25lookback_scan_determinismE0ELb0ELb0ES3_PlS8_lN6thrust23THRUST_200600_302600_NS4plusIvEElEEDaPvRmT3_T4_T5_mT6_P12ihipStream_tbENKUlT_T0_E_clISt17integral_constantIbLb0EESP_IbLb1EEEEDaSL_SM_EUlSL_E_NS1_11comp_targetILNS1_3genE4ELNS1_11target_archE910ELNS1_3gpuE8ELNS1_3repE0EEENS1_30default_config_static_selectorELNS0_4arch9wavefront6targetE1EEEvT1_ ; -- Begin function _ZN7rocprim17ROCPRIM_400000_NS6detail17trampoline_kernelINS0_14default_configENS1_20scan_config_selectorIlEEZZNS1_9scan_implILNS1_25lookback_scan_determinismE0ELb0ELb0ES3_PlS8_lN6thrust23THRUST_200600_302600_NS4plusIvEElEEDaPvRmT3_T4_T5_mT6_P12ihipStream_tbENKUlT_T0_E_clISt17integral_constantIbLb0EESP_IbLb1EEEEDaSL_SM_EUlSL_E_NS1_11comp_targetILNS1_3genE4ELNS1_11target_archE910ELNS1_3gpuE8ELNS1_3repE0EEENS1_30default_config_static_selectorELNS0_4arch9wavefront6targetE1EEEvT1_
	.globl	_ZN7rocprim17ROCPRIM_400000_NS6detail17trampoline_kernelINS0_14default_configENS1_20scan_config_selectorIlEEZZNS1_9scan_implILNS1_25lookback_scan_determinismE0ELb0ELb0ES3_PlS8_lN6thrust23THRUST_200600_302600_NS4plusIvEElEEDaPvRmT3_T4_T5_mT6_P12ihipStream_tbENKUlT_T0_E_clISt17integral_constantIbLb0EESP_IbLb1EEEEDaSL_SM_EUlSL_E_NS1_11comp_targetILNS1_3genE4ELNS1_11target_archE910ELNS1_3gpuE8ELNS1_3repE0EEENS1_30default_config_static_selectorELNS0_4arch9wavefront6targetE1EEEvT1_
	.p2align	8
	.type	_ZN7rocprim17ROCPRIM_400000_NS6detail17trampoline_kernelINS0_14default_configENS1_20scan_config_selectorIlEEZZNS1_9scan_implILNS1_25lookback_scan_determinismE0ELb0ELb0ES3_PlS8_lN6thrust23THRUST_200600_302600_NS4plusIvEElEEDaPvRmT3_T4_T5_mT6_P12ihipStream_tbENKUlT_T0_E_clISt17integral_constantIbLb0EESP_IbLb1EEEEDaSL_SM_EUlSL_E_NS1_11comp_targetILNS1_3genE4ELNS1_11target_archE910ELNS1_3gpuE8ELNS1_3repE0EEENS1_30default_config_static_selectorELNS0_4arch9wavefront6targetE1EEEvT1_,@function
_ZN7rocprim17ROCPRIM_400000_NS6detail17trampoline_kernelINS0_14default_configENS1_20scan_config_selectorIlEEZZNS1_9scan_implILNS1_25lookback_scan_determinismE0ELb0ELb0ES3_PlS8_lN6thrust23THRUST_200600_302600_NS4plusIvEElEEDaPvRmT3_T4_T5_mT6_P12ihipStream_tbENKUlT_T0_E_clISt17integral_constantIbLb0EESP_IbLb1EEEEDaSL_SM_EUlSL_E_NS1_11comp_targetILNS1_3genE4ELNS1_11target_archE910ELNS1_3gpuE8ELNS1_3repE0EEENS1_30default_config_static_selectorELNS0_4arch9wavefront6targetE1EEEvT1_: ; @_ZN7rocprim17ROCPRIM_400000_NS6detail17trampoline_kernelINS0_14default_configENS1_20scan_config_selectorIlEEZZNS1_9scan_implILNS1_25lookback_scan_determinismE0ELb0ELb0ES3_PlS8_lN6thrust23THRUST_200600_302600_NS4plusIvEElEEDaPvRmT3_T4_T5_mT6_P12ihipStream_tbENKUlT_T0_E_clISt17integral_constantIbLb0EESP_IbLb1EEEEDaSL_SM_EUlSL_E_NS1_11comp_targetILNS1_3genE4ELNS1_11target_archE910ELNS1_3gpuE8ELNS1_3repE0EEENS1_30default_config_static_selectorELNS0_4arch9wavefront6targetE1EEEvT1_
; %bb.0:
	s_load_dwordx2 s[10:11], s[4:5], 0x30
	v_cmp_ne_u32_e64 s[0:1], 0, v0
	v_cmp_eq_u32_e64 s[2:3], 0, v0
	s_and_saveexec_b64 s[6:7], s[2:3]
	s_cbranch_execz .LBB143_4
; %bb.1:
	s_mov_b64 s[12:13], exec
	v_mbcnt_lo_u32_b32 v1, s12, 0
	v_mbcnt_hi_u32_b32 v1, s13, v1
	v_cmp_eq_u32_e32 vcc, 0, v1
                                        ; implicit-def: $vgpr2
	s_and_saveexec_b64 s[8:9], vcc
	s_cbranch_execz .LBB143_3
; %bb.2:
	s_load_dwordx2 s[14:15], s[4:5], 0x60
	s_bcnt1_i32_b64 s12, s[12:13]
	v_mov_b32_e32 v2, 0
	v_mov_b32_e32 v3, s12
	s_waitcnt lgkmcnt(0)
	global_atomic_add v2, v2, v3, s[14:15] glc
.LBB143_3:
	s_or_b64 exec, exec, s[8:9]
	s_waitcnt vmcnt(0)
	v_readfirstlane_b32 s8, v2
	v_add_u32_e32 v1, s8, v1
	v_mov_b32_e32 v2, 0
	ds_write_b32 v2, v1
.LBB143_4:
	s_or_b64 exec, exec, s[6:7]
	s_load_dwordx8 s[20:27], s[4:5], 0x0
	s_load_dword s6, s[4:5], 0x38
	s_load_dwordx8 s[12:19], s[4:5], 0x40
	v_mov_b32_e32 v1, 0
	s_waitcnt lgkmcnt(0)
	s_barrier
	ds_read_b32 v1, v1
	s_lshl_b64 s[22:23], s[22:23], 3
	s_add_u32 s7, s20, s22
	s_addc_u32 s8, s21, s23
	s_add_i32 s6, s6, -1
	s_mul_i32 s9, s6, 0x380
	s_sub_u32 s30, s26, s9
	s_waitcnt lgkmcnt(0)
	v_readfirstlane_b32 s33, v1
	s_subb_u32 s31, s27, 0
	s_mul_i32 s4, s33, 0x380
	s_mov_b32 s5, 0
	s_cmp_lg_u32 s33, s6
	s_cselect_b64 s[20:21], -1, 0
	s_lshl_b64 s[26:27], s[4:5], 3
	s_add_u32 s6, s7, s26
	s_addc_u32 s7, s8, s27
	s_mov_b64 s[4:5], -1
	s_and_b64 vcc, exec, s[20:21]
	v_lshlrev_b32_e32 v36, 3, v0
	s_barrier
	s_cbranch_vccz .LBB143_6
; %bb.5:
	v_mov_b32_e32 v1, s7
	v_add_co_u32_e32 v10, vcc, s6, v36
	v_addc_co_u32_e32 v1, vcc, 0, v1, vcc
	v_add_co_u32_e32 v10, vcc, 0x1000, v10
	v_addc_co_u32_e32 v11, vcc, 0, v1, vcc
	global_load_dwordx2 v[2:3], v36, s[6:7]
	global_load_dwordx2 v[4:5], v36, s[6:7] offset:1024
	global_load_dwordx2 v[6:7], v36, s[6:7] offset:2048
	global_load_dwordx2 v[8:9], v36, s[6:7] offset:3072
	global_load_dwordx2 v[12:13], v[10:11], off
	global_load_dwordx2 v[14:15], v[10:11], off offset:1024
	global_load_dwordx2 v[16:17], v[10:11], off offset:2048
	s_mov_b64 s[4:5], 0
	s_waitcnt vmcnt(5)
	ds_write2st64_b64 v36, v[2:3], v[4:5] offset1:2
	s_waitcnt vmcnt(3)
	ds_write2st64_b64 v36, v[6:7], v[8:9] offset0:4 offset1:6
	s_waitcnt vmcnt(1)
	ds_write2st64_b64 v36, v[12:13], v[14:15] offset0:8 offset1:10
	s_waitcnt vmcnt(0)
	ds_write_b64 v36, v[16:17] offset:6144
	s_waitcnt lgkmcnt(0)
	s_barrier
.LBB143_6:
	s_andn2_b64 vcc, exec, s[4:5]
	v_cmp_gt_u32_e64 s[4:5], s30, v0
	s_cbranch_vccnz .LBB143_22
; %bb.7:
	v_mov_b32_e32 v1, 0
	global_load_dwordx2 v[2:3], v1, s[6:7]
	s_waitcnt vmcnt(0)
	v_mov_b32_e32 v4, v2
	v_mov_b32_e32 v5, v3
	;; [unrolled: 1-line block ×10, first 2 shown]
	v_pk_mov_b32 v[18:19], v[14:15], v[14:15] op_sel:[0,1]
	v_pk_mov_b32 v[16:17], v[12:13], v[12:13] op_sel:[0,1]
	;; [unrolled: 1-line block ×8, first 2 shown]
	s_and_saveexec_b64 s[8:9], s[4:5]
	s_cbranch_execz .LBB143_9
; %bb.8:
	global_load_dwordx2 v[20:21], v36, s[6:7]
	v_mov_b32_e32 v4, v2
	v_mov_b32_e32 v5, v3
	v_mov_b32_e32 v6, v2
	v_mov_b32_e32 v7, v3
	v_mov_b32_e32 v8, v2
	v_mov_b32_e32 v9, v3
	v_mov_b32_e32 v10, v2
	v_mov_b32_e32 v11, v3
	v_mov_b32_e32 v12, v2
	v_mov_b32_e32 v13, v3
	v_pk_mov_b32 v[18:19], v[14:15], v[14:15] op_sel:[0,1]
	v_pk_mov_b32 v[16:17], v[12:13], v[12:13] op_sel:[0,1]
	v_pk_mov_b32 v[14:15], v[10:11], v[10:11] op_sel:[0,1]
	v_pk_mov_b32 v[12:13], v[8:9], v[8:9] op_sel:[0,1]
	v_pk_mov_b32 v[10:11], v[6:7], v[6:7] op_sel:[0,1]
	v_pk_mov_b32 v[8:9], v[4:5], v[4:5] op_sel:[0,1]
	v_pk_mov_b32 v[6:7], v[2:3], v[2:3] op_sel:[0,1]
	v_pk_mov_b32 v[4:5], v[0:1], v[0:1] op_sel:[0,1]
	s_waitcnt vmcnt(0)
	v_pk_mov_b32 v[2:3], v[20:21], v[20:21] op_sel:[0,1]
.LBB143_9:
	s_or_b64 exec, exec, s[8:9]
	v_or_b32_e32 v1, 0x80, v0
	v_cmp_gt_u32_e32 vcc, s30, v1
	s_and_saveexec_b64 s[4:5], vcc
	s_cbranch_execz .LBB143_11
; %bb.10:
	global_load_dwordx2 v[6:7], v36, s[6:7] offset:1024
.LBB143_11:
	s_or_b64 exec, exec, s[4:5]
	v_or_b32_e32 v1, 0x100, v0
	v_cmp_gt_u32_e32 vcc, s30, v1
	s_and_saveexec_b64 s[4:5], vcc
	s_cbranch_execz .LBB143_13
; %bb.12:
	global_load_dwordx2 v[8:9], v36, s[6:7] offset:2048
.LBB143_13:
	;; [unrolled: 8-line block ×3, first 2 shown]
	s_or_b64 exec, exec, s[4:5]
	v_or_b32_e32 v1, 0x200, v0
	v_cmp_gt_u32_e32 vcc, s30, v1
	s_and_saveexec_b64 s[4:5], vcc
	s_cbranch_execz .LBB143_17
; %bb.16:
	v_lshlrev_b32_e32 v1, 3, v1
	global_load_dwordx2 v[12:13], v1, s[6:7]
.LBB143_17:
	s_or_b64 exec, exec, s[4:5]
	v_or_b32_e32 v1, 0x280, v0
	v_cmp_gt_u32_e32 vcc, s30, v1
	s_and_saveexec_b64 s[4:5], vcc
	s_cbranch_execz .LBB143_19
; %bb.18:
	v_lshlrev_b32_e32 v1, 3, v1
	global_load_dwordx2 v[14:15], v1, s[6:7]
.LBB143_19:
	;; [unrolled: 9-line block ×3, first 2 shown]
	s_or_b64 exec, exec, s[4:5]
	s_waitcnt vmcnt(0)
	ds_write2st64_b64 v36, v[2:3], v[6:7] offset1:2
	ds_write2st64_b64 v36, v[8:9], v[10:11] offset0:4 offset1:6
	ds_write2st64_b64 v36, v[12:13], v[14:15] offset0:8 offset1:10
	ds_write_b64 v36, v[16:17] offset:6144
	s_waitcnt lgkmcnt(0)
	s_barrier
.LBB143_22:
	v_mul_u32_u24_e32 v37, 7, v0
	v_lshlrev_b32_e32 v1, 3, v37
	ds_read2_b64 v[2:5], v1 offset1:1
	ds_read2_b64 v[10:13], v1 offset0:2 offset1:3
	ds_read2_b64 v[6:9], v1 offset0:4 offset1:5
	ds_read_b64 v[28:29], v1 offset:48
	s_cmp_lg_u32 s33, 0
	v_lshrrev_b32_e32 v38, 5, v0
	v_cmp_gt_u32_e32 vcc, 64, v0
	s_waitcnt lgkmcnt(0)
	s_barrier
	s_cbranch_scc0 .LBB143_49
; %bb.23:
	v_add_co_u32_e64 v1, s[4:5], v4, v2
	v_addc_co_u32_e64 v14, s[4:5], v5, v3, s[4:5]
	v_add_co_u32_e64 v1, s[4:5], v1, v10
	v_addc_co_u32_e64 v14, s[4:5], v14, v11, s[4:5]
	;; [unrolled: 2-line block ×6, first 2 shown]
	v_add_lshl_u32 v1, v38, v0, 3
	ds_write_b64 v1, v[18:19]
	s_waitcnt lgkmcnt(0)
	s_barrier
	s_and_saveexec_b64 s[8:9], vcc
	s_cbranch_execz .LBB143_27
; %bb.24:
	v_lshlrev_b32_e32 v1, 1, v0
	v_lshrrev_b32_e32 v14, 4, v0
	v_add_lshl_u32 v20, v14, v1, 3
	ds_read2_b64 v[14:17], v20 offset1:1
	v_mbcnt_lo_u32_b32 v1, -1, 0
	s_waitcnt lgkmcnt(0)
	v_add_co_u32_e64 v21, s[4:5], v16, v14
	v_addc_co_u32_e64 v22, s[4:5], v17, v15, s[4:5]
	s_nop 0
	v_mov_b32_dpp v16, v21 row_shr:1 row_mask:0xf bank_mask:0xf
	v_add_co_u32_e64 v16, s[4:5], v21, v16
	v_addc_co_u32_e64 v24, s[4:5], 0, v22, s[4:5]
	v_mbcnt_hi_u32_b32 v17, -1, v1
	v_mov_b32_dpp v23, v22 row_shr:1 row_mask:0xf bank_mask:0xf
	v_add_co_u32_e64 v25, s[4:5], 0, v16
	v_and_b32_e32 v1, 15, v17
	v_addc_co_u32_e64 v23, s[4:5], v23, v24, s[4:5]
	v_cmp_eq_u32_e64 s[4:5], 0, v1
	v_cndmask_b32_e64 v16, v16, v21, s[4:5]
	v_cndmask_b32_e64 v23, v23, v22, s[4:5]
	v_cndmask_b32_e64 v24, v25, v21, s[4:5]
	v_mov_b32_dpp v25, v16 row_shr:2 row_mask:0xf bank_mask:0xf
	v_mov_b32_dpp v26, v23 row_shr:2 row_mask:0xf bank_mask:0xf
	v_add_co_u32_e64 v25, s[4:5], v25, v24
	v_addc_co_u32_e64 v26, s[4:5], v26, v23, s[4:5]
	v_cmp_lt_u32_e64 s[4:5], 1, v1
	v_cndmask_b32_e64 v16, v16, v25, s[4:5]
	v_cndmask_b32_e64 v23, v23, v26, s[4:5]
	v_cndmask_b32_e64 v24, v24, v25, s[4:5]
	v_mov_b32_dpp v25, v16 row_shr:4 row_mask:0xf bank_mask:0xf
	v_mov_b32_dpp v26, v23 row_shr:4 row_mask:0xf bank_mask:0xf
	v_add_co_u32_e64 v25, s[4:5], v25, v24
	v_addc_co_u32_e64 v26, s[4:5], v26, v23, s[4:5]
	v_cmp_lt_u32_e64 s[4:5], 3, v1
	;; [unrolled: 8-line block ×3, first 2 shown]
	v_cndmask_b32_e64 v27, v16, v25, s[4:5]
	v_cndmask_b32_e64 v1, v23, v26, s[4:5]
	v_cndmask_b32_e64 v16, v24, v25, s[4:5]
	v_mov_b32_dpp v23, v27 row_bcast:15 row_mask:0xf bank_mask:0xf
	v_mov_b32_dpp v24, v1 row_bcast:15 row_mask:0xf bank_mask:0xf
	v_add_co_u32_e64 v23, s[4:5], v23, v16
	v_and_b32_e32 v26, 16, v17
	v_addc_co_u32_e64 v25, s[4:5], v24, v1, s[4:5]
	v_cmp_eq_u32_e64 s[4:5], 0, v26
	v_cndmask_b32_e64 v26, v25, v1, s[4:5]
	v_cndmask_b32_e64 v24, v23, v27, s[4:5]
	v_cmp_ne_u32_e64 s[6:7], 0, v17
	v_mov_b32_dpp v26, v26 row_bcast:31 row_mask:0xf bank_mask:0xf
	v_mov_b32_dpp v24, v24 row_bcast:31 row_mask:0xf bank_mask:0xf
	s_and_saveexec_b64 s[28:29], s[6:7]
; %bb.25:
	v_cndmask_b32_e64 v1, v25, v1, s[4:5]
	v_cndmask_b32_e64 v16, v23, v16, s[4:5]
	v_cmp_lt_u32_e64 s[4:5], 31, v17
	v_cndmask_b32_e64 v21, 0, v24, s[4:5]
	v_cndmask_b32_e64 v22, 0, v26, s[4:5]
	v_add_co_u32_e64 v21, s[4:5], v21, v16
	v_addc_co_u32_e64 v22, s[4:5], v22, v1, s[4:5]
; %bb.26:
	s_or_b64 exec, exec, s[28:29]
	v_add_u32_e32 v1, -1, v17
	v_and_b32_e32 v16, 64, v17
	v_cmp_lt_i32_e64 s[4:5], v1, v16
	v_cndmask_b32_e64 v1, v1, v17, s[4:5]
	v_lshlrev_b32_e32 v1, 2, v1
	ds_bpermute_b32 v16, v1, v21
	ds_bpermute_b32 v1, v1, v22
	; wave barrier
	s_waitcnt lgkmcnt(1)
	v_add_co_u32_e64 v14, s[4:5], v14, v16
	v_addc_co_u32_e64 v15, s[4:5], 0, v15, s[4:5]
	v_add_co_u32_e64 v14, s[4:5], 0, v14
	s_waitcnt lgkmcnt(0)
	v_addc_co_u32_e64 v1, s[4:5], v15, v1, s[4:5]
	v_cndmask_b32_e64 v15, v1, v19, s[2:3]
	v_cndmask_b32_e64 v14, v14, v18, s[2:3]
	ds_write_b64 v20, v[14:15]
	; wave barrier
	ds_read_b64 v[16:17], v20 offset:8
	s_waitcnt lgkmcnt(0)
	v_add_co_u32_e64 v14, s[4:5], v16, v14
	v_addc_co_u32_e64 v15, s[4:5], v17, v15, s[4:5]
	ds_write_b64 v20, v[14:15] offset:8
.LBB143_27:
	s_or_b64 exec, exec, s[8:9]
	v_pk_mov_b32 v[22:23], 0, 0
	s_waitcnt lgkmcnt(0)
	s_barrier
	s_and_saveexec_b64 s[4:5], s[0:1]
	s_cbranch_execz .LBB143_29
; %bb.28:
	v_add_u32_e32 v1, -1, v0
	v_lshrrev_b32_e32 v14, 5, v1
	v_add_lshl_u32 v1, v14, v1, 3
	ds_read_b64 v[22:23], v1
.LBB143_29:
	s_or_b64 exec, exec, s[4:5]
	s_and_saveexec_b64 s[28:29], vcc
	s_cbranch_execz .LBB143_48
; %bb.30:
	v_mov_b32_e32 v17, 0
	ds_read_b64 v[14:15], v17 offset:1040
	v_mbcnt_lo_u32_b32 v1, -1, 0
	v_mbcnt_hi_u32_b32 v30, -1, v1
	s_mov_b32 s9, 0
	v_cmp_eq_u32_e64 s[4:5], 0, v30
	s_and_saveexec_b64 s[6:7], s[4:5]
	s_cbranch_execz .LBB143_32
; %bb.31:
	s_add_i32 s8, s33, 64
	s_lshl_b64 s[8:9], s[8:9], 4
	s_add_u32 s8, s10, s8
	s_addc_u32 s9, s11, s9
	v_mov_b32_e32 v16, 1
	v_pk_mov_b32 v[18:19], s[8:9], s[8:9] op_sel:[0,1]
	s_waitcnt lgkmcnt(0)
	;;#ASMSTART
	global_store_dwordx4 v[18:19], v[14:17] off	
s_waitcnt vmcnt(0)
	;;#ASMEND
.LBB143_32:
	s_or_b64 exec, exec, s[6:7]
	v_xad_u32 v24, v30, -1, s33
	v_add_u32_e32 v16, 64, v24
	v_lshlrev_b64 v[18:19], 4, v[16:17]
	v_mov_b32_e32 v1, s11
	v_add_co_u32_e32 v26, vcc, s10, v18
	v_addc_co_u32_e32 v27, vcc, v1, v19, vcc
	;;#ASMSTART
	global_load_dwordx4 v[18:21], v[26:27] off glc	
s_waitcnt vmcnt(0)
	;;#ASMEND
	v_and_b32_e32 v1, 0xff, v19
	v_and_b32_e32 v16, 0xff00, v19
	v_or3_b32 v1, 0, v1, v16
	v_or3_b32 v16, v18, 0, 0
	v_and_b32_e32 v18, 0xff000000, v19
	v_and_b32_e32 v19, 0xff0000, v19
	v_or3_b32 v19, v1, v19, v18
	v_or3_b32 v18, v16, 0, 0
	v_cmp_eq_u16_sdwa s[8:9], v20, v17 src0_sel:BYTE_0 src1_sel:DWORD
	s_and_saveexec_b64 s[6:7], s[8:9]
	s_cbranch_execz .LBB143_36
; %bb.33:
	s_mov_b64 s[8:9], 0
	v_mov_b32_e32 v1, 0
.LBB143_34:                             ; =>This Inner Loop Header: Depth=1
	;;#ASMSTART
	global_load_dwordx4 v[18:21], v[26:27] off glc	
s_waitcnt vmcnt(0)
	;;#ASMEND
	v_cmp_ne_u16_sdwa s[34:35], v20, v1 src0_sel:BYTE_0 src1_sel:DWORD
	s_or_b64 s[8:9], s[34:35], s[8:9]
	s_andn2_b64 exec, exec, s[8:9]
	s_cbranch_execnz .LBB143_34
; %bb.35:
	s_or_b64 exec, exec, s[8:9]
.LBB143_36:
	s_or_b64 exec, exec, s[6:7]
	v_and_b32_e32 v32, 63, v30
	v_cmp_ne_u32_e32 vcc, 63, v32
	v_addc_co_u32_e32 v26, vcc, 0, v30, vcc
	v_lshlrev_b32_e32 v33, 2, v26
	ds_bpermute_b32 v26, v33, v18
	v_mov_b32_e32 v1, 2
	v_cmp_eq_u16_sdwa s[6:7], v20, v1 src0_sel:BYTE_0 src1_sel:DWORD
	v_lshlrev_b64 v[16:17], v30, -1
	ds_bpermute_b32 v27, v33, v19
	v_and_b32_e32 v21, s7, v17
	v_or_b32_e32 v21, 0x80000000, v21
	s_waitcnt lgkmcnt(1)
	v_add_co_u32_e32 v26, vcc, v18, v26
	v_and_b32_e32 v25, s6, v16
	v_ffbl_b32_e32 v21, v21
	v_addc_co_u32_e32 v31, vcc, 0, v19, vcc
	v_add_u32_e32 v21, 32, v21
	v_ffbl_b32_e32 v25, v25
	v_add_co_u32_e32 v35, vcc, 0, v26
	v_cmp_gt_u32_e64 s[6:7], 62, v32
	v_min_u32_e32 v21, v25, v21
	s_waitcnt lgkmcnt(0)
	v_addc_co_u32_e32 v27, vcc, v27, v31, vcc
	v_cndmask_b32_e64 v31, 0, 1, s[6:7]
	v_cmp_lt_u32_e32 vcc, v32, v21
	v_lshlrev_b32_e32 v31, 1, v31
	v_cndmask_b32_e32 v26, v18, v26, vcc
	v_add_lshl_u32 v34, v31, v30, 2
	v_cndmask_b32_e32 v27, v19, v27, vcc
	ds_bpermute_b32 v31, v34, v26
	ds_bpermute_b32 v39, v34, v27
	v_cndmask_b32_e32 v40, v18, v35, vcc
	v_add_u32_e32 v35, 2, v32
	v_cmp_gt_u32_e64 s[8:9], 60, v32
	s_waitcnt lgkmcnt(1)
	v_add_co_u32_e64 v31, s[6:7], v31, v40
	s_waitcnt lgkmcnt(0)
	v_addc_co_u32_e64 v39, s[6:7], v39, v27, s[6:7]
	v_cmp_gt_u32_e64 s[6:7], v35, v21
	v_cndmask_b32_e64 v27, v39, v27, s[6:7]
	v_cndmask_b32_e64 v39, 0, 1, s[8:9]
	v_lshlrev_b32_e32 v39, 2, v39
	v_cndmask_b32_e64 v26, v31, v26, s[6:7]
	v_add_lshl_u32 v39, v39, v30, 2
	ds_bpermute_b32 v41, v39, v26
	ds_bpermute_b32 v42, v39, v27
	v_cndmask_b32_e64 v31, v31, v40, s[6:7]
	v_add_u32_e32 v40, 4, v32
	v_cmp_gt_u32_e64 s[8:9], 56, v32
	s_waitcnt lgkmcnt(1)
	v_add_co_u32_e64 v43, s[6:7], v41, v31
	s_waitcnt lgkmcnt(0)
	v_addc_co_u32_e64 v41, s[6:7], v42, v27, s[6:7]
	v_cmp_gt_u32_e64 s[6:7], v40, v21
	v_cndmask_b32_e64 v27, v41, v27, s[6:7]
	v_cndmask_b32_e64 v41, 0, 1, s[8:9]
	v_lshlrev_b32_e32 v41, 3, v41
	v_cndmask_b32_e64 v26, v43, v26, s[6:7]
	v_add_lshl_u32 v41, v41, v30, 2
	ds_bpermute_b32 v44, v41, v26
	v_cndmask_b32_e64 v31, v43, v31, s[6:7]
	ds_bpermute_b32 v43, v41, v27
	v_add_u32_e32 v42, 8, v32
	v_cmp_gt_u32_e64 s[8:9], 48, v32
	s_waitcnt lgkmcnt(1)
	v_add_co_u32_e64 v44, s[6:7], v44, v31
	s_waitcnt lgkmcnt(0)
	v_addc_co_u32_e64 v43, s[6:7], v43, v27, s[6:7]
	v_cmp_gt_u32_e64 s[6:7], v42, v21
	v_cndmask_b32_e64 v27, v43, v27, s[6:7]
	v_cndmask_b32_e64 v43, 0, 1, s[8:9]
	v_lshlrev_b32_e32 v43, 4, v43
	v_cndmask_b32_e64 v26, v44, v26, s[6:7]
	v_add_lshl_u32 v43, v43, v30, 2
	ds_bpermute_b32 v45, v43, v26
	ds_bpermute_b32 v46, v43, v27
	v_cndmask_b32_e64 v31, v44, v31, s[6:7]
	v_cmp_gt_u32_e64 s[8:9], 32, v32
	v_add_u32_e32 v44, 16, v32
	s_waitcnt lgkmcnt(1)
	v_add_co_u32_e64 v47, s[6:7], v45, v31
	s_waitcnt lgkmcnt(0)
	v_addc_co_u32_e64 v46, s[6:7], v46, v27, s[6:7]
	v_cndmask_b32_e64 v45, 0, 1, s[8:9]
	v_cmp_gt_u32_e64 s[6:7], v44, v21
	v_lshlrev_b32_e32 v45, 5, v45
	v_cndmask_b32_e64 v26, v47, v26, s[6:7]
	v_add_lshl_u32 v45, v45, v30, 2
	v_cndmask_b32_e64 v27, v46, v27, s[6:7]
	ds_bpermute_b32 v26, v45, v26
	ds_bpermute_b32 v30, v45, v27
	v_add_u32_e32 v46, 32, v32
	v_cndmask_b32_e64 v31, v47, v31, s[6:7]
	v_cmp_le_u32_e64 s[6:7], v46, v21
	s_waitcnt lgkmcnt(1)
	v_cndmask_b32_e64 v26, 0, v26, s[6:7]
	s_waitcnt lgkmcnt(0)
	v_cndmask_b32_e64 v21, 0, v30, s[6:7]
	v_add_co_u32_e64 v26, s[6:7], v26, v31
	v_addc_co_u32_e64 v21, s[6:7], v21, v27, s[6:7]
	v_mov_b32_e32 v25, 0
	v_cndmask_b32_e32 v19, v19, v21, vcc
	v_cndmask_b32_e32 v18, v18, v26, vcc
	s_branch .LBB143_38
.LBB143_37:                             ;   in Loop: Header=BB143_38 Depth=1
	s_or_b64 exec, exec, s[6:7]
	v_cmp_eq_u16_sdwa s[6:7], v20, v1 src0_sel:BYTE_0 src1_sel:DWORD
	v_and_b32_e32 v21, s7, v17
	v_or_b32_e32 v21, 0x80000000, v21
	ds_bpermute_b32 v31, v33, v18
	v_and_b32_e32 v30, s6, v16
	v_ffbl_b32_e32 v21, v21
	v_add_u32_e32 v21, 32, v21
	v_ffbl_b32_e32 v30, v30
	v_min_u32_e32 v21, v30, v21
	ds_bpermute_b32 v30, v33, v19
	s_waitcnt lgkmcnt(1)
	v_add_co_u32_e32 v31, vcc, v18, v31
	v_addc_co_u32_e32 v47, vcc, 0, v19, vcc
	v_add_co_u32_e32 v48, vcc, 0, v31
	s_waitcnt lgkmcnt(0)
	v_addc_co_u32_e32 v30, vcc, v30, v47, vcc
	v_cmp_lt_u32_e32 vcc, v32, v21
	v_cndmask_b32_e32 v31, v18, v31, vcc
	ds_bpermute_b32 v47, v34, v31
	v_cndmask_b32_e32 v30, v19, v30, vcc
	ds_bpermute_b32 v49, v34, v30
	v_cndmask_b32_e32 v48, v18, v48, vcc
	v_subrev_u32_e32 v24, 64, v24
	s_waitcnt lgkmcnt(1)
	v_add_co_u32_e64 v47, s[6:7], v47, v48
	s_waitcnt lgkmcnt(0)
	v_addc_co_u32_e64 v49, s[6:7], v49, v30, s[6:7]
	v_cmp_gt_u32_e64 s[6:7], v35, v21
	v_cndmask_b32_e64 v31, v47, v31, s[6:7]
	ds_bpermute_b32 v50, v39, v31
	v_cndmask_b32_e64 v30, v49, v30, s[6:7]
	ds_bpermute_b32 v49, v39, v30
	v_cndmask_b32_e64 v47, v47, v48, s[6:7]
	s_waitcnt lgkmcnt(1)
	v_add_co_u32_e64 v48, s[6:7], v50, v47
	s_waitcnt lgkmcnt(0)
	v_addc_co_u32_e64 v49, s[6:7], v49, v30, s[6:7]
	v_cmp_gt_u32_e64 s[6:7], v40, v21
	v_cndmask_b32_e64 v31, v48, v31, s[6:7]
	ds_bpermute_b32 v50, v41, v31
	v_cndmask_b32_e64 v30, v49, v30, s[6:7]
	ds_bpermute_b32 v49, v41, v30
	v_cndmask_b32_e64 v47, v48, v47, s[6:7]
	;; [unrolled: 10-line block ×3, first 2 shown]
	s_waitcnt lgkmcnt(1)
	v_add_co_u32_e64 v48, s[6:7], v50, v47
	s_waitcnt lgkmcnt(0)
	v_addc_co_u32_e64 v49, s[6:7], v49, v30, s[6:7]
	v_cmp_gt_u32_e64 s[6:7], v44, v21
	v_cndmask_b32_e64 v31, v48, v31, s[6:7]
	v_cndmask_b32_e64 v30, v49, v30, s[6:7]
	ds_bpermute_b32 v31, v45, v31
	ds_bpermute_b32 v49, v45, v30
	v_cndmask_b32_e64 v47, v48, v47, s[6:7]
	v_cmp_le_u32_e64 s[6:7], v46, v21
	s_waitcnt lgkmcnt(1)
	v_cndmask_b32_e64 v31, 0, v31, s[6:7]
	s_waitcnt lgkmcnt(0)
	v_cndmask_b32_e64 v21, 0, v49, s[6:7]
	v_add_co_u32_e64 v31, s[6:7], v31, v47
	v_addc_co_u32_e64 v21, s[6:7], v21, v30, s[6:7]
	v_cndmask_b32_e32 v18, v18, v31, vcc
	v_cndmask_b32_e32 v19, v19, v21, vcc
	v_add_co_u32_e32 v18, vcc, v18, v26
	v_addc_co_u32_e32 v19, vcc, v19, v27, vcc
.LBB143_38:                             ; =>This Loop Header: Depth=1
                                        ;     Child Loop BB143_41 Depth 2
	v_cmp_ne_u16_sdwa s[6:7], v20, v1 src0_sel:BYTE_0 src1_sel:DWORD
	v_cndmask_b32_e64 v20, 0, 1, s[6:7]
	;;#ASMSTART
	;;#ASMEND
	v_cmp_ne_u32_e32 vcc, 0, v20
	s_cmp_lg_u64 vcc, exec
	v_pk_mov_b32 v[26:27], v[18:19], v[18:19] op_sel:[0,1]
	s_cbranch_scc1 .LBB143_43
; %bb.39:                               ;   in Loop: Header=BB143_38 Depth=1
	v_lshlrev_b64 v[18:19], 4, v[24:25]
	v_mov_b32_e32 v20, s11
	v_add_co_u32_e32 v30, vcc, s10, v18
	v_addc_co_u32_e32 v31, vcc, v20, v19, vcc
	;;#ASMSTART
	global_load_dwordx4 v[18:21], v[30:31] off glc	
s_waitcnt vmcnt(0)
	;;#ASMEND
	v_and_b32_e32 v21, 0xff, v19
	v_and_b32_e32 v47, 0xff00, v19
	v_or3_b32 v21, 0, v21, v47
	v_or3_b32 v18, v18, 0, 0
	v_and_b32_e32 v47, 0xff000000, v19
	v_and_b32_e32 v19, 0xff0000, v19
	v_or3_b32 v19, v21, v19, v47
	v_or3_b32 v18, v18, 0, 0
	v_cmp_eq_u16_sdwa s[8:9], v20, v25 src0_sel:BYTE_0 src1_sel:DWORD
	s_and_saveexec_b64 s[6:7], s[8:9]
	s_cbranch_execz .LBB143_37
; %bb.40:                               ;   in Loop: Header=BB143_38 Depth=1
	s_mov_b64 s[8:9], 0
.LBB143_41:                             ;   Parent Loop BB143_38 Depth=1
                                        ; =>  This Inner Loop Header: Depth=2
	;;#ASMSTART
	global_load_dwordx4 v[18:21], v[30:31] off glc	
s_waitcnt vmcnt(0)
	;;#ASMEND
	v_cmp_ne_u16_sdwa s[34:35], v20, v25 src0_sel:BYTE_0 src1_sel:DWORD
	s_or_b64 s[8:9], s[34:35], s[8:9]
	s_andn2_b64 exec, exec, s[8:9]
	s_cbranch_execnz .LBB143_41
; %bb.42:                               ;   in Loop: Header=BB143_38 Depth=1
	s_or_b64 exec, exec, s[8:9]
	s_branch .LBB143_37
.LBB143_43:                             ;   in Loop: Header=BB143_38 Depth=1
                                        ; implicit-def: $vgpr18_vgpr19
                                        ; implicit-def: $vgpr20
	s_cbranch_execz .LBB143_38
; %bb.44:
	s_and_saveexec_b64 s[6:7], s[4:5]
	s_cbranch_execz .LBB143_46
; %bb.45:
	s_add_i32 s4, s33, 64
	s_mov_b32 s5, 0
	s_lshl_b64 s[4:5], s[4:5], 4
	s_add_u32 s4, s10, s4
	v_add_co_u32_e32 v14, vcc, v26, v14
	s_addc_u32 s5, s11, s5
	v_addc_co_u32_e32 v15, vcc, v27, v15, vcc
	v_mov_b32_e32 v16, 2
	v_mov_b32_e32 v17, 0
	v_pk_mov_b32 v[18:19], s[4:5], s[4:5] op_sel:[0,1]
	;;#ASMSTART
	global_store_dwordx4 v[18:19], v[14:17] off	
s_waitcnt vmcnt(0)
	;;#ASMEND
.LBB143_46:
	s_or_b64 exec, exec, s[6:7]
	s_and_b64 exec, exec, s[2:3]
	s_cbranch_execz .LBB143_48
; %bb.47:
	v_mov_b32_e32 v1, 0
	ds_write_b64 v1, v[26:27]
.LBB143_48:
	s_or_b64 exec, exec, s[28:29]
	v_mov_b32_e32 v1, 0
	s_waitcnt lgkmcnt(0)
	s_barrier
	ds_read_b64 v[14:15], v1
	v_add_co_u32_e32 v1, vcc, v22, v2
	v_addc_co_u32_e32 v16, vcc, v23, v3, vcc
	s_waitcnt lgkmcnt(0)
	v_add_co_u32_e32 v24, vcc, v1, v14
	v_addc_co_u32_e32 v25, vcc, v16, v15, vcc
	v_add_co_u32_e32 v30, vcc, v24, v4
	v_addc_co_u32_e32 v31, vcc, v25, v5, vcc
	;; [unrolled: 2-line block ×7, first 2 shown]
	s_branch .LBB143_63
.LBB143_49:
                                        ; implicit-def: $vgpr22_vgpr23
                                        ; implicit-def: $vgpr34_vgpr35
                                        ; implicit-def: $vgpr32_vgpr33
                                        ; implicit-def: $vgpr30_vgpr31
                                        ; implicit-def: $vgpr18_vgpr19_vgpr20_vgpr21
                                        ; implicit-def: $vgpr14_vgpr15_vgpr16_vgpr17
                                        ; implicit-def: $vgpr24_vgpr25_vgpr26_vgpr27
	s_cbranch_execz .LBB143_63
; %bb.50:
	s_cmp_lg_u64 s[16:17], 0
	s_cselect_b64 s[4:5], -1, 0
	s_and_b64 s[6:7], s[2:3], s[4:5]
	s_and_saveexec_b64 s[4:5], s[6:7]
	s_cbranch_execz .LBB143_52
; %bb.51:
	v_mov_b32_e32 v1, 0
	global_load_dwordx2 v[14:15], v1, s[12:13]
	s_waitcnt vmcnt(0)
	v_add_co_u32_e32 v2, vcc, v14, v2
	v_addc_co_u32_e32 v3, vcc, v15, v3, vcc
.LBB143_52:
	s_or_b64 exec, exec, s[4:5]
	v_add_co_u32_e32 v30, vcc, v4, v2
	v_addc_co_u32_e32 v31, vcc, v5, v3, vcc
	v_add_co_u32_e32 v14, vcc, v30, v10
	v_addc_co_u32_e32 v15, vcc, v31, v11, vcc
	;; [unrolled: 2-line block ×6, first 2 shown]
	v_add_lshl_u32 v1, v38, v0, 3
	v_cmp_gt_u32_e32 vcc, 64, v0
	ds_write_b64 v1, v[22:23]
	s_waitcnt lgkmcnt(0)
	s_barrier
	s_and_saveexec_b64 s[6:7], vcc
	s_cbranch_execz .LBB143_56
; %bb.53:
	v_lshlrev_b32_e32 v1, 1, v0
	v_lshrrev_b32_e32 v16, 4, v0
	v_add_lshl_u32 v17, v16, v1, 3
	ds_read2_b64 v[24:27], v17 offset1:1
	v_mbcnt_lo_u32_b32 v1, -1, 0
	v_mbcnt_hi_u32_b32 v20, -1, v1
	v_and_b32_e32 v1, 15, v20
	v_cmp_ne_u32_e64 s[4:5], 0, v20
	s_waitcnt lgkmcnt(0)
	v_add_co_u32_e32 v21, vcc, v26, v24
	v_addc_co_u32_e32 v26, vcc, v27, v25, vcc
	s_nop 0
	v_mov_b32_dpp v16, v21 row_shr:1 row_mask:0xf bank_mask:0xf
	v_add_co_u32_e32 v16, vcc, v21, v16
	v_addc_co_u32_e32 v38, vcc, 0, v26, vcc
	v_mov_b32_dpp v27, v26 row_shr:1 row_mask:0xf bank_mask:0xf
	v_add_co_u32_e32 v39, vcc, 0, v16
	v_addc_co_u32_e32 v27, vcc, v27, v38, vcc
	v_cmp_eq_u32_e32 vcc, 0, v1
	v_cndmask_b32_e32 v16, v16, v21, vcc
	v_cndmask_b32_e32 v27, v27, v26, vcc
	v_cndmask_b32_e32 v38, v39, v21, vcc
	v_mov_b32_dpp v39, v16 row_shr:2 row_mask:0xf bank_mask:0xf
	v_mov_b32_dpp v40, v27 row_shr:2 row_mask:0xf bank_mask:0xf
	v_add_co_u32_e32 v39, vcc, v39, v38
	v_addc_co_u32_e32 v40, vcc, v40, v27, vcc
	v_cmp_lt_u32_e32 vcc, 1, v1
	v_cndmask_b32_e32 v16, v16, v39, vcc
	v_cndmask_b32_e32 v27, v27, v40, vcc
	v_cndmask_b32_e32 v38, v38, v39, vcc
	v_mov_b32_dpp v39, v16 row_shr:4 row_mask:0xf bank_mask:0xf
	v_mov_b32_dpp v40, v27 row_shr:4 row_mask:0xf bank_mask:0xf
	v_add_co_u32_e32 v39, vcc, v39, v38
	v_addc_co_u32_e32 v40, vcc, v40, v27, vcc
	v_cmp_lt_u32_e32 vcc, 3, v1
	;; [unrolled: 8-line block ×3, first 2 shown]
	v_cndmask_b32_e32 v41, v16, v39, vcc
	v_cndmask_b32_e32 v1, v27, v40, vcc
	;; [unrolled: 1-line block ×3, first 2 shown]
	v_mov_b32_dpp v27, v41 row_bcast:15 row_mask:0xf bank_mask:0xf
	v_mov_b32_dpp v38, v1 row_bcast:15 row_mask:0xf bank_mask:0xf
	v_add_co_u32_e32 v27, vcc, v27, v16
	v_and_b32_e32 v40, 16, v20
	v_addc_co_u32_e32 v39, vcc, v38, v1, vcc
	v_cmp_eq_u32_e32 vcc, 0, v40
	v_cndmask_b32_e32 v40, v39, v1, vcc
	v_cndmask_b32_e32 v38, v27, v41, vcc
	s_nop 0
	v_mov_b32_dpp v40, v40 row_bcast:31 row_mask:0xf bank_mask:0xf
	v_mov_b32_dpp v38, v38 row_bcast:31 row_mask:0xf bank_mask:0xf
	s_and_saveexec_b64 s[8:9], s[4:5]
; %bb.54:
	v_cndmask_b32_e32 v1, v39, v1, vcc
	v_cndmask_b32_e32 v16, v27, v16, vcc
	v_cmp_lt_u32_e32 vcc, 31, v20
	v_cndmask_b32_e32 v21, 0, v38, vcc
	v_cndmask_b32_e32 v26, 0, v40, vcc
	v_add_co_u32_e32 v21, vcc, v21, v16
	v_addc_co_u32_e32 v26, vcc, v26, v1, vcc
; %bb.55:
	s_or_b64 exec, exec, s[8:9]
	v_add_u32_e32 v1, -1, v20
	v_and_b32_e32 v16, 64, v20
	v_cmp_lt_i32_e32 vcc, v1, v16
	v_cndmask_b32_e32 v1, v1, v20, vcc
	v_lshlrev_b32_e32 v1, 2, v1
	ds_bpermute_b32 v16, v1, v21
	ds_bpermute_b32 v1, v1, v26
	; wave barrier
	s_waitcnt lgkmcnt(1)
	v_add_co_u32_e32 v16, vcc, v24, v16
	v_addc_co_u32_e32 v20, vcc, 0, v25, vcc
	v_add_co_u32_e32 v16, vcc, 0, v16
	s_waitcnt lgkmcnt(0)
	v_addc_co_u32_e32 v1, vcc, v20, v1, vcc
	v_cndmask_b32_e64 v21, v1, v23, s[2:3]
	v_cndmask_b32_e64 v20, v16, v22, s[2:3]
	ds_write_b64 v17, v[20:21]
	; wave barrier
	ds_read_b64 v[24:25], v17 offset:8
	s_waitcnt lgkmcnt(0)
	v_add_co_u32_e32 v20, vcc, v24, v20
	v_addc_co_u32_e32 v21, vcc, v25, v21, vcc
	ds_write_b64 v17, v[20:21] offset:8
.LBB143_56:
	s_or_b64 exec, exec, s[6:7]
	v_pk_mov_b32 v[16:17], v[22:23], v[22:23] op_sel:[0,1]
	s_waitcnt lgkmcnt(0)
	s_barrier
	s_and_saveexec_b64 s[2:3], s[0:1]
	s_cbranch_execz .LBB143_58
; %bb.57:
	v_add_u32_e32 v1, -1, v0
	v_lshrrev_b32_e32 v16, 5, v1
	v_add_lshl_u32 v1, v16, v1, 3
	ds_read_b64 v[16:17], v1
.LBB143_58:
	s_or_b64 exec, exec, s[2:3]
	s_and_saveexec_b64 s[2:3], s[0:1]
	s_cbranch_execz .LBB143_60
; %bb.59:
	s_waitcnt lgkmcnt(0)
	v_add_co_u32_e32 v2, vcc, v16, v2
	v_addc_co_u32_e32 v3, vcc, v17, v3, vcc
	v_add_co_u32_e32 v30, vcc, v2, v4
	v_addc_co_u32_e32 v31, vcc, v3, v5, vcc
	;; [unrolled: 2-line block ×7, first 2 shown]
	;;#ASMSTART
	;;#ASMEND
.LBB143_60:
	s_or_b64 exec, exec, s[2:3]
	s_movk_i32 s0, 0x7f
	v_cmp_eq_u32_e32 vcc, s0, v0
	s_and_saveexec_b64 s[0:1], vcc
	s_cbranch_execz .LBB143_62
; %bb.61:
	s_add_u32 s2, s10, 0x400
	s_addc_u32 s3, s11, 0
	v_mov_b32_e32 v24, 2
	v_mov_b32_e32 v25, 0
	v_pk_mov_b32 v[4:5], s[2:3], s[2:3] op_sel:[0,1]
	;;#ASMSTART
	global_store_dwordx4 v[4:5], v[22:25] off	
s_waitcnt vmcnt(0)
	;;#ASMEND
.LBB143_62:
	s_or_b64 exec, exec, s[0:1]
	v_pk_mov_b32 v[24:25], v[2:3], v[2:3] op_sel:[0,1]
.LBB143_63:
	s_add_u32 s0, s24, s22
	s_addc_u32 s1, s25, s23
	s_add_u32 s0, s0, s26
	s_addc_u32 s1, s1, s27
	s_mov_b64 s[2:3], -1
	s_and_b64 vcc, exec, s[20:21]
	v_mul_u32_u24_e32 v1, 56, v0
	s_waitcnt lgkmcnt(0)
	s_barrier
	s_cbranch_vccz .LBB143_65
; %bb.64:
	v_mul_i32_i24_e32 v2, 0xffffffd0, v0
	v_mad_u32_u24 v16, v0, 56, v2
	ds_write2_b64 v1, v[24:25], v[30:31] offset1:1
	ds_write2_b64 v1, v[14:15], v[32:33] offset0:2 offset1:3
	ds_write2_b64 v1, v[18:19], v[34:35] offset0:4 offset1:5
	ds_write_b64 v1, v[22:23] offset:48
	s_waitcnt lgkmcnt(0)
	s_barrier
	ds_read2st64_b64 v[2:5], v16 offset1:2
	ds_read2st64_b64 v[6:9], v16 offset0:4 offset1:6
	ds_read2st64_b64 v[10:13], v16 offset0:8 offset1:10
	ds_read_b64 v[16:17], v16 offset:6144
	v_mov_b32_e32 v20, s1
	v_add_co_u32_e32 v21, vcc, s0, v36
	v_addc_co_u32_e32 v20, vcc, 0, v20, vcc
	s_waitcnt lgkmcnt(3)
	global_store_dwordx2 v36, v[2:3], s[0:1]
	global_store_dwordx2 v36, v[4:5], s[0:1] offset:1024
	s_waitcnt lgkmcnt(2)
	global_store_dwordx2 v36, v[6:7], s[0:1] offset:2048
	global_store_dwordx2 v36, v[8:9], s[0:1] offset:3072
	v_add_co_u32_e32 v2, vcc, 0x1000, v21
	v_addc_co_u32_e32 v3, vcc, 0, v20, vcc
	s_waitcnt lgkmcnt(1)
	global_store_dwordx2 v[2:3], v[10:11], off
	global_store_dwordx2 v[2:3], v[12:13], off offset:1024
	s_waitcnt lgkmcnt(0)
	global_store_dwordx2 v[2:3], v[16:17], off offset:2048
	s_mov_b64 s[2:3], 0
.LBB143_65:
	s_andn2_b64 vcc, exec, s[2:3]
	s_cbranch_vccnz .LBB143_104
; %bb.66:
	v_mul_i32_i24_e32 v2, 0xffffffd0, v0
	ds_write2_b64 v1, v[24:25], v[30:31] offset1:1
	ds_write2_b64 v1, v[14:15], v[32:33] offset0:2 offset1:3
	ds_write2_b64 v1, v[18:19], v[34:35] offset0:4 offset1:5
	ds_write_b64 v1, v[22:23] offset:48
	v_mad_u32_u24 v14, v0, 56, v2
	s_waitcnt lgkmcnt(0)
	s_barrier
	ds_read2st64_b64 v[2:5], v14 offset1:2
	ds_read2st64_b64 v[6:9], v14 offset0:4 offset1:6
	ds_read2st64_b64 v[10:13], v14 offset0:8 offset1:10
	ds_read_b64 v[14:15], v14 offset:6144
	v_mov_b32_e32 v17, s1
	v_add_co_u32_e32 v16, vcc, s0, v36
	v_addc_co_u32_e32 v17, vcc, 0, v17, vcc
	v_mov_b32_e32 v1, 0
	v_cmp_gt_u32_e32 vcc, s30, v0
	s_and_saveexec_b64 s[0:1], vcc
	s_cbranch_execz .LBB143_68
; %bb.67:
	s_waitcnt lgkmcnt(3)
	global_store_dwordx2 v[16:17], v[2:3], off
.LBB143_68:
	s_or_b64 exec, exec, s[0:1]
	v_or_b32_e32 v18, 0x80, v0
	v_cmp_gt_u32_e32 vcc, s30, v18
	s_and_saveexec_b64 s[0:1], vcc
	s_cbranch_execz .LBB143_70
; %bb.69:
	s_waitcnt lgkmcnt(3)
	global_store_dwordx2 v[16:17], v[4:5], off offset:1024
.LBB143_70:
	s_or_b64 exec, exec, s[0:1]
	v_or_b32_e32 v18, 0x100, v0
	v_cmp_gt_u32_e32 vcc, s30, v18
	s_and_saveexec_b64 s[0:1], vcc
	s_cbranch_execz .LBB143_72
; %bb.71:
	s_waitcnt lgkmcnt(2)
	global_store_dwordx2 v[16:17], v[6:7], off offset:2048
.LBB143_72:
	;; [unrolled: 9-line block ×3, first 2 shown]
	s_or_b64 exec, exec, s[0:1]
	v_or_b32_e32 v18, 0x200, v0
	v_cmp_gt_u32_e32 vcc, s30, v18
	s_and_saveexec_b64 s[0:1], vcc
	s_cbranch_execz .LBB143_76
; %bb.75:
	v_add_co_u32_e32 v18, vcc, 0x1000, v16
	v_addc_co_u32_e32 v19, vcc, 0, v17, vcc
	s_waitcnt lgkmcnt(1)
	global_store_dwordx2 v[18:19], v[10:11], off
.LBB143_76:
	s_or_b64 exec, exec, s[0:1]
	v_or_b32_e32 v18, 0x280, v0
	v_cmp_gt_u32_e32 vcc, s30, v18
	s_and_saveexec_b64 s[0:1], vcc
	s_cbranch_execz .LBB143_78
; %bb.77:
	v_add_co_u32_e32 v18, vcc, 0x1000, v16
	v_addc_co_u32_e32 v19, vcc, 0, v17, vcc
	s_waitcnt lgkmcnt(1)
	global_store_dwordx2 v[18:19], v[12:13], off offset:1024
.LBB143_78:
	s_or_b64 exec, exec, s[0:1]
	v_or_b32_e32 v18, 0x300, v0
	v_cmp_gt_u32_e32 vcc, s30, v18
	s_and_saveexec_b64 s[0:1], vcc
	s_cbranch_execz .LBB143_80
; %bb.79:
	v_add_co_u32_e32 v16, vcc, 0x1000, v16
	v_addc_co_u32_e32 v17, vcc, 0, v17, vcc
	s_waitcnt lgkmcnt(0)
	global_store_dwordx2 v[16:17], v[14:15], off offset:2048
.LBB143_80:
	s_or_b64 exec, exec, s[0:1]
	v_cmp_lt_u64_e64 s[0:1], s[18:19], 2
	s_and_b64 vcc, exec, s[0:1]
	s_cbranch_vccnz .LBB143_104
; %bb.81:
	s_add_u32 s0, s30, -1
	s_addc_u32 s1, s31, -1
	s_add_u32 s2, 0, 0x92481000
	s_addc_u32 s3, 0, 0x64
	s_add_i32 s3, s3, 0x249248c0
	s_mul_hi_u32 s7, s2, -7
	s_sub_i32 s7, s7, s2
	s_mul_i32 s8, s3, -7
	s_mul_i32 s4, s2, -7
	s_add_i32 s7, s7, s8
	s_mul_hi_u32 s5, s3, s4
	s_mul_i32 s6, s3, s4
	s_mul_i32 s9, s2, s7
	s_mul_hi_u32 s4, s2, s4
	s_mul_hi_u32 s8, s2, s7
	s_add_u32 s4, s4, s9
	s_addc_u32 s8, 0, s8
	s_add_u32 s4, s4, s6
	s_mul_hi_u32 s9, s3, s7
	s_addc_u32 s4, s8, s5
	s_addc_u32 s5, s9, 0
	s_mul_i32 s6, s3, s7
	s_add_u32 s4, s4, s6
	v_mov_b32_e32 v16, s4
	s_addc_u32 s5, 0, s5
	v_add_co_u32_e32 v16, vcc, s2, v16
	s_cmp_lg_u64 vcc, 0
	s_addc_u32 s2, s3, s5
	v_readfirstlane_b32 s5, v16
	s_mul_i32 s4, s0, s2
	s_mul_hi_u32 s6, s0, s5
	s_mul_hi_u32 s3, s0, s2
	s_add_u32 s4, s6, s4
	s_addc_u32 s3, 0, s3
	s_mul_hi_u32 s7, s1, s5
	s_mul_i32 s5, s1, s5
	s_add_u32 s4, s4, s5
	s_mul_hi_u32 s6, s1, s2
	s_addc_u32 s3, s3, s7
	s_addc_u32 s4, s6, 0
	s_mul_i32 s2, s1, s2
	s_add_u32 s2, s3, s2
	s_addc_u32 s3, 0, s4
	s_add_u32 s4, s2, 1
	s_addc_u32 s5, s3, 0
	s_add_u32 s6, s2, 2
	s_mul_i32 s8, s3, 7
	s_mul_hi_u32 s9, s2, 7
	s_addc_u32 s7, s3, 0
	s_add_i32 s9, s9, s8
	s_mul_i32 s8, s2, 7
	v_mov_b32_e32 v16, s8
	v_sub_co_u32_e32 v16, vcc, s0, v16
	s_cmp_lg_u64 vcc, 0
	s_subb_u32 s8, s1, s9
	v_subrev_co_u32_e32 v17, vcc, 7, v16
	s_cmp_lg_u64 vcc, 0
	s_subb_u32 s9, s8, 0
	v_readfirstlane_b32 s10, v17
	s_cmp_gt_u32 s10, 6
	s_cselect_b32 s10, -1, 0
	s_cmp_eq_u32 s9, 0
	s_cselect_b32 s9, s10, -1
	s_cmp_lg_u32 s9, 0
	s_cselect_b32 s4, s6, s4
	v_readfirstlane_b32 s6, v16
	s_cselect_b32 s5, s7, s5
	s_cmp_gt_u32 s6, 6
	s_cselect_b32 s6, -1, 0
	s_cmp_eq_u32 s8, 0
	s_cselect_b32 s6, s6, -1
	s_cmp_lg_u32 s6, 0
	s_cselect_b32 s3, s5, s3
	s_cselect_b32 s2, s4, s2
	v_cmp_eq_u64_e32 vcc, s[2:3], v[0:1]
	s_and_saveexec_b64 s[2:3], vcc
	s_cbranch_execz .LBB143_104
; %bb.82:
	v_mul_hi_u32_u24_e32 v1, 7, v0
	v_mov_b32_e32 v16, s1
	v_sub_co_u32_e32 v0, vcc, s0, v37
	v_subb_co_u32_e32 v1, vcc, v16, v1, vcc
	v_cmp_lt_i64_e32 vcc, 3, v[0:1]
	s_and_saveexec_b64 s[0:1], vcc
	s_xor_b64 s[0:1], exec, s[0:1]
	s_cbranch_execz .LBB143_92
; %bb.83:
	v_cmp_lt_i64_e32 vcc, 4, v[0:1]
	s_and_saveexec_b64 s[2:3], vcc
	s_xor_b64 s[2:3], exec, s[2:3]
	s_cbranch_execz .LBB143_89
; %bb.84:
	;; [unrolled: 5-line block ×3, first 2 shown]
	v_mov_b32_e32 v0, 0
	s_waitcnt lgkmcnt(0)
	global_store_dwordx2 v0, v[14:15], s[14:15]
                                        ; implicit-def: $vgpr10_vgpr11_vgpr12_vgpr13
.LBB143_86:
	s_andn2_saveexec_b64 s[4:5], s[4:5]
	s_cbranch_execz .LBB143_88
; %bb.87:
	v_mov_b32_e32 v0, 0
	s_waitcnt lgkmcnt(1)
	global_store_dwordx2 v0, v[12:13], s[14:15]
.LBB143_88:
	s_or_b64 exec, exec, s[4:5]
                                        ; implicit-def: $vgpr10_vgpr11_vgpr12_vgpr13
.LBB143_89:
	s_andn2_saveexec_b64 s[2:3], s[2:3]
	s_cbranch_execz .LBB143_91
; %bb.90:
	v_mov_b32_e32 v0, 0
	s_waitcnt lgkmcnt(1)
	global_store_dwordx2 v0, v[10:11], s[14:15]
.LBB143_91:
	s_or_b64 exec, exec, s[2:3]
                                        ; implicit-def: $vgpr0_vgpr1
                                        ; implicit-def: $vgpr2_vgpr3_vgpr4_vgpr5
                                        ; implicit-def: $vgpr6_vgpr7_vgpr8_vgpr9
.LBB143_92:
	s_andn2_saveexec_b64 s[0:1], s[0:1]
	s_cbranch_execz .LBB143_104
; %bb.93:
	v_cmp_lt_i64_e32 vcc, 1, v[0:1]
	s_and_saveexec_b64 s[0:1], vcc
	s_xor_b64 s[0:1], exec, s[0:1]
	s_cbranch_execz .LBB143_99
; %bb.94:
	v_cmp_lt_i64_e32 vcc, 2, v[0:1]
	s_and_saveexec_b64 s[2:3], vcc
	s_xor_b64 s[2:3], exec, s[2:3]
	s_cbranch_execz .LBB143_96
; %bb.95:
	v_mov_b32_e32 v0, 0
	s_waitcnt lgkmcnt(2)
	global_store_dwordx2 v0, v[8:9], s[14:15]
                                        ; implicit-def: $vgpr6_vgpr7_vgpr8_vgpr9
.LBB143_96:
	s_andn2_saveexec_b64 s[2:3], s[2:3]
	s_cbranch_execz .LBB143_98
; %bb.97:
	v_mov_b32_e32 v0, 0
	s_waitcnt lgkmcnt(2)
	global_store_dwordx2 v0, v[6:7], s[14:15]
.LBB143_98:
	s_or_b64 exec, exec, s[2:3]
                                        ; implicit-def: $vgpr2_vgpr3_vgpr4_vgpr5
                                        ; implicit-def: $vgpr0_vgpr1
.LBB143_99:
	s_andn2_saveexec_b64 s[0:1], s[0:1]
	s_cbranch_execz .LBB143_104
; %bb.100:
	v_cmp_ne_u64_e32 vcc, 1, v[0:1]
	s_and_saveexec_b64 s[0:1], vcc
	s_xor_b64 s[0:1], exec, s[0:1]
	s_cbranch_execz .LBB143_102
; %bb.101:
	v_mov_b32_e32 v0, 0
	s_waitcnt lgkmcnt(3)
	global_store_dwordx2 v0, v[2:3], s[14:15]
                                        ; implicit-def: $vgpr2_vgpr3_vgpr4_vgpr5
.LBB143_102:
	s_andn2_saveexec_b64 s[0:1], s[0:1]
	s_cbranch_execz .LBB143_104
; %bb.103:
	v_mov_b32_e32 v0, 0
	s_waitcnt lgkmcnt(3)
	global_store_dwordx2 v0, v[4:5], s[14:15]
.LBB143_104:
	s_endpgm
	.section	.rodata,"a",@progbits
	.p2align	6, 0x0
	.amdhsa_kernel _ZN7rocprim17ROCPRIM_400000_NS6detail17trampoline_kernelINS0_14default_configENS1_20scan_config_selectorIlEEZZNS1_9scan_implILNS1_25lookback_scan_determinismE0ELb0ELb0ES3_PlS8_lN6thrust23THRUST_200600_302600_NS4plusIvEElEEDaPvRmT3_T4_T5_mT6_P12ihipStream_tbENKUlT_T0_E_clISt17integral_constantIbLb0EESP_IbLb1EEEEDaSL_SM_EUlSL_E_NS1_11comp_targetILNS1_3genE4ELNS1_11target_archE910ELNS1_3gpuE8ELNS1_3repE0EEENS1_30default_config_static_selectorELNS0_4arch9wavefront6targetE1EEEvT1_
		.amdhsa_group_segment_fixed_size 7168
		.amdhsa_private_segment_fixed_size 0
		.amdhsa_kernarg_size 104
		.amdhsa_user_sgpr_count 6
		.amdhsa_user_sgpr_private_segment_buffer 1
		.amdhsa_user_sgpr_dispatch_ptr 0
		.amdhsa_user_sgpr_queue_ptr 0
		.amdhsa_user_sgpr_kernarg_segment_ptr 1
		.amdhsa_user_sgpr_dispatch_id 0
		.amdhsa_user_sgpr_flat_scratch_init 0
		.amdhsa_user_sgpr_kernarg_preload_length 0
		.amdhsa_user_sgpr_kernarg_preload_offset 0
		.amdhsa_user_sgpr_private_segment_size 0
		.amdhsa_uses_dynamic_stack 0
		.amdhsa_system_sgpr_private_segment_wavefront_offset 0
		.amdhsa_system_sgpr_workgroup_id_x 1
		.amdhsa_system_sgpr_workgroup_id_y 0
		.amdhsa_system_sgpr_workgroup_id_z 0
		.amdhsa_system_sgpr_workgroup_info 0
		.amdhsa_system_vgpr_workitem_id 0
		.amdhsa_next_free_vgpr 51
		.amdhsa_next_free_sgpr 36
		.amdhsa_accum_offset 52
		.amdhsa_reserve_vcc 1
		.amdhsa_reserve_flat_scratch 0
		.amdhsa_float_round_mode_32 0
		.amdhsa_float_round_mode_16_64 0
		.amdhsa_float_denorm_mode_32 3
		.amdhsa_float_denorm_mode_16_64 3
		.amdhsa_dx10_clamp 1
		.amdhsa_ieee_mode 1
		.amdhsa_fp16_overflow 0
		.amdhsa_tg_split 0
		.amdhsa_exception_fp_ieee_invalid_op 0
		.amdhsa_exception_fp_denorm_src 0
		.amdhsa_exception_fp_ieee_div_zero 0
		.amdhsa_exception_fp_ieee_overflow 0
		.amdhsa_exception_fp_ieee_underflow 0
		.amdhsa_exception_fp_ieee_inexact 0
		.amdhsa_exception_int_div_zero 0
	.end_amdhsa_kernel
	.section	.text._ZN7rocprim17ROCPRIM_400000_NS6detail17trampoline_kernelINS0_14default_configENS1_20scan_config_selectorIlEEZZNS1_9scan_implILNS1_25lookback_scan_determinismE0ELb0ELb0ES3_PlS8_lN6thrust23THRUST_200600_302600_NS4plusIvEElEEDaPvRmT3_T4_T5_mT6_P12ihipStream_tbENKUlT_T0_E_clISt17integral_constantIbLb0EESP_IbLb1EEEEDaSL_SM_EUlSL_E_NS1_11comp_targetILNS1_3genE4ELNS1_11target_archE910ELNS1_3gpuE8ELNS1_3repE0EEENS1_30default_config_static_selectorELNS0_4arch9wavefront6targetE1EEEvT1_,"axG",@progbits,_ZN7rocprim17ROCPRIM_400000_NS6detail17trampoline_kernelINS0_14default_configENS1_20scan_config_selectorIlEEZZNS1_9scan_implILNS1_25lookback_scan_determinismE0ELb0ELb0ES3_PlS8_lN6thrust23THRUST_200600_302600_NS4plusIvEElEEDaPvRmT3_T4_T5_mT6_P12ihipStream_tbENKUlT_T0_E_clISt17integral_constantIbLb0EESP_IbLb1EEEEDaSL_SM_EUlSL_E_NS1_11comp_targetILNS1_3genE4ELNS1_11target_archE910ELNS1_3gpuE8ELNS1_3repE0EEENS1_30default_config_static_selectorELNS0_4arch9wavefront6targetE1EEEvT1_,comdat
.Lfunc_end143:
	.size	_ZN7rocprim17ROCPRIM_400000_NS6detail17trampoline_kernelINS0_14default_configENS1_20scan_config_selectorIlEEZZNS1_9scan_implILNS1_25lookback_scan_determinismE0ELb0ELb0ES3_PlS8_lN6thrust23THRUST_200600_302600_NS4plusIvEElEEDaPvRmT3_T4_T5_mT6_P12ihipStream_tbENKUlT_T0_E_clISt17integral_constantIbLb0EESP_IbLb1EEEEDaSL_SM_EUlSL_E_NS1_11comp_targetILNS1_3genE4ELNS1_11target_archE910ELNS1_3gpuE8ELNS1_3repE0EEENS1_30default_config_static_selectorELNS0_4arch9wavefront6targetE1EEEvT1_, .Lfunc_end143-_ZN7rocprim17ROCPRIM_400000_NS6detail17trampoline_kernelINS0_14default_configENS1_20scan_config_selectorIlEEZZNS1_9scan_implILNS1_25lookback_scan_determinismE0ELb0ELb0ES3_PlS8_lN6thrust23THRUST_200600_302600_NS4plusIvEElEEDaPvRmT3_T4_T5_mT6_P12ihipStream_tbENKUlT_T0_E_clISt17integral_constantIbLb0EESP_IbLb1EEEEDaSL_SM_EUlSL_E_NS1_11comp_targetILNS1_3genE4ELNS1_11target_archE910ELNS1_3gpuE8ELNS1_3repE0EEENS1_30default_config_static_selectorELNS0_4arch9wavefront6targetE1EEEvT1_
                                        ; -- End function
	.section	.AMDGPU.csdata,"",@progbits
; Kernel info:
; codeLenInByte = 5632
; NumSgprs: 40
; NumVgprs: 51
; NumAgprs: 0
; TotalNumVgprs: 51
; ScratchSize: 0
; MemoryBound: 0
; FloatMode: 240
; IeeeMode: 1
; LDSByteSize: 7168 bytes/workgroup (compile time only)
; SGPRBlocks: 4
; VGPRBlocks: 6
; NumSGPRsForWavesPerEU: 40
; NumVGPRsForWavesPerEU: 51
; AccumOffset: 52
; Occupancy: 5
; WaveLimiterHint : 1
; COMPUTE_PGM_RSRC2:SCRATCH_EN: 0
; COMPUTE_PGM_RSRC2:USER_SGPR: 6
; COMPUTE_PGM_RSRC2:TRAP_HANDLER: 0
; COMPUTE_PGM_RSRC2:TGID_X_EN: 1
; COMPUTE_PGM_RSRC2:TGID_Y_EN: 0
; COMPUTE_PGM_RSRC2:TGID_Z_EN: 0
; COMPUTE_PGM_RSRC2:TIDIG_COMP_CNT: 0
; COMPUTE_PGM_RSRC3_GFX90A:ACCUM_OFFSET: 12
; COMPUTE_PGM_RSRC3_GFX90A:TG_SPLIT: 0
	.section	.text._ZN7rocprim17ROCPRIM_400000_NS6detail17trampoline_kernelINS0_14default_configENS1_20scan_config_selectorIlEEZZNS1_9scan_implILNS1_25lookback_scan_determinismE0ELb0ELb0ES3_PlS8_lN6thrust23THRUST_200600_302600_NS4plusIvEElEEDaPvRmT3_T4_T5_mT6_P12ihipStream_tbENKUlT_T0_E_clISt17integral_constantIbLb0EESP_IbLb1EEEEDaSL_SM_EUlSL_E_NS1_11comp_targetILNS1_3genE3ELNS1_11target_archE908ELNS1_3gpuE7ELNS1_3repE0EEENS1_30default_config_static_selectorELNS0_4arch9wavefront6targetE1EEEvT1_,"axG",@progbits,_ZN7rocprim17ROCPRIM_400000_NS6detail17trampoline_kernelINS0_14default_configENS1_20scan_config_selectorIlEEZZNS1_9scan_implILNS1_25lookback_scan_determinismE0ELb0ELb0ES3_PlS8_lN6thrust23THRUST_200600_302600_NS4plusIvEElEEDaPvRmT3_T4_T5_mT6_P12ihipStream_tbENKUlT_T0_E_clISt17integral_constantIbLb0EESP_IbLb1EEEEDaSL_SM_EUlSL_E_NS1_11comp_targetILNS1_3genE3ELNS1_11target_archE908ELNS1_3gpuE7ELNS1_3repE0EEENS1_30default_config_static_selectorELNS0_4arch9wavefront6targetE1EEEvT1_,comdat
	.protected	_ZN7rocprim17ROCPRIM_400000_NS6detail17trampoline_kernelINS0_14default_configENS1_20scan_config_selectorIlEEZZNS1_9scan_implILNS1_25lookback_scan_determinismE0ELb0ELb0ES3_PlS8_lN6thrust23THRUST_200600_302600_NS4plusIvEElEEDaPvRmT3_T4_T5_mT6_P12ihipStream_tbENKUlT_T0_E_clISt17integral_constantIbLb0EESP_IbLb1EEEEDaSL_SM_EUlSL_E_NS1_11comp_targetILNS1_3genE3ELNS1_11target_archE908ELNS1_3gpuE7ELNS1_3repE0EEENS1_30default_config_static_selectorELNS0_4arch9wavefront6targetE1EEEvT1_ ; -- Begin function _ZN7rocprim17ROCPRIM_400000_NS6detail17trampoline_kernelINS0_14default_configENS1_20scan_config_selectorIlEEZZNS1_9scan_implILNS1_25lookback_scan_determinismE0ELb0ELb0ES3_PlS8_lN6thrust23THRUST_200600_302600_NS4plusIvEElEEDaPvRmT3_T4_T5_mT6_P12ihipStream_tbENKUlT_T0_E_clISt17integral_constantIbLb0EESP_IbLb1EEEEDaSL_SM_EUlSL_E_NS1_11comp_targetILNS1_3genE3ELNS1_11target_archE908ELNS1_3gpuE7ELNS1_3repE0EEENS1_30default_config_static_selectorELNS0_4arch9wavefront6targetE1EEEvT1_
	.globl	_ZN7rocprim17ROCPRIM_400000_NS6detail17trampoline_kernelINS0_14default_configENS1_20scan_config_selectorIlEEZZNS1_9scan_implILNS1_25lookback_scan_determinismE0ELb0ELb0ES3_PlS8_lN6thrust23THRUST_200600_302600_NS4plusIvEElEEDaPvRmT3_T4_T5_mT6_P12ihipStream_tbENKUlT_T0_E_clISt17integral_constantIbLb0EESP_IbLb1EEEEDaSL_SM_EUlSL_E_NS1_11comp_targetILNS1_3genE3ELNS1_11target_archE908ELNS1_3gpuE7ELNS1_3repE0EEENS1_30default_config_static_selectorELNS0_4arch9wavefront6targetE1EEEvT1_
	.p2align	8
	.type	_ZN7rocprim17ROCPRIM_400000_NS6detail17trampoline_kernelINS0_14default_configENS1_20scan_config_selectorIlEEZZNS1_9scan_implILNS1_25lookback_scan_determinismE0ELb0ELb0ES3_PlS8_lN6thrust23THRUST_200600_302600_NS4plusIvEElEEDaPvRmT3_T4_T5_mT6_P12ihipStream_tbENKUlT_T0_E_clISt17integral_constantIbLb0EESP_IbLb1EEEEDaSL_SM_EUlSL_E_NS1_11comp_targetILNS1_3genE3ELNS1_11target_archE908ELNS1_3gpuE7ELNS1_3repE0EEENS1_30default_config_static_selectorELNS0_4arch9wavefront6targetE1EEEvT1_,@function
_ZN7rocprim17ROCPRIM_400000_NS6detail17trampoline_kernelINS0_14default_configENS1_20scan_config_selectorIlEEZZNS1_9scan_implILNS1_25lookback_scan_determinismE0ELb0ELb0ES3_PlS8_lN6thrust23THRUST_200600_302600_NS4plusIvEElEEDaPvRmT3_T4_T5_mT6_P12ihipStream_tbENKUlT_T0_E_clISt17integral_constantIbLb0EESP_IbLb1EEEEDaSL_SM_EUlSL_E_NS1_11comp_targetILNS1_3genE3ELNS1_11target_archE908ELNS1_3gpuE7ELNS1_3repE0EEENS1_30default_config_static_selectorELNS0_4arch9wavefront6targetE1EEEvT1_: ; @_ZN7rocprim17ROCPRIM_400000_NS6detail17trampoline_kernelINS0_14default_configENS1_20scan_config_selectorIlEEZZNS1_9scan_implILNS1_25lookback_scan_determinismE0ELb0ELb0ES3_PlS8_lN6thrust23THRUST_200600_302600_NS4plusIvEElEEDaPvRmT3_T4_T5_mT6_P12ihipStream_tbENKUlT_T0_E_clISt17integral_constantIbLb0EESP_IbLb1EEEEDaSL_SM_EUlSL_E_NS1_11comp_targetILNS1_3genE3ELNS1_11target_archE908ELNS1_3gpuE7ELNS1_3repE0EEENS1_30default_config_static_selectorELNS0_4arch9wavefront6targetE1EEEvT1_
; %bb.0:
	.section	.rodata,"a",@progbits
	.p2align	6, 0x0
	.amdhsa_kernel _ZN7rocprim17ROCPRIM_400000_NS6detail17trampoline_kernelINS0_14default_configENS1_20scan_config_selectorIlEEZZNS1_9scan_implILNS1_25lookback_scan_determinismE0ELb0ELb0ES3_PlS8_lN6thrust23THRUST_200600_302600_NS4plusIvEElEEDaPvRmT3_T4_T5_mT6_P12ihipStream_tbENKUlT_T0_E_clISt17integral_constantIbLb0EESP_IbLb1EEEEDaSL_SM_EUlSL_E_NS1_11comp_targetILNS1_3genE3ELNS1_11target_archE908ELNS1_3gpuE7ELNS1_3repE0EEENS1_30default_config_static_selectorELNS0_4arch9wavefront6targetE1EEEvT1_
		.amdhsa_group_segment_fixed_size 0
		.amdhsa_private_segment_fixed_size 0
		.amdhsa_kernarg_size 104
		.amdhsa_user_sgpr_count 6
		.amdhsa_user_sgpr_private_segment_buffer 1
		.amdhsa_user_sgpr_dispatch_ptr 0
		.amdhsa_user_sgpr_queue_ptr 0
		.amdhsa_user_sgpr_kernarg_segment_ptr 1
		.amdhsa_user_sgpr_dispatch_id 0
		.amdhsa_user_sgpr_flat_scratch_init 0
		.amdhsa_user_sgpr_kernarg_preload_length 0
		.amdhsa_user_sgpr_kernarg_preload_offset 0
		.amdhsa_user_sgpr_private_segment_size 0
		.amdhsa_uses_dynamic_stack 0
		.amdhsa_system_sgpr_private_segment_wavefront_offset 0
		.amdhsa_system_sgpr_workgroup_id_x 1
		.amdhsa_system_sgpr_workgroup_id_y 0
		.amdhsa_system_sgpr_workgroup_id_z 0
		.amdhsa_system_sgpr_workgroup_info 0
		.amdhsa_system_vgpr_workitem_id 0
		.amdhsa_next_free_vgpr 1
		.amdhsa_next_free_sgpr 0
		.amdhsa_accum_offset 4
		.amdhsa_reserve_vcc 0
		.amdhsa_reserve_flat_scratch 0
		.amdhsa_float_round_mode_32 0
		.amdhsa_float_round_mode_16_64 0
		.amdhsa_float_denorm_mode_32 3
		.amdhsa_float_denorm_mode_16_64 3
		.amdhsa_dx10_clamp 1
		.amdhsa_ieee_mode 1
		.amdhsa_fp16_overflow 0
		.amdhsa_tg_split 0
		.amdhsa_exception_fp_ieee_invalid_op 0
		.amdhsa_exception_fp_denorm_src 0
		.amdhsa_exception_fp_ieee_div_zero 0
		.amdhsa_exception_fp_ieee_overflow 0
		.amdhsa_exception_fp_ieee_underflow 0
		.amdhsa_exception_fp_ieee_inexact 0
		.amdhsa_exception_int_div_zero 0
	.end_amdhsa_kernel
	.section	.text._ZN7rocprim17ROCPRIM_400000_NS6detail17trampoline_kernelINS0_14default_configENS1_20scan_config_selectorIlEEZZNS1_9scan_implILNS1_25lookback_scan_determinismE0ELb0ELb0ES3_PlS8_lN6thrust23THRUST_200600_302600_NS4plusIvEElEEDaPvRmT3_T4_T5_mT6_P12ihipStream_tbENKUlT_T0_E_clISt17integral_constantIbLb0EESP_IbLb1EEEEDaSL_SM_EUlSL_E_NS1_11comp_targetILNS1_3genE3ELNS1_11target_archE908ELNS1_3gpuE7ELNS1_3repE0EEENS1_30default_config_static_selectorELNS0_4arch9wavefront6targetE1EEEvT1_,"axG",@progbits,_ZN7rocprim17ROCPRIM_400000_NS6detail17trampoline_kernelINS0_14default_configENS1_20scan_config_selectorIlEEZZNS1_9scan_implILNS1_25lookback_scan_determinismE0ELb0ELb0ES3_PlS8_lN6thrust23THRUST_200600_302600_NS4plusIvEElEEDaPvRmT3_T4_T5_mT6_P12ihipStream_tbENKUlT_T0_E_clISt17integral_constantIbLb0EESP_IbLb1EEEEDaSL_SM_EUlSL_E_NS1_11comp_targetILNS1_3genE3ELNS1_11target_archE908ELNS1_3gpuE7ELNS1_3repE0EEENS1_30default_config_static_selectorELNS0_4arch9wavefront6targetE1EEEvT1_,comdat
.Lfunc_end144:
	.size	_ZN7rocprim17ROCPRIM_400000_NS6detail17trampoline_kernelINS0_14default_configENS1_20scan_config_selectorIlEEZZNS1_9scan_implILNS1_25lookback_scan_determinismE0ELb0ELb0ES3_PlS8_lN6thrust23THRUST_200600_302600_NS4plusIvEElEEDaPvRmT3_T4_T5_mT6_P12ihipStream_tbENKUlT_T0_E_clISt17integral_constantIbLb0EESP_IbLb1EEEEDaSL_SM_EUlSL_E_NS1_11comp_targetILNS1_3genE3ELNS1_11target_archE908ELNS1_3gpuE7ELNS1_3repE0EEENS1_30default_config_static_selectorELNS0_4arch9wavefront6targetE1EEEvT1_, .Lfunc_end144-_ZN7rocprim17ROCPRIM_400000_NS6detail17trampoline_kernelINS0_14default_configENS1_20scan_config_selectorIlEEZZNS1_9scan_implILNS1_25lookback_scan_determinismE0ELb0ELb0ES3_PlS8_lN6thrust23THRUST_200600_302600_NS4plusIvEElEEDaPvRmT3_T4_T5_mT6_P12ihipStream_tbENKUlT_T0_E_clISt17integral_constantIbLb0EESP_IbLb1EEEEDaSL_SM_EUlSL_E_NS1_11comp_targetILNS1_3genE3ELNS1_11target_archE908ELNS1_3gpuE7ELNS1_3repE0EEENS1_30default_config_static_selectorELNS0_4arch9wavefront6targetE1EEEvT1_
                                        ; -- End function
	.section	.AMDGPU.csdata,"",@progbits
; Kernel info:
; codeLenInByte = 0
; NumSgprs: 4
; NumVgprs: 0
; NumAgprs: 0
; TotalNumVgprs: 0
; ScratchSize: 0
; MemoryBound: 0
; FloatMode: 240
; IeeeMode: 1
; LDSByteSize: 0 bytes/workgroup (compile time only)
; SGPRBlocks: 0
; VGPRBlocks: 0
; NumSGPRsForWavesPerEU: 4
; NumVGPRsForWavesPerEU: 1
; AccumOffset: 4
; Occupancy: 8
; WaveLimiterHint : 0
; COMPUTE_PGM_RSRC2:SCRATCH_EN: 0
; COMPUTE_PGM_RSRC2:USER_SGPR: 6
; COMPUTE_PGM_RSRC2:TRAP_HANDLER: 0
; COMPUTE_PGM_RSRC2:TGID_X_EN: 1
; COMPUTE_PGM_RSRC2:TGID_Y_EN: 0
; COMPUTE_PGM_RSRC2:TGID_Z_EN: 0
; COMPUTE_PGM_RSRC2:TIDIG_COMP_CNT: 0
; COMPUTE_PGM_RSRC3_GFX90A:ACCUM_OFFSET: 0
; COMPUTE_PGM_RSRC3_GFX90A:TG_SPLIT: 0
	.section	.text._ZN7rocprim17ROCPRIM_400000_NS6detail17trampoline_kernelINS0_14default_configENS1_20scan_config_selectorIlEEZZNS1_9scan_implILNS1_25lookback_scan_determinismE0ELb0ELb0ES3_PlS8_lN6thrust23THRUST_200600_302600_NS4plusIvEElEEDaPvRmT3_T4_T5_mT6_P12ihipStream_tbENKUlT_T0_E_clISt17integral_constantIbLb0EESP_IbLb1EEEEDaSL_SM_EUlSL_E_NS1_11comp_targetILNS1_3genE2ELNS1_11target_archE906ELNS1_3gpuE6ELNS1_3repE0EEENS1_30default_config_static_selectorELNS0_4arch9wavefront6targetE1EEEvT1_,"axG",@progbits,_ZN7rocprim17ROCPRIM_400000_NS6detail17trampoline_kernelINS0_14default_configENS1_20scan_config_selectorIlEEZZNS1_9scan_implILNS1_25lookback_scan_determinismE0ELb0ELb0ES3_PlS8_lN6thrust23THRUST_200600_302600_NS4plusIvEElEEDaPvRmT3_T4_T5_mT6_P12ihipStream_tbENKUlT_T0_E_clISt17integral_constantIbLb0EESP_IbLb1EEEEDaSL_SM_EUlSL_E_NS1_11comp_targetILNS1_3genE2ELNS1_11target_archE906ELNS1_3gpuE6ELNS1_3repE0EEENS1_30default_config_static_selectorELNS0_4arch9wavefront6targetE1EEEvT1_,comdat
	.protected	_ZN7rocprim17ROCPRIM_400000_NS6detail17trampoline_kernelINS0_14default_configENS1_20scan_config_selectorIlEEZZNS1_9scan_implILNS1_25lookback_scan_determinismE0ELb0ELb0ES3_PlS8_lN6thrust23THRUST_200600_302600_NS4plusIvEElEEDaPvRmT3_T4_T5_mT6_P12ihipStream_tbENKUlT_T0_E_clISt17integral_constantIbLb0EESP_IbLb1EEEEDaSL_SM_EUlSL_E_NS1_11comp_targetILNS1_3genE2ELNS1_11target_archE906ELNS1_3gpuE6ELNS1_3repE0EEENS1_30default_config_static_selectorELNS0_4arch9wavefront6targetE1EEEvT1_ ; -- Begin function _ZN7rocprim17ROCPRIM_400000_NS6detail17trampoline_kernelINS0_14default_configENS1_20scan_config_selectorIlEEZZNS1_9scan_implILNS1_25lookback_scan_determinismE0ELb0ELb0ES3_PlS8_lN6thrust23THRUST_200600_302600_NS4plusIvEElEEDaPvRmT3_T4_T5_mT6_P12ihipStream_tbENKUlT_T0_E_clISt17integral_constantIbLb0EESP_IbLb1EEEEDaSL_SM_EUlSL_E_NS1_11comp_targetILNS1_3genE2ELNS1_11target_archE906ELNS1_3gpuE6ELNS1_3repE0EEENS1_30default_config_static_selectorELNS0_4arch9wavefront6targetE1EEEvT1_
	.globl	_ZN7rocprim17ROCPRIM_400000_NS6detail17trampoline_kernelINS0_14default_configENS1_20scan_config_selectorIlEEZZNS1_9scan_implILNS1_25lookback_scan_determinismE0ELb0ELb0ES3_PlS8_lN6thrust23THRUST_200600_302600_NS4plusIvEElEEDaPvRmT3_T4_T5_mT6_P12ihipStream_tbENKUlT_T0_E_clISt17integral_constantIbLb0EESP_IbLb1EEEEDaSL_SM_EUlSL_E_NS1_11comp_targetILNS1_3genE2ELNS1_11target_archE906ELNS1_3gpuE6ELNS1_3repE0EEENS1_30default_config_static_selectorELNS0_4arch9wavefront6targetE1EEEvT1_
	.p2align	8
	.type	_ZN7rocprim17ROCPRIM_400000_NS6detail17trampoline_kernelINS0_14default_configENS1_20scan_config_selectorIlEEZZNS1_9scan_implILNS1_25lookback_scan_determinismE0ELb0ELb0ES3_PlS8_lN6thrust23THRUST_200600_302600_NS4plusIvEElEEDaPvRmT3_T4_T5_mT6_P12ihipStream_tbENKUlT_T0_E_clISt17integral_constantIbLb0EESP_IbLb1EEEEDaSL_SM_EUlSL_E_NS1_11comp_targetILNS1_3genE2ELNS1_11target_archE906ELNS1_3gpuE6ELNS1_3repE0EEENS1_30default_config_static_selectorELNS0_4arch9wavefront6targetE1EEEvT1_,@function
_ZN7rocprim17ROCPRIM_400000_NS6detail17trampoline_kernelINS0_14default_configENS1_20scan_config_selectorIlEEZZNS1_9scan_implILNS1_25lookback_scan_determinismE0ELb0ELb0ES3_PlS8_lN6thrust23THRUST_200600_302600_NS4plusIvEElEEDaPvRmT3_T4_T5_mT6_P12ihipStream_tbENKUlT_T0_E_clISt17integral_constantIbLb0EESP_IbLb1EEEEDaSL_SM_EUlSL_E_NS1_11comp_targetILNS1_3genE2ELNS1_11target_archE906ELNS1_3gpuE6ELNS1_3repE0EEENS1_30default_config_static_selectorELNS0_4arch9wavefront6targetE1EEEvT1_: ; @_ZN7rocprim17ROCPRIM_400000_NS6detail17trampoline_kernelINS0_14default_configENS1_20scan_config_selectorIlEEZZNS1_9scan_implILNS1_25lookback_scan_determinismE0ELb0ELb0ES3_PlS8_lN6thrust23THRUST_200600_302600_NS4plusIvEElEEDaPvRmT3_T4_T5_mT6_P12ihipStream_tbENKUlT_T0_E_clISt17integral_constantIbLb0EESP_IbLb1EEEEDaSL_SM_EUlSL_E_NS1_11comp_targetILNS1_3genE2ELNS1_11target_archE906ELNS1_3gpuE6ELNS1_3repE0EEENS1_30default_config_static_selectorELNS0_4arch9wavefront6targetE1EEEvT1_
; %bb.0:
	.section	.rodata,"a",@progbits
	.p2align	6, 0x0
	.amdhsa_kernel _ZN7rocprim17ROCPRIM_400000_NS6detail17trampoline_kernelINS0_14default_configENS1_20scan_config_selectorIlEEZZNS1_9scan_implILNS1_25lookback_scan_determinismE0ELb0ELb0ES3_PlS8_lN6thrust23THRUST_200600_302600_NS4plusIvEElEEDaPvRmT3_T4_T5_mT6_P12ihipStream_tbENKUlT_T0_E_clISt17integral_constantIbLb0EESP_IbLb1EEEEDaSL_SM_EUlSL_E_NS1_11comp_targetILNS1_3genE2ELNS1_11target_archE906ELNS1_3gpuE6ELNS1_3repE0EEENS1_30default_config_static_selectorELNS0_4arch9wavefront6targetE1EEEvT1_
		.amdhsa_group_segment_fixed_size 0
		.amdhsa_private_segment_fixed_size 0
		.amdhsa_kernarg_size 104
		.amdhsa_user_sgpr_count 6
		.amdhsa_user_sgpr_private_segment_buffer 1
		.amdhsa_user_sgpr_dispatch_ptr 0
		.amdhsa_user_sgpr_queue_ptr 0
		.amdhsa_user_sgpr_kernarg_segment_ptr 1
		.amdhsa_user_sgpr_dispatch_id 0
		.amdhsa_user_sgpr_flat_scratch_init 0
		.amdhsa_user_sgpr_kernarg_preload_length 0
		.amdhsa_user_sgpr_kernarg_preload_offset 0
		.amdhsa_user_sgpr_private_segment_size 0
		.amdhsa_uses_dynamic_stack 0
		.amdhsa_system_sgpr_private_segment_wavefront_offset 0
		.amdhsa_system_sgpr_workgroup_id_x 1
		.amdhsa_system_sgpr_workgroup_id_y 0
		.amdhsa_system_sgpr_workgroup_id_z 0
		.amdhsa_system_sgpr_workgroup_info 0
		.amdhsa_system_vgpr_workitem_id 0
		.amdhsa_next_free_vgpr 1
		.amdhsa_next_free_sgpr 0
		.amdhsa_accum_offset 4
		.amdhsa_reserve_vcc 0
		.amdhsa_reserve_flat_scratch 0
		.amdhsa_float_round_mode_32 0
		.amdhsa_float_round_mode_16_64 0
		.amdhsa_float_denorm_mode_32 3
		.amdhsa_float_denorm_mode_16_64 3
		.amdhsa_dx10_clamp 1
		.amdhsa_ieee_mode 1
		.amdhsa_fp16_overflow 0
		.amdhsa_tg_split 0
		.amdhsa_exception_fp_ieee_invalid_op 0
		.amdhsa_exception_fp_denorm_src 0
		.amdhsa_exception_fp_ieee_div_zero 0
		.amdhsa_exception_fp_ieee_overflow 0
		.amdhsa_exception_fp_ieee_underflow 0
		.amdhsa_exception_fp_ieee_inexact 0
		.amdhsa_exception_int_div_zero 0
	.end_amdhsa_kernel
	.section	.text._ZN7rocprim17ROCPRIM_400000_NS6detail17trampoline_kernelINS0_14default_configENS1_20scan_config_selectorIlEEZZNS1_9scan_implILNS1_25lookback_scan_determinismE0ELb0ELb0ES3_PlS8_lN6thrust23THRUST_200600_302600_NS4plusIvEElEEDaPvRmT3_T4_T5_mT6_P12ihipStream_tbENKUlT_T0_E_clISt17integral_constantIbLb0EESP_IbLb1EEEEDaSL_SM_EUlSL_E_NS1_11comp_targetILNS1_3genE2ELNS1_11target_archE906ELNS1_3gpuE6ELNS1_3repE0EEENS1_30default_config_static_selectorELNS0_4arch9wavefront6targetE1EEEvT1_,"axG",@progbits,_ZN7rocprim17ROCPRIM_400000_NS6detail17trampoline_kernelINS0_14default_configENS1_20scan_config_selectorIlEEZZNS1_9scan_implILNS1_25lookback_scan_determinismE0ELb0ELb0ES3_PlS8_lN6thrust23THRUST_200600_302600_NS4plusIvEElEEDaPvRmT3_T4_T5_mT6_P12ihipStream_tbENKUlT_T0_E_clISt17integral_constantIbLb0EESP_IbLb1EEEEDaSL_SM_EUlSL_E_NS1_11comp_targetILNS1_3genE2ELNS1_11target_archE906ELNS1_3gpuE6ELNS1_3repE0EEENS1_30default_config_static_selectorELNS0_4arch9wavefront6targetE1EEEvT1_,comdat
.Lfunc_end145:
	.size	_ZN7rocprim17ROCPRIM_400000_NS6detail17trampoline_kernelINS0_14default_configENS1_20scan_config_selectorIlEEZZNS1_9scan_implILNS1_25lookback_scan_determinismE0ELb0ELb0ES3_PlS8_lN6thrust23THRUST_200600_302600_NS4plusIvEElEEDaPvRmT3_T4_T5_mT6_P12ihipStream_tbENKUlT_T0_E_clISt17integral_constantIbLb0EESP_IbLb1EEEEDaSL_SM_EUlSL_E_NS1_11comp_targetILNS1_3genE2ELNS1_11target_archE906ELNS1_3gpuE6ELNS1_3repE0EEENS1_30default_config_static_selectorELNS0_4arch9wavefront6targetE1EEEvT1_, .Lfunc_end145-_ZN7rocprim17ROCPRIM_400000_NS6detail17trampoline_kernelINS0_14default_configENS1_20scan_config_selectorIlEEZZNS1_9scan_implILNS1_25lookback_scan_determinismE0ELb0ELb0ES3_PlS8_lN6thrust23THRUST_200600_302600_NS4plusIvEElEEDaPvRmT3_T4_T5_mT6_P12ihipStream_tbENKUlT_T0_E_clISt17integral_constantIbLb0EESP_IbLb1EEEEDaSL_SM_EUlSL_E_NS1_11comp_targetILNS1_3genE2ELNS1_11target_archE906ELNS1_3gpuE6ELNS1_3repE0EEENS1_30default_config_static_selectorELNS0_4arch9wavefront6targetE1EEEvT1_
                                        ; -- End function
	.section	.AMDGPU.csdata,"",@progbits
; Kernel info:
; codeLenInByte = 0
; NumSgprs: 4
; NumVgprs: 0
; NumAgprs: 0
; TotalNumVgprs: 0
; ScratchSize: 0
; MemoryBound: 0
; FloatMode: 240
; IeeeMode: 1
; LDSByteSize: 0 bytes/workgroup (compile time only)
; SGPRBlocks: 0
; VGPRBlocks: 0
; NumSGPRsForWavesPerEU: 4
; NumVGPRsForWavesPerEU: 1
; AccumOffset: 4
; Occupancy: 8
; WaveLimiterHint : 0
; COMPUTE_PGM_RSRC2:SCRATCH_EN: 0
; COMPUTE_PGM_RSRC2:USER_SGPR: 6
; COMPUTE_PGM_RSRC2:TRAP_HANDLER: 0
; COMPUTE_PGM_RSRC2:TGID_X_EN: 1
; COMPUTE_PGM_RSRC2:TGID_Y_EN: 0
; COMPUTE_PGM_RSRC2:TGID_Z_EN: 0
; COMPUTE_PGM_RSRC2:TIDIG_COMP_CNT: 0
; COMPUTE_PGM_RSRC3_GFX90A:ACCUM_OFFSET: 0
; COMPUTE_PGM_RSRC3_GFX90A:TG_SPLIT: 0
	.section	.text._ZN7rocprim17ROCPRIM_400000_NS6detail17trampoline_kernelINS0_14default_configENS1_20scan_config_selectorIlEEZZNS1_9scan_implILNS1_25lookback_scan_determinismE0ELb0ELb0ES3_PlS8_lN6thrust23THRUST_200600_302600_NS4plusIvEElEEDaPvRmT3_T4_T5_mT6_P12ihipStream_tbENKUlT_T0_E_clISt17integral_constantIbLb0EESP_IbLb1EEEEDaSL_SM_EUlSL_E_NS1_11comp_targetILNS1_3genE10ELNS1_11target_archE1201ELNS1_3gpuE5ELNS1_3repE0EEENS1_30default_config_static_selectorELNS0_4arch9wavefront6targetE1EEEvT1_,"axG",@progbits,_ZN7rocprim17ROCPRIM_400000_NS6detail17trampoline_kernelINS0_14default_configENS1_20scan_config_selectorIlEEZZNS1_9scan_implILNS1_25lookback_scan_determinismE0ELb0ELb0ES3_PlS8_lN6thrust23THRUST_200600_302600_NS4plusIvEElEEDaPvRmT3_T4_T5_mT6_P12ihipStream_tbENKUlT_T0_E_clISt17integral_constantIbLb0EESP_IbLb1EEEEDaSL_SM_EUlSL_E_NS1_11comp_targetILNS1_3genE10ELNS1_11target_archE1201ELNS1_3gpuE5ELNS1_3repE0EEENS1_30default_config_static_selectorELNS0_4arch9wavefront6targetE1EEEvT1_,comdat
	.protected	_ZN7rocprim17ROCPRIM_400000_NS6detail17trampoline_kernelINS0_14default_configENS1_20scan_config_selectorIlEEZZNS1_9scan_implILNS1_25lookback_scan_determinismE0ELb0ELb0ES3_PlS8_lN6thrust23THRUST_200600_302600_NS4plusIvEElEEDaPvRmT3_T4_T5_mT6_P12ihipStream_tbENKUlT_T0_E_clISt17integral_constantIbLb0EESP_IbLb1EEEEDaSL_SM_EUlSL_E_NS1_11comp_targetILNS1_3genE10ELNS1_11target_archE1201ELNS1_3gpuE5ELNS1_3repE0EEENS1_30default_config_static_selectorELNS0_4arch9wavefront6targetE1EEEvT1_ ; -- Begin function _ZN7rocprim17ROCPRIM_400000_NS6detail17trampoline_kernelINS0_14default_configENS1_20scan_config_selectorIlEEZZNS1_9scan_implILNS1_25lookback_scan_determinismE0ELb0ELb0ES3_PlS8_lN6thrust23THRUST_200600_302600_NS4plusIvEElEEDaPvRmT3_T4_T5_mT6_P12ihipStream_tbENKUlT_T0_E_clISt17integral_constantIbLb0EESP_IbLb1EEEEDaSL_SM_EUlSL_E_NS1_11comp_targetILNS1_3genE10ELNS1_11target_archE1201ELNS1_3gpuE5ELNS1_3repE0EEENS1_30default_config_static_selectorELNS0_4arch9wavefront6targetE1EEEvT1_
	.globl	_ZN7rocprim17ROCPRIM_400000_NS6detail17trampoline_kernelINS0_14default_configENS1_20scan_config_selectorIlEEZZNS1_9scan_implILNS1_25lookback_scan_determinismE0ELb0ELb0ES3_PlS8_lN6thrust23THRUST_200600_302600_NS4plusIvEElEEDaPvRmT3_T4_T5_mT6_P12ihipStream_tbENKUlT_T0_E_clISt17integral_constantIbLb0EESP_IbLb1EEEEDaSL_SM_EUlSL_E_NS1_11comp_targetILNS1_3genE10ELNS1_11target_archE1201ELNS1_3gpuE5ELNS1_3repE0EEENS1_30default_config_static_selectorELNS0_4arch9wavefront6targetE1EEEvT1_
	.p2align	8
	.type	_ZN7rocprim17ROCPRIM_400000_NS6detail17trampoline_kernelINS0_14default_configENS1_20scan_config_selectorIlEEZZNS1_9scan_implILNS1_25lookback_scan_determinismE0ELb0ELb0ES3_PlS8_lN6thrust23THRUST_200600_302600_NS4plusIvEElEEDaPvRmT3_T4_T5_mT6_P12ihipStream_tbENKUlT_T0_E_clISt17integral_constantIbLb0EESP_IbLb1EEEEDaSL_SM_EUlSL_E_NS1_11comp_targetILNS1_3genE10ELNS1_11target_archE1201ELNS1_3gpuE5ELNS1_3repE0EEENS1_30default_config_static_selectorELNS0_4arch9wavefront6targetE1EEEvT1_,@function
_ZN7rocprim17ROCPRIM_400000_NS6detail17trampoline_kernelINS0_14default_configENS1_20scan_config_selectorIlEEZZNS1_9scan_implILNS1_25lookback_scan_determinismE0ELb0ELb0ES3_PlS8_lN6thrust23THRUST_200600_302600_NS4plusIvEElEEDaPvRmT3_T4_T5_mT6_P12ihipStream_tbENKUlT_T0_E_clISt17integral_constantIbLb0EESP_IbLb1EEEEDaSL_SM_EUlSL_E_NS1_11comp_targetILNS1_3genE10ELNS1_11target_archE1201ELNS1_3gpuE5ELNS1_3repE0EEENS1_30default_config_static_selectorELNS0_4arch9wavefront6targetE1EEEvT1_: ; @_ZN7rocprim17ROCPRIM_400000_NS6detail17trampoline_kernelINS0_14default_configENS1_20scan_config_selectorIlEEZZNS1_9scan_implILNS1_25lookback_scan_determinismE0ELb0ELb0ES3_PlS8_lN6thrust23THRUST_200600_302600_NS4plusIvEElEEDaPvRmT3_T4_T5_mT6_P12ihipStream_tbENKUlT_T0_E_clISt17integral_constantIbLb0EESP_IbLb1EEEEDaSL_SM_EUlSL_E_NS1_11comp_targetILNS1_3genE10ELNS1_11target_archE1201ELNS1_3gpuE5ELNS1_3repE0EEENS1_30default_config_static_selectorELNS0_4arch9wavefront6targetE1EEEvT1_
; %bb.0:
	.section	.rodata,"a",@progbits
	.p2align	6, 0x0
	.amdhsa_kernel _ZN7rocprim17ROCPRIM_400000_NS6detail17trampoline_kernelINS0_14default_configENS1_20scan_config_selectorIlEEZZNS1_9scan_implILNS1_25lookback_scan_determinismE0ELb0ELb0ES3_PlS8_lN6thrust23THRUST_200600_302600_NS4plusIvEElEEDaPvRmT3_T4_T5_mT6_P12ihipStream_tbENKUlT_T0_E_clISt17integral_constantIbLb0EESP_IbLb1EEEEDaSL_SM_EUlSL_E_NS1_11comp_targetILNS1_3genE10ELNS1_11target_archE1201ELNS1_3gpuE5ELNS1_3repE0EEENS1_30default_config_static_selectorELNS0_4arch9wavefront6targetE1EEEvT1_
		.amdhsa_group_segment_fixed_size 0
		.amdhsa_private_segment_fixed_size 0
		.amdhsa_kernarg_size 104
		.amdhsa_user_sgpr_count 6
		.amdhsa_user_sgpr_private_segment_buffer 1
		.amdhsa_user_sgpr_dispatch_ptr 0
		.amdhsa_user_sgpr_queue_ptr 0
		.amdhsa_user_sgpr_kernarg_segment_ptr 1
		.amdhsa_user_sgpr_dispatch_id 0
		.amdhsa_user_sgpr_flat_scratch_init 0
		.amdhsa_user_sgpr_kernarg_preload_length 0
		.amdhsa_user_sgpr_kernarg_preload_offset 0
		.amdhsa_user_sgpr_private_segment_size 0
		.amdhsa_uses_dynamic_stack 0
		.amdhsa_system_sgpr_private_segment_wavefront_offset 0
		.amdhsa_system_sgpr_workgroup_id_x 1
		.amdhsa_system_sgpr_workgroup_id_y 0
		.amdhsa_system_sgpr_workgroup_id_z 0
		.amdhsa_system_sgpr_workgroup_info 0
		.amdhsa_system_vgpr_workitem_id 0
		.amdhsa_next_free_vgpr 1
		.amdhsa_next_free_sgpr 0
		.amdhsa_accum_offset 4
		.amdhsa_reserve_vcc 0
		.amdhsa_reserve_flat_scratch 0
		.amdhsa_float_round_mode_32 0
		.amdhsa_float_round_mode_16_64 0
		.amdhsa_float_denorm_mode_32 3
		.amdhsa_float_denorm_mode_16_64 3
		.amdhsa_dx10_clamp 1
		.amdhsa_ieee_mode 1
		.amdhsa_fp16_overflow 0
		.amdhsa_tg_split 0
		.amdhsa_exception_fp_ieee_invalid_op 0
		.amdhsa_exception_fp_denorm_src 0
		.amdhsa_exception_fp_ieee_div_zero 0
		.amdhsa_exception_fp_ieee_overflow 0
		.amdhsa_exception_fp_ieee_underflow 0
		.amdhsa_exception_fp_ieee_inexact 0
		.amdhsa_exception_int_div_zero 0
	.end_amdhsa_kernel
	.section	.text._ZN7rocprim17ROCPRIM_400000_NS6detail17trampoline_kernelINS0_14default_configENS1_20scan_config_selectorIlEEZZNS1_9scan_implILNS1_25lookback_scan_determinismE0ELb0ELb0ES3_PlS8_lN6thrust23THRUST_200600_302600_NS4plusIvEElEEDaPvRmT3_T4_T5_mT6_P12ihipStream_tbENKUlT_T0_E_clISt17integral_constantIbLb0EESP_IbLb1EEEEDaSL_SM_EUlSL_E_NS1_11comp_targetILNS1_3genE10ELNS1_11target_archE1201ELNS1_3gpuE5ELNS1_3repE0EEENS1_30default_config_static_selectorELNS0_4arch9wavefront6targetE1EEEvT1_,"axG",@progbits,_ZN7rocprim17ROCPRIM_400000_NS6detail17trampoline_kernelINS0_14default_configENS1_20scan_config_selectorIlEEZZNS1_9scan_implILNS1_25lookback_scan_determinismE0ELb0ELb0ES3_PlS8_lN6thrust23THRUST_200600_302600_NS4plusIvEElEEDaPvRmT3_T4_T5_mT6_P12ihipStream_tbENKUlT_T0_E_clISt17integral_constantIbLb0EESP_IbLb1EEEEDaSL_SM_EUlSL_E_NS1_11comp_targetILNS1_3genE10ELNS1_11target_archE1201ELNS1_3gpuE5ELNS1_3repE0EEENS1_30default_config_static_selectorELNS0_4arch9wavefront6targetE1EEEvT1_,comdat
.Lfunc_end146:
	.size	_ZN7rocprim17ROCPRIM_400000_NS6detail17trampoline_kernelINS0_14default_configENS1_20scan_config_selectorIlEEZZNS1_9scan_implILNS1_25lookback_scan_determinismE0ELb0ELb0ES3_PlS8_lN6thrust23THRUST_200600_302600_NS4plusIvEElEEDaPvRmT3_T4_T5_mT6_P12ihipStream_tbENKUlT_T0_E_clISt17integral_constantIbLb0EESP_IbLb1EEEEDaSL_SM_EUlSL_E_NS1_11comp_targetILNS1_3genE10ELNS1_11target_archE1201ELNS1_3gpuE5ELNS1_3repE0EEENS1_30default_config_static_selectorELNS0_4arch9wavefront6targetE1EEEvT1_, .Lfunc_end146-_ZN7rocprim17ROCPRIM_400000_NS6detail17trampoline_kernelINS0_14default_configENS1_20scan_config_selectorIlEEZZNS1_9scan_implILNS1_25lookback_scan_determinismE0ELb0ELb0ES3_PlS8_lN6thrust23THRUST_200600_302600_NS4plusIvEElEEDaPvRmT3_T4_T5_mT6_P12ihipStream_tbENKUlT_T0_E_clISt17integral_constantIbLb0EESP_IbLb1EEEEDaSL_SM_EUlSL_E_NS1_11comp_targetILNS1_3genE10ELNS1_11target_archE1201ELNS1_3gpuE5ELNS1_3repE0EEENS1_30default_config_static_selectorELNS0_4arch9wavefront6targetE1EEEvT1_
                                        ; -- End function
	.section	.AMDGPU.csdata,"",@progbits
; Kernel info:
; codeLenInByte = 0
; NumSgprs: 4
; NumVgprs: 0
; NumAgprs: 0
; TotalNumVgprs: 0
; ScratchSize: 0
; MemoryBound: 0
; FloatMode: 240
; IeeeMode: 1
; LDSByteSize: 0 bytes/workgroup (compile time only)
; SGPRBlocks: 0
; VGPRBlocks: 0
; NumSGPRsForWavesPerEU: 4
; NumVGPRsForWavesPerEU: 1
; AccumOffset: 4
; Occupancy: 8
; WaveLimiterHint : 0
; COMPUTE_PGM_RSRC2:SCRATCH_EN: 0
; COMPUTE_PGM_RSRC2:USER_SGPR: 6
; COMPUTE_PGM_RSRC2:TRAP_HANDLER: 0
; COMPUTE_PGM_RSRC2:TGID_X_EN: 1
; COMPUTE_PGM_RSRC2:TGID_Y_EN: 0
; COMPUTE_PGM_RSRC2:TGID_Z_EN: 0
; COMPUTE_PGM_RSRC2:TIDIG_COMP_CNT: 0
; COMPUTE_PGM_RSRC3_GFX90A:ACCUM_OFFSET: 0
; COMPUTE_PGM_RSRC3_GFX90A:TG_SPLIT: 0
	.section	.text._ZN7rocprim17ROCPRIM_400000_NS6detail17trampoline_kernelINS0_14default_configENS1_20scan_config_selectorIlEEZZNS1_9scan_implILNS1_25lookback_scan_determinismE0ELb0ELb0ES3_PlS8_lN6thrust23THRUST_200600_302600_NS4plusIvEElEEDaPvRmT3_T4_T5_mT6_P12ihipStream_tbENKUlT_T0_E_clISt17integral_constantIbLb0EESP_IbLb1EEEEDaSL_SM_EUlSL_E_NS1_11comp_targetILNS1_3genE10ELNS1_11target_archE1200ELNS1_3gpuE4ELNS1_3repE0EEENS1_30default_config_static_selectorELNS0_4arch9wavefront6targetE1EEEvT1_,"axG",@progbits,_ZN7rocprim17ROCPRIM_400000_NS6detail17trampoline_kernelINS0_14default_configENS1_20scan_config_selectorIlEEZZNS1_9scan_implILNS1_25lookback_scan_determinismE0ELb0ELb0ES3_PlS8_lN6thrust23THRUST_200600_302600_NS4plusIvEElEEDaPvRmT3_T4_T5_mT6_P12ihipStream_tbENKUlT_T0_E_clISt17integral_constantIbLb0EESP_IbLb1EEEEDaSL_SM_EUlSL_E_NS1_11comp_targetILNS1_3genE10ELNS1_11target_archE1200ELNS1_3gpuE4ELNS1_3repE0EEENS1_30default_config_static_selectorELNS0_4arch9wavefront6targetE1EEEvT1_,comdat
	.protected	_ZN7rocprim17ROCPRIM_400000_NS6detail17trampoline_kernelINS0_14default_configENS1_20scan_config_selectorIlEEZZNS1_9scan_implILNS1_25lookback_scan_determinismE0ELb0ELb0ES3_PlS8_lN6thrust23THRUST_200600_302600_NS4plusIvEElEEDaPvRmT3_T4_T5_mT6_P12ihipStream_tbENKUlT_T0_E_clISt17integral_constantIbLb0EESP_IbLb1EEEEDaSL_SM_EUlSL_E_NS1_11comp_targetILNS1_3genE10ELNS1_11target_archE1200ELNS1_3gpuE4ELNS1_3repE0EEENS1_30default_config_static_selectorELNS0_4arch9wavefront6targetE1EEEvT1_ ; -- Begin function _ZN7rocprim17ROCPRIM_400000_NS6detail17trampoline_kernelINS0_14default_configENS1_20scan_config_selectorIlEEZZNS1_9scan_implILNS1_25lookback_scan_determinismE0ELb0ELb0ES3_PlS8_lN6thrust23THRUST_200600_302600_NS4plusIvEElEEDaPvRmT3_T4_T5_mT6_P12ihipStream_tbENKUlT_T0_E_clISt17integral_constantIbLb0EESP_IbLb1EEEEDaSL_SM_EUlSL_E_NS1_11comp_targetILNS1_3genE10ELNS1_11target_archE1200ELNS1_3gpuE4ELNS1_3repE0EEENS1_30default_config_static_selectorELNS0_4arch9wavefront6targetE1EEEvT1_
	.globl	_ZN7rocprim17ROCPRIM_400000_NS6detail17trampoline_kernelINS0_14default_configENS1_20scan_config_selectorIlEEZZNS1_9scan_implILNS1_25lookback_scan_determinismE0ELb0ELb0ES3_PlS8_lN6thrust23THRUST_200600_302600_NS4plusIvEElEEDaPvRmT3_T4_T5_mT6_P12ihipStream_tbENKUlT_T0_E_clISt17integral_constantIbLb0EESP_IbLb1EEEEDaSL_SM_EUlSL_E_NS1_11comp_targetILNS1_3genE10ELNS1_11target_archE1200ELNS1_3gpuE4ELNS1_3repE0EEENS1_30default_config_static_selectorELNS0_4arch9wavefront6targetE1EEEvT1_
	.p2align	8
	.type	_ZN7rocprim17ROCPRIM_400000_NS6detail17trampoline_kernelINS0_14default_configENS1_20scan_config_selectorIlEEZZNS1_9scan_implILNS1_25lookback_scan_determinismE0ELb0ELb0ES3_PlS8_lN6thrust23THRUST_200600_302600_NS4plusIvEElEEDaPvRmT3_T4_T5_mT6_P12ihipStream_tbENKUlT_T0_E_clISt17integral_constantIbLb0EESP_IbLb1EEEEDaSL_SM_EUlSL_E_NS1_11comp_targetILNS1_3genE10ELNS1_11target_archE1200ELNS1_3gpuE4ELNS1_3repE0EEENS1_30default_config_static_selectorELNS0_4arch9wavefront6targetE1EEEvT1_,@function
_ZN7rocprim17ROCPRIM_400000_NS6detail17trampoline_kernelINS0_14default_configENS1_20scan_config_selectorIlEEZZNS1_9scan_implILNS1_25lookback_scan_determinismE0ELb0ELb0ES3_PlS8_lN6thrust23THRUST_200600_302600_NS4plusIvEElEEDaPvRmT3_T4_T5_mT6_P12ihipStream_tbENKUlT_T0_E_clISt17integral_constantIbLb0EESP_IbLb1EEEEDaSL_SM_EUlSL_E_NS1_11comp_targetILNS1_3genE10ELNS1_11target_archE1200ELNS1_3gpuE4ELNS1_3repE0EEENS1_30default_config_static_selectorELNS0_4arch9wavefront6targetE1EEEvT1_: ; @_ZN7rocprim17ROCPRIM_400000_NS6detail17trampoline_kernelINS0_14default_configENS1_20scan_config_selectorIlEEZZNS1_9scan_implILNS1_25lookback_scan_determinismE0ELb0ELb0ES3_PlS8_lN6thrust23THRUST_200600_302600_NS4plusIvEElEEDaPvRmT3_T4_T5_mT6_P12ihipStream_tbENKUlT_T0_E_clISt17integral_constantIbLb0EESP_IbLb1EEEEDaSL_SM_EUlSL_E_NS1_11comp_targetILNS1_3genE10ELNS1_11target_archE1200ELNS1_3gpuE4ELNS1_3repE0EEENS1_30default_config_static_selectorELNS0_4arch9wavefront6targetE1EEEvT1_
; %bb.0:
	.section	.rodata,"a",@progbits
	.p2align	6, 0x0
	.amdhsa_kernel _ZN7rocprim17ROCPRIM_400000_NS6detail17trampoline_kernelINS0_14default_configENS1_20scan_config_selectorIlEEZZNS1_9scan_implILNS1_25lookback_scan_determinismE0ELb0ELb0ES3_PlS8_lN6thrust23THRUST_200600_302600_NS4plusIvEElEEDaPvRmT3_T4_T5_mT6_P12ihipStream_tbENKUlT_T0_E_clISt17integral_constantIbLb0EESP_IbLb1EEEEDaSL_SM_EUlSL_E_NS1_11comp_targetILNS1_3genE10ELNS1_11target_archE1200ELNS1_3gpuE4ELNS1_3repE0EEENS1_30default_config_static_selectorELNS0_4arch9wavefront6targetE1EEEvT1_
		.amdhsa_group_segment_fixed_size 0
		.amdhsa_private_segment_fixed_size 0
		.amdhsa_kernarg_size 104
		.amdhsa_user_sgpr_count 6
		.amdhsa_user_sgpr_private_segment_buffer 1
		.amdhsa_user_sgpr_dispatch_ptr 0
		.amdhsa_user_sgpr_queue_ptr 0
		.amdhsa_user_sgpr_kernarg_segment_ptr 1
		.amdhsa_user_sgpr_dispatch_id 0
		.amdhsa_user_sgpr_flat_scratch_init 0
		.amdhsa_user_sgpr_kernarg_preload_length 0
		.amdhsa_user_sgpr_kernarg_preload_offset 0
		.amdhsa_user_sgpr_private_segment_size 0
		.amdhsa_uses_dynamic_stack 0
		.amdhsa_system_sgpr_private_segment_wavefront_offset 0
		.amdhsa_system_sgpr_workgroup_id_x 1
		.amdhsa_system_sgpr_workgroup_id_y 0
		.amdhsa_system_sgpr_workgroup_id_z 0
		.amdhsa_system_sgpr_workgroup_info 0
		.amdhsa_system_vgpr_workitem_id 0
		.amdhsa_next_free_vgpr 1
		.amdhsa_next_free_sgpr 0
		.amdhsa_accum_offset 4
		.amdhsa_reserve_vcc 0
		.amdhsa_reserve_flat_scratch 0
		.amdhsa_float_round_mode_32 0
		.amdhsa_float_round_mode_16_64 0
		.amdhsa_float_denorm_mode_32 3
		.amdhsa_float_denorm_mode_16_64 3
		.amdhsa_dx10_clamp 1
		.amdhsa_ieee_mode 1
		.amdhsa_fp16_overflow 0
		.amdhsa_tg_split 0
		.amdhsa_exception_fp_ieee_invalid_op 0
		.amdhsa_exception_fp_denorm_src 0
		.amdhsa_exception_fp_ieee_div_zero 0
		.amdhsa_exception_fp_ieee_overflow 0
		.amdhsa_exception_fp_ieee_underflow 0
		.amdhsa_exception_fp_ieee_inexact 0
		.amdhsa_exception_int_div_zero 0
	.end_amdhsa_kernel
	.section	.text._ZN7rocprim17ROCPRIM_400000_NS6detail17trampoline_kernelINS0_14default_configENS1_20scan_config_selectorIlEEZZNS1_9scan_implILNS1_25lookback_scan_determinismE0ELb0ELb0ES3_PlS8_lN6thrust23THRUST_200600_302600_NS4plusIvEElEEDaPvRmT3_T4_T5_mT6_P12ihipStream_tbENKUlT_T0_E_clISt17integral_constantIbLb0EESP_IbLb1EEEEDaSL_SM_EUlSL_E_NS1_11comp_targetILNS1_3genE10ELNS1_11target_archE1200ELNS1_3gpuE4ELNS1_3repE0EEENS1_30default_config_static_selectorELNS0_4arch9wavefront6targetE1EEEvT1_,"axG",@progbits,_ZN7rocprim17ROCPRIM_400000_NS6detail17trampoline_kernelINS0_14default_configENS1_20scan_config_selectorIlEEZZNS1_9scan_implILNS1_25lookback_scan_determinismE0ELb0ELb0ES3_PlS8_lN6thrust23THRUST_200600_302600_NS4plusIvEElEEDaPvRmT3_T4_T5_mT6_P12ihipStream_tbENKUlT_T0_E_clISt17integral_constantIbLb0EESP_IbLb1EEEEDaSL_SM_EUlSL_E_NS1_11comp_targetILNS1_3genE10ELNS1_11target_archE1200ELNS1_3gpuE4ELNS1_3repE0EEENS1_30default_config_static_selectorELNS0_4arch9wavefront6targetE1EEEvT1_,comdat
.Lfunc_end147:
	.size	_ZN7rocprim17ROCPRIM_400000_NS6detail17trampoline_kernelINS0_14default_configENS1_20scan_config_selectorIlEEZZNS1_9scan_implILNS1_25lookback_scan_determinismE0ELb0ELb0ES3_PlS8_lN6thrust23THRUST_200600_302600_NS4plusIvEElEEDaPvRmT3_T4_T5_mT6_P12ihipStream_tbENKUlT_T0_E_clISt17integral_constantIbLb0EESP_IbLb1EEEEDaSL_SM_EUlSL_E_NS1_11comp_targetILNS1_3genE10ELNS1_11target_archE1200ELNS1_3gpuE4ELNS1_3repE0EEENS1_30default_config_static_selectorELNS0_4arch9wavefront6targetE1EEEvT1_, .Lfunc_end147-_ZN7rocprim17ROCPRIM_400000_NS6detail17trampoline_kernelINS0_14default_configENS1_20scan_config_selectorIlEEZZNS1_9scan_implILNS1_25lookback_scan_determinismE0ELb0ELb0ES3_PlS8_lN6thrust23THRUST_200600_302600_NS4plusIvEElEEDaPvRmT3_T4_T5_mT6_P12ihipStream_tbENKUlT_T0_E_clISt17integral_constantIbLb0EESP_IbLb1EEEEDaSL_SM_EUlSL_E_NS1_11comp_targetILNS1_3genE10ELNS1_11target_archE1200ELNS1_3gpuE4ELNS1_3repE0EEENS1_30default_config_static_selectorELNS0_4arch9wavefront6targetE1EEEvT1_
                                        ; -- End function
	.section	.AMDGPU.csdata,"",@progbits
; Kernel info:
; codeLenInByte = 0
; NumSgprs: 4
; NumVgprs: 0
; NumAgprs: 0
; TotalNumVgprs: 0
; ScratchSize: 0
; MemoryBound: 0
; FloatMode: 240
; IeeeMode: 1
; LDSByteSize: 0 bytes/workgroup (compile time only)
; SGPRBlocks: 0
; VGPRBlocks: 0
; NumSGPRsForWavesPerEU: 4
; NumVGPRsForWavesPerEU: 1
; AccumOffset: 4
; Occupancy: 8
; WaveLimiterHint : 0
; COMPUTE_PGM_RSRC2:SCRATCH_EN: 0
; COMPUTE_PGM_RSRC2:USER_SGPR: 6
; COMPUTE_PGM_RSRC2:TRAP_HANDLER: 0
; COMPUTE_PGM_RSRC2:TGID_X_EN: 1
; COMPUTE_PGM_RSRC2:TGID_Y_EN: 0
; COMPUTE_PGM_RSRC2:TGID_Z_EN: 0
; COMPUTE_PGM_RSRC2:TIDIG_COMP_CNT: 0
; COMPUTE_PGM_RSRC3_GFX90A:ACCUM_OFFSET: 0
; COMPUTE_PGM_RSRC3_GFX90A:TG_SPLIT: 0
	.section	.text._ZN7rocprim17ROCPRIM_400000_NS6detail17trampoline_kernelINS0_14default_configENS1_20scan_config_selectorIlEEZZNS1_9scan_implILNS1_25lookback_scan_determinismE0ELb0ELb0ES3_PlS8_lN6thrust23THRUST_200600_302600_NS4plusIvEElEEDaPvRmT3_T4_T5_mT6_P12ihipStream_tbENKUlT_T0_E_clISt17integral_constantIbLb0EESP_IbLb1EEEEDaSL_SM_EUlSL_E_NS1_11comp_targetILNS1_3genE9ELNS1_11target_archE1100ELNS1_3gpuE3ELNS1_3repE0EEENS1_30default_config_static_selectorELNS0_4arch9wavefront6targetE1EEEvT1_,"axG",@progbits,_ZN7rocprim17ROCPRIM_400000_NS6detail17trampoline_kernelINS0_14default_configENS1_20scan_config_selectorIlEEZZNS1_9scan_implILNS1_25lookback_scan_determinismE0ELb0ELb0ES3_PlS8_lN6thrust23THRUST_200600_302600_NS4plusIvEElEEDaPvRmT3_T4_T5_mT6_P12ihipStream_tbENKUlT_T0_E_clISt17integral_constantIbLb0EESP_IbLb1EEEEDaSL_SM_EUlSL_E_NS1_11comp_targetILNS1_3genE9ELNS1_11target_archE1100ELNS1_3gpuE3ELNS1_3repE0EEENS1_30default_config_static_selectorELNS0_4arch9wavefront6targetE1EEEvT1_,comdat
	.protected	_ZN7rocprim17ROCPRIM_400000_NS6detail17trampoline_kernelINS0_14default_configENS1_20scan_config_selectorIlEEZZNS1_9scan_implILNS1_25lookback_scan_determinismE0ELb0ELb0ES3_PlS8_lN6thrust23THRUST_200600_302600_NS4plusIvEElEEDaPvRmT3_T4_T5_mT6_P12ihipStream_tbENKUlT_T0_E_clISt17integral_constantIbLb0EESP_IbLb1EEEEDaSL_SM_EUlSL_E_NS1_11comp_targetILNS1_3genE9ELNS1_11target_archE1100ELNS1_3gpuE3ELNS1_3repE0EEENS1_30default_config_static_selectorELNS0_4arch9wavefront6targetE1EEEvT1_ ; -- Begin function _ZN7rocprim17ROCPRIM_400000_NS6detail17trampoline_kernelINS0_14default_configENS1_20scan_config_selectorIlEEZZNS1_9scan_implILNS1_25lookback_scan_determinismE0ELb0ELb0ES3_PlS8_lN6thrust23THRUST_200600_302600_NS4plusIvEElEEDaPvRmT3_T4_T5_mT6_P12ihipStream_tbENKUlT_T0_E_clISt17integral_constantIbLb0EESP_IbLb1EEEEDaSL_SM_EUlSL_E_NS1_11comp_targetILNS1_3genE9ELNS1_11target_archE1100ELNS1_3gpuE3ELNS1_3repE0EEENS1_30default_config_static_selectorELNS0_4arch9wavefront6targetE1EEEvT1_
	.globl	_ZN7rocprim17ROCPRIM_400000_NS6detail17trampoline_kernelINS0_14default_configENS1_20scan_config_selectorIlEEZZNS1_9scan_implILNS1_25lookback_scan_determinismE0ELb0ELb0ES3_PlS8_lN6thrust23THRUST_200600_302600_NS4plusIvEElEEDaPvRmT3_T4_T5_mT6_P12ihipStream_tbENKUlT_T0_E_clISt17integral_constantIbLb0EESP_IbLb1EEEEDaSL_SM_EUlSL_E_NS1_11comp_targetILNS1_3genE9ELNS1_11target_archE1100ELNS1_3gpuE3ELNS1_3repE0EEENS1_30default_config_static_selectorELNS0_4arch9wavefront6targetE1EEEvT1_
	.p2align	8
	.type	_ZN7rocprim17ROCPRIM_400000_NS6detail17trampoline_kernelINS0_14default_configENS1_20scan_config_selectorIlEEZZNS1_9scan_implILNS1_25lookback_scan_determinismE0ELb0ELb0ES3_PlS8_lN6thrust23THRUST_200600_302600_NS4plusIvEElEEDaPvRmT3_T4_T5_mT6_P12ihipStream_tbENKUlT_T0_E_clISt17integral_constantIbLb0EESP_IbLb1EEEEDaSL_SM_EUlSL_E_NS1_11comp_targetILNS1_3genE9ELNS1_11target_archE1100ELNS1_3gpuE3ELNS1_3repE0EEENS1_30default_config_static_selectorELNS0_4arch9wavefront6targetE1EEEvT1_,@function
_ZN7rocprim17ROCPRIM_400000_NS6detail17trampoline_kernelINS0_14default_configENS1_20scan_config_selectorIlEEZZNS1_9scan_implILNS1_25lookback_scan_determinismE0ELb0ELb0ES3_PlS8_lN6thrust23THRUST_200600_302600_NS4plusIvEElEEDaPvRmT3_T4_T5_mT6_P12ihipStream_tbENKUlT_T0_E_clISt17integral_constantIbLb0EESP_IbLb1EEEEDaSL_SM_EUlSL_E_NS1_11comp_targetILNS1_3genE9ELNS1_11target_archE1100ELNS1_3gpuE3ELNS1_3repE0EEENS1_30default_config_static_selectorELNS0_4arch9wavefront6targetE1EEEvT1_: ; @_ZN7rocprim17ROCPRIM_400000_NS6detail17trampoline_kernelINS0_14default_configENS1_20scan_config_selectorIlEEZZNS1_9scan_implILNS1_25lookback_scan_determinismE0ELb0ELb0ES3_PlS8_lN6thrust23THRUST_200600_302600_NS4plusIvEElEEDaPvRmT3_T4_T5_mT6_P12ihipStream_tbENKUlT_T0_E_clISt17integral_constantIbLb0EESP_IbLb1EEEEDaSL_SM_EUlSL_E_NS1_11comp_targetILNS1_3genE9ELNS1_11target_archE1100ELNS1_3gpuE3ELNS1_3repE0EEENS1_30default_config_static_selectorELNS0_4arch9wavefront6targetE1EEEvT1_
; %bb.0:
	.section	.rodata,"a",@progbits
	.p2align	6, 0x0
	.amdhsa_kernel _ZN7rocprim17ROCPRIM_400000_NS6detail17trampoline_kernelINS0_14default_configENS1_20scan_config_selectorIlEEZZNS1_9scan_implILNS1_25lookback_scan_determinismE0ELb0ELb0ES3_PlS8_lN6thrust23THRUST_200600_302600_NS4plusIvEElEEDaPvRmT3_T4_T5_mT6_P12ihipStream_tbENKUlT_T0_E_clISt17integral_constantIbLb0EESP_IbLb1EEEEDaSL_SM_EUlSL_E_NS1_11comp_targetILNS1_3genE9ELNS1_11target_archE1100ELNS1_3gpuE3ELNS1_3repE0EEENS1_30default_config_static_selectorELNS0_4arch9wavefront6targetE1EEEvT1_
		.amdhsa_group_segment_fixed_size 0
		.amdhsa_private_segment_fixed_size 0
		.amdhsa_kernarg_size 104
		.amdhsa_user_sgpr_count 6
		.amdhsa_user_sgpr_private_segment_buffer 1
		.amdhsa_user_sgpr_dispatch_ptr 0
		.amdhsa_user_sgpr_queue_ptr 0
		.amdhsa_user_sgpr_kernarg_segment_ptr 1
		.amdhsa_user_sgpr_dispatch_id 0
		.amdhsa_user_sgpr_flat_scratch_init 0
		.amdhsa_user_sgpr_kernarg_preload_length 0
		.amdhsa_user_sgpr_kernarg_preload_offset 0
		.amdhsa_user_sgpr_private_segment_size 0
		.amdhsa_uses_dynamic_stack 0
		.amdhsa_system_sgpr_private_segment_wavefront_offset 0
		.amdhsa_system_sgpr_workgroup_id_x 1
		.amdhsa_system_sgpr_workgroup_id_y 0
		.amdhsa_system_sgpr_workgroup_id_z 0
		.amdhsa_system_sgpr_workgroup_info 0
		.amdhsa_system_vgpr_workitem_id 0
		.amdhsa_next_free_vgpr 1
		.amdhsa_next_free_sgpr 0
		.amdhsa_accum_offset 4
		.amdhsa_reserve_vcc 0
		.amdhsa_reserve_flat_scratch 0
		.amdhsa_float_round_mode_32 0
		.amdhsa_float_round_mode_16_64 0
		.amdhsa_float_denorm_mode_32 3
		.amdhsa_float_denorm_mode_16_64 3
		.amdhsa_dx10_clamp 1
		.amdhsa_ieee_mode 1
		.amdhsa_fp16_overflow 0
		.amdhsa_tg_split 0
		.amdhsa_exception_fp_ieee_invalid_op 0
		.amdhsa_exception_fp_denorm_src 0
		.amdhsa_exception_fp_ieee_div_zero 0
		.amdhsa_exception_fp_ieee_overflow 0
		.amdhsa_exception_fp_ieee_underflow 0
		.amdhsa_exception_fp_ieee_inexact 0
		.amdhsa_exception_int_div_zero 0
	.end_amdhsa_kernel
	.section	.text._ZN7rocprim17ROCPRIM_400000_NS6detail17trampoline_kernelINS0_14default_configENS1_20scan_config_selectorIlEEZZNS1_9scan_implILNS1_25lookback_scan_determinismE0ELb0ELb0ES3_PlS8_lN6thrust23THRUST_200600_302600_NS4plusIvEElEEDaPvRmT3_T4_T5_mT6_P12ihipStream_tbENKUlT_T0_E_clISt17integral_constantIbLb0EESP_IbLb1EEEEDaSL_SM_EUlSL_E_NS1_11comp_targetILNS1_3genE9ELNS1_11target_archE1100ELNS1_3gpuE3ELNS1_3repE0EEENS1_30default_config_static_selectorELNS0_4arch9wavefront6targetE1EEEvT1_,"axG",@progbits,_ZN7rocprim17ROCPRIM_400000_NS6detail17trampoline_kernelINS0_14default_configENS1_20scan_config_selectorIlEEZZNS1_9scan_implILNS1_25lookback_scan_determinismE0ELb0ELb0ES3_PlS8_lN6thrust23THRUST_200600_302600_NS4plusIvEElEEDaPvRmT3_T4_T5_mT6_P12ihipStream_tbENKUlT_T0_E_clISt17integral_constantIbLb0EESP_IbLb1EEEEDaSL_SM_EUlSL_E_NS1_11comp_targetILNS1_3genE9ELNS1_11target_archE1100ELNS1_3gpuE3ELNS1_3repE0EEENS1_30default_config_static_selectorELNS0_4arch9wavefront6targetE1EEEvT1_,comdat
.Lfunc_end148:
	.size	_ZN7rocprim17ROCPRIM_400000_NS6detail17trampoline_kernelINS0_14default_configENS1_20scan_config_selectorIlEEZZNS1_9scan_implILNS1_25lookback_scan_determinismE0ELb0ELb0ES3_PlS8_lN6thrust23THRUST_200600_302600_NS4plusIvEElEEDaPvRmT3_T4_T5_mT6_P12ihipStream_tbENKUlT_T0_E_clISt17integral_constantIbLb0EESP_IbLb1EEEEDaSL_SM_EUlSL_E_NS1_11comp_targetILNS1_3genE9ELNS1_11target_archE1100ELNS1_3gpuE3ELNS1_3repE0EEENS1_30default_config_static_selectorELNS0_4arch9wavefront6targetE1EEEvT1_, .Lfunc_end148-_ZN7rocprim17ROCPRIM_400000_NS6detail17trampoline_kernelINS0_14default_configENS1_20scan_config_selectorIlEEZZNS1_9scan_implILNS1_25lookback_scan_determinismE0ELb0ELb0ES3_PlS8_lN6thrust23THRUST_200600_302600_NS4plusIvEElEEDaPvRmT3_T4_T5_mT6_P12ihipStream_tbENKUlT_T0_E_clISt17integral_constantIbLb0EESP_IbLb1EEEEDaSL_SM_EUlSL_E_NS1_11comp_targetILNS1_3genE9ELNS1_11target_archE1100ELNS1_3gpuE3ELNS1_3repE0EEENS1_30default_config_static_selectorELNS0_4arch9wavefront6targetE1EEEvT1_
                                        ; -- End function
	.section	.AMDGPU.csdata,"",@progbits
; Kernel info:
; codeLenInByte = 0
; NumSgprs: 4
; NumVgprs: 0
; NumAgprs: 0
; TotalNumVgprs: 0
; ScratchSize: 0
; MemoryBound: 0
; FloatMode: 240
; IeeeMode: 1
; LDSByteSize: 0 bytes/workgroup (compile time only)
; SGPRBlocks: 0
; VGPRBlocks: 0
; NumSGPRsForWavesPerEU: 4
; NumVGPRsForWavesPerEU: 1
; AccumOffset: 4
; Occupancy: 8
; WaveLimiterHint : 0
; COMPUTE_PGM_RSRC2:SCRATCH_EN: 0
; COMPUTE_PGM_RSRC2:USER_SGPR: 6
; COMPUTE_PGM_RSRC2:TRAP_HANDLER: 0
; COMPUTE_PGM_RSRC2:TGID_X_EN: 1
; COMPUTE_PGM_RSRC2:TGID_Y_EN: 0
; COMPUTE_PGM_RSRC2:TGID_Z_EN: 0
; COMPUTE_PGM_RSRC2:TIDIG_COMP_CNT: 0
; COMPUTE_PGM_RSRC3_GFX90A:ACCUM_OFFSET: 0
; COMPUTE_PGM_RSRC3_GFX90A:TG_SPLIT: 0
	.section	.text._ZN7rocprim17ROCPRIM_400000_NS6detail17trampoline_kernelINS0_14default_configENS1_20scan_config_selectorIlEEZZNS1_9scan_implILNS1_25lookback_scan_determinismE0ELb0ELb0ES3_PlS8_lN6thrust23THRUST_200600_302600_NS4plusIvEElEEDaPvRmT3_T4_T5_mT6_P12ihipStream_tbENKUlT_T0_E_clISt17integral_constantIbLb0EESP_IbLb1EEEEDaSL_SM_EUlSL_E_NS1_11comp_targetILNS1_3genE8ELNS1_11target_archE1030ELNS1_3gpuE2ELNS1_3repE0EEENS1_30default_config_static_selectorELNS0_4arch9wavefront6targetE1EEEvT1_,"axG",@progbits,_ZN7rocprim17ROCPRIM_400000_NS6detail17trampoline_kernelINS0_14default_configENS1_20scan_config_selectorIlEEZZNS1_9scan_implILNS1_25lookback_scan_determinismE0ELb0ELb0ES3_PlS8_lN6thrust23THRUST_200600_302600_NS4plusIvEElEEDaPvRmT3_T4_T5_mT6_P12ihipStream_tbENKUlT_T0_E_clISt17integral_constantIbLb0EESP_IbLb1EEEEDaSL_SM_EUlSL_E_NS1_11comp_targetILNS1_3genE8ELNS1_11target_archE1030ELNS1_3gpuE2ELNS1_3repE0EEENS1_30default_config_static_selectorELNS0_4arch9wavefront6targetE1EEEvT1_,comdat
	.protected	_ZN7rocprim17ROCPRIM_400000_NS6detail17trampoline_kernelINS0_14default_configENS1_20scan_config_selectorIlEEZZNS1_9scan_implILNS1_25lookback_scan_determinismE0ELb0ELb0ES3_PlS8_lN6thrust23THRUST_200600_302600_NS4plusIvEElEEDaPvRmT3_T4_T5_mT6_P12ihipStream_tbENKUlT_T0_E_clISt17integral_constantIbLb0EESP_IbLb1EEEEDaSL_SM_EUlSL_E_NS1_11comp_targetILNS1_3genE8ELNS1_11target_archE1030ELNS1_3gpuE2ELNS1_3repE0EEENS1_30default_config_static_selectorELNS0_4arch9wavefront6targetE1EEEvT1_ ; -- Begin function _ZN7rocprim17ROCPRIM_400000_NS6detail17trampoline_kernelINS0_14default_configENS1_20scan_config_selectorIlEEZZNS1_9scan_implILNS1_25lookback_scan_determinismE0ELb0ELb0ES3_PlS8_lN6thrust23THRUST_200600_302600_NS4plusIvEElEEDaPvRmT3_T4_T5_mT6_P12ihipStream_tbENKUlT_T0_E_clISt17integral_constantIbLb0EESP_IbLb1EEEEDaSL_SM_EUlSL_E_NS1_11comp_targetILNS1_3genE8ELNS1_11target_archE1030ELNS1_3gpuE2ELNS1_3repE0EEENS1_30default_config_static_selectorELNS0_4arch9wavefront6targetE1EEEvT1_
	.globl	_ZN7rocprim17ROCPRIM_400000_NS6detail17trampoline_kernelINS0_14default_configENS1_20scan_config_selectorIlEEZZNS1_9scan_implILNS1_25lookback_scan_determinismE0ELb0ELb0ES3_PlS8_lN6thrust23THRUST_200600_302600_NS4plusIvEElEEDaPvRmT3_T4_T5_mT6_P12ihipStream_tbENKUlT_T0_E_clISt17integral_constantIbLb0EESP_IbLb1EEEEDaSL_SM_EUlSL_E_NS1_11comp_targetILNS1_3genE8ELNS1_11target_archE1030ELNS1_3gpuE2ELNS1_3repE0EEENS1_30default_config_static_selectorELNS0_4arch9wavefront6targetE1EEEvT1_
	.p2align	8
	.type	_ZN7rocprim17ROCPRIM_400000_NS6detail17trampoline_kernelINS0_14default_configENS1_20scan_config_selectorIlEEZZNS1_9scan_implILNS1_25lookback_scan_determinismE0ELb0ELb0ES3_PlS8_lN6thrust23THRUST_200600_302600_NS4plusIvEElEEDaPvRmT3_T4_T5_mT6_P12ihipStream_tbENKUlT_T0_E_clISt17integral_constantIbLb0EESP_IbLb1EEEEDaSL_SM_EUlSL_E_NS1_11comp_targetILNS1_3genE8ELNS1_11target_archE1030ELNS1_3gpuE2ELNS1_3repE0EEENS1_30default_config_static_selectorELNS0_4arch9wavefront6targetE1EEEvT1_,@function
_ZN7rocprim17ROCPRIM_400000_NS6detail17trampoline_kernelINS0_14default_configENS1_20scan_config_selectorIlEEZZNS1_9scan_implILNS1_25lookback_scan_determinismE0ELb0ELb0ES3_PlS8_lN6thrust23THRUST_200600_302600_NS4plusIvEElEEDaPvRmT3_T4_T5_mT6_P12ihipStream_tbENKUlT_T0_E_clISt17integral_constantIbLb0EESP_IbLb1EEEEDaSL_SM_EUlSL_E_NS1_11comp_targetILNS1_3genE8ELNS1_11target_archE1030ELNS1_3gpuE2ELNS1_3repE0EEENS1_30default_config_static_selectorELNS0_4arch9wavefront6targetE1EEEvT1_: ; @_ZN7rocprim17ROCPRIM_400000_NS6detail17trampoline_kernelINS0_14default_configENS1_20scan_config_selectorIlEEZZNS1_9scan_implILNS1_25lookback_scan_determinismE0ELb0ELb0ES3_PlS8_lN6thrust23THRUST_200600_302600_NS4plusIvEElEEDaPvRmT3_T4_T5_mT6_P12ihipStream_tbENKUlT_T0_E_clISt17integral_constantIbLb0EESP_IbLb1EEEEDaSL_SM_EUlSL_E_NS1_11comp_targetILNS1_3genE8ELNS1_11target_archE1030ELNS1_3gpuE2ELNS1_3repE0EEENS1_30default_config_static_selectorELNS0_4arch9wavefront6targetE1EEEvT1_
; %bb.0:
	.section	.rodata,"a",@progbits
	.p2align	6, 0x0
	.amdhsa_kernel _ZN7rocprim17ROCPRIM_400000_NS6detail17trampoline_kernelINS0_14default_configENS1_20scan_config_selectorIlEEZZNS1_9scan_implILNS1_25lookback_scan_determinismE0ELb0ELb0ES3_PlS8_lN6thrust23THRUST_200600_302600_NS4plusIvEElEEDaPvRmT3_T4_T5_mT6_P12ihipStream_tbENKUlT_T0_E_clISt17integral_constantIbLb0EESP_IbLb1EEEEDaSL_SM_EUlSL_E_NS1_11comp_targetILNS1_3genE8ELNS1_11target_archE1030ELNS1_3gpuE2ELNS1_3repE0EEENS1_30default_config_static_selectorELNS0_4arch9wavefront6targetE1EEEvT1_
		.amdhsa_group_segment_fixed_size 0
		.amdhsa_private_segment_fixed_size 0
		.amdhsa_kernarg_size 104
		.amdhsa_user_sgpr_count 6
		.amdhsa_user_sgpr_private_segment_buffer 1
		.amdhsa_user_sgpr_dispatch_ptr 0
		.amdhsa_user_sgpr_queue_ptr 0
		.amdhsa_user_sgpr_kernarg_segment_ptr 1
		.amdhsa_user_sgpr_dispatch_id 0
		.amdhsa_user_sgpr_flat_scratch_init 0
		.amdhsa_user_sgpr_kernarg_preload_length 0
		.amdhsa_user_sgpr_kernarg_preload_offset 0
		.amdhsa_user_sgpr_private_segment_size 0
		.amdhsa_uses_dynamic_stack 0
		.amdhsa_system_sgpr_private_segment_wavefront_offset 0
		.amdhsa_system_sgpr_workgroup_id_x 1
		.amdhsa_system_sgpr_workgroup_id_y 0
		.amdhsa_system_sgpr_workgroup_id_z 0
		.amdhsa_system_sgpr_workgroup_info 0
		.amdhsa_system_vgpr_workitem_id 0
		.amdhsa_next_free_vgpr 1
		.amdhsa_next_free_sgpr 0
		.amdhsa_accum_offset 4
		.amdhsa_reserve_vcc 0
		.amdhsa_reserve_flat_scratch 0
		.amdhsa_float_round_mode_32 0
		.amdhsa_float_round_mode_16_64 0
		.amdhsa_float_denorm_mode_32 3
		.amdhsa_float_denorm_mode_16_64 3
		.amdhsa_dx10_clamp 1
		.amdhsa_ieee_mode 1
		.amdhsa_fp16_overflow 0
		.amdhsa_tg_split 0
		.amdhsa_exception_fp_ieee_invalid_op 0
		.amdhsa_exception_fp_denorm_src 0
		.amdhsa_exception_fp_ieee_div_zero 0
		.amdhsa_exception_fp_ieee_overflow 0
		.amdhsa_exception_fp_ieee_underflow 0
		.amdhsa_exception_fp_ieee_inexact 0
		.amdhsa_exception_int_div_zero 0
	.end_amdhsa_kernel
	.section	.text._ZN7rocprim17ROCPRIM_400000_NS6detail17trampoline_kernelINS0_14default_configENS1_20scan_config_selectorIlEEZZNS1_9scan_implILNS1_25lookback_scan_determinismE0ELb0ELb0ES3_PlS8_lN6thrust23THRUST_200600_302600_NS4plusIvEElEEDaPvRmT3_T4_T5_mT6_P12ihipStream_tbENKUlT_T0_E_clISt17integral_constantIbLb0EESP_IbLb1EEEEDaSL_SM_EUlSL_E_NS1_11comp_targetILNS1_3genE8ELNS1_11target_archE1030ELNS1_3gpuE2ELNS1_3repE0EEENS1_30default_config_static_selectorELNS0_4arch9wavefront6targetE1EEEvT1_,"axG",@progbits,_ZN7rocprim17ROCPRIM_400000_NS6detail17trampoline_kernelINS0_14default_configENS1_20scan_config_selectorIlEEZZNS1_9scan_implILNS1_25lookback_scan_determinismE0ELb0ELb0ES3_PlS8_lN6thrust23THRUST_200600_302600_NS4plusIvEElEEDaPvRmT3_T4_T5_mT6_P12ihipStream_tbENKUlT_T0_E_clISt17integral_constantIbLb0EESP_IbLb1EEEEDaSL_SM_EUlSL_E_NS1_11comp_targetILNS1_3genE8ELNS1_11target_archE1030ELNS1_3gpuE2ELNS1_3repE0EEENS1_30default_config_static_selectorELNS0_4arch9wavefront6targetE1EEEvT1_,comdat
.Lfunc_end149:
	.size	_ZN7rocprim17ROCPRIM_400000_NS6detail17trampoline_kernelINS0_14default_configENS1_20scan_config_selectorIlEEZZNS1_9scan_implILNS1_25lookback_scan_determinismE0ELb0ELb0ES3_PlS8_lN6thrust23THRUST_200600_302600_NS4plusIvEElEEDaPvRmT3_T4_T5_mT6_P12ihipStream_tbENKUlT_T0_E_clISt17integral_constantIbLb0EESP_IbLb1EEEEDaSL_SM_EUlSL_E_NS1_11comp_targetILNS1_3genE8ELNS1_11target_archE1030ELNS1_3gpuE2ELNS1_3repE0EEENS1_30default_config_static_selectorELNS0_4arch9wavefront6targetE1EEEvT1_, .Lfunc_end149-_ZN7rocprim17ROCPRIM_400000_NS6detail17trampoline_kernelINS0_14default_configENS1_20scan_config_selectorIlEEZZNS1_9scan_implILNS1_25lookback_scan_determinismE0ELb0ELb0ES3_PlS8_lN6thrust23THRUST_200600_302600_NS4plusIvEElEEDaPvRmT3_T4_T5_mT6_P12ihipStream_tbENKUlT_T0_E_clISt17integral_constantIbLb0EESP_IbLb1EEEEDaSL_SM_EUlSL_E_NS1_11comp_targetILNS1_3genE8ELNS1_11target_archE1030ELNS1_3gpuE2ELNS1_3repE0EEENS1_30default_config_static_selectorELNS0_4arch9wavefront6targetE1EEEvT1_
                                        ; -- End function
	.section	.AMDGPU.csdata,"",@progbits
; Kernel info:
; codeLenInByte = 0
; NumSgprs: 4
; NumVgprs: 0
; NumAgprs: 0
; TotalNumVgprs: 0
; ScratchSize: 0
; MemoryBound: 0
; FloatMode: 240
; IeeeMode: 1
; LDSByteSize: 0 bytes/workgroup (compile time only)
; SGPRBlocks: 0
; VGPRBlocks: 0
; NumSGPRsForWavesPerEU: 4
; NumVGPRsForWavesPerEU: 1
; AccumOffset: 4
; Occupancy: 8
; WaveLimiterHint : 0
; COMPUTE_PGM_RSRC2:SCRATCH_EN: 0
; COMPUTE_PGM_RSRC2:USER_SGPR: 6
; COMPUTE_PGM_RSRC2:TRAP_HANDLER: 0
; COMPUTE_PGM_RSRC2:TGID_X_EN: 1
; COMPUTE_PGM_RSRC2:TGID_Y_EN: 0
; COMPUTE_PGM_RSRC2:TGID_Z_EN: 0
; COMPUTE_PGM_RSRC2:TIDIG_COMP_CNT: 0
; COMPUTE_PGM_RSRC3_GFX90A:ACCUM_OFFSET: 0
; COMPUTE_PGM_RSRC3_GFX90A:TG_SPLIT: 0
	.section	.text._ZN7rocprim17ROCPRIM_400000_NS6detail17trampoline_kernelINS0_14default_configENS1_20scan_config_selectorIlEEZZNS1_9scan_implILNS1_25lookback_scan_determinismE0ELb0ELb0ES3_PlS8_lN6thrust23THRUST_200600_302600_NS4plusIvEElEEDaPvRmT3_T4_T5_mT6_P12ihipStream_tbENKUlT_T0_E_clISt17integral_constantIbLb0EESP_IbLb1EEEEDaSL_SM_EUlSL_E0_NS1_11comp_targetILNS1_3genE0ELNS1_11target_archE4294967295ELNS1_3gpuE0ELNS1_3repE0EEENS1_30default_config_static_selectorELNS0_4arch9wavefront6targetE1EEEvT1_,"axG",@progbits,_ZN7rocprim17ROCPRIM_400000_NS6detail17trampoline_kernelINS0_14default_configENS1_20scan_config_selectorIlEEZZNS1_9scan_implILNS1_25lookback_scan_determinismE0ELb0ELb0ES3_PlS8_lN6thrust23THRUST_200600_302600_NS4plusIvEElEEDaPvRmT3_T4_T5_mT6_P12ihipStream_tbENKUlT_T0_E_clISt17integral_constantIbLb0EESP_IbLb1EEEEDaSL_SM_EUlSL_E0_NS1_11comp_targetILNS1_3genE0ELNS1_11target_archE4294967295ELNS1_3gpuE0ELNS1_3repE0EEENS1_30default_config_static_selectorELNS0_4arch9wavefront6targetE1EEEvT1_,comdat
	.protected	_ZN7rocprim17ROCPRIM_400000_NS6detail17trampoline_kernelINS0_14default_configENS1_20scan_config_selectorIlEEZZNS1_9scan_implILNS1_25lookback_scan_determinismE0ELb0ELb0ES3_PlS8_lN6thrust23THRUST_200600_302600_NS4plusIvEElEEDaPvRmT3_T4_T5_mT6_P12ihipStream_tbENKUlT_T0_E_clISt17integral_constantIbLb0EESP_IbLb1EEEEDaSL_SM_EUlSL_E0_NS1_11comp_targetILNS1_3genE0ELNS1_11target_archE4294967295ELNS1_3gpuE0ELNS1_3repE0EEENS1_30default_config_static_selectorELNS0_4arch9wavefront6targetE1EEEvT1_ ; -- Begin function _ZN7rocprim17ROCPRIM_400000_NS6detail17trampoline_kernelINS0_14default_configENS1_20scan_config_selectorIlEEZZNS1_9scan_implILNS1_25lookback_scan_determinismE0ELb0ELb0ES3_PlS8_lN6thrust23THRUST_200600_302600_NS4plusIvEElEEDaPvRmT3_T4_T5_mT6_P12ihipStream_tbENKUlT_T0_E_clISt17integral_constantIbLb0EESP_IbLb1EEEEDaSL_SM_EUlSL_E0_NS1_11comp_targetILNS1_3genE0ELNS1_11target_archE4294967295ELNS1_3gpuE0ELNS1_3repE0EEENS1_30default_config_static_selectorELNS0_4arch9wavefront6targetE1EEEvT1_
	.globl	_ZN7rocprim17ROCPRIM_400000_NS6detail17trampoline_kernelINS0_14default_configENS1_20scan_config_selectorIlEEZZNS1_9scan_implILNS1_25lookback_scan_determinismE0ELb0ELb0ES3_PlS8_lN6thrust23THRUST_200600_302600_NS4plusIvEElEEDaPvRmT3_T4_T5_mT6_P12ihipStream_tbENKUlT_T0_E_clISt17integral_constantIbLb0EESP_IbLb1EEEEDaSL_SM_EUlSL_E0_NS1_11comp_targetILNS1_3genE0ELNS1_11target_archE4294967295ELNS1_3gpuE0ELNS1_3repE0EEENS1_30default_config_static_selectorELNS0_4arch9wavefront6targetE1EEEvT1_
	.p2align	8
	.type	_ZN7rocprim17ROCPRIM_400000_NS6detail17trampoline_kernelINS0_14default_configENS1_20scan_config_selectorIlEEZZNS1_9scan_implILNS1_25lookback_scan_determinismE0ELb0ELb0ES3_PlS8_lN6thrust23THRUST_200600_302600_NS4plusIvEElEEDaPvRmT3_T4_T5_mT6_P12ihipStream_tbENKUlT_T0_E_clISt17integral_constantIbLb0EESP_IbLb1EEEEDaSL_SM_EUlSL_E0_NS1_11comp_targetILNS1_3genE0ELNS1_11target_archE4294967295ELNS1_3gpuE0ELNS1_3repE0EEENS1_30default_config_static_selectorELNS0_4arch9wavefront6targetE1EEEvT1_,@function
_ZN7rocprim17ROCPRIM_400000_NS6detail17trampoline_kernelINS0_14default_configENS1_20scan_config_selectorIlEEZZNS1_9scan_implILNS1_25lookback_scan_determinismE0ELb0ELb0ES3_PlS8_lN6thrust23THRUST_200600_302600_NS4plusIvEElEEDaPvRmT3_T4_T5_mT6_P12ihipStream_tbENKUlT_T0_E_clISt17integral_constantIbLb0EESP_IbLb1EEEEDaSL_SM_EUlSL_E0_NS1_11comp_targetILNS1_3genE0ELNS1_11target_archE4294967295ELNS1_3gpuE0ELNS1_3repE0EEENS1_30default_config_static_selectorELNS0_4arch9wavefront6targetE1EEEvT1_: ; @_ZN7rocprim17ROCPRIM_400000_NS6detail17trampoline_kernelINS0_14default_configENS1_20scan_config_selectorIlEEZZNS1_9scan_implILNS1_25lookback_scan_determinismE0ELb0ELb0ES3_PlS8_lN6thrust23THRUST_200600_302600_NS4plusIvEElEEDaPvRmT3_T4_T5_mT6_P12ihipStream_tbENKUlT_T0_E_clISt17integral_constantIbLb0EESP_IbLb1EEEEDaSL_SM_EUlSL_E0_NS1_11comp_targetILNS1_3genE0ELNS1_11target_archE4294967295ELNS1_3gpuE0ELNS1_3repE0EEENS1_30default_config_static_selectorELNS0_4arch9wavefront6targetE1EEEvT1_
; %bb.0:
	.section	.rodata,"a",@progbits
	.p2align	6, 0x0
	.amdhsa_kernel _ZN7rocprim17ROCPRIM_400000_NS6detail17trampoline_kernelINS0_14default_configENS1_20scan_config_selectorIlEEZZNS1_9scan_implILNS1_25lookback_scan_determinismE0ELb0ELb0ES3_PlS8_lN6thrust23THRUST_200600_302600_NS4plusIvEElEEDaPvRmT3_T4_T5_mT6_P12ihipStream_tbENKUlT_T0_E_clISt17integral_constantIbLb0EESP_IbLb1EEEEDaSL_SM_EUlSL_E0_NS1_11comp_targetILNS1_3genE0ELNS1_11target_archE4294967295ELNS1_3gpuE0ELNS1_3repE0EEENS1_30default_config_static_selectorELNS0_4arch9wavefront6targetE1EEEvT1_
		.amdhsa_group_segment_fixed_size 0
		.amdhsa_private_segment_fixed_size 0
		.amdhsa_kernarg_size 40
		.amdhsa_user_sgpr_count 6
		.amdhsa_user_sgpr_private_segment_buffer 1
		.amdhsa_user_sgpr_dispatch_ptr 0
		.amdhsa_user_sgpr_queue_ptr 0
		.amdhsa_user_sgpr_kernarg_segment_ptr 1
		.amdhsa_user_sgpr_dispatch_id 0
		.amdhsa_user_sgpr_flat_scratch_init 0
		.amdhsa_user_sgpr_kernarg_preload_length 0
		.amdhsa_user_sgpr_kernarg_preload_offset 0
		.amdhsa_user_sgpr_private_segment_size 0
		.amdhsa_uses_dynamic_stack 0
		.amdhsa_system_sgpr_private_segment_wavefront_offset 0
		.amdhsa_system_sgpr_workgroup_id_x 1
		.amdhsa_system_sgpr_workgroup_id_y 0
		.amdhsa_system_sgpr_workgroup_id_z 0
		.amdhsa_system_sgpr_workgroup_info 0
		.amdhsa_system_vgpr_workitem_id 0
		.amdhsa_next_free_vgpr 1
		.amdhsa_next_free_sgpr 0
		.amdhsa_accum_offset 4
		.amdhsa_reserve_vcc 0
		.amdhsa_reserve_flat_scratch 0
		.amdhsa_float_round_mode_32 0
		.amdhsa_float_round_mode_16_64 0
		.amdhsa_float_denorm_mode_32 3
		.amdhsa_float_denorm_mode_16_64 3
		.amdhsa_dx10_clamp 1
		.amdhsa_ieee_mode 1
		.amdhsa_fp16_overflow 0
		.amdhsa_tg_split 0
		.amdhsa_exception_fp_ieee_invalid_op 0
		.amdhsa_exception_fp_denorm_src 0
		.amdhsa_exception_fp_ieee_div_zero 0
		.amdhsa_exception_fp_ieee_overflow 0
		.amdhsa_exception_fp_ieee_underflow 0
		.amdhsa_exception_fp_ieee_inexact 0
		.amdhsa_exception_int_div_zero 0
	.end_amdhsa_kernel
	.section	.text._ZN7rocprim17ROCPRIM_400000_NS6detail17trampoline_kernelINS0_14default_configENS1_20scan_config_selectorIlEEZZNS1_9scan_implILNS1_25lookback_scan_determinismE0ELb0ELb0ES3_PlS8_lN6thrust23THRUST_200600_302600_NS4plusIvEElEEDaPvRmT3_T4_T5_mT6_P12ihipStream_tbENKUlT_T0_E_clISt17integral_constantIbLb0EESP_IbLb1EEEEDaSL_SM_EUlSL_E0_NS1_11comp_targetILNS1_3genE0ELNS1_11target_archE4294967295ELNS1_3gpuE0ELNS1_3repE0EEENS1_30default_config_static_selectorELNS0_4arch9wavefront6targetE1EEEvT1_,"axG",@progbits,_ZN7rocprim17ROCPRIM_400000_NS6detail17trampoline_kernelINS0_14default_configENS1_20scan_config_selectorIlEEZZNS1_9scan_implILNS1_25lookback_scan_determinismE0ELb0ELb0ES3_PlS8_lN6thrust23THRUST_200600_302600_NS4plusIvEElEEDaPvRmT3_T4_T5_mT6_P12ihipStream_tbENKUlT_T0_E_clISt17integral_constantIbLb0EESP_IbLb1EEEEDaSL_SM_EUlSL_E0_NS1_11comp_targetILNS1_3genE0ELNS1_11target_archE4294967295ELNS1_3gpuE0ELNS1_3repE0EEENS1_30default_config_static_selectorELNS0_4arch9wavefront6targetE1EEEvT1_,comdat
.Lfunc_end150:
	.size	_ZN7rocprim17ROCPRIM_400000_NS6detail17trampoline_kernelINS0_14default_configENS1_20scan_config_selectorIlEEZZNS1_9scan_implILNS1_25lookback_scan_determinismE0ELb0ELb0ES3_PlS8_lN6thrust23THRUST_200600_302600_NS4plusIvEElEEDaPvRmT3_T4_T5_mT6_P12ihipStream_tbENKUlT_T0_E_clISt17integral_constantIbLb0EESP_IbLb1EEEEDaSL_SM_EUlSL_E0_NS1_11comp_targetILNS1_3genE0ELNS1_11target_archE4294967295ELNS1_3gpuE0ELNS1_3repE0EEENS1_30default_config_static_selectorELNS0_4arch9wavefront6targetE1EEEvT1_, .Lfunc_end150-_ZN7rocprim17ROCPRIM_400000_NS6detail17trampoline_kernelINS0_14default_configENS1_20scan_config_selectorIlEEZZNS1_9scan_implILNS1_25lookback_scan_determinismE0ELb0ELb0ES3_PlS8_lN6thrust23THRUST_200600_302600_NS4plusIvEElEEDaPvRmT3_T4_T5_mT6_P12ihipStream_tbENKUlT_T0_E_clISt17integral_constantIbLb0EESP_IbLb1EEEEDaSL_SM_EUlSL_E0_NS1_11comp_targetILNS1_3genE0ELNS1_11target_archE4294967295ELNS1_3gpuE0ELNS1_3repE0EEENS1_30default_config_static_selectorELNS0_4arch9wavefront6targetE1EEEvT1_
                                        ; -- End function
	.section	.AMDGPU.csdata,"",@progbits
; Kernel info:
; codeLenInByte = 0
; NumSgprs: 4
; NumVgprs: 0
; NumAgprs: 0
; TotalNumVgprs: 0
; ScratchSize: 0
; MemoryBound: 0
; FloatMode: 240
; IeeeMode: 1
; LDSByteSize: 0 bytes/workgroup (compile time only)
; SGPRBlocks: 0
; VGPRBlocks: 0
; NumSGPRsForWavesPerEU: 4
; NumVGPRsForWavesPerEU: 1
; AccumOffset: 4
; Occupancy: 8
; WaveLimiterHint : 0
; COMPUTE_PGM_RSRC2:SCRATCH_EN: 0
; COMPUTE_PGM_RSRC2:USER_SGPR: 6
; COMPUTE_PGM_RSRC2:TRAP_HANDLER: 0
; COMPUTE_PGM_RSRC2:TGID_X_EN: 1
; COMPUTE_PGM_RSRC2:TGID_Y_EN: 0
; COMPUTE_PGM_RSRC2:TGID_Z_EN: 0
; COMPUTE_PGM_RSRC2:TIDIG_COMP_CNT: 0
; COMPUTE_PGM_RSRC3_GFX90A:ACCUM_OFFSET: 0
; COMPUTE_PGM_RSRC3_GFX90A:TG_SPLIT: 0
	.section	.text._ZN7rocprim17ROCPRIM_400000_NS6detail17trampoline_kernelINS0_14default_configENS1_20scan_config_selectorIlEEZZNS1_9scan_implILNS1_25lookback_scan_determinismE0ELb0ELb0ES3_PlS8_lN6thrust23THRUST_200600_302600_NS4plusIvEElEEDaPvRmT3_T4_T5_mT6_P12ihipStream_tbENKUlT_T0_E_clISt17integral_constantIbLb0EESP_IbLb1EEEEDaSL_SM_EUlSL_E0_NS1_11comp_targetILNS1_3genE5ELNS1_11target_archE942ELNS1_3gpuE9ELNS1_3repE0EEENS1_30default_config_static_selectorELNS0_4arch9wavefront6targetE1EEEvT1_,"axG",@progbits,_ZN7rocprim17ROCPRIM_400000_NS6detail17trampoline_kernelINS0_14default_configENS1_20scan_config_selectorIlEEZZNS1_9scan_implILNS1_25lookback_scan_determinismE0ELb0ELb0ES3_PlS8_lN6thrust23THRUST_200600_302600_NS4plusIvEElEEDaPvRmT3_T4_T5_mT6_P12ihipStream_tbENKUlT_T0_E_clISt17integral_constantIbLb0EESP_IbLb1EEEEDaSL_SM_EUlSL_E0_NS1_11comp_targetILNS1_3genE5ELNS1_11target_archE942ELNS1_3gpuE9ELNS1_3repE0EEENS1_30default_config_static_selectorELNS0_4arch9wavefront6targetE1EEEvT1_,comdat
	.protected	_ZN7rocprim17ROCPRIM_400000_NS6detail17trampoline_kernelINS0_14default_configENS1_20scan_config_selectorIlEEZZNS1_9scan_implILNS1_25lookback_scan_determinismE0ELb0ELb0ES3_PlS8_lN6thrust23THRUST_200600_302600_NS4plusIvEElEEDaPvRmT3_T4_T5_mT6_P12ihipStream_tbENKUlT_T0_E_clISt17integral_constantIbLb0EESP_IbLb1EEEEDaSL_SM_EUlSL_E0_NS1_11comp_targetILNS1_3genE5ELNS1_11target_archE942ELNS1_3gpuE9ELNS1_3repE0EEENS1_30default_config_static_selectorELNS0_4arch9wavefront6targetE1EEEvT1_ ; -- Begin function _ZN7rocprim17ROCPRIM_400000_NS6detail17trampoline_kernelINS0_14default_configENS1_20scan_config_selectorIlEEZZNS1_9scan_implILNS1_25lookback_scan_determinismE0ELb0ELb0ES3_PlS8_lN6thrust23THRUST_200600_302600_NS4plusIvEElEEDaPvRmT3_T4_T5_mT6_P12ihipStream_tbENKUlT_T0_E_clISt17integral_constantIbLb0EESP_IbLb1EEEEDaSL_SM_EUlSL_E0_NS1_11comp_targetILNS1_3genE5ELNS1_11target_archE942ELNS1_3gpuE9ELNS1_3repE0EEENS1_30default_config_static_selectorELNS0_4arch9wavefront6targetE1EEEvT1_
	.globl	_ZN7rocprim17ROCPRIM_400000_NS6detail17trampoline_kernelINS0_14default_configENS1_20scan_config_selectorIlEEZZNS1_9scan_implILNS1_25lookback_scan_determinismE0ELb0ELb0ES3_PlS8_lN6thrust23THRUST_200600_302600_NS4plusIvEElEEDaPvRmT3_T4_T5_mT6_P12ihipStream_tbENKUlT_T0_E_clISt17integral_constantIbLb0EESP_IbLb1EEEEDaSL_SM_EUlSL_E0_NS1_11comp_targetILNS1_3genE5ELNS1_11target_archE942ELNS1_3gpuE9ELNS1_3repE0EEENS1_30default_config_static_selectorELNS0_4arch9wavefront6targetE1EEEvT1_
	.p2align	8
	.type	_ZN7rocprim17ROCPRIM_400000_NS6detail17trampoline_kernelINS0_14default_configENS1_20scan_config_selectorIlEEZZNS1_9scan_implILNS1_25lookback_scan_determinismE0ELb0ELb0ES3_PlS8_lN6thrust23THRUST_200600_302600_NS4plusIvEElEEDaPvRmT3_T4_T5_mT6_P12ihipStream_tbENKUlT_T0_E_clISt17integral_constantIbLb0EESP_IbLb1EEEEDaSL_SM_EUlSL_E0_NS1_11comp_targetILNS1_3genE5ELNS1_11target_archE942ELNS1_3gpuE9ELNS1_3repE0EEENS1_30default_config_static_selectorELNS0_4arch9wavefront6targetE1EEEvT1_,@function
_ZN7rocprim17ROCPRIM_400000_NS6detail17trampoline_kernelINS0_14default_configENS1_20scan_config_selectorIlEEZZNS1_9scan_implILNS1_25lookback_scan_determinismE0ELb0ELb0ES3_PlS8_lN6thrust23THRUST_200600_302600_NS4plusIvEElEEDaPvRmT3_T4_T5_mT6_P12ihipStream_tbENKUlT_T0_E_clISt17integral_constantIbLb0EESP_IbLb1EEEEDaSL_SM_EUlSL_E0_NS1_11comp_targetILNS1_3genE5ELNS1_11target_archE942ELNS1_3gpuE9ELNS1_3repE0EEENS1_30default_config_static_selectorELNS0_4arch9wavefront6targetE1EEEvT1_: ; @_ZN7rocprim17ROCPRIM_400000_NS6detail17trampoline_kernelINS0_14default_configENS1_20scan_config_selectorIlEEZZNS1_9scan_implILNS1_25lookback_scan_determinismE0ELb0ELb0ES3_PlS8_lN6thrust23THRUST_200600_302600_NS4plusIvEElEEDaPvRmT3_T4_T5_mT6_P12ihipStream_tbENKUlT_T0_E_clISt17integral_constantIbLb0EESP_IbLb1EEEEDaSL_SM_EUlSL_E0_NS1_11comp_targetILNS1_3genE5ELNS1_11target_archE942ELNS1_3gpuE9ELNS1_3repE0EEENS1_30default_config_static_selectorELNS0_4arch9wavefront6targetE1EEEvT1_
; %bb.0:
	.section	.rodata,"a",@progbits
	.p2align	6, 0x0
	.amdhsa_kernel _ZN7rocprim17ROCPRIM_400000_NS6detail17trampoline_kernelINS0_14default_configENS1_20scan_config_selectorIlEEZZNS1_9scan_implILNS1_25lookback_scan_determinismE0ELb0ELb0ES3_PlS8_lN6thrust23THRUST_200600_302600_NS4plusIvEElEEDaPvRmT3_T4_T5_mT6_P12ihipStream_tbENKUlT_T0_E_clISt17integral_constantIbLb0EESP_IbLb1EEEEDaSL_SM_EUlSL_E0_NS1_11comp_targetILNS1_3genE5ELNS1_11target_archE942ELNS1_3gpuE9ELNS1_3repE0EEENS1_30default_config_static_selectorELNS0_4arch9wavefront6targetE1EEEvT1_
		.amdhsa_group_segment_fixed_size 0
		.amdhsa_private_segment_fixed_size 0
		.amdhsa_kernarg_size 40
		.amdhsa_user_sgpr_count 6
		.amdhsa_user_sgpr_private_segment_buffer 1
		.amdhsa_user_sgpr_dispatch_ptr 0
		.amdhsa_user_sgpr_queue_ptr 0
		.amdhsa_user_sgpr_kernarg_segment_ptr 1
		.amdhsa_user_sgpr_dispatch_id 0
		.amdhsa_user_sgpr_flat_scratch_init 0
		.amdhsa_user_sgpr_kernarg_preload_length 0
		.amdhsa_user_sgpr_kernarg_preload_offset 0
		.amdhsa_user_sgpr_private_segment_size 0
		.amdhsa_uses_dynamic_stack 0
		.amdhsa_system_sgpr_private_segment_wavefront_offset 0
		.amdhsa_system_sgpr_workgroup_id_x 1
		.amdhsa_system_sgpr_workgroup_id_y 0
		.amdhsa_system_sgpr_workgroup_id_z 0
		.amdhsa_system_sgpr_workgroup_info 0
		.amdhsa_system_vgpr_workitem_id 0
		.amdhsa_next_free_vgpr 1
		.amdhsa_next_free_sgpr 0
		.amdhsa_accum_offset 4
		.amdhsa_reserve_vcc 0
		.amdhsa_reserve_flat_scratch 0
		.amdhsa_float_round_mode_32 0
		.amdhsa_float_round_mode_16_64 0
		.amdhsa_float_denorm_mode_32 3
		.amdhsa_float_denorm_mode_16_64 3
		.amdhsa_dx10_clamp 1
		.amdhsa_ieee_mode 1
		.amdhsa_fp16_overflow 0
		.amdhsa_tg_split 0
		.amdhsa_exception_fp_ieee_invalid_op 0
		.amdhsa_exception_fp_denorm_src 0
		.amdhsa_exception_fp_ieee_div_zero 0
		.amdhsa_exception_fp_ieee_overflow 0
		.amdhsa_exception_fp_ieee_underflow 0
		.amdhsa_exception_fp_ieee_inexact 0
		.amdhsa_exception_int_div_zero 0
	.end_amdhsa_kernel
	.section	.text._ZN7rocprim17ROCPRIM_400000_NS6detail17trampoline_kernelINS0_14default_configENS1_20scan_config_selectorIlEEZZNS1_9scan_implILNS1_25lookback_scan_determinismE0ELb0ELb0ES3_PlS8_lN6thrust23THRUST_200600_302600_NS4plusIvEElEEDaPvRmT3_T4_T5_mT6_P12ihipStream_tbENKUlT_T0_E_clISt17integral_constantIbLb0EESP_IbLb1EEEEDaSL_SM_EUlSL_E0_NS1_11comp_targetILNS1_3genE5ELNS1_11target_archE942ELNS1_3gpuE9ELNS1_3repE0EEENS1_30default_config_static_selectorELNS0_4arch9wavefront6targetE1EEEvT1_,"axG",@progbits,_ZN7rocprim17ROCPRIM_400000_NS6detail17trampoline_kernelINS0_14default_configENS1_20scan_config_selectorIlEEZZNS1_9scan_implILNS1_25lookback_scan_determinismE0ELb0ELb0ES3_PlS8_lN6thrust23THRUST_200600_302600_NS4plusIvEElEEDaPvRmT3_T4_T5_mT6_P12ihipStream_tbENKUlT_T0_E_clISt17integral_constantIbLb0EESP_IbLb1EEEEDaSL_SM_EUlSL_E0_NS1_11comp_targetILNS1_3genE5ELNS1_11target_archE942ELNS1_3gpuE9ELNS1_3repE0EEENS1_30default_config_static_selectorELNS0_4arch9wavefront6targetE1EEEvT1_,comdat
.Lfunc_end151:
	.size	_ZN7rocprim17ROCPRIM_400000_NS6detail17trampoline_kernelINS0_14default_configENS1_20scan_config_selectorIlEEZZNS1_9scan_implILNS1_25lookback_scan_determinismE0ELb0ELb0ES3_PlS8_lN6thrust23THRUST_200600_302600_NS4plusIvEElEEDaPvRmT3_T4_T5_mT6_P12ihipStream_tbENKUlT_T0_E_clISt17integral_constantIbLb0EESP_IbLb1EEEEDaSL_SM_EUlSL_E0_NS1_11comp_targetILNS1_3genE5ELNS1_11target_archE942ELNS1_3gpuE9ELNS1_3repE0EEENS1_30default_config_static_selectorELNS0_4arch9wavefront6targetE1EEEvT1_, .Lfunc_end151-_ZN7rocprim17ROCPRIM_400000_NS6detail17trampoline_kernelINS0_14default_configENS1_20scan_config_selectorIlEEZZNS1_9scan_implILNS1_25lookback_scan_determinismE0ELb0ELb0ES3_PlS8_lN6thrust23THRUST_200600_302600_NS4plusIvEElEEDaPvRmT3_T4_T5_mT6_P12ihipStream_tbENKUlT_T0_E_clISt17integral_constantIbLb0EESP_IbLb1EEEEDaSL_SM_EUlSL_E0_NS1_11comp_targetILNS1_3genE5ELNS1_11target_archE942ELNS1_3gpuE9ELNS1_3repE0EEENS1_30default_config_static_selectorELNS0_4arch9wavefront6targetE1EEEvT1_
                                        ; -- End function
	.section	.AMDGPU.csdata,"",@progbits
; Kernel info:
; codeLenInByte = 0
; NumSgprs: 4
; NumVgprs: 0
; NumAgprs: 0
; TotalNumVgprs: 0
; ScratchSize: 0
; MemoryBound: 0
; FloatMode: 240
; IeeeMode: 1
; LDSByteSize: 0 bytes/workgroup (compile time only)
; SGPRBlocks: 0
; VGPRBlocks: 0
; NumSGPRsForWavesPerEU: 4
; NumVGPRsForWavesPerEU: 1
; AccumOffset: 4
; Occupancy: 8
; WaveLimiterHint : 0
; COMPUTE_PGM_RSRC2:SCRATCH_EN: 0
; COMPUTE_PGM_RSRC2:USER_SGPR: 6
; COMPUTE_PGM_RSRC2:TRAP_HANDLER: 0
; COMPUTE_PGM_RSRC2:TGID_X_EN: 1
; COMPUTE_PGM_RSRC2:TGID_Y_EN: 0
; COMPUTE_PGM_RSRC2:TGID_Z_EN: 0
; COMPUTE_PGM_RSRC2:TIDIG_COMP_CNT: 0
; COMPUTE_PGM_RSRC3_GFX90A:ACCUM_OFFSET: 0
; COMPUTE_PGM_RSRC3_GFX90A:TG_SPLIT: 0
	.section	.text._ZN7rocprim17ROCPRIM_400000_NS6detail17trampoline_kernelINS0_14default_configENS1_20scan_config_selectorIlEEZZNS1_9scan_implILNS1_25lookback_scan_determinismE0ELb0ELb0ES3_PlS8_lN6thrust23THRUST_200600_302600_NS4plusIvEElEEDaPvRmT3_T4_T5_mT6_P12ihipStream_tbENKUlT_T0_E_clISt17integral_constantIbLb0EESP_IbLb1EEEEDaSL_SM_EUlSL_E0_NS1_11comp_targetILNS1_3genE4ELNS1_11target_archE910ELNS1_3gpuE8ELNS1_3repE0EEENS1_30default_config_static_selectorELNS0_4arch9wavefront6targetE1EEEvT1_,"axG",@progbits,_ZN7rocprim17ROCPRIM_400000_NS6detail17trampoline_kernelINS0_14default_configENS1_20scan_config_selectorIlEEZZNS1_9scan_implILNS1_25lookback_scan_determinismE0ELb0ELb0ES3_PlS8_lN6thrust23THRUST_200600_302600_NS4plusIvEElEEDaPvRmT3_T4_T5_mT6_P12ihipStream_tbENKUlT_T0_E_clISt17integral_constantIbLb0EESP_IbLb1EEEEDaSL_SM_EUlSL_E0_NS1_11comp_targetILNS1_3genE4ELNS1_11target_archE910ELNS1_3gpuE8ELNS1_3repE0EEENS1_30default_config_static_selectorELNS0_4arch9wavefront6targetE1EEEvT1_,comdat
	.protected	_ZN7rocprim17ROCPRIM_400000_NS6detail17trampoline_kernelINS0_14default_configENS1_20scan_config_selectorIlEEZZNS1_9scan_implILNS1_25lookback_scan_determinismE0ELb0ELb0ES3_PlS8_lN6thrust23THRUST_200600_302600_NS4plusIvEElEEDaPvRmT3_T4_T5_mT6_P12ihipStream_tbENKUlT_T0_E_clISt17integral_constantIbLb0EESP_IbLb1EEEEDaSL_SM_EUlSL_E0_NS1_11comp_targetILNS1_3genE4ELNS1_11target_archE910ELNS1_3gpuE8ELNS1_3repE0EEENS1_30default_config_static_selectorELNS0_4arch9wavefront6targetE1EEEvT1_ ; -- Begin function _ZN7rocprim17ROCPRIM_400000_NS6detail17trampoline_kernelINS0_14default_configENS1_20scan_config_selectorIlEEZZNS1_9scan_implILNS1_25lookback_scan_determinismE0ELb0ELb0ES3_PlS8_lN6thrust23THRUST_200600_302600_NS4plusIvEElEEDaPvRmT3_T4_T5_mT6_P12ihipStream_tbENKUlT_T0_E_clISt17integral_constantIbLb0EESP_IbLb1EEEEDaSL_SM_EUlSL_E0_NS1_11comp_targetILNS1_3genE4ELNS1_11target_archE910ELNS1_3gpuE8ELNS1_3repE0EEENS1_30default_config_static_selectorELNS0_4arch9wavefront6targetE1EEEvT1_
	.globl	_ZN7rocprim17ROCPRIM_400000_NS6detail17trampoline_kernelINS0_14default_configENS1_20scan_config_selectorIlEEZZNS1_9scan_implILNS1_25lookback_scan_determinismE0ELb0ELb0ES3_PlS8_lN6thrust23THRUST_200600_302600_NS4plusIvEElEEDaPvRmT3_T4_T5_mT6_P12ihipStream_tbENKUlT_T0_E_clISt17integral_constantIbLb0EESP_IbLb1EEEEDaSL_SM_EUlSL_E0_NS1_11comp_targetILNS1_3genE4ELNS1_11target_archE910ELNS1_3gpuE8ELNS1_3repE0EEENS1_30default_config_static_selectorELNS0_4arch9wavefront6targetE1EEEvT1_
	.p2align	8
	.type	_ZN7rocprim17ROCPRIM_400000_NS6detail17trampoline_kernelINS0_14default_configENS1_20scan_config_selectorIlEEZZNS1_9scan_implILNS1_25lookback_scan_determinismE0ELb0ELb0ES3_PlS8_lN6thrust23THRUST_200600_302600_NS4plusIvEElEEDaPvRmT3_T4_T5_mT6_P12ihipStream_tbENKUlT_T0_E_clISt17integral_constantIbLb0EESP_IbLb1EEEEDaSL_SM_EUlSL_E0_NS1_11comp_targetILNS1_3genE4ELNS1_11target_archE910ELNS1_3gpuE8ELNS1_3repE0EEENS1_30default_config_static_selectorELNS0_4arch9wavefront6targetE1EEEvT1_,@function
_ZN7rocprim17ROCPRIM_400000_NS6detail17trampoline_kernelINS0_14default_configENS1_20scan_config_selectorIlEEZZNS1_9scan_implILNS1_25lookback_scan_determinismE0ELb0ELb0ES3_PlS8_lN6thrust23THRUST_200600_302600_NS4plusIvEElEEDaPvRmT3_T4_T5_mT6_P12ihipStream_tbENKUlT_T0_E_clISt17integral_constantIbLb0EESP_IbLb1EEEEDaSL_SM_EUlSL_E0_NS1_11comp_targetILNS1_3genE4ELNS1_11target_archE910ELNS1_3gpuE8ELNS1_3repE0EEENS1_30default_config_static_selectorELNS0_4arch9wavefront6targetE1EEEvT1_: ; @_ZN7rocprim17ROCPRIM_400000_NS6detail17trampoline_kernelINS0_14default_configENS1_20scan_config_selectorIlEEZZNS1_9scan_implILNS1_25lookback_scan_determinismE0ELb0ELb0ES3_PlS8_lN6thrust23THRUST_200600_302600_NS4plusIvEElEEDaPvRmT3_T4_T5_mT6_P12ihipStream_tbENKUlT_T0_E_clISt17integral_constantIbLb0EESP_IbLb1EEEEDaSL_SM_EUlSL_E0_NS1_11comp_targetILNS1_3genE4ELNS1_11target_archE910ELNS1_3gpuE8ELNS1_3repE0EEENS1_30default_config_static_selectorELNS0_4arch9wavefront6targetE1EEEvT1_
; %bb.0:
	s_load_dwordx4 s[16:19], s[4:5], 0x0
	v_lshlrev_b32_e32 v21, 3, v0
	s_waitcnt lgkmcnt(0)
	s_load_dwordx2 s[14:15], s[16:17], 0x0
	v_cmp_gt_u32_e32 vcc, s18, v0
	s_waitcnt lgkmcnt(0)
	v_pk_mov_b32 v[2:3], s[14:15], s[14:15] op_sel:[0,1]
	s_and_saveexec_b64 s[0:1], vcc
	s_cbranch_execz .LBB152_2
; %bb.1:
	global_load_dwordx2 v[2:3], v21, s[16:17]
.LBB152_2:
	s_or_b64 exec, exec, s[0:1]
	v_or_b32_e32 v1, 0x80, v0
	v_cmp_gt_u32_e64 s[0:1], s18, v1
	v_pk_mov_b32 v[4:5], s[14:15], s[14:15] op_sel:[0,1]
	s_and_saveexec_b64 s[2:3], s[0:1]
	s_cbranch_execz .LBB152_4
; %bb.3:
	global_load_dwordx2 v[4:5], v21, s[16:17] offset:1024
.LBB152_4:
	s_or_b64 exec, exec, s[2:3]
	v_or_b32_e32 v1, 0x100, v0
	v_cmp_gt_u32_e64 s[2:3], s18, v1
	v_pk_mov_b32 v[6:7], s[14:15], s[14:15] op_sel:[0,1]
	s_and_saveexec_b64 s[6:7], s[2:3]
	s_cbranch_execz .LBB152_6
; %bb.5:
	global_load_dwordx2 v[6:7], v21, s[16:17] offset:2048
.LBB152_6:
	s_or_b64 exec, exec, s[6:7]
	v_or_b32_e32 v1, 0x180, v0
	v_cmp_gt_u32_e64 s[12:13], s18, v1
	v_pk_mov_b32 v[8:9], s[14:15], s[14:15] op_sel:[0,1]
	s_and_saveexec_b64 s[6:7], s[12:13]
	s_cbranch_execz .LBB152_8
; %bb.7:
	global_load_dwordx2 v[8:9], v21, s[16:17] offset:3072
.LBB152_8:
	s_or_b64 exec, exec, s[6:7]
	v_or_b32_e32 v1, 0x200, v0
	v_cmp_gt_u32_e64 s[6:7], s18, v1
	v_pk_mov_b32 v[10:11], s[14:15], s[14:15] op_sel:[0,1]
	s_and_saveexec_b64 s[8:9], s[6:7]
	s_cbranch_execz .LBB152_10
; %bb.9:
	v_lshlrev_b32_e32 v1, 3, v1
	global_load_dwordx2 v[10:11], v1, s[16:17]
.LBB152_10:
	s_or_b64 exec, exec, s[8:9]
	v_or_b32_e32 v1, 0x280, v0
	v_cmp_gt_u32_e64 s[8:9], s18, v1
	v_pk_mov_b32 v[12:13], s[14:15], s[14:15] op_sel:[0,1]
	s_and_saveexec_b64 s[10:11], s[8:9]
	s_cbranch_execz .LBB152_12
; %bb.11:
	v_lshlrev_b32_e32 v1, 3, v1
	global_load_dwordx2 v[12:13], v1, s[16:17]
.LBB152_12:
	s_or_b64 exec, exec, s[10:11]
	v_or_b32_e32 v1, 0x300, v0
	v_cmp_gt_u32_e64 s[10:11], s18, v1
	v_pk_mov_b32 v[14:15], s[14:15], s[14:15] op_sel:[0,1]
	s_and_saveexec_b64 s[14:15], s[10:11]
	s_cbranch_execz .LBB152_14
; %bb.13:
	v_lshlrev_b32_e32 v1, 3, v1
	global_load_dwordx2 v[14:15], v1, s[16:17]
.LBB152_14:
	s_or_b64 exec, exec, s[14:15]
	v_mad_u32_u24 v1, v0, 48, v21
	s_waitcnt vmcnt(0)
	ds_write2st64_b64 v21, v[2:3], v[4:5] offset1:2
	ds_write2st64_b64 v21, v[6:7], v[8:9] offset0:4 offset1:6
	ds_write2st64_b64 v21, v[10:11], v[12:13] offset0:8 offset1:10
	ds_write_b64 v21, v[14:15] offset:6144
	s_waitcnt lgkmcnt(0)
	s_barrier
	ds_read2_b64 v[2:5], v1 offset1:1
	ds_read2_b64 v[6:9], v1 offset0:2 offset1:3
	ds_read2_b64 v[10:13], v1 offset0:4 offset1:5
	ds_read_b64 v[28:29], v1 offset:48
	s_load_dwordx2 s[16:17], s[4:5], 0x20
	s_waitcnt lgkmcnt(0)
	v_add_co_u32_e64 v20, s[4:5], v4, v2
	v_addc_co_u32_e64 v1, s[4:5], v5, v3, s[4:5]
	v_add_co_u32_e64 v18, s[4:5], v20, v6
	v_addc_co_u32_e64 v19, s[4:5], v1, v7, s[4:5]
	;; [unrolled: 2-line block ×5, first 2 shown]
	v_add_co_u32_e64 v30, s[4:5], v26, v28
	v_lshrrev_b32_e32 v14, 2, v0
	v_addc_co_u32_e64 v31, s[4:5], v27, v29, s[4:5]
	v_and_b32_e32 v14, 24, v14
	v_add_u32_e32 v14, v21, v14
	v_cmp_gt_u32_e64 s[4:5], 64, v0
	s_barrier
	ds_write_b64 v14, v[30:31]
	s_waitcnt lgkmcnt(0)
	s_barrier
	s_and_saveexec_b64 s[18:19], s[4:5]
	s_cbranch_execz .LBB152_18
; %bb.15:
	v_lshlrev_b32_e32 v14, 1, v0
	v_lshrrev_b32_e32 v15, 4, v0
	v_add_lshl_u32 v32, v15, v14, 3
	ds_read2_b64 v[14:17], v32 offset1:1
	s_waitcnt lgkmcnt(0)
	v_add_co_u32_e64 v34, s[4:5], v16, v14
	v_addc_co_u32_e64 v35, s[4:5], v17, v15, s[4:5]
	s_nop 0
	v_mov_b32_dpp v17, v34 row_shr:1 row_mask:0xf bank_mask:0xf
	v_add_co_u32_e64 v17, s[4:5], v34, v17
	v_mbcnt_lo_u32_b32 v16, -1, 0
	v_addc_co_u32_e64 v37, s[4:5], 0, v35, s[4:5]
	v_mbcnt_hi_u32_b32 v33, -1, v16
	v_mov_b32_dpp v36, v35 row_shr:1 row_mask:0xf bank_mask:0xf
	v_add_co_u32_e64 v38, s[4:5], 0, v17
	v_and_b32_e32 v16, 15, v33
	v_addc_co_u32_e64 v36, s[4:5], v36, v37, s[4:5]
	v_cmp_eq_u32_e64 s[4:5], 0, v16
	v_cndmask_b32_e64 v17, v17, v34, s[4:5]
	v_cndmask_b32_e64 v36, v36, v35, s[4:5]
	v_cndmask_b32_e64 v37, v38, v34, s[4:5]
	v_mov_b32_dpp v38, v17 row_shr:2 row_mask:0xf bank_mask:0xf
	v_mov_b32_dpp v39, v36 row_shr:2 row_mask:0xf bank_mask:0xf
	v_add_co_u32_e64 v38, s[4:5], v38, v37
	v_addc_co_u32_e64 v39, s[4:5], v39, v36, s[4:5]
	v_cmp_lt_u32_e64 s[4:5], 1, v16
	v_cndmask_b32_e64 v17, v17, v38, s[4:5]
	v_cndmask_b32_e64 v36, v36, v39, s[4:5]
	v_cndmask_b32_e64 v37, v37, v38, s[4:5]
	v_mov_b32_dpp v38, v17 row_shr:4 row_mask:0xf bank_mask:0xf
	v_mov_b32_dpp v39, v36 row_shr:4 row_mask:0xf bank_mask:0xf
	v_add_co_u32_e64 v38, s[4:5], v38, v37
	v_addc_co_u32_e64 v39, s[4:5], v39, v36, s[4:5]
	v_cmp_lt_u32_e64 s[4:5], 3, v16
	;; [unrolled: 8-line block ×3, first 2 shown]
	v_cndmask_b32_e64 v40, v17, v38, s[4:5]
	v_cndmask_b32_e64 v17, v36, v39, s[4:5]
	v_cndmask_b32_e64 v16, v37, v38, s[4:5]
	v_mov_b32_dpp v36, v40 row_bcast:15 row_mask:0xf bank_mask:0xf
	v_mov_b32_dpp v37, v17 row_bcast:15 row_mask:0xf bank_mask:0xf
	v_add_co_u32_e64 v36, s[4:5], v36, v16
	v_and_b32_e32 v39, 16, v33
	v_addc_co_u32_e64 v38, s[4:5], v37, v17, s[4:5]
	v_cmp_eq_u32_e64 s[4:5], 0, v39
	v_cndmask_b32_e64 v39, v38, v17, s[4:5]
	v_cndmask_b32_e64 v37, v36, v40, s[4:5]
	v_cmp_ne_u32_e64 s[14:15], 0, v33
	v_mov_b32_dpp v39, v39 row_bcast:31 row_mask:0xf bank_mask:0xf
	v_mov_b32_dpp v37, v37 row_bcast:31 row_mask:0xf bank_mask:0xf
	s_and_saveexec_b64 s[20:21], s[14:15]
; %bb.16:
	v_cndmask_b32_e64 v17, v38, v17, s[4:5]
	v_cndmask_b32_e64 v16, v36, v16, s[4:5]
	v_cmp_lt_u32_e64 s[4:5], 31, v33
	v_cndmask_b32_e64 v34, 0, v37, s[4:5]
	v_cndmask_b32_e64 v35, 0, v39, s[4:5]
	v_add_co_u32_e64 v34, s[4:5], v34, v16
	v_addc_co_u32_e64 v35, s[4:5], v35, v17, s[4:5]
; %bb.17:
	s_or_b64 exec, exec, s[20:21]
	v_add_u32_e32 v16, -1, v33
	v_and_b32_e32 v17, 64, v33
	v_cmp_lt_i32_e64 s[4:5], v16, v17
	v_cndmask_b32_e64 v16, v16, v33, s[4:5]
	v_lshlrev_b32_e32 v16, 2, v16
	ds_bpermute_b32 v17, v16, v34
	ds_bpermute_b32 v16, v16, v35
	; wave barrier
	s_waitcnt lgkmcnt(1)
	v_add_co_u32_e64 v14, s[4:5], v14, v17
	v_addc_co_u32_e64 v15, s[4:5], 0, v15, s[4:5]
	v_add_co_u32_e64 v14, s[4:5], 0, v14
	s_waitcnt lgkmcnt(0)
	v_addc_co_u32_e64 v15, s[4:5], v15, v16, s[4:5]
	v_cmp_eq_u32_e64 s[4:5], 0, v0
	v_cndmask_b32_e64 v15, v15, v31, s[4:5]
	v_cndmask_b32_e64 v14, v14, v30, s[4:5]
	ds_write_b64 v32, v[14:15]
	; wave barrier
	ds_read_b64 v[16:17], v32 offset:8
	s_waitcnt lgkmcnt(0)
	v_add_co_u32_e64 v14, s[4:5], v16, v14
	v_addc_co_u32_e64 v15, s[4:5], v17, v15, s[4:5]
	ds_write_b64 v32, v[14:15] offset:8
.LBB152_18:
	s_or_b64 exec, exec, s[18:19]
	v_mul_u32_u24_e32 v16, 48, v0
	v_cmp_ne_u32_e64 s[4:5], 0, v0
	v_pk_mov_b32 v[14:15], v[30:31], v[30:31] op_sel:[0,1]
	s_waitcnt lgkmcnt(0)
	s_barrier
	s_and_saveexec_b64 s[14:15], s[4:5]
	s_cbranch_execz .LBB152_20
; %bb.19:
	v_add_u32_e32 v0, -1, v0
	v_lshrrev_b32_e32 v14, 5, v0
	v_add_lshl_u32 v0, v14, v0, 3
	ds_read_b64 v[14:15], v0
.LBB152_20:
	s_or_b64 exec, exec, s[14:15]
	s_and_saveexec_b64 s[14:15], s[4:5]
	s_cbranch_execz .LBB152_22
; %bb.21:
	s_waitcnt lgkmcnt(0)
	v_add_co_u32_e64 v2, s[4:5], v14, v2
	v_addc_co_u32_e64 v3, s[4:5], v15, v3, s[4:5]
	v_add_co_u32_e64 v20, s[4:5], v2, v4
	v_addc_co_u32_e64 v1, s[4:5], v3, v5, s[4:5]
	;; [unrolled: 2-line block ×7, first 2 shown]
	;;#ASMSTART
	;;#ASMEND
.LBB152_22:
	s_or_b64 exec, exec, s[14:15]
	v_add_u32_e32 v4, v21, v16
	v_mov_b32_e32 v0, v20
	s_waitcnt lgkmcnt(0)
	s_barrier
	ds_write2_b64 v4, v[2:3], v[0:1] offset1:1
	ds_write2_b64 v4, v[18:19], v[24:25] offset0:2 offset1:3
	ds_write2_b64 v4, v[22:23], v[26:27] offset0:4 offset1:5
	ds_write_b64 v4, v[30:31] offset:48
	s_waitcnt lgkmcnt(0)
	s_barrier
	ds_read2st64_b64 v[8:11], v21 offset0:2 offset1:4
	ds_read2st64_b64 v[4:7], v21 offset0:6 offset1:8
	;; [unrolled: 1-line block ×3, first 2 shown]
	v_mov_b32_e32 v13, s17
	v_add_co_u32_e64 v12, s[4:5], s16, v21
	v_addc_co_u32_e64 v13, s[4:5], 0, v13, s[4:5]
	s_and_saveexec_b64 s[4:5], vcc
	s_cbranch_execnz .LBB152_30
; %bb.23:
	s_or_b64 exec, exec, s[4:5]
	s_and_saveexec_b64 s[4:5], s[0:1]
	s_cbranch_execnz .LBB152_31
.LBB152_24:
	s_or_b64 exec, exec, s[4:5]
	s_and_saveexec_b64 s[0:1], s[2:3]
	s_cbranch_execnz .LBB152_32
.LBB152_25:
	s_or_b64 exec, exec, s[0:1]
	s_and_saveexec_b64 s[0:1], s[12:13]
	s_cbranch_execnz .LBB152_33
.LBB152_26:
	s_or_b64 exec, exec, s[0:1]
	s_and_saveexec_b64 s[0:1], s[6:7]
	s_cbranch_execnz .LBB152_34
.LBB152_27:
	s_or_b64 exec, exec, s[0:1]
	s_and_saveexec_b64 s[0:1], s[8:9]
	s_cbranch_execnz .LBB152_35
.LBB152_28:
	s_or_b64 exec, exec, s[0:1]
	s_and_saveexec_b64 s[0:1], s[10:11]
	s_cbranch_execnz .LBB152_36
.LBB152_29:
	s_endpgm
.LBB152_30:
	ds_read_b64 v[14:15], v21
	s_waitcnt lgkmcnt(0)
	global_store_dwordx2 v[12:13], v[14:15], off
	s_or_b64 exec, exec, s[4:5]
	s_and_saveexec_b64 s[4:5], s[0:1]
	s_cbranch_execz .LBB152_24
.LBB152_31:
	s_waitcnt lgkmcnt(2)
	global_store_dwordx2 v[12:13], v[8:9], off offset:1024
	s_or_b64 exec, exec, s[4:5]
	s_and_saveexec_b64 s[0:1], s[2:3]
	s_cbranch_execz .LBB152_25
.LBB152_32:
	s_waitcnt lgkmcnt(2)
	global_store_dwordx2 v[12:13], v[10:11], off offset:2048
	s_or_b64 exec, exec, s[0:1]
	s_and_saveexec_b64 s[0:1], s[12:13]
	s_cbranch_execz .LBB152_26
.LBB152_33:
	s_waitcnt lgkmcnt(1)
	global_store_dwordx2 v[12:13], v[4:5], off offset:3072
	s_or_b64 exec, exec, s[0:1]
	s_and_saveexec_b64 s[0:1], s[6:7]
	s_cbranch_execz .LBB152_27
.LBB152_34:
	s_waitcnt lgkmcnt(1)
	v_add_co_u32_e32 v4, vcc, 0x1000, v12
	v_addc_co_u32_e32 v5, vcc, 0, v13, vcc
	global_store_dwordx2 v[4:5], v[6:7], off
	s_or_b64 exec, exec, s[0:1]
	s_and_saveexec_b64 s[0:1], s[8:9]
	s_cbranch_execz .LBB152_28
.LBB152_35:
	s_waitcnt lgkmcnt(1)
	v_add_co_u32_e32 v4, vcc, 0x1000, v12
	v_addc_co_u32_e32 v5, vcc, 0, v13, vcc
	s_waitcnt lgkmcnt(0)
	global_store_dwordx2 v[4:5], v[0:1], off offset:1024
	s_or_b64 exec, exec, s[0:1]
	s_and_saveexec_b64 s[0:1], s[10:11]
	s_cbranch_execz .LBB152_29
.LBB152_36:
	s_waitcnt lgkmcnt(0)
	v_add_co_u32_e32 v0, vcc, 0x1000, v12
	v_addc_co_u32_e32 v1, vcc, 0, v13, vcc
	global_store_dwordx2 v[0:1], v[2:3], off offset:2048
	s_endpgm
	.section	.rodata,"a",@progbits
	.p2align	6, 0x0
	.amdhsa_kernel _ZN7rocprim17ROCPRIM_400000_NS6detail17trampoline_kernelINS0_14default_configENS1_20scan_config_selectorIlEEZZNS1_9scan_implILNS1_25lookback_scan_determinismE0ELb0ELb0ES3_PlS8_lN6thrust23THRUST_200600_302600_NS4plusIvEElEEDaPvRmT3_T4_T5_mT6_P12ihipStream_tbENKUlT_T0_E_clISt17integral_constantIbLb0EESP_IbLb1EEEEDaSL_SM_EUlSL_E0_NS1_11comp_targetILNS1_3genE4ELNS1_11target_archE910ELNS1_3gpuE8ELNS1_3repE0EEENS1_30default_config_static_selectorELNS0_4arch9wavefront6targetE1EEEvT1_
		.amdhsa_group_segment_fixed_size 7168
		.amdhsa_private_segment_fixed_size 0
		.amdhsa_kernarg_size 40
		.amdhsa_user_sgpr_count 6
		.amdhsa_user_sgpr_private_segment_buffer 1
		.amdhsa_user_sgpr_dispatch_ptr 0
		.amdhsa_user_sgpr_queue_ptr 0
		.amdhsa_user_sgpr_kernarg_segment_ptr 1
		.amdhsa_user_sgpr_dispatch_id 0
		.amdhsa_user_sgpr_flat_scratch_init 0
		.amdhsa_user_sgpr_kernarg_preload_length 0
		.amdhsa_user_sgpr_kernarg_preload_offset 0
		.amdhsa_user_sgpr_private_segment_size 0
		.amdhsa_uses_dynamic_stack 0
		.amdhsa_system_sgpr_private_segment_wavefront_offset 0
		.amdhsa_system_sgpr_workgroup_id_x 1
		.amdhsa_system_sgpr_workgroup_id_y 0
		.amdhsa_system_sgpr_workgroup_id_z 0
		.amdhsa_system_sgpr_workgroup_info 0
		.amdhsa_system_vgpr_workitem_id 0
		.amdhsa_next_free_vgpr 41
		.amdhsa_next_free_sgpr 22
		.amdhsa_accum_offset 44
		.amdhsa_reserve_vcc 1
		.amdhsa_reserve_flat_scratch 0
		.amdhsa_float_round_mode_32 0
		.amdhsa_float_round_mode_16_64 0
		.amdhsa_float_denorm_mode_32 3
		.amdhsa_float_denorm_mode_16_64 3
		.amdhsa_dx10_clamp 1
		.amdhsa_ieee_mode 1
		.amdhsa_fp16_overflow 0
		.amdhsa_tg_split 0
		.amdhsa_exception_fp_ieee_invalid_op 0
		.amdhsa_exception_fp_denorm_src 0
		.amdhsa_exception_fp_ieee_div_zero 0
		.amdhsa_exception_fp_ieee_overflow 0
		.amdhsa_exception_fp_ieee_underflow 0
		.amdhsa_exception_fp_ieee_inexact 0
		.amdhsa_exception_int_div_zero 0
	.end_amdhsa_kernel
	.section	.text._ZN7rocprim17ROCPRIM_400000_NS6detail17trampoline_kernelINS0_14default_configENS1_20scan_config_selectorIlEEZZNS1_9scan_implILNS1_25lookback_scan_determinismE0ELb0ELb0ES3_PlS8_lN6thrust23THRUST_200600_302600_NS4plusIvEElEEDaPvRmT3_T4_T5_mT6_P12ihipStream_tbENKUlT_T0_E_clISt17integral_constantIbLb0EESP_IbLb1EEEEDaSL_SM_EUlSL_E0_NS1_11comp_targetILNS1_3genE4ELNS1_11target_archE910ELNS1_3gpuE8ELNS1_3repE0EEENS1_30default_config_static_selectorELNS0_4arch9wavefront6targetE1EEEvT1_,"axG",@progbits,_ZN7rocprim17ROCPRIM_400000_NS6detail17trampoline_kernelINS0_14default_configENS1_20scan_config_selectorIlEEZZNS1_9scan_implILNS1_25lookback_scan_determinismE0ELb0ELb0ES3_PlS8_lN6thrust23THRUST_200600_302600_NS4plusIvEElEEDaPvRmT3_T4_T5_mT6_P12ihipStream_tbENKUlT_T0_E_clISt17integral_constantIbLb0EESP_IbLb1EEEEDaSL_SM_EUlSL_E0_NS1_11comp_targetILNS1_3genE4ELNS1_11target_archE910ELNS1_3gpuE8ELNS1_3repE0EEENS1_30default_config_static_selectorELNS0_4arch9wavefront6targetE1EEEvT1_,comdat
.Lfunc_end152:
	.size	_ZN7rocprim17ROCPRIM_400000_NS6detail17trampoline_kernelINS0_14default_configENS1_20scan_config_selectorIlEEZZNS1_9scan_implILNS1_25lookback_scan_determinismE0ELb0ELb0ES3_PlS8_lN6thrust23THRUST_200600_302600_NS4plusIvEElEEDaPvRmT3_T4_T5_mT6_P12ihipStream_tbENKUlT_T0_E_clISt17integral_constantIbLb0EESP_IbLb1EEEEDaSL_SM_EUlSL_E0_NS1_11comp_targetILNS1_3genE4ELNS1_11target_archE910ELNS1_3gpuE8ELNS1_3repE0EEENS1_30default_config_static_selectorELNS0_4arch9wavefront6targetE1EEEvT1_, .Lfunc_end152-_ZN7rocprim17ROCPRIM_400000_NS6detail17trampoline_kernelINS0_14default_configENS1_20scan_config_selectorIlEEZZNS1_9scan_implILNS1_25lookback_scan_determinismE0ELb0ELb0ES3_PlS8_lN6thrust23THRUST_200600_302600_NS4plusIvEElEEDaPvRmT3_T4_T5_mT6_P12ihipStream_tbENKUlT_T0_E_clISt17integral_constantIbLb0EESP_IbLb1EEEEDaSL_SM_EUlSL_E0_NS1_11comp_targetILNS1_3genE4ELNS1_11target_archE910ELNS1_3gpuE8ELNS1_3repE0EEENS1_30default_config_static_selectorELNS0_4arch9wavefront6targetE1EEEvT1_
                                        ; -- End function
	.section	.AMDGPU.csdata,"",@progbits
; Kernel info:
; codeLenInByte = 1804
; NumSgprs: 26
; NumVgprs: 41
; NumAgprs: 0
; TotalNumVgprs: 41
; ScratchSize: 0
; MemoryBound: 0
; FloatMode: 240
; IeeeMode: 1
; LDSByteSize: 7168 bytes/workgroup (compile time only)
; SGPRBlocks: 3
; VGPRBlocks: 5
; NumSGPRsForWavesPerEU: 26
; NumVGPRsForWavesPerEU: 41
; AccumOffset: 44
; Occupancy: 5
; WaveLimiterHint : 0
; COMPUTE_PGM_RSRC2:SCRATCH_EN: 0
; COMPUTE_PGM_RSRC2:USER_SGPR: 6
; COMPUTE_PGM_RSRC2:TRAP_HANDLER: 0
; COMPUTE_PGM_RSRC2:TGID_X_EN: 1
; COMPUTE_PGM_RSRC2:TGID_Y_EN: 0
; COMPUTE_PGM_RSRC2:TGID_Z_EN: 0
; COMPUTE_PGM_RSRC2:TIDIG_COMP_CNT: 0
; COMPUTE_PGM_RSRC3_GFX90A:ACCUM_OFFSET: 10
; COMPUTE_PGM_RSRC3_GFX90A:TG_SPLIT: 0
	.section	.text._ZN7rocprim17ROCPRIM_400000_NS6detail17trampoline_kernelINS0_14default_configENS1_20scan_config_selectorIlEEZZNS1_9scan_implILNS1_25lookback_scan_determinismE0ELb0ELb0ES3_PlS8_lN6thrust23THRUST_200600_302600_NS4plusIvEElEEDaPvRmT3_T4_T5_mT6_P12ihipStream_tbENKUlT_T0_E_clISt17integral_constantIbLb0EESP_IbLb1EEEEDaSL_SM_EUlSL_E0_NS1_11comp_targetILNS1_3genE3ELNS1_11target_archE908ELNS1_3gpuE7ELNS1_3repE0EEENS1_30default_config_static_selectorELNS0_4arch9wavefront6targetE1EEEvT1_,"axG",@progbits,_ZN7rocprim17ROCPRIM_400000_NS6detail17trampoline_kernelINS0_14default_configENS1_20scan_config_selectorIlEEZZNS1_9scan_implILNS1_25lookback_scan_determinismE0ELb0ELb0ES3_PlS8_lN6thrust23THRUST_200600_302600_NS4plusIvEElEEDaPvRmT3_T4_T5_mT6_P12ihipStream_tbENKUlT_T0_E_clISt17integral_constantIbLb0EESP_IbLb1EEEEDaSL_SM_EUlSL_E0_NS1_11comp_targetILNS1_3genE3ELNS1_11target_archE908ELNS1_3gpuE7ELNS1_3repE0EEENS1_30default_config_static_selectorELNS0_4arch9wavefront6targetE1EEEvT1_,comdat
	.protected	_ZN7rocprim17ROCPRIM_400000_NS6detail17trampoline_kernelINS0_14default_configENS1_20scan_config_selectorIlEEZZNS1_9scan_implILNS1_25lookback_scan_determinismE0ELb0ELb0ES3_PlS8_lN6thrust23THRUST_200600_302600_NS4plusIvEElEEDaPvRmT3_T4_T5_mT6_P12ihipStream_tbENKUlT_T0_E_clISt17integral_constantIbLb0EESP_IbLb1EEEEDaSL_SM_EUlSL_E0_NS1_11comp_targetILNS1_3genE3ELNS1_11target_archE908ELNS1_3gpuE7ELNS1_3repE0EEENS1_30default_config_static_selectorELNS0_4arch9wavefront6targetE1EEEvT1_ ; -- Begin function _ZN7rocprim17ROCPRIM_400000_NS6detail17trampoline_kernelINS0_14default_configENS1_20scan_config_selectorIlEEZZNS1_9scan_implILNS1_25lookback_scan_determinismE0ELb0ELb0ES3_PlS8_lN6thrust23THRUST_200600_302600_NS4plusIvEElEEDaPvRmT3_T4_T5_mT6_P12ihipStream_tbENKUlT_T0_E_clISt17integral_constantIbLb0EESP_IbLb1EEEEDaSL_SM_EUlSL_E0_NS1_11comp_targetILNS1_3genE3ELNS1_11target_archE908ELNS1_3gpuE7ELNS1_3repE0EEENS1_30default_config_static_selectorELNS0_4arch9wavefront6targetE1EEEvT1_
	.globl	_ZN7rocprim17ROCPRIM_400000_NS6detail17trampoline_kernelINS0_14default_configENS1_20scan_config_selectorIlEEZZNS1_9scan_implILNS1_25lookback_scan_determinismE0ELb0ELb0ES3_PlS8_lN6thrust23THRUST_200600_302600_NS4plusIvEElEEDaPvRmT3_T4_T5_mT6_P12ihipStream_tbENKUlT_T0_E_clISt17integral_constantIbLb0EESP_IbLb1EEEEDaSL_SM_EUlSL_E0_NS1_11comp_targetILNS1_3genE3ELNS1_11target_archE908ELNS1_3gpuE7ELNS1_3repE0EEENS1_30default_config_static_selectorELNS0_4arch9wavefront6targetE1EEEvT1_
	.p2align	8
	.type	_ZN7rocprim17ROCPRIM_400000_NS6detail17trampoline_kernelINS0_14default_configENS1_20scan_config_selectorIlEEZZNS1_9scan_implILNS1_25lookback_scan_determinismE0ELb0ELb0ES3_PlS8_lN6thrust23THRUST_200600_302600_NS4plusIvEElEEDaPvRmT3_T4_T5_mT6_P12ihipStream_tbENKUlT_T0_E_clISt17integral_constantIbLb0EESP_IbLb1EEEEDaSL_SM_EUlSL_E0_NS1_11comp_targetILNS1_3genE3ELNS1_11target_archE908ELNS1_3gpuE7ELNS1_3repE0EEENS1_30default_config_static_selectorELNS0_4arch9wavefront6targetE1EEEvT1_,@function
_ZN7rocprim17ROCPRIM_400000_NS6detail17trampoline_kernelINS0_14default_configENS1_20scan_config_selectorIlEEZZNS1_9scan_implILNS1_25lookback_scan_determinismE0ELb0ELb0ES3_PlS8_lN6thrust23THRUST_200600_302600_NS4plusIvEElEEDaPvRmT3_T4_T5_mT6_P12ihipStream_tbENKUlT_T0_E_clISt17integral_constantIbLb0EESP_IbLb1EEEEDaSL_SM_EUlSL_E0_NS1_11comp_targetILNS1_3genE3ELNS1_11target_archE908ELNS1_3gpuE7ELNS1_3repE0EEENS1_30default_config_static_selectorELNS0_4arch9wavefront6targetE1EEEvT1_: ; @_ZN7rocprim17ROCPRIM_400000_NS6detail17trampoline_kernelINS0_14default_configENS1_20scan_config_selectorIlEEZZNS1_9scan_implILNS1_25lookback_scan_determinismE0ELb0ELb0ES3_PlS8_lN6thrust23THRUST_200600_302600_NS4plusIvEElEEDaPvRmT3_T4_T5_mT6_P12ihipStream_tbENKUlT_T0_E_clISt17integral_constantIbLb0EESP_IbLb1EEEEDaSL_SM_EUlSL_E0_NS1_11comp_targetILNS1_3genE3ELNS1_11target_archE908ELNS1_3gpuE7ELNS1_3repE0EEENS1_30default_config_static_selectorELNS0_4arch9wavefront6targetE1EEEvT1_
; %bb.0:
	.section	.rodata,"a",@progbits
	.p2align	6, 0x0
	.amdhsa_kernel _ZN7rocprim17ROCPRIM_400000_NS6detail17trampoline_kernelINS0_14default_configENS1_20scan_config_selectorIlEEZZNS1_9scan_implILNS1_25lookback_scan_determinismE0ELb0ELb0ES3_PlS8_lN6thrust23THRUST_200600_302600_NS4plusIvEElEEDaPvRmT3_T4_T5_mT6_P12ihipStream_tbENKUlT_T0_E_clISt17integral_constantIbLb0EESP_IbLb1EEEEDaSL_SM_EUlSL_E0_NS1_11comp_targetILNS1_3genE3ELNS1_11target_archE908ELNS1_3gpuE7ELNS1_3repE0EEENS1_30default_config_static_selectorELNS0_4arch9wavefront6targetE1EEEvT1_
		.amdhsa_group_segment_fixed_size 0
		.amdhsa_private_segment_fixed_size 0
		.amdhsa_kernarg_size 40
		.amdhsa_user_sgpr_count 6
		.amdhsa_user_sgpr_private_segment_buffer 1
		.amdhsa_user_sgpr_dispatch_ptr 0
		.amdhsa_user_sgpr_queue_ptr 0
		.amdhsa_user_sgpr_kernarg_segment_ptr 1
		.amdhsa_user_sgpr_dispatch_id 0
		.amdhsa_user_sgpr_flat_scratch_init 0
		.amdhsa_user_sgpr_kernarg_preload_length 0
		.amdhsa_user_sgpr_kernarg_preload_offset 0
		.amdhsa_user_sgpr_private_segment_size 0
		.amdhsa_uses_dynamic_stack 0
		.amdhsa_system_sgpr_private_segment_wavefront_offset 0
		.amdhsa_system_sgpr_workgroup_id_x 1
		.amdhsa_system_sgpr_workgroup_id_y 0
		.amdhsa_system_sgpr_workgroup_id_z 0
		.amdhsa_system_sgpr_workgroup_info 0
		.amdhsa_system_vgpr_workitem_id 0
		.amdhsa_next_free_vgpr 1
		.amdhsa_next_free_sgpr 0
		.amdhsa_accum_offset 4
		.amdhsa_reserve_vcc 0
		.amdhsa_reserve_flat_scratch 0
		.amdhsa_float_round_mode_32 0
		.amdhsa_float_round_mode_16_64 0
		.amdhsa_float_denorm_mode_32 3
		.amdhsa_float_denorm_mode_16_64 3
		.amdhsa_dx10_clamp 1
		.amdhsa_ieee_mode 1
		.amdhsa_fp16_overflow 0
		.amdhsa_tg_split 0
		.amdhsa_exception_fp_ieee_invalid_op 0
		.amdhsa_exception_fp_denorm_src 0
		.amdhsa_exception_fp_ieee_div_zero 0
		.amdhsa_exception_fp_ieee_overflow 0
		.amdhsa_exception_fp_ieee_underflow 0
		.amdhsa_exception_fp_ieee_inexact 0
		.amdhsa_exception_int_div_zero 0
	.end_amdhsa_kernel
	.section	.text._ZN7rocprim17ROCPRIM_400000_NS6detail17trampoline_kernelINS0_14default_configENS1_20scan_config_selectorIlEEZZNS1_9scan_implILNS1_25lookback_scan_determinismE0ELb0ELb0ES3_PlS8_lN6thrust23THRUST_200600_302600_NS4plusIvEElEEDaPvRmT3_T4_T5_mT6_P12ihipStream_tbENKUlT_T0_E_clISt17integral_constantIbLb0EESP_IbLb1EEEEDaSL_SM_EUlSL_E0_NS1_11comp_targetILNS1_3genE3ELNS1_11target_archE908ELNS1_3gpuE7ELNS1_3repE0EEENS1_30default_config_static_selectorELNS0_4arch9wavefront6targetE1EEEvT1_,"axG",@progbits,_ZN7rocprim17ROCPRIM_400000_NS6detail17trampoline_kernelINS0_14default_configENS1_20scan_config_selectorIlEEZZNS1_9scan_implILNS1_25lookback_scan_determinismE0ELb0ELb0ES3_PlS8_lN6thrust23THRUST_200600_302600_NS4plusIvEElEEDaPvRmT3_T4_T5_mT6_P12ihipStream_tbENKUlT_T0_E_clISt17integral_constantIbLb0EESP_IbLb1EEEEDaSL_SM_EUlSL_E0_NS1_11comp_targetILNS1_3genE3ELNS1_11target_archE908ELNS1_3gpuE7ELNS1_3repE0EEENS1_30default_config_static_selectorELNS0_4arch9wavefront6targetE1EEEvT1_,comdat
.Lfunc_end153:
	.size	_ZN7rocprim17ROCPRIM_400000_NS6detail17trampoline_kernelINS0_14default_configENS1_20scan_config_selectorIlEEZZNS1_9scan_implILNS1_25lookback_scan_determinismE0ELb0ELb0ES3_PlS8_lN6thrust23THRUST_200600_302600_NS4plusIvEElEEDaPvRmT3_T4_T5_mT6_P12ihipStream_tbENKUlT_T0_E_clISt17integral_constantIbLb0EESP_IbLb1EEEEDaSL_SM_EUlSL_E0_NS1_11comp_targetILNS1_3genE3ELNS1_11target_archE908ELNS1_3gpuE7ELNS1_3repE0EEENS1_30default_config_static_selectorELNS0_4arch9wavefront6targetE1EEEvT1_, .Lfunc_end153-_ZN7rocprim17ROCPRIM_400000_NS6detail17trampoline_kernelINS0_14default_configENS1_20scan_config_selectorIlEEZZNS1_9scan_implILNS1_25lookback_scan_determinismE0ELb0ELb0ES3_PlS8_lN6thrust23THRUST_200600_302600_NS4plusIvEElEEDaPvRmT3_T4_T5_mT6_P12ihipStream_tbENKUlT_T0_E_clISt17integral_constantIbLb0EESP_IbLb1EEEEDaSL_SM_EUlSL_E0_NS1_11comp_targetILNS1_3genE3ELNS1_11target_archE908ELNS1_3gpuE7ELNS1_3repE0EEENS1_30default_config_static_selectorELNS0_4arch9wavefront6targetE1EEEvT1_
                                        ; -- End function
	.section	.AMDGPU.csdata,"",@progbits
; Kernel info:
; codeLenInByte = 0
; NumSgprs: 4
; NumVgprs: 0
; NumAgprs: 0
; TotalNumVgprs: 0
; ScratchSize: 0
; MemoryBound: 0
; FloatMode: 240
; IeeeMode: 1
; LDSByteSize: 0 bytes/workgroup (compile time only)
; SGPRBlocks: 0
; VGPRBlocks: 0
; NumSGPRsForWavesPerEU: 4
; NumVGPRsForWavesPerEU: 1
; AccumOffset: 4
; Occupancy: 8
; WaveLimiterHint : 0
; COMPUTE_PGM_RSRC2:SCRATCH_EN: 0
; COMPUTE_PGM_RSRC2:USER_SGPR: 6
; COMPUTE_PGM_RSRC2:TRAP_HANDLER: 0
; COMPUTE_PGM_RSRC2:TGID_X_EN: 1
; COMPUTE_PGM_RSRC2:TGID_Y_EN: 0
; COMPUTE_PGM_RSRC2:TGID_Z_EN: 0
; COMPUTE_PGM_RSRC2:TIDIG_COMP_CNT: 0
; COMPUTE_PGM_RSRC3_GFX90A:ACCUM_OFFSET: 0
; COMPUTE_PGM_RSRC3_GFX90A:TG_SPLIT: 0
	.section	.text._ZN7rocprim17ROCPRIM_400000_NS6detail17trampoline_kernelINS0_14default_configENS1_20scan_config_selectorIlEEZZNS1_9scan_implILNS1_25lookback_scan_determinismE0ELb0ELb0ES3_PlS8_lN6thrust23THRUST_200600_302600_NS4plusIvEElEEDaPvRmT3_T4_T5_mT6_P12ihipStream_tbENKUlT_T0_E_clISt17integral_constantIbLb0EESP_IbLb1EEEEDaSL_SM_EUlSL_E0_NS1_11comp_targetILNS1_3genE2ELNS1_11target_archE906ELNS1_3gpuE6ELNS1_3repE0EEENS1_30default_config_static_selectorELNS0_4arch9wavefront6targetE1EEEvT1_,"axG",@progbits,_ZN7rocprim17ROCPRIM_400000_NS6detail17trampoline_kernelINS0_14default_configENS1_20scan_config_selectorIlEEZZNS1_9scan_implILNS1_25lookback_scan_determinismE0ELb0ELb0ES3_PlS8_lN6thrust23THRUST_200600_302600_NS4plusIvEElEEDaPvRmT3_T4_T5_mT6_P12ihipStream_tbENKUlT_T0_E_clISt17integral_constantIbLb0EESP_IbLb1EEEEDaSL_SM_EUlSL_E0_NS1_11comp_targetILNS1_3genE2ELNS1_11target_archE906ELNS1_3gpuE6ELNS1_3repE0EEENS1_30default_config_static_selectorELNS0_4arch9wavefront6targetE1EEEvT1_,comdat
	.protected	_ZN7rocprim17ROCPRIM_400000_NS6detail17trampoline_kernelINS0_14default_configENS1_20scan_config_selectorIlEEZZNS1_9scan_implILNS1_25lookback_scan_determinismE0ELb0ELb0ES3_PlS8_lN6thrust23THRUST_200600_302600_NS4plusIvEElEEDaPvRmT3_T4_T5_mT6_P12ihipStream_tbENKUlT_T0_E_clISt17integral_constantIbLb0EESP_IbLb1EEEEDaSL_SM_EUlSL_E0_NS1_11comp_targetILNS1_3genE2ELNS1_11target_archE906ELNS1_3gpuE6ELNS1_3repE0EEENS1_30default_config_static_selectorELNS0_4arch9wavefront6targetE1EEEvT1_ ; -- Begin function _ZN7rocprim17ROCPRIM_400000_NS6detail17trampoline_kernelINS0_14default_configENS1_20scan_config_selectorIlEEZZNS1_9scan_implILNS1_25lookback_scan_determinismE0ELb0ELb0ES3_PlS8_lN6thrust23THRUST_200600_302600_NS4plusIvEElEEDaPvRmT3_T4_T5_mT6_P12ihipStream_tbENKUlT_T0_E_clISt17integral_constantIbLb0EESP_IbLb1EEEEDaSL_SM_EUlSL_E0_NS1_11comp_targetILNS1_3genE2ELNS1_11target_archE906ELNS1_3gpuE6ELNS1_3repE0EEENS1_30default_config_static_selectorELNS0_4arch9wavefront6targetE1EEEvT1_
	.globl	_ZN7rocprim17ROCPRIM_400000_NS6detail17trampoline_kernelINS0_14default_configENS1_20scan_config_selectorIlEEZZNS1_9scan_implILNS1_25lookback_scan_determinismE0ELb0ELb0ES3_PlS8_lN6thrust23THRUST_200600_302600_NS4plusIvEElEEDaPvRmT3_T4_T5_mT6_P12ihipStream_tbENKUlT_T0_E_clISt17integral_constantIbLb0EESP_IbLb1EEEEDaSL_SM_EUlSL_E0_NS1_11comp_targetILNS1_3genE2ELNS1_11target_archE906ELNS1_3gpuE6ELNS1_3repE0EEENS1_30default_config_static_selectorELNS0_4arch9wavefront6targetE1EEEvT1_
	.p2align	8
	.type	_ZN7rocprim17ROCPRIM_400000_NS6detail17trampoline_kernelINS0_14default_configENS1_20scan_config_selectorIlEEZZNS1_9scan_implILNS1_25lookback_scan_determinismE0ELb0ELb0ES3_PlS8_lN6thrust23THRUST_200600_302600_NS4plusIvEElEEDaPvRmT3_T4_T5_mT6_P12ihipStream_tbENKUlT_T0_E_clISt17integral_constantIbLb0EESP_IbLb1EEEEDaSL_SM_EUlSL_E0_NS1_11comp_targetILNS1_3genE2ELNS1_11target_archE906ELNS1_3gpuE6ELNS1_3repE0EEENS1_30default_config_static_selectorELNS0_4arch9wavefront6targetE1EEEvT1_,@function
_ZN7rocprim17ROCPRIM_400000_NS6detail17trampoline_kernelINS0_14default_configENS1_20scan_config_selectorIlEEZZNS1_9scan_implILNS1_25lookback_scan_determinismE0ELb0ELb0ES3_PlS8_lN6thrust23THRUST_200600_302600_NS4plusIvEElEEDaPvRmT3_T4_T5_mT6_P12ihipStream_tbENKUlT_T0_E_clISt17integral_constantIbLb0EESP_IbLb1EEEEDaSL_SM_EUlSL_E0_NS1_11comp_targetILNS1_3genE2ELNS1_11target_archE906ELNS1_3gpuE6ELNS1_3repE0EEENS1_30default_config_static_selectorELNS0_4arch9wavefront6targetE1EEEvT1_: ; @_ZN7rocprim17ROCPRIM_400000_NS6detail17trampoline_kernelINS0_14default_configENS1_20scan_config_selectorIlEEZZNS1_9scan_implILNS1_25lookback_scan_determinismE0ELb0ELb0ES3_PlS8_lN6thrust23THRUST_200600_302600_NS4plusIvEElEEDaPvRmT3_T4_T5_mT6_P12ihipStream_tbENKUlT_T0_E_clISt17integral_constantIbLb0EESP_IbLb1EEEEDaSL_SM_EUlSL_E0_NS1_11comp_targetILNS1_3genE2ELNS1_11target_archE906ELNS1_3gpuE6ELNS1_3repE0EEENS1_30default_config_static_selectorELNS0_4arch9wavefront6targetE1EEEvT1_
; %bb.0:
	.section	.rodata,"a",@progbits
	.p2align	6, 0x0
	.amdhsa_kernel _ZN7rocprim17ROCPRIM_400000_NS6detail17trampoline_kernelINS0_14default_configENS1_20scan_config_selectorIlEEZZNS1_9scan_implILNS1_25lookback_scan_determinismE0ELb0ELb0ES3_PlS8_lN6thrust23THRUST_200600_302600_NS4plusIvEElEEDaPvRmT3_T4_T5_mT6_P12ihipStream_tbENKUlT_T0_E_clISt17integral_constantIbLb0EESP_IbLb1EEEEDaSL_SM_EUlSL_E0_NS1_11comp_targetILNS1_3genE2ELNS1_11target_archE906ELNS1_3gpuE6ELNS1_3repE0EEENS1_30default_config_static_selectorELNS0_4arch9wavefront6targetE1EEEvT1_
		.amdhsa_group_segment_fixed_size 0
		.amdhsa_private_segment_fixed_size 0
		.amdhsa_kernarg_size 40
		.amdhsa_user_sgpr_count 6
		.amdhsa_user_sgpr_private_segment_buffer 1
		.amdhsa_user_sgpr_dispatch_ptr 0
		.amdhsa_user_sgpr_queue_ptr 0
		.amdhsa_user_sgpr_kernarg_segment_ptr 1
		.amdhsa_user_sgpr_dispatch_id 0
		.amdhsa_user_sgpr_flat_scratch_init 0
		.amdhsa_user_sgpr_kernarg_preload_length 0
		.amdhsa_user_sgpr_kernarg_preload_offset 0
		.amdhsa_user_sgpr_private_segment_size 0
		.amdhsa_uses_dynamic_stack 0
		.amdhsa_system_sgpr_private_segment_wavefront_offset 0
		.amdhsa_system_sgpr_workgroup_id_x 1
		.amdhsa_system_sgpr_workgroup_id_y 0
		.amdhsa_system_sgpr_workgroup_id_z 0
		.amdhsa_system_sgpr_workgroup_info 0
		.amdhsa_system_vgpr_workitem_id 0
		.amdhsa_next_free_vgpr 1
		.amdhsa_next_free_sgpr 0
		.amdhsa_accum_offset 4
		.amdhsa_reserve_vcc 0
		.amdhsa_reserve_flat_scratch 0
		.amdhsa_float_round_mode_32 0
		.amdhsa_float_round_mode_16_64 0
		.amdhsa_float_denorm_mode_32 3
		.amdhsa_float_denorm_mode_16_64 3
		.amdhsa_dx10_clamp 1
		.amdhsa_ieee_mode 1
		.amdhsa_fp16_overflow 0
		.amdhsa_tg_split 0
		.amdhsa_exception_fp_ieee_invalid_op 0
		.amdhsa_exception_fp_denorm_src 0
		.amdhsa_exception_fp_ieee_div_zero 0
		.amdhsa_exception_fp_ieee_overflow 0
		.amdhsa_exception_fp_ieee_underflow 0
		.amdhsa_exception_fp_ieee_inexact 0
		.amdhsa_exception_int_div_zero 0
	.end_amdhsa_kernel
	.section	.text._ZN7rocprim17ROCPRIM_400000_NS6detail17trampoline_kernelINS0_14default_configENS1_20scan_config_selectorIlEEZZNS1_9scan_implILNS1_25lookback_scan_determinismE0ELb0ELb0ES3_PlS8_lN6thrust23THRUST_200600_302600_NS4plusIvEElEEDaPvRmT3_T4_T5_mT6_P12ihipStream_tbENKUlT_T0_E_clISt17integral_constantIbLb0EESP_IbLb1EEEEDaSL_SM_EUlSL_E0_NS1_11comp_targetILNS1_3genE2ELNS1_11target_archE906ELNS1_3gpuE6ELNS1_3repE0EEENS1_30default_config_static_selectorELNS0_4arch9wavefront6targetE1EEEvT1_,"axG",@progbits,_ZN7rocprim17ROCPRIM_400000_NS6detail17trampoline_kernelINS0_14default_configENS1_20scan_config_selectorIlEEZZNS1_9scan_implILNS1_25lookback_scan_determinismE0ELb0ELb0ES3_PlS8_lN6thrust23THRUST_200600_302600_NS4plusIvEElEEDaPvRmT3_T4_T5_mT6_P12ihipStream_tbENKUlT_T0_E_clISt17integral_constantIbLb0EESP_IbLb1EEEEDaSL_SM_EUlSL_E0_NS1_11comp_targetILNS1_3genE2ELNS1_11target_archE906ELNS1_3gpuE6ELNS1_3repE0EEENS1_30default_config_static_selectorELNS0_4arch9wavefront6targetE1EEEvT1_,comdat
.Lfunc_end154:
	.size	_ZN7rocprim17ROCPRIM_400000_NS6detail17trampoline_kernelINS0_14default_configENS1_20scan_config_selectorIlEEZZNS1_9scan_implILNS1_25lookback_scan_determinismE0ELb0ELb0ES3_PlS8_lN6thrust23THRUST_200600_302600_NS4plusIvEElEEDaPvRmT3_T4_T5_mT6_P12ihipStream_tbENKUlT_T0_E_clISt17integral_constantIbLb0EESP_IbLb1EEEEDaSL_SM_EUlSL_E0_NS1_11comp_targetILNS1_3genE2ELNS1_11target_archE906ELNS1_3gpuE6ELNS1_3repE0EEENS1_30default_config_static_selectorELNS0_4arch9wavefront6targetE1EEEvT1_, .Lfunc_end154-_ZN7rocprim17ROCPRIM_400000_NS6detail17trampoline_kernelINS0_14default_configENS1_20scan_config_selectorIlEEZZNS1_9scan_implILNS1_25lookback_scan_determinismE0ELb0ELb0ES3_PlS8_lN6thrust23THRUST_200600_302600_NS4plusIvEElEEDaPvRmT3_T4_T5_mT6_P12ihipStream_tbENKUlT_T0_E_clISt17integral_constantIbLb0EESP_IbLb1EEEEDaSL_SM_EUlSL_E0_NS1_11comp_targetILNS1_3genE2ELNS1_11target_archE906ELNS1_3gpuE6ELNS1_3repE0EEENS1_30default_config_static_selectorELNS0_4arch9wavefront6targetE1EEEvT1_
                                        ; -- End function
	.section	.AMDGPU.csdata,"",@progbits
; Kernel info:
; codeLenInByte = 0
; NumSgprs: 4
; NumVgprs: 0
; NumAgprs: 0
; TotalNumVgprs: 0
; ScratchSize: 0
; MemoryBound: 0
; FloatMode: 240
; IeeeMode: 1
; LDSByteSize: 0 bytes/workgroup (compile time only)
; SGPRBlocks: 0
; VGPRBlocks: 0
; NumSGPRsForWavesPerEU: 4
; NumVGPRsForWavesPerEU: 1
; AccumOffset: 4
; Occupancy: 8
; WaveLimiterHint : 0
; COMPUTE_PGM_RSRC2:SCRATCH_EN: 0
; COMPUTE_PGM_RSRC2:USER_SGPR: 6
; COMPUTE_PGM_RSRC2:TRAP_HANDLER: 0
; COMPUTE_PGM_RSRC2:TGID_X_EN: 1
; COMPUTE_PGM_RSRC2:TGID_Y_EN: 0
; COMPUTE_PGM_RSRC2:TGID_Z_EN: 0
; COMPUTE_PGM_RSRC2:TIDIG_COMP_CNT: 0
; COMPUTE_PGM_RSRC3_GFX90A:ACCUM_OFFSET: 0
; COMPUTE_PGM_RSRC3_GFX90A:TG_SPLIT: 0
	.section	.text._ZN7rocprim17ROCPRIM_400000_NS6detail17trampoline_kernelINS0_14default_configENS1_20scan_config_selectorIlEEZZNS1_9scan_implILNS1_25lookback_scan_determinismE0ELb0ELb0ES3_PlS8_lN6thrust23THRUST_200600_302600_NS4plusIvEElEEDaPvRmT3_T4_T5_mT6_P12ihipStream_tbENKUlT_T0_E_clISt17integral_constantIbLb0EESP_IbLb1EEEEDaSL_SM_EUlSL_E0_NS1_11comp_targetILNS1_3genE10ELNS1_11target_archE1201ELNS1_3gpuE5ELNS1_3repE0EEENS1_30default_config_static_selectorELNS0_4arch9wavefront6targetE1EEEvT1_,"axG",@progbits,_ZN7rocprim17ROCPRIM_400000_NS6detail17trampoline_kernelINS0_14default_configENS1_20scan_config_selectorIlEEZZNS1_9scan_implILNS1_25lookback_scan_determinismE0ELb0ELb0ES3_PlS8_lN6thrust23THRUST_200600_302600_NS4plusIvEElEEDaPvRmT3_T4_T5_mT6_P12ihipStream_tbENKUlT_T0_E_clISt17integral_constantIbLb0EESP_IbLb1EEEEDaSL_SM_EUlSL_E0_NS1_11comp_targetILNS1_3genE10ELNS1_11target_archE1201ELNS1_3gpuE5ELNS1_3repE0EEENS1_30default_config_static_selectorELNS0_4arch9wavefront6targetE1EEEvT1_,comdat
	.protected	_ZN7rocprim17ROCPRIM_400000_NS6detail17trampoline_kernelINS0_14default_configENS1_20scan_config_selectorIlEEZZNS1_9scan_implILNS1_25lookback_scan_determinismE0ELb0ELb0ES3_PlS8_lN6thrust23THRUST_200600_302600_NS4plusIvEElEEDaPvRmT3_T4_T5_mT6_P12ihipStream_tbENKUlT_T0_E_clISt17integral_constantIbLb0EESP_IbLb1EEEEDaSL_SM_EUlSL_E0_NS1_11comp_targetILNS1_3genE10ELNS1_11target_archE1201ELNS1_3gpuE5ELNS1_3repE0EEENS1_30default_config_static_selectorELNS0_4arch9wavefront6targetE1EEEvT1_ ; -- Begin function _ZN7rocprim17ROCPRIM_400000_NS6detail17trampoline_kernelINS0_14default_configENS1_20scan_config_selectorIlEEZZNS1_9scan_implILNS1_25lookback_scan_determinismE0ELb0ELb0ES3_PlS8_lN6thrust23THRUST_200600_302600_NS4plusIvEElEEDaPvRmT3_T4_T5_mT6_P12ihipStream_tbENKUlT_T0_E_clISt17integral_constantIbLb0EESP_IbLb1EEEEDaSL_SM_EUlSL_E0_NS1_11comp_targetILNS1_3genE10ELNS1_11target_archE1201ELNS1_3gpuE5ELNS1_3repE0EEENS1_30default_config_static_selectorELNS0_4arch9wavefront6targetE1EEEvT1_
	.globl	_ZN7rocprim17ROCPRIM_400000_NS6detail17trampoline_kernelINS0_14default_configENS1_20scan_config_selectorIlEEZZNS1_9scan_implILNS1_25lookback_scan_determinismE0ELb0ELb0ES3_PlS8_lN6thrust23THRUST_200600_302600_NS4plusIvEElEEDaPvRmT3_T4_T5_mT6_P12ihipStream_tbENKUlT_T0_E_clISt17integral_constantIbLb0EESP_IbLb1EEEEDaSL_SM_EUlSL_E0_NS1_11comp_targetILNS1_3genE10ELNS1_11target_archE1201ELNS1_3gpuE5ELNS1_3repE0EEENS1_30default_config_static_selectorELNS0_4arch9wavefront6targetE1EEEvT1_
	.p2align	8
	.type	_ZN7rocprim17ROCPRIM_400000_NS6detail17trampoline_kernelINS0_14default_configENS1_20scan_config_selectorIlEEZZNS1_9scan_implILNS1_25lookback_scan_determinismE0ELb0ELb0ES3_PlS8_lN6thrust23THRUST_200600_302600_NS4plusIvEElEEDaPvRmT3_T4_T5_mT6_P12ihipStream_tbENKUlT_T0_E_clISt17integral_constantIbLb0EESP_IbLb1EEEEDaSL_SM_EUlSL_E0_NS1_11comp_targetILNS1_3genE10ELNS1_11target_archE1201ELNS1_3gpuE5ELNS1_3repE0EEENS1_30default_config_static_selectorELNS0_4arch9wavefront6targetE1EEEvT1_,@function
_ZN7rocprim17ROCPRIM_400000_NS6detail17trampoline_kernelINS0_14default_configENS1_20scan_config_selectorIlEEZZNS1_9scan_implILNS1_25lookback_scan_determinismE0ELb0ELb0ES3_PlS8_lN6thrust23THRUST_200600_302600_NS4plusIvEElEEDaPvRmT3_T4_T5_mT6_P12ihipStream_tbENKUlT_T0_E_clISt17integral_constantIbLb0EESP_IbLb1EEEEDaSL_SM_EUlSL_E0_NS1_11comp_targetILNS1_3genE10ELNS1_11target_archE1201ELNS1_3gpuE5ELNS1_3repE0EEENS1_30default_config_static_selectorELNS0_4arch9wavefront6targetE1EEEvT1_: ; @_ZN7rocprim17ROCPRIM_400000_NS6detail17trampoline_kernelINS0_14default_configENS1_20scan_config_selectorIlEEZZNS1_9scan_implILNS1_25lookback_scan_determinismE0ELb0ELb0ES3_PlS8_lN6thrust23THRUST_200600_302600_NS4plusIvEElEEDaPvRmT3_T4_T5_mT6_P12ihipStream_tbENKUlT_T0_E_clISt17integral_constantIbLb0EESP_IbLb1EEEEDaSL_SM_EUlSL_E0_NS1_11comp_targetILNS1_3genE10ELNS1_11target_archE1201ELNS1_3gpuE5ELNS1_3repE0EEENS1_30default_config_static_selectorELNS0_4arch9wavefront6targetE1EEEvT1_
; %bb.0:
	.section	.rodata,"a",@progbits
	.p2align	6, 0x0
	.amdhsa_kernel _ZN7rocprim17ROCPRIM_400000_NS6detail17trampoline_kernelINS0_14default_configENS1_20scan_config_selectorIlEEZZNS1_9scan_implILNS1_25lookback_scan_determinismE0ELb0ELb0ES3_PlS8_lN6thrust23THRUST_200600_302600_NS4plusIvEElEEDaPvRmT3_T4_T5_mT6_P12ihipStream_tbENKUlT_T0_E_clISt17integral_constantIbLb0EESP_IbLb1EEEEDaSL_SM_EUlSL_E0_NS1_11comp_targetILNS1_3genE10ELNS1_11target_archE1201ELNS1_3gpuE5ELNS1_3repE0EEENS1_30default_config_static_selectorELNS0_4arch9wavefront6targetE1EEEvT1_
		.amdhsa_group_segment_fixed_size 0
		.amdhsa_private_segment_fixed_size 0
		.amdhsa_kernarg_size 40
		.amdhsa_user_sgpr_count 6
		.amdhsa_user_sgpr_private_segment_buffer 1
		.amdhsa_user_sgpr_dispatch_ptr 0
		.amdhsa_user_sgpr_queue_ptr 0
		.amdhsa_user_sgpr_kernarg_segment_ptr 1
		.amdhsa_user_sgpr_dispatch_id 0
		.amdhsa_user_sgpr_flat_scratch_init 0
		.amdhsa_user_sgpr_kernarg_preload_length 0
		.amdhsa_user_sgpr_kernarg_preload_offset 0
		.amdhsa_user_sgpr_private_segment_size 0
		.amdhsa_uses_dynamic_stack 0
		.amdhsa_system_sgpr_private_segment_wavefront_offset 0
		.amdhsa_system_sgpr_workgroup_id_x 1
		.amdhsa_system_sgpr_workgroup_id_y 0
		.amdhsa_system_sgpr_workgroup_id_z 0
		.amdhsa_system_sgpr_workgroup_info 0
		.amdhsa_system_vgpr_workitem_id 0
		.amdhsa_next_free_vgpr 1
		.amdhsa_next_free_sgpr 0
		.amdhsa_accum_offset 4
		.amdhsa_reserve_vcc 0
		.amdhsa_reserve_flat_scratch 0
		.amdhsa_float_round_mode_32 0
		.amdhsa_float_round_mode_16_64 0
		.amdhsa_float_denorm_mode_32 3
		.amdhsa_float_denorm_mode_16_64 3
		.amdhsa_dx10_clamp 1
		.amdhsa_ieee_mode 1
		.amdhsa_fp16_overflow 0
		.amdhsa_tg_split 0
		.amdhsa_exception_fp_ieee_invalid_op 0
		.amdhsa_exception_fp_denorm_src 0
		.amdhsa_exception_fp_ieee_div_zero 0
		.amdhsa_exception_fp_ieee_overflow 0
		.amdhsa_exception_fp_ieee_underflow 0
		.amdhsa_exception_fp_ieee_inexact 0
		.amdhsa_exception_int_div_zero 0
	.end_amdhsa_kernel
	.section	.text._ZN7rocprim17ROCPRIM_400000_NS6detail17trampoline_kernelINS0_14default_configENS1_20scan_config_selectorIlEEZZNS1_9scan_implILNS1_25lookback_scan_determinismE0ELb0ELb0ES3_PlS8_lN6thrust23THRUST_200600_302600_NS4plusIvEElEEDaPvRmT3_T4_T5_mT6_P12ihipStream_tbENKUlT_T0_E_clISt17integral_constantIbLb0EESP_IbLb1EEEEDaSL_SM_EUlSL_E0_NS1_11comp_targetILNS1_3genE10ELNS1_11target_archE1201ELNS1_3gpuE5ELNS1_3repE0EEENS1_30default_config_static_selectorELNS0_4arch9wavefront6targetE1EEEvT1_,"axG",@progbits,_ZN7rocprim17ROCPRIM_400000_NS6detail17trampoline_kernelINS0_14default_configENS1_20scan_config_selectorIlEEZZNS1_9scan_implILNS1_25lookback_scan_determinismE0ELb0ELb0ES3_PlS8_lN6thrust23THRUST_200600_302600_NS4plusIvEElEEDaPvRmT3_T4_T5_mT6_P12ihipStream_tbENKUlT_T0_E_clISt17integral_constantIbLb0EESP_IbLb1EEEEDaSL_SM_EUlSL_E0_NS1_11comp_targetILNS1_3genE10ELNS1_11target_archE1201ELNS1_3gpuE5ELNS1_3repE0EEENS1_30default_config_static_selectorELNS0_4arch9wavefront6targetE1EEEvT1_,comdat
.Lfunc_end155:
	.size	_ZN7rocprim17ROCPRIM_400000_NS6detail17trampoline_kernelINS0_14default_configENS1_20scan_config_selectorIlEEZZNS1_9scan_implILNS1_25lookback_scan_determinismE0ELb0ELb0ES3_PlS8_lN6thrust23THRUST_200600_302600_NS4plusIvEElEEDaPvRmT3_T4_T5_mT6_P12ihipStream_tbENKUlT_T0_E_clISt17integral_constantIbLb0EESP_IbLb1EEEEDaSL_SM_EUlSL_E0_NS1_11comp_targetILNS1_3genE10ELNS1_11target_archE1201ELNS1_3gpuE5ELNS1_3repE0EEENS1_30default_config_static_selectorELNS0_4arch9wavefront6targetE1EEEvT1_, .Lfunc_end155-_ZN7rocprim17ROCPRIM_400000_NS6detail17trampoline_kernelINS0_14default_configENS1_20scan_config_selectorIlEEZZNS1_9scan_implILNS1_25lookback_scan_determinismE0ELb0ELb0ES3_PlS8_lN6thrust23THRUST_200600_302600_NS4plusIvEElEEDaPvRmT3_T4_T5_mT6_P12ihipStream_tbENKUlT_T0_E_clISt17integral_constantIbLb0EESP_IbLb1EEEEDaSL_SM_EUlSL_E0_NS1_11comp_targetILNS1_3genE10ELNS1_11target_archE1201ELNS1_3gpuE5ELNS1_3repE0EEENS1_30default_config_static_selectorELNS0_4arch9wavefront6targetE1EEEvT1_
                                        ; -- End function
	.section	.AMDGPU.csdata,"",@progbits
; Kernel info:
; codeLenInByte = 0
; NumSgprs: 4
; NumVgprs: 0
; NumAgprs: 0
; TotalNumVgprs: 0
; ScratchSize: 0
; MemoryBound: 0
; FloatMode: 240
; IeeeMode: 1
; LDSByteSize: 0 bytes/workgroup (compile time only)
; SGPRBlocks: 0
; VGPRBlocks: 0
; NumSGPRsForWavesPerEU: 4
; NumVGPRsForWavesPerEU: 1
; AccumOffset: 4
; Occupancy: 8
; WaveLimiterHint : 0
; COMPUTE_PGM_RSRC2:SCRATCH_EN: 0
; COMPUTE_PGM_RSRC2:USER_SGPR: 6
; COMPUTE_PGM_RSRC2:TRAP_HANDLER: 0
; COMPUTE_PGM_RSRC2:TGID_X_EN: 1
; COMPUTE_PGM_RSRC2:TGID_Y_EN: 0
; COMPUTE_PGM_RSRC2:TGID_Z_EN: 0
; COMPUTE_PGM_RSRC2:TIDIG_COMP_CNT: 0
; COMPUTE_PGM_RSRC3_GFX90A:ACCUM_OFFSET: 0
; COMPUTE_PGM_RSRC3_GFX90A:TG_SPLIT: 0
	.section	.text._ZN7rocprim17ROCPRIM_400000_NS6detail17trampoline_kernelINS0_14default_configENS1_20scan_config_selectorIlEEZZNS1_9scan_implILNS1_25lookback_scan_determinismE0ELb0ELb0ES3_PlS8_lN6thrust23THRUST_200600_302600_NS4plusIvEElEEDaPvRmT3_T4_T5_mT6_P12ihipStream_tbENKUlT_T0_E_clISt17integral_constantIbLb0EESP_IbLb1EEEEDaSL_SM_EUlSL_E0_NS1_11comp_targetILNS1_3genE10ELNS1_11target_archE1200ELNS1_3gpuE4ELNS1_3repE0EEENS1_30default_config_static_selectorELNS0_4arch9wavefront6targetE1EEEvT1_,"axG",@progbits,_ZN7rocprim17ROCPRIM_400000_NS6detail17trampoline_kernelINS0_14default_configENS1_20scan_config_selectorIlEEZZNS1_9scan_implILNS1_25lookback_scan_determinismE0ELb0ELb0ES3_PlS8_lN6thrust23THRUST_200600_302600_NS4plusIvEElEEDaPvRmT3_T4_T5_mT6_P12ihipStream_tbENKUlT_T0_E_clISt17integral_constantIbLb0EESP_IbLb1EEEEDaSL_SM_EUlSL_E0_NS1_11comp_targetILNS1_3genE10ELNS1_11target_archE1200ELNS1_3gpuE4ELNS1_3repE0EEENS1_30default_config_static_selectorELNS0_4arch9wavefront6targetE1EEEvT1_,comdat
	.protected	_ZN7rocprim17ROCPRIM_400000_NS6detail17trampoline_kernelINS0_14default_configENS1_20scan_config_selectorIlEEZZNS1_9scan_implILNS1_25lookback_scan_determinismE0ELb0ELb0ES3_PlS8_lN6thrust23THRUST_200600_302600_NS4plusIvEElEEDaPvRmT3_T4_T5_mT6_P12ihipStream_tbENKUlT_T0_E_clISt17integral_constantIbLb0EESP_IbLb1EEEEDaSL_SM_EUlSL_E0_NS1_11comp_targetILNS1_3genE10ELNS1_11target_archE1200ELNS1_3gpuE4ELNS1_3repE0EEENS1_30default_config_static_selectorELNS0_4arch9wavefront6targetE1EEEvT1_ ; -- Begin function _ZN7rocprim17ROCPRIM_400000_NS6detail17trampoline_kernelINS0_14default_configENS1_20scan_config_selectorIlEEZZNS1_9scan_implILNS1_25lookback_scan_determinismE0ELb0ELb0ES3_PlS8_lN6thrust23THRUST_200600_302600_NS4plusIvEElEEDaPvRmT3_T4_T5_mT6_P12ihipStream_tbENKUlT_T0_E_clISt17integral_constantIbLb0EESP_IbLb1EEEEDaSL_SM_EUlSL_E0_NS1_11comp_targetILNS1_3genE10ELNS1_11target_archE1200ELNS1_3gpuE4ELNS1_3repE0EEENS1_30default_config_static_selectorELNS0_4arch9wavefront6targetE1EEEvT1_
	.globl	_ZN7rocprim17ROCPRIM_400000_NS6detail17trampoline_kernelINS0_14default_configENS1_20scan_config_selectorIlEEZZNS1_9scan_implILNS1_25lookback_scan_determinismE0ELb0ELb0ES3_PlS8_lN6thrust23THRUST_200600_302600_NS4plusIvEElEEDaPvRmT3_T4_T5_mT6_P12ihipStream_tbENKUlT_T0_E_clISt17integral_constantIbLb0EESP_IbLb1EEEEDaSL_SM_EUlSL_E0_NS1_11comp_targetILNS1_3genE10ELNS1_11target_archE1200ELNS1_3gpuE4ELNS1_3repE0EEENS1_30default_config_static_selectorELNS0_4arch9wavefront6targetE1EEEvT1_
	.p2align	8
	.type	_ZN7rocprim17ROCPRIM_400000_NS6detail17trampoline_kernelINS0_14default_configENS1_20scan_config_selectorIlEEZZNS1_9scan_implILNS1_25lookback_scan_determinismE0ELb0ELb0ES3_PlS8_lN6thrust23THRUST_200600_302600_NS4plusIvEElEEDaPvRmT3_T4_T5_mT6_P12ihipStream_tbENKUlT_T0_E_clISt17integral_constantIbLb0EESP_IbLb1EEEEDaSL_SM_EUlSL_E0_NS1_11comp_targetILNS1_3genE10ELNS1_11target_archE1200ELNS1_3gpuE4ELNS1_3repE0EEENS1_30default_config_static_selectorELNS0_4arch9wavefront6targetE1EEEvT1_,@function
_ZN7rocprim17ROCPRIM_400000_NS6detail17trampoline_kernelINS0_14default_configENS1_20scan_config_selectorIlEEZZNS1_9scan_implILNS1_25lookback_scan_determinismE0ELb0ELb0ES3_PlS8_lN6thrust23THRUST_200600_302600_NS4plusIvEElEEDaPvRmT3_T4_T5_mT6_P12ihipStream_tbENKUlT_T0_E_clISt17integral_constantIbLb0EESP_IbLb1EEEEDaSL_SM_EUlSL_E0_NS1_11comp_targetILNS1_3genE10ELNS1_11target_archE1200ELNS1_3gpuE4ELNS1_3repE0EEENS1_30default_config_static_selectorELNS0_4arch9wavefront6targetE1EEEvT1_: ; @_ZN7rocprim17ROCPRIM_400000_NS6detail17trampoline_kernelINS0_14default_configENS1_20scan_config_selectorIlEEZZNS1_9scan_implILNS1_25lookback_scan_determinismE0ELb0ELb0ES3_PlS8_lN6thrust23THRUST_200600_302600_NS4plusIvEElEEDaPvRmT3_T4_T5_mT6_P12ihipStream_tbENKUlT_T0_E_clISt17integral_constantIbLb0EESP_IbLb1EEEEDaSL_SM_EUlSL_E0_NS1_11comp_targetILNS1_3genE10ELNS1_11target_archE1200ELNS1_3gpuE4ELNS1_3repE0EEENS1_30default_config_static_selectorELNS0_4arch9wavefront6targetE1EEEvT1_
; %bb.0:
	.section	.rodata,"a",@progbits
	.p2align	6, 0x0
	.amdhsa_kernel _ZN7rocprim17ROCPRIM_400000_NS6detail17trampoline_kernelINS0_14default_configENS1_20scan_config_selectorIlEEZZNS1_9scan_implILNS1_25lookback_scan_determinismE0ELb0ELb0ES3_PlS8_lN6thrust23THRUST_200600_302600_NS4plusIvEElEEDaPvRmT3_T4_T5_mT6_P12ihipStream_tbENKUlT_T0_E_clISt17integral_constantIbLb0EESP_IbLb1EEEEDaSL_SM_EUlSL_E0_NS1_11comp_targetILNS1_3genE10ELNS1_11target_archE1200ELNS1_3gpuE4ELNS1_3repE0EEENS1_30default_config_static_selectorELNS0_4arch9wavefront6targetE1EEEvT1_
		.amdhsa_group_segment_fixed_size 0
		.amdhsa_private_segment_fixed_size 0
		.amdhsa_kernarg_size 40
		.amdhsa_user_sgpr_count 6
		.amdhsa_user_sgpr_private_segment_buffer 1
		.amdhsa_user_sgpr_dispatch_ptr 0
		.amdhsa_user_sgpr_queue_ptr 0
		.amdhsa_user_sgpr_kernarg_segment_ptr 1
		.amdhsa_user_sgpr_dispatch_id 0
		.amdhsa_user_sgpr_flat_scratch_init 0
		.amdhsa_user_sgpr_kernarg_preload_length 0
		.amdhsa_user_sgpr_kernarg_preload_offset 0
		.amdhsa_user_sgpr_private_segment_size 0
		.amdhsa_uses_dynamic_stack 0
		.amdhsa_system_sgpr_private_segment_wavefront_offset 0
		.amdhsa_system_sgpr_workgroup_id_x 1
		.amdhsa_system_sgpr_workgroup_id_y 0
		.amdhsa_system_sgpr_workgroup_id_z 0
		.amdhsa_system_sgpr_workgroup_info 0
		.amdhsa_system_vgpr_workitem_id 0
		.amdhsa_next_free_vgpr 1
		.amdhsa_next_free_sgpr 0
		.amdhsa_accum_offset 4
		.amdhsa_reserve_vcc 0
		.amdhsa_reserve_flat_scratch 0
		.amdhsa_float_round_mode_32 0
		.amdhsa_float_round_mode_16_64 0
		.amdhsa_float_denorm_mode_32 3
		.amdhsa_float_denorm_mode_16_64 3
		.amdhsa_dx10_clamp 1
		.amdhsa_ieee_mode 1
		.amdhsa_fp16_overflow 0
		.amdhsa_tg_split 0
		.amdhsa_exception_fp_ieee_invalid_op 0
		.amdhsa_exception_fp_denorm_src 0
		.amdhsa_exception_fp_ieee_div_zero 0
		.amdhsa_exception_fp_ieee_overflow 0
		.amdhsa_exception_fp_ieee_underflow 0
		.amdhsa_exception_fp_ieee_inexact 0
		.amdhsa_exception_int_div_zero 0
	.end_amdhsa_kernel
	.section	.text._ZN7rocprim17ROCPRIM_400000_NS6detail17trampoline_kernelINS0_14default_configENS1_20scan_config_selectorIlEEZZNS1_9scan_implILNS1_25lookback_scan_determinismE0ELb0ELb0ES3_PlS8_lN6thrust23THRUST_200600_302600_NS4plusIvEElEEDaPvRmT3_T4_T5_mT6_P12ihipStream_tbENKUlT_T0_E_clISt17integral_constantIbLb0EESP_IbLb1EEEEDaSL_SM_EUlSL_E0_NS1_11comp_targetILNS1_3genE10ELNS1_11target_archE1200ELNS1_3gpuE4ELNS1_3repE0EEENS1_30default_config_static_selectorELNS0_4arch9wavefront6targetE1EEEvT1_,"axG",@progbits,_ZN7rocprim17ROCPRIM_400000_NS6detail17trampoline_kernelINS0_14default_configENS1_20scan_config_selectorIlEEZZNS1_9scan_implILNS1_25lookback_scan_determinismE0ELb0ELb0ES3_PlS8_lN6thrust23THRUST_200600_302600_NS4plusIvEElEEDaPvRmT3_T4_T5_mT6_P12ihipStream_tbENKUlT_T0_E_clISt17integral_constantIbLb0EESP_IbLb1EEEEDaSL_SM_EUlSL_E0_NS1_11comp_targetILNS1_3genE10ELNS1_11target_archE1200ELNS1_3gpuE4ELNS1_3repE0EEENS1_30default_config_static_selectorELNS0_4arch9wavefront6targetE1EEEvT1_,comdat
.Lfunc_end156:
	.size	_ZN7rocprim17ROCPRIM_400000_NS6detail17trampoline_kernelINS0_14default_configENS1_20scan_config_selectorIlEEZZNS1_9scan_implILNS1_25lookback_scan_determinismE0ELb0ELb0ES3_PlS8_lN6thrust23THRUST_200600_302600_NS4plusIvEElEEDaPvRmT3_T4_T5_mT6_P12ihipStream_tbENKUlT_T0_E_clISt17integral_constantIbLb0EESP_IbLb1EEEEDaSL_SM_EUlSL_E0_NS1_11comp_targetILNS1_3genE10ELNS1_11target_archE1200ELNS1_3gpuE4ELNS1_3repE0EEENS1_30default_config_static_selectorELNS0_4arch9wavefront6targetE1EEEvT1_, .Lfunc_end156-_ZN7rocprim17ROCPRIM_400000_NS6detail17trampoline_kernelINS0_14default_configENS1_20scan_config_selectorIlEEZZNS1_9scan_implILNS1_25lookback_scan_determinismE0ELb0ELb0ES3_PlS8_lN6thrust23THRUST_200600_302600_NS4plusIvEElEEDaPvRmT3_T4_T5_mT6_P12ihipStream_tbENKUlT_T0_E_clISt17integral_constantIbLb0EESP_IbLb1EEEEDaSL_SM_EUlSL_E0_NS1_11comp_targetILNS1_3genE10ELNS1_11target_archE1200ELNS1_3gpuE4ELNS1_3repE0EEENS1_30default_config_static_selectorELNS0_4arch9wavefront6targetE1EEEvT1_
                                        ; -- End function
	.section	.AMDGPU.csdata,"",@progbits
; Kernel info:
; codeLenInByte = 0
; NumSgprs: 4
; NumVgprs: 0
; NumAgprs: 0
; TotalNumVgprs: 0
; ScratchSize: 0
; MemoryBound: 0
; FloatMode: 240
; IeeeMode: 1
; LDSByteSize: 0 bytes/workgroup (compile time only)
; SGPRBlocks: 0
; VGPRBlocks: 0
; NumSGPRsForWavesPerEU: 4
; NumVGPRsForWavesPerEU: 1
; AccumOffset: 4
; Occupancy: 8
; WaveLimiterHint : 0
; COMPUTE_PGM_RSRC2:SCRATCH_EN: 0
; COMPUTE_PGM_RSRC2:USER_SGPR: 6
; COMPUTE_PGM_RSRC2:TRAP_HANDLER: 0
; COMPUTE_PGM_RSRC2:TGID_X_EN: 1
; COMPUTE_PGM_RSRC2:TGID_Y_EN: 0
; COMPUTE_PGM_RSRC2:TGID_Z_EN: 0
; COMPUTE_PGM_RSRC2:TIDIG_COMP_CNT: 0
; COMPUTE_PGM_RSRC3_GFX90A:ACCUM_OFFSET: 0
; COMPUTE_PGM_RSRC3_GFX90A:TG_SPLIT: 0
	.section	.text._ZN7rocprim17ROCPRIM_400000_NS6detail17trampoline_kernelINS0_14default_configENS1_20scan_config_selectorIlEEZZNS1_9scan_implILNS1_25lookback_scan_determinismE0ELb0ELb0ES3_PlS8_lN6thrust23THRUST_200600_302600_NS4plusIvEElEEDaPvRmT3_T4_T5_mT6_P12ihipStream_tbENKUlT_T0_E_clISt17integral_constantIbLb0EESP_IbLb1EEEEDaSL_SM_EUlSL_E0_NS1_11comp_targetILNS1_3genE9ELNS1_11target_archE1100ELNS1_3gpuE3ELNS1_3repE0EEENS1_30default_config_static_selectorELNS0_4arch9wavefront6targetE1EEEvT1_,"axG",@progbits,_ZN7rocprim17ROCPRIM_400000_NS6detail17trampoline_kernelINS0_14default_configENS1_20scan_config_selectorIlEEZZNS1_9scan_implILNS1_25lookback_scan_determinismE0ELb0ELb0ES3_PlS8_lN6thrust23THRUST_200600_302600_NS4plusIvEElEEDaPvRmT3_T4_T5_mT6_P12ihipStream_tbENKUlT_T0_E_clISt17integral_constantIbLb0EESP_IbLb1EEEEDaSL_SM_EUlSL_E0_NS1_11comp_targetILNS1_3genE9ELNS1_11target_archE1100ELNS1_3gpuE3ELNS1_3repE0EEENS1_30default_config_static_selectorELNS0_4arch9wavefront6targetE1EEEvT1_,comdat
	.protected	_ZN7rocprim17ROCPRIM_400000_NS6detail17trampoline_kernelINS0_14default_configENS1_20scan_config_selectorIlEEZZNS1_9scan_implILNS1_25lookback_scan_determinismE0ELb0ELb0ES3_PlS8_lN6thrust23THRUST_200600_302600_NS4plusIvEElEEDaPvRmT3_T4_T5_mT6_P12ihipStream_tbENKUlT_T0_E_clISt17integral_constantIbLb0EESP_IbLb1EEEEDaSL_SM_EUlSL_E0_NS1_11comp_targetILNS1_3genE9ELNS1_11target_archE1100ELNS1_3gpuE3ELNS1_3repE0EEENS1_30default_config_static_selectorELNS0_4arch9wavefront6targetE1EEEvT1_ ; -- Begin function _ZN7rocprim17ROCPRIM_400000_NS6detail17trampoline_kernelINS0_14default_configENS1_20scan_config_selectorIlEEZZNS1_9scan_implILNS1_25lookback_scan_determinismE0ELb0ELb0ES3_PlS8_lN6thrust23THRUST_200600_302600_NS4plusIvEElEEDaPvRmT3_T4_T5_mT6_P12ihipStream_tbENKUlT_T0_E_clISt17integral_constantIbLb0EESP_IbLb1EEEEDaSL_SM_EUlSL_E0_NS1_11comp_targetILNS1_3genE9ELNS1_11target_archE1100ELNS1_3gpuE3ELNS1_3repE0EEENS1_30default_config_static_selectorELNS0_4arch9wavefront6targetE1EEEvT1_
	.globl	_ZN7rocprim17ROCPRIM_400000_NS6detail17trampoline_kernelINS0_14default_configENS1_20scan_config_selectorIlEEZZNS1_9scan_implILNS1_25lookback_scan_determinismE0ELb0ELb0ES3_PlS8_lN6thrust23THRUST_200600_302600_NS4plusIvEElEEDaPvRmT3_T4_T5_mT6_P12ihipStream_tbENKUlT_T0_E_clISt17integral_constantIbLb0EESP_IbLb1EEEEDaSL_SM_EUlSL_E0_NS1_11comp_targetILNS1_3genE9ELNS1_11target_archE1100ELNS1_3gpuE3ELNS1_3repE0EEENS1_30default_config_static_selectorELNS0_4arch9wavefront6targetE1EEEvT1_
	.p2align	8
	.type	_ZN7rocprim17ROCPRIM_400000_NS6detail17trampoline_kernelINS0_14default_configENS1_20scan_config_selectorIlEEZZNS1_9scan_implILNS1_25lookback_scan_determinismE0ELb0ELb0ES3_PlS8_lN6thrust23THRUST_200600_302600_NS4plusIvEElEEDaPvRmT3_T4_T5_mT6_P12ihipStream_tbENKUlT_T0_E_clISt17integral_constantIbLb0EESP_IbLb1EEEEDaSL_SM_EUlSL_E0_NS1_11comp_targetILNS1_3genE9ELNS1_11target_archE1100ELNS1_3gpuE3ELNS1_3repE0EEENS1_30default_config_static_selectorELNS0_4arch9wavefront6targetE1EEEvT1_,@function
_ZN7rocprim17ROCPRIM_400000_NS6detail17trampoline_kernelINS0_14default_configENS1_20scan_config_selectorIlEEZZNS1_9scan_implILNS1_25lookback_scan_determinismE0ELb0ELb0ES3_PlS8_lN6thrust23THRUST_200600_302600_NS4plusIvEElEEDaPvRmT3_T4_T5_mT6_P12ihipStream_tbENKUlT_T0_E_clISt17integral_constantIbLb0EESP_IbLb1EEEEDaSL_SM_EUlSL_E0_NS1_11comp_targetILNS1_3genE9ELNS1_11target_archE1100ELNS1_3gpuE3ELNS1_3repE0EEENS1_30default_config_static_selectorELNS0_4arch9wavefront6targetE1EEEvT1_: ; @_ZN7rocprim17ROCPRIM_400000_NS6detail17trampoline_kernelINS0_14default_configENS1_20scan_config_selectorIlEEZZNS1_9scan_implILNS1_25lookback_scan_determinismE0ELb0ELb0ES3_PlS8_lN6thrust23THRUST_200600_302600_NS4plusIvEElEEDaPvRmT3_T4_T5_mT6_P12ihipStream_tbENKUlT_T0_E_clISt17integral_constantIbLb0EESP_IbLb1EEEEDaSL_SM_EUlSL_E0_NS1_11comp_targetILNS1_3genE9ELNS1_11target_archE1100ELNS1_3gpuE3ELNS1_3repE0EEENS1_30default_config_static_selectorELNS0_4arch9wavefront6targetE1EEEvT1_
; %bb.0:
	.section	.rodata,"a",@progbits
	.p2align	6, 0x0
	.amdhsa_kernel _ZN7rocprim17ROCPRIM_400000_NS6detail17trampoline_kernelINS0_14default_configENS1_20scan_config_selectorIlEEZZNS1_9scan_implILNS1_25lookback_scan_determinismE0ELb0ELb0ES3_PlS8_lN6thrust23THRUST_200600_302600_NS4plusIvEElEEDaPvRmT3_T4_T5_mT6_P12ihipStream_tbENKUlT_T0_E_clISt17integral_constantIbLb0EESP_IbLb1EEEEDaSL_SM_EUlSL_E0_NS1_11comp_targetILNS1_3genE9ELNS1_11target_archE1100ELNS1_3gpuE3ELNS1_3repE0EEENS1_30default_config_static_selectorELNS0_4arch9wavefront6targetE1EEEvT1_
		.amdhsa_group_segment_fixed_size 0
		.amdhsa_private_segment_fixed_size 0
		.amdhsa_kernarg_size 40
		.amdhsa_user_sgpr_count 6
		.amdhsa_user_sgpr_private_segment_buffer 1
		.amdhsa_user_sgpr_dispatch_ptr 0
		.amdhsa_user_sgpr_queue_ptr 0
		.amdhsa_user_sgpr_kernarg_segment_ptr 1
		.amdhsa_user_sgpr_dispatch_id 0
		.amdhsa_user_sgpr_flat_scratch_init 0
		.amdhsa_user_sgpr_kernarg_preload_length 0
		.amdhsa_user_sgpr_kernarg_preload_offset 0
		.amdhsa_user_sgpr_private_segment_size 0
		.amdhsa_uses_dynamic_stack 0
		.amdhsa_system_sgpr_private_segment_wavefront_offset 0
		.amdhsa_system_sgpr_workgroup_id_x 1
		.amdhsa_system_sgpr_workgroup_id_y 0
		.amdhsa_system_sgpr_workgroup_id_z 0
		.amdhsa_system_sgpr_workgroup_info 0
		.amdhsa_system_vgpr_workitem_id 0
		.amdhsa_next_free_vgpr 1
		.amdhsa_next_free_sgpr 0
		.amdhsa_accum_offset 4
		.amdhsa_reserve_vcc 0
		.amdhsa_reserve_flat_scratch 0
		.amdhsa_float_round_mode_32 0
		.amdhsa_float_round_mode_16_64 0
		.amdhsa_float_denorm_mode_32 3
		.amdhsa_float_denorm_mode_16_64 3
		.amdhsa_dx10_clamp 1
		.amdhsa_ieee_mode 1
		.amdhsa_fp16_overflow 0
		.amdhsa_tg_split 0
		.amdhsa_exception_fp_ieee_invalid_op 0
		.amdhsa_exception_fp_denorm_src 0
		.amdhsa_exception_fp_ieee_div_zero 0
		.amdhsa_exception_fp_ieee_overflow 0
		.amdhsa_exception_fp_ieee_underflow 0
		.amdhsa_exception_fp_ieee_inexact 0
		.amdhsa_exception_int_div_zero 0
	.end_amdhsa_kernel
	.section	.text._ZN7rocprim17ROCPRIM_400000_NS6detail17trampoline_kernelINS0_14default_configENS1_20scan_config_selectorIlEEZZNS1_9scan_implILNS1_25lookback_scan_determinismE0ELb0ELb0ES3_PlS8_lN6thrust23THRUST_200600_302600_NS4plusIvEElEEDaPvRmT3_T4_T5_mT6_P12ihipStream_tbENKUlT_T0_E_clISt17integral_constantIbLb0EESP_IbLb1EEEEDaSL_SM_EUlSL_E0_NS1_11comp_targetILNS1_3genE9ELNS1_11target_archE1100ELNS1_3gpuE3ELNS1_3repE0EEENS1_30default_config_static_selectorELNS0_4arch9wavefront6targetE1EEEvT1_,"axG",@progbits,_ZN7rocprim17ROCPRIM_400000_NS6detail17trampoline_kernelINS0_14default_configENS1_20scan_config_selectorIlEEZZNS1_9scan_implILNS1_25lookback_scan_determinismE0ELb0ELb0ES3_PlS8_lN6thrust23THRUST_200600_302600_NS4plusIvEElEEDaPvRmT3_T4_T5_mT6_P12ihipStream_tbENKUlT_T0_E_clISt17integral_constantIbLb0EESP_IbLb1EEEEDaSL_SM_EUlSL_E0_NS1_11comp_targetILNS1_3genE9ELNS1_11target_archE1100ELNS1_3gpuE3ELNS1_3repE0EEENS1_30default_config_static_selectorELNS0_4arch9wavefront6targetE1EEEvT1_,comdat
.Lfunc_end157:
	.size	_ZN7rocprim17ROCPRIM_400000_NS6detail17trampoline_kernelINS0_14default_configENS1_20scan_config_selectorIlEEZZNS1_9scan_implILNS1_25lookback_scan_determinismE0ELb0ELb0ES3_PlS8_lN6thrust23THRUST_200600_302600_NS4plusIvEElEEDaPvRmT3_T4_T5_mT6_P12ihipStream_tbENKUlT_T0_E_clISt17integral_constantIbLb0EESP_IbLb1EEEEDaSL_SM_EUlSL_E0_NS1_11comp_targetILNS1_3genE9ELNS1_11target_archE1100ELNS1_3gpuE3ELNS1_3repE0EEENS1_30default_config_static_selectorELNS0_4arch9wavefront6targetE1EEEvT1_, .Lfunc_end157-_ZN7rocprim17ROCPRIM_400000_NS6detail17trampoline_kernelINS0_14default_configENS1_20scan_config_selectorIlEEZZNS1_9scan_implILNS1_25lookback_scan_determinismE0ELb0ELb0ES3_PlS8_lN6thrust23THRUST_200600_302600_NS4plusIvEElEEDaPvRmT3_T4_T5_mT6_P12ihipStream_tbENKUlT_T0_E_clISt17integral_constantIbLb0EESP_IbLb1EEEEDaSL_SM_EUlSL_E0_NS1_11comp_targetILNS1_3genE9ELNS1_11target_archE1100ELNS1_3gpuE3ELNS1_3repE0EEENS1_30default_config_static_selectorELNS0_4arch9wavefront6targetE1EEEvT1_
                                        ; -- End function
	.section	.AMDGPU.csdata,"",@progbits
; Kernel info:
; codeLenInByte = 0
; NumSgprs: 4
; NumVgprs: 0
; NumAgprs: 0
; TotalNumVgprs: 0
; ScratchSize: 0
; MemoryBound: 0
; FloatMode: 240
; IeeeMode: 1
; LDSByteSize: 0 bytes/workgroup (compile time only)
; SGPRBlocks: 0
; VGPRBlocks: 0
; NumSGPRsForWavesPerEU: 4
; NumVGPRsForWavesPerEU: 1
; AccumOffset: 4
; Occupancy: 8
; WaveLimiterHint : 0
; COMPUTE_PGM_RSRC2:SCRATCH_EN: 0
; COMPUTE_PGM_RSRC2:USER_SGPR: 6
; COMPUTE_PGM_RSRC2:TRAP_HANDLER: 0
; COMPUTE_PGM_RSRC2:TGID_X_EN: 1
; COMPUTE_PGM_RSRC2:TGID_Y_EN: 0
; COMPUTE_PGM_RSRC2:TGID_Z_EN: 0
; COMPUTE_PGM_RSRC2:TIDIG_COMP_CNT: 0
; COMPUTE_PGM_RSRC3_GFX90A:ACCUM_OFFSET: 0
; COMPUTE_PGM_RSRC3_GFX90A:TG_SPLIT: 0
	.section	.text._ZN7rocprim17ROCPRIM_400000_NS6detail17trampoline_kernelINS0_14default_configENS1_20scan_config_selectorIlEEZZNS1_9scan_implILNS1_25lookback_scan_determinismE0ELb0ELb0ES3_PlS8_lN6thrust23THRUST_200600_302600_NS4plusIvEElEEDaPvRmT3_T4_T5_mT6_P12ihipStream_tbENKUlT_T0_E_clISt17integral_constantIbLb0EESP_IbLb1EEEEDaSL_SM_EUlSL_E0_NS1_11comp_targetILNS1_3genE8ELNS1_11target_archE1030ELNS1_3gpuE2ELNS1_3repE0EEENS1_30default_config_static_selectorELNS0_4arch9wavefront6targetE1EEEvT1_,"axG",@progbits,_ZN7rocprim17ROCPRIM_400000_NS6detail17trampoline_kernelINS0_14default_configENS1_20scan_config_selectorIlEEZZNS1_9scan_implILNS1_25lookback_scan_determinismE0ELb0ELb0ES3_PlS8_lN6thrust23THRUST_200600_302600_NS4plusIvEElEEDaPvRmT3_T4_T5_mT6_P12ihipStream_tbENKUlT_T0_E_clISt17integral_constantIbLb0EESP_IbLb1EEEEDaSL_SM_EUlSL_E0_NS1_11comp_targetILNS1_3genE8ELNS1_11target_archE1030ELNS1_3gpuE2ELNS1_3repE0EEENS1_30default_config_static_selectorELNS0_4arch9wavefront6targetE1EEEvT1_,comdat
	.protected	_ZN7rocprim17ROCPRIM_400000_NS6detail17trampoline_kernelINS0_14default_configENS1_20scan_config_selectorIlEEZZNS1_9scan_implILNS1_25lookback_scan_determinismE0ELb0ELb0ES3_PlS8_lN6thrust23THRUST_200600_302600_NS4plusIvEElEEDaPvRmT3_T4_T5_mT6_P12ihipStream_tbENKUlT_T0_E_clISt17integral_constantIbLb0EESP_IbLb1EEEEDaSL_SM_EUlSL_E0_NS1_11comp_targetILNS1_3genE8ELNS1_11target_archE1030ELNS1_3gpuE2ELNS1_3repE0EEENS1_30default_config_static_selectorELNS0_4arch9wavefront6targetE1EEEvT1_ ; -- Begin function _ZN7rocprim17ROCPRIM_400000_NS6detail17trampoline_kernelINS0_14default_configENS1_20scan_config_selectorIlEEZZNS1_9scan_implILNS1_25lookback_scan_determinismE0ELb0ELb0ES3_PlS8_lN6thrust23THRUST_200600_302600_NS4plusIvEElEEDaPvRmT3_T4_T5_mT6_P12ihipStream_tbENKUlT_T0_E_clISt17integral_constantIbLb0EESP_IbLb1EEEEDaSL_SM_EUlSL_E0_NS1_11comp_targetILNS1_3genE8ELNS1_11target_archE1030ELNS1_3gpuE2ELNS1_3repE0EEENS1_30default_config_static_selectorELNS0_4arch9wavefront6targetE1EEEvT1_
	.globl	_ZN7rocprim17ROCPRIM_400000_NS6detail17trampoline_kernelINS0_14default_configENS1_20scan_config_selectorIlEEZZNS1_9scan_implILNS1_25lookback_scan_determinismE0ELb0ELb0ES3_PlS8_lN6thrust23THRUST_200600_302600_NS4plusIvEElEEDaPvRmT3_T4_T5_mT6_P12ihipStream_tbENKUlT_T0_E_clISt17integral_constantIbLb0EESP_IbLb1EEEEDaSL_SM_EUlSL_E0_NS1_11comp_targetILNS1_3genE8ELNS1_11target_archE1030ELNS1_3gpuE2ELNS1_3repE0EEENS1_30default_config_static_selectorELNS0_4arch9wavefront6targetE1EEEvT1_
	.p2align	8
	.type	_ZN7rocprim17ROCPRIM_400000_NS6detail17trampoline_kernelINS0_14default_configENS1_20scan_config_selectorIlEEZZNS1_9scan_implILNS1_25lookback_scan_determinismE0ELb0ELb0ES3_PlS8_lN6thrust23THRUST_200600_302600_NS4plusIvEElEEDaPvRmT3_T4_T5_mT6_P12ihipStream_tbENKUlT_T0_E_clISt17integral_constantIbLb0EESP_IbLb1EEEEDaSL_SM_EUlSL_E0_NS1_11comp_targetILNS1_3genE8ELNS1_11target_archE1030ELNS1_3gpuE2ELNS1_3repE0EEENS1_30default_config_static_selectorELNS0_4arch9wavefront6targetE1EEEvT1_,@function
_ZN7rocprim17ROCPRIM_400000_NS6detail17trampoline_kernelINS0_14default_configENS1_20scan_config_selectorIlEEZZNS1_9scan_implILNS1_25lookback_scan_determinismE0ELb0ELb0ES3_PlS8_lN6thrust23THRUST_200600_302600_NS4plusIvEElEEDaPvRmT3_T4_T5_mT6_P12ihipStream_tbENKUlT_T0_E_clISt17integral_constantIbLb0EESP_IbLb1EEEEDaSL_SM_EUlSL_E0_NS1_11comp_targetILNS1_3genE8ELNS1_11target_archE1030ELNS1_3gpuE2ELNS1_3repE0EEENS1_30default_config_static_selectorELNS0_4arch9wavefront6targetE1EEEvT1_: ; @_ZN7rocprim17ROCPRIM_400000_NS6detail17trampoline_kernelINS0_14default_configENS1_20scan_config_selectorIlEEZZNS1_9scan_implILNS1_25lookback_scan_determinismE0ELb0ELb0ES3_PlS8_lN6thrust23THRUST_200600_302600_NS4plusIvEElEEDaPvRmT3_T4_T5_mT6_P12ihipStream_tbENKUlT_T0_E_clISt17integral_constantIbLb0EESP_IbLb1EEEEDaSL_SM_EUlSL_E0_NS1_11comp_targetILNS1_3genE8ELNS1_11target_archE1030ELNS1_3gpuE2ELNS1_3repE0EEENS1_30default_config_static_selectorELNS0_4arch9wavefront6targetE1EEEvT1_
; %bb.0:
	.section	.rodata,"a",@progbits
	.p2align	6, 0x0
	.amdhsa_kernel _ZN7rocprim17ROCPRIM_400000_NS6detail17trampoline_kernelINS0_14default_configENS1_20scan_config_selectorIlEEZZNS1_9scan_implILNS1_25lookback_scan_determinismE0ELb0ELb0ES3_PlS8_lN6thrust23THRUST_200600_302600_NS4plusIvEElEEDaPvRmT3_T4_T5_mT6_P12ihipStream_tbENKUlT_T0_E_clISt17integral_constantIbLb0EESP_IbLb1EEEEDaSL_SM_EUlSL_E0_NS1_11comp_targetILNS1_3genE8ELNS1_11target_archE1030ELNS1_3gpuE2ELNS1_3repE0EEENS1_30default_config_static_selectorELNS0_4arch9wavefront6targetE1EEEvT1_
		.amdhsa_group_segment_fixed_size 0
		.amdhsa_private_segment_fixed_size 0
		.amdhsa_kernarg_size 40
		.amdhsa_user_sgpr_count 6
		.amdhsa_user_sgpr_private_segment_buffer 1
		.amdhsa_user_sgpr_dispatch_ptr 0
		.amdhsa_user_sgpr_queue_ptr 0
		.amdhsa_user_sgpr_kernarg_segment_ptr 1
		.amdhsa_user_sgpr_dispatch_id 0
		.amdhsa_user_sgpr_flat_scratch_init 0
		.amdhsa_user_sgpr_kernarg_preload_length 0
		.amdhsa_user_sgpr_kernarg_preload_offset 0
		.amdhsa_user_sgpr_private_segment_size 0
		.amdhsa_uses_dynamic_stack 0
		.amdhsa_system_sgpr_private_segment_wavefront_offset 0
		.amdhsa_system_sgpr_workgroup_id_x 1
		.amdhsa_system_sgpr_workgroup_id_y 0
		.amdhsa_system_sgpr_workgroup_id_z 0
		.amdhsa_system_sgpr_workgroup_info 0
		.amdhsa_system_vgpr_workitem_id 0
		.amdhsa_next_free_vgpr 1
		.amdhsa_next_free_sgpr 0
		.amdhsa_accum_offset 4
		.amdhsa_reserve_vcc 0
		.amdhsa_reserve_flat_scratch 0
		.amdhsa_float_round_mode_32 0
		.amdhsa_float_round_mode_16_64 0
		.amdhsa_float_denorm_mode_32 3
		.amdhsa_float_denorm_mode_16_64 3
		.amdhsa_dx10_clamp 1
		.amdhsa_ieee_mode 1
		.amdhsa_fp16_overflow 0
		.amdhsa_tg_split 0
		.amdhsa_exception_fp_ieee_invalid_op 0
		.amdhsa_exception_fp_denorm_src 0
		.amdhsa_exception_fp_ieee_div_zero 0
		.amdhsa_exception_fp_ieee_overflow 0
		.amdhsa_exception_fp_ieee_underflow 0
		.amdhsa_exception_fp_ieee_inexact 0
		.amdhsa_exception_int_div_zero 0
	.end_amdhsa_kernel
	.section	.text._ZN7rocprim17ROCPRIM_400000_NS6detail17trampoline_kernelINS0_14default_configENS1_20scan_config_selectorIlEEZZNS1_9scan_implILNS1_25lookback_scan_determinismE0ELb0ELb0ES3_PlS8_lN6thrust23THRUST_200600_302600_NS4plusIvEElEEDaPvRmT3_T4_T5_mT6_P12ihipStream_tbENKUlT_T0_E_clISt17integral_constantIbLb0EESP_IbLb1EEEEDaSL_SM_EUlSL_E0_NS1_11comp_targetILNS1_3genE8ELNS1_11target_archE1030ELNS1_3gpuE2ELNS1_3repE0EEENS1_30default_config_static_selectorELNS0_4arch9wavefront6targetE1EEEvT1_,"axG",@progbits,_ZN7rocprim17ROCPRIM_400000_NS6detail17trampoline_kernelINS0_14default_configENS1_20scan_config_selectorIlEEZZNS1_9scan_implILNS1_25lookback_scan_determinismE0ELb0ELb0ES3_PlS8_lN6thrust23THRUST_200600_302600_NS4plusIvEElEEDaPvRmT3_T4_T5_mT6_P12ihipStream_tbENKUlT_T0_E_clISt17integral_constantIbLb0EESP_IbLb1EEEEDaSL_SM_EUlSL_E0_NS1_11comp_targetILNS1_3genE8ELNS1_11target_archE1030ELNS1_3gpuE2ELNS1_3repE0EEENS1_30default_config_static_selectorELNS0_4arch9wavefront6targetE1EEEvT1_,comdat
.Lfunc_end158:
	.size	_ZN7rocprim17ROCPRIM_400000_NS6detail17trampoline_kernelINS0_14default_configENS1_20scan_config_selectorIlEEZZNS1_9scan_implILNS1_25lookback_scan_determinismE0ELb0ELb0ES3_PlS8_lN6thrust23THRUST_200600_302600_NS4plusIvEElEEDaPvRmT3_T4_T5_mT6_P12ihipStream_tbENKUlT_T0_E_clISt17integral_constantIbLb0EESP_IbLb1EEEEDaSL_SM_EUlSL_E0_NS1_11comp_targetILNS1_3genE8ELNS1_11target_archE1030ELNS1_3gpuE2ELNS1_3repE0EEENS1_30default_config_static_selectorELNS0_4arch9wavefront6targetE1EEEvT1_, .Lfunc_end158-_ZN7rocprim17ROCPRIM_400000_NS6detail17trampoline_kernelINS0_14default_configENS1_20scan_config_selectorIlEEZZNS1_9scan_implILNS1_25lookback_scan_determinismE0ELb0ELb0ES3_PlS8_lN6thrust23THRUST_200600_302600_NS4plusIvEElEEDaPvRmT3_T4_T5_mT6_P12ihipStream_tbENKUlT_T0_E_clISt17integral_constantIbLb0EESP_IbLb1EEEEDaSL_SM_EUlSL_E0_NS1_11comp_targetILNS1_3genE8ELNS1_11target_archE1030ELNS1_3gpuE2ELNS1_3repE0EEENS1_30default_config_static_selectorELNS0_4arch9wavefront6targetE1EEEvT1_
                                        ; -- End function
	.section	.AMDGPU.csdata,"",@progbits
; Kernel info:
; codeLenInByte = 0
; NumSgprs: 4
; NumVgprs: 0
; NumAgprs: 0
; TotalNumVgprs: 0
; ScratchSize: 0
; MemoryBound: 0
; FloatMode: 240
; IeeeMode: 1
; LDSByteSize: 0 bytes/workgroup (compile time only)
; SGPRBlocks: 0
; VGPRBlocks: 0
; NumSGPRsForWavesPerEU: 4
; NumVGPRsForWavesPerEU: 1
; AccumOffset: 4
; Occupancy: 8
; WaveLimiterHint : 0
; COMPUTE_PGM_RSRC2:SCRATCH_EN: 0
; COMPUTE_PGM_RSRC2:USER_SGPR: 6
; COMPUTE_PGM_RSRC2:TRAP_HANDLER: 0
; COMPUTE_PGM_RSRC2:TGID_X_EN: 1
; COMPUTE_PGM_RSRC2:TGID_Y_EN: 0
; COMPUTE_PGM_RSRC2:TGID_Z_EN: 0
; COMPUTE_PGM_RSRC2:TIDIG_COMP_CNT: 0
; COMPUTE_PGM_RSRC3_GFX90A:ACCUM_OFFSET: 0
; COMPUTE_PGM_RSRC3_GFX90A:TG_SPLIT: 0
	.section	.text._ZN6thrust23THRUST_200600_302600_NS11hip_rocprim14__parallel_for6kernelILj256ENS1_11__transform17unary_transform_fIPlNS0_20permutation_iteratorIS6_PKlEENS4_14no_stencil_tagENS1_8identityENS4_21always_true_predicateEEElLj1EEEvT0_T1_SG_,"axG",@progbits,_ZN6thrust23THRUST_200600_302600_NS11hip_rocprim14__parallel_for6kernelILj256ENS1_11__transform17unary_transform_fIPlNS0_20permutation_iteratorIS6_PKlEENS4_14no_stencil_tagENS1_8identityENS4_21always_true_predicateEEElLj1EEEvT0_T1_SG_,comdat
	.protected	_ZN6thrust23THRUST_200600_302600_NS11hip_rocprim14__parallel_for6kernelILj256ENS1_11__transform17unary_transform_fIPlNS0_20permutation_iteratorIS6_PKlEENS4_14no_stencil_tagENS1_8identityENS4_21always_true_predicateEEElLj1EEEvT0_T1_SG_ ; -- Begin function _ZN6thrust23THRUST_200600_302600_NS11hip_rocprim14__parallel_for6kernelILj256ENS1_11__transform17unary_transform_fIPlNS0_20permutation_iteratorIS6_PKlEENS4_14no_stencil_tagENS1_8identityENS4_21always_true_predicateEEElLj1EEEvT0_T1_SG_
	.globl	_ZN6thrust23THRUST_200600_302600_NS11hip_rocprim14__parallel_for6kernelILj256ENS1_11__transform17unary_transform_fIPlNS0_20permutation_iteratorIS6_PKlEENS4_14no_stencil_tagENS1_8identityENS4_21always_true_predicateEEElLj1EEEvT0_T1_SG_
	.p2align	8
	.type	_ZN6thrust23THRUST_200600_302600_NS11hip_rocprim14__parallel_for6kernelILj256ENS1_11__transform17unary_transform_fIPlNS0_20permutation_iteratorIS6_PKlEENS4_14no_stencil_tagENS1_8identityENS4_21always_true_predicateEEElLj1EEEvT0_T1_SG_,@function
_ZN6thrust23THRUST_200600_302600_NS11hip_rocprim14__parallel_for6kernelILj256ENS1_11__transform17unary_transform_fIPlNS0_20permutation_iteratorIS6_PKlEENS4_14no_stencil_tagENS1_8identityENS4_21always_true_predicateEEElLj1EEEvT0_T1_SG_: ; @_ZN6thrust23THRUST_200600_302600_NS11hip_rocprim14__parallel_for6kernelILj256ENS1_11__transform17unary_transform_fIPlNS0_20permutation_iteratorIS6_PKlEENS4_14no_stencil_tagENS1_8identityENS4_21always_true_predicateEEElLj1EEEvT0_T1_SG_
; %bb.0:
	s_load_dwordx4 s[8:11], s[4:5], 0x20
	s_lshl_b32 s0, s6, 8
	v_mov_b32_e32 v2, 0x100
	v_mov_b32_e32 v3, 0
	s_waitcnt lgkmcnt(0)
	s_add_u32 s0, s0, s10
	s_addc_u32 s1, 0, s11
	s_sub_u32 s2, s8, s0
	s_subb_u32 s3, s9, s1
	v_cmp_lt_i64_e32 vcc, s[2:3], v[2:3]
	s_and_b64 s[6:7], vcc, exec
	s_cselect_b32 s6, s2, 0x100
	s_cmpk_eq_i32 s6, 0x100
	s_cselect_b64 s[2:3], -1, 0
	v_cmp_gt_u32_e32 vcc, s6, v0
	s_or_b64 s[2:3], s[2:3], vcc
	s_and_saveexec_b64 s[6:7], s[2:3]
	s_cbranch_execz .LBB159_2
; %bb.1:
	s_load_dwordx4 s[8:11], s[4:5], 0x0
	s_load_dwordx2 s[2:3], s[4:5], 0x10
	v_mov_b32_e32 v1, s1
	v_add_co_u32_e32 v0, vcc, s0, v0
	v_addc_co_u32_e32 v1, vcc, 0, v1, vcc
	v_lshlrev_b64 v[0:1], 3, v[0:1]
	s_waitcnt lgkmcnt(0)
	v_mov_b32_e32 v3, s11
	v_add_co_u32_e32 v2, vcc, s10, v0
	v_addc_co_u32_e32 v3, vcc, v3, v1, vcc
	global_load_dwordx2 v[2:3], v[2:3], off
	v_mov_b32_e32 v4, s9
	v_add_co_u32_e32 v0, vcc, s8, v0
	v_addc_co_u32_e32 v1, vcc, v4, v1, vcc
	global_load_dwordx2 v[0:1], v[0:1], off
	v_mov_b32_e32 v4, s3
	s_waitcnt vmcnt(1)
	v_lshlrev_b64 v[2:3], 3, v[2:3]
	v_add_co_u32_e32 v2, vcc, s2, v2
	v_addc_co_u32_e32 v3, vcc, v4, v3, vcc
	s_waitcnt vmcnt(0)
	global_store_dwordx2 v[2:3], v[0:1], off
.LBB159_2:
	s_endpgm
	.section	.rodata,"a",@progbits
	.p2align	6, 0x0
	.amdhsa_kernel _ZN6thrust23THRUST_200600_302600_NS11hip_rocprim14__parallel_for6kernelILj256ENS1_11__transform17unary_transform_fIPlNS0_20permutation_iteratorIS6_PKlEENS4_14no_stencil_tagENS1_8identityENS4_21always_true_predicateEEElLj1EEEvT0_T1_SG_
		.amdhsa_group_segment_fixed_size 0
		.amdhsa_private_segment_fixed_size 0
		.amdhsa_kernarg_size 48
		.amdhsa_user_sgpr_count 6
		.amdhsa_user_sgpr_private_segment_buffer 1
		.amdhsa_user_sgpr_dispatch_ptr 0
		.amdhsa_user_sgpr_queue_ptr 0
		.amdhsa_user_sgpr_kernarg_segment_ptr 1
		.amdhsa_user_sgpr_dispatch_id 0
		.amdhsa_user_sgpr_flat_scratch_init 0
		.amdhsa_user_sgpr_kernarg_preload_length 0
		.amdhsa_user_sgpr_kernarg_preload_offset 0
		.amdhsa_user_sgpr_private_segment_size 0
		.amdhsa_uses_dynamic_stack 0
		.amdhsa_system_sgpr_private_segment_wavefront_offset 0
		.amdhsa_system_sgpr_workgroup_id_x 1
		.amdhsa_system_sgpr_workgroup_id_y 0
		.amdhsa_system_sgpr_workgroup_id_z 0
		.amdhsa_system_sgpr_workgroup_info 0
		.amdhsa_system_vgpr_workitem_id 0
		.amdhsa_next_free_vgpr 5
		.amdhsa_next_free_sgpr 12
		.amdhsa_accum_offset 8
		.amdhsa_reserve_vcc 1
		.amdhsa_reserve_flat_scratch 0
		.amdhsa_float_round_mode_32 0
		.amdhsa_float_round_mode_16_64 0
		.amdhsa_float_denorm_mode_32 3
		.amdhsa_float_denorm_mode_16_64 3
		.amdhsa_dx10_clamp 1
		.amdhsa_ieee_mode 1
		.amdhsa_fp16_overflow 0
		.amdhsa_tg_split 0
		.amdhsa_exception_fp_ieee_invalid_op 0
		.amdhsa_exception_fp_denorm_src 0
		.amdhsa_exception_fp_ieee_div_zero 0
		.amdhsa_exception_fp_ieee_overflow 0
		.amdhsa_exception_fp_ieee_underflow 0
		.amdhsa_exception_fp_ieee_inexact 0
		.amdhsa_exception_int_div_zero 0
	.end_amdhsa_kernel
	.section	.text._ZN6thrust23THRUST_200600_302600_NS11hip_rocprim14__parallel_for6kernelILj256ENS1_11__transform17unary_transform_fIPlNS0_20permutation_iteratorIS6_PKlEENS4_14no_stencil_tagENS1_8identityENS4_21always_true_predicateEEElLj1EEEvT0_T1_SG_,"axG",@progbits,_ZN6thrust23THRUST_200600_302600_NS11hip_rocprim14__parallel_for6kernelILj256ENS1_11__transform17unary_transform_fIPlNS0_20permutation_iteratorIS6_PKlEENS4_14no_stencil_tagENS1_8identityENS4_21always_true_predicateEEElLj1EEEvT0_T1_SG_,comdat
.Lfunc_end159:
	.size	_ZN6thrust23THRUST_200600_302600_NS11hip_rocprim14__parallel_for6kernelILj256ENS1_11__transform17unary_transform_fIPlNS0_20permutation_iteratorIS6_PKlEENS4_14no_stencil_tagENS1_8identityENS4_21always_true_predicateEEElLj1EEEvT0_T1_SG_, .Lfunc_end159-_ZN6thrust23THRUST_200600_302600_NS11hip_rocprim14__parallel_for6kernelILj256ENS1_11__transform17unary_transform_fIPlNS0_20permutation_iteratorIS6_PKlEENS4_14no_stencil_tagENS1_8identityENS4_21always_true_predicateEEElLj1EEEvT0_T1_SG_
                                        ; -- End function
	.section	.AMDGPU.csdata,"",@progbits
; Kernel info:
; codeLenInByte = 204
; NumSgprs: 16
; NumVgprs: 5
; NumAgprs: 0
; TotalNumVgprs: 5
; ScratchSize: 0
; MemoryBound: 0
; FloatMode: 240
; IeeeMode: 1
; LDSByteSize: 0 bytes/workgroup (compile time only)
; SGPRBlocks: 1
; VGPRBlocks: 0
; NumSGPRsForWavesPerEU: 16
; NumVGPRsForWavesPerEU: 5
; AccumOffset: 8
; Occupancy: 8
; WaveLimiterHint : 1
; COMPUTE_PGM_RSRC2:SCRATCH_EN: 0
; COMPUTE_PGM_RSRC2:USER_SGPR: 6
; COMPUTE_PGM_RSRC2:TRAP_HANDLER: 0
; COMPUTE_PGM_RSRC2:TGID_X_EN: 1
; COMPUTE_PGM_RSRC2:TGID_Y_EN: 0
; COMPUTE_PGM_RSRC2:TGID_Z_EN: 0
; COMPUTE_PGM_RSRC2:TIDIG_COMP_CNT: 0
; COMPUTE_PGM_RSRC3_GFX90A:ACCUM_OFFSET: 1
; COMPUTE_PGM_RSRC3_GFX90A:TG_SPLIT: 0
	.section	.text._ZN7rocprim17ROCPRIM_400000_NS6detail31init_lookback_scan_state_kernelINS1_19lookback_scan_stateIjLb0ELb1EEENS1_16block_id_wrapperIjLb0EEEEEvT_jT0_jPNS7_10value_typeE,"axG",@progbits,_ZN7rocprim17ROCPRIM_400000_NS6detail31init_lookback_scan_state_kernelINS1_19lookback_scan_stateIjLb0ELb1EEENS1_16block_id_wrapperIjLb0EEEEEvT_jT0_jPNS7_10value_typeE,comdat
	.protected	_ZN7rocprim17ROCPRIM_400000_NS6detail31init_lookback_scan_state_kernelINS1_19lookback_scan_stateIjLb0ELb1EEENS1_16block_id_wrapperIjLb0EEEEEvT_jT0_jPNS7_10value_typeE ; -- Begin function _ZN7rocprim17ROCPRIM_400000_NS6detail31init_lookback_scan_state_kernelINS1_19lookback_scan_stateIjLb0ELb1EEENS1_16block_id_wrapperIjLb0EEEEEvT_jT0_jPNS7_10value_typeE
	.globl	_ZN7rocprim17ROCPRIM_400000_NS6detail31init_lookback_scan_state_kernelINS1_19lookback_scan_stateIjLb0ELb1EEENS1_16block_id_wrapperIjLb0EEEEEvT_jT0_jPNS7_10value_typeE
	.p2align	8
	.type	_ZN7rocprim17ROCPRIM_400000_NS6detail31init_lookback_scan_state_kernelINS1_19lookback_scan_stateIjLb0ELb1EEENS1_16block_id_wrapperIjLb0EEEEEvT_jT0_jPNS7_10value_typeE,@function
_ZN7rocprim17ROCPRIM_400000_NS6detail31init_lookback_scan_state_kernelINS1_19lookback_scan_stateIjLb0ELb1EEENS1_16block_id_wrapperIjLb0EEEEEvT_jT0_jPNS7_10value_typeE: ; @_ZN7rocprim17ROCPRIM_400000_NS6detail31init_lookback_scan_state_kernelINS1_19lookback_scan_stateIjLb0ELb1EEENS1_16block_id_wrapperIjLb0EEEEEvT_jT0_jPNS7_10value_typeE
; %bb.0:
	s_load_dword s7, s[4:5], 0x2c
	s_load_dwordx2 s[2:3], s[4:5], 0x18
	s_load_dwordx2 s[0:1], s[4:5], 0x0
	s_load_dword s8, s[4:5], 0x8
	s_waitcnt lgkmcnt(0)
	s_and_b32 s7, s7, 0xffff
	s_mul_i32 s6, s6, s7
	s_cmp_eq_u64 s[2:3], 0
	v_add_u32_e32 v0, s6, v0
	s_cbranch_scc1 .LBB160_6
; %bb.1:
	s_load_dword s6, s[4:5], 0x10
	s_mov_b32 s7, 0
	s_waitcnt lgkmcnt(0)
	s_cmp_lt_u32 s6, s8
	s_cselect_b32 s4, s6, 0
	v_cmp_eq_u32_e32 vcc, s4, v0
	s_and_saveexec_b64 s[4:5], vcc
	s_cbranch_execz .LBB160_5
; %bb.2:
	s_add_i32 s6, s6, 64
	s_lshl_b64 s[6:7], s[6:7], 3
	s_add_u32 s6, s0, s6
	s_addc_u32 s7, s1, s7
	v_mov_b32_e32 v4, 0
	global_load_dwordx2 v[2:3], v4, s[6:7] glc
	s_waitcnt vmcnt(0)
	v_and_b32_e32 v5, 0xff, v3
	v_cmp_ne_u64_e32 vcc, 0, v[4:5]
	s_cbranch_vccnz .LBB160_4
.LBB160_3:                              ; =>This Inner Loop Header: Depth=1
	global_load_dwordx2 v[2:3], v4, s[6:7] glc
	s_waitcnt vmcnt(0)
	v_and_b32_e32 v5, 0xff, v3
	v_cmp_eq_u64_e32 vcc, 0, v[4:5]
	s_cbranch_vccnz .LBB160_3
.LBB160_4:
	v_mov_b32_e32 v1, 0
	global_store_dword v1, v2, s[2:3]
.LBB160_5:
	s_or_b64 exec, exec, s[4:5]
.LBB160_6:
	v_cmp_gt_u32_e32 vcc, s8, v0
	s_and_saveexec_b64 s[2:3], vcc
	s_cbranch_execnz .LBB160_9
; %bb.7:
	s_or_b64 exec, exec, s[2:3]
	v_cmp_gt_u32_e32 vcc, 64, v0
	s_and_saveexec_b64 s[2:3], vcc
	s_cbranch_execnz .LBB160_10
.LBB160_8:
	s_endpgm
.LBB160_9:
	v_add_u32_e32 v2, 64, v0
	v_mov_b32_e32 v3, 0
	v_lshlrev_b64 v[4:5], 3, v[2:3]
	v_mov_b32_e32 v1, s1
	v_add_co_u32_e32 v4, vcc, s0, v4
	v_addc_co_u32_e32 v5, vcc, v1, v5, vcc
	v_mov_b32_e32 v2, v3
	global_store_dwordx2 v[4:5], v[2:3], off
	s_or_b64 exec, exec, s[2:3]
	v_cmp_gt_u32_e32 vcc, 64, v0
	s_and_saveexec_b64 s[2:3], vcc
	s_cbranch_execz .LBB160_8
.LBB160_10:
	v_mov_b32_e32 v1, 0
	v_lshlrev_b64 v[2:3], 3, v[0:1]
	v_mov_b32_e32 v0, s1
	v_add_co_u32_e32 v2, vcc, s0, v2
	v_addc_co_u32_e32 v3, vcc, v0, v3, vcc
	v_mov_b32_e32 v5, 0xff
	v_mov_b32_e32 v4, v1
	global_store_dwordx2 v[2:3], v[4:5], off
	s_endpgm
	.section	.rodata,"a",@progbits
	.p2align	6, 0x0
	.amdhsa_kernel _ZN7rocprim17ROCPRIM_400000_NS6detail31init_lookback_scan_state_kernelINS1_19lookback_scan_stateIjLb0ELb1EEENS1_16block_id_wrapperIjLb0EEEEEvT_jT0_jPNS7_10value_typeE
		.amdhsa_group_segment_fixed_size 0
		.amdhsa_private_segment_fixed_size 0
		.amdhsa_kernarg_size 288
		.amdhsa_user_sgpr_count 6
		.amdhsa_user_sgpr_private_segment_buffer 1
		.amdhsa_user_sgpr_dispatch_ptr 0
		.amdhsa_user_sgpr_queue_ptr 0
		.amdhsa_user_sgpr_kernarg_segment_ptr 1
		.amdhsa_user_sgpr_dispatch_id 0
		.amdhsa_user_sgpr_flat_scratch_init 0
		.amdhsa_user_sgpr_kernarg_preload_length 0
		.amdhsa_user_sgpr_kernarg_preload_offset 0
		.amdhsa_user_sgpr_private_segment_size 0
		.amdhsa_uses_dynamic_stack 0
		.amdhsa_system_sgpr_private_segment_wavefront_offset 0
		.amdhsa_system_sgpr_workgroup_id_x 1
		.amdhsa_system_sgpr_workgroup_id_y 0
		.amdhsa_system_sgpr_workgroup_id_z 0
		.amdhsa_system_sgpr_workgroup_info 0
		.amdhsa_system_vgpr_workitem_id 0
		.amdhsa_next_free_vgpr 6
		.amdhsa_next_free_sgpr 9
		.amdhsa_accum_offset 8
		.amdhsa_reserve_vcc 1
		.amdhsa_reserve_flat_scratch 0
		.amdhsa_float_round_mode_32 0
		.amdhsa_float_round_mode_16_64 0
		.amdhsa_float_denorm_mode_32 3
		.amdhsa_float_denorm_mode_16_64 3
		.amdhsa_dx10_clamp 1
		.amdhsa_ieee_mode 1
		.amdhsa_fp16_overflow 0
		.amdhsa_tg_split 0
		.amdhsa_exception_fp_ieee_invalid_op 0
		.amdhsa_exception_fp_denorm_src 0
		.amdhsa_exception_fp_ieee_div_zero 0
		.amdhsa_exception_fp_ieee_overflow 0
		.amdhsa_exception_fp_ieee_underflow 0
		.amdhsa_exception_fp_ieee_inexact 0
		.amdhsa_exception_int_div_zero 0
	.end_amdhsa_kernel
	.section	.text._ZN7rocprim17ROCPRIM_400000_NS6detail31init_lookback_scan_state_kernelINS1_19lookback_scan_stateIjLb0ELb1EEENS1_16block_id_wrapperIjLb0EEEEEvT_jT0_jPNS7_10value_typeE,"axG",@progbits,_ZN7rocprim17ROCPRIM_400000_NS6detail31init_lookback_scan_state_kernelINS1_19lookback_scan_stateIjLb0ELb1EEENS1_16block_id_wrapperIjLb0EEEEEvT_jT0_jPNS7_10value_typeE,comdat
.Lfunc_end160:
	.size	_ZN7rocprim17ROCPRIM_400000_NS6detail31init_lookback_scan_state_kernelINS1_19lookback_scan_stateIjLb0ELb1EEENS1_16block_id_wrapperIjLb0EEEEEvT_jT0_jPNS7_10value_typeE, .Lfunc_end160-_ZN7rocprim17ROCPRIM_400000_NS6detail31init_lookback_scan_state_kernelINS1_19lookback_scan_stateIjLb0ELb1EEENS1_16block_id_wrapperIjLb0EEEEEvT_jT0_jPNS7_10value_typeE
                                        ; -- End function
	.section	.AMDGPU.csdata,"",@progbits
; Kernel info:
; codeLenInByte = 324
; NumSgprs: 13
; NumVgprs: 6
; NumAgprs: 0
; TotalNumVgprs: 6
; ScratchSize: 0
; MemoryBound: 0
; FloatMode: 240
; IeeeMode: 1
; LDSByteSize: 0 bytes/workgroup (compile time only)
; SGPRBlocks: 1
; VGPRBlocks: 0
; NumSGPRsForWavesPerEU: 13
; NumVGPRsForWavesPerEU: 6
; AccumOffset: 8
; Occupancy: 8
; WaveLimiterHint : 0
; COMPUTE_PGM_RSRC2:SCRATCH_EN: 0
; COMPUTE_PGM_RSRC2:USER_SGPR: 6
; COMPUTE_PGM_RSRC2:TRAP_HANDLER: 0
; COMPUTE_PGM_RSRC2:TGID_X_EN: 1
; COMPUTE_PGM_RSRC2:TGID_Y_EN: 0
; COMPUTE_PGM_RSRC2:TGID_Z_EN: 0
; COMPUTE_PGM_RSRC2:TIDIG_COMP_CNT: 0
; COMPUTE_PGM_RSRC3_GFX90A:ACCUM_OFFSET: 1
; COMPUTE_PGM_RSRC3_GFX90A:TG_SPLIT: 0
	.section	.text._ZN7rocprim17ROCPRIM_400000_NS6detail17trampoline_kernelINS0_14default_configENS1_25partition_config_selectorILNS1_17partition_subalgoE8ElNS0_10empty_typeEbEEZZNS1_14partition_implILS5_8ELb0ES3_jPlPS6_PKS6_NS0_5tupleIJS9_S6_EEENSD_IJSA_SA_EEENS0_18inequality_wrapperIZN2at6native12_GLOBAL__N_124unique_dim_cuda_templateIhEESt5tupleIJNSH_6TensorESM_SM_EERKSM_lbbbEUlllE0_EEPmJS6_EEE10hipError_tPvRmT3_T4_T5_T6_T7_T9_mT8_P12ihipStream_tbDpT10_ENKUlT_T0_E_clISt17integral_constantIbLb0EES1C_EEDaS17_S18_EUlS17_E_NS1_11comp_targetILNS1_3genE0ELNS1_11target_archE4294967295ELNS1_3gpuE0ELNS1_3repE0EEENS1_30default_config_static_selectorELNS0_4arch9wavefront6targetE1EEEvT1_,"axG",@progbits,_ZN7rocprim17ROCPRIM_400000_NS6detail17trampoline_kernelINS0_14default_configENS1_25partition_config_selectorILNS1_17partition_subalgoE8ElNS0_10empty_typeEbEEZZNS1_14partition_implILS5_8ELb0ES3_jPlPS6_PKS6_NS0_5tupleIJS9_S6_EEENSD_IJSA_SA_EEENS0_18inequality_wrapperIZN2at6native12_GLOBAL__N_124unique_dim_cuda_templateIhEESt5tupleIJNSH_6TensorESM_SM_EERKSM_lbbbEUlllE0_EEPmJS6_EEE10hipError_tPvRmT3_T4_T5_T6_T7_T9_mT8_P12ihipStream_tbDpT10_ENKUlT_T0_E_clISt17integral_constantIbLb0EES1C_EEDaS17_S18_EUlS17_E_NS1_11comp_targetILNS1_3genE0ELNS1_11target_archE4294967295ELNS1_3gpuE0ELNS1_3repE0EEENS1_30default_config_static_selectorELNS0_4arch9wavefront6targetE1EEEvT1_,comdat
	.globl	_ZN7rocprim17ROCPRIM_400000_NS6detail17trampoline_kernelINS0_14default_configENS1_25partition_config_selectorILNS1_17partition_subalgoE8ElNS0_10empty_typeEbEEZZNS1_14partition_implILS5_8ELb0ES3_jPlPS6_PKS6_NS0_5tupleIJS9_S6_EEENSD_IJSA_SA_EEENS0_18inequality_wrapperIZN2at6native12_GLOBAL__N_124unique_dim_cuda_templateIhEESt5tupleIJNSH_6TensorESM_SM_EERKSM_lbbbEUlllE0_EEPmJS6_EEE10hipError_tPvRmT3_T4_T5_T6_T7_T9_mT8_P12ihipStream_tbDpT10_ENKUlT_T0_E_clISt17integral_constantIbLb0EES1C_EEDaS17_S18_EUlS17_E_NS1_11comp_targetILNS1_3genE0ELNS1_11target_archE4294967295ELNS1_3gpuE0ELNS1_3repE0EEENS1_30default_config_static_selectorELNS0_4arch9wavefront6targetE1EEEvT1_ ; -- Begin function _ZN7rocprim17ROCPRIM_400000_NS6detail17trampoline_kernelINS0_14default_configENS1_25partition_config_selectorILNS1_17partition_subalgoE8ElNS0_10empty_typeEbEEZZNS1_14partition_implILS5_8ELb0ES3_jPlPS6_PKS6_NS0_5tupleIJS9_S6_EEENSD_IJSA_SA_EEENS0_18inequality_wrapperIZN2at6native12_GLOBAL__N_124unique_dim_cuda_templateIhEESt5tupleIJNSH_6TensorESM_SM_EERKSM_lbbbEUlllE0_EEPmJS6_EEE10hipError_tPvRmT3_T4_T5_T6_T7_T9_mT8_P12ihipStream_tbDpT10_ENKUlT_T0_E_clISt17integral_constantIbLb0EES1C_EEDaS17_S18_EUlS17_E_NS1_11comp_targetILNS1_3genE0ELNS1_11target_archE4294967295ELNS1_3gpuE0ELNS1_3repE0EEENS1_30default_config_static_selectorELNS0_4arch9wavefront6targetE1EEEvT1_
	.p2align	8
	.type	_ZN7rocprim17ROCPRIM_400000_NS6detail17trampoline_kernelINS0_14default_configENS1_25partition_config_selectorILNS1_17partition_subalgoE8ElNS0_10empty_typeEbEEZZNS1_14partition_implILS5_8ELb0ES3_jPlPS6_PKS6_NS0_5tupleIJS9_S6_EEENSD_IJSA_SA_EEENS0_18inequality_wrapperIZN2at6native12_GLOBAL__N_124unique_dim_cuda_templateIhEESt5tupleIJNSH_6TensorESM_SM_EERKSM_lbbbEUlllE0_EEPmJS6_EEE10hipError_tPvRmT3_T4_T5_T6_T7_T9_mT8_P12ihipStream_tbDpT10_ENKUlT_T0_E_clISt17integral_constantIbLb0EES1C_EEDaS17_S18_EUlS17_E_NS1_11comp_targetILNS1_3genE0ELNS1_11target_archE4294967295ELNS1_3gpuE0ELNS1_3repE0EEENS1_30default_config_static_selectorELNS0_4arch9wavefront6targetE1EEEvT1_,@function
_ZN7rocprim17ROCPRIM_400000_NS6detail17trampoline_kernelINS0_14default_configENS1_25partition_config_selectorILNS1_17partition_subalgoE8ElNS0_10empty_typeEbEEZZNS1_14partition_implILS5_8ELb0ES3_jPlPS6_PKS6_NS0_5tupleIJS9_S6_EEENSD_IJSA_SA_EEENS0_18inequality_wrapperIZN2at6native12_GLOBAL__N_124unique_dim_cuda_templateIhEESt5tupleIJNSH_6TensorESM_SM_EERKSM_lbbbEUlllE0_EEPmJS6_EEE10hipError_tPvRmT3_T4_T5_T6_T7_T9_mT8_P12ihipStream_tbDpT10_ENKUlT_T0_E_clISt17integral_constantIbLb0EES1C_EEDaS17_S18_EUlS17_E_NS1_11comp_targetILNS1_3genE0ELNS1_11target_archE4294967295ELNS1_3gpuE0ELNS1_3repE0EEENS1_30default_config_static_selectorELNS0_4arch9wavefront6targetE1EEEvT1_: ; @_ZN7rocprim17ROCPRIM_400000_NS6detail17trampoline_kernelINS0_14default_configENS1_25partition_config_selectorILNS1_17partition_subalgoE8ElNS0_10empty_typeEbEEZZNS1_14partition_implILS5_8ELb0ES3_jPlPS6_PKS6_NS0_5tupleIJS9_S6_EEENSD_IJSA_SA_EEENS0_18inequality_wrapperIZN2at6native12_GLOBAL__N_124unique_dim_cuda_templateIhEESt5tupleIJNSH_6TensorESM_SM_EERKSM_lbbbEUlllE0_EEPmJS6_EEE10hipError_tPvRmT3_T4_T5_T6_T7_T9_mT8_P12ihipStream_tbDpT10_ENKUlT_T0_E_clISt17integral_constantIbLb0EES1C_EEDaS17_S18_EUlS17_E_NS1_11comp_targetILNS1_3genE0ELNS1_11target_archE4294967295ELNS1_3gpuE0ELNS1_3repE0EEENS1_30default_config_static_selectorELNS0_4arch9wavefront6targetE1EEEvT1_
; %bb.0:
	.section	.rodata,"a",@progbits
	.p2align	6, 0x0
	.amdhsa_kernel _ZN7rocprim17ROCPRIM_400000_NS6detail17trampoline_kernelINS0_14default_configENS1_25partition_config_selectorILNS1_17partition_subalgoE8ElNS0_10empty_typeEbEEZZNS1_14partition_implILS5_8ELb0ES3_jPlPS6_PKS6_NS0_5tupleIJS9_S6_EEENSD_IJSA_SA_EEENS0_18inequality_wrapperIZN2at6native12_GLOBAL__N_124unique_dim_cuda_templateIhEESt5tupleIJNSH_6TensorESM_SM_EERKSM_lbbbEUlllE0_EEPmJS6_EEE10hipError_tPvRmT3_T4_T5_T6_T7_T9_mT8_P12ihipStream_tbDpT10_ENKUlT_T0_E_clISt17integral_constantIbLb0EES1C_EEDaS17_S18_EUlS17_E_NS1_11comp_targetILNS1_3genE0ELNS1_11target_archE4294967295ELNS1_3gpuE0ELNS1_3repE0EEENS1_30default_config_static_selectorELNS0_4arch9wavefront6targetE1EEEvT1_
		.amdhsa_group_segment_fixed_size 0
		.amdhsa_private_segment_fixed_size 0
		.amdhsa_kernarg_size 120
		.amdhsa_user_sgpr_count 6
		.amdhsa_user_sgpr_private_segment_buffer 1
		.amdhsa_user_sgpr_dispatch_ptr 0
		.amdhsa_user_sgpr_queue_ptr 0
		.amdhsa_user_sgpr_kernarg_segment_ptr 1
		.amdhsa_user_sgpr_dispatch_id 0
		.amdhsa_user_sgpr_flat_scratch_init 0
		.amdhsa_user_sgpr_kernarg_preload_length 0
		.amdhsa_user_sgpr_kernarg_preload_offset 0
		.amdhsa_user_sgpr_private_segment_size 0
		.amdhsa_uses_dynamic_stack 0
		.amdhsa_system_sgpr_private_segment_wavefront_offset 0
		.amdhsa_system_sgpr_workgroup_id_x 1
		.amdhsa_system_sgpr_workgroup_id_y 0
		.amdhsa_system_sgpr_workgroup_id_z 0
		.amdhsa_system_sgpr_workgroup_info 0
		.amdhsa_system_vgpr_workitem_id 0
		.amdhsa_next_free_vgpr 1
		.amdhsa_next_free_sgpr 0
		.amdhsa_accum_offset 4
		.amdhsa_reserve_vcc 0
		.amdhsa_reserve_flat_scratch 0
		.amdhsa_float_round_mode_32 0
		.amdhsa_float_round_mode_16_64 0
		.amdhsa_float_denorm_mode_32 3
		.amdhsa_float_denorm_mode_16_64 3
		.amdhsa_dx10_clamp 1
		.amdhsa_ieee_mode 1
		.amdhsa_fp16_overflow 0
		.amdhsa_tg_split 0
		.amdhsa_exception_fp_ieee_invalid_op 0
		.amdhsa_exception_fp_denorm_src 0
		.amdhsa_exception_fp_ieee_div_zero 0
		.amdhsa_exception_fp_ieee_overflow 0
		.amdhsa_exception_fp_ieee_underflow 0
		.amdhsa_exception_fp_ieee_inexact 0
		.amdhsa_exception_int_div_zero 0
	.end_amdhsa_kernel
	.section	.text._ZN7rocprim17ROCPRIM_400000_NS6detail17trampoline_kernelINS0_14default_configENS1_25partition_config_selectorILNS1_17partition_subalgoE8ElNS0_10empty_typeEbEEZZNS1_14partition_implILS5_8ELb0ES3_jPlPS6_PKS6_NS0_5tupleIJS9_S6_EEENSD_IJSA_SA_EEENS0_18inequality_wrapperIZN2at6native12_GLOBAL__N_124unique_dim_cuda_templateIhEESt5tupleIJNSH_6TensorESM_SM_EERKSM_lbbbEUlllE0_EEPmJS6_EEE10hipError_tPvRmT3_T4_T5_T6_T7_T9_mT8_P12ihipStream_tbDpT10_ENKUlT_T0_E_clISt17integral_constantIbLb0EES1C_EEDaS17_S18_EUlS17_E_NS1_11comp_targetILNS1_3genE0ELNS1_11target_archE4294967295ELNS1_3gpuE0ELNS1_3repE0EEENS1_30default_config_static_selectorELNS0_4arch9wavefront6targetE1EEEvT1_,"axG",@progbits,_ZN7rocprim17ROCPRIM_400000_NS6detail17trampoline_kernelINS0_14default_configENS1_25partition_config_selectorILNS1_17partition_subalgoE8ElNS0_10empty_typeEbEEZZNS1_14partition_implILS5_8ELb0ES3_jPlPS6_PKS6_NS0_5tupleIJS9_S6_EEENSD_IJSA_SA_EEENS0_18inequality_wrapperIZN2at6native12_GLOBAL__N_124unique_dim_cuda_templateIhEESt5tupleIJNSH_6TensorESM_SM_EERKSM_lbbbEUlllE0_EEPmJS6_EEE10hipError_tPvRmT3_T4_T5_T6_T7_T9_mT8_P12ihipStream_tbDpT10_ENKUlT_T0_E_clISt17integral_constantIbLb0EES1C_EEDaS17_S18_EUlS17_E_NS1_11comp_targetILNS1_3genE0ELNS1_11target_archE4294967295ELNS1_3gpuE0ELNS1_3repE0EEENS1_30default_config_static_selectorELNS0_4arch9wavefront6targetE1EEEvT1_,comdat
.Lfunc_end161:
	.size	_ZN7rocprim17ROCPRIM_400000_NS6detail17trampoline_kernelINS0_14default_configENS1_25partition_config_selectorILNS1_17partition_subalgoE8ElNS0_10empty_typeEbEEZZNS1_14partition_implILS5_8ELb0ES3_jPlPS6_PKS6_NS0_5tupleIJS9_S6_EEENSD_IJSA_SA_EEENS0_18inequality_wrapperIZN2at6native12_GLOBAL__N_124unique_dim_cuda_templateIhEESt5tupleIJNSH_6TensorESM_SM_EERKSM_lbbbEUlllE0_EEPmJS6_EEE10hipError_tPvRmT3_T4_T5_T6_T7_T9_mT8_P12ihipStream_tbDpT10_ENKUlT_T0_E_clISt17integral_constantIbLb0EES1C_EEDaS17_S18_EUlS17_E_NS1_11comp_targetILNS1_3genE0ELNS1_11target_archE4294967295ELNS1_3gpuE0ELNS1_3repE0EEENS1_30default_config_static_selectorELNS0_4arch9wavefront6targetE1EEEvT1_, .Lfunc_end161-_ZN7rocprim17ROCPRIM_400000_NS6detail17trampoline_kernelINS0_14default_configENS1_25partition_config_selectorILNS1_17partition_subalgoE8ElNS0_10empty_typeEbEEZZNS1_14partition_implILS5_8ELb0ES3_jPlPS6_PKS6_NS0_5tupleIJS9_S6_EEENSD_IJSA_SA_EEENS0_18inequality_wrapperIZN2at6native12_GLOBAL__N_124unique_dim_cuda_templateIhEESt5tupleIJNSH_6TensorESM_SM_EERKSM_lbbbEUlllE0_EEPmJS6_EEE10hipError_tPvRmT3_T4_T5_T6_T7_T9_mT8_P12ihipStream_tbDpT10_ENKUlT_T0_E_clISt17integral_constantIbLb0EES1C_EEDaS17_S18_EUlS17_E_NS1_11comp_targetILNS1_3genE0ELNS1_11target_archE4294967295ELNS1_3gpuE0ELNS1_3repE0EEENS1_30default_config_static_selectorELNS0_4arch9wavefront6targetE1EEEvT1_
                                        ; -- End function
	.section	.AMDGPU.csdata,"",@progbits
; Kernel info:
; codeLenInByte = 0
; NumSgprs: 4
; NumVgprs: 0
; NumAgprs: 0
; TotalNumVgprs: 0
; ScratchSize: 0
; MemoryBound: 0
; FloatMode: 240
; IeeeMode: 1
; LDSByteSize: 0 bytes/workgroup (compile time only)
; SGPRBlocks: 0
; VGPRBlocks: 0
; NumSGPRsForWavesPerEU: 4
; NumVGPRsForWavesPerEU: 1
; AccumOffset: 4
; Occupancy: 8
; WaveLimiterHint : 0
; COMPUTE_PGM_RSRC2:SCRATCH_EN: 0
; COMPUTE_PGM_RSRC2:USER_SGPR: 6
; COMPUTE_PGM_RSRC2:TRAP_HANDLER: 0
; COMPUTE_PGM_RSRC2:TGID_X_EN: 1
; COMPUTE_PGM_RSRC2:TGID_Y_EN: 0
; COMPUTE_PGM_RSRC2:TGID_Z_EN: 0
; COMPUTE_PGM_RSRC2:TIDIG_COMP_CNT: 0
; COMPUTE_PGM_RSRC3_GFX90A:ACCUM_OFFSET: 0
; COMPUTE_PGM_RSRC3_GFX90A:TG_SPLIT: 0
	.section	.text._ZN7rocprim17ROCPRIM_400000_NS6detail17trampoline_kernelINS0_14default_configENS1_25partition_config_selectorILNS1_17partition_subalgoE8ElNS0_10empty_typeEbEEZZNS1_14partition_implILS5_8ELb0ES3_jPlPS6_PKS6_NS0_5tupleIJS9_S6_EEENSD_IJSA_SA_EEENS0_18inequality_wrapperIZN2at6native12_GLOBAL__N_124unique_dim_cuda_templateIhEESt5tupleIJNSH_6TensorESM_SM_EERKSM_lbbbEUlllE0_EEPmJS6_EEE10hipError_tPvRmT3_T4_T5_T6_T7_T9_mT8_P12ihipStream_tbDpT10_ENKUlT_T0_E_clISt17integral_constantIbLb0EES1C_EEDaS17_S18_EUlS17_E_NS1_11comp_targetILNS1_3genE5ELNS1_11target_archE942ELNS1_3gpuE9ELNS1_3repE0EEENS1_30default_config_static_selectorELNS0_4arch9wavefront6targetE1EEEvT1_,"axG",@progbits,_ZN7rocprim17ROCPRIM_400000_NS6detail17trampoline_kernelINS0_14default_configENS1_25partition_config_selectorILNS1_17partition_subalgoE8ElNS0_10empty_typeEbEEZZNS1_14partition_implILS5_8ELb0ES3_jPlPS6_PKS6_NS0_5tupleIJS9_S6_EEENSD_IJSA_SA_EEENS0_18inequality_wrapperIZN2at6native12_GLOBAL__N_124unique_dim_cuda_templateIhEESt5tupleIJNSH_6TensorESM_SM_EERKSM_lbbbEUlllE0_EEPmJS6_EEE10hipError_tPvRmT3_T4_T5_T6_T7_T9_mT8_P12ihipStream_tbDpT10_ENKUlT_T0_E_clISt17integral_constantIbLb0EES1C_EEDaS17_S18_EUlS17_E_NS1_11comp_targetILNS1_3genE5ELNS1_11target_archE942ELNS1_3gpuE9ELNS1_3repE0EEENS1_30default_config_static_selectorELNS0_4arch9wavefront6targetE1EEEvT1_,comdat
	.globl	_ZN7rocprim17ROCPRIM_400000_NS6detail17trampoline_kernelINS0_14default_configENS1_25partition_config_selectorILNS1_17partition_subalgoE8ElNS0_10empty_typeEbEEZZNS1_14partition_implILS5_8ELb0ES3_jPlPS6_PKS6_NS0_5tupleIJS9_S6_EEENSD_IJSA_SA_EEENS0_18inequality_wrapperIZN2at6native12_GLOBAL__N_124unique_dim_cuda_templateIhEESt5tupleIJNSH_6TensorESM_SM_EERKSM_lbbbEUlllE0_EEPmJS6_EEE10hipError_tPvRmT3_T4_T5_T6_T7_T9_mT8_P12ihipStream_tbDpT10_ENKUlT_T0_E_clISt17integral_constantIbLb0EES1C_EEDaS17_S18_EUlS17_E_NS1_11comp_targetILNS1_3genE5ELNS1_11target_archE942ELNS1_3gpuE9ELNS1_3repE0EEENS1_30default_config_static_selectorELNS0_4arch9wavefront6targetE1EEEvT1_ ; -- Begin function _ZN7rocprim17ROCPRIM_400000_NS6detail17trampoline_kernelINS0_14default_configENS1_25partition_config_selectorILNS1_17partition_subalgoE8ElNS0_10empty_typeEbEEZZNS1_14partition_implILS5_8ELb0ES3_jPlPS6_PKS6_NS0_5tupleIJS9_S6_EEENSD_IJSA_SA_EEENS0_18inequality_wrapperIZN2at6native12_GLOBAL__N_124unique_dim_cuda_templateIhEESt5tupleIJNSH_6TensorESM_SM_EERKSM_lbbbEUlllE0_EEPmJS6_EEE10hipError_tPvRmT3_T4_T5_T6_T7_T9_mT8_P12ihipStream_tbDpT10_ENKUlT_T0_E_clISt17integral_constantIbLb0EES1C_EEDaS17_S18_EUlS17_E_NS1_11comp_targetILNS1_3genE5ELNS1_11target_archE942ELNS1_3gpuE9ELNS1_3repE0EEENS1_30default_config_static_selectorELNS0_4arch9wavefront6targetE1EEEvT1_
	.p2align	8
	.type	_ZN7rocprim17ROCPRIM_400000_NS6detail17trampoline_kernelINS0_14default_configENS1_25partition_config_selectorILNS1_17partition_subalgoE8ElNS0_10empty_typeEbEEZZNS1_14partition_implILS5_8ELb0ES3_jPlPS6_PKS6_NS0_5tupleIJS9_S6_EEENSD_IJSA_SA_EEENS0_18inequality_wrapperIZN2at6native12_GLOBAL__N_124unique_dim_cuda_templateIhEESt5tupleIJNSH_6TensorESM_SM_EERKSM_lbbbEUlllE0_EEPmJS6_EEE10hipError_tPvRmT3_T4_T5_T6_T7_T9_mT8_P12ihipStream_tbDpT10_ENKUlT_T0_E_clISt17integral_constantIbLb0EES1C_EEDaS17_S18_EUlS17_E_NS1_11comp_targetILNS1_3genE5ELNS1_11target_archE942ELNS1_3gpuE9ELNS1_3repE0EEENS1_30default_config_static_selectorELNS0_4arch9wavefront6targetE1EEEvT1_,@function
_ZN7rocprim17ROCPRIM_400000_NS6detail17trampoline_kernelINS0_14default_configENS1_25partition_config_selectorILNS1_17partition_subalgoE8ElNS0_10empty_typeEbEEZZNS1_14partition_implILS5_8ELb0ES3_jPlPS6_PKS6_NS0_5tupleIJS9_S6_EEENSD_IJSA_SA_EEENS0_18inequality_wrapperIZN2at6native12_GLOBAL__N_124unique_dim_cuda_templateIhEESt5tupleIJNSH_6TensorESM_SM_EERKSM_lbbbEUlllE0_EEPmJS6_EEE10hipError_tPvRmT3_T4_T5_T6_T7_T9_mT8_P12ihipStream_tbDpT10_ENKUlT_T0_E_clISt17integral_constantIbLb0EES1C_EEDaS17_S18_EUlS17_E_NS1_11comp_targetILNS1_3genE5ELNS1_11target_archE942ELNS1_3gpuE9ELNS1_3repE0EEENS1_30default_config_static_selectorELNS0_4arch9wavefront6targetE1EEEvT1_: ; @_ZN7rocprim17ROCPRIM_400000_NS6detail17trampoline_kernelINS0_14default_configENS1_25partition_config_selectorILNS1_17partition_subalgoE8ElNS0_10empty_typeEbEEZZNS1_14partition_implILS5_8ELb0ES3_jPlPS6_PKS6_NS0_5tupleIJS9_S6_EEENSD_IJSA_SA_EEENS0_18inequality_wrapperIZN2at6native12_GLOBAL__N_124unique_dim_cuda_templateIhEESt5tupleIJNSH_6TensorESM_SM_EERKSM_lbbbEUlllE0_EEPmJS6_EEE10hipError_tPvRmT3_T4_T5_T6_T7_T9_mT8_P12ihipStream_tbDpT10_ENKUlT_T0_E_clISt17integral_constantIbLb0EES1C_EEDaS17_S18_EUlS17_E_NS1_11comp_targetILNS1_3genE5ELNS1_11target_archE942ELNS1_3gpuE9ELNS1_3repE0EEENS1_30default_config_static_selectorELNS0_4arch9wavefront6targetE1EEEvT1_
; %bb.0:
	.section	.rodata,"a",@progbits
	.p2align	6, 0x0
	.amdhsa_kernel _ZN7rocprim17ROCPRIM_400000_NS6detail17trampoline_kernelINS0_14default_configENS1_25partition_config_selectorILNS1_17partition_subalgoE8ElNS0_10empty_typeEbEEZZNS1_14partition_implILS5_8ELb0ES3_jPlPS6_PKS6_NS0_5tupleIJS9_S6_EEENSD_IJSA_SA_EEENS0_18inequality_wrapperIZN2at6native12_GLOBAL__N_124unique_dim_cuda_templateIhEESt5tupleIJNSH_6TensorESM_SM_EERKSM_lbbbEUlllE0_EEPmJS6_EEE10hipError_tPvRmT3_T4_T5_T6_T7_T9_mT8_P12ihipStream_tbDpT10_ENKUlT_T0_E_clISt17integral_constantIbLb0EES1C_EEDaS17_S18_EUlS17_E_NS1_11comp_targetILNS1_3genE5ELNS1_11target_archE942ELNS1_3gpuE9ELNS1_3repE0EEENS1_30default_config_static_selectorELNS0_4arch9wavefront6targetE1EEEvT1_
		.amdhsa_group_segment_fixed_size 0
		.amdhsa_private_segment_fixed_size 0
		.amdhsa_kernarg_size 120
		.amdhsa_user_sgpr_count 6
		.amdhsa_user_sgpr_private_segment_buffer 1
		.amdhsa_user_sgpr_dispatch_ptr 0
		.amdhsa_user_sgpr_queue_ptr 0
		.amdhsa_user_sgpr_kernarg_segment_ptr 1
		.amdhsa_user_sgpr_dispatch_id 0
		.amdhsa_user_sgpr_flat_scratch_init 0
		.amdhsa_user_sgpr_kernarg_preload_length 0
		.amdhsa_user_sgpr_kernarg_preload_offset 0
		.amdhsa_user_sgpr_private_segment_size 0
		.amdhsa_uses_dynamic_stack 0
		.amdhsa_system_sgpr_private_segment_wavefront_offset 0
		.amdhsa_system_sgpr_workgroup_id_x 1
		.amdhsa_system_sgpr_workgroup_id_y 0
		.amdhsa_system_sgpr_workgroup_id_z 0
		.amdhsa_system_sgpr_workgroup_info 0
		.amdhsa_system_vgpr_workitem_id 0
		.amdhsa_next_free_vgpr 1
		.amdhsa_next_free_sgpr 0
		.amdhsa_accum_offset 4
		.amdhsa_reserve_vcc 0
		.amdhsa_reserve_flat_scratch 0
		.amdhsa_float_round_mode_32 0
		.amdhsa_float_round_mode_16_64 0
		.amdhsa_float_denorm_mode_32 3
		.amdhsa_float_denorm_mode_16_64 3
		.amdhsa_dx10_clamp 1
		.amdhsa_ieee_mode 1
		.amdhsa_fp16_overflow 0
		.amdhsa_tg_split 0
		.amdhsa_exception_fp_ieee_invalid_op 0
		.amdhsa_exception_fp_denorm_src 0
		.amdhsa_exception_fp_ieee_div_zero 0
		.amdhsa_exception_fp_ieee_overflow 0
		.amdhsa_exception_fp_ieee_underflow 0
		.amdhsa_exception_fp_ieee_inexact 0
		.amdhsa_exception_int_div_zero 0
	.end_amdhsa_kernel
	.section	.text._ZN7rocprim17ROCPRIM_400000_NS6detail17trampoline_kernelINS0_14default_configENS1_25partition_config_selectorILNS1_17partition_subalgoE8ElNS0_10empty_typeEbEEZZNS1_14partition_implILS5_8ELb0ES3_jPlPS6_PKS6_NS0_5tupleIJS9_S6_EEENSD_IJSA_SA_EEENS0_18inequality_wrapperIZN2at6native12_GLOBAL__N_124unique_dim_cuda_templateIhEESt5tupleIJNSH_6TensorESM_SM_EERKSM_lbbbEUlllE0_EEPmJS6_EEE10hipError_tPvRmT3_T4_T5_T6_T7_T9_mT8_P12ihipStream_tbDpT10_ENKUlT_T0_E_clISt17integral_constantIbLb0EES1C_EEDaS17_S18_EUlS17_E_NS1_11comp_targetILNS1_3genE5ELNS1_11target_archE942ELNS1_3gpuE9ELNS1_3repE0EEENS1_30default_config_static_selectorELNS0_4arch9wavefront6targetE1EEEvT1_,"axG",@progbits,_ZN7rocprim17ROCPRIM_400000_NS6detail17trampoline_kernelINS0_14default_configENS1_25partition_config_selectorILNS1_17partition_subalgoE8ElNS0_10empty_typeEbEEZZNS1_14partition_implILS5_8ELb0ES3_jPlPS6_PKS6_NS0_5tupleIJS9_S6_EEENSD_IJSA_SA_EEENS0_18inequality_wrapperIZN2at6native12_GLOBAL__N_124unique_dim_cuda_templateIhEESt5tupleIJNSH_6TensorESM_SM_EERKSM_lbbbEUlllE0_EEPmJS6_EEE10hipError_tPvRmT3_T4_T5_T6_T7_T9_mT8_P12ihipStream_tbDpT10_ENKUlT_T0_E_clISt17integral_constantIbLb0EES1C_EEDaS17_S18_EUlS17_E_NS1_11comp_targetILNS1_3genE5ELNS1_11target_archE942ELNS1_3gpuE9ELNS1_3repE0EEENS1_30default_config_static_selectorELNS0_4arch9wavefront6targetE1EEEvT1_,comdat
.Lfunc_end162:
	.size	_ZN7rocprim17ROCPRIM_400000_NS6detail17trampoline_kernelINS0_14default_configENS1_25partition_config_selectorILNS1_17partition_subalgoE8ElNS0_10empty_typeEbEEZZNS1_14partition_implILS5_8ELb0ES3_jPlPS6_PKS6_NS0_5tupleIJS9_S6_EEENSD_IJSA_SA_EEENS0_18inequality_wrapperIZN2at6native12_GLOBAL__N_124unique_dim_cuda_templateIhEESt5tupleIJNSH_6TensorESM_SM_EERKSM_lbbbEUlllE0_EEPmJS6_EEE10hipError_tPvRmT3_T4_T5_T6_T7_T9_mT8_P12ihipStream_tbDpT10_ENKUlT_T0_E_clISt17integral_constantIbLb0EES1C_EEDaS17_S18_EUlS17_E_NS1_11comp_targetILNS1_3genE5ELNS1_11target_archE942ELNS1_3gpuE9ELNS1_3repE0EEENS1_30default_config_static_selectorELNS0_4arch9wavefront6targetE1EEEvT1_, .Lfunc_end162-_ZN7rocprim17ROCPRIM_400000_NS6detail17trampoline_kernelINS0_14default_configENS1_25partition_config_selectorILNS1_17partition_subalgoE8ElNS0_10empty_typeEbEEZZNS1_14partition_implILS5_8ELb0ES3_jPlPS6_PKS6_NS0_5tupleIJS9_S6_EEENSD_IJSA_SA_EEENS0_18inequality_wrapperIZN2at6native12_GLOBAL__N_124unique_dim_cuda_templateIhEESt5tupleIJNSH_6TensorESM_SM_EERKSM_lbbbEUlllE0_EEPmJS6_EEE10hipError_tPvRmT3_T4_T5_T6_T7_T9_mT8_P12ihipStream_tbDpT10_ENKUlT_T0_E_clISt17integral_constantIbLb0EES1C_EEDaS17_S18_EUlS17_E_NS1_11comp_targetILNS1_3genE5ELNS1_11target_archE942ELNS1_3gpuE9ELNS1_3repE0EEENS1_30default_config_static_selectorELNS0_4arch9wavefront6targetE1EEEvT1_
                                        ; -- End function
	.section	.AMDGPU.csdata,"",@progbits
; Kernel info:
; codeLenInByte = 0
; NumSgprs: 4
; NumVgprs: 0
; NumAgprs: 0
; TotalNumVgprs: 0
; ScratchSize: 0
; MemoryBound: 0
; FloatMode: 240
; IeeeMode: 1
; LDSByteSize: 0 bytes/workgroup (compile time only)
; SGPRBlocks: 0
; VGPRBlocks: 0
; NumSGPRsForWavesPerEU: 4
; NumVGPRsForWavesPerEU: 1
; AccumOffset: 4
; Occupancy: 8
; WaveLimiterHint : 0
; COMPUTE_PGM_RSRC2:SCRATCH_EN: 0
; COMPUTE_PGM_RSRC2:USER_SGPR: 6
; COMPUTE_PGM_RSRC2:TRAP_HANDLER: 0
; COMPUTE_PGM_RSRC2:TGID_X_EN: 1
; COMPUTE_PGM_RSRC2:TGID_Y_EN: 0
; COMPUTE_PGM_RSRC2:TGID_Z_EN: 0
; COMPUTE_PGM_RSRC2:TIDIG_COMP_CNT: 0
; COMPUTE_PGM_RSRC3_GFX90A:ACCUM_OFFSET: 0
; COMPUTE_PGM_RSRC3_GFX90A:TG_SPLIT: 0
	.section	.text._ZN7rocprim17ROCPRIM_400000_NS6detail17trampoline_kernelINS0_14default_configENS1_25partition_config_selectorILNS1_17partition_subalgoE8ElNS0_10empty_typeEbEEZZNS1_14partition_implILS5_8ELb0ES3_jPlPS6_PKS6_NS0_5tupleIJS9_S6_EEENSD_IJSA_SA_EEENS0_18inequality_wrapperIZN2at6native12_GLOBAL__N_124unique_dim_cuda_templateIhEESt5tupleIJNSH_6TensorESM_SM_EERKSM_lbbbEUlllE0_EEPmJS6_EEE10hipError_tPvRmT3_T4_T5_T6_T7_T9_mT8_P12ihipStream_tbDpT10_ENKUlT_T0_E_clISt17integral_constantIbLb0EES1C_EEDaS17_S18_EUlS17_E_NS1_11comp_targetILNS1_3genE4ELNS1_11target_archE910ELNS1_3gpuE8ELNS1_3repE0EEENS1_30default_config_static_selectorELNS0_4arch9wavefront6targetE1EEEvT1_,"axG",@progbits,_ZN7rocprim17ROCPRIM_400000_NS6detail17trampoline_kernelINS0_14default_configENS1_25partition_config_selectorILNS1_17partition_subalgoE8ElNS0_10empty_typeEbEEZZNS1_14partition_implILS5_8ELb0ES3_jPlPS6_PKS6_NS0_5tupleIJS9_S6_EEENSD_IJSA_SA_EEENS0_18inequality_wrapperIZN2at6native12_GLOBAL__N_124unique_dim_cuda_templateIhEESt5tupleIJNSH_6TensorESM_SM_EERKSM_lbbbEUlllE0_EEPmJS6_EEE10hipError_tPvRmT3_T4_T5_T6_T7_T9_mT8_P12ihipStream_tbDpT10_ENKUlT_T0_E_clISt17integral_constantIbLb0EES1C_EEDaS17_S18_EUlS17_E_NS1_11comp_targetILNS1_3genE4ELNS1_11target_archE910ELNS1_3gpuE8ELNS1_3repE0EEENS1_30default_config_static_selectorELNS0_4arch9wavefront6targetE1EEEvT1_,comdat
	.globl	_ZN7rocprim17ROCPRIM_400000_NS6detail17trampoline_kernelINS0_14default_configENS1_25partition_config_selectorILNS1_17partition_subalgoE8ElNS0_10empty_typeEbEEZZNS1_14partition_implILS5_8ELb0ES3_jPlPS6_PKS6_NS0_5tupleIJS9_S6_EEENSD_IJSA_SA_EEENS0_18inequality_wrapperIZN2at6native12_GLOBAL__N_124unique_dim_cuda_templateIhEESt5tupleIJNSH_6TensorESM_SM_EERKSM_lbbbEUlllE0_EEPmJS6_EEE10hipError_tPvRmT3_T4_T5_T6_T7_T9_mT8_P12ihipStream_tbDpT10_ENKUlT_T0_E_clISt17integral_constantIbLb0EES1C_EEDaS17_S18_EUlS17_E_NS1_11comp_targetILNS1_3genE4ELNS1_11target_archE910ELNS1_3gpuE8ELNS1_3repE0EEENS1_30default_config_static_selectorELNS0_4arch9wavefront6targetE1EEEvT1_ ; -- Begin function _ZN7rocprim17ROCPRIM_400000_NS6detail17trampoline_kernelINS0_14default_configENS1_25partition_config_selectorILNS1_17partition_subalgoE8ElNS0_10empty_typeEbEEZZNS1_14partition_implILS5_8ELb0ES3_jPlPS6_PKS6_NS0_5tupleIJS9_S6_EEENSD_IJSA_SA_EEENS0_18inequality_wrapperIZN2at6native12_GLOBAL__N_124unique_dim_cuda_templateIhEESt5tupleIJNSH_6TensorESM_SM_EERKSM_lbbbEUlllE0_EEPmJS6_EEE10hipError_tPvRmT3_T4_T5_T6_T7_T9_mT8_P12ihipStream_tbDpT10_ENKUlT_T0_E_clISt17integral_constantIbLb0EES1C_EEDaS17_S18_EUlS17_E_NS1_11comp_targetILNS1_3genE4ELNS1_11target_archE910ELNS1_3gpuE8ELNS1_3repE0EEENS1_30default_config_static_selectorELNS0_4arch9wavefront6targetE1EEEvT1_
	.p2align	8
	.type	_ZN7rocprim17ROCPRIM_400000_NS6detail17trampoline_kernelINS0_14default_configENS1_25partition_config_selectorILNS1_17partition_subalgoE8ElNS0_10empty_typeEbEEZZNS1_14partition_implILS5_8ELb0ES3_jPlPS6_PKS6_NS0_5tupleIJS9_S6_EEENSD_IJSA_SA_EEENS0_18inequality_wrapperIZN2at6native12_GLOBAL__N_124unique_dim_cuda_templateIhEESt5tupleIJNSH_6TensorESM_SM_EERKSM_lbbbEUlllE0_EEPmJS6_EEE10hipError_tPvRmT3_T4_T5_T6_T7_T9_mT8_P12ihipStream_tbDpT10_ENKUlT_T0_E_clISt17integral_constantIbLb0EES1C_EEDaS17_S18_EUlS17_E_NS1_11comp_targetILNS1_3genE4ELNS1_11target_archE910ELNS1_3gpuE8ELNS1_3repE0EEENS1_30default_config_static_selectorELNS0_4arch9wavefront6targetE1EEEvT1_,@function
_ZN7rocprim17ROCPRIM_400000_NS6detail17trampoline_kernelINS0_14default_configENS1_25partition_config_selectorILNS1_17partition_subalgoE8ElNS0_10empty_typeEbEEZZNS1_14partition_implILS5_8ELb0ES3_jPlPS6_PKS6_NS0_5tupleIJS9_S6_EEENSD_IJSA_SA_EEENS0_18inequality_wrapperIZN2at6native12_GLOBAL__N_124unique_dim_cuda_templateIhEESt5tupleIJNSH_6TensorESM_SM_EERKSM_lbbbEUlllE0_EEPmJS6_EEE10hipError_tPvRmT3_T4_T5_T6_T7_T9_mT8_P12ihipStream_tbDpT10_ENKUlT_T0_E_clISt17integral_constantIbLb0EES1C_EEDaS17_S18_EUlS17_E_NS1_11comp_targetILNS1_3genE4ELNS1_11target_archE910ELNS1_3gpuE8ELNS1_3repE0EEENS1_30default_config_static_selectorELNS0_4arch9wavefront6targetE1EEEvT1_: ; @_ZN7rocprim17ROCPRIM_400000_NS6detail17trampoline_kernelINS0_14default_configENS1_25partition_config_selectorILNS1_17partition_subalgoE8ElNS0_10empty_typeEbEEZZNS1_14partition_implILS5_8ELb0ES3_jPlPS6_PKS6_NS0_5tupleIJS9_S6_EEENSD_IJSA_SA_EEENS0_18inequality_wrapperIZN2at6native12_GLOBAL__N_124unique_dim_cuda_templateIhEESt5tupleIJNSH_6TensorESM_SM_EERKSM_lbbbEUlllE0_EEPmJS6_EEE10hipError_tPvRmT3_T4_T5_T6_T7_T9_mT8_P12ihipStream_tbDpT10_ENKUlT_T0_E_clISt17integral_constantIbLb0EES1C_EEDaS17_S18_EUlS17_E_NS1_11comp_targetILNS1_3genE4ELNS1_11target_archE910ELNS1_3gpuE8ELNS1_3repE0EEENS1_30default_config_static_selectorELNS0_4arch9wavefront6targetE1EEEvT1_
; %bb.0:
	s_load_dwordx8 s[20:27], s[4:5], 0x40
	s_load_dwordx4 s[0:3], s[4:5], 0x8
	s_load_dwordx4 s[28:31], s[4:5], 0x60
	s_load_dword s7, s[4:5], 0x70
	s_waitcnt lgkmcnt(0)
	v_mov_b32_e32 v2, s24
	s_lshl_b64 s[8:9], s[2:3], 3
	s_add_u32 s12, s0, s8
	s_mul_i32 s8, s7, 0x500
	s_addc_u32 s13, s1, s9
	s_add_i32 s1, s8, s2
	s_add_i32 s10, s7, -1
	s_sub_i32 s7, s24, s1
	s_add_u32 s8, s2, s8
	s_addc_u32 s9, s3, 0
	v_mov_b32_e32 v3, s25
	s_cmp_eq_u32 s6, s10
	s_load_dwordx2 s[22:23], s[22:23], 0x0
	v_cmp_ge_u64_e32 vcc, s[8:9], v[2:3]
	s_cselect_b64 s[24:25], -1, 0
	s_mul_i32 s0, s6, 0x500
	s_mov_b32 s1, 0
	s_and_b64 s[8:9], s[24:25], vcc
	s_xor_b64 s[34:35], s[8:9], -1
	s_lshl_b64 s[0:1], s[0:1], 3
	s_add_u32 s0, s12, s0
	s_mov_b64 s[10:11], -1
	s_addc_u32 s1, s13, s1
	s_and_b64 vcc, exec, s[34:35]
	s_cbranch_vccz .LBB163_2
; %bb.1:
	v_lshlrev_b32_e32 v1, 3, v0
	v_mov_b32_e32 v2, s1
	v_add_co_u32_e32 v12, vcc, s0, v1
	v_addc_co_u32_e32 v13, vcc, 0, v2, vcc
	v_add_co_u32_e32 v2, vcc, 0x1000, v12
	v_addc_co_u32_e32 v3, vcc, 0, v13, vcc
	global_load_dwordx2 v[4:5], v1, s[0:1]
	global_load_dwordx2 v[6:7], v1, s[0:1] offset:2048
	global_load_dwordx2 v[8:9], v[2:3], off
	global_load_dwordx2 v[10:11], v[2:3], off offset:2048
	v_add_co_u32_e32 v2, vcc, 0x2000, v12
	v_addc_co_u32_e32 v3, vcc, 0, v13, vcc
	global_load_dwordx2 v[2:3], v[2:3], off
	s_mov_b64 s[10:11], 0
	s_waitcnt vmcnt(3)
	ds_write2st64_b64 v1, v[4:5], v[6:7] offset1:4
	s_waitcnt vmcnt(1)
	ds_write2st64_b64 v1, v[8:9], v[10:11] offset0:8 offset1:12
	s_waitcnt vmcnt(0)
	ds_write_b64 v1, v[2:3] offset:8192
	s_waitcnt lgkmcnt(0)
	s_barrier
.LBB163_2:
	s_andn2_b64 vcc, exec, s[10:11]
	s_addk_i32 s7, 0x500
	s_cbranch_vccnz .LBB163_14
; %bb.3:
	v_cmp_gt_u32_e32 vcc, s7, v0
                                        ; implicit-def: $vgpr2_vgpr3_vgpr4_vgpr5_vgpr6_vgpr7_vgpr8_vgpr9_vgpr10_vgpr11_vgpr12_vgpr13_vgpr14_vgpr15_vgpr16_vgpr17
	s_and_saveexec_b64 s[10:11], vcc
	s_cbranch_execz .LBB163_5
; %bb.4:
	v_lshlrev_b32_e32 v1, 3, v0
	global_load_dwordx2 v[2:3], v1, s[0:1]
.LBB163_5:
	s_or_b64 exec, exec, s[10:11]
	v_or_b32_e32 v1, 0x100, v0
	v_cmp_gt_u32_e32 vcc, s7, v1
	s_and_saveexec_b64 s[10:11], vcc
	s_cbranch_execz .LBB163_7
; %bb.6:
	v_lshlrev_b32_e32 v1, 3, v0
	global_load_dwordx2 v[4:5], v1, s[0:1] offset:2048
.LBB163_7:
	s_or_b64 exec, exec, s[10:11]
	v_or_b32_e32 v1, 0x200, v0
	v_cmp_gt_u32_e32 vcc, s7, v1
	s_and_saveexec_b64 s[10:11], vcc
	s_cbranch_execz .LBB163_9
; %bb.8:
	v_lshlrev_b32_e32 v1, 3, v1
	global_load_dwordx2 v[6:7], v1, s[0:1]
.LBB163_9:
	s_or_b64 exec, exec, s[10:11]
	v_or_b32_e32 v1, 0x300, v0
	v_cmp_gt_u32_e32 vcc, s7, v1
	s_and_saveexec_b64 s[10:11], vcc
	s_cbranch_execz .LBB163_11
; %bb.10:
	v_lshlrev_b32_e32 v1, 3, v1
	global_load_dwordx2 v[8:9], v1, s[0:1]
.LBB163_11:
	;; [unrolled: 9-line block ×3, first 2 shown]
	s_or_b64 exec, exec, s[10:11]
	v_lshlrev_b32_e32 v1, 3, v0
	s_waitcnt vmcnt(0)
	ds_write2st64_b64 v1, v[2:3], v[4:5] offset1:4
	ds_write2st64_b64 v1, v[6:7], v[8:9] offset0:8 offset1:12
	ds_write_b64 v1, v[10:11] offset:8192
	s_waitcnt lgkmcnt(0)
	s_barrier
.LBB163_14:
	v_mul_u32_u24_e32 v1, 5, v0
	v_lshlrev_b32_e32 v24, 3, v1
	s_waitcnt lgkmcnt(0)
	ds_read2_b64 v[6:9], v24 offset1:1
	ds_read2_b64 v[2:5], v24 offset0:2 offset1:3
	ds_read_b64 v[10:11], v24 offset:32
	s_cmp_lg_u32 s6, 0
	s_cselect_b64 s[16:17], -1, 0
	s_cmp_lg_u64 s[2:3], 0
	s_cselect_b64 s[2:3], -1, 0
	s_or_b64 s[2:3], s[16:17], s[2:3]
	v_mad_u32_u24 v22, v0, 5, 1
	v_mad_u32_u24 v20, v0, 5, 2
	;; [unrolled: 1-line block ×4, first 2 shown]
	s_mov_b64 s[10:11], 0
	s_and_b64 vcc, exec, s[2:3]
	v_cmp_gt_i64_e64 s[12:13], s[26:27], 0
	s_waitcnt lgkmcnt(0)
	s_barrier
	s_cbranch_vccz .LBB163_23
; %bb.15:
	s_add_u32 s0, s0, -8
	s_addc_u32 s1, s1, -1
	s_load_dwordx2 s[2:3], s[0:1], 0x0
	v_cndmask_b32_e64 v12, 0, 1, s[12:13]
	v_lshlrev_b32_e32 v25, 3, v0
	s_and_b64 vcc, exec, s[34:35]
	v_cmp_ne_u32_e64 s[0:1], 1, v12
	ds_write_b64 v25, v[10:11]
	s_cbranch_vccz .LBB163_24
; %bb.16:
	v_mul_lo_u32 v14, v5, s26
	v_mul_lo_u32 v15, v4, s27
	v_mad_u64_u32 v[12:13], s[12:13], v4, s26, 0
	s_and_b64 vcc, exec, s[0:1]
	v_add3_u32 v13, v13, v15, v14
	s_cbranch_vccnz .LBB163_27
; %bb.17:
	v_mov_b32_e32 v15, s29
	v_add_co_u32_e32 v14, vcc, s28, v12
	v_pk_mov_b32 v[16:17], s[28:29], s[28:29] op_sel:[0,1]
	v_addc_co_u32_e32 v15, vcc, v15, v13, vcc
	v_mad_u64_u32 v[16:17], s[10:11], v10, s26, v[16:17]
	v_mul_lo_u32 v18, v10, s27
	v_mul_lo_u32 v19, v11, s26
	v_add3_u32 v17, v19, v17, v18
	global_load_ubyte v18, v[14:15], off
	global_load_ubyte v19, v[16:17], off
	s_mov_b64 s[10:11], -1
	s_waitcnt vmcnt(0)
	v_cmp_eq_u16_e32 vcc, v18, v19
	s_and_saveexec_b64 s[12:13], vcc
	s_cbranch_execz .LBB163_26
; %bb.18:
	s_mov_b64 s[18:19], 1
	s_mov_b64 s[10:11], 0
                                        ; implicit-def: $sgpr14_sgpr15
	s_branch .LBB163_21
.LBB163_19:                             ;   in Loop: Header=BB163_21 Depth=1
	v_mov_b32_e32 v27, s19
	v_add_co_u32_e32 v18, vcc, s18, v14
	v_addc_co_u32_e32 v19, vcc, v15, v27, vcc
	v_add_co_u32_e32 v26, vcc, s18, v16
	v_addc_co_u32_e32 v27, vcc, v17, v27, vcc
	global_load_ubyte v28, v[18:19], off
	global_load_ubyte v29, v[26:27], off
	s_add_u32 s36, s18, 1
	s_addc_u32 s37, s19, 0
	s_andn2_b64 s[14:15], s[14:15], exec
	s_waitcnt vmcnt(0)
	v_cmp_ne_u16_e32 vcc, v28, v29
	s_and_b64 s[38:39], vcc, exec
	s_or_b64 s[14:15], s[14:15], s[38:39]
.LBB163_20:                             ;   in Loop: Header=BB163_21 Depth=1
	s_and_b64 s[38:39], exec, s[14:15]
	s_or_b64 s[10:11], s[38:39], s[10:11]
	v_pk_mov_b32 v[18:19], s[18:19], s[18:19] op_sel:[0,1]
	s_mov_b64 s[18:19], s[36:37]
	s_andn2_b64 exec, exec, s[10:11]
	s_cbranch_execz .LBB163_25
.LBB163_21:                             ; =>This Inner Loop Header: Depth=1
	s_or_b64 s[14:15], s[14:15], exec
	s_cmp_eq_u64 s[26:27], s[18:19]
	s_cbranch_scc0 .LBB163_19
; %bb.22:                               ;   in Loop: Header=BB163_21 Depth=1
                                        ; implicit-def: $sgpr36_sgpr37
	s_mov_b64 s[18:19], s[26:27]
	s_branch .LBB163_20
.LBB163_23:
                                        ; implicit-def: $sgpr12_sgpr13
                                        ; implicit-def: $vgpr13
                                        ; implicit-def: $vgpr15
	s_branch .LBB163_125
.LBB163_24:
                                        ; implicit-def: $sgpr12_sgpr13
                                        ; implicit-def: $vgpr13
                                        ; implicit-def: $vgpr15
	s_cbranch_execnz .LBB163_66
	s_branch .LBB163_124
.LBB163_25:
	s_or_b64 exec, exec, s[10:11]
	v_cmp_gt_i64_e32 vcc, s[26:27], v[18:19]
	s_orn2_b64 s[10:11], vcc, exec
.LBB163_26:
	s_or_b64 exec, exec, s[12:13]
.LBB163_27:
	v_mul_lo_u32 v14, v3, s26
	v_mul_lo_u32 v15, v2, s27
	v_mad_u64_u32 v[16:17], s[12:13], v2, s26, 0
	v_add3_u32 v17, v17, v15, v14
	s_mov_b64 s[12:13], 0
	s_and_b64 vcc, exec, s[0:1]
	s_mov_b64 s[14:15], 0
	s_cbranch_vccnz .LBB163_36
; %bb.28:
	v_mov_b32_e32 v15, s29
	v_add_co_u32_e32 v14, vcc, s28, v16
	v_addc_co_u32_e32 v15, vcc, v15, v17, vcc
	v_mov_b32_e32 v18, s29
	v_add_co_u32_e32 v12, vcc, s28, v12
	v_addc_co_u32_e32 v13, vcc, v18, v13, vcc
	global_load_ubyte v18, v[14:15], off
	global_load_ubyte v19, v[12:13], off
	s_mov_b64 s[14:15], -1
	s_waitcnt vmcnt(0)
	v_cmp_eq_u16_e32 vcc, v18, v19
	s_and_saveexec_b64 s[18:19], vcc
	s_cbranch_execz .LBB163_35
; %bb.29:
	s_mov_b64 s[38:39], 1
	s_mov_b64 s[14:15], 0
                                        ; implicit-def: $sgpr36_sgpr37
	s_branch .LBB163_32
.LBB163_30:                             ;   in Loop: Header=BB163_32 Depth=1
	v_mov_b32_e32 v27, s39
	v_add_co_u32_e32 v18, vcc, s38, v14
	v_addc_co_u32_e32 v19, vcc, v15, v27, vcc
	v_add_co_u32_e32 v26, vcc, s38, v12
	v_addc_co_u32_e32 v27, vcc, v13, v27, vcc
	global_load_ubyte v28, v[18:19], off
	global_load_ubyte v29, v[26:27], off
	s_add_u32 s40, s38, 1
	s_addc_u32 s41, s39, 0
	s_andn2_b64 s[36:37], s[36:37], exec
	s_waitcnt vmcnt(0)
	v_cmp_ne_u16_e32 vcc, v28, v29
	s_and_b64 s[42:43], vcc, exec
	s_or_b64 s[36:37], s[36:37], s[42:43]
.LBB163_31:                             ;   in Loop: Header=BB163_32 Depth=1
	s_and_b64 s[42:43], exec, s[36:37]
	s_or_b64 s[14:15], s[42:43], s[14:15]
	v_pk_mov_b32 v[18:19], s[38:39], s[38:39] op_sel:[0,1]
	s_mov_b64 s[38:39], s[40:41]
	s_andn2_b64 exec, exec, s[14:15]
	s_cbranch_execz .LBB163_34
.LBB163_32:                             ; =>This Inner Loop Header: Depth=1
	s_or_b64 s[36:37], s[36:37], exec
	s_cmp_eq_u64 s[26:27], s[38:39]
	s_cbranch_scc0 .LBB163_30
; %bb.33:                               ;   in Loop: Header=BB163_32 Depth=1
                                        ; implicit-def: $sgpr40_sgpr41
	s_mov_b64 s[38:39], s[26:27]
	s_branch .LBB163_31
.LBB163_34:
	s_or_b64 exec, exec, s[14:15]
	v_cmp_gt_i64_e32 vcc, s[26:27], v[18:19]
	s_orn2_b64 s[14:15], vcc, exec
.LBB163_35:
	s_or_b64 exec, exec, s[18:19]
.LBB163_36:
	v_mul_lo_u32 v12, v9, s26
	v_mul_lo_u32 v13, v8, s27
	v_mad_u64_u32 v[14:15], s[18:19], v8, s26, 0
	s_and_b64 vcc, exec, s[0:1]
	v_add3_u32 v15, v15, v13, v12
	s_cbranch_vccnz .LBB163_45
; %bb.37:
	v_mov_b32_e32 v13, s29
	v_add_co_u32_e32 v12, vcc, s28, v14
	v_addc_co_u32_e32 v13, vcc, v13, v15, vcc
	v_mov_b32_e32 v18, s29
	v_add_co_u32_e32 v16, vcc, s28, v16
	v_addc_co_u32_e32 v17, vcc, v18, v17, vcc
	global_load_ubyte v18, v[12:13], off
	global_load_ubyte v19, v[16:17], off
	s_mov_b64 s[12:13], -1
	s_waitcnt vmcnt(0)
	v_cmp_eq_u16_e32 vcc, v18, v19
	s_and_saveexec_b64 s[18:19], vcc
	s_cbranch_execz .LBB163_44
; %bb.38:
	s_mov_b64 s[38:39], 1
	s_mov_b64 s[12:13], 0
                                        ; implicit-def: $sgpr36_sgpr37
	s_branch .LBB163_41
.LBB163_39:                             ;   in Loop: Header=BB163_41 Depth=1
	v_mov_b32_e32 v27, s39
	v_add_co_u32_e32 v18, vcc, s38, v12
	v_addc_co_u32_e32 v19, vcc, v13, v27, vcc
	v_add_co_u32_e32 v26, vcc, s38, v16
	v_addc_co_u32_e32 v27, vcc, v17, v27, vcc
	global_load_ubyte v28, v[18:19], off
	global_load_ubyte v29, v[26:27], off
	s_add_u32 s40, s38, 1
	s_addc_u32 s41, s39, 0
	s_andn2_b64 s[36:37], s[36:37], exec
	s_waitcnt vmcnt(0)
	v_cmp_ne_u16_e32 vcc, v28, v29
	s_and_b64 s[42:43], vcc, exec
	s_or_b64 s[36:37], s[36:37], s[42:43]
.LBB163_40:                             ;   in Loop: Header=BB163_41 Depth=1
	s_and_b64 s[42:43], exec, s[36:37]
	s_or_b64 s[12:13], s[42:43], s[12:13]
	v_pk_mov_b32 v[18:19], s[38:39], s[38:39] op_sel:[0,1]
	s_mov_b64 s[38:39], s[40:41]
	s_andn2_b64 exec, exec, s[12:13]
	s_cbranch_execz .LBB163_43
.LBB163_41:                             ; =>This Inner Loop Header: Depth=1
	s_or_b64 s[36:37], s[36:37], exec
	s_cmp_eq_u64 s[26:27], s[38:39]
	s_cbranch_scc0 .LBB163_39
; %bb.42:                               ;   in Loop: Header=BB163_41 Depth=1
                                        ; implicit-def: $sgpr40_sgpr41
	s_mov_b64 s[38:39], s[26:27]
	s_branch .LBB163_40
.LBB163_43:
	s_or_b64 exec, exec, s[12:13]
	v_cmp_gt_i64_e32 vcc, s[26:27], v[18:19]
	s_orn2_b64 s[12:13], vcc, exec
.LBB163_44:
	s_or_b64 exec, exec, s[18:19]
.LBB163_45:
	v_mul_lo_u32 v16, v7, s26
	v_mul_lo_u32 v17, v6, s27
	v_mad_u64_u32 v[12:13], s[18:19], v6, s26, 0
	v_add3_u32 v13, v13, v17, v16
	s_and_b64 vcc, exec, s[0:1]
	s_mov_b64 s[36:37], 0
	s_cbranch_vccnz .LBB163_54
; %bb.46:
	v_mov_b32_e32 v17, s29
	v_add_co_u32_e32 v16, vcc, s28, v12
	v_addc_co_u32_e32 v17, vcc, v17, v13, vcc
	v_mov_b32_e32 v18, s29
	v_add_co_u32_e32 v14, vcc, s28, v14
	v_addc_co_u32_e32 v15, vcc, v18, v15, vcc
	global_load_ubyte v18, v[16:17], off
	global_load_ubyte v19, v[14:15], off
	s_mov_b64 s[36:37], -1
	s_waitcnt vmcnt(0)
	v_cmp_eq_u16_e32 vcc, v18, v19
	s_and_saveexec_b64 s[18:19], vcc
	s_cbranch_execz .LBB163_53
; %bb.47:
	s_mov_b64 s[40:41], 1
	s_mov_b64 s[36:37], 0
                                        ; implicit-def: $sgpr38_sgpr39
	s_branch .LBB163_50
.LBB163_48:                             ;   in Loop: Header=BB163_50 Depth=1
	v_mov_b32_e32 v27, s41
	v_add_co_u32_e32 v18, vcc, s40, v16
	v_addc_co_u32_e32 v19, vcc, v17, v27, vcc
	v_add_co_u32_e32 v26, vcc, s40, v14
	v_addc_co_u32_e32 v27, vcc, v15, v27, vcc
	global_load_ubyte v28, v[18:19], off
	global_load_ubyte v29, v[26:27], off
	s_add_u32 s42, s40, 1
	s_addc_u32 s43, s41, 0
	s_andn2_b64 s[38:39], s[38:39], exec
	s_waitcnt vmcnt(0)
	v_cmp_ne_u16_e32 vcc, v28, v29
	s_and_b64 s[44:45], vcc, exec
	s_or_b64 s[38:39], s[38:39], s[44:45]
.LBB163_49:                             ;   in Loop: Header=BB163_50 Depth=1
	s_and_b64 s[44:45], exec, s[38:39]
	s_or_b64 s[36:37], s[44:45], s[36:37]
	v_pk_mov_b32 v[18:19], s[40:41], s[40:41] op_sel:[0,1]
	s_mov_b64 s[40:41], s[42:43]
	s_andn2_b64 exec, exec, s[36:37]
	s_cbranch_execz .LBB163_52
.LBB163_50:                             ; =>This Inner Loop Header: Depth=1
	s_or_b64 s[38:39], s[38:39], exec
	s_cmp_eq_u64 s[26:27], s[40:41]
	s_cbranch_scc0 .LBB163_48
; %bb.51:                               ;   in Loop: Header=BB163_50 Depth=1
                                        ; implicit-def: $sgpr42_sgpr43
	s_mov_b64 s[40:41], s[26:27]
	s_branch .LBB163_49
.LBB163_52:
	s_or_b64 exec, exec, s[36:37]
	v_cmp_gt_i64_e32 vcc, s[26:27], v[18:19]
	s_orn2_b64 s[36:37], vcc, exec
.LBB163_53:
	s_or_b64 exec, exec, s[18:19]
.LBB163_54:
	v_cmp_ne_u32_e32 vcc, 0, v0
	s_waitcnt lgkmcnt(0)
	v_pk_mov_b32 v[16:17], s[2:3], s[2:3] op_sel:[0,1]
	s_barrier
	s_and_saveexec_b64 s[18:19], vcc
	s_cbranch_execz .LBB163_56
; %bb.55:
	v_add_u32_e32 v14, -8, v25
	ds_read_b64 v[16:17], v14
.LBB163_56:
	s_or_b64 exec, exec, s[18:19]
	v_cndmask_b32_e64 v15, 0, 1, s[14:15]
	v_cndmask_b32_e64 v14, 0, 1, s[12:13]
	;; [unrolled: 1-line block ×3, first 2 shown]
	v_lshlrev_b16_e32 v15, 8, v15
	v_lshlrev_b16_e32 v18, 8, v18
	v_or_b32_sdwa v19, v14, v15 dst_sel:WORD_1 dst_unused:UNUSED_PAD src0_sel:DWORD src1_sel:DWORD
	s_mov_b64 s[14:15], 0
	s_and_b64 vcc, exec, s[0:1]
	s_mov_b64 s[12:13], 0
	s_cbranch_vccnz .LBB163_65
; %bb.57:
	v_pk_mov_b32 v[14:15], s[28:29], s[28:29] op_sel:[0,1]
	s_waitcnt lgkmcnt(0)
	v_mad_u64_u32 v[14:15], s[12:13], v16, s26, v[14:15]
	v_mul_lo_u32 v16, v16, s27
	v_mul_lo_u32 v17, v17, s26
	v_add3_u32 v15, v17, v15, v16
	v_mov_b32_e32 v16, s29
	v_add_co_u32_e32 v12, vcc, s28, v12
	v_addc_co_u32_e32 v13, vcc, v16, v13, vcc
	global_load_ubyte v16, v[14:15], off
	global_load_ubyte v17, v[12:13], off
	s_mov_b64 s[12:13], -1
	s_waitcnt vmcnt(0)
	v_cmp_eq_u16_e32 vcc, v16, v17
	s_and_saveexec_b64 s[18:19], vcc
	s_cbranch_execz .LBB163_64
; %bb.58:
	s_mov_b64 s[38:39], 1
	s_mov_b64 s[12:13], 0
                                        ; implicit-def: $sgpr36_sgpr37
	s_branch .LBB163_61
.LBB163_59:                             ;   in Loop: Header=BB163_61 Depth=1
	v_mov_b32_e32 v27, s39
	v_add_co_u32_e32 v16, vcc, s38, v14
	v_addc_co_u32_e32 v17, vcc, v15, v27, vcc
	v_add_co_u32_e32 v26, vcc, s38, v12
	v_addc_co_u32_e32 v27, vcc, v13, v27, vcc
	global_load_ubyte v28, v[16:17], off
	global_load_ubyte v29, v[26:27], off
	s_add_u32 s40, s38, 1
	s_addc_u32 s41, s39, 0
	s_andn2_b64 s[36:37], s[36:37], exec
	s_waitcnt vmcnt(0)
	v_cmp_ne_u16_e32 vcc, v28, v29
	s_and_b64 s[42:43], vcc, exec
	s_or_b64 s[36:37], s[36:37], s[42:43]
.LBB163_60:                             ;   in Loop: Header=BB163_61 Depth=1
	s_and_b64 s[42:43], exec, s[36:37]
	s_or_b64 s[12:13], s[42:43], s[12:13]
	v_pk_mov_b32 v[16:17], s[38:39], s[38:39] op_sel:[0,1]
	s_mov_b64 s[38:39], s[40:41]
	s_andn2_b64 exec, exec, s[12:13]
	s_cbranch_execz .LBB163_63
.LBB163_61:                             ; =>This Inner Loop Header: Depth=1
	s_or_b64 s[36:37], s[36:37], exec
	s_cmp_eq_u64 s[26:27], s[38:39]
	s_cbranch_scc0 .LBB163_59
; %bb.62:                               ;   in Loop: Header=BB163_61 Depth=1
                                        ; implicit-def: $sgpr40_sgpr41
	s_mov_b64 s[38:39], s[26:27]
	s_branch .LBB163_60
.LBB163_63:
	s_or_b64 exec, exec, s[12:13]
	v_cmp_gt_i64_e32 vcc, s[26:27], v[16:17]
	s_orn2_b64 s[12:13], vcc, exec
.LBB163_64:
	s_or_b64 exec, exec, s[18:19]
.LBB163_65:
	v_cndmask_b32_e64 v13, 0, 1, s[10:11]
	v_or_b32_e32 v15, v18, v19
	s_and_b64 vcc, exec, s[14:15]
	s_cbranch_vccz .LBB163_124
.LBB163_66:
	v_cmp_gt_u32_e32 vcc, s7, v21
	s_mov_b64 s[12:13], 0
	s_mov_b64 s[10:11], 0
	s_and_saveexec_b64 s[14:15], vcc
	s_cbranch_execz .LBB163_77
; %bb.67:
	s_and_b64 vcc, exec, s[0:1]
	s_mov_b64 s[18:19], 0
	s_cbranch_vccnz .LBB163_76
; %bb.68:
	v_pk_mov_b32 v[14:15], s[28:29], s[28:29] op_sel:[0,1]
	v_mad_u64_u32 v[12:13], s[10:11], v4, s26, v[14:15]
	s_waitcnt lgkmcnt(0)
	v_mul_lo_u32 v16, v4, s27
	v_mul_lo_u32 v17, v5, s26
	v_add3_u32 v13, v17, v13, v16
	v_mad_u64_u32 v[14:15], s[10:11], v10, s26, v[14:15]
	v_mul_lo_u32 v16, v10, s27
	v_mul_lo_u32 v17, v11, s26
	v_add3_u32 v15, v17, v15, v16
	global_load_ubyte v16, v[12:13], off
	global_load_ubyte v17, v[14:15], off
	s_mov_b64 s[18:19], -1
	s_waitcnt vmcnt(0)
	v_cmp_eq_u16_e32 vcc, v16, v17
	s_and_saveexec_b64 s[10:11], vcc
	s_cbranch_execz .LBB163_75
; %bb.69:
	s_mov_b64 s[38:39], 1
	s_mov_b64 s[18:19], 0
                                        ; implicit-def: $sgpr36_sgpr37
	s_branch .LBB163_72
.LBB163_70:                             ;   in Loop: Header=BB163_72 Depth=1
	v_mov_b32_e32 v19, s39
	v_add_co_u32_e32 v16, vcc, s38, v12
	v_addc_co_u32_e32 v17, vcc, v13, v19, vcc
	v_add_co_u32_e32 v18, vcc, s38, v14
	v_addc_co_u32_e32 v19, vcc, v15, v19, vcc
	global_load_ubyte v26, v[16:17], off
	global_load_ubyte v27, v[18:19], off
	s_add_u32 s40, s38, 1
	s_addc_u32 s41, s39, 0
	s_andn2_b64 s[36:37], s[36:37], exec
	s_waitcnt vmcnt(0)
	v_cmp_ne_u16_e32 vcc, v26, v27
	s_and_b64 s[42:43], vcc, exec
	s_or_b64 s[36:37], s[36:37], s[42:43]
.LBB163_71:                             ;   in Loop: Header=BB163_72 Depth=1
	s_and_b64 s[42:43], exec, s[36:37]
	s_or_b64 s[18:19], s[42:43], s[18:19]
	v_pk_mov_b32 v[16:17], s[38:39], s[38:39] op_sel:[0,1]
	s_mov_b64 s[38:39], s[40:41]
	s_andn2_b64 exec, exec, s[18:19]
	s_cbranch_execz .LBB163_74
.LBB163_72:                             ; =>This Inner Loop Header: Depth=1
	s_or_b64 s[36:37], s[36:37], exec
	s_cmp_eq_u64 s[26:27], s[38:39]
	s_cbranch_scc0 .LBB163_70
; %bb.73:                               ;   in Loop: Header=BB163_72 Depth=1
                                        ; implicit-def: $sgpr40_sgpr41
	s_mov_b64 s[38:39], s[26:27]
	s_branch .LBB163_71
.LBB163_74:
	s_or_b64 exec, exec, s[18:19]
	v_cmp_gt_i64_e32 vcc, s[26:27], v[16:17]
	s_orn2_b64 s[18:19], vcc, exec
.LBB163_75:
	s_or_b64 exec, exec, s[10:11]
.LBB163_76:
	s_and_b64 s[10:11], s[18:19], exec
.LBB163_77:
	s_or_b64 exec, exec, s[14:15]
	v_cmp_gt_u32_e32 vcc, s7, v23
	s_and_saveexec_b64 s[14:15], vcc
	s_cbranch_execz .LBB163_88
; %bb.78:
	s_and_b64 vcc, exec, s[0:1]
	s_mov_b64 s[18:19], 0
	s_cbranch_vccnz .LBB163_87
; %bb.79:
	v_pk_mov_b32 v[14:15], s[28:29], s[28:29] op_sel:[0,1]
	v_mad_u64_u32 v[12:13], s[12:13], v2, s26, v[14:15]
	s_waitcnt lgkmcnt(0)
	v_mul_lo_u32 v16, v2, s27
	v_mul_lo_u32 v17, v3, s26
	v_add3_u32 v13, v17, v13, v16
	v_mad_u64_u32 v[14:15], s[12:13], v4, s26, v[14:15]
	v_mul_lo_u32 v16, v4, s27
	v_mul_lo_u32 v17, v5, s26
	v_add3_u32 v15, v17, v15, v16
	global_load_ubyte v16, v[12:13], off
	global_load_ubyte v17, v[14:15], off
	s_mov_b64 s[18:19], -1
	s_waitcnt vmcnt(0)
	v_cmp_eq_u16_e32 vcc, v16, v17
	s_and_saveexec_b64 s[12:13], vcc
	s_cbranch_execz .LBB163_86
; %bb.80:
	s_mov_b64 s[38:39], 1
	s_mov_b64 s[18:19], 0
                                        ; implicit-def: $sgpr36_sgpr37
	s_branch .LBB163_83
.LBB163_81:                             ;   in Loop: Header=BB163_83 Depth=1
	v_mov_b32_e32 v19, s39
	v_add_co_u32_e32 v16, vcc, s38, v12
	v_addc_co_u32_e32 v17, vcc, v13, v19, vcc
	v_add_co_u32_e32 v18, vcc, s38, v14
	v_addc_co_u32_e32 v19, vcc, v15, v19, vcc
	global_load_ubyte v26, v[16:17], off
	global_load_ubyte v27, v[18:19], off
	s_add_u32 s40, s38, 1
	s_addc_u32 s41, s39, 0
	s_andn2_b64 s[36:37], s[36:37], exec
	s_waitcnt vmcnt(0)
	v_cmp_ne_u16_e32 vcc, v26, v27
	s_and_b64 s[42:43], vcc, exec
	s_or_b64 s[36:37], s[36:37], s[42:43]
.LBB163_82:                             ;   in Loop: Header=BB163_83 Depth=1
	s_and_b64 s[42:43], exec, s[36:37]
	s_or_b64 s[18:19], s[42:43], s[18:19]
	v_pk_mov_b32 v[16:17], s[38:39], s[38:39] op_sel:[0,1]
	s_mov_b64 s[38:39], s[40:41]
	s_andn2_b64 exec, exec, s[18:19]
	s_cbranch_execz .LBB163_85
.LBB163_83:                             ; =>This Inner Loop Header: Depth=1
	s_or_b64 s[36:37], s[36:37], exec
	s_cmp_eq_u64 s[26:27], s[38:39]
	s_cbranch_scc0 .LBB163_81
; %bb.84:                               ;   in Loop: Header=BB163_83 Depth=1
                                        ; implicit-def: $sgpr40_sgpr41
	s_mov_b64 s[38:39], s[26:27]
	s_branch .LBB163_82
.LBB163_85:
	s_or_b64 exec, exec, s[18:19]
	v_cmp_gt_i64_e32 vcc, s[26:27], v[16:17]
	s_orn2_b64 s[18:19], vcc, exec
.LBB163_86:
	s_or_b64 exec, exec, s[12:13]
.LBB163_87:
	s_and_b64 s[12:13], s[18:19], exec
.LBB163_88:
	s_or_b64 exec, exec, s[14:15]
	v_cmp_gt_u32_e32 vcc, s7, v20
	s_mov_b64 s[14:15], 0
	s_mov_b64 s[18:19], 0
	s_and_saveexec_b64 s[36:37], vcc
	s_cbranch_execz .LBB163_99
; %bb.89:
	s_and_b64 vcc, exec, s[0:1]
	s_mov_b64 s[38:39], 0
	s_cbranch_vccnz .LBB163_98
; %bb.90:
	v_pk_mov_b32 v[14:15], s[28:29], s[28:29] op_sel:[0,1]
	v_mad_u64_u32 v[12:13], s[18:19], v8, s26, v[14:15]
	s_waitcnt lgkmcnt(0)
	v_mul_lo_u32 v16, v8, s27
	v_mul_lo_u32 v17, v9, s26
	v_add3_u32 v13, v17, v13, v16
	v_mad_u64_u32 v[14:15], s[18:19], v2, s26, v[14:15]
	v_mul_lo_u32 v16, v2, s27
	v_mul_lo_u32 v17, v3, s26
	v_add3_u32 v15, v17, v15, v16
	global_load_ubyte v16, v[12:13], off
	global_load_ubyte v17, v[14:15], off
	s_mov_b64 s[38:39], -1
	s_waitcnt vmcnt(0)
	v_cmp_eq_u16_e32 vcc, v16, v17
	s_and_saveexec_b64 s[18:19], vcc
	s_cbranch_execz .LBB163_97
; %bb.91:
	s_mov_b64 s[42:43], 1
	s_mov_b64 s[38:39], 0
                                        ; implicit-def: $sgpr40_sgpr41
	s_branch .LBB163_94
.LBB163_92:                             ;   in Loop: Header=BB163_94 Depth=1
	v_mov_b32_e32 v19, s43
	v_add_co_u32_e32 v16, vcc, s42, v12
	v_addc_co_u32_e32 v17, vcc, v13, v19, vcc
	v_add_co_u32_e32 v18, vcc, s42, v14
	v_addc_co_u32_e32 v19, vcc, v15, v19, vcc
	global_load_ubyte v26, v[16:17], off
	global_load_ubyte v27, v[18:19], off
	s_add_u32 s44, s42, 1
	s_addc_u32 s45, s43, 0
	s_andn2_b64 s[40:41], s[40:41], exec
	s_waitcnt vmcnt(0)
	v_cmp_ne_u16_e32 vcc, v26, v27
	s_and_b64 s[46:47], vcc, exec
	s_or_b64 s[40:41], s[40:41], s[46:47]
.LBB163_93:                             ;   in Loop: Header=BB163_94 Depth=1
	s_and_b64 s[46:47], exec, s[40:41]
	s_or_b64 s[38:39], s[46:47], s[38:39]
	v_pk_mov_b32 v[16:17], s[42:43], s[42:43] op_sel:[0,1]
	s_mov_b64 s[42:43], s[44:45]
	s_andn2_b64 exec, exec, s[38:39]
	s_cbranch_execz .LBB163_96
.LBB163_94:                             ; =>This Inner Loop Header: Depth=1
	s_or_b64 s[40:41], s[40:41], exec
	s_cmp_eq_u64 s[26:27], s[42:43]
	s_cbranch_scc0 .LBB163_92
; %bb.95:                               ;   in Loop: Header=BB163_94 Depth=1
                                        ; implicit-def: $sgpr44_sgpr45
	s_mov_b64 s[42:43], s[26:27]
	s_branch .LBB163_93
.LBB163_96:
	s_or_b64 exec, exec, s[38:39]
	v_cmp_gt_i64_e32 vcc, s[26:27], v[16:17]
	s_orn2_b64 s[38:39], vcc, exec
.LBB163_97:
	s_or_b64 exec, exec, s[18:19]
.LBB163_98:
	s_and_b64 s[18:19], s[38:39], exec
.LBB163_99:
	s_or_b64 exec, exec, s[36:37]
	v_cmp_gt_u32_e32 vcc, s7, v22
	s_and_saveexec_b64 s[36:37], vcc
	s_cbranch_execz .LBB163_110
; %bb.100:
	s_and_b64 vcc, exec, s[0:1]
	s_mov_b64 s[38:39], 0
	s_cbranch_vccnz .LBB163_109
; %bb.101:
	v_pk_mov_b32 v[14:15], s[28:29], s[28:29] op_sel:[0,1]
	v_mad_u64_u32 v[12:13], s[14:15], v6, s26, v[14:15]
	s_waitcnt lgkmcnt(0)
	v_mul_lo_u32 v16, v6, s27
	v_mul_lo_u32 v17, v7, s26
	v_add3_u32 v13, v17, v13, v16
	v_mad_u64_u32 v[14:15], s[14:15], v8, s26, v[14:15]
	v_mul_lo_u32 v16, v8, s27
	v_mul_lo_u32 v17, v9, s26
	v_add3_u32 v15, v17, v15, v16
	global_load_ubyte v16, v[12:13], off
	global_load_ubyte v17, v[14:15], off
	s_mov_b64 s[38:39], -1
	s_waitcnt vmcnt(0)
	v_cmp_eq_u16_e32 vcc, v16, v17
	s_and_saveexec_b64 s[14:15], vcc
	s_cbranch_execz .LBB163_108
; %bb.102:
	s_mov_b64 s[42:43], 1
	s_mov_b64 s[38:39], 0
                                        ; implicit-def: $sgpr40_sgpr41
	s_branch .LBB163_105
.LBB163_103:                            ;   in Loop: Header=BB163_105 Depth=1
	v_mov_b32_e32 v19, s43
	v_add_co_u32_e32 v16, vcc, s42, v12
	v_addc_co_u32_e32 v17, vcc, v13, v19, vcc
	v_add_co_u32_e32 v18, vcc, s42, v14
	v_addc_co_u32_e32 v19, vcc, v15, v19, vcc
	global_load_ubyte v26, v[16:17], off
	global_load_ubyte v27, v[18:19], off
	s_add_u32 s44, s42, 1
	s_addc_u32 s45, s43, 0
	s_andn2_b64 s[40:41], s[40:41], exec
	s_waitcnt vmcnt(0)
	v_cmp_ne_u16_e32 vcc, v26, v27
	s_and_b64 s[46:47], vcc, exec
	s_or_b64 s[40:41], s[40:41], s[46:47]
.LBB163_104:                            ;   in Loop: Header=BB163_105 Depth=1
	s_and_b64 s[46:47], exec, s[40:41]
	s_or_b64 s[38:39], s[46:47], s[38:39]
	v_pk_mov_b32 v[16:17], s[42:43], s[42:43] op_sel:[0,1]
	s_mov_b64 s[42:43], s[44:45]
	s_andn2_b64 exec, exec, s[38:39]
	s_cbranch_execz .LBB163_107
.LBB163_105:                            ; =>This Inner Loop Header: Depth=1
	s_or_b64 s[40:41], s[40:41], exec
	s_cmp_eq_u64 s[26:27], s[42:43]
	s_cbranch_scc0 .LBB163_103
; %bb.106:                              ;   in Loop: Header=BB163_105 Depth=1
                                        ; implicit-def: $sgpr44_sgpr45
	s_mov_b64 s[42:43], s[26:27]
	s_branch .LBB163_104
.LBB163_107:
	s_or_b64 exec, exec, s[38:39]
	v_cmp_gt_i64_e32 vcc, s[26:27], v[16:17]
	s_orn2_b64 s[38:39], vcc, exec
.LBB163_108:
	s_or_b64 exec, exec, s[14:15]
.LBB163_109:
	s_and_b64 s[14:15], s[38:39], exec
.LBB163_110:
	s_or_b64 exec, exec, s[36:37]
	v_cmp_ne_u32_e32 vcc, 0, v0
	s_waitcnt lgkmcnt(0)
	v_pk_mov_b32 v[14:15], s[2:3], s[2:3] op_sel:[0,1]
	s_barrier
	s_and_saveexec_b64 s[2:3], vcc
	s_cbranch_execz .LBB163_112
; %bb.111:
	v_add_u32_e32 v12, -8, v25
	ds_read_b64 v[14:15], v12
.LBB163_112:
	s_or_b64 exec, exec, s[2:3]
	v_cndmask_b32_e64 v13, 0, 1, s[12:13]
	v_cndmask_b32_e64 v12, 0, 1, s[18:19]
	v_cndmask_b32_e64 v16, 0, 1, s[14:15]
	v_lshlrev_b16_e32 v13, 8, v13
	v_cmp_gt_u32_e32 vcc, s7, v1
	v_lshlrev_b16_e32 v18, 8, v16
	v_or_b32_sdwa v19, v12, v13 dst_sel:WORD_1 dst_unused:UNUSED_PAD src0_sel:DWORD src1_sel:DWORD
	s_mov_b64 s[12:13], 0
	s_and_saveexec_b64 s[2:3], vcc
	s_cbranch_execz .LBB163_123
; %bb.113:
	s_and_b64 vcc, exec, s[0:1]
	s_cbranch_vccnz .LBB163_122
; %bb.114:
	v_pk_mov_b32 v[16:17], s[28:29], s[28:29] op_sel:[0,1]
	s_waitcnt lgkmcnt(0)
	v_mad_u64_u32 v[12:13], s[0:1], v14, s26, v[16:17]
	v_mul_lo_u32 v14, v14, s27
	v_mul_lo_u32 v15, v15, s26
	v_add3_u32 v13, v15, v13, v14
	v_mad_u64_u32 v[14:15], s[0:1], v6, s26, v[16:17]
	v_mul_lo_u32 v16, v6, s27
	v_mul_lo_u32 v17, v7, s26
	v_add3_u32 v15, v17, v15, v16
	global_load_ubyte v16, v[12:13], off
	global_load_ubyte v17, v[14:15], off
	s_mov_b64 s[12:13], -1
	s_waitcnt vmcnt(0)
	v_cmp_eq_u16_e32 vcc, v16, v17
	s_and_saveexec_b64 s[0:1], vcc
	s_cbranch_execz .LBB163_121
; %bb.115:
	s_mov_b64 s[18:19], 1
	s_mov_b64 s[12:13], 0
                                        ; implicit-def: $sgpr14_sgpr15
	s_branch .LBB163_118
.LBB163_116:                            ;   in Loop: Header=BB163_118 Depth=1
	v_mov_b32_e32 v25, s19
	v_add_co_u32_e32 v16, vcc, s18, v12
	v_addc_co_u32_e32 v17, vcc, v13, v25, vcc
	v_add_co_u32_e32 v26, vcc, s18, v14
	v_addc_co_u32_e32 v27, vcc, v15, v25, vcc
	global_load_ubyte v25, v[16:17], off
	global_load_ubyte v28, v[26:27], off
	s_add_u32 s36, s18, 1
	s_addc_u32 s37, s19, 0
	s_andn2_b64 s[14:15], s[14:15], exec
	s_waitcnt vmcnt(0)
	v_cmp_ne_u16_e32 vcc, v25, v28
	s_and_b64 s[38:39], vcc, exec
	s_or_b64 s[14:15], s[14:15], s[38:39]
.LBB163_117:                            ;   in Loop: Header=BB163_118 Depth=1
	s_and_b64 s[38:39], exec, s[14:15]
	s_or_b64 s[12:13], s[38:39], s[12:13]
	v_pk_mov_b32 v[16:17], s[18:19], s[18:19] op_sel:[0,1]
	s_mov_b64 s[18:19], s[36:37]
	s_andn2_b64 exec, exec, s[12:13]
	s_cbranch_execz .LBB163_120
.LBB163_118:                            ; =>This Inner Loop Header: Depth=1
	s_or_b64 s[14:15], s[14:15], exec
	s_cmp_eq_u64 s[26:27], s[18:19]
	s_cbranch_scc0 .LBB163_116
; %bb.119:                              ;   in Loop: Header=BB163_118 Depth=1
                                        ; implicit-def: $sgpr36_sgpr37
	s_mov_b64 s[18:19], s[26:27]
	s_branch .LBB163_117
.LBB163_120:
	s_or_b64 exec, exec, s[12:13]
	v_cmp_gt_i64_e32 vcc, s[26:27], v[16:17]
	s_orn2_b64 s[12:13], vcc, exec
.LBB163_121:
	s_or_b64 exec, exec, s[0:1]
.LBB163_122:
	s_and_b64 s[12:13], s[12:13], exec
.LBB163_123:
	s_or_b64 exec, exec, s[2:3]
	v_cndmask_b32_e64 v13, 0, 1, s[10:11]
	s_waitcnt lgkmcnt(0)
	v_or_b32_e32 v15, v18, v19
.LBB163_124:
	s_mov_b64 s[10:11], -1
	s_cbranch_execnz .LBB163_233
.LBB163_125:
	v_lshlrev_b32_e32 v12, 5, v0
	v_sub_u32_e32 v24, v24, v12
	s_mov_b64 s[12:13], 0
	s_waitcnt lgkmcnt(0)
	v_cmp_gt_i64_e64 s[2:3], s[26:27], 0
	s_and_b64 vcc, exec, s[34:35]
	ds_write_b64 v24, v[10:11]
	s_cbranch_vccz .LBB163_133
; %bb.126:
	v_mul_lo_u32 v14, v5, s26
	v_mul_lo_u32 v15, v4, s27
	v_mad_u64_u32 v[12:13], s[0:1], v4, s26, 0
	v_cndmask_b32_e64 v16, 0, 1, s[2:3]
	v_cmp_ne_u32_e64 s[0:1], 1, v16
	s_andn2_b64 vcc, exec, s[2:3]
	v_add3_u32 v13, v13, v15, v14
	s_cbranch_vccnz .LBB163_136
; %bb.127:
	v_mov_b32_e32 v15, s29
	v_add_co_u32_e32 v14, vcc, s28, v12
	v_pk_mov_b32 v[16:17], s[28:29], s[28:29] op_sel:[0,1]
	v_addc_co_u32_e32 v15, vcc, v15, v13, vcc
	v_mad_u64_u32 v[16:17], s[12:13], v10, s26, v[16:17]
	v_mul_lo_u32 v18, v10, s27
	v_mul_lo_u32 v19, v11, s26
	v_add3_u32 v17, v19, v17, v18
	global_load_ubyte v18, v[14:15], off
	global_load_ubyte v19, v[16:17], off
	s_mov_b64 s[12:13], -1
	s_waitcnt vmcnt(0)
	v_cmp_eq_u16_e32 vcc, v18, v19
	s_and_saveexec_b64 s[14:15], vcc
	s_cbranch_execz .LBB163_135
; %bb.128:
	s_mov_b64 s[36:37], 1
	s_mov_b64 s[12:13], 0
                                        ; implicit-def: $sgpr18_sgpr19
	s_branch .LBB163_131
.LBB163_129:                            ;   in Loop: Header=BB163_131 Depth=1
	v_mov_b32_e32 v25, s37
	v_add_co_u32_e32 v18, vcc, s36, v14
	v_addc_co_u32_e32 v19, vcc, v15, v25, vcc
	v_add_co_u32_e32 v26, vcc, s36, v16
	v_addc_co_u32_e32 v27, vcc, v17, v25, vcc
	global_load_ubyte v25, v[18:19], off
	global_load_ubyte v28, v[26:27], off
	s_add_u32 s38, s36, 1
	s_addc_u32 s39, s37, 0
	s_andn2_b64 s[18:19], s[18:19], exec
	s_waitcnt vmcnt(0)
	v_cmp_ne_u16_e32 vcc, v25, v28
	s_and_b64 s[40:41], vcc, exec
	s_or_b64 s[18:19], s[18:19], s[40:41]
.LBB163_130:                            ;   in Loop: Header=BB163_131 Depth=1
	s_and_b64 s[40:41], exec, s[18:19]
	s_or_b64 s[12:13], s[40:41], s[12:13]
	v_pk_mov_b32 v[18:19], s[36:37], s[36:37] op_sel:[0,1]
	s_mov_b64 s[36:37], s[38:39]
	s_andn2_b64 exec, exec, s[12:13]
	s_cbranch_execz .LBB163_134
.LBB163_131:                            ; =>This Inner Loop Header: Depth=1
	s_or_b64 s[18:19], s[18:19], exec
	s_cmp_eq_u64 s[26:27], s[36:37]
	s_cbranch_scc0 .LBB163_129
; %bb.132:                              ;   in Loop: Header=BB163_131 Depth=1
                                        ; implicit-def: $sgpr38_sgpr39
	s_mov_b64 s[36:37], s[26:27]
	s_branch .LBB163_130
.LBB163_133:
                                        ; implicit-def: $sgpr12_sgpr13
                                        ; implicit-def: $vgpr13
                                        ; implicit-def: $vgpr15
	s_cbranch_execnz .LBB163_175
	s_branch .LBB163_233
.LBB163_134:
	s_or_b64 exec, exec, s[12:13]
	v_cmp_gt_i64_e32 vcc, s[26:27], v[18:19]
	s_orn2_b64 s[12:13], vcc, exec
.LBB163_135:
	s_or_b64 exec, exec, s[14:15]
.LBB163_136:
	v_mul_lo_u32 v16, v3, s26
	v_mul_lo_u32 v17, v2, s27
	v_mad_u64_u32 v[14:15], s[14:15], v2, s26, 0
	v_add3_u32 v15, v15, v17, v16
	s_mov_b64 s[14:15], 0
	s_and_b64 vcc, exec, s[0:1]
	s_mov_b64 s[18:19], 0
	s_cbranch_vccnz .LBB163_145
; %bb.137:
	v_mov_b32_e32 v17, s29
	v_add_co_u32_e32 v16, vcc, s28, v14
	v_addc_co_u32_e32 v17, vcc, v17, v15, vcc
	v_mov_b32_e32 v18, s29
	v_add_co_u32_e32 v12, vcc, s28, v12
	v_addc_co_u32_e32 v13, vcc, v18, v13, vcc
	global_load_ubyte v18, v[16:17], off
	global_load_ubyte v19, v[12:13], off
	s_mov_b64 s[18:19], -1
	s_waitcnt vmcnt(0)
	v_cmp_eq_u16_e32 vcc, v18, v19
	s_and_saveexec_b64 s[36:37], vcc
	s_cbranch_execz .LBB163_144
; %bb.138:
	s_mov_b64 s[40:41], 1
	s_mov_b64 s[18:19], 0
                                        ; implicit-def: $sgpr38_sgpr39
	s_branch .LBB163_141
.LBB163_139:                            ;   in Loop: Header=BB163_141 Depth=1
	v_mov_b32_e32 v25, s41
	v_add_co_u32_e32 v18, vcc, s40, v16
	v_addc_co_u32_e32 v19, vcc, v17, v25, vcc
	v_add_co_u32_e32 v26, vcc, s40, v12
	v_addc_co_u32_e32 v27, vcc, v13, v25, vcc
	global_load_ubyte v25, v[18:19], off
	global_load_ubyte v28, v[26:27], off
	s_add_u32 s42, s40, 1
	s_addc_u32 s43, s41, 0
	s_andn2_b64 s[38:39], s[38:39], exec
	s_waitcnt vmcnt(0)
	v_cmp_ne_u16_e32 vcc, v25, v28
	s_and_b64 s[44:45], vcc, exec
	s_or_b64 s[38:39], s[38:39], s[44:45]
.LBB163_140:                            ;   in Loop: Header=BB163_141 Depth=1
	s_and_b64 s[44:45], exec, s[38:39]
	s_or_b64 s[18:19], s[44:45], s[18:19]
	v_pk_mov_b32 v[18:19], s[40:41], s[40:41] op_sel:[0,1]
	s_mov_b64 s[40:41], s[42:43]
	s_andn2_b64 exec, exec, s[18:19]
	s_cbranch_execz .LBB163_143
.LBB163_141:                            ; =>This Inner Loop Header: Depth=1
	s_or_b64 s[38:39], s[38:39], exec
	s_cmp_eq_u64 s[26:27], s[40:41]
	s_cbranch_scc0 .LBB163_139
; %bb.142:                              ;   in Loop: Header=BB163_141 Depth=1
                                        ; implicit-def: $sgpr42_sgpr43
	s_mov_b64 s[40:41], s[26:27]
	s_branch .LBB163_140
.LBB163_143:
	s_or_b64 exec, exec, s[18:19]
	v_cmp_gt_i64_e32 vcc, s[26:27], v[18:19]
	s_orn2_b64 s[18:19], vcc, exec
.LBB163_144:
	s_or_b64 exec, exec, s[36:37]
.LBB163_145:
	v_mul_lo_u32 v16, v9, s26
	v_mul_lo_u32 v17, v8, s27
	v_mad_u64_u32 v[12:13], s[36:37], v8, s26, 0
	s_and_b64 vcc, exec, s[0:1]
	v_add3_u32 v13, v13, v17, v16
	s_cbranch_vccnz .LBB163_154
; %bb.146:
	v_mov_b32_e32 v17, s29
	v_add_co_u32_e32 v16, vcc, s28, v12
	v_addc_co_u32_e32 v17, vcc, v17, v13, vcc
	v_mov_b32_e32 v18, s29
	v_add_co_u32_e32 v14, vcc, s28, v14
	v_addc_co_u32_e32 v15, vcc, v18, v15, vcc
	global_load_ubyte v18, v[16:17], off
	global_load_ubyte v19, v[14:15], off
	s_mov_b64 s[14:15], -1
	s_waitcnt vmcnt(0)
	v_cmp_eq_u16_e32 vcc, v18, v19
	s_and_saveexec_b64 s[36:37], vcc
	s_cbranch_execz .LBB163_153
; %bb.147:
	s_mov_b64 s[40:41], 1
	s_mov_b64 s[14:15], 0
                                        ; implicit-def: $sgpr38_sgpr39
	s_branch .LBB163_150
.LBB163_148:                            ;   in Loop: Header=BB163_150 Depth=1
	v_mov_b32_e32 v25, s41
	v_add_co_u32_e32 v18, vcc, s40, v16
	v_addc_co_u32_e32 v19, vcc, v17, v25, vcc
	v_add_co_u32_e32 v26, vcc, s40, v14
	v_addc_co_u32_e32 v27, vcc, v15, v25, vcc
	global_load_ubyte v25, v[18:19], off
	global_load_ubyte v28, v[26:27], off
	s_add_u32 s42, s40, 1
	s_addc_u32 s43, s41, 0
	s_andn2_b64 s[38:39], s[38:39], exec
	s_waitcnt vmcnt(0)
	v_cmp_ne_u16_e32 vcc, v25, v28
	s_and_b64 s[44:45], vcc, exec
	s_or_b64 s[38:39], s[38:39], s[44:45]
.LBB163_149:                            ;   in Loop: Header=BB163_150 Depth=1
	s_and_b64 s[44:45], exec, s[38:39]
	s_or_b64 s[14:15], s[44:45], s[14:15]
	v_pk_mov_b32 v[18:19], s[40:41], s[40:41] op_sel:[0,1]
	s_mov_b64 s[40:41], s[42:43]
	s_andn2_b64 exec, exec, s[14:15]
	s_cbranch_execz .LBB163_152
.LBB163_150:                            ; =>This Inner Loop Header: Depth=1
	s_or_b64 s[38:39], s[38:39], exec
	s_cmp_eq_u64 s[26:27], s[40:41]
	s_cbranch_scc0 .LBB163_148
; %bb.151:                              ;   in Loop: Header=BB163_150 Depth=1
                                        ; implicit-def: $sgpr42_sgpr43
	s_mov_b64 s[40:41], s[26:27]
	s_branch .LBB163_149
.LBB163_152:
	s_or_b64 exec, exec, s[14:15]
	v_cmp_gt_i64_e32 vcc, s[26:27], v[18:19]
	s_orn2_b64 s[14:15], vcc, exec
.LBB163_153:
	s_or_b64 exec, exec, s[36:37]
.LBB163_154:
	v_mul_lo_u32 v16, v7, s26
	v_mul_lo_u32 v17, v6, s27
	v_mad_u64_u32 v[14:15], s[36:37], v6, s26, 0
	v_add3_u32 v25, v15, v17, v16
	s_and_b64 vcc, exec, s[0:1]
	s_mov_b64 s[38:39], 0
	s_cbranch_vccnz .LBB163_163
; %bb.155:
	v_mov_b32_e32 v15, s29
	v_add_co_u32_e32 v16, vcc, s28, v14
	v_addc_co_u32_e32 v17, vcc, v15, v25, vcc
	v_add_co_u32_e32 v12, vcc, s28, v12
	v_addc_co_u32_e32 v13, vcc, v15, v13, vcc
	global_load_ubyte v15, v[16:17], off
	global_load_ubyte v18, v[12:13], off
	s_mov_b64 s[38:39], -1
	s_waitcnt vmcnt(0)
	v_cmp_eq_u16_e32 vcc, v15, v18
	s_and_saveexec_b64 s[36:37], vcc
	s_cbranch_execz .LBB163_162
; %bb.156:
	s_mov_b64 s[42:43], 1
	s_mov_b64 s[38:39], 0
                                        ; implicit-def: $sgpr40_sgpr41
	s_branch .LBB163_159
.LBB163_157:                            ;   in Loop: Header=BB163_159 Depth=1
	v_mov_b32_e32 v15, s43
	v_add_co_u32_e32 v18, vcc, s42, v16
	v_addc_co_u32_e32 v19, vcc, v17, v15, vcc
	v_add_co_u32_e32 v26, vcc, s42, v12
	v_addc_co_u32_e32 v27, vcc, v13, v15, vcc
	global_load_ubyte v15, v[18:19], off
	global_load_ubyte v28, v[26:27], off
	s_add_u32 s44, s42, 1
	s_addc_u32 s45, s43, 0
	s_andn2_b64 s[40:41], s[40:41], exec
	s_waitcnt vmcnt(0)
	v_cmp_ne_u16_e32 vcc, v15, v28
	s_and_b64 s[46:47], vcc, exec
	s_or_b64 s[40:41], s[40:41], s[46:47]
.LBB163_158:                            ;   in Loop: Header=BB163_159 Depth=1
	s_and_b64 s[46:47], exec, s[40:41]
	s_or_b64 s[38:39], s[46:47], s[38:39]
	v_pk_mov_b32 v[18:19], s[42:43], s[42:43] op_sel:[0,1]
	s_mov_b64 s[42:43], s[44:45]
	s_andn2_b64 exec, exec, s[38:39]
	s_cbranch_execz .LBB163_161
.LBB163_159:                            ; =>This Inner Loop Header: Depth=1
	s_or_b64 s[40:41], s[40:41], exec
	s_cmp_eq_u64 s[26:27], s[42:43]
	s_cbranch_scc0 .LBB163_157
; %bb.160:                              ;   in Loop: Header=BB163_159 Depth=1
                                        ; implicit-def: $sgpr44_sgpr45
	s_mov_b64 s[42:43], s[26:27]
	s_branch .LBB163_158
.LBB163_161:
	s_or_b64 exec, exec, s[38:39]
	v_cmp_gt_i64_e32 vcc, s[26:27], v[18:19]
	s_orn2_b64 s[38:39], vcc, exec
.LBB163_162:
	s_or_b64 exec, exec, s[36:37]
.LBB163_163:
	v_cndmask_b32_e64 v13, 0, 1, s[18:19]
	v_cndmask_b32_e64 v15, 0, 1, s[38:39]
	;; [unrolled: 1-line block ×3, first 2 shown]
	v_lshlrev_b16_e32 v15, 8, v15
	v_lshlrev_b16_e32 v13, 8, v13
	v_or_b32_e32 v15, 1, v15
	v_or_b32_sdwa v12, v12, v13 dst_sel:WORD_1 dst_unused:UNUSED_PAD src0_sel:DWORD src1_sel:DWORD
	v_or_b32_sdwa v12, v15, v12 dst_sel:DWORD dst_unused:UNUSED_PAD src0_sel:WORD_0 src1_sel:DWORD
	v_cndmask_b32_e64 v13, 0, 1, s[12:13]
	v_cmp_ne_u32_e32 vcc, 0, v0
	s_waitcnt lgkmcnt(0)
	s_barrier
	s_waitcnt lgkmcnt(0)
                                        ; implicit-def: $sgpr12_sgpr13
                                        ; implicit-def: $vgpr15
	s_and_saveexec_b64 s[14:15], vcc
	s_xor_b64 s[14:15], exec, s[14:15]
	s_cbranch_execz .LBB163_174
; %bb.164:
	s_mov_b32 s33, 0x3020104
	s_and_b64 vcc, exec, s[0:1]
	s_mov_b64 s[12:13], 0
	s_cbranch_vccnz .LBB163_173
; %bb.165:
	v_add_u32_e32 v15, -8, v24
	ds_read_b64 v[16:17], v15
	v_pk_mov_b32 v[18:19], s[28:29], s[28:29] op_sel:[0,1]
	v_add_co_u32_e32 v14, vcc, s28, v14
	s_mov_b64 s[12:13], -1
	s_waitcnt lgkmcnt(0)
	v_mul_lo_u32 v15, v16, s27
	v_mul_lo_u32 v26, v17, s26
	v_mad_u64_u32 v[16:17], s[0:1], v16, s26, v[18:19]
	v_add3_u32 v17, v26, v17, v15
	v_mov_b32_e32 v15, s29
	v_addc_co_u32_e32 v15, vcc, v15, v25, vcc
	global_load_ubyte v18, v[14:15], off
	global_load_ubyte v19, v[16:17], off
	s_waitcnt vmcnt(0)
	v_cmp_eq_u16_e32 vcc, v19, v18
	s_and_saveexec_b64 s[0:1], vcc
	s_cbranch_execz .LBB163_172
; %bb.166:
	s_mov_b64 s[36:37], 1
	s_mov_b64 s[12:13], 0
                                        ; implicit-def: $sgpr18_sgpr19
	s_branch .LBB163_169
.LBB163_167:                            ;   in Loop: Header=BB163_169 Depth=1
	v_mov_b32_e32 v25, s37
	v_add_co_u32_e32 v18, vcc, s36, v16
	v_addc_co_u32_e32 v19, vcc, v17, v25, vcc
	v_add_co_u32_e32 v26, vcc, s36, v14
	v_addc_co_u32_e32 v27, vcc, v15, v25, vcc
	global_load_ubyte v25, v[18:19], off
	global_load_ubyte v28, v[26:27], off
	s_add_u32 s38, s36, 1
	s_addc_u32 s39, s37, 0
	s_andn2_b64 s[18:19], s[18:19], exec
	s_waitcnt vmcnt(0)
	v_cmp_ne_u16_e32 vcc, v25, v28
	s_and_b64 s[40:41], vcc, exec
	s_or_b64 s[18:19], s[18:19], s[40:41]
.LBB163_168:                            ;   in Loop: Header=BB163_169 Depth=1
	s_and_b64 s[40:41], exec, s[18:19]
	s_or_b64 s[12:13], s[40:41], s[12:13]
	v_pk_mov_b32 v[18:19], s[36:37], s[36:37] op_sel:[0,1]
	s_mov_b64 s[36:37], s[38:39]
	s_andn2_b64 exec, exec, s[12:13]
	s_cbranch_execz .LBB163_171
.LBB163_169:                            ; =>This Inner Loop Header: Depth=1
	s_or_b64 s[18:19], s[18:19], exec
	s_cmp_eq_u64 s[26:27], s[36:37]
	s_cbranch_scc0 .LBB163_167
; %bb.170:                              ;   in Loop: Header=BB163_169 Depth=1
                                        ; implicit-def: $sgpr38_sgpr39
	s_mov_b64 s[36:37], s[26:27]
	s_branch .LBB163_168
.LBB163_171:
	s_or_b64 exec, exec, s[12:13]
	v_cmp_gt_i64_e32 vcc, s[26:27], v[18:19]
	s_orn2_b64 s[12:13], vcc, exec
.LBB163_172:
	s_or_b64 exec, exec, s[0:1]
.LBB163_173:
	v_perm_b32 v15, v12, v12, s33
	s_and_b64 s[12:13], s[12:13], exec
	s_or_b64 s[10:11], s[10:11], exec
.LBB163_174:
	s_or_b64 exec, exec, s[14:15]
	s_branch .LBB163_233
.LBB163_175:
	v_cmp_gt_u32_e32 vcc, s7, v21
	s_mov_b64 s[12:13], 0
	s_mov_b64 s[0:1], 0
	s_and_saveexec_b64 s[14:15], vcc
	s_cbranch_execz .LBB163_186
; %bb.176:
	s_andn2_b64 vcc, exec, s[2:3]
	s_mov_b64 s[18:19], 0
	s_cbranch_vccnz .LBB163_185
; %bb.177:
	v_pk_mov_b32 v[14:15], s[28:29], s[28:29] op_sel:[0,1]
	v_mad_u64_u32 v[12:13], s[0:1], v4, s26, v[14:15]
	v_mul_lo_u32 v16, v4, s27
	v_mul_lo_u32 v17, v5, s26
	v_add3_u32 v13, v17, v13, v16
	v_mad_u64_u32 v[14:15], s[0:1], v10, s26, v[14:15]
	v_mul_lo_u32 v16, v10, s27
	v_mul_lo_u32 v17, v11, s26
	v_add3_u32 v15, v17, v15, v16
	global_load_ubyte v16, v[12:13], off
	global_load_ubyte v17, v[14:15], off
	s_mov_b64 s[18:19], -1
	s_waitcnt vmcnt(0)
	v_cmp_eq_u16_e32 vcc, v16, v17
	s_and_saveexec_b64 s[0:1], vcc
	s_cbranch_execz .LBB163_184
; %bb.178:
	s_mov_b64 s[38:39], 1
	s_mov_b64 s[18:19], 0
                                        ; implicit-def: $sgpr36_sgpr37
	s_branch .LBB163_181
.LBB163_179:                            ;   in Loop: Header=BB163_181 Depth=1
	v_mov_b32_e32 v19, s39
	v_add_co_u32_e32 v16, vcc, s38, v12
	v_addc_co_u32_e32 v17, vcc, v13, v19, vcc
	v_add_co_u32_e32 v18, vcc, s38, v14
	v_addc_co_u32_e32 v19, vcc, v15, v19, vcc
	global_load_ubyte v25, v[16:17], off
	global_load_ubyte v26, v[18:19], off
	s_add_u32 s40, s38, 1
	s_addc_u32 s41, s39, 0
	s_andn2_b64 s[36:37], s[36:37], exec
	s_waitcnt vmcnt(0)
	v_cmp_ne_u16_e32 vcc, v25, v26
	s_and_b64 s[42:43], vcc, exec
	s_or_b64 s[36:37], s[36:37], s[42:43]
.LBB163_180:                            ;   in Loop: Header=BB163_181 Depth=1
	s_and_b64 s[42:43], exec, s[36:37]
	s_or_b64 s[18:19], s[42:43], s[18:19]
	v_pk_mov_b32 v[16:17], s[38:39], s[38:39] op_sel:[0,1]
	s_mov_b64 s[38:39], s[40:41]
	s_andn2_b64 exec, exec, s[18:19]
	s_cbranch_execz .LBB163_183
.LBB163_181:                            ; =>This Inner Loop Header: Depth=1
	s_or_b64 s[36:37], s[36:37], exec
	s_cmp_eq_u64 s[26:27], s[38:39]
	s_cbranch_scc0 .LBB163_179
; %bb.182:                              ;   in Loop: Header=BB163_181 Depth=1
                                        ; implicit-def: $sgpr40_sgpr41
	s_mov_b64 s[38:39], s[26:27]
	s_branch .LBB163_180
.LBB163_183:
	s_or_b64 exec, exec, s[18:19]
	v_cmp_gt_i64_e32 vcc, s[26:27], v[16:17]
	s_orn2_b64 s[18:19], vcc, exec
.LBB163_184:
	s_or_b64 exec, exec, s[0:1]
.LBB163_185:
	s_and_b64 s[0:1], s[18:19], exec
.LBB163_186:
	s_or_b64 exec, exec, s[14:15]
	v_cmp_gt_u32_e32 vcc, s7, v23
	s_and_saveexec_b64 s[14:15], vcc
	s_cbranch_execz .LBB163_197
; %bb.187:
	s_andn2_b64 vcc, exec, s[2:3]
	s_mov_b64 s[18:19], 0
	s_cbranch_vccnz .LBB163_196
; %bb.188:
	v_pk_mov_b32 v[14:15], s[28:29], s[28:29] op_sel:[0,1]
	v_mad_u64_u32 v[12:13], s[12:13], v2, s26, v[14:15]
	v_mul_lo_u32 v16, v2, s27
	v_mul_lo_u32 v17, v3, s26
	v_add3_u32 v13, v17, v13, v16
	v_mad_u64_u32 v[14:15], s[12:13], v4, s26, v[14:15]
	v_mul_lo_u32 v16, v4, s27
	v_mul_lo_u32 v17, v5, s26
	v_add3_u32 v15, v17, v15, v16
	global_load_ubyte v16, v[12:13], off
	global_load_ubyte v17, v[14:15], off
	s_mov_b64 s[18:19], -1
	s_waitcnt vmcnt(0)
	v_cmp_eq_u16_e32 vcc, v16, v17
	s_and_saveexec_b64 s[12:13], vcc
	s_cbranch_execz .LBB163_195
; %bb.189:
	s_mov_b64 s[38:39], 1
	s_mov_b64 s[18:19], 0
                                        ; implicit-def: $sgpr36_sgpr37
	s_branch .LBB163_192
.LBB163_190:                            ;   in Loop: Header=BB163_192 Depth=1
	v_mov_b32_e32 v19, s39
	v_add_co_u32_e32 v16, vcc, s38, v12
	v_addc_co_u32_e32 v17, vcc, v13, v19, vcc
	v_add_co_u32_e32 v18, vcc, s38, v14
	v_addc_co_u32_e32 v19, vcc, v15, v19, vcc
	global_load_ubyte v25, v[16:17], off
	global_load_ubyte v26, v[18:19], off
	s_add_u32 s40, s38, 1
	s_addc_u32 s41, s39, 0
	s_andn2_b64 s[36:37], s[36:37], exec
	s_waitcnt vmcnt(0)
	v_cmp_ne_u16_e32 vcc, v25, v26
	s_and_b64 s[42:43], vcc, exec
	s_or_b64 s[36:37], s[36:37], s[42:43]
.LBB163_191:                            ;   in Loop: Header=BB163_192 Depth=1
	s_and_b64 s[42:43], exec, s[36:37]
	s_or_b64 s[18:19], s[42:43], s[18:19]
	v_pk_mov_b32 v[16:17], s[38:39], s[38:39] op_sel:[0,1]
	s_mov_b64 s[38:39], s[40:41]
	s_andn2_b64 exec, exec, s[18:19]
	s_cbranch_execz .LBB163_194
.LBB163_192:                            ; =>This Inner Loop Header: Depth=1
	s_or_b64 s[36:37], s[36:37], exec
	s_cmp_eq_u64 s[26:27], s[38:39]
	s_cbranch_scc0 .LBB163_190
; %bb.193:                              ;   in Loop: Header=BB163_192 Depth=1
                                        ; implicit-def: $sgpr40_sgpr41
	s_mov_b64 s[38:39], s[26:27]
	s_branch .LBB163_191
.LBB163_194:
	s_or_b64 exec, exec, s[18:19]
	v_cmp_gt_i64_e32 vcc, s[26:27], v[16:17]
	s_orn2_b64 s[18:19], vcc, exec
.LBB163_195:
	s_or_b64 exec, exec, s[12:13]
.LBB163_196:
	s_and_b64 s[12:13], s[18:19], exec
.LBB163_197:
	s_or_b64 exec, exec, s[14:15]
	v_cmp_gt_u32_e32 vcc, s7, v20
	s_mov_b64 s[14:15], 0
	s_mov_b64 s[18:19], 0
	s_and_saveexec_b64 s[36:37], vcc
	s_cbranch_execz .LBB163_208
; %bb.198:
	s_andn2_b64 vcc, exec, s[2:3]
	s_mov_b64 s[38:39], 0
	s_cbranch_vccnz .LBB163_207
; %bb.199:
	v_pk_mov_b32 v[14:15], s[28:29], s[28:29] op_sel:[0,1]
	v_mad_u64_u32 v[12:13], s[18:19], v8, s26, v[14:15]
	v_mul_lo_u32 v16, v8, s27
	v_mul_lo_u32 v17, v9, s26
	v_add3_u32 v13, v17, v13, v16
	v_mad_u64_u32 v[14:15], s[18:19], v2, s26, v[14:15]
	v_mul_lo_u32 v16, v2, s27
	v_mul_lo_u32 v17, v3, s26
	v_add3_u32 v15, v17, v15, v16
	global_load_ubyte v16, v[12:13], off
	global_load_ubyte v17, v[14:15], off
	s_mov_b64 s[38:39], -1
	s_waitcnt vmcnt(0)
	v_cmp_eq_u16_e32 vcc, v16, v17
	s_and_saveexec_b64 s[18:19], vcc
	s_cbranch_execz .LBB163_206
; %bb.200:
	s_mov_b64 s[42:43], 1
	s_mov_b64 s[38:39], 0
                                        ; implicit-def: $sgpr40_sgpr41
	s_branch .LBB163_203
.LBB163_201:                            ;   in Loop: Header=BB163_203 Depth=1
	v_mov_b32_e32 v19, s43
	v_add_co_u32_e32 v16, vcc, s42, v12
	v_addc_co_u32_e32 v17, vcc, v13, v19, vcc
	v_add_co_u32_e32 v18, vcc, s42, v14
	v_addc_co_u32_e32 v19, vcc, v15, v19, vcc
	global_load_ubyte v25, v[16:17], off
	global_load_ubyte v26, v[18:19], off
	s_add_u32 s44, s42, 1
	s_addc_u32 s45, s43, 0
	s_andn2_b64 s[40:41], s[40:41], exec
	s_waitcnt vmcnt(0)
	v_cmp_ne_u16_e32 vcc, v25, v26
	s_and_b64 s[46:47], vcc, exec
	s_or_b64 s[40:41], s[40:41], s[46:47]
.LBB163_202:                            ;   in Loop: Header=BB163_203 Depth=1
	s_and_b64 s[46:47], exec, s[40:41]
	s_or_b64 s[38:39], s[46:47], s[38:39]
	v_pk_mov_b32 v[16:17], s[42:43], s[42:43] op_sel:[0,1]
	s_mov_b64 s[42:43], s[44:45]
	s_andn2_b64 exec, exec, s[38:39]
	s_cbranch_execz .LBB163_205
.LBB163_203:                            ; =>This Inner Loop Header: Depth=1
	s_or_b64 s[40:41], s[40:41], exec
	s_cmp_eq_u64 s[26:27], s[42:43]
	s_cbranch_scc0 .LBB163_201
; %bb.204:                              ;   in Loop: Header=BB163_203 Depth=1
                                        ; implicit-def: $sgpr44_sgpr45
	s_mov_b64 s[42:43], s[26:27]
	s_branch .LBB163_202
.LBB163_205:
	s_or_b64 exec, exec, s[38:39]
	v_cmp_gt_i64_e32 vcc, s[26:27], v[16:17]
	s_orn2_b64 s[38:39], vcc, exec
.LBB163_206:
	s_or_b64 exec, exec, s[18:19]
.LBB163_207:
	s_and_b64 s[18:19], s[38:39], exec
.LBB163_208:
	s_or_b64 exec, exec, s[36:37]
	v_cmp_gt_u32_e32 vcc, s7, v22
	s_and_saveexec_b64 s[36:37], vcc
	s_cbranch_execz .LBB163_219
; %bb.209:
	s_andn2_b64 vcc, exec, s[2:3]
	s_mov_b64 s[38:39], 0
	s_cbranch_vccnz .LBB163_218
; %bb.210:
	v_pk_mov_b32 v[14:15], s[28:29], s[28:29] op_sel:[0,1]
	v_mad_u64_u32 v[12:13], s[14:15], v6, s26, v[14:15]
	v_mul_lo_u32 v16, v6, s27
	v_mul_lo_u32 v17, v7, s26
	v_add3_u32 v13, v17, v13, v16
	v_mad_u64_u32 v[14:15], s[14:15], v8, s26, v[14:15]
	v_mul_lo_u32 v16, v8, s27
	v_mul_lo_u32 v17, v9, s26
	v_add3_u32 v15, v17, v15, v16
	global_load_ubyte v16, v[12:13], off
	global_load_ubyte v17, v[14:15], off
	s_mov_b64 s[38:39], -1
	s_waitcnt vmcnt(0)
	v_cmp_eq_u16_e32 vcc, v16, v17
	s_and_saveexec_b64 s[14:15], vcc
	s_cbranch_execz .LBB163_217
; %bb.211:
	s_mov_b64 s[42:43], 1
	s_mov_b64 s[38:39], 0
                                        ; implicit-def: $sgpr40_sgpr41
	s_branch .LBB163_214
.LBB163_212:                            ;   in Loop: Header=BB163_214 Depth=1
	v_mov_b32_e32 v19, s43
	v_add_co_u32_e32 v16, vcc, s42, v12
	v_addc_co_u32_e32 v17, vcc, v13, v19, vcc
	v_add_co_u32_e32 v18, vcc, s42, v14
	v_addc_co_u32_e32 v19, vcc, v15, v19, vcc
	global_load_ubyte v25, v[16:17], off
	global_load_ubyte v26, v[18:19], off
	s_add_u32 s44, s42, 1
	s_addc_u32 s45, s43, 0
	s_andn2_b64 s[40:41], s[40:41], exec
	s_waitcnt vmcnt(0)
	v_cmp_ne_u16_e32 vcc, v25, v26
	s_and_b64 s[46:47], vcc, exec
	s_or_b64 s[40:41], s[40:41], s[46:47]
.LBB163_213:                            ;   in Loop: Header=BB163_214 Depth=1
	s_and_b64 s[46:47], exec, s[40:41]
	s_or_b64 s[38:39], s[46:47], s[38:39]
	v_pk_mov_b32 v[16:17], s[42:43], s[42:43] op_sel:[0,1]
	s_mov_b64 s[42:43], s[44:45]
	s_andn2_b64 exec, exec, s[38:39]
	s_cbranch_execz .LBB163_216
.LBB163_214:                            ; =>This Inner Loop Header: Depth=1
	s_or_b64 s[40:41], s[40:41], exec
	s_cmp_eq_u64 s[26:27], s[42:43]
	s_cbranch_scc0 .LBB163_212
; %bb.215:                              ;   in Loop: Header=BB163_214 Depth=1
                                        ; implicit-def: $sgpr44_sgpr45
	s_mov_b64 s[42:43], s[26:27]
	s_branch .LBB163_213
.LBB163_216:
	s_or_b64 exec, exec, s[38:39]
	v_cmp_gt_i64_e32 vcc, s[26:27], v[16:17]
	s_orn2_b64 s[38:39], vcc, exec
.LBB163_217:
	s_or_b64 exec, exec, s[14:15]
.LBB163_218:
	s_and_b64 s[14:15], s[38:39], exec
.LBB163_219:
	s_or_b64 exec, exec, s[36:37]
	v_cndmask_b32_e64 v13, 0, 1, s[12:13]
	v_cndmask_b32_e64 v14, 0, 1, s[14:15]
	;; [unrolled: 1-line block ×3, first 2 shown]
	v_lshlrev_b16_e32 v14, 8, v14
	v_lshlrev_b16_e32 v13, 8, v13
	v_or_b32_e32 v14, 1, v14
	v_or_b32_sdwa v12, v12, v13 dst_sel:WORD_1 dst_unused:UNUSED_PAD src0_sel:DWORD src1_sel:DWORD
	v_or_b32_sdwa v12, v14, v12 dst_sel:DWORD dst_unused:UNUSED_PAD src0_sel:WORD_0 src1_sel:DWORD
	v_cndmask_b32_e64 v13, 0, 1, s[0:1]
	v_cmp_ne_u32_e32 vcc, 0, v0
	s_waitcnt lgkmcnt(0)
	s_barrier
	s_waitcnt lgkmcnt(0)
                                        ; implicit-def: $sgpr12_sgpr13
                                        ; implicit-def: $vgpr15
	s_and_saveexec_b64 s[0:1], vcc
	s_cbranch_execz .LBB163_232
; %bb.220:
	v_cmp_gt_u32_e32 vcc, s7, v1
	s_mov_b32 s33, 0x3020104
	s_mov_b64 s[14:15], 0
	s_and_saveexec_b64 s[12:13], vcc
	s_cbranch_execz .LBB163_231
; %bb.221:
	s_andn2_b64 vcc, exec, s[2:3]
	s_cbranch_vccnz .LBB163_230
; %bb.222:
	v_add_u32_e32 v14, -8, v24
	ds_read_b64 v[14:15], v14
	v_pk_mov_b32 v[16:17], s[28:29], s[28:29] op_sel:[0,1]
	s_mov_b64 s[14:15], -1
	s_waitcnt lgkmcnt(0)
	v_mul_lo_u32 v18, v14, s27
	v_mul_lo_u32 v19, v15, s26
	v_mad_u64_u32 v[14:15], s[2:3], v14, s26, v[16:17]
	v_add3_u32 v15, v19, v15, v18
	v_mad_u64_u32 v[16:17], s[2:3], v6, s26, v[16:17]
	v_mul_lo_u32 v18, v6, s27
	v_mul_lo_u32 v19, v7, s26
	v_add3_u32 v17, v19, v17, v18
	global_load_ubyte v18, v[14:15], off
	global_load_ubyte v19, v[16:17], off
	s_waitcnt vmcnt(0)
	v_cmp_eq_u16_e32 vcc, v18, v19
	s_and_saveexec_b64 s[2:3], vcc
	s_cbranch_execz .LBB163_229
; %bb.223:
	s_mov_b64 s[28:29], 1
	s_mov_b64 s[14:15], 0
                                        ; implicit-def: $sgpr18_sgpr19
	s_branch .LBB163_226
.LBB163_224:                            ;   in Loop: Header=BB163_226 Depth=1
	v_mov_b32_e32 v25, s29
	v_add_co_u32_e32 v18, vcc, s28, v14
	v_addc_co_u32_e32 v19, vcc, v15, v25, vcc
	v_add_co_u32_e32 v24, vcc, s28, v16
	v_addc_co_u32_e32 v25, vcc, v17, v25, vcc
	global_load_ubyte v26, v[18:19], off
	global_load_ubyte v27, v[24:25], off
	s_add_u32 s36, s28, 1
	s_addc_u32 s37, s29, 0
	s_andn2_b64 s[18:19], s[18:19], exec
	s_waitcnt vmcnt(0)
	v_cmp_ne_u16_e32 vcc, v26, v27
	s_and_b64 s[38:39], vcc, exec
	s_or_b64 s[18:19], s[18:19], s[38:39]
.LBB163_225:                            ;   in Loop: Header=BB163_226 Depth=1
	s_and_b64 s[38:39], exec, s[18:19]
	s_or_b64 s[14:15], s[38:39], s[14:15]
	v_pk_mov_b32 v[18:19], s[28:29], s[28:29] op_sel:[0,1]
	s_mov_b64 s[28:29], s[36:37]
	s_andn2_b64 exec, exec, s[14:15]
	s_cbranch_execz .LBB163_228
.LBB163_226:                            ; =>This Inner Loop Header: Depth=1
	s_or_b64 s[18:19], s[18:19], exec
	s_cmp_eq_u64 s[26:27], s[28:29]
	s_cbranch_scc0 .LBB163_224
; %bb.227:                              ;   in Loop: Header=BB163_226 Depth=1
                                        ; implicit-def: $sgpr36_sgpr37
	s_mov_b64 s[28:29], s[26:27]
	s_branch .LBB163_225
.LBB163_228:
	s_or_b64 exec, exec, s[14:15]
	v_cmp_gt_i64_e32 vcc, s[26:27], v[18:19]
	s_orn2_b64 s[14:15], vcc, exec
.LBB163_229:
	s_or_b64 exec, exec, s[2:3]
.LBB163_230:
	s_and_b64 s[14:15], s[14:15], exec
.LBB163_231:
	s_or_b64 exec, exec, s[12:13]
	v_perm_b32 v15, v12, v12, s33
	s_and_b64 s[12:13], s[14:15], exec
	s_or_b64 s[10:11], s[10:11], exec
.LBB163_232:
	s_or_b64 exec, exec, s[0:1]
.LBB163_233:
	s_and_saveexec_b64 s[0:1], s[10:11]
	s_cbranch_execz .LBB163_235
; %bb.234:
	v_lshrrev_b32_e32 v14, 24, v15
	s_waitcnt lgkmcnt(0)
	s_movk_i32 s2, 0xff
	v_lshlrev_b16_e32 v14, 8, v14
	v_and_b32_sdwa v16, v15, s2 dst_sel:DWORD dst_unused:UNUSED_PAD src0_sel:WORD_1 src1_sel:DWORD
	v_or_b32_sdwa v14, v16, v14 dst_sel:WORD_1 dst_unused:UNUSED_PAD src0_sel:DWORD src1_sel:DWORD
	v_mov_b32_e32 v16, 8
	v_cndmask_b32_e64 v12, 0, 1, s[12:13]
	v_lshrrev_b32_sdwa v15, v16, v15 dst_sel:BYTE_1 dst_unused:UNUSED_PAD src0_sel:DWORD src1_sel:DWORD
	v_or_b32_e32 v12, v12, v15
	s_mov_b32 s2, 0xffff
	v_or_b32_sdwa v12, v12, v14 dst_sel:DWORD dst_unused:UNUSED_PAD src0_sel:WORD_0 src1_sel:DWORD
	v_and_b32_sdwa v13, s2, v13 dst_sel:DWORD dst_unused:UNUSED_PAD src0_sel:DWORD src1_sel:BYTE_0
.LBB163_235:
	s_or_b64 exec, exec, s[0:1]
	s_andn2_b64 vcc, exec, s[8:9]
	s_cbranch_vccnz .LBB163_237
; %bb.236:
	v_cmp_gt_u32_e32 vcc, s7, v1
	v_cndmask_b32_e32 v1, 0, v12, vcc
	v_and_b32_e32 v1, 0xffff00ff, v1
	v_cmp_gt_u32_e64 s[0:1], s7, v22
	v_cndmask_b32_e64 v1, v1, v12, s[0:1]
	v_lshrrev_b32_e32 v14, 24, v1
	s_waitcnt lgkmcnt(0)
	s_mov_b32 s2, 0x40c0100
	v_perm_b32 v1, v14, v1, s2
	v_cmp_gt_u32_e64 s[2:3], s7, v20
	v_cmp_gt_u32_e64 s[8:9], s7, v23
	v_cndmask_b32_e64 v1, v1, v12, s[2:3]
	s_or_b64 s[2:3], s[8:9], s[2:3]
	s_or_b64 s[0:1], s[2:3], s[0:1]
	s_or_b64 vcc, s[0:1], vcc
	v_and_b32_e32 v1, 0xffffff, v1
	v_cndmask_b32_e32 v14, 0, v13, vcc
	v_cndmask_b32_e64 v1, v1, v12, s[8:9]
	v_and_b32_e32 v14, 0xffffff00, v14
	v_cmp_gt_u32_e32 vcc, s7, v21
	v_cndmask_b32_e32 v1, v1, v12, vcc
	v_cndmask_b32_e32 v12, v14, v13, vcc
	s_mov_b32 s0, 0x3020104
	v_and_b32_e32 v13, 0xff, v12
	v_perm_b32 v12, v1, v1, s0
.LBB163_237:
	v_and_b32_e32 v1, 0xff, v12
	v_bfe_u32 v25, v12, 8, 8
	v_bfe_u32 v27, v12, 16, 8
	v_alignbit_b32 v14, v13, v12, 24
	v_and_b32_e32 v28, 0xff, v14
	v_and_b32_e32 v14, 0xff, v13
	v_add3_u32 v15, v25, v1, v27
	v_add3_u32 v31, v15, v28, v14
	v_mbcnt_lo_u32_b32 v14, -1, 0
	v_mbcnt_hi_u32_b32 v29, -1, v14
	v_and_b32_e32 v14, 15, v29
	v_cmp_eq_u32_e64 s[14:15], 0, v14
	v_cmp_lt_u32_e64 s[12:13], 1, v14
	v_cmp_lt_u32_e64 s[10:11], 3, v14
	;; [unrolled: 1-line block ×3, first 2 shown]
	v_and_b32_e32 v14, 16, v29
	v_cmp_eq_u32_e64 s[18:19], 0, v14
	v_or_b32_e32 v14, 63, v0
	v_cmp_lt_u32_e64 s[0:1], 31, v29
	v_lshrrev_b32_e32 v30, 6, v0
	s_waitcnt lgkmcnt(0)
	v_cmp_eq_u32_e64 s[2:3], v14, v0
	s_and_b64 vcc, exec, s[16:17]
	s_barrier
	s_cbranch_vccz .LBB163_264
; %bb.238:
	v_mov_b32_dpp v14, v31 row_shr:1 row_mask:0xf bank_mask:0xf
	v_cndmask_b32_e64 v14, v14, 0, s[14:15]
	v_add_u32_e32 v14, v14, v31
	s_nop 1
	v_mov_b32_dpp v15, v14 row_shr:2 row_mask:0xf bank_mask:0xf
	v_cndmask_b32_e64 v15, 0, v15, s[12:13]
	v_add_u32_e32 v14, v14, v15
	s_nop 1
	;; [unrolled: 4-line block ×4, first 2 shown]
	v_mov_b32_dpp v15, v14 row_bcast:15 row_mask:0xf bank_mask:0xf
	v_cndmask_b32_e64 v15, v15, 0, s[18:19]
	v_add_u32_e32 v14, v14, v15
	s_nop 1
	v_mov_b32_dpp v15, v14 row_bcast:31 row_mask:0xf bank_mask:0xf
	v_cndmask_b32_e64 v15, 0, v15, s[0:1]
	v_add_u32_e32 v14, v14, v15
	s_and_saveexec_b64 s[16:17], s[2:3]
	s_cbranch_execz .LBB163_240
; %bb.239:
	v_lshlrev_b32_e32 v15, 2, v30
	ds_write_b32 v15, v14
.LBB163_240:
	s_or_b64 exec, exec, s[16:17]
	v_cmp_gt_u32_e32 vcc, 4, v0
	s_waitcnt lgkmcnt(0)
	s_barrier
	s_and_saveexec_b64 s[16:17], vcc
	s_cbranch_execz .LBB163_242
; %bb.241:
	v_lshlrev_b32_e32 v15, 2, v0
	ds_read_b32 v16, v15
	v_and_b32_e32 v17, 3, v29
	v_cmp_ne_u32_e32 vcc, 0, v17
	s_waitcnt lgkmcnt(0)
	v_mov_b32_dpp v18, v16 row_shr:1 row_mask:0xf bank_mask:0xf
	v_cndmask_b32_e32 v18, 0, v18, vcc
	v_add_u32_e32 v16, v18, v16
	v_cmp_lt_u32_e32 vcc, 1, v17
	s_nop 0
	v_mov_b32_dpp v18, v16 row_shr:2 row_mask:0xf bank_mask:0xf
	v_cndmask_b32_e32 v17, 0, v18, vcc
	v_add_u32_e32 v16, v16, v17
	ds_write_b32 v15, v16
.LBB163_242:
	s_or_b64 exec, exec, s[16:17]
	v_cmp_gt_u32_e32 vcc, 64, v0
	v_cmp_lt_u32_e64 s[16:17], 63, v0
	s_waitcnt lgkmcnt(0)
	s_barrier
	s_waitcnt lgkmcnt(0)
                                        ; implicit-def: $vgpr24
	s_and_saveexec_b64 s[26:27], s[16:17]
	s_cbranch_execz .LBB163_244
; %bb.243:
	v_lshl_add_u32 v15, v30, 2, -4
	ds_read_b32 v24, v15
	s_waitcnt lgkmcnt(0)
	v_add_u32_e32 v14, v24, v14
.LBB163_244:
	s_or_b64 exec, exec, s[26:27]
	v_add_u32_e32 v15, -1, v29
	v_and_b32_e32 v16, 64, v29
	v_cmp_lt_i32_e64 s[16:17], v15, v16
	v_cndmask_b32_e64 v15, v15, v29, s[16:17]
	v_lshlrev_b32_e32 v15, 2, v15
	ds_bpermute_b32 v26, v15, v14
	v_cmp_eq_u32_e64 s[16:17], 0, v29
	s_and_saveexec_b64 s[26:27], vcc
	s_cbranch_execz .LBB163_263
; %bb.245:
	v_mov_b32_e32 v21, 0
	ds_read_b32 v14, v21 offset:12
	s_and_saveexec_b64 s[28:29], s[16:17]
	s_cbranch_execz .LBB163_247
; %bb.246:
	s_add_i32 s36, s6, 64
	s_mov_b32 s37, 0
	s_lshl_b64 s[36:37], s[36:37], 3
	s_add_u32 s36, s30, s36
	v_mov_b32_e32 v15, 1
	s_addc_u32 s37, s31, s37
	s_waitcnt lgkmcnt(0)
	global_store_dwordx2 v21, v[14:15], s[36:37]
.LBB163_247:
	s_or_b64 exec, exec, s[28:29]
	v_xad_u32 v16, v29, -1, s6
	v_add_u32_e32 v20, 64, v16
	v_lshlrev_b64 v[18:19], 3, v[20:21]
	v_mov_b32_e32 v15, s31
	v_add_co_u32_e32 v22, vcc, s30, v18
	v_addc_co_u32_e32 v23, vcc, v15, v19, vcc
	global_load_dwordx2 v[18:19], v[22:23], off glc
	s_waitcnt vmcnt(0)
	v_cmp_eq_u16_sdwa s[36:37], v19, v21 src0_sel:BYTE_0 src1_sel:DWORD
	s_and_saveexec_b64 s[28:29], s[36:37]
	s_cbranch_execz .LBB163_251
; %bb.248:
	s_mov_b64 s[36:37], 0
	v_mov_b32_e32 v15, 0
.LBB163_249:                            ; =>This Inner Loop Header: Depth=1
	global_load_dwordx2 v[18:19], v[22:23], off glc
	s_waitcnt vmcnt(0)
	v_cmp_ne_u16_sdwa s[38:39], v19, v15 src0_sel:BYTE_0 src1_sel:DWORD
	s_or_b64 s[36:37], s[38:39], s[36:37]
	s_andn2_b64 exec, exec, s[36:37]
	s_cbranch_execnz .LBB163_249
; %bb.250:
	s_or_b64 exec, exec, s[36:37]
.LBB163_251:
	s_or_b64 exec, exec, s[28:29]
	v_and_b32_e32 v32, 63, v29
	v_mov_b32_e32 v15, 2
	v_cmp_ne_u32_e32 vcc, 63, v32
	v_cmp_eq_u16_sdwa s[28:29], v19, v15 src0_sel:BYTE_0 src1_sel:DWORD
	v_lshlrev_b64 v[20:21], v29, -1
	v_addc_co_u32_e32 v23, vcc, 0, v29, vcc
	v_and_b32_e32 v17, s29, v21
	v_lshlrev_b32_e32 v33, 2, v23
	v_or_b32_e32 v17, 0x80000000, v17
	ds_bpermute_b32 v23, v33, v18
	v_and_b32_e32 v22, s28, v20
	v_ffbl_b32_e32 v17, v17
	v_add_u32_e32 v17, 32, v17
	v_ffbl_b32_e32 v22, v22
	v_min_u32_e32 v17, v22, v17
	v_cmp_lt_u32_e32 vcc, v32, v17
	s_waitcnt lgkmcnt(0)
	v_cndmask_b32_e32 v22, 0, v23, vcc
	v_cmp_gt_u32_e32 vcc, 62, v32
	v_add_u32_e32 v18, v22, v18
	v_cndmask_b32_e64 v22, 0, 1, vcc
	v_lshlrev_b32_e32 v22, 1, v22
	v_add_lshl_u32 v34, v22, v29, 2
	ds_bpermute_b32 v22, v34, v18
	v_add_u32_e32 v35, 2, v32
	v_cmp_le_u32_e32 vcc, v35, v17
	v_add_u32_e32 v37, 4, v32
	v_add_u32_e32 v39, 8, v32
	s_waitcnt lgkmcnt(0)
	v_cndmask_b32_e32 v22, 0, v22, vcc
	v_cmp_gt_u32_e32 vcc, 60, v32
	v_add_u32_e32 v18, v18, v22
	v_cndmask_b32_e64 v22, 0, 1, vcc
	v_lshlrev_b32_e32 v22, 2, v22
	v_add_lshl_u32 v36, v22, v29, 2
	ds_bpermute_b32 v22, v36, v18
	v_cmp_le_u32_e32 vcc, v37, v17
	v_add_u32_e32 v42, 16, v32
	v_add_u32_e32 v44, 32, v32
	s_waitcnt lgkmcnt(0)
	v_cndmask_b32_e32 v22, 0, v22, vcc
	v_cmp_gt_u32_e32 vcc, 56, v32
	v_add_u32_e32 v18, v18, v22
	v_cndmask_b32_e64 v22, 0, 1, vcc
	v_lshlrev_b32_e32 v22, 3, v22
	v_add_lshl_u32 v38, v22, v29, 2
	ds_bpermute_b32 v22, v38, v18
	v_cmp_le_u32_e32 vcc, v39, v17
	s_waitcnt lgkmcnt(0)
	v_cndmask_b32_e32 v22, 0, v22, vcc
	v_cmp_gt_u32_e32 vcc, 48, v32
	v_add_u32_e32 v18, v18, v22
	v_cndmask_b32_e64 v22, 0, 1, vcc
	v_lshlrev_b32_e32 v22, 4, v22
	v_add_lshl_u32 v41, v22, v29, 2
	ds_bpermute_b32 v22, v41, v18
	v_cmp_le_u32_e32 vcc, v42, v17
	;; [unrolled: 9-line block ×3, first 2 shown]
	s_waitcnt lgkmcnt(0)
	v_cndmask_b32_e32 v17, 0, v22, vcc
	v_add_u32_e32 v18, v18, v17
	v_mov_b32_e32 v17, 0
	s_branch .LBB163_253
.LBB163_252:                            ;   in Loop: Header=BB163_253 Depth=1
	s_or_b64 exec, exec, s[28:29]
	v_cmp_eq_u16_sdwa s[28:29], v19, v15 src0_sel:BYTE_0 src1_sel:DWORD
	v_and_b32_e32 v22, s29, v21
	v_or_b32_e32 v22, 0x80000000, v22
	ds_bpermute_b32 v45, v33, v18
	v_and_b32_e32 v23, s28, v20
	v_ffbl_b32_e32 v22, v22
	v_add_u32_e32 v22, 32, v22
	v_ffbl_b32_e32 v23, v23
	v_min_u32_e32 v22, v23, v22
	v_cmp_lt_u32_e32 vcc, v32, v22
	s_waitcnt lgkmcnt(0)
	v_cndmask_b32_e32 v23, 0, v45, vcc
	v_add_u32_e32 v18, v23, v18
	ds_bpermute_b32 v23, v34, v18
	v_cmp_le_u32_e32 vcc, v35, v22
	v_subrev_u32_e32 v16, 64, v16
	s_waitcnt lgkmcnt(0)
	v_cndmask_b32_e32 v23, 0, v23, vcc
	v_add_u32_e32 v18, v18, v23
	ds_bpermute_b32 v23, v36, v18
	v_cmp_le_u32_e32 vcc, v37, v22
	s_waitcnt lgkmcnt(0)
	v_cndmask_b32_e32 v23, 0, v23, vcc
	v_add_u32_e32 v18, v18, v23
	ds_bpermute_b32 v23, v38, v18
	v_cmp_le_u32_e32 vcc, v39, v22
	;; [unrolled: 5-line block ×4, first 2 shown]
	s_waitcnt lgkmcnt(0)
	v_cndmask_b32_e32 v22, 0, v23, vcc
	v_add3_u32 v18, v22, v40, v18
.LBB163_253:                            ; =>This Loop Header: Depth=1
                                        ;     Child Loop BB163_256 Depth 2
	v_cmp_ne_u16_sdwa s[28:29], v19, v15 src0_sel:BYTE_0 src1_sel:DWORD
	v_cndmask_b32_e64 v19, 0, 1, s[28:29]
	;;#ASMSTART
	;;#ASMEND
	v_cmp_ne_u32_e32 vcc, 0, v19
	s_cmp_lg_u64 vcc, exec
	v_mov_b32_e32 v40, v18
	s_cbranch_scc1 .LBB163_258
; %bb.254:                              ;   in Loop: Header=BB163_253 Depth=1
	v_lshlrev_b64 v[18:19], 3, v[16:17]
	v_mov_b32_e32 v23, s31
	v_add_co_u32_e32 v22, vcc, s30, v18
	v_addc_co_u32_e32 v23, vcc, v23, v19, vcc
	global_load_dwordx2 v[18:19], v[22:23], off glc
	s_waitcnt vmcnt(0)
	v_cmp_eq_u16_sdwa s[36:37], v19, v17 src0_sel:BYTE_0 src1_sel:DWORD
	s_and_saveexec_b64 s[28:29], s[36:37]
	s_cbranch_execz .LBB163_252
; %bb.255:                              ;   in Loop: Header=BB163_253 Depth=1
	s_mov_b64 s[36:37], 0
.LBB163_256:                            ;   Parent Loop BB163_253 Depth=1
                                        ; =>  This Inner Loop Header: Depth=2
	global_load_dwordx2 v[18:19], v[22:23], off glc
	s_waitcnt vmcnt(0)
	v_cmp_ne_u16_sdwa s[38:39], v19, v17 src0_sel:BYTE_0 src1_sel:DWORD
	s_or_b64 s[36:37], s[38:39], s[36:37]
	s_andn2_b64 exec, exec, s[36:37]
	s_cbranch_execnz .LBB163_256
; %bb.257:                              ;   in Loop: Header=BB163_253 Depth=1
	s_or_b64 exec, exec, s[36:37]
	s_branch .LBB163_252
.LBB163_258:                            ;   in Loop: Header=BB163_253 Depth=1
                                        ; implicit-def: $vgpr18
                                        ; implicit-def: $vgpr19
	s_cbranch_execz .LBB163_253
; %bb.259:
	s_and_saveexec_b64 s[28:29], s[16:17]
	s_cbranch_execz .LBB163_261
; %bb.260:
	s_add_i32 s6, s6, 64
	s_mov_b32 s7, 0
	s_lshl_b64 s[6:7], s[6:7], 3
	s_add_u32 s6, s30, s6
	v_add_u32_e32 v16, v40, v14
	v_mov_b32_e32 v17, 2
	s_addc_u32 s7, s31, s7
	v_mov_b32_e32 v15, 0
	global_store_dwordx2 v15, v[16:17], s[6:7]
	s_movk_i32 s6, 0x2800
	v_add_u32_e64 v15, s6, 0
	ds_write2_b32 v15, v14, v40 offset1:2
.LBB163_261:
	s_or_b64 exec, exec, s[28:29]
	v_cmp_eq_u32_e32 vcc, 0, v0
	s_and_b64 exec, exec, vcc
	s_cbranch_execz .LBB163_263
; %bb.262:
	v_mov_b32_e32 v14, 0
	ds_write_b32 v14, v40 offset:12
.LBB163_263:
	s_or_b64 exec, exec, s[26:27]
	v_mov_b32_e32 v14, 0
	s_waitcnt lgkmcnt(0)
	s_barrier
	ds_read_b32 v14, v14 offset:12
	v_cndmask_b32_e64 v15, v26, v24, s[16:17]
	v_cmp_ne_u32_e32 vcc, 0, v0
	v_cndmask_b32_e32 v15, 0, v15, vcc
	s_movk_i32 s6, 0x2800
	s_waitcnt lgkmcnt(0)
	v_add_u32_e32 v26, v14, v15
	v_add_u32_e64 v14, s6, 0
	s_barrier
	ds_read2_b32 v[14:15], v14 offset1:2
	v_add_u32_e32 v24, v26, v1
	v_add_u32_e32 v22, v24, v25
	;; [unrolled: 1-line block ×4, first 2 shown]
	s_load_dwordx2 s[4:5], s[4:5], 0x28
	v_lshrrev_b64 v[16:17], 24, v[12:13]
	s_branch .LBB163_274
.LBB163_264:
                                        ; implicit-def: $vgpr18
                                        ; implicit-def: $vgpr20
                                        ; implicit-def: $vgpr22
                                        ; implicit-def: $vgpr24
                                        ; implicit-def: $vgpr26
                                        ; implicit-def: $vgpr15
	s_load_dwordx2 s[4:5], s[4:5], 0x28
	v_lshrrev_b64 v[16:17], 24, v[12:13]
	s_cbranch_execz .LBB163_274
; %bb.265:
	s_waitcnt lgkmcnt(0)
	v_mov_b32_dpp v14, v31 row_shr:1 row_mask:0xf bank_mask:0xf
	v_cndmask_b32_e64 v14, v14, 0, s[14:15]
	v_add_u32_e32 v14, v14, v31
	s_nop 1
	v_mov_b32_dpp v15, v14 row_shr:2 row_mask:0xf bank_mask:0xf
	v_cndmask_b32_e64 v15, 0, v15, s[12:13]
	v_add_u32_e32 v14, v14, v15
	s_nop 1
	;; [unrolled: 4-line block ×4, first 2 shown]
	v_mov_b32_dpp v15, v14 row_bcast:15 row_mask:0xf bank_mask:0xf
	v_cndmask_b32_e64 v15, v15, 0, s[18:19]
	v_add_u32_e32 v14, v14, v15
	s_nop 1
	v_mov_b32_dpp v15, v14 row_bcast:31 row_mask:0xf bank_mask:0xf
	v_cndmask_b32_e64 v15, 0, v15, s[0:1]
	v_add_u32_e32 v14, v14, v15
	s_and_saveexec_b64 s[0:1], s[2:3]
	s_cbranch_execz .LBB163_267
; %bb.266:
	v_lshlrev_b32_e32 v15, 2, v30
	ds_write_b32 v15, v14
.LBB163_267:
	s_or_b64 exec, exec, s[0:1]
	v_cmp_gt_u32_e32 vcc, 4, v0
	s_waitcnt lgkmcnt(0)
	s_barrier
	s_and_saveexec_b64 s[0:1], vcc
	s_cbranch_execz .LBB163_269
; %bb.268:
	v_lshlrev_b32_e32 v15, 2, v0
	ds_read_b32 v17, v15
	v_and_b32_e32 v18, 3, v29
	v_cmp_ne_u32_e32 vcc, 0, v18
	s_waitcnt lgkmcnt(0)
	v_mov_b32_dpp v19, v17 row_shr:1 row_mask:0xf bank_mask:0xf
	v_cndmask_b32_e32 v19, 0, v19, vcc
	v_add_u32_e32 v17, v19, v17
	v_cmp_lt_u32_e32 vcc, 1, v18
	s_nop 0
	v_mov_b32_dpp v19, v17 row_shr:2 row_mask:0xf bank_mask:0xf
	v_cndmask_b32_e32 v18, 0, v19, vcc
	v_add_u32_e32 v17, v17, v18
	ds_write_b32 v15, v17
.LBB163_269:
	s_or_b64 exec, exec, s[0:1]
	v_cmp_lt_u32_e32 vcc, 63, v0
	v_mov_b32_e32 v15, 0
	v_mov_b32_e32 v17, 0
	s_waitcnt lgkmcnt(0)
	s_barrier
	s_and_saveexec_b64 s[0:1], vcc
	s_cbranch_execz .LBB163_271
; %bb.270:
	v_lshl_add_u32 v17, v30, 2, -4
	ds_read_b32 v17, v17
.LBB163_271:
	s_or_b64 exec, exec, s[0:1]
	v_add_u32_e32 v18, -1, v29
	v_and_b32_e32 v19, 64, v29
	v_cmp_lt_i32_e32 vcc, v18, v19
	v_cndmask_b32_e32 v18, v18, v29, vcc
	s_waitcnt lgkmcnt(0)
	v_add_u32_e32 v14, v17, v14
	v_lshlrev_b32_e32 v18, 2, v18
	ds_bpermute_b32 v18, v18, v14
	ds_read_b32 v14, v15 offset:12
	v_cmp_eq_u32_e32 vcc, 0, v0
	s_and_saveexec_b64 s[0:1], vcc
	s_cbranch_execz .LBB163_273
; %bb.272:
	v_mov_b32_e32 v19, 0
	v_mov_b32_e32 v15, 2
	s_waitcnt lgkmcnt(0)
	global_store_dwordx2 v19, v[14:15], s[30:31] offset:512
.LBB163_273:
	s_or_b64 exec, exec, s[0:1]
	v_cmp_eq_u32_e64 s[0:1], 0, v29
	s_waitcnt lgkmcnt(1)
	v_cndmask_b32_e64 v17, v18, v17, s[0:1]
	v_cndmask_b32_e64 v26, v17, 0, vcc
	v_add_u32_e32 v24, v26, v1
	v_add_u32_e32 v22, v24, v25
	;; [unrolled: 1-line block ×3, first 2 shown]
	v_mov_b32_e32 v15, 0
	v_add_u32_e32 v18, v20, v28
	s_waitcnt lgkmcnt(0)
	s_barrier
.LBB163_274:
	s_movk_i32 s0, 0x101
	s_waitcnt lgkmcnt(0)
	v_cmp_gt_u32_e32 vcc, s0, v14
	v_lshrrev_b32_e32 v1, 8, v12
	s_mov_b64 s[0:1], -1
	s_cbranch_vccnz .LBB163_278
; %bb.275:
	s_and_b64 vcc, exec, s[0:1]
	s_cbranch_vccnz .LBB163_294
.LBB163_276:
	v_cmp_eq_u32_e32 vcc, 0, v0
	s_and_b64 s[0:1], vcc, s[24:25]
	s_and_saveexec_b64 s[2:3], s[0:1]
	s_cbranch_execnz .LBB163_308
.LBB163_277:
	s_endpgm
.LBB163_278:
	v_add_u32_e32 v17, v15, v14
	v_cmp_lt_u32_e32 vcc, v26, v17
	s_or_b64 s[2:3], s[34:35], vcc
	s_and_saveexec_b64 s[0:1], s[2:3]
	s_cbranch_execz .LBB163_281
; %bb.279:
	v_and_b32_e32 v19, 1, v12
	v_cmp_eq_u32_e32 vcc, 1, v19
	s_and_b64 exec, exec, vcc
	s_cbranch_execz .LBB163_281
; %bb.280:
	s_lshl_b64 s[2:3], s[22:23], 3
	s_add_u32 s2, s4, s2
	v_mov_b32_e32 v27, 0
	s_addc_u32 s3, s5, s3
	v_lshlrev_b64 v[28:29], 3, v[26:27]
	v_mov_b32_e32 v19, s3
	v_add_co_u32_e32 v28, vcc, s2, v28
	v_addc_co_u32_e32 v29, vcc, v19, v29, vcc
	global_store_dwordx2 v[28:29], v[6:7], off
.LBB163_281:
	s_or_b64 exec, exec, s[0:1]
	v_cmp_lt_u32_e32 vcc, v24, v17
	s_or_b64 s[2:3], s[34:35], vcc
	s_and_saveexec_b64 s[0:1], s[2:3]
	s_cbranch_execz .LBB163_284
; %bb.282:
	v_and_b32_e32 v19, 1, v1
	v_cmp_eq_u32_e32 vcc, 1, v19
	s_and_b64 exec, exec, vcc
	s_cbranch_execz .LBB163_284
; %bb.283:
	s_lshl_b64 s[2:3], s[22:23], 3
	s_add_u32 s2, s4, s2
	v_mov_b32_e32 v25, 0
	s_addc_u32 s3, s5, s3
	v_lshlrev_b64 v[28:29], 3, v[24:25]
	v_mov_b32_e32 v19, s3
	v_add_co_u32_e32 v28, vcc, s2, v28
	v_addc_co_u32_e32 v29, vcc, v19, v29, vcc
	global_store_dwordx2 v[28:29], v[8:9], off
.LBB163_284:
	s_or_b64 exec, exec, s[0:1]
	v_cmp_lt_u32_e32 vcc, v22, v17
	s_or_b64 s[2:3], s[34:35], vcc
	s_and_saveexec_b64 s[0:1], s[2:3]
	s_cbranch_execz .LBB163_287
; %bb.285:
	v_mov_b32_e32 v19, 1
	v_and_b32_sdwa v19, v19, v12 dst_sel:DWORD dst_unused:UNUSED_PAD src0_sel:DWORD src1_sel:WORD_1
	v_cmp_eq_u32_e32 vcc, 1, v19
	s_and_b64 exec, exec, vcc
	s_cbranch_execz .LBB163_287
; %bb.286:
	s_lshl_b64 s[2:3], s[22:23], 3
	s_add_u32 s2, s4, s2
	v_mov_b32_e32 v23, 0
	s_addc_u32 s3, s5, s3
	v_lshlrev_b64 v[28:29], 3, v[22:23]
	v_mov_b32_e32 v19, s3
	v_add_co_u32_e32 v28, vcc, s2, v28
	v_addc_co_u32_e32 v29, vcc, v19, v29, vcc
	global_store_dwordx2 v[28:29], v[2:3], off
.LBB163_287:
	s_or_b64 exec, exec, s[0:1]
	v_cmp_lt_u32_e32 vcc, v20, v17
	s_or_b64 s[2:3], s[34:35], vcc
	s_and_saveexec_b64 s[0:1], s[2:3]
	s_cbranch_execz .LBB163_290
; %bb.288:
	v_and_b32_e32 v19, 1, v16
	v_cmp_eq_u32_e32 vcc, 1, v19
	s_and_b64 exec, exec, vcc
	s_cbranch_execz .LBB163_290
; %bb.289:
	s_lshl_b64 s[2:3], s[22:23], 3
	s_add_u32 s2, s4, s2
	v_mov_b32_e32 v21, 0
	s_addc_u32 s3, s5, s3
	v_lshlrev_b64 v[28:29], 3, v[20:21]
	v_mov_b32_e32 v19, s3
	v_add_co_u32_e32 v28, vcc, s2, v28
	v_addc_co_u32_e32 v29, vcc, v19, v29, vcc
	global_store_dwordx2 v[28:29], v[4:5], off
.LBB163_290:
	s_or_b64 exec, exec, s[0:1]
	v_cmp_lt_u32_e32 vcc, v18, v17
	s_or_b64 s[2:3], s[34:35], vcc
	s_and_saveexec_b64 s[0:1], s[2:3]
	s_cbranch_execz .LBB163_293
; %bb.291:
	v_and_b32_e32 v17, 1, v13
	v_cmp_eq_u32_e32 vcc, 1, v17
	s_and_b64 exec, exec, vcc
	s_cbranch_execz .LBB163_293
; %bb.292:
	s_lshl_b64 s[2:3], s[22:23], 3
	s_add_u32 s2, s4, s2
	v_mov_b32_e32 v19, 0
	s_addc_u32 s3, s5, s3
	v_lshlrev_b64 v[28:29], 3, v[18:19]
	v_mov_b32_e32 v17, s3
	v_add_co_u32_e32 v28, vcc, s2, v28
	v_addc_co_u32_e32 v29, vcc, v17, v29, vcc
	global_store_dwordx2 v[28:29], v[10:11], off
.LBB163_293:
	s_or_b64 exec, exec, s[0:1]
	s_branch .LBB163_276
.LBB163_294:
	v_and_b32_e32 v17, 1, v12
	v_cmp_eq_u32_e32 vcc, 1, v17
	s_and_saveexec_b64 s[0:1], vcc
	s_cbranch_execz .LBB163_296
; %bb.295:
	v_sub_u32_e32 v17, v26, v15
	v_lshlrev_b32_e32 v17, 3, v17
	ds_write_b64 v17, v[6:7]
.LBB163_296:
	s_or_b64 exec, exec, s[0:1]
	v_and_b32_e32 v1, 1, v1
	v_cmp_eq_u32_e32 vcc, 1, v1
	s_and_saveexec_b64 s[0:1], vcc
	s_cbranch_execz .LBB163_298
; %bb.297:
	v_sub_u32_e32 v1, v24, v15
	v_lshlrev_b32_e32 v1, 3, v1
	ds_write_b64 v1, v[8:9]
.LBB163_298:
	s_or_b64 exec, exec, s[0:1]
	v_mov_b32_e32 v1, 1
	v_and_b32_sdwa v1, v1, v12 dst_sel:DWORD dst_unused:UNUSED_PAD src0_sel:DWORD src1_sel:WORD_1
	v_cmp_eq_u32_e32 vcc, 1, v1
	s_and_saveexec_b64 s[0:1], vcc
	s_cbranch_execz .LBB163_300
; %bb.299:
	v_sub_u32_e32 v1, v22, v15
	v_lshlrev_b32_e32 v1, 3, v1
	ds_write_b64 v1, v[2:3]
.LBB163_300:
	s_or_b64 exec, exec, s[0:1]
	v_and_b32_e32 v1, 1, v16
	v_cmp_eq_u32_e32 vcc, 1, v1
	s_and_saveexec_b64 s[0:1], vcc
	s_cbranch_execz .LBB163_302
; %bb.301:
	v_sub_u32_e32 v1, v20, v15
	v_lshlrev_b32_e32 v1, 3, v1
	ds_write_b64 v1, v[4:5]
.LBB163_302:
	s_or_b64 exec, exec, s[0:1]
	v_and_b32_e32 v1, 1, v13
	v_cmp_eq_u32_e32 vcc, 1, v1
	s_and_saveexec_b64 s[0:1], vcc
	s_cbranch_execz .LBB163_304
; %bb.303:
	v_sub_u32_e32 v1, v18, v15
	v_lshlrev_b32_e32 v1, 3, v1
	ds_write_b64 v1, v[10:11]
.LBB163_304:
	s_or_b64 exec, exec, s[0:1]
	v_cmp_lt_u32_e32 vcc, v0, v14
	s_waitcnt lgkmcnt(0)
	s_barrier
	s_and_saveexec_b64 s[0:1], vcc
	s_cbranch_execz .LBB163_307
; %bb.305:
	v_mov_b32_e32 v3, 0
	v_mov_b32_e32 v2, v15
	v_lshlrev_b64 v[4:5], 3, v[2:3]
	v_mov_b32_e32 v1, s5
	v_add_co_u32_e32 v2, vcc, s4, v4
	v_addc_co_u32_e32 v4, vcc, v1, v5, vcc
	s_lshl_b64 s[2:3], s[22:23], 3
	v_mov_b32_e32 v5, s3
	v_add_co_u32_e32 v1, vcc, s2, v2
	v_addc_co_u32_e32 v4, vcc, v4, v5, vcc
	v_lshlrev_b32_e32 v5, 3, v0
	s_mov_b64 s[2:3], 0
	v_mov_b32_e32 v2, v0
.LBB163_306:                            ; =>This Inner Loop Header: Depth=1
	ds_read_b64 v[6:7], v5
	v_lshlrev_b64 v[8:9], 3, v[2:3]
	v_add_co_u32_e32 v8, vcc, v1, v8
	v_add_u32_e32 v2, 0x100, v2
	v_addc_co_u32_e32 v9, vcc, v4, v9, vcc
	v_cmp_ge_u32_e32 vcc, v2, v14
	v_add_u32_e32 v5, 0x800, v5
	s_or_b64 s[2:3], vcc, s[2:3]
	s_waitcnt lgkmcnt(0)
	global_store_dwordx2 v[8:9], v[6:7], off
	s_andn2_b64 exec, exec, s[2:3]
	s_cbranch_execnz .LBB163_306
.LBB163_307:
	s_or_b64 exec, exec, s[0:1]
	v_cmp_eq_u32_e32 vcc, 0, v0
	s_and_b64 s[0:1], vcc, s[24:25]
	s_and_saveexec_b64 s[2:3], s[0:1]
	s_cbranch_execz .LBB163_277
.LBB163_308:
	v_mov_b32_e32 v0, s23
	v_add_co_u32_e32 v1, vcc, s22, v14
	v_addc_co_u32_e32 v3, vcc, 0, v0, vcc
	v_add_co_u32_e32 v0, vcc, v1, v15
	v_mov_b32_e32 v2, 0
	v_addc_co_u32_e32 v1, vcc, 0, v3, vcc
	global_store_dwordx2 v2, v[0:1], s[20:21]
	s_endpgm
	.section	.rodata,"a",@progbits
	.p2align	6, 0x0
	.amdhsa_kernel _ZN7rocprim17ROCPRIM_400000_NS6detail17trampoline_kernelINS0_14default_configENS1_25partition_config_selectorILNS1_17partition_subalgoE8ElNS0_10empty_typeEbEEZZNS1_14partition_implILS5_8ELb0ES3_jPlPS6_PKS6_NS0_5tupleIJS9_S6_EEENSD_IJSA_SA_EEENS0_18inequality_wrapperIZN2at6native12_GLOBAL__N_124unique_dim_cuda_templateIhEESt5tupleIJNSH_6TensorESM_SM_EERKSM_lbbbEUlllE0_EEPmJS6_EEE10hipError_tPvRmT3_T4_T5_T6_T7_T9_mT8_P12ihipStream_tbDpT10_ENKUlT_T0_E_clISt17integral_constantIbLb0EES1C_EEDaS17_S18_EUlS17_E_NS1_11comp_targetILNS1_3genE4ELNS1_11target_archE910ELNS1_3gpuE8ELNS1_3repE0EEENS1_30default_config_static_selectorELNS0_4arch9wavefront6targetE1EEEvT1_
		.amdhsa_group_segment_fixed_size 10252
		.amdhsa_private_segment_fixed_size 0
		.amdhsa_kernarg_size 120
		.amdhsa_user_sgpr_count 6
		.amdhsa_user_sgpr_private_segment_buffer 1
		.amdhsa_user_sgpr_dispatch_ptr 0
		.amdhsa_user_sgpr_queue_ptr 0
		.amdhsa_user_sgpr_kernarg_segment_ptr 1
		.amdhsa_user_sgpr_dispatch_id 0
		.amdhsa_user_sgpr_flat_scratch_init 0
		.amdhsa_user_sgpr_kernarg_preload_length 0
		.amdhsa_user_sgpr_kernarg_preload_offset 0
		.amdhsa_user_sgpr_private_segment_size 0
		.amdhsa_uses_dynamic_stack 0
		.amdhsa_system_sgpr_private_segment_wavefront_offset 0
		.amdhsa_system_sgpr_workgroup_id_x 1
		.amdhsa_system_sgpr_workgroup_id_y 0
		.amdhsa_system_sgpr_workgroup_id_z 0
		.amdhsa_system_sgpr_workgroup_info 0
		.amdhsa_system_vgpr_workitem_id 0
		.amdhsa_next_free_vgpr 46
		.amdhsa_next_free_sgpr 48
		.amdhsa_accum_offset 48
		.amdhsa_reserve_vcc 1
		.amdhsa_reserve_flat_scratch 0
		.amdhsa_float_round_mode_32 0
		.amdhsa_float_round_mode_16_64 0
		.amdhsa_float_denorm_mode_32 3
		.amdhsa_float_denorm_mode_16_64 3
		.amdhsa_dx10_clamp 1
		.amdhsa_ieee_mode 1
		.amdhsa_fp16_overflow 0
		.amdhsa_tg_split 0
		.amdhsa_exception_fp_ieee_invalid_op 0
		.amdhsa_exception_fp_denorm_src 0
		.amdhsa_exception_fp_ieee_div_zero 0
		.amdhsa_exception_fp_ieee_overflow 0
		.amdhsa_exception_fp_ieee_underflow 0
		.amdhsa_exception_fp_ieee_inexact 0
		.amdhsa_exception_int_div_zero 0
	.end_amdhsa_kernel
	.section	.text._ZN7rocprim17ROCPRIM_400000_NS6detail17trampoline_kernelINS0_14default_configENS1_25partition_config_selectorILNS1_17partition_subalgoE8ElNS0_10empty_typeEbEEZZNS1_14partition_implILS5_8ELb0ES3_jPlPS6_PKS6_NS0_5tupleIJS9_S6_EEENSD_IJSA_SA_EEENS0_18inequality_wrapperIZN2at6native12_GLOBAL__N_124unique_dim_cuda_templateIhEESt5tupleIJNSH_6TensorESM_SM_EERKSM_lbbbEUlllE0_EEPmJS6_EEE10hipError_tPvRmT3_T4_T5_T6_T7_T9_mT8_P12ihipStream_tbDpT10_ENKUlT_T0_E_clISt17integral_constantIbLb0EES1C_EEDaS17_S18_EUlS17_E_NS1_11comp_targetILNS1_3genE4ELNS1_11target_archE910ELNS1_3gpuE8ELNS1_3repE0EEENS1_30default_config_static_selectorELNS0_4arch9wavefront6targetE1EEEvT1_,"axG",@progbits,_ZN7rocprim17ROCPRIM_400000_NS6detail17trampoline_kernelINS0_14default_configENS1_25partition_config_selectorILNS1_17partition_subalgoE8ElNS0_10empty_typeEbEEZZNS1_14partition_implILS5_8ELb0ES3_jPlPS6_PKS6_NS0_5tupleIJS9_S6_EEENSD_IJSA_SA_EEENS0_18inequality_wrapperIZN2at6native12_GLOBAL__N_124unique_dim_cuda_templateIhEESt5tupleIJNSH_6TensorESM_SM_EERKSM_lbbbEUlllE0_EEPmJS6_EEE10hipError_tPvRmT3_T4_T5_T6_T7_T9_mT8_P12ihipStream_tbDpT10_ENKUlT_T0_E_clISt17integral_constantIbLb0EES1C_EEDaS17_S18_EUlS17_E_NS1_11comp_targetILNS1_3genE4ELNS1_11target_archE910ELNS1_3gpuE8ELNS1_3repE0EEENS1_30default_config_static_selectorELNS0_4arch9wavefront6targetE1EEEvT1_,comdat
.Lfunc_end163:
	.size	_ZN7rocprim17ROCPRIM_400000_NS6detail17trampoline_kernelINS0_14default_configENS1_25partition_config_selectorILNS1_17partition_subalgoE8ElNS0_10empty_typeEbEEZZNS1_14partition_implILS5_8ELb0ES3_jPlPS6_PKS6_NS0_5tupleIJS9_S6_EEENSD_IJSA_SA_EEENS0_18inequality_wrapperIZN2at6native12_GLOBAL__N_124unique_dim_cuda_templateIhEESt5tupleIJNSH_6TensorESM_SM_EERKSM_lbbbEUlllE0_EEPmJS6_EEE10hipError_tPvRmT3_T4_T5_T6_T7_T9_mT8_P12ihipStream_tbDpT10_ENKUlT_T0_E_clISt17integral_constantIbLb0EES1C_EEDaS17_S18_EUlS17_E_NS1_11comp_targetILNS1_3genE4ELNS1_11target_archE910ELNS1_3gpuE8ELNS1_3repE0EEENS1_30default_config_static_selectorELNS0_4arch9wavefront6targetE1EEEvT1_, .Lfunc_end163-_ZN7rocprim17ROCPRIM_400000_NS6detail17trampoline_kernelINS0_14default_configENS1_25partition_config_selectorILNS1_17partition_subalgoE8ElNS0_10empty_typeEbEEZZNS1_14partition_implILS5_8ELb0ES3_jPlPS6_PKS6_NS0_5tupleIJS9_S6_EEENSD_IJSA_SA_EEENS0_18inequality_wrapperIZN2at6native12_GLOBAL__N_124unique_dim_cuda_templateIhEESt5tupleIJNSH_6TensorESM_SM_EERKSM_lbbbEUlllE0_EEPmJS6_EEE10hipError_tPvRmT3_T4_T5_T6_T7_T9_mT8_P12ihipStream_tbDpT10_ENKUlT_T0_E_clISt17integral_constantIbLb0EES1C_EEDaS17_S18_EUlS17_E_NS1_11comp_targetILNS1_3genE4ELNS1_11target_archE910ELNS1_3gpuE8ELNS1_3repE0EEENS1_30default_config_static_selectorELNS0_4arch9wavefront6targetE1EEEvT1_
                                        ; -- End function
	.section	.AMDGPU.csdata,"",@progbits
; Kernel info:
; codeLenInByte = 9732
; NumSgprs: 52
; NumVgprs: 46
; NumAgprs: 0
; TotalNumVgprs: 46
; ScratchSize: 0
; MemoryBound: 0
; FloatMode: 240
; IeeeMode: 1
; LDSByteSize: 10252 bytes/workgroup (compile time only)
; SGPRBlocks: 6
; VGPRBlocks: 5
; NumSGPRsForWavesPerEU: 52
; NumVGPRsForWavesPerEU: 46
; AccumOffset: 48
; Occupancy: 6
; WaveLimiterHint : 1
; COMPUTE_PGM_RSRC2:SCRATCH_EN: 0
; COMPUTE_PGM_RSRC2:USER_SGPR: 6
; COMPUTE_PGM_RSRC2:TRAP_HANDLER: 0
; COMPUTE_PGM_RSRC2:TGID_X_EN: 1
; COMPUTE_PGM_RSRC2:TGID_Y_EN: 0
; COMPUTE_PGM_RSRC2:TGID_Z_EN: 0
; COMPUTE_PGM_RSRC2:TIDIG_COMP_CNT: 0
; COMPUTE_PGM_RSRC3_GFX90A:ACCUM_OFFSET: 11
; COMPUTE_PGM_RSRC3_GFX90A:TG_SPLIT: 0
	.section	.text._ZN7rocprim17ROCPRIM_400000_NS6detail17trampoline_kernelINS0_14default_configENS1_25partition_config_selectorILNS1_17partition_subalgoE8ElNS0_10empty_typeEbEEZZNS1_14partition_implILS5_8ELb0ES3_jPlPS6_PKS6_NS0_5tupleIJS9_S6_EEENSD_IJSA_SA_EEENS0_18inequality_wrapperIZN2at6native12_GLOBAL__N_124unique_dim_cuda_templateIhEESt5tupleIJNSH_6TensorESM_SM_EERKSM_lbbbEUlllE0_EEPmJS6_EEE10hipError_tPvRmT3_T4_T5_T6_T7_T9_mT8_P12ihipStream_tbDpT10_ENKUlT_T0_E_clISt17integral_constantIbLb0EES1C_EEDaS17_S18_EUlS17_E_NS1_11comp_targetILNS1_3genE3ELNS1_11target_archE908ELNS1_3gpuE7ELNS1_3repE0EEENS1_30default_config_static_selectorELNS0_4arch9wavefront6targetE1EEEvT1_,"axG",@progbits,_ZN7rocprim17ROCPRIM_400000_NS6detail17trampoline_kernelINS0_14default_configENS1_25partition_config_selectorILNS1_17partition_subalgoE8ElNS0_10empty_typeEbEEZZNS1_14partition_implILS5_8ELb0ES3_jPlPS6_PKS6_NS0_5tupleIJS9_S6_EEENSD_IJSA_SA_EEENS0_18inequality_wrapperIZN2at6native12_GLOBAL__N_124unique_dim_cuda_templateIhEESt5tupleIJNSH_6TensorESM_SM_EERKSM_lbbbEUlllE0_EEPmJS6_EEE10hipError_tPvRmT3_T4_T5_T6_T7_T9_mT8_P12ihipStream_tbDpT10_ENKUlT_T0_E_clISt17integral_constantIbLb0EES1C_EEDaS17_S18_EUlS17_E_NS1_11comp_targetILNS1_3genE3ELNS1_11target_archE908ELNS1_3gpuE7ELNS1_3repE0EEENS1_30default_config_static_selectorELNS0_4arch9wavefront6targetE1EEEvT1_,comdat
	.globl	_ZN7rocprim17ROCPRIM_400000_NS6detail17trampoline_kernelINS0_14default_configENS1_25partition_config_selectorILNS1_17partition_subalgoE8ElNS0_10empty_typeEbEEZZNS1_14partition_implILS5_8ELb0ES3_jPlPS6_PKS6_NS0_5tupleIJS9_S6_EEENSD_IJSA_SA_EEENS0_18inequality_wrapperIZN2at6native12_GLOBAL__N_124unique_dim_cuda_templateIhEESt5tupleIJNSH_6TensorESM_SM_EERKSM_lbbbEUlllE0_EEPmJS6_EEE10hipError_tPvRmT3_T4_T5_T6_T7_T9_mT8_P12ihipStream_tbDpT10_ENKUlT_T0_E_clISt17integral_constantIbLb0EES1C_EEDaS17_S18_EUlS17_E_NS1_11comp_targetILNS1_3genE3ELNS1_11target_archE908ELNS1_3gpuE7ELNS1_3repE0EEENS1_30default_config_static_selectorELNS0_4arch9wavefront6targetE1EEEvT1_ ; -- Begin function _ZN7rocprim17ROCPRIM_400000_NS6detail17trampoline_kernelINS0_14default_configENS1_25partition_config_selectorILNS1_17partition_subalgoE8ElNS0_10empty_typeEbEEZZNS1_14partition_implILS5_8ELb0ES3_jPlPS6_PKS6_NS0_5tupleIJS9_S6_EEENSD_IJSA_SA_EEENS0_18inequality_wrapperIZN2at6native12_GLOBAL__N_124unique_dim_cuda_templateIhEESt5tupleIJNSH_6TensorESM_SM_EERKSM_lbbbEUlllE0_EEPmJS6_EEE10hipError_tPvRmT3_T4_T5_T6_T7_T9_mT8_P12ihipStream_tbDpT10_ENKUlT_T0_E_clISt17integral_constantIbLb0EES1C_EEDaS17_S18_EUlS17_E_NS1_11comp_targetILNS1_3genE3ELNS1_11target_archE908ELNS1_3gpuE7ELNS1_3repE0EEENS1_30default_config_static_selectorELNS0_4arch9wavefront6targetE1EEEvT1_
	.p2align	8
	.type	_ZN7rocprim17ROCPRIM_400000_NS6detail17trampoline_kernelINS0_14default_configENS1_25partition_config_selectorILNS1_17partition_subalgoE8ElNS0_10empty_typeEbEEZZNS1_14partition_implILS5_8ELb0ES3_jPlPS6_PKS6_NS0_5tupleIJS9_S6_EEENSD_IJSA_SA_EEENS0_18inequality_wrapperIZN2at6native12_GLOBAL__N_124unique_dim_cuda_templateIhEESt5tupleIJNSH_6TensorESM_SM_EERKSM_lbbbEUlllE0_EEPmJS6_EEE10hipError_tPvRmT3_T4_T5_T6_T7_T9_mT8_P12ihipStream_tbDpT10_ENKUlT_T0_E_clISt17integral_constantIbLb0EES1C_EEDaS17_S18_EUlS17_E_NS1_11comp_targetILNS1_3genE3ELNS1_11target_archE908ELNS1_3gpuE7ELNS1_3repE0EEENS1_30default_config_static_selectorELNS0_4arch9wavefront6targetE1EEEvT1_,@function
_ZN7rocprim17ROCPRIM_400000_NS6detail17trampoline_kernelINS0_14default_configENS1_25partition_config_selectorILNS1_17partition_subalgoE8ElNS0_10empty_typeEbEEZZNS1_14partition_implILS5_8ELb0ES3_jPlPS6_PKS6_NS0_5tupleIJS9_S6_EEENSD_IJSA_SA_EEENS0_18inequality_wrapperIZN2at6native12_GLOBAL__N_124unique_dim_cuda_templateIhEESt5tupleIJNSH_6TensorESM_SM_EERKSM_lbbbEUlllE0_EEPmJS6_EEE10hipError_tPvRmT3_T4_T5_T6_T7_T9_mT8_P12ihipStream_tbDpT10_ENKUlT_T0_E_clISt17integral_constantIbLb0EES1C_EEDaS17_S18_EUlS17_E_NS1_11comp_targetILNS1_3genE3ELNS1_11target_archE908ELNS1_3gpuE7ELNS1_3repE0EEENS1_30default_config_static_selectorELNS0_4arch9wavefront6targetE1EEEvT1_: ; @_ZN7rocprim17ROCPRIM_400000_NS6detail17trampoline_kernelINS0_14default_configENS1_25partition_config_selectorILNS1_17partition_subalgoE8ElNS0_10empty_typeEbEEZZNS1_14partition_implILS5_8ELb0ES3_jPlPS6_PKS6_NS0_5tupleIJS9_S6_EEENSD_IJSA_SA_EEENS0_18inequality_wrapperIZN2at6native12_GLOBAL__N_124unique_dim_cuda_templateIhEESt5tupleIJNSH_6TensorESM_SM_EERKSM_lbbbEUlllE0_EEPmJS6_EEE10hipError_tPvRmT3_T4_T5_T6_T7_T9_mT8_P12ihipStream_tbDpT10_ENKUlT_T0_E_clISt17integral_constantIbLb0EES1C_EEDaS17_S18_EUlS17_E_NS1_11comp_targetILNS1_3genE3ELNS1_11target_archE908ELNS1_3gpuE7ELNS1_3repE0EEENS1_30default_config_static_selectorELNS0_4arch9wavefront6targetE1EEEvT1_
; %bb.0:
	.section	.rodata,"a",@progbits
	.p2align	6, 0x0
	.amdhsa_kernel _ZN7rocprim17ROCPRIM_400000_NS6detail17trampoline_kernelINS0_14default_configENS1_25partition_config_selectorILNS1_17partition_subalgoE8ElNS0_10empty_typeEbEEZZNS1_14partition_implILS5_8ELb0ES3_jPlPS6_PKS6_NS0_5tupleIJS9_S6_EEENSD_IJSA_SA_EEENS0_18inequality_wrapperIZN2at6native12_GLOBAL__N_124unique_dim_cuda_templateIhEESt5tupleIJNSH_6TensorESM_SM_EERKSM_lbbbEUlllE0_EEPmJS6_EEE10hipError_tPvRmT3_T4_T5_T6_T7_T9_mT8_P12ihipStream_tbDpT10_ENKUlT_T0_E_clISt17integral_constantIbLb0EES1C_EEDaS17_S18_EUlS17_E_NS1_11comp_targetILNS1_3genE3ELNS1_11target_archE908ELNS1_3gpuE7ELNS1_3repE0EEENS1_30default_config_static_selectorELNS0_4arch9wavefront6targetE1EEEvT1_
		.amdhsa_group_segment_fixed_size 0
		.amdhsa_private_segment_fixed_size 0
		.amdhsa_kernarg_size 120
		.amdhsa_user_sgpr_count 6
		.amdhsa_user_sgpr_private_segment_buffer 1
		.amdhsa_user_sgpr_dispatch_ptr 0
		.amdhsa_user_sgpr_queue_ptr 0
		.amdhsa_user_sgpr_kernarg_segment_ptr 1
		.amdhsa_user_sgpr_dispatch_id 0
		.amdhsa_user_sgpr_flat_scratch_init 0
		.amdhsa_user_sgpr_kernarg_preload_length 0
		.amdhsa_user_sgpr_kernarg_preload_offset 0
		.amdhsa_user_sgpr_private_segment_size 0
		.amdhsa_uses_dynamic_stack 0
		.amdhsa_system_sgpr_private_segment_wavefront_offset 0
		.amdhsa_system_sgpr_workgroup_id_x 1
		.amdhsa_system_sgpr_workgroup_id_y 0
		.amdhsa_system_sgpr_workgroup_id_z 0
		.amdhsa_system_sgpr_workgroup_info 0
		.amdhsa_system_vgpr_workitem_id 0
		.amdhsa_next_free_vgpr 1
		.amdhsa_next_free_sgpr 0
		.amdhsa_accum_offset 4
		.amdhsa_reserve_vcc 0
		.amdhsa_reserve_flat_scratch 0
		.amdhsa_float_round_mode_32 0
		.amdhsa_float_round_mode_16_64 0
		.amdhsa_float_denorm_mode_32 3
		.amdhsa_float_denorm_mode_16_64 3
		.amdhsa_dx10_clamp 1
		.amdhsa_ieee_mode 1
		.amdhsa_fp16_overflow 0
		.amdhsa_tg_split 0
		.amdhsa_exception_fp_ieee_invalid_op 0
		.amdhsa_exception_fp_denorm_src 0
		.amdhsa_exception_fp_ieee_div_zero 0
		.amdhsa_exception_fp_ieee_overflow 0
		.amdhsa_exception_fp_ieee_underflow 0
		.amdhsa_exception_fp_ieee_inexact 0
		.amdhsa_exception_int_div_zero 0
	.end_amdhsa_kernel
	.section	.text._ZN7rocprim17ROCPRIM_400000_NS6detail17trampoline_kernelINS0_14default_configENS1_25partition_config_selectorILNS1_17partition_subalgoE8ElNS0_10empty_typeEbEEZZNS1_14partition_implILS5_8ELb0ES3_jPlPS6_PKS6_NS0_5tupleIJS9_S6_EEENSD_IJSA_SA_EEENS0_18inequality_wrapperIZN2at6native12_GLOBAL__N_124unique_dim_cuda_templateIhEESt5tupleIJNSH_6TensorESM_SM_EERKSM_lbbbEUlllE0_EEPmJS6_EEE10hipError_tPvRmT3_T4_T5_T6_T7_T9_mT8_P12ihipStream_tbDpT10_ENKUlT_T0_E_clISt17integral_constantIbLb0EES1C_EEDaS17_S18_EUlS17_E_NS1_11comp_targetILNS1_3genE3ELNS1_11target_archE908ELNS1_3gpuE7ELNS1_3repE0EEENS1_30default_config_static_selectorELNS0_4arch9wavefront6targetE1EEEvT1_,"axG",@progbits,_ZN7rocprim17ROCPRIM_400000_NS6detail17trampoline_kernelINS0_14default_configENS1_25partition_config_selectorILNS1_17partition_subalgoE8ElNS0_10empty_typeEbEEZZNS1_14partition_implILS5_8ELb0ES3_jPlPS6_PKS6_NS0_5tupleIJS9_S6_EEENSD_IJSA_SA_EEENS0_18inequality_wrapperIZN2at6native12_GLOBAL__N_124unique_dim_cuda_templateIhEESt5tupleIJNSH_6TensorESM_SM_EERKSM_lbbbEUlllE0_EEPmJS6_EEE10hipError_tPvRmT3_T4_T5_T6_T7_T9_mT8_P12ihipStream_tbDpT10_ENKUlT_T0_E_clISt17integral_constantIbLb0EES1C_EEDaS17_S18_EUlS17_E_NS1_11comp_targetILNS1_3genE3ELNS1_11target_archE908ELNS1_3gpuE7ELNS1_3repE0EEENS1_30default_config_static_selectorELNS0_4arch9wavefront6targetE1EEEvT1_,comdat
.Lfunc_end164:
	.size	_ZN7rocprim17ROCPRIM_400000_NS6detail17trampoline_kernelINS0_14default_configENS1_25partition_config_selectorILNS1_17partition_subalgoE8ElNS0_10empty_typeEbEEZZNS1_14partition_implILS5_8ELb0ES3_jPlPS6_PKS6_NS0_5tupleIJS9_S6_EEENSD_IJSA_SA_EEENS0_18inequality_wrapperIZN2at6native12_GLOBAL__N_124unique_dim_cuda_templateIhEESt5tupleIJNSH_6TensorESM_SM_EERKSM_lbbbEUlllE0_EEPmJS6_EEE10hipError_tPvRmT3_T4_T5_T6_T7_T9_mT8_P12ihipStream_tbDpT10_ENKUlT_T0_E_clISt17integral_constantIbLb0EES1C_EEDaS17_S18_EUlS17_E_NS1_11comp_targetILNS1_3genE3ELNS1_11target_archE908ELNS1_3gpuE7ELNS1_3repE0EEENS1_30default_config_static_selectorELNS0_4arch9wavefront6targetE1EEEvT1_, .Lfunc_end164-_ZN7rocprim17ROCPRIM_400000_NS6detail17trampoline_kernelINS0_14default_configENS1_25partition_config_selectorILNS1_17partition_subalgoE8ElNS0_10empty_typeEbEEZZNS1_14partition_implILS5_8ELb0ES3_jPlPS6_PKS6_NS0_5tupleIJS9_S6_EEENSD_IJSA_SA_EEENS0_18inequality_wrapperIZN2at6native12_GLOBAL__N_124unique_dim_cuda_templateIhEESt5tupleIJNSH_6TensorESM_SM_EERKSM_lbbbEUlllE0_EEPmJS6_EEE10hipError_tPvRmT3_T4_T5_T6_T7_T9_mT8_P12ihipStream_tbDpT10_ENKUlT_T0_E_clISt17integral_constantIbLb0EES1C_EEDaS17_S18_EUlS17_E_NS1_11comp_targetILNS1_3genE3ELNS1_11target_archE908ELNS1_3gpuE7ELNS1_3repE0EEENS1_30default_config_static_selectorELNS0_4arch9wavefront6targetE1EEEvT1_
                                        ; -- End function
	.section	.AMDGPU.csdata,"",@progbits
; Kernel info:
; codeLenInByte = 0
; NumSgprs: 4
; NumVgprs: 0
; NumAgprs: 0
; TotalNumVgprs: 0
; ScratchSize: 0
; MemoryBound: 0
; FloatMode: 240
; IeeeMode: 1
; LDSByteSize: 0 bytes/workgroup (compile time only)
; SGPRBlocks: 0
; VGPRBlocks: 0
; NumSGPRsForWavesPerEU: 4
; NumVGPRsForWavesPerEU: 1
; AccumOffset: 4
; Occupancy: 8
; WaveLimiterHint : 0
; COMPUTE_PGM_RSRC2:SCRATCH_EN: 0
; COMPUTE_PGM_RSRC2:USER_SGPR: 6
; COMPUTE_PGM_RSRC2:TRAP_HANDLER: 0
; COMPUTE_PGM_RSRC2:TGID_X_EN: 1
; COMPUTE_PGM_RSRC2:TGID_Y_EN: 0
; COMPUTE_PGM_RSRC2:TGID_Z_EN: 0
; COMPUTE_PGM_RSRC2:TIDIG_COMP_CNT: 0
; COMPUTE_PGM_RSRC3_GFX90A:ACCUM_OFFSET: 0
; COMPUTE_PGM_RSRC3_GFX90A:TG_SPLIT: 0
	.section	.text._ZN7rocprim17ROCPRIM_400000_NS6detail17trampoline_kernelINS0_14default_configENS1_25partition_config_selectorILNS1_17partition_subalgoE8ElNS0_10empty_typeEbEEZZNS1_14partition_implILS5_8ELb0ES3_jPlPS6_PKS6_NS0_5tupleIJS9_S6_EEENSD_IJSA_SA_EEENS0_18inequality_wrapperIZN2at6native12_GLOBAL__N_124unique_dim_cuda_templateIhEESt5tupleIJNSH_6TensorESM_SM_EERKSM_lbbbEUlllE0_EEPmJS6_EEE10hipError_tPvRmT3_T4_T5_T6_T7_T9_mT8_P12ihipStream_tbDpT10_ENKUlT_T0_E_clISt17integral_constantIbLb0EES1C_EEDaS17_S18_EUlS17_E_NS1_11comp_targetILNS1_3genE2ELNS1_11target_archE906ELNS1_3gpuE6ELNS1_3repE0EEENS1_30default_config_static_selectorELNS0_4arch9wavefront6targetE1EEEvT1_,"axG",@progbits,_ZN7rocprim17ROCPRIM_400000_NS6detail17trampoline_kernelINS0_14default_configENS1_25partition_config_selectorILNS1_17partition_subalgoE8ElNS0_10empty_typeEbEEZZNS1_14partition_implILS5_8ELb0ES3_jPlPS6_PKS6_NS0_5tupleIJS9_S6_EEENSD_IJSA_SA_EEENS0_18inequality_wrapperIZN2at6native12_GLOBAL__N_124unique_dim_cuda_templateIhEESt5tupleIJNSH_6TensorESM_SM_EERKSM_lbbbEUlllE0_EEPmJS6_EEE10hipError_tPvRmT3_T4_T5_T6_T7_T9_mT8_P12ihipStream_tbDpT10_ENKUlT_T0_E_clISt17integral_constantIbLb0EES1C_EEDaS17_S18_EUlS17_E_NS1_11comp_targetILNS1_3genE2ELNS1_11target_archE906ELNS1_3gpuE6ELNS1_3repE0EEENS1_30default_config_static_selectorELNS0_4arch9wavefront6targetE1EEEvT1_,comdat
	.globl	_ZN7rocprim17ROCPRIM_400000_NS6detail17trampoline_kernelINS0_14default_configENS1_25partition_config_selectorILNS1_17partition_subalgoE8ElNS0_10empty_typeEbEEZZNS1_14partition_implILS5_8ELb0ES3_jPlPS6_PKS6_NS0_5tupleIJS9_S6_EEENSD_IJSA_SA_EEENS0_18inequality_wrapperIZN2at6native12_GLOBAL__N_124unique_dim_cuda_templateIhEESt5tupleIJNSH_6TensorESM_SM_EERKSM_lbbbEUlllE0_EEPmJS6_EEE10hipError_tPvRmT3_T4_T5_T6_T7_T9_mT8_P12ihipStream_tbDpT10_ENKUlT_T0_E_clISt17integral_constantIbLb0EES1C_EEDaS17_S18_EUlS17_E_NS1_11comp_targetILNS1_3genE2ELNS1_11target_archE906ELNS1_3gpuE6ELNS1_3repE0EEENS1_30default_config_static_selectorELNS0_4arch9wavefront6targetE1EEEvT1_ ; -- Begin function _ZN7rocprim17ROCPRIM_400000_NS6detail17trampoline_kernelINS0_14default_configENS1_25partition_config_selectorILNS1_17partition_subalgoE8ElNS0_10empty_typeEbEEZZNS1_14partition_implILS5_8ELb0ES3_jPlPS6_PKS6_NS0_5tupleIJS9_S6_EEENSD_IJSA_SA_EEENS0_18inequality_wrapperIZN2at6native12_GLOBAL__N_124unique_dim_cuda_templateIhEESt5tupleIJNSH_6TensorESM_SM_EERKSM_lbbbEUlllE0_EEPmJS6_EEE10hipError_tPvRmT3_T4_T5_T6_T7_T9_mT8_P12ihipStream_tbDpT10_ENKUlT_T0_E_clISt17integral_constantIbLb0EES1C_EEDaS17_S18_EUlS17_E_NS1_11comp_targetILNS1_3genE2ELNS1_11target_archE906ELNS1_3gpuE6ELNS1_3repE0EEENS1_30default_config_static_selectorELNS0_4arch9wavefront6targetE1EEEvT1_
	.p2align	8
	.type	_ZN7rocprim17ROCPRIM_400000_NS6detail17trampoline_kernelINS0_14default_configENS1_25partition_config_selectorILNS1_17partition_subalgoE8ElNS0_10empty_typeEbEEZZNS1_14partition_implILS5_8ELb0ES3_jPlPS6_PKS6_NS0_5tupleIJS9_S6_EEENSD_IJSA_SA_EEENS0_18inequality_wrapperIZN2at6native12_GLOBAL__N_124unique_dim_cuda_templateIhEESt5tupleIJNSH_6TensorESM_SM_EERKSM_lbbbEUlllE0_EEPmJS6_EEE10hipError_tPvRmT3_T4_T5_T6_T7_T9_mT8_P12ihipStream_tbDpT10_ENKUlT_T0_E_clISt17integral_constantIbLb0EES1C_EEDaS17_S18_EUlS17_E_NS1_11comp_targetILNS1_3genE2ELNS1_11target_archE906ELNS1_3gpuE6ELNS1_3repE0EEENS1_30default_config_static_selectorELNS0_4arch9wavefront6targetE1EEEvT1_,@function
_ZN7rocprim17ROCPRIM_400000_NS6detail17trampoline_kernelINS0_14default_configENS1_25partition_config_selectorILNS1_17partition_subalgoE8ElNS0_10empty_typeEbEEZZNS1_14partition_implILS5_8ELb0ES3_jPlPS6_PKS6_NS0_5tupleIJS9_S6_EEENSD_IJSA_SA_EEENS0_18inequality_wrapperIZN2at6native12_GLOBAL__N_124unique_dim_cuda_templateIhEESt5tupleIJNSH_6TensorESM_SM_EERKSM_lbbbEUlllE0_EEPmJS6_EEE10hipError_tPvRmT3_T4_T5_T6_T7_T9_mT8_P12ihipStream_tbDpT10_ENKUlT_T0_E_clISt17integral_constantIbLb0EES1C_EEDaS17_S18_EUlS17_E_NS1_11comp_targetILNS1_3genE2ELNS1_11target_archE906ELNS1_3gpuE6ELNS1_3repE0EEENS1_30default_config_static_selectorELNS0_4arch9wavefront6targetE1EEEvT1_: ; @_ZN7rocprim17ROCPRIM_400000_NS6detail17trampoline_kernelINS0_14default_configENS1_25partition_config_selectorILNS1_17partition_subalgoE8ElNS0_10empty_typeEbEEZZNS1_14partition_implILS5_8ELb0ES3_jPlPS6_PKS6_NS0_5tupleIJS9_S6_EEENSD_IJSA_SA_EEENS0_18inequality_wrapperIZN2at6native12_GLOBAL__N_124unique_dim_cuda_templateIhEESt5tupleIJNSH_6TensorESM_SM_EERKSM_lbbbEUlllE0_EEPmJS6_EEE10hipError_tPvRmT3_T4_T5_T6_T7_T9_mT8_P12ihipStream_tbDpT10_ENKUlT_T0_E_clISt17integral_constantIbLb0EES1C_EEDaS17_S18_EUlS17_E_NS1_11comp_targetILNS1_3genE2ELNS1_11target_archE906ELNS1_3gpuE6ELNS1_3repE0EEENS1_30default_config_static_selectorELNS0_4arch9wavefront6targetE1EEEvT1_
; %bb.0:
	.section	.rodata,"a",@progbits
	.p2align	6, 0x0
	.amdhsa_kernel _ZN7rocprim17ROCPRIM_400000_NS6detail17trampoline_kernelINS0_14default_configENS1_25partition_config_selectorILNS1_17partition_subalgoE8ElNS0_10empty_typeEbEEZZNS1_14partition_implILS5_8ELb0ES3_jPlPS6_PKS6_NS0_5tupleIJS9_S6_EEENSD_IJSA_SA_EEENS0_18inequality_wrapperIZN2at6native12_GLOBAL__N_124unique_dim_cuda_templateIhEESt5tupleIJNSH_6TensorESM_SM_EERKSM_lbbbEUlllE0_EEPmJS6_EEE10hipError_tPvRmT3_T4_T5_T6_T7_T9_mT8_P12ihipStream_tbDpT10_ENKUlT_T0_E_clISt17integral_constantIbLb0EES1C_EEDaS17_S18_EUlS17_E_NS1_11comp_targetILNS1_3genE2ELNS1_11target_archE906ELNS1_3gpuE6ELNS1_3repE0EEENS1_30default_config_static_selectorELNS0_4arch9wavefront6targetE1EEEvT1_
		.amdhsa_group_segment_fixed_size 0
		.amdhsa_private_segment_fixed_size 0
		.amdhsa_kernarg_size 120
		.amdhsa_user_sgpr_count 6
		.amdhsa_user_sgpr_private_segment_buffer 1
		.amdhsa_user_sgpr_dispatch_ptr 0
		.amdhsa_user_sgpr_queue_ptr 0
		.amdhsa_user_sgpr_kernarg_segment_ptr 1
		.amdhsa_user_sgpr_dispatch_id 0
		.amdhsa_user_sgpr_flat_scratch_init 0
		.amdhsa_user_sgpr_kernarg_preload_length 0
		.amdhsa_user_sgpr_kernarg_preload_offset 0
		.amdhsa_user_sgpr_private_segment_size 0
		.amdhsa_uses_dynamic_stack 0
		.amdhsa_system_sgpr_private_segment_wavefront_offset 0
		.amdhsa_system_sgpr_workgroup_id_x 1
		.amdhsa_system_sgpr_workgroup_id_y 0
		.amdhsa_system_sgpr_workgroup_id_z 0
		.amdhsa_system_sgpr_workgroup_info 0
		.amdhsa_system_vgpr_workitem_id 0
		.amdhsa_next_free_vgpr 1
		.amdhsa_next_free_sgpr 0
		.amdhsa_accum_offset 4
		.amdhsa_reserve_vcc 0
		.amdhsa_reserve_flat_scratch 0
		.amdhsa_float_round_mode_32 0
		.amdhsa_float_round_mode_16_64 0
		.amdhsa_float_denorm_mode_32 3
		.amdhsa_float_denorm_mode_16_64 3
		.amdhsa_dx10_clamp 1
		.amdhsa_ieee_mode 1
		.amdhsa_fp16_overflow 0
		.amdhsa_tg_split 0
		.amdhsa_exception_fp_ieee_invalid_op 0
		.amdhsa_exception_fp_denorm_src 0
		.amdhsa_exception_fp_ieee_div_zero 0
		.amdhsa_exception_fp_ieee_overflow 0
		.amdhsa_exception_fp_ieee_underflow 0
		.amdhsa_exception_fp_ieee_inexact 0
		.amdhsa_exception_int_div_zero 0
	.end_amdhsa_kernel
	.section	.text._ZN7rocprim17ROCPRIM_400000_NS6detail17trampoline_kernelINS0_14default_configENS1_25partition_config_selectorILNS1_17partition_subalgoE8ElNS0_10empty_typeEbEEZZNS1_14partition_implILS5_8ELb0ES3_jPlPS6_PKS6_NS0_5tupleIJS9_S6_EEENSD_IJSA_SA_EEENS0_18inequality_wrapperIZN2at6native12_GLOBAL__N_124unique_dim_cuda_templateIhEESt5tupleIJNSH_6TensorESM_SM_EERKSM_lbbbEUlllE0_EEPmJS6_EEE10hipError_tPvRmT3_T4_T5_T6_T7_T9_mT8_P12ihipStream_tbDpT10_ENKUlT_T0_E_clISt17integral_constantIbLb0EES1C_EEDaS17_S18_EUlS17_E_NS1_11comp_targetILNS1_3genE2ELNS1_11target_archE906ELNS1_3gpuE6ELNS1_3repE0EEENS1_30default_config_static_selectorELNS0_4arch9wavefront6targetE1EEEvT1_,"axG",@progbits,_ZN7rocprim17ROCPRIM_400000_NS6detail17trampoline_kernelINS0_14default_configENS1_25partition_config_selectorILNS1_17partition_subalgoE8ElNS0_10empty_typeEbEEZZNS1_14partition_implILS5_8ELb0ES3_jPlPS6_PKS6_NS0_5tupleIJS9_S6_EEENSD_IJSA_SA_EEENS0_18inequality_wrapperIZN2at6native12_GLOBAL__N_124unique_dim_cuda_templateIhEESt5tupleIJNSH_6TensorESM_SM_EERKSM_lbbbEUlllE0_EEPmJS6_EEE10hipError_tPvRmT3_T4_T5_T6_T7_T9_mT8_P12ihipStream_tbDpT10_ENKUlT_T0_E_clISt17integral_constantIbLb0EES1C_EEDaS17_S18_EUlS17_E_NS1_11comp_targetILNS1_3genE2ELNS1_11target_archE906ELNS1_3gpuE6ELNS1_3repE0EEENS1_30default_config_static_selectorELNS0_4arch9wavefront6targetE1EEEvT1_,comdat
.Lfunc_end165:
	.size	_ZN7rocprim17ROCPRIM_400000_NS6detail17trampoline_kernelINS0_14default_configENS1_25partition_config_selectorILNS1_17partition_subalgoE8ElNS0_10empty_typeEbEEZZNS1_14partition_implILS5_8ELb0ES3_jPlPS6_PKS6_NS0_5tupleIJS9_S6_EEENSD_IJSA_SA_EEENS0_18inequality_wrapperIZN2at6native12_GLOBAL__N_124unique_dim_cuda_templateIhEESt5tupleIJNSH_6TensorESM_SM_EERKSM_lbbbEUlllE0_EEPmJS6_EEE10hipError_tPvRmT3_T4_T5_T6_T7_T9_mT8_P12ihipStream_tbDpT10_ENKUlT_T0_E_clISt17integral_constantIbLb0EES1C_EEDaS17_S18_EUlS17_E_NS1_11comp_targetILNS1_3genE2ELNS1_11target_archE906ELNS1_3gpuE6ELNS1_3repE0EEENS1_30default_config_static_selectorELNS0_4arch9wavefront6targetE1EEEvT1_, .Lfunc_end165-_ZN7rocprim17ROCPRIM_400000_NS6detail17trampoline_kernelINS0_14default_configENS1_25partition_config_selectorILNS1_17partition_subalgoE8ElNS0_10empty_typeEbEEZZNS1_14partition_implILS5_8ELb0ES3_jPlPS6_PKS6_NS0_5tupleIJS9_S6_EEENSD_IJSA_SA_EEENS0_18inequality_wrapperIZN2at6native12_GLOBAL__N_124unique_dim_cuda_templateIhEESt5tupleIJNSH_6TensorESM_SM_EERKSM_lbbbEUlllE0_EEPmJS6_EEE10hipError_tPvRmT3_T4_T5_T6_T7_T9_mT8_P12ihipStream_tbDpT10_ENKUlT_T0_E_clISt17integral_constantIbLb0EES1C_EEDaS17_S18_EUlS17_E_NS1_11comp_targetILNS1_3genE2ELNS1_11target_archE906ELNS1_3gpuE6ELNS1_3repE0EEENS1_30default_config_static_selectorELNS0_4arch9wavefront6targetE1EEEvT1_
                                        ; -- End function
	.section	.AMDGPU.csdata,"",@progbits
; Kernel info:
; codeLenInByte = 0
; NumSgprs: 4
; NumVgprs: 0
; NumAgprs: 0
; TotalNumVgprs: 0
; ScratchSize: 0
; MemoryBound: 0
; FloatMode: 240
; IeeeMode: 1
; LDSByteSize: 0 bytes/workgroup (compile time only)
; SGPRBlocks: 0
; VGPRBlocks: 0
; NumSGPRsForWavesPerEU: 4
; NumVGPRsForWavesPerEU: 1
; AccumOffset: 4
; Occupancy: 8
; WaveLimiterHint : 0
; COMPUTE_PGM_RSRC2:SCRATCH_EN: 0
; COMPUTE_PGM_RSRC2:USER_SGPR: 6
; COMPUTE_PGM_RSRC2:TRAP_HANDLER: 0
; COMPUTE_PGM_RSRC2:TGID_X_EN: 1
; COMPUTE_PGM_RSRC2:TGID_Y_EN: 0
; COMPUTE_PGM_RSRC2:TGID_Z_EN: 0
; COMPUTE_PGM_RSRC2:TIDIG_COMP_CNT: 0
; COMPUTE_PGM_RSRC3_GFX90A:ACCUM_OFFSET: 0
; COMPUTE_PGM_RSRC3_GFX90A:TG_SPLIT: 0
	.section	.text._ZN7rocprim17ROCPRIM_400000_NS6detail17trampoline_kernelINS0_14default_configENS1_25partition_config_selectorILNS1_17partition_subalgoE8ElNS0_10empty_typeEbEEZZNS1_14partition_implILS5_8ELb0ES3_jPlPS6_PKS6_NS0_5tupleIJS9_S6_EEENSD_IJSA_SA_EEENS0_18inequality_wrapperIZN2at6native12_GLOBAL__N_124unique_dim_cuda_templateIhEESt5tupleIJNSH_6TensorESM_SM_EERKSM_lbbbEUlllE0_EEPmJS6_EEE10hipError_tPvRmT3_T4_T5_T6_T7_T9_mT8_P12ihipStream_tbDpT10_ENKUlT_T0_E_clISt17integral_constantIbLb0EES1C_EEDaS17_S18_EUlS17_E_NS1_11comp_targetILNS1_3genE10ELNS1_11target_archE1200ELNS1_3gpuE4ELNS1_3repE0EEENS1_30default_config_static_selectorELNS0_4arch9wavefront6targetE1EEEvT1_,"axG",@progbits,_ZN7rocprim17ROCPRIM_400000_NS6detail17trampoline_kernelINS0_14default_configENS1_25partition_config_selectorILNS1_17partition_subalgoE8ElNS0_10empty_typeEbEEZZNS1_14partition_implILS5_8ELb0ES3_jPlPS6_PKS6_NS0_5tupleIJS9_S6_EEENSD_IJSA_SA_EEENS0_18inequality_wrapperIZN2at6native12_GLOBAL__N_124unique_dim_cuda_templateIhEESt5tupleIJNSH_6TensorESM_SM_EERKSM_lbbbEUlllE0_EEPmJS6_EEE10hipError_tPvRmT3_T4_T5_T6_T7_T9_mT8_P12ihipStream_tbDpT10_ENKUlT_T0_E_clISt17integral_constantIbLb0EES1C_EEDaS17_S18_EUlS17_E_NS1_11comp_targetILNS1_3genE10ELNS1_11target_archE1200ELNS1_3gpuE4ELNS1_3repE0EEENS1_30default_config_static_selectorELNS0_4arch9wavefront6targetE1EEEvT1_,comdat
	.globl	_ZN7rocprim17ROCPRIM_400000_NS6detail17trampoline_kernelINS0_14default_configENS1_25partition_config_selectorILNS1_17partition_subalgoE8ElNS0_10empty_typeEbEEZZNS1_14partition_implILS5_8ELb0ES3_jPlPS6_PKS6_NS0_5tupleIJS9_S6_EEENSD_IJSA_SA_EEENS0_18inequality_wrapperIZN2at6native12_GLOBAL__N_124unique_dim_cuda_templateIhEESt5tupleIJNSH_6TensorESM_SM_EERKSM_lbbbEUlllE0_EEPmJS6_EEE10hipError_tPvRmT3_T4_T5_T6_T7_T9_mT8_P12ihipStream_tbDpT10_ENKUlT_T0_E_clISt17integral_constantIbLb0EES1C_EEDaS17_S18_EUlS17_E_NS1_11comp_targetILNS1_3genE10ELNS1_11target_archE1200ELNS1_3gpuE4ELNS1_3repE0EEENS1_30default_config_static_selectorELNS0_4arch9wavefront6targetE1EEEvT1_ ; -- Begin function _ZN7rocprim17ROCPRIM_400000_NS6detail17trampoline_kernelINS0_14default_configENS1_25partition_config_selectorILNS1_17partition_subalgoE8ElNS0_10empty_typeEbEEZZNS1_14partition_implILS5_8ELb0ES3_jPlPS6_PKS6_NS0_5tupleIJS9_S6_EEENSD_IJSA_SA_EEENS0_18inequality_wrapperIZN2at6native12_GLOBAL__N_124unique_dim_cuda_templateIhEESt5tupleIJNSH_6TensorESM_SM_EERKSM_lbbbEUlllE0_EEPmJS6_EEE10hipError_tPvRmT3_T4_T5_T6_T7_T9_mT8_P12ihipStream_tbDpT10_ENKUlT_T0_E_clISt17integral_constantIbLb0EES1C_EEDaS17_S18_EUlS17_E_NS1_11comp_targetILNS1_3genE10ELNS1_11target_archE1200ELNS1_3gpuE4ELNS1_3repE0EEENS1_30default_config_static_selectorELNS0_4arch9wavefront6targetE1EEEvT1_
	.p2align	8
	.type	_ZN7rocprim17ROCPRIM_400000_NS6detail17trampoline_kernelINS0_14default_configENS1_25partition_config_selectorILNS1_17partition_subalgoE8ElNS0_10empty_typeEbEEZZNS1_14partition_implILS5_8ELb0ES3_jPlPS6_PKS6_NS0_5tupleIJS9_S6_EEENSD_IJSA_SA_EEENS0_18inequality_wrapperIZN2at6native12_GLOBAL__N_124unique_dim_cuda_templateIhEESt5tupleIJNSH_6TensorESM_SM_EERKSM_lbbbEUlllE0_EEPmJS6_EEE10hipError_tPvRmT3_T4_T5_T6_T7_T9_mT8_P12ihipStream_tbDpT10_ENKUlT_T0_E_clISt17integral_constantIbLb0EES1C_EEDaS17_S18_EUlS17_E_NS1_11comp_targetILNS1_3genE10ELNS1_11target_archE1200ELNS1_3gpuE4ELNS1_3repE0EEENS1_30default_config_static_selectorELNS0_4arch9wavefront6targetE1EEEvT1_,@function
_ZN7rocprim17ROCPRIM_400000_NS6detail17trampoline_kernelINS0_14default_configENS1_25partition_config_selectorILNS1_17partition_subalgoE8ElNS0_10empty_typeEbEEZZNS1_14partition_implILS5_8ELb0ES3_jPlPS6_PKS6_NS0_5tupleIJS9_S6_EEENSD_IJSA_SA_EEENS0_18inequality_wrapperIZN2at6native12_GLOBAL__N_124unique_dim_cuda_templateIhEESt5tupleIJNSH_6TensorESM_SM_EERKSM_lbbbEUlllE0_EEPmJS6_EEE10hipError_tPvRmT3_T4_T5_T6_T7_T9_mT8_P12ihipStream_tbDpT10_ENKUlT_T0_E_clISt17integral_constantIbLb0EES1C_EEDaS17_S18_EUlS17_E_NS1_11comp_targetILNS1_3genE10ELNS1_11target_archE1200ELNS1_3gpuE4ELNS1_3repE0EEENS1_30default_config_static_selectorELNS0_4arch9wavefront6targetE1EEEvT1_: ; @_ZN7rocprim17ROCPRIM_400000_NS6detail17trampoline_kernelINS0_14default_configENS1_25partition_config_selectorILNS1_17partition_subalgoE8ElNS0_10empty_typeEbEEZZNS1_14partition_implILS5_8ELb0ES3_jPlPS6_PKS6_NS0_5tupleIJS9_S6_EEENSD_IJSA_SA_EEENS0_18inequality_wrapperIZN2at6native12_GLOBAL__N_124unique_dim_cuda_templateIhEESt5tupleIJNSH_6TensorESM_SM_EERKSM_lbbbEUlllE0_EEPmJS6_EEE10hipError_tPvRmT3_T4_T5_T6_T7_T9_mT8_P12ihipStream_tbDpT10_ENKUlT_T0_E_clISt17integral_constantIbLb0EES1C_EEDaS17_S18_EUlS17_E_NS1_11comp_targetILNS1_3genE10ELNS1_11target_archE1200ELNS1_3gpuE4ELNS1_3repE0EEENS1_30default_config_static_selectorELNS0_4arch9wavefront6targetE1EEEvT1_
; %bb.0:
	.section	.rodata,"a",@progbits
	.p2align	6, 0x0
	.amdhsa_kernel _ZN7rocprim17ROCPRIM_400000_NS6detail17trampoline_kernelINS0_14default_configENS1_25partition_config_selectorILNS1_17partition_subalgoE8ElNS0_10empty_typeEbEEZZNS1_14partition_implILS5_8ELb0ES3_jPlPS6_PKS6_NS0_5tupleIJS9_S6_EEENSD_IJSA_SA_EEENS0_18inequality_wrapperIZN2at6native12_GLOBAL__N_124unique_dim_cuda_templateIhEESt5tupleIJNSH_6TensorESM_SM_EERKSM_lbbbEUlllE0_EEPmJS6_EEE10hipError_tPvRmT3_T4_T5_T6_T7_T9_mT8_P12ihipStream_tbDpT10_ENKUlT_T0_E_clISt17integral_constantIbLb0EES1C_EEDaS17_S18_EUlS17_E_NS1_11comp_targetILNS1_3genE10ELNS1_11target_archE1200ELNS1_3gpuE4ELNS1_3repE0EEENS1_30default_config_static_selectorELNS0_4arch9wavefront6targetE1EEEvT1_
		.amdhsa_group_segment_fixed_size 0
		.amdhsa_private_segment_fixed_size 0
		.amdhsa_kernarg_size 120
		.amdhsa_user_sgpr_count 6
		.amdhsa_user_sgpr_private_segment_buffer 1
		.amdhsa_user_sgpr_dispatch_ptr 0
		.amdhsa_user_sgpr_queue_ptr 0
		.amdhsa_user_sgpr_kernarg_segment_ptr 1
		.amdhsa_user_sgpr_dispatch_id 0
		.amdhsa_user_sgpr_flat_scratch_init 0
		.amdhsa_user_sgpr_kernarg_preload_length 0
		.amdhsa_user_sgpr_kernarg_preload_offset 0
		.amdhsa_user_sgpr_private_segment_size 0
		.amdhsa_uses_dynamic_stack 0
		.amdhsa_system_sgpr_private_segment_wavefront_offset 0
		.amdhsa_system_sgpr_workgroup_id_x 1
		.amdhsa_system_sgpr_workgroup_id_y 0
		.amdhsa_system_sgpr_workgroup_id_z 0
		.amdhsa_system_sgpr_workgroup_info 0
		.amdhsa_system_vgpr_workitem_id 0
		.amdhsa_next_free_vgpr 1
		.amdhsa_next_free_sgpr 0
		.amdhsa_accum_offset 4
		.amdhsa_reserve_vcc 0
		.amdhsa_reserve_flat_scratch 0
		.amdhsa_float_round_mode_32 0
		.amdhsa_float_round_mode_16_64 0
		.amdhsa_float_denorm_mode_32 3
		.amdhsa_float_denorm_mode_16_64 3
		.amdhsa_dx10_clamp 1
		.amdhsa_ieee_mode 1
		.amdhsa_fp16_overflow 0
		.amdhsa_tg_split 0
		.amdhsa_exception_fp_ieee_invalid_op 0
		.amdhsa_exception_fp_denorm_src 0
		.amdhsa_exception_fp_ieee_div_zero 0
		.amdhsa_exception_fp_ieee_overflow 0
		.amdhsa_exception_fp_ieee_underflow 0
		.amdhsa_exception_fp_ieee_inexact 0
		.amdhsa_exception_int_div_zero 0
	.end_amdhsa_kernel
	.section	.text._ZN7rocprim17ROCPRIM_400000_NS6detail17trampoline_kernelINS0_14default_configENS1_25partition_config_selectorILNS1_17partition_subalgoE8ElNS0_10empty_typeEbEEZZNS1_14partition_implILS5_8ELb0ES3_jPlPS6_PKS6_NS0_5tupleIJS9_S6_EEENSD_IJSA_SA_EEENS0_18inequality_wrapperIZN2at6native12_GLOBAL__N_124unique_dim_cuda_templateIhEESt5tupleIJNSH_6TensorESM_SM_EERKSM_lbbbEUlllE0_EEPmJS6_EEE10hipError_tPvRmT3_T4_T5_T6_T7_T9_mT8_P12ihipStream_tbDpT10_ENKUlT_T0_E_clISt17integral_constantIbLb0EES1C_EEDaS17_S18_EUlS17_E_NS1_11comp_targetILNS1_3genE10ELNS1_11target_archE1200ELNS1_3gpuE4ELNS1_3repE0EEENS1_30default_config_static_selectorELNS0_4arch9wavefront6targetE1EEEvT1_,"axG",@progbits,_ZN7rocprim17ROCPRIM_400000_NS6detail17trampoline_kernelINS0_14default_configENS1_25partition_config_selectorILNS1_17partition_subalgoE8ElNS0_10empty_typeEbEEZZNS1_14partition_implILS5_8ELb0ES3_jPlPS6_PKS6_NS0_5tupleIJS9_S6_EEENSD_IJSA_SA_EEENS0_18inequality_wrapperIZN2at6native12_GLOBAL__N_124unique_dim_cuda_templateIhEESt5tupleIJNSH_6TensorESM_SM_EERKSM_lbbbEUlllE0_EEPmJS6_EEE10hipError_tPvRmT3_T4_T5_T6_T7_T9_mT8_P12ihipStream_tbDpT10_ENKUlT_T0_E_clISt17integral_constantIbLb0EES1C_EEDaS17_S18_EUlS17_E_NS1_11comp_targetILNS1_3genE10ELNS1_11target_archE1200ELNS1_3gpuE4ELNS1_3repE0EEENS1_30default_config_static_selectorELNS0_4arch9wavefront6targetE1EEEvT1_,comdat
.Lfunc_end166:
	.size	_ZN7rocprim17ROCPRIM_400000_NS6detail17trampoline_kernelINS0_14default_configENS1_25partition_config_selectorILNS1_17partition_subalgoE8ElNS0_10empty_typeEbEEZZNS1_14partition_implILS5_8ELb0ES3_jPlPS6_PKS6_NS0_5tupleIJS9_S6_EEENSD_IJSA_SA_EEENS0_18inequality_wrapperIZN2at6native12_GLOBAL__N_124unique_dim_cuda_templateIhEESt5tupleIJNSH_6TensorESM_SM_EERKSM_lbbbEUlllE0_EEPmJS6_EEE10hipError_tPvRmT3_T4_T5_T6_T7_T9_mT8_P12ihipStream_tbDpT10_ENKUlT_T0_E_clISt17integral_constantIbLb0EES1C_EEDaS17_S18_EUlS17_E_NS1_11comp_targetILNS1_3genE10ELNS1_11target_archE1200ELNS1_3gpuE4ELNS1_3repE0EEENS1_30default_config_static_selectorELNS0_4arch9wavefront6targetE1EEEvT1_, .Lfunc_end166-_ZN7rocprim17ROCPRIM_400000_NS6detail17trampoline_kernelINS0_14default_configENS1_25partition_config_selectorILNS1_17partition_subalgoE8ElNS0_10empty_typeEbEEZZNS1_14partition_implILS5_8ELb0ES3_jPlPS6_PKS6_NS0_5tupleIJS9_S6_EEENSD_IJSA_SA_EEENS0_18inequality_wrapperIZN2at6native12_GLOBAL__N_124unique_dim_cuda_templateIhEESt5tupleIJNSH_6TensorESM_SM_EERKSM_lbbbEUlllE0_EEPmJS6_EEE10hipError_tPvRmT3_T4_T5_T6_T7_T9_mT8_P12ihipStream_tbDpT10_ENKUlT_T0_E_clISt17integral_constantIbLb0EES1C_EEDaS17_S18_EUlS17_E_NS1_11comp_targetILNS1_3genE10ELNS1_11target_archE1200ELNS1_3gpuE4ELNS1_3repE0EEENS1_30default_config_static_selectorELNS0_4arch9wavefront6targetE1EEEvT1_
                                        ; -- End function
	.section	.AMDGPU.csdata,"",@progbits
; Kernel info:
; codeLenInByte = 0
; NumSgprs: 4
; NumVgprs: 0
; NumAgprs: 0
; TotalNumVgprs: 0
; ScratchSize: 0
; MemoryBound: 0
; FloatMode: 240
; IeeeMode: 1
; LDSByteSize: 0 bytes/workgroup (compile time only)
; SGPRBlocks: 0
; VGPRBlocks: 0
; NumSGPRsForWavesPerEU: 4
; NumVGPRsForWavesPerEU: 1
; AccumOffset: 4
; Occupancy: 8
; WaveLimiterHint : 0
; COMPUTE_PGM_RSRC2:SCRATCH_EN: 0
; COMPUTE_PGM_RSRC2:USER_SGPR: 6
; COMPUTE_PGM_RSRC2:TRAP_HANDLER: 0
; COMPUTE_PGM_RSRC2:TGID_X_EN: 1
; COMPUTE_PGM_RSRC2:TGID_Y_EN: 0
; COMPUTE_PGM_RSRC2:TGID_Z_EN: 0
; COMPUTE_PGM_RSRC2:TIDIG_COMP_CNT: 0
; COMPUTE_PGM_RSRC3_GFX90A:ACCUM_OFFSET: 0
; COMPUTE_PGM_RSRC3_GFX90A:TG_SPLIT: 0
	.section	.text._ZN7rocprim17ROCPRIM_400000_NS6detail17trampoline_kernelINS0_14default_configENS1_25partition_config_selectorILNS1_17partition_subalgoE8ElNS0_10empty_typeEbEEZZNS1_14partition_implILS5_8ELb0ES3_jPlPS6_PKS6_NS0_5tupleIJS9_S6_EEENSD_IJSA_SA_EEENS0_18inequality_wrapperIZN2at6native12_GLOBAL__N_124unique_dim_cuda_templateIhEESt5tupleIJNSH_6TensorESM_SM_EERKSM_lbbbEUlllE0_EEPmJS6_EEE10hipError_tPvRmT3_T4_T5_T6_T7_T9_mT8_P12ihipStream_tbDpT10_ENKUlT_T0_E_clISt17integral_constantIbLb0EES1C_EEDaS17_S18_EUlS17_E_NS1_11comp_targetILNS1_3genE9ELNS1_11target_archE1100ELNS1_3gpuE3ELNS1_3repE0EEENS1_30default_config_static_selectorELNS0_4arch9wavefront6targetE1EEEvT1_,"axG",@progbits,_ZN7rocprim17ROCPRIM_400000_NS6detail17trampoline_kernelINS0_14default_configENS1_25partition_config_selectorILNS1_17partition_subalgoE8ElNS0_10empty_typeEbEEZZNS1_14partition_implILS5_8ELb0ES3_jPlPS6_PKS6_NS0_5tupleIJS9_S6_EEENSD_IJSA_SA_EEENS0_18inequality_wrapperIZN2at6native12_GLOBAL__N_124unique_dim_cuda_templateIhEESt5tupleIJNSH_6TensorESM_SM_EERKSM_lbbbEUlllE0_EEPmJS6_EEE10hipError_tPvRmT3_T4_T5_T6_T7_T9_mT8_P12ihipStream_tbDpT10_ENKUlT_T0_E_clISt17integral_constantIbLb0EES1C_EEDaS17_S18_EUlS17_E_NS1_11comp_targetILNS1_3genE9ELNS1_11target_archE1100ELNS1_3gpuE3ELNS1_3repE0EEENS1_30default_config_static_selectorELNS0_4arch9wavefront6targetE1EEEvT1_,comdat
	.globl	_ZN7rocprim17ROCPRIM_400000_NS6detail17trampoline_kernelINS0_14default_configENS1_25partition_config_selectorILNS1_17partition_subalgoE8ElNS0_10empty_typeEbEEZZNS1_14partition_implILS5_8ELb0ES3_jPlPS6_PKS6_NS0_5tupleIJS9_S6_EEENSD_IJSA_SA_EEENS0_18inequality_wrapperIZN2at6native12_GLOBAL__N_124unique_dim_cuda_templateIhEESt5tupleIJNSH_6TensorESM_SM_EERKSM_lbbbEUlllE0_EEPmJS6_EEE10hipError_tPvRmT3_T4_T5_T6_T7_T9_mT8_P12ihipStream_tbDpT10_ENKUlT_T0_E_clISt17integral_constantIbLb0EES1C_EEDaS17_S18_EUlS17_E_NS1_11comp_targetILNS1_3genE9ELNS1_11target_archE1100ELNS1_3gpuE3ELNS1_3repE0EEENS1_30default_config_static_selectorELNS0_4arch9wavefront6targetE1EEEvT1_ ; -- Begin function _ZN7rocprim17ROCPRIM_400000_NS6detail17trampoline_kernelINS0_14default_configENS1_25partition_config_selectorILNS1_17partition_subalgoE8ElNS0_10empty_typeEbEEZZNS1_14partition_implILS5_8ELb0ES3_jPlPS6_PKS6_NS0_5tupleIJS9_S6_EEENSD_IJSA_SA_EEENS0_18inequality_wrapperIZN2at6native12_GLOBAL__N_124unique_dim_cuda_templateIhEESt5tupleIJNSH_6TensorESM_SM_EERKSM_lbbbEUlllE0_EEPmJS6_EEE10hipError_tPvRmT3_T4_T5_T6_T7_T9_mT8_P12ihipStream_tbDpT10_ENKUlT_T0_E_clISt17integral_constantIbLb0EES1C_EEDaS17_S18_EUlS17_E_NS1_11comp_targetILNS1_3genE9ELNS1_11target_archE1100ELNS1_3gpuE3ELNS1_3repE0EEENS1_30default_config_static_selectorELNS0_4arch9wavefront6targetE1EEEvT1_
	.p2align	8
	.type	_ZN7rocprim17ROCPRIM_400000_NS6detail17trampoline_kernelINS0_14default_configENS1_25partition_config_selectorILNS1_17partition_subalgoE8ElNS0_10empty_typeEbEEZZNS1_14partition_implILS5_8ELb0ES3_jPlPS6_PKS6_NS0_5tupleIJS9_S6_EEENSD_IJSA_SA_EEENS0_18inequality_wrapperIZN2at6native12_GLOBAL__N_124unique_dim_cuda_templateIhEESt5tupleIJNSH_6TensorESM_SM_EERKSM_lbbbEUlllE0_EEPmJS6_EEE10hipError_tPvRmT3_T4_T5_T6_T7_T9_mT8_P12ihipStream_tbDpT10_ENKUlT_T0_E_clISt17integral_constantIbLb0EES1C_EEDaS17_S18_EUlS17_E_NS1_11comp_targetILNS1_3genE9ELNS1_11target_archE1100ELNS1_3gpuE3ELNS1_3repE0EEENS1_30default_config_static_selectorELNS0_4arch9wavefront6targetE1EEEvT1_,@function
_ZN7rocprim17ROCPRIM_400000_NS6detail17trampoline_kernelINS0_14default_configENS1_25partition_config_selectorILNS1_17partition_subalgoE8ElNS0_10empty_typeEbEEZZNS1_14partition_implILS5_8ELb0ES3_jPlPS6_PKS6_NS0_5tupleIJS9_S6_EEENSD_IJSA_SA_EEENS0_18inequality_wrapperIZN2at6native12_GLOBAL__N_124unique_dim_cuda_templateIhEESt5tupleIJNSH_6TensorESM_SM_EERKSM_lbbbEUlllE0_EEPmJS6_EEE10hipError_tPvRmT3_T4_T5_T6_T7_T9_mT8_P12ihipStream_tbDpT10_ENKUlT_T0_E_clISt17integral_constantIbLb0EES1C_EEDaS17_S18_EUlS17_E_NS1_11comp_targetILNS1_3genE9ELNS1_11target_archE1100ELNS1_3gpuE3ELNS1_3repE0EEENS1_30default_config_static_selectorELNS0_4arch9wavefront6targetE1EEEvT1_: ; @_ZN7rocprim17ROCPRIM_400000_NS6detail17trampoline_kernelINS0_14default_configENS1_25partition_config_selectorILNS1_17partition_subalgoE8ElNS0_10empty_typeEbEEZZNS1_14partition_implILS5_8ELb0ES3_jPlPS6_PKS6_NS0_5tupleIJS9_S6_EEENSD_IJSA_SA_EEENS0_18inequality_wrapperIZN2at6native12_GLOBAL__N_124unique_dim_cuda_templateIhEESt5tupleIJNSH_6TensorESM_SM_EERKSM_lbbbEUlllE0_EEPmJS6_EEE10hipError_tPvRmT3_T4_T5_T6_T7_T9_mT8_P12ihipStream_tbDpT10_ENKUlT_T0_E_clISt17integral_constantIbLb0EES1C_EEDaS17_S18_EUlS17_E_NS1_11comp_targetILNS1_3genE9ELNS1_11target_archE1100ELNS1_3gpuE3ELNS1_3repE0EEENS1_30default_config_static_selectorELNS0_4arch9wavefront6targetE1EEEvT1_
; %bb.0:
	.section	.rodata,"a",@progbits
	.p2align	6, 0x0
	.amdhsa_kernel _ZN7rocprim17ROCPRIM_400000_NS6detail17trampoline_kernelINS0_14default_configENS1_25partition_config_selectorILNS1_17partition_subalgoE8ElNS0_10empty_typeEbEEZZNS1_14partition_implILS5_8ELb0ES3_jPlPS6_PKS6_NS0_5tupleIJS9_S6_EEENSD_IJSA_SA_EEENS0_18inequality_wrapperIZN2at6native12_GLOBAL__N_124unique_dim_cuda_templateIhEESt5tupleIJNSH_6TensorESM_SM_EERKSM_lbbbEUlllE0_EEPmJS6_EEE10hipError_tPvRmT3_T4_T5_T6_T7_T9_mT8_P12ihipStream_tbDpT10_ENKUlT_T0_E_clISt17integral_constantIbLb0EES1C_EEDaS17_S18_EUlS17_E_NS1_11comp_targetILNS1_3genE9ELNS1_11target_archE1100ELNS1_3gpuE3ELNS1_3repE0EEENS1_30default_config_static_selectorELNS0_4arch9wavefront6targetE1EEEvT1_
		.amdhsa_group_segment_fixed_size 0
		.amdhsa_private_segment_fixed_size 0
		.amdhsa_kernarg_size 120
		.amdhsa_user_sgpr_count 6
		.amdhsa_user_sgpr_private_segment_buffer 1
		.amdhsa_user_sgpr_dispatch_ptr 0
		.amdhsa_user_sgpr_queue_ptr 0
		.amdhsa_user_sgpr_kernarg_segment_ptr 1
		.amdhsa_user_sgpr_dispatch_id 0
		.amdhsa_user_sgpr_flat_scratch_init 0
		.amdhsa_user_sgpr_kernarg_preload_length 0
		.amdhsa_user_sgpr_kernarg_preload_offset 0
		.amdhsa_user_sgpr_private_segment_size 0
		.amdhsa_uses_dynamic_stack 0
		.amdhsa_system_sgpr_private_segment_wavefront_offset 0
		.amdhsa_system_sgpr_workgroup_id_x 1
		.amdhsa_system_sgpr_workgroup_id_y 0
		.amdhsa_system_sgpr_workgroup_id_z 0
		.amdhsa_system_sgpr_workgroup_info 0
		.amdhsa_system_vgpr_workitem_id 0
		.amdhsa_next_free_vgpr 1
		.amdhsa_next_free_sgpr 0
		.amdhsa_accum_offset 4
		.amdhsa_reserve_vcc 0
		.amdhsa_reserve_flat_scratch 0
		.amdhsa_float_round_mode_32 0
		.amdhsa_float_round_mode_16_64 0
		.amdhsa_float_denorm_mode_32 3
		.amdhsa_float_denorm_mode_16_64 3
		.amdhsa_dx10_clamp 1
		.amdhsa_ieee_mode 1
		.amdhsa_fp16_overflow 0
		.amdhsa_tg_split 0
		.amdhsa_exception_fp_ieee_invalid_op 0
		.amdhsa_exception_fp_denorm_src 0
		.amdhsa_exception_fp_ieee_div_zero 0
		.amdhsa_exception_fp_ieee_overflow 0
		.amdhsa_exception_fp_ieee_underflow 0
		.amdhsa_exception_fp_ieee_inexact 0
		.amdhsa_exception_int_div_zero 0
	.end_amdhsa_kernel
	.section	.text._ZN7rocprim17ROCPRIM_400000_NS6detail17trampoline_kernelINS0_14default_configENS1_25partition_config_selectorILNS1_17partition_subalgoE8ElNS0_10empty_typeEbEEZZNS1_14partition_implILS5_8ELb0ES3_jPlPS6_PKS6_NS0_5tupleIJS9_S6_EEENSD_IJSA_SA_EEENS0_18inequality_wrapperIZN2at6native12_GLOBAL__N_124unique_dim_cuda_templateIhEESt5tupleIJNSH_6TensorESM_SM_EERKSM_lbbbEUlllE0_EEPmJS6_EEE10hipError_tPvRmT3_T4_T5_T6_T7_T9_mT8_P12ihipStream_tbDpT10_ENKUlT_T0_E_clISt17integral_constantIbLb0EES1C_EEDaS17_S18_EUlS17_E_NS1_11comp_targetILNS1_3genE9ELNS1_11target_archE1100ELNS1_3gpuE3ELNS1_3repE0EEENS1_30default_config_static_selectorELNS0_4arch9wavefront6targetE1EEEvT1_,"axG",@progbits,_ZN7rocprim17ROCPRIM_400000_NS6detail17trampoline_kernelINS0_14default_configENS1_25partition_config_selectorILNS1_17partition_subalgoE8ElNS0_10empty_typeEbEEZZNS1_14partition_implILS5_8ELb0ES3_jPlPS6_PKS6_NS0_5tupleIJS9_S6_EEENSD_IJSA_SA_EEENS0_18inequality_wrapperIZN2at6native12_GLOBAL__N_124unique_dim_cuda_templateIhEESt5tupleIJNSH_6TensorESM_SM_EERKSM_lbbbEUlllE0_EEPmJS6_EEE10hipError_tPvRmT3_T4_T5_T6_T7_T9_mT8_P12ihipStream_tbDpT10_ENKUlT_T0_E_clISt17integral_constantIbLb0EES1C_EEDaS17_S18_EUlS17_E_NS1_11comp_targetILNS1_3genE9ELNS1_11target_archE1100ELNS1_3gpuE3ELNS1_3repE0EEENS1_30default_config_static_selectorELNS0_4arch9wavefront6targetE1EEEvT1_,comdat
.Lfunc_end167:
	.size	_ZN7rocprim17ROCPRIM_400000_NS6detail17trampoline_kernelINS0_14default_configENS1_25partition_config_selectorILNS1_17partition_subalgoE8ElNS0_10empty_typeEbEEZZNS1_14partition_implILS5_8ELb0ES3_jPlPS6_PKS6_NS0_5tupleIJS9_S6_EEENSD_IJSA_SA_EEENS0_18inequality_wrapperIZN2at6native12_GLOBAL__N_124unique_dim_cuda_templateIhEESt5tupleIJNSH_6TensorESM_SM_EERKSM_lbbbEUlllE0_EEPmJS6_EEE10hipError_tPvRmT3_T4_T5_T6_T7_T9_mT8_P12ihipStream_tbDpT10_ENKUlT_T0_E_clISt17integral_constantIbLb0EES1C_EEDaS17_S18_EUlS17_E_NS1_11comp_targetILNS1_3genE9ELNS1_11target_archE1100ELNS1_3gpuE3ELNS1_3repE0EEENS1_30default_config_static_selectorELNS0_4arch9wavefront6targetE1EEEvT1_, .Lfunc_end167-_ZN7rocprim17ROCPRIM_400000_NS6detail17trampoline_kernelINS0_14default_configENS1_25partition_config_selectorILNS1_17partition_subalgoE8ElNS0_10empty_typeEbEEZZNS1_14partition_implILS5_8ELb0ES3_jPlPS6_PKS6_NS0_5tupleIJS9_S6_EEENSD_IJSA_SA_EEENS0_18inequality_wrapperIZN2at6native12_GLOBAL__N_124unique_dim_cuda_templateIhEESt5tupleIJNSH_6TensorESM_SM_EERKSM_lbbbEUlllE0_EEPmJS6_EEE10hipError_tPvRmT3_T4_T5_T6_T7_T9_mT8_P12ihipStream_tbDpT10_ENKUlT_T0_E_clISt17integral_constantIbLb0EES1C_EEDaS17_S18_EUlS17_E_NS1_11comp_targetILNS1_3genE9ELNS1_11target_archE1100ELNS1_3gpuE3ELNS1_3repE0EEENS1_30default_config_static_selectorELNS0_4arch9wavefront6targetE1EEEvT1_
                                        ; -- End function
	.section	.AMDGPU.csdata,"",@progbits
; Kernel info:
; codeLenInByte = 0
; NumSgprs: 4
; NumVgprs: 0
; NumAgprs: 0
; TotalNumVgprs: 0
; ScratchSize: 0
; MemoryBound: 0
; FloatMode: 240
; IeeeMode: 1
; LDSByteSize: 0 bytes/workgroup (compile time only)
; SGPRBlocks: 0
; VGPRBlocks: 0
; NumSGPRsForWavesPerEU: 4
; NumVGPRsForWavesPerEU: 1
; AccumOffset: 4
; Occupancy: 8
; WaveLimiterHint : 0
; COMPUTE_PGM_RSRC2:SCRATCH_EN: 0
; COMPUTE_PGM_RSRC2:USER_SGPR: 6
; COMPUTE_PGM_RSRC2:TRAP_HANDLER: 0
; COMPUTE_PGM_RSRC2:TGID_X_EN: 1
; COMPUTE_PGM_RSRC2:TGID_Y_EN: 0
; COMPUTE_PGM_RSRC2:TGID_Z_EN: 0
; COMPUTE_PGM_RSRC2:TIDIG_COMP_CNT: 0
; COMPUTE_PGM_RSRC3_GFX90A:ACCUM_OFFSET: 0
; COMPUTE_PGM_RSRC3_GFX90A:TG_SPLIT: 0
	.section	.text._ZN7rocprim17ROCPRIM_400000_NS6detail17trampoline_kernelINS0_14default_configENS1_25partition_config_selectorILNS1_17partition_subalgoE8ElNS0_10empty_typeEbEEZZNS1_14partition_implILS5_8ELb0ES3_jPlPS6_PKS6_NS0_5tupleIJS9_S6_EEENSD_IJSA_SA_EEENS0_18inequality_wrapperIZN2at6native12_GLOBAL__N_124unique_dim_cuda_templateIhEESt5tupleIJNSH_6TensorESM_SM_EERKSM_lbbbEUlllE0_EEPmJS6_EEE10hipError_tPvRmT3_T4_T5_T6_T7_T9_mT8_P12ihipStream_tbDpT10_ENKUlT_T0_E_clISt17integral_constantIbLb0EES1C_EEDaS17_S18_EUlS17_E_NS1_11comp_targetILNS1_3genE8ELNS1_11target_archE1030ELNS1_3gpuE2ELNS1_3repE0EEENS1_30default_config_static_selectorELNS0_4arch9wavefront6targetE1EEEvT1_,"axG",@progbits,_ZN7rocprim17ROCPRIM_400000_NS6detail17trampoline_kernelINS0_14default_configENS1_25partition_config_selectorILNS1_17partition_subalgoE8ElNS0_10empty_typeEbEEZZNS1_14partition_implILS5_8ELb0ES3_jPlPS6_PKS6_NS0_5tupleIJS9_S6_EEENSD_IJSA_SA_EEENS0_18inequality_wrapperIZN2at6native12_GLOBAL__N_124unique_dim_cuda_templateIhEESt5tupleIJNSH_6TensorESM_SM_EERKSM_lbbbEUlllE0_EEPmJS6_EEE10hipError_tPvRmT3_T4_T5_T6_T7_T9_mT8_P12ihipStream_tbDpT10_ENKUlT_T0_E_clISt17integral_constantIbLb0EES1C_EEDaS17_S18_EUlS17_E_NS1_11comp_targetILNS1_3genE8ELNS1_11target_archE1030ELNS1_3gpuE2ELNS1_3repE0EEENS1_30default_config_static_selectorELNS0_4arch9wavefront6targetE1EEEvT1_,comdat
	.globl	_ZN7rocprim17ROCPRIM_400000_NS6detail17trampoline_kernelINS0_14default_configENS1_25partition_config_selectorILNS1_17partition_subalgoE8ElNS0_10empty_typeEbEEZZNS1_14partition_implILS5_8ELb0ES3_jPlPS6_PKS6_NS0_5tupleIJS9_S6_EEENSD_IJSA_SA_EEENS0_18inequality_wrapperIZN2at6native12_GLOBAL__N_124unique_dim_cuda_templateIhEESt5tupleIJNSH_6TensorESM_SM_EERKSM_lbbbEUlllE0_EEPmJS6_EEE10hipError_tPvRmT3_T4_T5_T6_T7_T9_mT8_P12ihipStream_tbDpT10_ENKUlT_T0_E_clISt17integral_constantIbLb0EES1C_EEDaS17_S18_EUlS17_E_NS1_11comp_targetILNS1_3genE8ELNS1_11target_archE1030ELNS1_3gpuE2ELNS1_3repE0EEENS1_30default_config_static_selectorELNS0_4arch9wavefront6targetE1EEEvT1_ ; -- Begin function _ZN7rocprim17ROCPRIM_400000_NS6detail17trampoline_kernelINS0_14default_configENS1_25partition_config_selectorILNS1_17partition_subalgoE8ElNS0_10empty_typeEbEEZZNS1_14partition_implILS5_8ELb0ES3_jPlPS6_PKS6_NS0_5tupleIJS9_S6_EEENSD_IJSA_SA_EEENS0_18inequality_wrapperIZN2at6native12_GLOBAL__N_124unique_dim_cuda_templateIhEESt5tupleIJNSH_6TensorESM_SM_EERKSM_lbbbEUlllE0_EEPmJS6_EEE10hipError_tPvRmT3_T4_T5_T6_T7_T9_mT8_P12ihipStream_tbDpT10_ENKUlT_T0_E_clISt17integral_constantIbLb0EES1C_EEDaS17_S18_EUlS17_E_NS1_11comp_targetILNS1_3genE8ELNS1_11target_archE1030ELNS1_3gpuE2ELNS1_3repE0EEENS1_30default_config_static_selectorELNS0_4arch9wavefront6targetE1EEEvT1_
	.p2align	8
	.type	_ZN7rocprim17ROCPRIM_400000_NS6detail17trampoline_kernelINS0_14default_configENS1_25partition_config_selectorILNS1_17partition_subalgoE8ElNS0_10empty_typeEbEEZZNS1_14partition_implILS5_8ELb0ES3_jPlPS6_PKS6_NS0_5tupleIJS9_S6_EEENSD_IJSA_SA_EEENS0_18inequality_wrapperIZN2at6native12_GLOBAL__N_124unique_dim_cuda_templateIhEESt5tupleIJNSH_6TensorESM_SM_EERKSM_lbbbEUlllE0_EEPmJS6_EEE10hipError_tPvRmT3_T4_T5_T6_T7_T9_mT8_P12ihipStream_tbDpT10_ENKUlT_T0_E_clISt17integral_constantIbLb0EES1C_EEDaS17_S18_EUlS17_E_NS1_11comp_targetILNS1_3genE8ELNS1_11target_archE1030ELNS1_3gpuE2ELNS1_3repE0EEENS1_30default_config_static_selectorELNS0_4arch9wavefront6targetE1EEEvT1_,@function
_ZN7rocprim17ROCPRIM_400000_NS6detail17trampoline_kernelINS0_14default_configENS1_25partition_config_selectorILNS1_17partition_subalgoE8ElNS0_10empty_typeEbEEZZNS1_14partition_implILS5_8ELb0ES3_jPlPS6_PKS6_NS0_5tupleIJS9_S6_EEENSD_IJSA_SA_EEENS0_18inequality_wrapperIZN2at6native12_GLOBAL__N_124unique_dim_cuda_templateIhEESt5tupleIJNSH_6TensorESM_SM_EERKSM_lbbbEUlllE0_EEPmJS6_EEE10hipError_tPvRmT3_T4_T5_T6_T7_T9_mT8_P12ihipStream_tbDpT10_ENKUlT_T0_E_clISt17integral_constantIbLb0EES1C_EEDaS17_S18_EUlS17_E_NS1_11comp_targetILNS1_3genE8ELNS1_11target_archE1030ELNS1_3gpuE2ELNS1_3repE0EEENS1_30default_config_static_selectorELNS0_4arch9wavefront6targetE1EEEvT1_: ; @_ZN7rocprim17ROCPRIM_400000_NS6detail17trampoline_kernelINS0_14default_configENS1_25partition_config_selectorILNS1_17partition_subalgoE8ElNS0_10empty_typeEbEEZZNS1_14partition_implILS5_8ELb0ES3_jPlPS6_PKS6_NS0_5tupleIJS9_S6_EEENSD_IJSA_SA_EEENS0_18inequality_wrapperIZN2at6native12_GLOBAL__N_124unique_dim_cuda_templateIhEESt5tupleIJNSH_6TensorESM_SM_EERKSM_lbbbEUlllE0_EEPmJS6_EEE10hipError_tPvRmT3_T4_T5_T6_T7_T9_mT8_P12ihipStream_tbDpT10_ENKUlT_T0_E_clISt17integral_constantIbLb0EES1C_EEDaS17_S18_EUlS17_E_NS1_11comp_targetILNS1_3genE8ELNS1_11target_archE1030ELNS1_3gpuE2ELNS1_3repE0EEENS1_30default_config_static_selectorELNS0_4arch9wavefront6targetE1EEEvT1_
; %bb.0:
	.section	.rodata,"a",@progbits
	.p2align	6, 0x0
	.amdhsa_kernel _ZN7rocprim17ROCPRIM_400000_NS6detail17trampoline_kernelINS0_14default_configENS1_25partition_config_selectorILNS1_17partition_subalgoE8ElNS0_10empty_typeEbEEZZNS1_14partition_implILS5_8ELb0ES3_jPlPS6_PKS6_NS0_5tupleIJS9_S6_EEENSD_IJSA_SA_EEENS0_18inequality_wrapperIZN2at6native12_GLOBAL__N_124unique_dim_cuda_templateIhEESt5tupleIJNSH_6TensorESM_SM_EERKSM_lbbbEUlllE0_EEPmJS6_EEE10hipError_tPvRmT3_T4_T5_T6_T7_T9_mT8_P12ihipStream_tbDpT10_ENKUlT_T0_E_clISt17integral_constantIbLb0EES1C_EEDaS17_S18_EUlS17_E_NS1_11comp_targetILNS1_3genE8ELNS1_11target_archE1030ELNS1_3gpuE2ELNS1_3repE0EEENS1_30default_config_static_selectorELNS0_4arch9wavefront6targetE1EEEvT1_
		.amdhsa_group_segment_fixed_size 0
		.amdhsa_private_segment_fixed_size 0
		.amdhsa_kernarg_size 120
		.amdhsa_user_sgpr_count 6
		.amdhsa_user_sgpr_private_segment_buffer 1
		.amdhsa_user_sgpr_dispatch_ptr 0
		.amdhsa_user_sgpr_queue_ptr 0
		.amdhsa_user_sgpr_kernarg_segment_ptr 1
		.amdhsa_user_sgpr_dispatch_id 0
		.amdhsa_user_sgpr_flat_scratch_init 0
		.amdhsa_user_sgpr_kernarg_preload_length 0
		.amdhsa_user_sgpr_kernarg_preload_offset 0
		.amdhsa_user_sgpr_private_segment_size 0
		.amdhsa_uses_dynamic_stack 0
		.amdhsa_system_sgpr_private_segment_wavefront_offset 0
		.amdhsa_system_sgpr_workgroup_id_x 1
		.amdhsa_system_sgpr_workgroup_id_y 0
		.amdhsa_system_sgpr_workgroup_id_z 0
		.amdhsa_system_sgpr_workgroup_info 0
		.amdhsa_system_vgpr_workitem_id 0
		.amdhsa_next_free_vgpr 1
		.amdhsa_next_free_sgpr 0
		.amdhsa_accum_offset 4
		.amdhsa_reserve_vcc 0
		.amdhsa_reserve_flat_scratch 0
		.amdhsa_float_round_mode_32 0
		.amdhsa_float_round_mode_16_64 0
		.amdhsa_float_denorm_mode_32 3
		.amdhsa_float_denorm_mode_16_64 3
		.amdhsa_dx10_clamp 1
		.amdhsa_ieee_mode 1
		.amdhsa_fp16_overflow 0
		.amdhsa_tg_split 0
		.amdhsa_exception_fp_ieee_invalid_op 0
		.amdhsa_exception_fp_denorm_src 0
		.amdhsa_exception_fp_ieee_div_zero 0
		.amdhsa_exception_fp_ieee_overflow 0
		.amdhsa_exception_fp_ieee_underflow 0
		.amdhsa_exception_fp_ieee_inexact 0
		.amdhsa_exception_int_div_zero 0
	.end_amdhsa_kernel
	.section	.text._ZN7rocprim17ROCPRIM_400000_NS6detail17trampoline_kernelINS0_14default_configENS1_25partition_config_selectorILNS1_17partition_subalgoE8ElNS0_10empty_typeEbEEZZNS1_14partition_implILS5_8ELb0ES3_jPlPS6_PKS6_NS0_5tupleIJS9_S6_EEENSD_IJSA_SA_EEENS0_18inequality_wrapperIZN2at6native12_GLOBAL__N_124unique_dim_cuda_templateIhEESt5tupleIJNSH_6TensorESM_SM_EERKSM_lbbbEUlllE0_EEPmJS6_EEE10hipError_tPvRmT3_T4_T5_T6_T7_T9_mT8_P12ihipStream_tbDpT10_ENKUlT_T0_E_clISt17integral_constantIbLb0EES1C_EEDaS17_S18_EUlS17_E_NS1_11comp_targetILNS1_3genE8ELNS1_11target_archE1030ELNS1_3gpuE2ELNS1_3repE0EEENS1_30default_config_static_selectorELNS0_4arch9wavefront6targetE1EEEvT1_,"axG",@progbits,_ZN7rocprim17ROCPRIM_400000_NS6detail17trampoline_kernelINS0_14default_configENS1_25partition_config_selectorILNS1_17partition_subalgoE8ElNS0_10empty_typeEbEEZZNS1_14partition_implILS5_8ELb0ES3_jPlPS6_PKS6_NS0_5tupleIJS9_S6_EEENSD_IJSA_SA_EEENS0_18inequality_wrapperIZN2at6native12_GLOBAL__N_124unique_dim_cuda_templateIhEESt5tupleIJNSH_6TensorESM_SM_EERKSM_lbbbEUlllE0_EEPmJS6_EEE10hipError_tPvRmT3_T4_T5_T6_T7_T9_mT8_P12ihipStream_tbDpT10_ENKUlT_T0_E_clISt17integral_constantIbLb0EES1C_EEDaS17_S18_EUlS17_E_NS1_11comp_targetILNS1_3genE8ELNS1_11target_archE1030ELNS1_3gpuE2ELNS1_3repE0EEENS1_30default_config_static_selectorELNS0_4arch9wavefront6targetE1EEEvT1_,comdat
.Lfunc_end168:
	.size	_ZN7rocprim17ROCPRIM_400000_NS6detail17trampoline_kernelINS0_14default_configENS1_25partition_config_selectorILNS1_17partition_subalgoE8ElNS0_10empty_typeEbEEZZNS1_14partition_implILS5_8ELb0ES3_jPlPS6_PKS6_NS0_5tupleIJS9_S6_EEENSD_IJSA_SA_EEENS0_18inequality_wrapperIZN2at6native12_GLOBAL__N_124unique_dim_cuda_templateIhEESt5tupleIJNSH_6TensorESM_SM_EERKSM_lbbbEUlllE0_EEPmJS6_EEE10hipError_tPvRmT3_T4_T5_T6_T7_T9_mT8_P12ihipStream_tbDpT10_ENKUlT_T0_E_clISt17integral_constantIbLb0EES1C_EEDaS17_S18_EUlS17_E_NS1_11comp_targetILNS1_3genE8ELNS1_11target_archE1030ELNS1_3gpuE2ELNS1_3repE0EEENS1_30default_config_static_selectorELNS0_4arch9wavefront6targetE1EEEvT1_, .Lfunc_end168-_ZN7rocprim17ROCPRIM_400000_NS6detail17trampoline_kernelINS0_14default_configENS1_25partition_config_selectorILNS1_17partition_subalgoE8ElNS0_10empty_typeEbEEZZNS1_14partition_implILS5_8ELb0ES3_jPlPS6_PKS6_NS0_5tupleIJS9_S6_EEENSD_IJSA_SA_EEENS0_18inequality_wrapperIZN2at6native12_GLOBAL__N_124unique_dim_cuda_templateIhEESt5tupleIJNSH_6TensorESM_SM_EERKSM_lbbbEUlllE0_EEPmJS6_EEE10hipError_tPvRmT3_T4_T5_T6_T7_T9_mT8_P12ihipStream_tbDpT10_ENKUlT_T0_E_clISt17integral_constantIbLb0EES1C_EEDaS17_S18_EUlS17_E_NS1_11comp_targetILNS1_3genE8ELNS1_11target_archE1030ELNS1_3gpuE2ELNS1_3repE0EEENS1_30default_config_static_selectorELNS0_4arch9wavefront6targetE1EEEvT1_
                                        ; -- End function
	.section	.AMDGPU.csdata,"",@progbits
; Kernel info:
; codeLenInByte = 0
; NumSgprs: 4
; NumVgprs: 0
; NumAgprs: 0
; TotalNumVgprs: 0
; ScratchSize: 0
; MemoryBound: 0
; FloatMode: 240
; IeeeMode: 1
; LDSByteSize: 0 bytes/workgroup (compile time only)
; SGPRBlocks: 0
; VGPRBlocks: 0
; NumSGPRsForWavesPerEU: 4
; NumVGPRsForWavesPerEU: 1
; AccumOffset: 4
; Occupancy: 8
; WaveLimiterHint : 0
; COMPUTE_PGM_RSRC2:SCRATCH_EN: 0
; COMPUTE_PGM_RSRC2:USER_SGPR: 6
; COMPUTE_PGM_RSRC2:TRAP_HANDLER: 0
; COMPUTE_PGM_RSRC2:TGID_X_EN: 1
; COMPUTE_PGM_RSRC2:TGID_Y_EN: 0
; COMPUTE_PGM_RSRC2:TGID_Z_EN: 0
; COMPUTE_PGM_RSRC2:TIDIG_COMP_CNT: 0
; COMPUTE_PGM_RSRC3_GFX90A:ACCUM_OFFSET: 0
; COMPUTE_PGM_RSRC3_GFX90A:TG_SPLIT: 0
	.section	.text._ZN7rocprim17ROCPRIM_400000_NS6detail17trampoline_kernelINS0_14default_configENS1_25transform_config_selectorImLb1EEEZNS1_14transform_implILb1ES3_S5_PmS7_NS0_8identityIvEEEE10hipError_tT2_T3_mT4_P12ihipStream_tbEUlT_E_NS1_11comp_targetILNS1_3genE0ELNS1_11target_archE4294967295ELNS1_3gpuE0ELNS1_3repE0EEENS1_30default_config_static_selectorELNS0_4arch9wavefront6targetE1EEEvT1_,"axG",@progbits,_ZN7rocprim17ROCPRIM_400000_NS6detail17trampoline_kernelINS0_14default_configENS1_25transform_config_selectorImLb1EEEZNS1_14transform_implILb1ES3_S5_PmS7_NS0_8identityIvEEEE10hipError_tT2_T3_mT4_P12ihipStream_tbEUlT_E_NS1_11comp_targetILNS1_3genE0ELNS1_11target_archE4294967295ELNS1_3gpuE0ELNS1_3repE0EEENS1_30default_config_static_selectorELNS0_4arch9wavefront6targetE1EEEvT1_,comdat
	.protected	_ZN7rocprim17ROCPRIM_400000_NS6detail17trampoline_kernelINS0_14default_configENS1_25transform_config_selectorImLb1EEEZNS1_14transform_implILb1ES3_S5_PmS7_NS0_8identityIvEEEE10hipError_tT2_T3_mT4_P12ihipStream_tbEUlT_E_NS1_11comp_targetILNS1_3genE0ELNS1_11target_archE4294967295ELNS1_3gpuE0ELNS1_3repE0EEENS1_30default_config_static_selectorELNS0_4arch9wavefront6targetE1EEEvT1_ ; -- Begin function _ZN7rocprim17ROCPRIM_400000_NS6detail17trampoline_kernelINS0_14default_configENS1_25transform_config_selectorImLb1EEEZNS1_14transform_implILb1ES3_S5_PmS7_NS0_8identityIvEEEE10hipError_tT2_T3_mT4_P12ihipStream_tbEUlT_E_NS1_11comp_targetILNS1_3genE0ELNS1_11target_archE4294967295ELNS1_3gpuE0ELNS1_3repE0EEENS1_30default_config_static_selectorELNS0_4arch9wavefront6targetE1EEEvT1_
	.globl	_ZN7rocprim17ROCPRIM_400000_NS6detail17trampoline_kernelINS0_14default_configENS1_25transform_config_selectorImLb1EEEZNS1_14transform_implILb1ES3_S5_PmS7_NS0_8identityIvEEEE10hipError_tT2_T3_mT4_P12ihipStream_tbEUlT_E_NS1_11comp_targetILNS1_3genE0ELNS1_11target_archE4294967295ELNS1_3gpuE0ELNS1_3repE0EEENS1_30default_config_static_selectorELNS0_4arch9wavefront6targetE1EEEvT1_
	.p2align	8
	.type	_ZN7rocprim17ROCPRIM_400000_NS6detail17trampoline_kernelINS0_14default_configENS1_25transform_config_selectorImLb1EEEZNS1_14transform_implILb1ES3_S5_PmS7_NS0_8identityIvEEEE10hipError_tT2_T3_mT4_P12ihipStream_tbEUlT_E_NS1_11comp_targetILNS1_3genE0ELNS1_11target_archE4294967295ELNS1_3gpuE0ELNS1_3repE0EEENS1_30default_config_static_selectorELNS0_4arch9wavefront6targetE1EEEvT1_,@function
_ZN7rocprim17ROCPRIM_400000_NS6detail17trampoline_kernelINS0_14default_configENS1_25transform_config_selectorImLb1EEEZNS1_14transform_implILb1ES3_S5_PmS7_NS0_8identityIvEEEE10hipError_tT2_T3_mT4_P12ihipStream_tbEUlT_E_NS1_11comp_targetILNS1_3genE0ELNS1_11target_archE4294967295ELNS1_3gpuE0ELNS1_3repE0EEENS1_30default_config_static_selectorELNS0_4arch9wavefront6targetE1EEEvT1_: ; @_ZN7rocprim17ROCPRIM_400000_NS6detail17trampoline_kernelINS0_14default_configENS1_25transform_config_selectorImLb1EEEZNS1_14transform_implILb1ES3_S5_PmS7_NS0_8identityIvEEEE10hipError_tT2_T3_mT4_P12ihipStream_tbEUlT_E_NS1_11comp_targetILNS1_3genE0ELNS1_11target_archE4294967295ELNS1_3gpuE0ELNS1_3repE0EEENS1_30default_config_static_selectorELNS0_4arch9wavefront6targetE1EEEvT1_
; %bb.0:
	.section	.rodata,"a",@progbits
	.p2align	6, 0x0
	.amdhsa_kernel _ZN7rocprim17ROCPRIM_400000_NS6detail17trampoline_kernelINS0_14default_configENS1_25transform_config_selectorImLb1EEEZNS1_14transform_implILb1ES3_S5_PmS7_NS0_8identityIvEEEE10hipError_tT2_T3_mT4_P12ihipStream_tbEUlT_E_NS1_11comp_targetILNS1_3genE0ELNS1_11target_archE4294967295ELNS1_3gpuE0ELNS1_3repE0EEENS1_30default_config_static_selectorELNS0_4arch9wavefront6targetE1EEEvT1_
		.amdhsa_group_segment_fixed_size 0
		.amdhsa_private_segment_fixed_size 0
		.amdhsa_kernarg_size 40
		.amdhsa_user_sgpr_count 6
		.amdhsa_user_sgpr_private_segment_buffer 1
		.amdhsa_user_sgpr_dispatch_ptr 0
		.amdhsa_user_sgpr_queue_ptr 0
		.amdhsa_user_sgpr_kernarg_segment_ptr 1
		.amdhsa_user_sgpr_dispatch_id 0
		.amdhsa_user_sgpr_flat_scratch_init 0
		.amdhsa_user_sgpr_kernarg_preload_length 0
		.amdhsa_user_sgpr_kernarg_preload_offset 0
		.amdhsa_user_sgpr_private_segment_size 0
		.amdhsa_uses_dynamic_stack 0
		.amdhsa_system_sgpr_private_segment_wavefront_offset 0
		.amdhsa_system_sgpr_workgroup_id_x 1
		.amdhsa_system_sgpr_workgroup_id_y 0
		.amdhsa_system_sgpr_workgroup_id_z 0
		.amdhsa_system_sgpr_workgroup_info 0
		.amdhsa_system_vgpr_workitem_id 0
		.amdhsa_next_free_vgpr 1
		.amdhsa_next_free_sgpr 0
		.amdhsa_accum_offset 4
		.amdhsa_reserve_vcc 0
		.amdhsa_reserve_flat_scratch 0
		.amdhsa_float_round_mode_32 0
		.amdhsa_float_round_mode_16_64 0
		.amdhsa_float_denorm_mode_32 3
		.amdhsa_float_denorm_mode_16_64 3
		.amdhsa_dx10_clamp 1
		.amdhsa_ieee_mode 1
		.amdhsa_fp16_overflow 0
		.amdhsa_tg_split 0
		.amdhsa_exception_fp_ieee_invalid_op 0
		.amdhsa_exception_fp_denorm_src 0
		.amdhsa_exception_fp_ieee_div_zero 0
		.amdhsa_exception_fp_ieee_overflow 0
		.amdhsa_exception_fp_ieee_underflow 0
		.amdhsa_exception_fp_ieee_inexact 0
		.amdhsa_exception_int_div_zero 0
	.end_amdhsa_kernel
	.section	.text._ZN7rocprim17ROCPRIM_400000_NS6detail17trampoline_kernelINS0_14default_configENS1_25transform_config_selectorImLb1EEEZNS1_14transform_implILb1ES3_S5_PmS7_NS0_8identityIvEEEE10hipError_tT2_T3_mT4_P12ihipStream_tbEUlT_E_NS1_11comp_targetILNS1_3genE0ELNS1_11target_archE4294967295ELNS1_3gpuE0ELNS1_3repE0EEENS1_30default_config_static_selectorELNS0_4arch9wavefront6targetE1EEEvT1_,"axG",@progbits,_ZN7rocprim17ROCPRIM_400000_NS6detail17trampoline_kernelINS0_14default_configENS1_25transform_config_selectorImLb1EEEZNS1_14transform_implILb1ES3_S5_PmS7_NS0_8identityIvEEEE10hipError_tT2_T3_mT4_P12ihipStream_tbEUlT_E_NS1_11comp_targetILNS1_3genE0ELNS1_11target_archE4294967295ELNS1_3gpuE0ELNS1_3repE0EEENS1_30default_config_static_selectorELNS0_4arch9wavefront6targetE1EEEvT1_,comdat
.Lfunc_end169:
	.size	_ZN7rocprim17ROCPRIM_400000_NS6detail17trampoline_kernelINS0_14default_configENS1_25transform_config_selectorImLb1EEEZNS1_14transform_implILb1ES3_S5_PmS7_NS0_8identityIvEEEE10hipError_tT2_T3_mT4_P12ihipStream_tbEUlT_E_NS1_11comp_targetILNS1_3genE0ELNS1_11target_archE4294967295ELNS1_3gpuE0ELNS1_3repE0EEENS1_30default_config_static_selectorELNS0_4arch9wavefront6targetE1EEEvT1_, .Lfunc_end169-_ZN7rocprim17ROCPRIM_400000_NS6detail17trampoline_kernelINS0_14default_configENS1_25transform_config_selectorImLb1EEEZNS1_14transform_implILb1ES3_S5_PmS7_NS0_8identityIvEEEE10hipError_tT2_T3_mT4_P12ihipStream_tbEUlT_E_NS1_11comp_targetILNS1_3genE0ELNS1_11target_archE4294967295ELNS1_3gpuE0ELNS1_3repE0EEENS1_30default_config_static_selectorELNS0_4arch9wavefront6targetE1EEEvT1_
                                        ; -- End function
	.section	.AMDGPU.csdata,"",@progbits
; Kernel info:
; codeLenInByte = 0
; NumSgprs: 4
; NumVgprs: 0
; NumAgprs: 0
; TotalNumVgprs: 0
; ScratchSize: 0
; MemoryBound: 0
; FloatMode: 240
; IeeeMode: 1
; LDSByteSize: 0 bytes/workgroup (compile time only)
; SGPRBlocks: 0
; VGPRBlocks: 0
; NumSGPRsForWavesPerEU: 4
; NumVGPRsForWavesPerEU: 1
; AccumOffset: 4
; Occupancy: 8
; WaveLimiterHint : 0
; COMPUTE_PGM_RSRC2:SCRATCH_EN: 0
; COMPUTE_PGM_RSRC2:USER_SGPR: 6
; COMPUTE_PGM_RSRC2:TRAP_HANDLER: 0
; COMPUTE_PGM_RSRC2:TGID_X_EN: 1
; COMPUTE_PGM_RSRC2:TGID_Y_EN: 0
; COMPUTE_PGM_RSRC2:TGID_Z_EN: 0
; COMPUTE_PGM_RSRC2:TIDIG_COMP_CNT: 0
; COMPUTE_PGM_RSRC3_GFX90A:ACCUM_OFFSET: 0
; COMPUTE_PGM_RSRC3_GFX90A:TG_SPLIT: 0
	.section	.text._ZN7rocprim17ROCPRIM_400000_NS6detail17trampoline_kernelINS0_14default_configENS1_25transform_config_selectorImLb1EEEZNS1_14transform_implILb1ES3_S5_PmS7_NS0_8identityIvEEEE10hipError_tT2_T3_mT4_P12ihipStream_tbEUlT_E_NS1_11comp_targetILNS1_3genE10ELNS1_11target_archE1201ELNS1_3gpuE5ELNS1_3repE0EEENS1_30default_config_static_selectorELNS0_4arch9wavefront6targetE1EEEvT1_,"axG",@progbits,_ZN7rocprim17ROCPRIM_400000_NS6detail17trampoline_kernelINS0_14default_configENS1_25transform_config_selectorImLb1EEEZNS1_14transform_implILb1ES3_S5_PmS7_NS0_8identityIvEEEE10hipError_tT2_T3_mT4_P12ihipStream_tbEUlT_E_NS1_11comp_targetILNS1_3genE10ELNS1_11target_archE1201ELNS1_3gpuE5ELNS1_3repE0EEENS1_30default_config_static_selectorELNS0_4arch9wavefront6targetE1EEEvT1_,comdat
	.protected	_ZN7rocprim17ROCPRIM_400000_NS6detail17trampoline_kernelINS0_14default_configENS1_25transform_config_selectorImLb1EEEZNS1_14transform_implILb1ES3_S5_PmS7_NS0_8identityIvEEEE10hipError_tT2_T3_mT4_P12ihipStream_tbEUlT_E_NS1_11comp_targetILNS1_3genE10ELNS1_11target_archE1201ELNS1_3gpuE5ELNS1_3repE0EEENS1_30default_config_static_selectorELNS0_4arch9wavefront6targetE1EEEvT1_ ; -- Begin function _ZN7rocprim17ROCPRIM_400000_NS6detail17trampoline_kernelINS0_14default_configENS1_25transform_config_selectorImLb1EEEZNS1_14transform_implILb1ES3_S5_PmS7_NS0_8identityIvEEEE10hipError_tT2_T3_mT4_P12ihipStream_tbEUlT_E_NS1_11comp_targetILNS1_3genE10ELNS1_11target_archE1201ELNS1_3gpuE5ELNS1_3repE0EEENS1_30default_config_static_selectorELNS0_4arch9wavefront6targetE1EEEvT1_
	.globl	_ZN7rocprim17ROCPRIM_400000_NS6detail17trampoline_kernelINS0_14default_configENS1_25transform_config_selectorImLb1EEEZNS1_14transform_implILb1ES3_S5_PmS7_NS0_8identityIvEEEE10hipError_tT2_T3_mT4_P12ihipStream_tbEUlT_E_NS1_11comp_targetILNS1_3genE10ELNS1_11target_archE1201ELNS1_3gpuE5ELNS1_3repE0EEENS1_30default_config_static_selectorELNS0_4arch9wavefront6targetE1EEEvT1_
	.p2align	8
	.type	_ZN7rocprim17ROCPRIM_400000_NS6detail17trampoline_kernelINS0_14default_configENS1_25transform_config_selectorImLb1EEEZNS1_14transform_implILb1ES3_S5_PmS7_NS0_8identityIvEEEE10hipError_tT2_T3_mT4_P12ihipStream_tbEUlT_E_NS1_11comp_targetILNS1_3genE10ELNS1_11target_archE1201ELNS1_3gpuE5ELNS1_3repE0EEENS1_30default_config_static_selectorELNS0_4arch9wavefront6targetE1EEEvT1_,@function
_ZN7rocprim17ROCPRIM_400000_NS6detail17trampoline_kernelINS0_14default_configENS1_25transform_config_selectorImLb1EEEZNS1_14transform_implILb1ES3_S5_PmS7_NS0_8identityIvEEEE10hipError_tT2_T3_mT4_P12ihipStream_tbEUlT_E_NS1_11comp_targetILNS1_3genE10ELNS1_11target_archE1201ELNS1_3gpuE5ELNS1_3repE0EEENS1_30default_config_static_selectorELNS0_4arch9wavefront6targetE1EEEvT1_: ; @_ZN7rocprim17ROCPRIM_400000_NS6detail17trampoline_kernelINS0_14default_configENS1_25transform_config_selectorImLb1EEEZNS1_14transform_implILb1ES3_S5_PmS7_NS0_8identityIvEEEE10hipError_tT2_T3_mT4_P12ihipStream_tbEUlT_E_NS1_11comp_targetILNS1_3genE10ELNS1_11target_archE1201ELNS1_3gpuE5ELNS1_3repE0EEENS1_30default_config_static_selectorELNS0_4arch9wavefront6targetE1EEEvT1_
; %bb.0:
	.section	.rodata,"a",@progbits
	.p2align	6, 0x0
	.amdhsa_kernel _ZN7rocprim17ROCPRIM_400000_NS6detail17trampoline_kernelINS0_14default_configENS1_25transform_config_selectorImLb1EEEZNS1_14transform_implILb1ES3_S5_PmS7_NS0_8identityIvEEEE10hipError_tT2_T3_mT4_P12ihipStream_tbEUlT_E_NS1_11comp_targetILNS1_3genE10ELNS1_11target_archE1201ELNS1_3gpuE5ELNS1_3repE0EEENS1_30default_config_static_selectorELNS0_4arch9wavefront6targetE1EEEvT1_
		.amdhsa_group_segment_fixed_size 0
		.amdhsa_private_segment_fixed_size 0
		.amdhsa_kernarg_size 40
		.amdhsa_user_sgpr_count 6
		.amdhsa_user_sgpr_private_segment_buffer 1
		.amdhsa_user_sgpr_dispatch_ptr 0
		.amdhsa_user_sgpr_queue_ptr 0
		.amdhsa_user_sgpr_kernarg_segment_ptr 1
		.amdhsa_user_sgpr_dispatch_id 0
		.amdhsa_user_sgpr_flat_scratch_init 0
		.amdhsa_user_sgpr_kernarg_preload_length 0
		.amdhsa_user_sgpr_kernarg_preload_offset 0
		.amdhsa_user_sgpr_private_segment_size 0
		.amdhsa_uses_dynamic_stack 0
		.amdhsa_system_sgpr_private_segment_wavefront_offset 0
		.amdhsa_system_sgpr_workgroup_id_x 1
		.amdhsa_system_sgpr_workgroup_id_y 0
		.amdhsa_system_sgpr_workgroup_id_z 0
		.amdhsa_system_sgpr_workgroup_info 0
		.amdhsa_system_vgpr_workitem_id 0
		.amdhsa_next_free_vgpr 1
		.amdhsa_next_free_sgpr 0
		.amdhsa_accum_offset 4
		.amdhsa_reserve_vcc 0
		.amdhsa_reserve_flat_scratch 0
		.amdhsa_float_round_mode_32 0
		.amdhsa_float_round_mode_16_64 0
		.amdhsa_float_denorm_mode_32 3
		.amdhsa_float_denorm_mode_16_64 3
		.amdhsa_dx10_clamp 1
		.amdhsa_ieee_mode 1
		.amdhsa_fp16_overflow 0
		.amdhsa_tg_split 0
		.amdhsa_exception_fp_ieee_invalid_op 0
		.amdhsa_exception_fp_denorm_src 0
		.amdhsa_exception_fp_ieee_div_zero 0
		.amdhsa_exception_fp_ieee_overflow 0
		.amdhsa_exception_fp_ieee_underflow 0
		.amdhsa_exception_fp_ieee_inexact 0
		.amdhsa_exception_int_div_zero 0
	.end_amdhsa_kernel
	.section	.text._ZN7rocprim17ROCPRIM_400000_NS6detail17trampoline_kernelINS0_14default_configENS1_25transform_config_selectorImLb1EEEZNS1_14transform_implILb1ES3_S5_PmS7_NS0_8identityIvEEEE10hipError_tT2_T3_mT4_P12ihipStream_tbEUlT_E_NS1_11comp_targetILNS1_3genE10ELNS1_11target_archE1201ELNS1_3gpuE5ELNS1_3repE0EEENS1_30default_config_static_selectorELNS0_4arch9wavefront6targetE1EEEvT1_,"axG",@progbits,_ZN7rocprim17ROCPRIM_400000_NS6detail17trampoline_kernelINS0_14default_configENS1_25transform_config_selectorImLb1EEEZNS1_14transform_implILb1ES3_S5_PmS7_NS0_8identityIvEEEE10hipError_tT2_T3_mT4_P12ihipStream_tbEUlT_E_NS1_11comp_targetILNS1_3genE10ELNS1_11target_archE1201ELNS1_3gpuE5ELNS1_3repE0EEENS1_30default_config_static_selectorELNS0_4arch9wavefront6targetE1EEEvT1_,comdat
.Lfunc_end170:
	.size	_ZN7rocprim17ROCPRIM_400000_NS6detail17trampoline_kernelINS0_14default_configENS1_25transform_config_selectorImLb1EEEZNS1_14transform_implILb1ES3_S5_PmS7_NS0_8identityIvEEEE10hipError_tT2_T3_mT4_P12ihipStream_tbEUlT_E_NS1_11comp_targetILNS1_3genE10ELNS1_11target_archE1201ELNS1_3gpuE5ELNS1_3repE0EEENS1_30default_config_static_selectorELNS0_4arch9wavefront6targetE1EEEvT1_, .Lfunc_end170-_ZN7rocprim17ROCPRIM_400000_NS6detail17trampoline_kernelINS0_14default_configENS1_25transform_config_selectorImLb1EEEZNS1_14transform_implILb1ES3_S5_PmS7_NS0_8identityIvEEEE10hipError_tT2_T3_mT4_P12ihipStream_tbEUlT_E_NS1_11comp_targetILNS1_3genE10ELNS1_11target_archE1201ELNS1_3gpuE5ELNS1_3repE0EEENS1_30default_config_static_selectorELNS0_4arch9wavefront6targetE1EEEvT1_
                                        ; -- End function
	.section	.AMDGPU.csdata,"",@progbits
; Kernel info:
; codeLenInByte = 0
; NumSgprs: 4
; NumVgprs: 0
; NumAgprs: 0
; TotalNumVgprs: 0
; ScratchSize: 0
; MemoryBound: 0
; FloatMode: 240
; IeeeMode: 1
; LDSByteSize: 0 bytes/workgroup (compile time only)
; SGPRBlocks: 0
; VGPRBlocks: 0
; NumSGPRsForWavesPerEU: 4
; NumVGPRsForWavesPerEU: 1
; AccumOffset: 4
; Occupancy: 8
; WaveLimiterHint : 0
; COMPUTE_PGM_RSRC2:SCRATCH_EN: 0
; COMPUTE_PGM_RSRC2:USER_SGPR: 6
; COMPUTE_PGM_RSRC2:TRAP_HANDLER: 0
; COMPUTE_PGM_RSRC2:TGID_X_EN: 1
; COMPUTE_PGM_RSRC2:TGID_Y_EN: 0
; COMPUTE_PGM_RSRC2:TGID_Z_EN: 0
; COMPUTE_PGM_RSRC2:TIDIG_COMP_CNT: 0
; COMPUTE_PGM_RSRC3_GFX90A:ACCUM_OFFSET: 0
; COMPUTE_PGM_RSRC3_GFX90A:TG_SPLIT: 0
	.section	.text._ZN7rocprim17ROCPRIM_400000_NS6detail17trampoline_kernelINS0_14default_configENS1_25transform_config_selectorImLb1EEEZNS1_14transform_implILb1ES3_S5_PmS7_NS0_8identityIvEEEE10hipError_tT2_T3_mT4_P12ihipStream_tbEUlT_E_NS1_11comp_targetILNS1_3genE5ELNS1_11target_archE942ELNS1_3gpuE9ELNS1_3repE0EEENS1_30default_config_static_selectorELNS0_4arch9wavefront6targetE1EEEvT1_,"axG",@progbits,_ZN7rocprim17ROCPRIM_400000_NS6detail17trampoline_kernelINS0_14default_configENS1_25transform_config_selectorImLb1EEEZNS1_14transform_implILb1ES3_S5_PmS7_NS0_8identityIvEEEE10hipError_tT2_T3_mT4_P12ihipStream_tbEUlT_E_NS1_11comp_targetILNS1_3genE5ELNS1_11target_archE942ELNS1_3gpuE9ELNS1_3repE0EEENS1_30default_config_static_selectorELNS0_4arch9wavefront6targetE1EEEvT1_,comdat
	.protected	_ZN7rocprim17ROCPRIM_400000_NS6detail17trampoline_kernelINS0_14default_configENS1_25transform_config_selectorImLb1EEEZNS1_14transform_implILb1ES3_S5_PmS7_NS0_8identityIvEEEE10hipError_tT2_T3_mT4_P12ihipStream_tbEUlT_E_NS1_11comp_targetILNS1_3genE5ELNS1_11target_archE942ELNS1_3gpuE9ELNS1_3repE0EEENS1_30default_config_static_selectorELNS0_4arch9wavefront6targetE1EEEvT1_ ; -- Begin function _ZN7rocprim17ROCPRIM_400000_NS6detail17trampoline_kernelINS0_14default_configENS1_25transform_config_selectorImLb1EEEZNS1_14transform_implILb1ES3_S5_PmS7_NS0_8identityIvEEEE10hipError_tT2_T3_mT4_P12ihipStream_tbEUlT_E_NS1_11comp_targetILNS1_3genE5ELNS1_11target_archE942ELNS1_3gpuE9ELNS1_3repE0EEENS1_30default_config_static_selectorELNS0_4arch9wavefront6targetE1EEEvT1_
	.globl	_ZN7rocprim17ROCPRIM_400000_NS6detail17trampoline_kernelINS0_14default_configENS1_25transform_config_selectorImLb1EEEZNS1_14transform_implILb1ES3_S5_PmS7_NS0_8identityIvEEEE10hipError_tT2_T3_mT4_P12ihipStream_tbEUlT_E_NS1_11comp_targetILNS1_3genE5ELNS1_11target_archE942ELNS1_3gpuE9ELNS1_3repE0EEENS1_30default_config_static_selectorELNS0_4arch9wavefront6targetE1EEEvT1_
	.p2align	8
	.type	_ZN7rocprim17ROCPRIM_400000_NS6detail17trampoline_kernelINS0_14default_configENS1_25transform_config_selectorImLb1EEEZNS1_14transform_implILb1ES3_S5_PmS7_NS0_8identityIvEEEE10hipError_tT2_T3_mT4_P12ihipStream_tbEUlT_E_NS1_11comp_targetILNS1_3genE5ELNS1_11target_archE942ELNS1_3gpuE9ELNS1_3repE0EEENS1_30default_config_static_selectorELNS0_4arch9wavefront6targetE1EEEvT1_,@function
_ZN7rocprim17ROCPRIM_400000_NS6detail17trampoline_kernelINS0_14default_configENS1_25transform_config_selectorImLb1EEEZNS1_14transform_implILb1ES3_S5_PmS7_NS0_8identityIvEEEE10hipError_tT2_T3_mT4_P12ihipStream_tbEUlT_E_NS1_11comp_targetILNS1_3genE5ELNS1_11target_archE942ELNS1_3gpuE9ELNS1_3repE0EEENS1_30default_config_static_selectorELNS0_4arch9wavefront6targetE1EEEvT1_: ; @_ZN7rocprim17ROCPRIM_400000_NS6detail17trampoline_kernelINS0_14default_configENS1_25transform_config_selectorImLb1EEEZNS1_14transform_implILb1ES3_S5_PmS7_NS0_8identityIvEEEE10hipError_tT2_T3_mT4_P12ihipStream_tbEUlT_E_NS1_11comp_targetILNS1_3genE5ELNS1_11target_archE942ELNS1_3gpuE9ELNS1_3repE0EEENS1_30default_config_static_selectorELNS0_4arch9wavefront6targetE1EEEvT1_
; %bb.0:
	.section	.rodata,"a",@progbits
	.p2align	6, 0x0
	.amdhsa_kernel _ZN7rocprim17ROCPRIM_400000_NS6detail17trampoline_kernelINS0_14default_configENS1_25transform_config_selectorImLb1EEEZNS1_14transform_implILb1ES3_S5_PmS7_NS0_8identityIvEEEE10hipError_tT2_T3_mT4_P12ihipStream_tbEUlT_E_NS1_11comp_targetILNS1_3genE5ELNS1_11target_archE942ELNS1_3gpuE9ELNS1_3repE0EEENS1_30default_config_static_selectorELNS0_4arch9wavefront6targetE1EEEvT1_
		.amdhsa_group_segment_fixed_size 0
		.amdhsa_private_segment_fixed_size 0
		.amdhsa_kernarg_size 40
		.amdhsa_user_sgpr_count 6
		.amdhsa_user_sgpr_private_segment_buffer 1
		.amdhsa_user_sgpr_dispatch_ptr 0
		.amdhsa_user_sgpr_queue_ptr 0
		.amdhsa_user_sgpr_kernarg_segment_ptr 1
		.amdhsa_user_sgpr_dispatch_id 0
		.amdhsa_user_sgpr_flat_scratch_init 0
		.amdhsa_user_sgpr_kernarg_preload_length 0
		.amdhsa_user_sgpr_kernarg_preload_offset 0
		.amdhsa_user_sgpr_private_segment_size 0
		.amdhsa_uses_dynamic_stack 0
		.amdhsa_system_sgpr_private_segment_wavefront_offset 0
		.amdhsa_system_sgpr_workgroup_id_x 1
		.amdhsa_system_sgpr_workgroup_id_y 0
		.amdhsa_system_sgpr_workgroup_id_z 0
		.amdhsa_system_sgpr_workgroup_info 0
		.amdhsa_system_vgpr_workitem_id 0
		.amdhsa_next_free_vgpr 1
		.amdhsa_next_free_sgpr 0
		.amdhsa_accum_offset 4
		.amdhsa_reserve_vcc 0
		.amdhsa_reserve_flat_scratch 0
		.amdhsa_float_round_mode_32 0
		.amdhsa_float_round_mode_16_64 0
		.amdhsa_float_denorm_mode_32 3
		.amdhsa_float_denorm_mode_16_64 3
		.amdhsa_dx10_clamp 1
		.amdhsa_ieee_mode 1
		.amdhsa_fp16_overflow 0
		.amdhsa_tg_split 0
		.amdhsa_exception_fp_ieee_invalid_op 0
		.amdhsa_exception_fp_denorm_src 0
		.amdhsa_exception_fp_ieee_div_zero 0
		.amdhsa_exception_fp_ieee_overflow 0
		.amdhsa_exception_fp_ieee_underflow 0
		.amdhsa_exception_fp_ieee_inexact 0
		.amdhsa_exception_int_div_zero 0
	.end_amdhsa_kernel
	.section	.text._ZN7rocprim17ROCPRIM_400000_NS6detail17trampoline_kernelINS0_14default_configENS1_25transform_config_selectorImLb1EEEZNS1_14transform_implILb1ES3_S5_PmS7_NS0_8identityIvEEEE10hipError_tT2_T3_mT4_P12ihipStream_tbEUlT_E_NS1_11comp_targetILNS1_3genE5ELNS1_11target_archE942ELNS1_3gpuE9ELNS1_3repE0EEENS1_30default_config_static_selectorELNS0_4arch9wavefront6targetE1EEEvT1_,"axG",@progbits,_ZN7rocprim17ROCPRIM_400000_NS6detail17trampoline_kernelINS0_14default_configENS1_25transform_config_selectorImLb1EEEZNS1_14transform_implILb1ES3_S5_PmS7_NS0_8identityIvEEEE10hipError_tT2_T3_mT4_P12ihipStream_tbEUlT_E_NS1_11comp_targetILNS1_3genE5ELNS1_11target_archE942ELNS1_3gpuE9ELNS1_3repE0EEENS1_30default_config_static_selectorELNS0_4arch9wavefront6targetE1EEEvT1_,comdat
.Lfunc_end171:
	.size	_ZN7rocprim17ROCPRIM_400000_NS6detail17trampoline_kernelINS0_14default_configENS1_25transform_config_selectorImLb1EEEZNS1_14transform_implILb1ES3_S5_PmS7_NS0_8identityIvEEEE10hipError_tT2_T3_mT4_P12ihipStream_tbEUlT_E_NS1_11comp_targetILNS1_3genE5ELNS1_11target_archE942ELNS1_3gpuE9ELNS1_3repE0EEENS1_30default_config_static_selectorELNS0_4arch9wavefront6targetE1EEEvT1_, .Lfunc_end171-_ZN7rocprim17ROCPRIM_400000_NS6detail17trampoline_kernelINS0_14default_configENS1_25transform_config_selectorImLb1EEEZNS1_14transform_implILb1ES3_S5_PmS7_NS0_8identityIvEEEE10hipError_tT2_T3_mT4_P12ihipStream_tbEUlT_E_NS1_11comp_targetILNS1_3genE5ELNS1_11target_archE942ELNS1_3gpuE9ELNS1_3repE0EEENS1_30default_config_static_selectorELNS0_4arch9wavefront6targetE1EEEvT1_
                                        ; -- End function
	.section	.AMDGPU.csdata,"",@progbits
; Kernel info:
; codeLenInByte = 0
; NumSgprs: 4
; NumVgprs: 0
; NumAgprs: 0
; TotalNumVgprs: 0
; ScratchSize: 0
; MemoryBound: 0
; FloatMode: 240
; IeeeMode: 1
; LDSByteSize: 0 bytes/workgroup (compile time only)
; SGPRBlocks: 0
; VGPRBlocks: 0
; NumSGPRsForWavesPerEU: 4
; NumVGPRsForWavesPerEU: 1
; AccumOffset: 4
; Occupancy: 8
; WaveLimiterHint : 0
; COMPUTE_PGM_RSRC2:SCRATCH_EN: 0
; COMPUTE_PGM_RSRC2:USER_SGPR: 6
; COMPUTE_PGM_RSRC2:TRAP_HANDLER: 0
; COMPUTE_PGM_RSRC2:TGID_X_EN: 1
; COMPUTE_PGM_RSRC2:TGID_Y_EN: 0
; COMPUTE_PGM_RSRC2:TGID_Z_EN: 0
; COMPUTE_PGM_RSRC2:TIDIG_COMP_CNT: 0
; COMPUTE_PGM_RSRC3_GFX90A:ACCUM_OFFSET: 0
; COMPUTE_PGM_RSRC3_GFX90A:TG_SPLIT: 0
	.section	.text._ZN7rocprim17ROCPRIM_400000_NS6detail17trampoline_kernelINS0_14default_configENS1_25transform_config_selectorImLb1EEEZNS1_14transform_implILb1ES3_S5_PmS7_NS0_8identityIvEEEE10hipError_tT2_T3_mT4_P12ihipStream_tbEUlT_E_NS1_11comp_targetILNS1_3genE4ELNS1_11target_archE910ELNS1_3gpuE8ELNS1_3repE0EEENS1_30default_config_static_selectorELNS0_4arch9wavefront6targetE1EEEvT1_,"axG",@progbits,_ZN7rocprim17ROCPRIM_400000_NS6detail17trampoline_kernelINS0_14default_configENS1_25transform_config_selectorImLb1EEEZNS1_14transform_implILb1ES3_S5_PmS7_NS0_8identityIvEEEE10hipError_tT2_T3_mT4_P12ihipStream_tbEUlT_E_NS1_11comp_targetILNS1_3genE4ELNS1_11target_archE910ELNS1_3gpuE8ELNS1_3repE0EEENS1_30default_config_static_selectorELNS0_4arch9wavefront6targetE1EEEvT1_,comdat
	.protected	_ZN7rocprim17ROCPRIM_400000_NS6detail17trampoline_kernelINS0_14default_configENS1_25transform_config_selectorImLb1EEEZNS1_14transform_implILb1ES3_S5_PmS7_NS0_8identityIvEEEE10hipError_tT2_T3_mT4_P12ihipStream_tbEUlT_E_NS1_11comp_targetILNS1_3genE4ELNS1_11target_archE910ELNS1_3gpuE8ELNS1_3repE0EEENS1_30default_config_static_selectorELNS0_4arch9wavefront6targetE1EEEvT1_ ; -- Begin function _ZN7rocprim17ROCPRIM_400000_NS6detail17trampoline_kernelINS0_14default_configENS1_25transform_config_selectorImLb1EEEZNS1_14transform_implILb1ES3_S5_PmS7_NS0_8identityIvEEEE10hipError_tT2_T3_mT4_P12ihipStream_tbEUlT_E_NS1_11comp_targetILNS1_3genE4ELNS1_11target_archE910ELNS1_3gpuE8ELNS1_3repE0EEENS1_30default_config_static_selectorELNS0_4arch9wavefront6targetE1EEEvT1_
	.globl	_ZN7rocprim17ROCPRIM_400000_NS6detail17trampoline_kernelINS0_14default_configENS1_25transform_config_selectorImLb1EEEZNS1_14transform_implILb1ES3_S5_PmS7_NS0_8identityIvEEEE10hipError_tT2_T3_mT4_P12ihipStream_tbEUlT_E_NS1_11comp_targetILNS1_3genE4ELNS1_11target_archE910ELNS1_3gpuE8ELNS1_3repE0EEENS1_30default_config_static_selectorELNS0_4arch9wavefront6targetE1EEEvT1_
	.p2align	8
	.type	_ZN7rocprim17ROCPRIM_400000_NS6detail17trampoline_kernelINS0_14default_configENS1_25transform_config_selectorImLb1EEEZNS1_14transform_implILb1ES3_S5_PmS7_NS0_8identityIvEEEE10hipError_tT2_T3_mT4_P12ihipStream_tbEUlT_E_NS1_11comp_targetILNS1_3genE4ELNS1_11target_archE910ELNS1_3gpuE8ELNS1_3repE0EEENS1_30default_config_static_selectorELNS0_4arch9wavefront6targetE1EEEvT1_,@function
_ZN7rocprim17ROCPRIM_400000_NS6detail17trampoline_kernelINS0_14default_configENS1_25transform_config_selectorImLb1EEEZNS1_14transform_implILb1ES3_S5_PmS7_NS0_8identityIvEEEE10hipError_tT2_T3_mT4_P12ihipStream_tbEUlT_E_NS1_11comp_targetILNS1_3genE4ELNS1_11target_archE910ELNS1_3gpuE8ELNS1_3repE0EEENS1_30default_config_static_selectorELNS0_4arch9wavefront6targetE1EEEvT1_: ; @_ZN7rocprim17ROCPRIM_400000_NS6detail17trampoline_kernelINS0_14default_configENS1_25transform_config_selectorImLb1EEEZNS1_14transform_implILb1ES3_S5_PmS7_NS0_8identityIvEEEE10hipError_tT2_T3_mT4_P12ihipStream_tbEUlT_E_NS1_11comp_targetILNS1_3genE4ELNS1_11target_archE910ELNS1_3gpuE8ELNS1_3repE0EEENS1_30default_config_static_selectorELNS0_4arch9wavefront6targetE1EEEvT1_
; %bb.0:
	s_load_dwordx8 s[8:15], s[4:5], 0x0
	s_load_dword s2, s[4:5], 0x28
	s_waitcnt lgkmcnt(0)
	s_lshl_b64 s[0:1], s[10:11], 3
	s_add_u32 s4, s8, s0
	s_addc_u32 s5, s9, s1
	s_add_u32 s8, s14, s0
	s_addc_u32 s9, s15, s1
	s_lshl_b32 s0, s6, 11
	s_mov_b32 s1, 0
	s_add_i32 s7, s2, -1
	s_lshl_b64 s[2:3], s[0:1], 3
	s_add_u32 s4, s4, s2
	s_addc_u32 s5, s5, s3
	s_cmp_lg_u32 s6, s7
	s_mov_b64 s[6:7], -1
	s_cbranch_scc0 .LBB172_2
; %bb.1:
	v_lshlrev_b32_e32 v1, 4, v0
	global_load_dwordx4 v[2:5], v1, s[4:5]
	s_add_u32 s6, s8, s2
	s_addc_u32 s7, s9, s3
	s_waitcnt vmcnt(0)
	global_store_dwordx4 v1, v[2:5], s[6:7]
	s_mov_b64 s[6:7], 0
.LBB172_2:
	s_andn2_b64 vcc, exec, s[6:7]
	s_cbranch_vccnz .LBB172_11
; %bb.3:
	s_sub_i32 s6, s12, s0
	v_cmp_gt_u32_e32 vcc, s6, v0
	v_lshlrev_b32_e32 v1, 3, v0
                                        ; implicit-def: $vgpr2_vgpr3_vgpr4_vgpr5
	s_and_saveexec_b64 s[0:1], vcc
	s_cbranch_execz .LBB172_5
; %bb.4:
	global_load_dwordx2 v[2:3], v1, s[4:5]
.LBB172_5:
	s_or_b64 exec, exec, s[0:1]
	v_or_b32_e32 v0, 0x400, v0
	v_cmp_gt_u32_e64 s[0:1], s6, v0
	s_and_saveexec_b64 s[6:7], s[0:1]
	s_cbranch_execz .LBB172_7
; %bb.6:
	v_lshlrev_b32_e32 v0, 3, v0
	global_load_dwordx2 v[4:5], v0, s[4:5]
.LBB172_7:
	s_or_b64 exec, exec, s[6:7]
	s_add_u32 s2, s8, s2
	s_addc_u32 s3, s9, s3
	v_mov_b32_e32 v6, s3
	v_add_co_u32_e64 v0, s[2:3], s2, v1
	v_addc_co_u32_e64 v1, s[2:3], 0, v6, s[2:3]
	s_and_saveexec_b64 s[2:3], vcc
	s_cbranch_execz .LBB172_9
; %bb.8:
	s_waitcnt vmcnt(0)
	global_store_dwordx2 v[0:1], v[2:3], off
.LBB172_9:
	s_or_b64 exec, exec, s[2:3]
	s_and_saveexec_b64 s[2:3], s[0:1]
	s_cbranch_execz .LBB172_11
; %bb.10:
	v_add_co_u32_e32 v0, vcc, 0x2000, v0
	v_addc_co_u32_e32 v1, vcc, 0, v1, vcc
	s_waitcnt vmcnt(0)
	global_store_dwordx2 v[0:1], v[4:5], off
.LBB172_11:
	s_endpgm
	.section	.rodata,"a",@progbits
	.p2align	6, 0x0
	.amdhsa_kernel _ZN7rocprim17ROCPRIM_400000_NS6detail17trampoline_kernelINS0_14default_configENS1_25transform_config_selectorImLb1EEEZNS1_14transform_implILb1ES3_S5_PmS7_NS0_8identityIvEEEE10hipError_tT2_T3_mT4_P12ihipStream_tbEUlT_E_NS1_11comp_targetILNS1_3genE4ELNS1_11target_archE910ELNS1_3gpuE8ELNS1_3repE0EEENS1_30default_config_static_selectorELNS0_4arch9wavefront6targetE1EEEvT1_
		.amdhsa_group_segment_fixed_size 0
		.amdhsa_private_segment_fixed_size 0
		.amdhsa_kernarg_size 296
		.amdhsa_user_sgpr_count 6
		.amdhsa_user_sgpr_private_segment_buffer 1
		.amdhsa_user_sgpr_dispatch_ptr 0
		.amdhsa_user_sgpr_queue_ptr 0
		.amdhsa_user_sgpr_kernarg_segment_ptr 1
		.amdhsa_user_sgpr_dispatch_id 0
		.amdhsa_user_sgpr_flat_scratch_init 0
		.amdhsa_user_sgpr_kernarg_preload_length 0
		.amdhsa_user_sgpr_kernarg_preload_offset 0
		.amdhsa_user_sgpr_private_segment_size 0
		.amdhsa_uses_dynamic_stack 0
		.amdhsa_system_sgpr_private_segment_wavefront_offset 0
		.amdhsa_system_sgpr_workgroup_id_x 1
		.amdhsa_system_sgpr_workgroup_id_y 0
		.amdhsa_system_sgpr_workgroup_id_z 0
		.amdhsa_system_sgpr_workgroup_info 0
		.amdhsa_system_vgpr_workitem_id 0
		.amdhsa_next_free_vgpr 7
		.amdhsa_next_free_sgpr 16
		.amdhsa_accum_offset 8
		.amdhsa_reserve_vcc 1
		.amdhsa_reserve_flat_scratch 0
		.amdhsa_float_round_mode_32 0
		.amdhsa_float_round_mode_16_64 0
		.amdhsa_float_denorm_mode_32 3
		.amdhsa_float_denorm_mode_16_64 3
		.amdhsa_dx10_clamp 1
		.amdhsa_ieee_mode 1
		.amdhsa_fp16_overflow 0
		.amdhsa_tg_split 0
		.amdhsa_exception_fp_ieee_invalid_op 0
		.amdhsa_exception_fp_denorm_src 0
		.amdhsa_exception_fp_ieee_div_zero 0
		.amdhsa_exception_fp_ieee_overflow 0
		.amdhsa_exception_fp_ieee_underflow 0
		.amdhsa_exception_fp_ieee_inexact 0
		.amdhsa_exception_int_div_zero 0
	.end_amdhsa_kernel
	.section	.text._ZN7rocprim17ROCPRIM_400000_NS6detail17trampoline_kernelINS0_14default_configENS1_25transform_config_selectorImLb1EEEZNS1_14transform_implILb1ES3_S5_PmS7_NS0_8identityIvEEEE10hipError_tT2_T3_mT4_P12ihipStream_tbEUlT_E_NS1_11comp_targetILNS1_3genE4ELNS1_11target_archE910ELNS1_3gpuE8ELNS1_3repE0EEENS1_30default_config_static_selectorELNS0_4arch9wavefront6targetE1EEEvT1_,"axG",@progbits,_ZN7rocprim17ROCPRIM_400000_NS6detail17trampoline_kernelINS0_14default_configENS1_25transform_config_selectorImLb1EEEZNS1_14transform_implILb1ES3_S5_PmS7_NS0_8identityIvEEEE10hipError_tT2_T3_mT4_P12ihipStream_tbEUlT_E_NS1_11comp_targetILNS1_3genE4ELNS1_11target_archE910ELNS1_3gpuE8ELNS1_3repE0EEENS1_30default_config_static_selectorELNS0_4arch9wavefront6targetE1EEEvT1_,comdat
.Lfunc_end172:
	.size	_ZN7rocprim17ROCPRIM_400000_NS6detail17trampoline_kernelINS0_14default_configENS1_25transform_config_selectorImLb1EEEZNS1_14transform_implILb1ES3_S5_PmS7_NS0_8identityIvEEEE10hipError_tT2_T3_mT4_P12ihipStream_tbEUlT_E_NS1_11comp_targetILNS1_3genE4ELNS1_11target_archE910ELNS1_3gpuE8ELNS1_3repE0EEENS1_30default_config_static_selectorELNS0_4arch9wavefront6targetE1EEEvT1_, .Lfunc_end172-_ZN7rocprim17ROCPRIM_400000_NS6detail17trampoline_kernelINS0_14default_configENS1_25transform_config_selectorImLb1EEEZNS1_14transform_implILb1ES3_S5_PmS7_NS0_8identityIvEEEE10hipError_tT2_T3_mT4_P12ihipStream_tbEUlT_E_NS1_11comp_targetILNS1_3genE4ELNS1_11target_archE910ELNS1_3gpuE8ELNS1_3repE0EEENS1_30default_config_static_selectorELNS0_4arch9wavefront6targetE1EEEvT1_
                                        ; -- End function
	.section	.AMDGPU.csdata,"",@progbits
; Kernel info:
; codeLenInByte = 280
; NumSgprs: 20
; NumVgprs: 7
; NumAgprs: 0
; TotalNumVgprs: 7
; ScratchSize: 0
; MemoryBound: 1
; FloatMode: 240
; IeeeMode: 1
; LDSByteSize: 0 bytes/workgroup (compile time only)
; SGPRBlocks: 2
; VGPRBlocks: 0
; NumSGPRsForWavesPerEU: 20
; NumVGPRsForWavesPerEU: 7
; AccumOffset: 8
; Occupancy: 8
; WaveLimiterHint : 0
; COMPUTE_PGM_RSRC2:SCRATCH_EN: 0
; COMPUTE_PGM_RSRC2:USER_SGPR: 6
; COMPUTE_PGM_RSRC2:TRAP_HANDLER: 0
; COMPUTE_PGM_RSRC2:TGID_X_EN: 1
; COMPUTE_PGM_RSRC2:TGID_Y_EN: 0
; COMPUTE_PGM_RSRC2:TGID_Z_EN: 0
; COMPUTE_PGM_RSRC2:TIDIG_COMP_CNT: 0
; COMPUTE_PGM_RSRC3_GFX90A:ACCUM_OFFSET: 1
; COMPUTE_PGM_RSRC3_GFX90A:TG_SPLIT: 0
	.section	.text._ZN7rocprim17ROCPRIM_400000_NS6detail17trampoline_kernelINS0_14default_configENS1_25transform_config_selectorImLb1EEEZNS1_14transform_implILb1ES3_S5_PmS7_NS0_8identityIvEEEE10hipError_tT2_T3_mT4_P12ihipStream_tbEUlT_E_NS1_11comp_targetILNS1_3genE3ELNS1_11target_archE908ELNS1_3gpuE7ELNS1_3repE0EEENS1_30default_config_static_selectorELNS0_4arch9wavefront6targetE1EEEvT1_,"axG",@progbits,_ZN7rocprim17ROCPRIM_400000_NS6detail17trampoline_kernelINS0_14default_configENS1_25transform_config_selectorImLb1EEEZNS1_14transform_implILb1ES3_S5_PmS7_NS0_8identityIvEEEE10hipError_tT2_T3_mT4_P12ihipStream_tbEUlT_E_NS1_11comp_targetILNS1_3genE3ELNS1_11target_archE908ELNS1_3gpuE7ELNS1_3repE0EEENS1_30default_config_static_selectorELNS0_4arch9wavefront6targetE1EEEvT1_,comdat
	.protected	_ZN7rocprim17ROCPRIM_400000_NS6detail17trampoline_kernelINS0_14default_configENS1_25transform_config_selectorImLb1EEEZNS1_14transform_implILb1ES3_S5_PmS7_NS0_8identityIvEEEE10hipError_tT2_T3_mT4_P12ihipStream_tbEUlT_E_NS1_11comp_targetILNS1_3genE3ELNS1_11target_archE908ELNS1_3gpuE7ELNS1_3repE0EEENS1_30default_config_static_selectorELNS0_4arch9wavefront6targetE1EEEvT1_ ; -- Begin function _ZN7rocprim17ROCPRIM_400000_NS6detail17trampoline_kernelINS0_14default_configENS1_25transform_config_selectorImLb1EEEZNS1_14transform_implILb1ES3_S5_PmS7_NS0_8identityIvEEEE10hipError_tT2_T3_mT4_P12ihipStream_tbEUlT_E_NS1_11comp_targetILNS1_3genE3ELNS1_11target_archE908ELNS1_3gpuE7ELNS1_3repE0EEENS1_30default_config_static_selectorELNS0_4arch9wavefront6targetE1EEEvT1_
	.globl	_ZN7rocprim17ROCPRIM_400000_NS6detail17trampoline_kernelINS0_14default_configENS1_25transform_config_selectorImLb1EEEZNS1_14transform_implILb1ES3_S5_PmS7_NS0_8identityIvEEEE10hipError_tT2_T3_mT4_P12ihipStream_tbEUlT_E_NS1_11comp_targetILNS1_3genE3ELNS1_11target_archE908ELNS1_3gpuE7ELNS1_3repE0EEENS1_30default_config_static_selectorELNS0_4arch9wavefront6targetE1EEEvT1_
	.p2align	8
	.type	_ZN7rocprim17ROCPRIM_400000_NS6detail17trampoline_kernelINS0_14default_configENS1_25transform_config_selectorImLb1EEEZNS1_14transform_implILb1ES3_S5_PmS7_NS0_8identityIvEEEE10hipError_tT2_T3_mT4_P12ihipStream_tbEUlT_E_NS1_11comp_targetILNS1_3genE3ELNS1_11target_archE908ELNS1_3gpuE7ELNS1_3repE0EEENS1_30default_config_static_selectorELNS0_4arch9wavefront6targetE1EEEvT1_,@function
_ZN7rocprim17ROCPRIM_400000_NS6detail17trampoline_kernelINS0_14default_configENS1_25transform_config_selectorImLb1EEEZNS1_14transform_implILb1ES3_S5_PmS7_NS0_8identityIvEEEE10hipError_tT2_T3_mT4_P12ihipStream_tbEUlT_E_NS1_11comp_targetILNS1_3genE3ELNS1_11target_archE908ELNS1_3gpuE7ELNS1_3repE0EEENS1_30default_config_static_selectorELNS0_4arch9wavefront6targetE1EEEvT1_: ; @_ZN7rocprim17ROCPRIM_400000_NS6detail17trampoline_kernelINS0_14default_configENS1_25transform_config_selectorImLb1EEEZNS1_14transform_implILb1ES3_S5_PmS7_NS0_8identityIvEEEE10hipError_tT2_T3_mT4_P12ihipStream_tbEUlT_E_NS1_11comp_targetILNS1_3genE3ELNS1_11target_archE908ELNS1_3gpuE7ELNS1_3repE0EEENS1_30default_config_static_selectorELNS0_4arch9wavefront6targetE1EEEvT1_
; %bb.0:
	.section	.rodata,"a",@progbits
	.p2align	6, 0x0
	.amdhsa_kernel _ZN7rocprim17ROCPRIM_400000_NS6detail17trampoline_kernelINS0_14default_configENS1_25transform_config_selectorImLb1EEEZNS1_14transform_implILb1ES3_S5_PmS7_NS0_8identityIvEEEE10hipError_tT2_T3_mT4_P12ihipStream_tbEUlT_E_NS1_11comp_targetILNS1_3genE3ELNS1_11target_archE908ELNS1_3gpuE7ELNS1_3repE0EEENS1_30default_config_static_selectorELNS0_4arch9wavefront6targetE1EEEvT1_
		.amdhsa_group_segment_fixed_size 0
		.amdhsa_private_segment_fixed_size 0
		.amdhsa_kernarg_size 40
		.amdhsa_user_sgpr_count 6
		.amdhsa_user_sgpr_private_segment_buffer 1
		.amdhsa_user_sgpr_dispatch_ptr 0
		.amdhsa_user_sgpr_queue_ptr 0
		.amdhsa_user_sgpr_kernarg_segment_ptr 1
		.amdhsa_user_sgpr_dispatch_id 0
		.amdhsa_user_sgpr_flat_scratch_init 0
		.amdhsa_user_sgpr_kernarg_preload_length 0
		.amdhsa_user_sgpr_kernarg_preload_offset 0
		.amdhsa_user_sgpr_private_segment_size 0
		.amdhsa_uses_dynamic_stack 0
		.amdhsa_system_sgpr_private_segment_wavefront_offset 0
		.amdhsa_system_sgpr_workgroup_id_x 1
		.amdhsa_system_sgpr_workgroup_id_y 0
		.amdhsa_system_sgpr_workgroup_id_z 0
		.amdhsa_system_sgpr_workgroup_info 0
		.amdhsa_system_vgpr_workitem_id 0
		.amdhsa_next_free_vgpr 1
		.amdhsa_next_free_sgpr 0
		.amdhsa_accum_offset 4
		.amdhsa_reserve_vcc 0
		.amdhsa_reserve_flat_scratch 0
		.amdhsa_float_round_mode_32 0
		.amdhsa_float_round_mode_16_64 0
		.amdhsa_float_denorm_mode_32 3
		.amdhsa_float_denorm_mode_16_64 3
		.amdhsa_dx10_clamp 1
		.amdhsa_ieee_mode 1
		.amdhsa_fp16_overflow 0
		.amdhsa_tg_split 0
		.amdhsa_exception_fp_ieee_invalid_op 0
		.amdhsa_exception_fp_denorm_src 0
		.amdhsa_exception_fp_ieee_div_zero 0
		.amdhsa_exception_fp_ieee_overflow 0
		.amdhsa_exception_fp_ieee_underflow 0
		.amdhsa_exception_fp_ieee_inexact 0
		.amdhsa_exception_int_div_zero 0
	.end_amdhsa_kernel
	.section	.text._ZN7rocprim17ROCPRIM_400000_NS6detail17trampoline_kernelINS0_14default_configENS1_25transform_config_selectorImLb1EEEZNS1_14transform_implILb1ES3_S5_PmS7_NS0_8identityIvEEEE10hipError_tT2_T3_mT4_P12ihipStream_tbEUlT_E_NS1_11comp_targetILNS1_3genE3ELNS1_11target_archE908ELNS1_3gpuE7ELNS1_3repE0EEENS1_30default_config_static_selectorELNS0_4arch9wavefront6targetE1EEEvT1_,"axG",@progbits,_ZN7rocprim17ROCPRIM_400000_NS6detail17trampoline_kernelINS0_14default_configENS1_25transform_config_selectorImLb1EEEZNS1_14transform_implILb1ES3_S5_PmS7_NS0_8identityIvEEEE10hipError_tT2_T3_mT4_P12ihipStream_tbEUlT_E_NS1_11comp_targetILNS1_3genE3ELNS1_11target_archE908ELNS1_3gpuE7ELNS1_3repE0EEENS1_30default_config_static_selectorELNS0_4arch9wavefront6targetE1EEEvT1_,comdat
.Lfunc_end173:
	.size	_ZN7rocprim17ROCPRIM_400000_NS6detail17trampoline_kernelINS0_14default_configENS1_25transform_config_selectorImLb1EEEZNS1_14transform_implILb1ES3_S5_PmS7_NS0_8identityIvEEEE10hipError_tT2_T3_mT4_P12ihipStream_tbEUlT_E_NS1_11comp_targetILNS1_3genE3ELNS1_11target_archE908ELNS1_3gpuE7ELNS1_3repE0EEENS1_30default_config_static_selectorELNS0_4arch9wavefront6targetE1EEEvT1_, .Lfunc_end173-_ZN7rocprim17ROCPRIM_400000_NS6detail17trampoline_kernelINS0_14default_configENS1_25transform_config_selectorImLb1EEEZNS1_14transform_implILb1ES3_S5_PmS7_NS0_8identityIvEEEE10hipError_tT2_T3_mT4_P12ihipStream_tbEUlT_E_NS1_11comp_targetILNS1_3genE3ELNS1_11target_archE908ELNS1_3gpuE7ELNS1_3repE0EEENS1_30default_config_static_selectorELNS0_4arch9wavefront6targetE1EEEvT1_
                                        ; -- End function
	.section	.AMDGPU.csdata,"",@progbits
; Kernel info:
; codeLenInByte = 0
; NumSgprs: 4
; NumVgprs: 0
; NumAgprs: 0
; TotalNumVgprs: 0
; ScratchSize: 0
; MemoryBound: 0
; FloatMode: 240
; IeeeMode: 1
; LDSByteSize: 0 bytes/workgroup (compile time only)
; SGPRBlocks: 0
; VGPRBlocks: 0
; NumSGPRsForWavesPerEU: 4
; NumVGPRsForWavesPerEU: 1
; AccumOffset: 4
; Occupancy: 8
; WaveLimiterHint : 0
; COMPUTE_PGM_RSRC2:SCRATCH_EN: 0
; COMPUTE_PGM_RSRC2:USER_SGPR: 6
; COMPUTE_PGM_RSRC2:TRAP_HANDLER: 0
; COMPUTE_PGM_RSRC2:TGID_X_EN: 1
; COMPUTE_PGM_RSRC2:TGID_Y_EN: 0
; COMPUTE_PGM_RSRC2:TGID_Z_EN: 0
; COMPUTE_PGM_RSRC2:TIDIG_COMP_CNT: 0
; COMPUTE_PGM_RSRC3_GFX90A:ACCUM_OFFSET: 0
; COMPUTE_PGM_RSRC3_GFX90A:TG_SPLIT: 0
	.section	.text._ZN7rocprim17ROCPRIM_400000_NS6detail17trampoline_kernelINS0_14default_configENS1_25transform_config_selectorImLb1EEEZNS1_14transform_implILb1ES3_S5_PmS7_NS0_8identityIvEEEE10hipError_tT2_T3_mT4_P12ihipStream_tbEUlT_E_NS1_11comp_targetILNS1_3genE2ELNS1_11target_archE906ELNS1_3gpuE6ELNS1_3repE0EEENS1_30default_config_static_selectorELNS0_4arch9wavefront6targetE1EEEvT1_,"axG",@progbits,_ZN7rocprim17ROCPRIM_400000_NS6detail17trampoline_kernelINS0_14default_configENS1_25transform_config_selectorImLb1EEEZNS1_14transform_implILb1ES3_S5_PmS7_NS0_8identityIvEEEE10hipError_tT2_T3_mT4_P12ihipStream_tbEUlT_E_NS1_11comp_targetILNS1_3genE2ELNS1_11target_archE906ELNS1_3gpuE6ELNS1_3repE0EEENS1_30default_config_static_selectorELNS0_4arch9wavefront6targetE1EEEvT1_,comdat
	.protected	_ZN7rocprim17ROCPRIM_400000_NS6detail17trampoline_kernelINS0_14default_configENS1_25transform_config_selectorImLb1EEEZNS1_14transform_implILb1ES3_S5_PmS7_NS0_8identityIvEEEE10hipError_tT2_T3_mT4_P12ihipStream_tbEUlT_E_NS1_11comp_targetILNS1_3genE2ELNS1_11target_archE906ELNS1_3gpuE6ELNS1_3repE0EEENS1_30default_config_static_selectorELNS0_4arch9wavefront6targetE1EEEvT1_ ; -- Begin function _ZN7rocprim17ROCPRIM_400000_NS6detail17trampoline_kernelINS0_14default_configENS1_25transform_config_selectorImLb1EEEZNS1_14transform_implILb1ES3_S5_PmS7_NS0_8identityIvEEEE10hipError_tT2_T3_mT4_P12ihipStream_tbEUlT_E_NS1_11comp_targetILNS1_3genE2ELNS1_11target_archE906ELNS1_3gpuE6ELNS1_3repE0EEENS1_30default_config_static_selectorELNS0_4arch9wavefront6targetE1EEEvT1_
	.globl	_ZN7rocprim17ROCPRIM_400000_NS6detail17trampoline_kernelINS0_14default_configENS1_25transform_config_selectorImLb1EEEZNS1_14transform_implILb1ES3_S5_PmS7_NS0_8identityIvEEEE10hipError_tT2_T3_mT4_P12ihipStream_tbEUlT_E_NS1_11comp_targetILNS1_3genE2ELNS1_11target_archE906ELNS1_3gpuE6ELNS1_3repE0EEENS1_30default_config_static_selectorELNS0_4arch9wavefront6targetE1EEEvT1_
	.p2align	8
	.type	_ZN7rocprim17ROCPRIM_400000_NS6detail17trampoline_kernelINS0_14default_configENS1_25transform_config_selectorImLb1EEEZNS1_14transform_implILb1ES3_S5_PmS7_NS0_8identityIvEEEE10hipError_tT2_T3_mT4_P12ihipStream_tbEUlT_E_NS1_11comp_targetILNS1_3genE2ELNS1_11target_archE906ELNS1_3gpuE6ELNS1_3repE0EEENS1_30default_config_static_selectorELNS0_4arch9wavefront6targetE1EEEvT1_,@function
_ZN7rocprim17ROCPRIM_400000_NS6detail17trampoline_kernelINS0_14default_configENS1_25transform_config_selectorImLb1EEEZNS1_14transform_implILb1ES3_S5_PmS7_NS0_8identityIvEEEE10hipError_tT2_T3_mT4_P12ihipStream_tbEUlT_E_NS1_11comp_targetILNS1_3genE2ELNS1_11target_archE906ELNS1_3gpuE6ELNS1_3repE0EEENS1_30default_config_static_selectorELNS0_4arch9wavefront6targetE1EEEvT1_: ; @_ZN7rocprim17ROCPRIM_400000_NS6detail17trampoline_kernelINS0_14default_configENS1_25transform_config_selectorImLb1EEEZNS1_14transform_implILb1ES3_S5_PmS7_NS0_8identityIvEEEE10hipError_tT2_T3_mT4_P12ihipStream_tbEUlT_E_NS1_11comp_targetILNS1_3genE2ELNS1_11target_archE906ELNS1_3gpuE6ELNS1_3repE0EEENS1_30default_config_static_selectorELNS0_4arch9wavefront6targetE1EEEvT1_
; %bb.0:
	.section	.rodata,"a",@progbits
	.p2align	6, 0x0
	.amdhsa_kernel _ZN7rocprim17ROCPRIM_400000_NS6detail17trampoline_kernelINS0_14default_configENS1_25transform_config_selectorImLb1EEEZNS1_14transform_implILb1ES3_S5_PmS7_NS0_8identityIvEEEE10hipError_tT2_T3_mT4_P12ihipStream_tbEUlT_E_NS1_11comp_targetILNS1_3genE2ELNS1_11target_archE906ELNS1_3gpuE6ELNS1_3repE0EEENS1_30default_config_static_selectorELNS0_4arch9wavefront6targetE1EEEvT1_
		.amdhsa_group_segment_fixed_size 0
		.amdhsa_private_segment_fixed_size 0
		.amdhsa_kernarg_size 40
		.amdhsa_user_sgpr_count 6
		.amdhsa_user_sgpr_private_segment_buffer 1
		.amdhsa_user_sgpr_dispatch_ptr 0
		.amdhsa_user_sgpr_queue_ptr 0
		.amdhsa_user_sgpr_kernarg_segment_ptr 1
		.amdhsa_user_sgpr_dispatch_id 0
		.amdhsa_user_sgpr_flat_scratch_init 0
		.amdhsa_user_sgpr_kernarg_preload_length 0
		.amdhsa_user_sgpr_kernarg_preload_offset 0
		.amdhsa_user_sgpr_private_segment_size 0
		.amdhsa_uses_dynamic_stack 0
		.amdhsa_system_sgpr_private_segment_wavefront_offset 0
		.amdhsa_system_sgpr_workgroup_id_x 1
		.amdhsa_system_sgpr_workgroup_id_y 0
		.amdhsa_system_sgpr_workgroup_id_z 0
		.amdhsa_system_sgpr_workgroup_info 0
		.amdhsa_system_vgpr_workitem_id 0
		.amdhsa_next_free_vgpr 1
		.amdhsa_next_free_sgpr 0
		.amdhsa_accum_offset 4
		.amdhsa_reserve_vcc 0
		.amdhsa_reserve_flat_scratch 0
		.amdhsa_float_round_mode_32 0
		.amdhsa_float_round_mode_16_64 0
		.amdhsa_float_denorm_mode_32 3
		.amdhsa_float_denorm_mode_16_64 3
		.amdhsa_dx10_clamp 1
		.amdhsa_ieee_mode 1
		.amdhsa_fp16_overflow 0
		.amdhsa_tg_split 0
		.amdhsa_exception_fp_ieee_invalid_op 0
		.amdhsa_exception_fp_denorm_src 0
		.amdhsa_exception_fp_ieee_div_zero 0
		.amdhsa_exception_fp_ieee_overflow 0
		.amdhsa_exception_fp_ieee_underflow 0
		.amdhsa_exception_fp_ieee_inexact 0
		.amdhsa_exception_int_div_zero 0
	.end_amdhsa_kernel
	.section	.text._ZN7rocprim17ROCPRIM_400000_NS6detail17trampoline_kernelINS0_14default_configENS1_25transform_config_selectorImLb1EEEZNS1_14transform_implILb1ES3_S5_PmS7_NS0_8identityIvEEEE10hipError_tT2_T3_mT4_P12ihipStream_tbEUlT_E_NS1_11comp_targetILNS1_3genE2ELNS1_11target_archE906ELNS1_3gpuE6ELNS1_3repE0EEENS1_30default_config_static_selectorELNS0_4arch9wavefront6targetE1EEEvT1_,"axG",@progbits,_ZN7rocprim17ROCPRIM_400000_NS6detail17trampoline_kernelINS0_14default_configENS1_25transform_config_selectorImLb1EEEZNS1_14transform_implILb1ES3_S5_PmS7_NS0_8identityIvEEEE10hipError_tT2_T3_mT4_P12ihipStream_tbEUlT_E_NS1_11comp_targetILNS1_3genE2ELNS1_11target_archE906ELNS1_3gpuE6ELNS1_3repE0EEENS1_30default_config_static_selectorELNS0_4arch9wavefront6targetE1EEEvT1_,comdat
.Lfunc_end174:
	.size	_ZN7rocprim17ROCPRIM_400000_NS6detail17trampoline_kernelINS0_14default_configENS1_25transform_config_selectorImLb1EEEZNS1_14transform_implILb1ES3_S5_PmS7_NS0_8identityIvEEEE10hipError_tT2_T3_mT4_P12ihipStream_tbEUlT_E_NS1_11comp_targetILNS1_3genE2ELNS1_11target_archE906ELNS1_3gpuE6ELNS1_3repE0EEENS1_30default_config_static_selectorELNS0_4arch9wavefront6targetE1EEEvT1_, .Lfunc_end174-_ZN7rocprim17ROCPRIM_400000_NS6detail17trampoline_kernelINS0_14default_configENS1_25transform_config_selectorImLb1EEEZNS1_14transform_implILb1ES3_S5_PmS7_NS0_8identityIvEEEE10hipError_tT2_T3_mT4_P12ihipStream_tbEUlT_E_NS1_11comp_targetILNS1_3genE2ELNS1_11target_archE906ELNS1_3gpuE6ELNS1_3repE0EEENS1_30default_config_static_selectorELNS0_4arch9wavefront6targetE1EEEvT1_
                                        ; -- End function
	.section	.AMDGPU.csdata,"",@progbits
; Kernel info:
; codeLenInByte = 0
; NumSgprs: 4
; NumVgprs: 0
; NumAgprs: 0
; TotalNumVgprs: 0
; ScratchSize: 0
; MemoryBound: 0
; FloatMode: 240
; IeeeMode: 1
; LDSByteSize: 0 bytes/workgroup (compile time only)
; SGPRBlocks: 0
; VGPRBlocks: 0
; NumSGPRsForWavesPerEU: 4
; NumVGPRsForWavesPerEU: 1
; AccumOffset: 4
; Occupancy: 8
; WaveLimiterHint : 0
; COMPUTE_PGM_RSRC2:SCRATCH_EN: 0
; COMPUTE_PGM_RSRC2:USER_SGPR: 6
; COMPUTE_PGM_RSRC2:TRAP_HANDLER: 0
; COMPUTE_PGM_RSRC2:TGID_X_EN: 1
; COMPUTE_PGM_RSRC2:TGID_Y_EN: 0
; COMPUTE_PGM_RSRC2:TGID_Z_EN: 0
; COMPUTE_PGM_RSRC2:TIDIG_COMP_CNT: 0
; COMPUTE_PGM_RSRC3_GFX90A:ACCUM_OFFSET: 0
; COMPUTE_PGM_RSRC3_GFX90A:TG_SPLIT: 0
	.section	.text._ZN7rocprim17ROCPRIM_400000_NS6detail17trampoline_kernelINS0_14default_configENS1_25transform_config_selectorImLb1EEEZNS1_14transform_implILb1ES3_S5_PmS7_NS0_8identityIvEEEE10hipError_tT2_T3_mT4_P12ihipStream_tbEUlT_E_NS1_11comp_targetILNS1_3genE9ELNS1_11target_archE1100ELNS1_3gpuE3ELNS1_3repE0EEENS1_30default_config_static_selectorELNS0_4arch9wavefront6targetE1EEEvT1_,"axG",@progbits,_ZN7rocprim17ROCPRIM_400000_NS6detail17trampoline_kernelINS0_14default_configENS1_25transform_config_selectorImLb1EEEZNS1_14transform_implILb1ES3_S5_PmS7_NS0_8identityIvEEEE10hipError_tT2_T3_mT4_P12ihipStream_tbEUlT_E_NS1_11comp_targetILNS1_3genE9ELNS1_11target_archE1100ELNS1_3gpuE3ELNS1_3repE0EEENS1_30default_config_static_selectorELNS0_4arch9wavefront6targetE1EEEvT1_,comdat
	.protected	_ZN7rocprim17ROCPRIM_400000_NS6detail17trampoline_kernelINS0_14default_configENS1_25transform_config_selectorImLb1EEEZNS1_14transform_implILb1ES3_S5_PmS7_NS0_8identityIvEEEE10hipError_tT2_T3_mT4_P12ihipStream_tbEUlT_E_NS1_11comp_targetILNS1_3genE9ELNS1_11target_archE1100ELNS1_3gpuE3ELNS1_3repE0EEENS1_30default_config_static_selectorELNS0_4arch9wavefront6targetE1EEEvT1_ ; -- Begin function _ZN7rocprim17ROCPRIM_400000_NS6detail17trampoline_kernelINS0_14default_configENS1_25transform_config_selectorImLb1EEEZNS1_14transform_implILb1ES3_S5_PmS7_NS0_8identityIvEEEE10hipError_tT2_T3_mT4_P12ihipStream_tbEUlT_E_NS1_11comp_targetILNS1_3genE9ELNS1_11target_archE1100ELNS1_3gpuE3ELNS1_3repE0EEENS1_30default_config_static_selectorELNS0_4arch9wavefront6targetE1EEEvT1_
	.globl	_ZN7rocprim17ROCPRIM_400000_NS6detail17trampoline_kernelINS0_14default_configENS1_25transform_config_selectorImLb1EEEZNS1_14transform_implILb1ES3_S5_PmS7_NS0_8identityIvEEEE10hipError_tT2_T3_mT4_P12ihipStream_tbEUlT_E_NS1_11comp_targetILNS1_3genE9ELNS1_11target_archE1100ELNS1_3gpuE3ELNS1_3repE0EEENS1_30default_config_static_selectorELNS0_4arch9wavefront6targetE1EEEvT1_
	.p2align	8
	.type	_ZN7rocprim17ROCPRIM_400000_NS6detail17trampoline_kernelINS0_14default_configENS1_25transform_config_selectorImLb1EEEZNS1_14transform_implILb1ES3_S5_PmS7_NS0_8identityIvEEEE10hipError_tT2_T3_mT4_P12ihipStream_tbEUlT_E_NS1_11comp_targetILNS1_3genE9ELNS1_11target_archE1100ELNS1_3gpuE3ELNS1_3repE0EEENS1_30default_config_static_selectorELNS0_4arch9wavefront6targetE1EEEvT1_,@function
_ZN7rocprim17ROCPRIM_400000_NS6detail17trampoline_kernelINS0_14default_configENS1_25transform_config_selectorImLb1EEEZNS1_14transform_implILb1ES3_S5_PmS7_NS0_8identityIvEEEE10hipError_tT2_T3_mT4_P12ihipStream_tbEUlT_E_NS1_11comp_targetILNS1_3genE9ELNS1_11target_archE1100ELNS1_3gpuE3ELNS1_3repE0EEENS1_30default_config_static_selectorELNS0_4arch9wavefront6targetE1EEEvT1_: ; @_ZN7rocprim17ROCPRIM_400000_NS6detail17trampoline_kernelINS0_14default_configENS1_25transform_config_selectorImLb1EEEZNS1_14transform_implILb1ES3_S5_PmS7_NS0_8identityIvEEEE10hipError_tT2_T3_mT4_P12ihipStream_tbEUlT_E_NS1_11comp_targetILNS1_3genE9ELNS1_11target_archE1100ELNS1_3gpuE3ELNS1_3repE0EEENS1_30default_config_static_selectorELNS0_4arch9wavefront6targetE1EEEvT1_
; %bb.0:
	.section	.rodata,"a",@progbits
	.p2align	6, 0x0
	.amdhsa_kernel _ZN7rocprim17ROCPRIM_400000_NS6detail17trampoline_kernelINS0_14default_configENS1_25transform_config_selectorImLb1EEEZNS1_14transform_implILb1ES3_S5_PmS7_NS0_8identityIvEEEE10hipError_tT2_T3_mT4_P12ihipStream_tbEUlT_E_NS1_11comp_targetILNS1_3genE9ELNS1_11target_archE1100ELNS1_3gpuE3ELNS1_3repE0EEENS1_30default_config_static_selectorELNS0_4arch9wavefront6targetE1EEEvT1_
		.amdhsa_group_segment_fixed_size 0
		.amdhsa_private_segment_fixed_size 0
		.amdhsa_kernarg_size 40
		.amdhsa_user_sgpr_count 6
		.amdhsa_user_sgpr_private_segment_buffer 1
		.amdhsa_user_sgpr_dispatch_ptr 0
		.amdhsa_user_sgpr_queue_ptr 0
		.amdhsa_user_sgpr_kernarg_segment_ptr 1
		.amdhsa_user_sgpr_dispatch_id 0
		.amdhsa_user_sgpr_flat_scratch_init 0
		.amdhsa_user_sgpr_kernarg_preload_length 0
		.amdhsa_user_sgpr_kernarg_preload_offset 0
		.amdhsa_user_sgpr_private_segment_size 0
		.amdhsa_uses_dynamic_stack 0
		.amdhsa_system_sgpr_private_segment_wavefront_offset 0
		.amdhsa_system_sgpr_workgroup_id_x 1
		.amdhsa_system_sgpr_workgroup_id_y 0
		.amdhsa_system_sgpr_workgroup_id_z 0
		.amdhsa_system_sgpr_workgroup_info 0
		.amdhsa_system_vgpr_workitem_id 0
		.amdhsa_next_free_vgpr 1
		.amdhsa_next_free_sgpr 0
		.amdhsa_accum_offset 4
		.amdhsa_reserve_vcc 0
		.amdhsa_reserve_flat_scratch 0
		.amdhsa_float_round_mode_32 0
		.amdhsa_float_round_mode_16_64 0
		.amdhsa_float_denorm_mode_32 3
		.amdhsa_float_denorm_mode_16_64 3
		.amdhsa_dx10_clamp 1
		.amdhsa_ieee_mode 1
		.amdhsa_fp16_overflow 0
		.amdhsa_tg_split 0
		.amdhsa_exception_fp_ieee_invalid_op 0
		.amdhsa_exception_fp_denorm_src 0
		.amdhsa_exception_fp_ieee_div_zero 0
		.amdhsa_exception_fp_ieee_overflow 0
		.amdhsa_exception_fp_ieee_underflow 0
		.amdhsa_exception_fp_ieee_inexact 0
		.amdhsa_exception_int_div_zero 0
	.end_amdhsa_kernel
	.section	.text._ZN7rocprim17ROCPRIM_400000_NS6detail17trampoline_kernelINS0_14default_configENS1_25transform_config_selectorImLb1EEEZNS1_14transform_implILb1ES3_S5_PmS7_NS0_8identityIvEEEE10hipError_tT2_T3_mT4_P12ihipStream_tbEUlT_E_NS1_11comp_targetILNS1_3genE9ELNS1_11target_archE1100ELNS1_3gpuE3ELNS1_3repE0EEENS1_30default_config_static_selectorELNS0_4arch9wavefront6targetE1EEEvT1_,"axG",@progbits,_ZN7rocprim17ROCPRIM_400000_NS6detail17trampoline_kernelINS0_14default_configENS1_25transform_config_selectorImLb1EEEZNS1_14transform_implILb1ES3_S5_PmS7_NS0_8identityIvEEEE10hipError_tT2_T3_mT4_P12ihipStream_tbEUlT_E_NS1_11comp_targetILNS1_3genE9ELNS1_11target_archE1100ELNS1_3gpuE3ELNS1_3repE0EEENS1_30default_config_static_selectorELNS0_4arch9wavefront6targetE1EEEvT1_,comdat
.Lfunc_end175:
	.size	_ZN7rocprim17ROCPRIM_400000_NS6detail17trampoline_kernelINS0_14default_configENS1_25transform_config_selectorImLb1EEEZNS1_14transform_implILb1ES3_S5_PmS7_NS0_8identityIvEEEE10hipError_tT2_T3_mT4_P12ihipStream_tbEUlT_E_NS1_11comp_targetILNS1_3genE9ELNS1_11target_archE1100ELNS1_3gpuE3ELNS1_3repE0EEENS1_30default_config_static_selectorELNS0_4arch9wavefront6targetE1EEEvT1_, .Lfunc_end175-_ZN7rocprim17ROCPRIM_400000_NS6detail17trampoline_kernelINS0_14default_configENS1_25transform_config_selectorImLb1EEEZNS1_14transform_implILb1ES3_S5_PmS7_NS0_8identityIvEEEE10hipError_tT2_T3_mT4_P12ihipStream_tbEUlT_E_NS1_11comp_targetILNS1_3genE9ELNS1_11target_archE1100ELNS1_3gpuE3ELNS1_3repE0EEENS1_30default_config_static_selectorELNS0_4arch9wavefront6targetE1EEEvT1_
                                        ; -- End function
	.section	.AMDGPU.csdata,"",@progbits
; Kernel info:
; codeLenInByte = 0
; NumSgprs: 4
; NumVgprs: 0
; NumAgprs: 0
; TotalNumVgprs: 0
; ScratchSize: 0
; MemoryBound: 0
; FloatMode: 240
; IeeeMode: 1
; LDSByteSize: 0 bytes/workgroup (compile time only)
; SGPRBlocks: 0
; VGPRBlocks: 0
; NumSGPRsForWavesPerEU: 4
; NumVGPRsForWavesPerEU: 1
; AccumOffset: 4
; Occupancy: 8
; WaveLimiterHint : 0
; COMPUTE_PGM_RSRC2:SCRATCH_EN: 0
; COMPUTE_PGM_RSRC2:USER_SGPR: 6
; COMPUTE_PGM_RSRC2:TRAP_HANDLER: 0
; COMPUTE_PGM_RSRC2:TGID_X_EN: 1
; COMPUTE_PGM_RSRC2:TGID_Y_EN: 0
; COMPUTE_PGM_RSRC2:TGID_Z_EN: 0
; COMPUTE_PGM_RSRC2:TIDIG_COMP_CNT: 0
; COMPUTE_PGM_RSRC3_GFX90A:ACCUM_OFFSET: 0
; COMPUTE_PGM_RSRC3_GFX90A:TG_SPLIT: 0
	.section	.text._ZN7rocprim17ROCPRIM_400000_NS6detail17trampoline_kernelINS0_14default_configENS1_25transform_config_selectorImLb1EEEZNS1_14transform_implILb1ES3_S5_PmS7_NS0_8identityIvEEEE10hipError_tT2_T3_mT4_P12ihipStream_tbEUlT_E_NS1_11comp_targetILNS1_3genE8ELNS1_11target_archE1030ELNS1_3gpuE2ELNS1_3repE0EEENS1_30default_config_static_selectorELNS0_4arch9wavefront6targetE1EEEvT1_,"axG",@progbits,_ZN7rocprim17ROCPRIM_400000_NS6detail17trampoline_kernelINS0_14default_configENS1_25transform_config_selectorImLb1EEEZNS1_14transform_implILb1ES3_S5_PmS7_NS0_8identityIvEEEE10hipError_tT2_T3_mT4_P12ihipStream_tbEUlT_E_NS1_11comp_targetILNS1_3genE8ELNS1_11target_archE1030ELNS1_3gpuE2ELNS1_3repE0EEENS1_30default_config_static_selectorELNS0_4arch9wavefront6targetE1EEEvT1_,comdat
	.protected	_ZN7rocprim17ROCPRIM_400000_NS6detail17trampoline_kernelINS0_14default_configENS1_25transform_config_selectorImLb1EEEZNS1_14transform_implILb1ES3_S5_PmS7_NS0_8identityIvEEEE10hipError_tT2_T3_mT4_P12ihipStream_tbEUlT_E_NS1_11comp_targetILNS1_3genE8ELNS1_11target_archE1030ELNS1_3gpuE2ELNS1_3repE0EEENS1_30default_config_static_selectorELNS0_4arch9wavefront6targetE1EEEvT1_ ; -- Begin function _ZN7rocprim17ROCPRIM_400000_NS6detail17trampoline_kernelINS0_14default_configENS1_25transform_config_selectorImLb1EEEZNS1_14transform_implILb1ES3_S5_PmS7_NS0_8identityIvEEEE10hipError_tT2_T3_mT4_P12ihipStream_tbEUlT_E_NS1_11comp_targetILNS1_3genE8ELNS1_11target_archE1030ELNS1_3gpuE2ELNS1_3repE0EEENS1_30default_config_static_selectorELNS0_4arch9wavefront6targetE1EEEvT1_
	.globl	_ZN7rocprim17ROCPRIM_400000_NS6detail17trampoline_kernelINS0_14default_configENS1_25transform_config_selectorImLb1EEEZNS1_14transform_implILb1ES3_S5_PmS7_NS0_8identityIvEEEE10hipError_tT2_T3_mT4_P12ihipStream_tbEUlT_E_NS1_11comp_targetILNS1_3genE8ELNS1_11target_archE1030ELNS1_3gpuE2ELNS1_3repE0EEENS1_30default_config_static_selectorELNS0_4arch9wavefront6targetE1EEEvT1_
	.p2align	8
	.type	_ZN7rocprim17ROCPRIM_400000_NS6detail17trampoline_kernelINS0_14default_configENS1_25transform_config_selectorImLb1EEEZNS1_14transform_implILb1ES3_S5_PmS7_NS0_8identityIvEEEE10hipError_tT2_T3_mT4_P12ihipStream_tbEUlT_E_NS1_11comp_targetILNS1_3genE8ELNS1_11target_archE1030ELNS1_3gpuE2ELNS1_3repE0EEENS1_30default_config_static_selectorELNS0_4arch9wavefront6targetE1EEEvT1_,@function
_ZN7rocprim17ROCPRIM_400000_NS6detail17trampoline_kernelINS0_14default_configENS1_25transform_config_selectorImLb1EEEZNS1_14transform_implILb1ES3_S5_PmS7_NS0_8identityIvEEEE10hipError_tT2_T3_mT4_P12ihipStream_tbEUlT_E_NS1_11comp_targetILNS1_3genE8ELNS1_11target_archE1030ELNS1_3gpuE2ELNS1_3repE0EEENS1_30default_config_static_selectorELNS0_4arch9wavefront6targetE1EEEvT1_: ; @_ZN7rocprim17ROCPRIM_400000_NS6detail17trampoline_kernelINS0_14default_configENS1_25transform_config_selectorImLb1EEEZNS1_14transform_implILb1ES3_S5_PmS7_NS0_8identityIvEEEE10hipError_tT2_T3_mT4_P12ihipStream_tbEUlT_E_NS1_11comp_targetILNS1_3genE8ELNS1_11target_archE1030ELNS1_3gpuE2ELNS1_3repE0EEENS1_30default_config_static_selectorELNS0_4arch9wavefront6targetE1EEEvT1_
; %bb.0:
	.section	.rodata,"a",@progbits
	.p2align	6, 0x0
	.amdhsa_kernel _ZN7rocprim17ROCPRIM_400000_NS6detail17trampoline_kernelINS0_14default_configENS1_25transform_config_selectorImLb1EEEZNS1_14transform_implILb1ES3_S5_PmS7_NS0_8identityIvEEEE10hipError_tT2_T3_mT4_P12ihipStream_tbEUlT_E_NS1_11comp_targetILNS1_3genE8ELNS1_11target_archE1030ELNS1_3gpuE2ELNS1_3repE0EEENS1_30default_config_static_selectorELNS0_4arch9wavefront6targetE1EEEvT1_
		.amdhsa_group_segment_fixed_size 0
		.amdhsa_private_segment_fixed_size 0
		.amdhsa_kernarg_size 40
		.amdhsa_user_sgpr_count 6
		.amdhsa_user_sgpr_private_segment_buffer 1
		.amdhsa_user_sgpr_dispatch_ptr 0
		.amdhsa_user_sgpr_queue_ptr 0
		.amdhsa_user_sgpr_kernarg_segment_ptr 1
		.amdhsa_user_sgpr_dispatch_id 0
		.amdhsa_user_sgpr_flat_scratch_init 0
		.amdhsa_user_sgpr_kernarg_preload_length 0
		.amdhsa_user_sgpr_kernarg_preload_offset 0
		.amdhsa_user_sgpr_private_segment_size 0
		.amdhsa_uses_dynamic_stack 0
		.amdhsa_system_sgpr_private_segment_wavefront_offset 0
		.amdhsa_system_sgpr_workgroup_id_x 1
		.amdhsa_system_sgpr_workgroup_id_y 0
		.amdhsa_system_sgpr_workgroup_id_z 0
		.amdhsa_system_sgpr_workgroup_info 0
		.amdhsa_system_vgpr_workitem_id 0
		.amdhsa_next_free_vgpr 1
		.amdhsa_next_free_sgpr 0
		.amdhsa_accum_offset 4
		.amdhsa_reserve_vcc 0
		.amdhsa_reserve_flat_scratch 0
		.amdhsa_float_round_mode_32 0
		.amdhsa_float_round_mode_16_64 0
		.amdhsa_float_denorm_mode_32 3
		.amdhsa_float_denorm_mode_16_64 3
		.amdhsa_dx10_clamp 1
		.amdhsa_ieee_mode 1
		.amdhsa_fp16_overflow 0
		.amdhsa_tg_split 0
		.amdhsa_exception_fp_ieee_invalid_op 0
		.amdhsa_exception_fp_denorm_src 0
		.amdhsa_exception_fp_ieee_div_zero 0
		.amdhsa_exception_fp_ieee_overflow 0
		.amdhsa_exception_fp_ieee_underflow 0
		.amdhsa_exception_fp_ieee_inexact 0
		.amdhsa_exception_int_div_zero 0
	.end_amdhsa_kernel
	.section	.text._ZN7rocprim17ROCPRIM_400000_NS6detail17trampoline_kernelINS0_14default_configENS1_25transform_config_selectorImLb1EEEZNS1_14transform_implILb1ES3_S5_PmS7_NS0_8identityIvEEEE10hipError_tT2_T3_mT4_P12ihipStream_tbEUlT_E_NS1_11comp_targetILNS1_3genE8ELNS1_11target_archE1030ELNS1_3gpuE2ELNS1_3repE0EEENS1_30default_config_static_selectorELNS0_4arch9wavefront6targetE1EEEvT1_,"axG",@progbits,_ZN7rocprim17ROCPRIM_400000_NS6detail17trampoline_kernelINS0_14default_configENS1_25transform_config_selectorImLb1EEEZNS1_14transform_implILb1ES3_S5_PmS7_NS0_8identityIvEEEE10hipError_tT2_T3_mT4_P12ihipStream_tbEUlT_E_NS1_11comp_targetILNS1_3genE8ELNS1_11target_archE1030ELNS1_3gpuE2ELNS1_3repE0EEENS1_30default_config_static_selectorELNS0_4arch9wavefront6targetE1EEEvT1_,comdat
.Lfunc_end176:
	.size	_ZN7rocprim17ROCPRIM_400000_NS6detail17trampoline_kernelINS0_14default_configENS1_25transform_config_selectorImLb1EEEZNS1_14transform_implILb1ES3_S5_PmS7_NS0_8identityIvEEEE10hipError_tT2_T3_mT4_P12ihipStream_tbEUlT_E_NS1_11comp_targetILNS1_3genE8ELNS1_11target_archE1030ELNS1_3gpuE2ELNS1_3repE0EEENS1_30default_config_static_selectorELNS0_4arch9wavefront6targetE1EEEvT1_, .Lfunc_end176-_ZN7rocprim17ROCPRIM_400000_NS6detail17trampoline_kernelINS0_14default_configENS1_25transform_config_selectorImLb1EEEZNS1_14transform_implILb1ES3_S5_PmS7_NS0_8identityIvEEEE10hipError_tT2_T3_mT4_P12ihipStream_tbEUlT_E_NS1_11comp_targetILNS1_3genE8ELNS1_11target_archE1030ELNS1_3gpuE2ELNS1_3repE0EEENS1_30default_config_static_selectorELNS0_4arch9wavefront6targetE1EEEvT1_
                                        ; -- End function
	.section	.AMDGPU.csdata,"",@progbits
; Kernel info:
; codeLenInByte = 0
; NumSgprs: 4
; NumVgprs: 0
; NumAgprs: 0
; TotalNumVgprs: 0
; ScratchSize: 0
; MemoryBound: 0
; FloatMode: 240
; IeeeMode: 1
; LDSByteSize: 0 bytes/workgroup (compile time only)
; SGPRBlocks: 0
; VGPRBlocks: 0
; NumSGPRsForWavesPerEU: 4
; NumVGPRsForWavesPerEU: 1
; AccumOffset: 4
; Occupancy: 8
; WaveLimiterHint : 0
; COMPUTE_PGM_RSRC2:SCRATCH_EN: 0
; COMPUTE_PGM_RSRC2:USER_SGPR: 6
; COMPUTE_PGM_RSRC2:TRAP_HANDLER: 0
; COMPUTE_PGM_RSRC2:TGID_X_EN: 1
; COMPUTE_PGM_RSRC2:TGID_Y_EN: 0
; COMPUTE_PGM_RSRC2:TGID_Z_EN: 0
; COMPUTE_PGM_RSRC2:TIDIG_COMP_CNT: 0
; COMPUTE_PGM_RSRC3_GFX90A:ACCUM_OFFSET: 0
; COMPUTE_PGM_RSRC3_GFX90A:TG_SPLIT: 0
	.section	.text._ZN7rocprim17ROCPRIM_400000_NS6detail31init_lookback_scan_state_kernelINS1_19lookback_scan_stateIjLb1ELb1EEENS1_16block_id_wrapperIjLb1EEEEEvT_jT0_jPNS7_10value_typeE,"axG",@progbits,_ZN7rocprim17ROCPRIM_400000_NS6detail31init_lookback_scan_state_kernelINS1_19lookback_scan_stateIjLb1ELb1EEENS1_16block_id_wrapperIjLb1EEEEEvT_jT0_jPNS7_10value_typeE,comdat
	.protected	_ZN7rocprim17ROCPRIM_400000_NS6detail31init_lookback_scan_state_kernelINS1_19lookback_scan_stateIjLb1ELb1EEENS1_16block_id_wrapperIjLb1EEEEEvT_jT0_jPNS7_10value_typeE ; -- Begin function _ZN7rocprim17ROCPRIM_400000_NS6detail31init_lookback_scan_state_kernelINS1_19lookback_scan_stateIjLb1ELb1EEENS1_16block_id_wrapperIjLb1EEEEEvT_jT0_jPNS7_10value_typeE
	.globl	_ZN7rocprim17ROCPRIM_400000_NS6detail31init_lookback_scan_state_kernelINS1_19lookback_scan_stateIjLb1ELb1EEENS1_16block_id_wrapperIjLb1EEEEEvT_jT0_jPNS7_10value_typeE
	.p2align	8
	.type	_ZN7rocprim17ROCPRIM_400000_NS6detail31init_lookback_scan_state_kernelINS1_19lookback_scan_stateIjLb1ELb1EEENS1_16block_id_wrapperIjLb1EEEEEvT_jT0_jPNS7_10value_typeE,@function
_ZN7rocprim17ROCPRIM_400000_NS6detail31init_lookback_scan_state_kernelINS1_19lookback_scan_stateIjLb1ELb1EEENS1_16block_id_wrapperIjLb1EEEEEvT_jT0_jPNS7_10value_typeE: ; @_ZN7rocprim17ROCPRIM_400000_NS6detail31init_lookback_scan_state_kernelINS1_19lookback_scan_stateIjLb1ELb1EEENS1_16block_id_wrapperIjLb1EEEEEvT_jT0_jPNS7_10value_typeE
; %bb.0:
	s_load_dword s7, s[4:5], 0x34
	s_load_dwordx2 s[2:3], s[4:5], 0x20
	s_load_dwordx2 s[0:1], s[4:5], 0x0
	s_load_dword s10, s[4:5], 0x8
	s_waitcnt lgkmcnt(0)
	s_and_b32 s7, s7, 0xffff
	s_mul_i32 s6, s6, s7
	s_cmp_eq_u64 s[2:3], 0
	v_add_u32_e32 v0, s6, v0
	s_cbranch_scc1 .LBB177_9
; %bb.1:
	s_load_dword s8, s[4:5], 0x18
	s_mov_b32 s9, 0
	s_waitcnt lgkmcnt(0)
	s_cmp_lt_u32 s8, s10
	s_cselect_b32 s6, s8, 0
	v_cmp_eq_u32_e32 vcc, s6, v0
	s_and_saveexec_b64 s[6:7], vcc
	s_cbranch_execz .LBB177_8
; %bb.2:
	s_add_i32 s8, s8, 64
	s_lshl_b64 s[8:9], s[8:9], 3
	s_add_u32 s8, s0, s8
	s_addc_u32 s9, s1, s9
	v_mov_b32_e32 v2, 0
	global_load_dwordx2 v[4:5], v2, s[8:9] glc
	s_waitcnt vmcnt(0)
	v_and_b32_e32 v3, 0xff, v5
	v_cmp_ne_u64_e32 vcc, 0, v[2:3]
	s_cbranch_vccnz .LBB177_7
; %bb.3:
	s_mov_b32 s11, 1
.LBB177_4:                              ; =>This Loop Header: Depth=1
                                        ;     Child Loop BB177_5 Depth 2
	s_max_u32 s12, s11, 1
.LBB177_5:                              ;   Parent Loop BB177_4 Depth=1
                                        ; =>  This Inner Loop Header: Depth=2
	s_add_i32 s12, s12, -1
	s_cmp_eq_u32 s12, 0
	s_sleep 1
	s_cbranch_scc0 .LBB177_5
; %bb.6:                                ;   in Loop: Header=BB177_4 Depth=1
	global_load_dwordx2 v[4:5], v2, s[8:9] glc
	s_cmp_lt_u32 s11, 32
	s_cselect_b64 s[12:13], -1, 0
	s_cmp_lg_u64 s[12:13], 0
	s_addc_u32 s11, s11, 0
	s_waitcnt vmcnt(0)
	v_and_b32_e32 v3, 0xff, v5
	v_cmp_ne_u64_e32 vcc, 0, v[2:3]
	s_cbranch_vccz .LBB177_4
.LBB177_7:
	v_mov_b32_e32 v1, 0
	global_store_dword v1, v4, s[2:3]
.LBB177_8:
	s_or_b64 exec, exec, s[6:7]
.LBB177_9:
	v_cmp_eq_u32_e32 vcc, 0, v0
	s_and_saveexec_b64 s[2:3], vcc
	s_cbranch_execnz .LBB177_13
; %bb.10:
	s_or_b64 exec, exec, s[2:3]
	v_cmp_gt_u32_e32 vcc, s10, v0
	s_and_saveexec_b64 s[2:3], vcc
	s_cbranch_execnz .LBB177_14
.LBB177_11:
	s_or_b64 exec, exec, s[2:3]
	v_cmp_gt_u32_e32 vcc, 64, v0
	s_and_saveexec_b64 s[2:3], vcc
	s_cbranch_execnz .LBB177_15
.LBB177_12:
	s_endpgm
.LBB177_13:
	s_load_dwordx2 s[4:5], s[4:5], 0x10
	v_mov_b32_e32 v1, 0
	s_waitcnt lgkmcnt(0)
	global_store_dword v1, v1, s[4:5]
	s_or_b64 exec, exec, s[2:3]
	v_cmp_gt_u32_e32 vcc, s10, v0
	s_and_saveexec_b64 s[2:3], vcc
	s_cbranch_execz .LBB177_11
.LBB177_14:
	v_add_u32_e32 v2, 64, v0
	v_mov_b32_e32 v3, 0
	v_lshlrev_b64 v[4:5], 3, v[2:3]
	v_mov_b32_e32 v1, s1
	v_add_co_u32_e32 v4, vcc, s0, v4
	v_addc_co_u32_e32 v5, vcc, v1, v5, vcc
	v_mov_b32_e32 v2, v3
	global_store_dwordx2 v[4:5], v[2:3], off
	s_or_b64 exec, exec, s[2:3]
	v_cmp_gt_u32_e32 vcc, 64, v0
	s_and_saveexec_b64 s[2:3], vcc
	s_cbranch_execz .LBB177_12
.LBB177_15:
	v_mov_b32_e32 v1, 0
	v_lshlrev_b64 v[2:3], 3, v[0:1]
	v_mov_b32_e32 v0, s1
	v_add_co_u32_e32 v2, vcc, s0, v2
	v_addc_co_u32_e32 v3, vcc, v0, v3, vcc
	v_mov_b32_e32 v5, 0xff
	v_mov_b32_e32 v4, v1
	global_store_dwordx2 v[2:3], v[4:5], off
	s_endpgm
	.section	.rodata,"a",@progbits
	.p2align	6, 0x0
	.amdhsa_kernel _ZN7rocprim17ROCPRIM_400000_NS6detail31init_lookback_scan_state_kernelINS1_19lookback_scan_stateIjLb1ELb1EEENS1_16block_id_wrapperIjLb1EEEEEvT_jT0_jPNS7_10value_typeE
		.amdhsa_group_segment_fixed_size 0
		.amdhsa_private_segment_fixed_size 0
		.amdhsa_kernarg_size 296
		.amdhsa_user_sgpr_count 6
		.amdhsa_user_sgpr_private_segment_buffer 1
		.amdhsa_user_sgpr_dispatch_ptr 0
		.amdhsa_user_sgpr_queue_ptr 0
		.amdhsa_user_sgpr_kernarg_segment_ptr 1
		.amdhsa_user_sgpr_dispatch_id 0
		.amdhsa_user_sgpr_flat_scratch_init 0
		.amdhsa_user_sgpr_kernarg_preload_length 0
		.amdhsa_user_sgpr_kernarg_preload_offset 0
		.amdhsa_user_sgpr_private_segment_size 0
		.amdhsa_uses_dynamic_stack 0
		.amdhsa_system_sgpr_private_segment_wavefront_offset 0
		.amdhsa_system_sgpr_workgroup_id_x 1
		.amdhsa_system_sgpr_workgroup_id_y 0
		.amdhsa_system_sgpr_workgroup_id_z 0
		.amdhsa_system_sgpr_workgroup_info 0
		.amdhsa_system_vgpr_workitem_id 0
		.amdhsa_next_free_vgpr 6
		.amdhsa_next_free_sgpr 14
		.amdhsa_accum_offset 8
		.amdhsa_reserve_vcc 1
		.amdhsa_reserve_flat_scratch 0
		.amdhsa_float_round_mode_32 0
		.amdhsa_float_round_mode_16_64 0
		.amdhsa_float_denorm_mode_32 3
		.amdhsa_float_denorm_mode_16_64 3
		.amdhsa_dx10_clamp 1
		.amdhsa_ieee_mode 1
		.amdhsa_fp16_overflow 0
		.amdhsa_tg_split 0
		.amdhsa_exception_fp_ieee_invalid_op 0
		.amdhsa_exception_fp_denorm_src 0
		.amdhsa_exception_fp_ieee_div_zero 0
		.amdhsa_exception_fp_ieee_overflow 0
		.amdhsa_exception_fp_ieee_underflow 0
		.amdhsa_exception_fp_ieee_inexact 0
		.amdhsa_exception_int_div_zero 0
	.end_amdhsa_kernel
	.section	.text._ZN7rocprim17ROCPRIM_400000_NS6detail31init_lookback_scan_state_kernelINS1_19lookback_scan_stateIjLb1ELb1EEENS1_16block_id_wrapperIjLb1EEEEEvT_jT0_jPNS7_10value_typeE,"axG",@progbits,_ZN7rocprim17ROCPRIM_400000_NS6detail31init_lookback_scan_state_kernelINS1_19lookback_scan_stateIjLb1ELb1EEENS1_16block_id_wrapperIjLb1EEEEEvT_jT0_jPNS7_10value_typeE,comdat
.Lfunc_end177:
	.size	_ZN7rocprim17ROCPRIM_400000_NS6detail31init_lookback_scan_state_kernelINS1_19lookback_scan_stateIjLb1ELb1EEENS1_16block_id_wrapperIjLb1EEEEEvT_jT0_jPNS7_10value_typeE, .Lfunc_end177-_ZN7rocprim17ROCPRIM_400000_NS6detail31init_lookback_scan_state_kernelINS1_19lookback_scan_stateIjLb1ELb1EEENS1_16block_id_wrapperIjLb1EEEEEvT_jT0_jPNS7_10value_typeE
                                        ; -- End function
	.section	.AMDGPU.csdata,"",@progbits
; Kernel info:
; codeLenInByte = 420
; NumSgprs: 18
; NumVgprs: 6
; NumAgprs: 0
; TotalNumVgprs: 6
; ScratchSize: 0
; MemoryBound: 0
; FloatMode: 240
; IeeeMode: 1
; LDSByteSize: 0 bytes/workgroup (compile time only)
; SGPRBlocks: 2
; VGPRBlocks: 0
; NumSGPRsForWavesPerEU: 18
; NumVGPRsForWavesPerEU: 6
; AccumOffset: 8
; Occupancy: 8
; WaveLimiterHint : 0
; COMPUTE_PGM_RSRC2:SCRATCH_EN: 0
; COMPUTE_PGM_RSRC2:USER_SGPR: 6
; COMPUTE_PGM_RSRC2:TRAP_HANDLER: 0
; COMPUTE_PGM_RSRC2:TGID_X_EN: 1
; COMPUTE_PGM_RSRC2:TGID_Y_EN: 0
; COMPUTE_PGM_RSRC2:TGID_Z_EN: 0
; COMPUTE_PGM_RSRC2:TIDIG_COMP_CNT: 0
; COMPUTE_PGM_RSRC3_GFX90A:ACCUM_OFFSET: 1
; COMPUTE_PGM_RSRC3_GFX90A:TG_SPLIT: 0
	.section	.text._ZN7rocprim17ROCPRIM_400000_NS6detail17trampoline_kernelINS0_14default_configENS1_25partition_config_selectorILNS1_17partition_subalgoE8ElNS0_10empty_typeEbEEZZNS1_14partition_implILS5_8ELb0ES3_jPlPS6_PKS6_NS0_5tupleIJS9_S6_EEENSD_IJSA_SA_EEENS0_18inequality_wrapperIZN2at6native12_GLOBAL__N_124unique_dim_cuda_templateIhEESt5tupleIJNSH_6TensorESM_SM_EERKSM_lbbbEUlllE0_EEPmJS6_EEE10hipError_tPvRmT3_T4_T5_T6_T7_T9_mT8_P12ihipStream_tbDpT10_ENKUlT_T0_E_clISt17integral_constantIbLb1EES1C_EEDaS17_S18_EUlS17_E_NS1_11comp_targetILNS1_3genE0ELNS1_11target_archE4294967295ELNS1_3gpuE0ELNS1_3repE0EEENS1_30default_config_static_selectorELNS0_4arch9wavefront6targetE1EEEvT1_,"axG",@progbits,_ZN7rocprim17ROCPRIM_400000_NS6detail17trampoline_kernelINS0_14default_configENS1_25partition_config_selectorILNS1_17partition_subalgoE8ElNS0_10empty_typeEbEEZZNS1_14partition_implILS5_8ELb0ES3_jPlPS6_PKS6_NS0_5tupleIJS9_S6_EEENSD_IJSA_SA_EEENS0_18inequality_wrapperIZN2at6native12_GLOBAL__N_124unique_dim_cuda_templateIhEESt5tupleIJNSH_6TensorESM_SM_EERKSM_lbbbEUlllE0_EEPmJS6_EEE10hipError_tPvRmT3_T4_T5_T6_T7_T9_mT8_P12ihipStream_tbDpT10_ENKUlT_T0_E_clISt17integral_constantIbLb1EES1C_EEDaS17_S18_EUlS17_E_NS1_11comp_targetILNS1_3genE0ELNS1_11target_archE4294967295ELNS1_3gpuE0ELNS1_3repE0EEENS1_30default_config_static_selectorELNS0_4arch9wavefront6targetE1EEEvT1_,comdat
	.globl	_ZN7rocprim17ROCPRIM_400000_NS6detail17trampoline_kernelINS0_14default_configENS1_25partition_config_selectorILNS1_17partition_subalgoE8ElNS0_10empty_typeEbEEZZNS1_14partition_implILS5_8ELb0ES3_jPlPS6_PKS6_NS0_5tupleIJS9_S6_EEENSD_IJSA_SA_EEENS0_18inequality_wrapperIZN2at6native12_GLOBAL__N_124unique_dim_cuda_templateIhEESt5tupleIJNSH_6TensorESM_SM_EERKSM_lbbbEUlllE0_EEPmJS6_EEE10hipError_tPvRmT3_T4_T5_T6_T7_T9_mT8_P12ihipStream_tbDpT10_ENKUlT_T0_E_clISt17integral_constantIbLb1EES1C_EEDaS17_S18_EUlS17_E_NS1_11comp_targetILNS1_3genE0ELNS1_11target_archE4294967295ELNS1_3gpuE0ELNS1_3repE0EEENS1_30default_config_static_selectorELNS0_4arch9wavefront6targetE1EEEvT1_ ; -- Begin function _ZN7rocprim17ROCPRIM_400000_NS6detail17trampoline_kernelINS0_14default_configENS1_25partition_config_selectorILNS1_17partition_subalgoE8ElNS0_10empty_typeEbEEZZNS1_14partition_implILS5_8ELb0ES3_jPlPS6_PKS6_NS0_5tupleIJS9_S6_EEENSD_IJSA_SA_EEENS0_18inequality_wrapperIZN2at6native12_GLOBAL__N_124unique_dim_cuda_templateIhEESt5tupleIJNSH_6TensorESM_SM_EERKSM_lbbbEUlllE0_EEPmJS6_EEE10hipError_tPvRmT3_T4_T5_T6_T7_T9_mT8_P12ihipStream_tbDpT10_ENKUlT_T0_E_clISt17integral_constantIbLb1EES1C_EEDaS17_S18_EUlS17_E_NS1_11comp_targetILNS1_3genE0ELNS1_11target_archE4294967295ELNS1_3gpuE0ELNS1_3repE0EEENS1_30default_config_static_selectorELNS0_4arch9wavefront6targetE1EEEvT1_
	.p2align	8
	.type	_ZN7rocprim17ROCPRIM_400000_NS6detail17trampoline_kernelINS0_14default_configENS1_25partition_config_selectorILNS1_17partition_subalgoE8ElNS0_10empty_typeEbEEZZNS1_14partition_implILS5_8ELb0ES3_jPlPS6_PKS6_NS0_5tupleIJS9_S6_EEENSD_IJSA_SA_EEENS0_18inequality_wrapperIZN2at6native12_GLOBAL__N_124unique_dim_cuda_templateIhEESt5tupleIJNSH_6TensorESM_SM_EERKSM_lbbbEUlllE0_EEPmJS6_EEE10hipError_tPvRmT3_T4_T5_T6_T7_T9_mT8_P12ihipStream_tbDpT10_ENKUlT_T0_E_clISt17integral_constantIbLb1EES1C_EEDaS17_S18_EUlS17_E_NS1_11comp_targetILNS1_3genE0ELNS1_11target_archE4294967295ELNS1_3gpuE0ELNS1_3repE0EEENS1_30default_config_static_selectorELNS0_4arch9wavefront6targetE1EEEvT1_,@function
_ZN7rocprim17ROCPRIM_400000_NS6detail17trampoline_kernelINS0_14default_configENS1_25partition_config_selectorILNS1_17partition_subalgoE8ElNS0_10empty_typeEbEEZZNS1_14partition_implILS5_8ELb0ES3_jPlPS6_PKS6_NS0_5tupleIJS9_S6_EEENSD_IJSA_SA_EEENS0_18inequality_wrapperIZN2at6native12_GLOBAL__N_124unique_dim_cuda_templateIhEESt5tupleIJNSH_6TensorESM_SM_EERKSM_lbbbEUlllE0_EEPmJS6_EEE10hipError_tPvRmT3_T4_T5_T6_T7_T9_mT8_P12ihipStream_tbDpT10_ENKUlT_T0_E_clISt17integral_constantIbLb1EES1C_EEDaS17_S18_EUlS17_E_NS1_11comp_targetILNS1_3genE0ELNS1_11target_archE4294967295ELNS1_3gpuE0ELNS1_3repE0EEENS1_30default_config_static_selectorELNS0_4arch9wavefront6targetE1EEEvT1_: ; @_ZN7rocprim17ROCPRIM_400000_NS6detail17trampoline_kernelINS0_14default_configENS1_25partition_config_selectorILNS1_17partition_subalgoE8ElNS0_10empty_typeEbEEZZNS1_14partition_implILS5_8ELb0ES3_jPlPS6_PKS6_NS0_5tupleIJS9_S6_EEENSD_IJSA_SA_EEENS0_18inequality_wrapperIZN2at6native12_GLOBAL__N_124unique_dim_cuda_templateIhEESt5tupleIJNSH_6TensorESM_SM_EERKSM_lbbbEUlllE0_EEPmJS6_EEE10hipError_tPvRmT3_T4_T5_T6_T7_T9_mT8_P12ihipStream_tbDpT10_ENKUlT_T0_E_clISt17integral_constantIbLb1EES1C_EEDaS17_S18_EUlS17_E_NS1_11comp_targetILNS1_3genE0ELNS1_11target_archE4294967295ELNS1_3gpuE0ELNS1_3repE0EEENS1_30default_config_static_selectorELNS0_4arch9wavefront6targetE1EEEvT1_
; %bb.0:
	.section	.rodata,"a",@progbits
	.p2align	6, 0x0
	.amdhsa_kernel _ZN7rocprim17ROCPRIM_400000_NS6detail17trampoline_kernelINS0_14default_configENS1_25partition_config_selectorILNS1_17partition_subalgoE8ElNS0_10empty_typeEbEEZZNS1_14partition_implILS5_8ELb0ES3_jPlPS6_PKS6_NS0_5tupleIJS9_S6_EEENSD_IJSA_SA_EEENS0_18inequality_wrapperIZN2at6native12_GLOBAL__N_124unique_dim_cuda_templateIhEESt5tupleIJNSH_6TensorESM_SM_EERKSM_lbbbEUlllE0_EEPmJS6_EEE10hipError_tPvRmT3_T4_T5_T6_T7_T9_mT8_P12ihipStream_tbDpT10_ENKUlT_T0_E_clISt17integral_constantIbLb1EES1C_EEDaS17_S18_EUlS17_E_NS1_11comp_targetILNS1_3genE0ELNS1_11target_archE4294967295ELNS1_3gpuE0ELNS1_3repE0EEENS1_30default_config_static_selectorELNS0_4arch9wavefront6targetE1EEEvT1_
		.amdhsa_group_segment_fixed_size 0
		.amdhsa_private_segment_fixed_size 0
		.amdhsa_kernarg_size 136
		.amdhsa_user_sgpr_count 6
		.amdhsa_user_sgpr_private_segment_buffer 1
		.amdhsa_user_sgpr_dispatch_ptr 0
		.amdhsa_user_sgpr_queue_ptr 0
		.amdhsa_user_sgpr_kernarg_segment_ptr 1
		.amdhsa_user_sgpr_dispatch_id 0
		.amdhsa_user_sgpr_flat_scratch_init 0
		.amdhsa_user_sgpr_kernarg_preload_length 0
		.amdhsa_user_sgpr_kernarg_preload_offset 0
		.amdhsa_user_sgpr_private_segment_size 0
		.amdhsa_uses_dynamic_stack 0
		.amdhsa_system_sgpr_private_segment_wavefront_offset 0
		.amdhsa_system_sgpr_workgroup_id_x 1
		.amdhsa_system_sgpr_workgroup_id_y 0
		.amdhsa_system_sgpr_workgroup_id_z 0
		.amdhsa_system_sgpr_workgroup_info 0
		.amdhsa_system_vgpr_workitem_id 0
		.amdhsa_next_free_vgpr 1
		.amdhsa_next_free_sgpr 0
		.amdhsa_accum_offset 4
		.amdhsa_reserve_vcc 0
		.amdhsa_reserve_flat_scratch 0
		.amdhsa_float_round_mode_32 0
		.amdhsa_float_round_mode_16_64 0
		.amdhsa_float_denorm_mode_32 3
		.amdhsa_float_denorm_mode_16_64 3
		.amdhsa_dx10_clamp 1
		.amdhsa_ieee_mode 1
		.amdhsa_fp16_overflow 0
		.amdhsa_tg_split 0
		.amdhsa_exception_fp_ieee_invalid_op 0
		.amdhsa_exception_fp_denorm_src 0
		.amdhsa_exception_fp_ieee_div_zero 0
		.amdhsa_exception_fp_ieee_overflow 0
		.amdhsa_exception_fp_ieee_underflow 0
		.amdhsa_exception_fp_ieee_inexact 0
		.amdhsa_exception_int_div_zero 0
	.end_amdhsa_kernel
	.section	.text._ZN7rocprim17ROCPRIM_400000_NS6detail17trampoline_kernelINS0_14default_configENS1_25partition_config_selectorILNS1_17partition_subalgoE8ElNS0_10empty_typeEbEEZZNS1_14partition_implILS5_8ELb0ES3_jPlPS6_PKS6_NS0_5tupleIJS9_S6_EEENSD_IJSA_SA_EEENS0_18inequality_wrapperIZN2at6native12_GLOBAL__N_124unique_dim_cuda_templateIhEESt5tupleIJNSH_6TensorESM_SM_EERKSM_lbbbEUlllE0_EEPmJS6_EEE10hipError_tPvRmT3_T4_T5_T6_T7_T9_mT8_P12ihipStream_tbDpT10_ENKUlT_T0_E_clISt17integral_constantIbLb1EES1C_EEDaS17_S18_EUlS17_E_NS1_11comp_targetILNS1_3genE0ELNS1_11target_archE4294967295ELNS1_3gpuE0ELNS1_3repE0EEENS1_30default_config_static_selectorELNS0_4arch9wavefront6targetE1EEEvT1_,"axG",@progbits,_ZN7rocprim17ROCPRIM_400000_NS6detail17trampoline_kernelINS0_14default_configENS1_25partition_config_selectorILNS1_17partition_subalgoE8ElNS0_10empty_typeEbEEZZNS1_14partition_implILS5_8ELb0ES3_jPlPS6_PKS6_NS0_5tupleIJS9_S6_EEENSD_IJSA_SA_EEENS0_18inequality_wrapperIZN2at6native12_GLOBAL__N_124unique_dim_cuda_templateIhEESt5tupleIJNSH_6TensorESM_SM_EERKSM_lbbbEUlllE0_EEPmJS6_EEE10hipError_tPvRmT3_T4_T5_T6_T7_T9_mT8_P12ihipStream_tbDpT10_ENKUlT_T0_E_clISt17integral_constantIbLb1EES1C_EEDaS17_S18_EUlS17_E_NS1_11comp_targetILNS1_3genE0ELNS1_11target_archE4294967295ELNS1_3gpuE0ELNS1_3repE0EEENS1_30default_config_static_selectorELNS0_4arch9wavefront6targetE1EEEvT1_,comdat
.Lfunc_end178:
	.size	_ZN7rocprim17ROCPRIM_400000_NS6detail17trampoline_kernelINS0_14default_configENS1_25partition_config_selectorILNS1_17partition_subalgoE8ElNS0_10empty_typeEbEEZZNS1_14partition_implILS5_8ELb0ES3_jPlPS6_PKS6_NS0_5tupleIJS9_S6_EEENSD_IJSA_SA_EEENS0_18inequality_wrapperIZN2at6native12_GLOBAL__N_124unique_dim_cuda_templateIhEESt5tupleIJNSH_6TensorESM_SM_EERKSM_lbbbEUlllE0_EEPmJS6_EEE10hipError_tPvRmT3_T4_T5_T6_T7_T9_mT8_P12ihipStream_tbDpT10_ENKUlT_T0_E_clISt17integral_constantIbLb1EES1C_EEDaS17_S18_EUlS17_E_NS1_11comp_targetILNS1_3genE0ELNS1_11target_archE4294967295ELNS1_3gpuE0ELNS1_3repE0EEENS1_30default_config_static_selectorELNS0_4arch9wavefront6targetE1EEEvT1_, .Lfunc_end178-_ZN7rocprim17ROCPRIM_400000_NS6detail17trampoline_kernelINS0_14default_configENS1_25partition_config_selectorILNS1_17partition_subalgoE8ElNS0_10empty_typeEbEEZZNS1_14partition_implILS5_8ELb0ES3_jPlPS6_PKS6_NS0_5tupleIJS9_S6_EEENSD_IJSA_SA_EEENS0_18inequality_wrapperIZN2at6native12_GLOBAL__N_124unique_dim_cuda_templateIhEESt5tupleIJNSH_6TensorESM_SM_EERKSM_lbbbEUlllE0_EEPmJS6_EEE10hipError_tPvRmT3_T4_T5_T6_T7_T9_mT8_P12ihipStream_tbDpT10_ENKUlT_T0_E_clISt17integral_constantIbLb1EES1C_EEDaS17_S18_EUlS17_E_NS1_11comp_targetILNS1_3genE0ELNS1_11target_archE4294967295ELNS1_3gpuE0ELNS1_3repE0EEENS1_30default_config_static_selectorELNS0_4arch9wavefront6targetE1EEEvT1_
                                        ; -- End function
	.section	.AMDGPU.csdata,"",@progbits
; Kernel info:
; codeLenInByte = 0
; NumSgprs: 4
; NumVgprs: 0
; NumAgprs: 0
; TotalNumVgprs: 0
; ScratchSize: 0
; MemoryBound: 0
; FloatMode: 240
; IeeeMode: 1
; LDSByteSize: 0 bytes/workgroup (compile time only)
; SGPRBlocks: 0
; VGPRBlocks: 0
; NumSGPRsForWavesPerEU: 4
; NumVGPRsForWavesPerEU: 1
; AccumOffset: 4
; Occupancy: 8
; WaveLimiterHint : 0
; COMPUTE_PGM_RSRC2:SCRATCH_EN: 0
; COMPUTE_PGM_RSRC2:USER_SGPR: 6
; COMPUTE_PGM_RSRC2:TRAP_HANDLER: 0
; COMPUTE_PGM_RSRC2:TGID_X_EN: 1
; COMPUTE_PGM_RSRC2:TGID_Y_EN: 0
; COMPUTE_PGM_RSRC2:TGID_Z_EN: 0
; COMPUTE_PGM_RSRC2:TIDIG_COMP_CNT: 0
; COMPUTE_PGM_RSRC3_GFX90A:ACCUM_OFFSET: 0
; COMPUTE_PGM_RSRC3_GFX90A:TG_SPLIT: 0
	.section	.text._ZN7rocprim17ROCPRIM_400000_NS6detail17trampoline_kernelINS0_14default_configENS1_25partition_config_selectorILNS1_17partition_subalgoE8ElNS0_10empty_typeEbEEZZNS1_14partition_implILS5_8ELb0ES3_jPlPS6_PKS6_NS0_5tupleIJS9_S6_EEENSD_IJSA_SA_EEENS0_18inequality_wrapperIZN2at6native12_GLOBAL__N_124unique_dim_cuda_templateIhEESt5tupleIJNSH_6TensorESM_SM_EERKSM_lbbbEUlllE0_EEPmJS6_EEE10hipError_tPvRmT3_T4_T5_T6_T7_T9_mT8_P12ihipStream_tbDpT10_ENKUlT_T0_E_clISt17integral_constantIbLb1EES1C_EEDaS17_S18_EUlS17_E_NS1_11comp_targetILNS1_3genE5ELNS1_11target_archE942ELNS1_3gpuE9ELNS1_3repE0EEENS1_30default_config_static_selectorELNS0_4arch9wavefront6targetE1EEEvT1_,"axG",@progbits,_ZN7rocprim17ROCPRIM_400000_NS6detail17trampoline_kernelINS0_14default_configENS1_25partition_config_selectorILNS1_17partition_subalgoE8ElNS0_10empty_typeEbEEZZNS1_14partition_implILS5_8ELb0ES3_jPlPS6_PKS6_NS0_5tupleIJS9_S6_EEENSD_IJSA_SA_EEENS0_18inequality_wrapperIZN2at6native12_GLOBAL__N_124unique_dim_cuda_templateIhEESt5tupleIJNSH_6TensorESM_SM_EERKSM_lbbbEUlllE0_EEPmJS6_EEE10hipError_tPvRmT3_T4_T5_T6_T7_T9_mT8_P12ihipStream_tbDpT10_ENKUlT_T0_E_clISt17integral_constantIbLb1EES1C_EEDaS17_S18_EUlS17_E_NS1_11comp_targetILNS1_3genE5ELNS1_11target_archE942ELNS1_3gpuE9ELNS1_3repE0EEENS1_30default_config_static_selectorELNS0_4arch9wavefront6targetE1EEEvT1_,comdat
	.globl	_ZN7rocprim17ROCPRIM_400000_NS6detail17trampoline_kernelINS0_14default_configENS1_25partition_config_selectorILNS1_17partition_subalgoE8ElNS0_10empty_typeEbEEZZNS1_14partition_implILS5_8ELb0ES3_jPlPS6_PKS6_NS0_5tupleIJS9_S6_EEENSD_IJSA_SA_EEENS0_18inequality_wrapperIZN2at6native12_GLOBAL__N_124unique_dim_cuda_templateIhEESt5tupleIJNSH_6TensorESM_SM_EERKSM_lbbbEUlllE0_EEPmJS6_EEE10hipError_tPvRmT3_T4_T5_T6_T7_T9_mT8_P12ihipStream_tbDpT10_ENKUlT_T0_E_clISt17integral_constantIbLb1EES1C_EEDaS17_S18_EUlS17_E_NS1_11comp_targetILNS1_3genE5ELNS1_11target_archE942ELNS1_3gpuE9ELNS1_3repE0EEENS1_30default_config_static_selectorELNS0_4arch9wavefront6targetE1EEEvT1_ ; -- Begin function _ZN7rocprim17ROCPRIM_400000_NS6detail17trampoline_kernelINS0_14default_configENS1_25partition_config_selectorILNS1_17partition_subalgoE8ElNS0_10empty_typeEbEEZZNS1_14partition_implILS5_8ELb0ES3_jPlPS6_PKS6_NS0_5tupleIJS9_S6_EEENSD_IJSA_SA_EEENS0_18inequality_wrapperIZN2at6native12_GLOBAL__N_124unique_dim_cuda_templateIhEESt5tupleIJNSH_6TensorESM_SM_EERKSM_lbbbEUlllE0_EEPmJS6_EEE10hipError_tPvRmT3_T4_T5_T6_T7_T9_mT8_P12ihipStream_tbDpT10_ENKUlT_T0_E_clISt17integral_constantIbLb1EES1C_EEDaS17_S18_EUlS17_E_NS1_11comp_targetILNS1_3genE5ELNS1_11target_archE942ELNS1_3gpuE9ELNS1_3repE0EEENS1_30default_config_static_selectorELNS0_4arch9wavefront6targetE1EEEvT1_
	.p2align	8
	.type	_ZN7rocprim17ROCPRIM_400000_NS6detail17trampoline_kernelINS0_14default_configENS1_25partition_config_selectorILNS1_17partition_subalgoE8ElNS0_10empty_typeEbEEZZNS1_14partition_implILS5_8ELb0ES3_jPlPS6_PKS6_NS0_5tupleIJS9_S6_EEENSD_IJSA_SA_EEENS0_18inequality_wrapperIZN2at6native12_GLOBAL__N_124unique_dim_cuda_templateIhEESt5tupleIJNSH_6TensorESM_SM_EERKSM_lbbbEUlllE0_EEPmJS6_EEE10hipError_tPvRmT3_T4_T5_T6_T7_T9_mT8_P12ihipStream_tbDpT10_ENKUlT_T0_E_clISt17integral_constantIbLb1EES1C_EEDaS17_S18_EUlS17_E_NS1_11comp_targetILNS1_3genE5ELNS1_11target_archE942ELNS1_3gpuE9ELNS1_3repE0EEENS1_30default_config_static_selectorELNS0_4arch9wavefront6targetE1EEEvT1_,@function
_ZN7rocprim17ROCPRIM_400000_NS6detail17trampoline_kernelINS0_14default_configENS1_25partition_config_selectorILNS1_17partition_subalgoE8ElNS0_10empty_typeEbEEZZNS1_14partition_implILS5_8ELb0ES3_jPlPS6_PKS6_NS0_5tupleIJS9_S6_EEENSD_IJSA_SA_EEENS0_18inequality_wrapperIZN2at6native12_GLOBAL__N_124unique_dim_cuda_templateIhEESt5tupleIJNSH_6TensorESM_SM_EERKSM_lbbbEUlllE0_EEPmJS6_EEE10hipError_tPvRmT3_T4_T5_T6_T7_T9_mT8_P12ihipStream_tbDpT10_ENKUlT_T0_E_clISt17integral_constantIbLb1EES1C_EEDaS17_S18_EUlS17_E_NS1_11comp_targetILNS1_3genE5ELNS1_11target_archE942ELNS1_3gpuE9ELNS1_3repE0EEENS1_30default_config_static_selectorELNS0_4arch9wavefront6targetE1EEEvT1_: ; @_ZN7rocprim17ROCPRIM_400000_NS6detail17trampoline_kernelINS0_14default_configENS1_25partition_config_selectorILNS1_17partition_subalgoE8ElNS0_10empty_typeEbEEZZNS1_14partition_implILS5_8ELb0ES3_jPlPS6_PKS6_NS0_5tupleIJS9_S6_EEENSD_IJSA_SA_EEENS0_18inequality_wrapperIZN2at6native12_GLOBAL__N_124unique_dim_cuda_templateIhEESt5tupleIJNSH_6TensorESM_SM_EERKSM_lbbbEUlllE0_EEPmJS6_EEE10hipError_tPvRmT3_T4_T5_T6_T7_T9_mT8_P12ihipStream_tbDpT10_ENKUlT_T0_E_clISt17integral_constantIbLb1EES1C_EEDaS17_S18_EUlS17_E_NS1_11comp_targetILNS1_3genE5ELNS1_11target_archE942ELNS1_3gpuE9ELNS1_3repE0EEENS1_30default_config_static_selectorELNS0_4arch9wavefront6targetE1EEEvT1_
; %bb.0:
	.section	.rodata,"a",@progbits
	.p2align	6, 0x0
	.amdhsa_kernel _ZN7rocprim17ROCPRIM_400000_NS6detail17trampoline_kernelINS0_14default_configENS1_25partition_config_selectorILNS1_17partition_subalgoE8ElNS0_10empty_typeEbEEZZNS1_14partition_implILS5_8ELb0ES3_jPlPS6_PKS6_NS0_5tupleIJS9_S6_EEENSD_IJSA_SA_EEENS0_18inequality_wrapperIZN2at6native12_GLOBAL__N_124unique_dim_cuda_templateIhEESt5tupleIJNSH_6TensorESM_SM_EERKSM_lbbbEUlllE0_EEPmJS6_EEE10hipError_tPvRmT3_T4_T5_T6_T7_T9_mT8_P12ihipStream_tbDpT10_ENKUlT_T0_E_clISt17integral_constantIbLb1EES1C_EEDaS17_S18_EUlS17_E_NS1_11comp_targetILNS1_3genE5ELNS1_11target_archE942ELNS1_3gpuE9ELNS1_3repE0EEENS1_30default_config_static_selectorELNS0_4arch9wavefront6targetE1EEEvT1_
		.amdhsa_group_segment_fixed_size 0
		.amdhsa_private_segment_fixed_size 0
		.amdhsa_kernarg_size 136
		.amdhsa_user_sgpr_count 6
		.amdhsa_user_sgpr_private_segment_buffer 1
		.amdhsa_user_sgpr_dispatch_ptr 0
		.amdhsa_user_sgpr_queue_ptr 0
		.amdhsa_user_sgpr_kernarg_segment_ptr 1
		.amdhsa_user_sgpr_dispatch_id 0
		.amdhsa_user_sgpr_flat_scratch_init 0
		.amdhsa_user_sgpr_kernarg_preload_length 0
		.amdhsa_user_sgpr_kernarg_preload_offset 0
		.amdhsa_user_sgpr_private_segment_size 0
		.amdhsa_uses_dynamic_stack 0
		.amdhsa_system_sgpr_private_segment_wavefront_offset 0
		.amdhsa_system_sgpr_workgroup_id_x 1
		.amdhsa_system_sgpr_workgroup_id_y 0
		.amdhsa_system_sgpr_workgroup_id_z 0
		.amdhsa_system_sgpr_workgroup_info 0
		.amdhsa_system_vgpr_workitem_id 0
		.amdhsa_next_free_vgpr 1
		.amdhsa_next_free_sgpr 0
		.amdhsa_accum_offset 4
		.amdhsa_reserve_vcc 0
		.amdhsa_reserve_flat_scratch 0
		.amdhsa_float_round_mode_32 0
		.amdhsa_float_round_mode_16_64 0
		.amdhsa_float_denorm_mode_32 3
		.amdhsa_float_denorm_mode_16_64 3
		.amdhsa_dx10_clamp 1
		.amdhsa_ieee_mode 1
		.amdhsa_fp16_overflow 0
		.amdhsa_tg_split 0
		.amdhsa_exception_fp_ieee_invalid_op 0
		.amdhsa_exception_fp_denorm_src 0
		.amdhsa_exception_fp_ieee_div_zero 0
		.amdhsa_exception_fp_ieee_overflow 0
		.amdhsa_exception_fp_ieee_underflow 0
		.amdhsa_exception_fp_ieee_inexact 0
		.amdhsa_exception_int_div_zero 0
	.end_amdhsa_kernel
	.section	.text._ZN7rocprim17ROCPRIM_400000_NS6detail17trampoline_kernelINS0_14default_configENS1_25partition_config_selectorILNS1_17partition_subalgoE8ElNS0_10empty_typeEbEEZZNS1_14partition_implILS5_8ELb0ES3_jPlPS6_PKS6_NS0_5tupleIJS9_S6_EEENSD_IJSA_SA_EEENS0_18inequality_wrapperIZN2at6native12_GLOBAL__N_124unique_dim_cuda_templateIhEESt5tupleIJNSH_6TensorESM_SM_EERKSM_lbbbEUlllE0_EEPmJS6_EEE10hipError_tPvRmT3_T4_T5_T6_T7_T9_mT8_P12ihipStream_tbDpT10_ENKUlT_T0_E_clISt17integral_constantIbLb1EES1C_EEDaS17_S18_EUlS17_E_NS1_11comp_targetILNS1_3genE5ELNS1_11target_archE942ELNS1_3gpuE9ELNS1_3repE0EEENS1_30default_config_static_selectorELNS0_4arch9wavefront6targetE1EEEvT1_,"axG",@progbits,_ZN7rocprim17ROCPRIM_400000_NS6detail17trampoline_kernelINS0_14default_configENS1_25partition_config_selectorILNS1_17partition_subalgoE8ElNS0_10empty_typeEbEEZZNS1_14partition_implILS5_8ELb0ES3_jPlPS6_PKS6_NS0_5tupleIJS9_S6_EEENSD_IJSA_SA_EEENS0_18inequality_wrapperIZN2at6native12_GLOBAL__N_124unique_dim_cuda_templateIhEESt5tupleIJNSH_6TensorESM_SM_EERKSM_lbbbEUlllE0_EEPmJS6_EEE10hipError_tPvRmT3_T4_T5_T6_T7_T9_mT8_P12ihipStream_tbDpT10_ENKUlT_T0_E_clISt17integral_constantIbLb1EES1C_EEDaS17_S18_EUlS17_E_NS1_11comp_targetILNS1_3genE5ELNS1_11target_archE942ELNS1_3gpuE9ELNS1_3repE0EEENS1_30default_config_static_selectorELNS0_4arch9wavefront6targetE1EEEvT1_,comdat
.Lfunc_end179:
	.size	_ZN7rocprim17ROCPRIM_400000_NS6detail17trampoline_kernelINS0_14default_configENS1_25partition_config_selectorILNS1_17partition_subalgoE8ElNS0_10empty_typeEbEEZZNS1_14partition_implILS5_8ELb0ES3_jPlPS6_PKS6_NS0_5tupleIJS9_S6_EEENSD_IJSA_SA_EEENS0_18inequality_wrapperIZN2at6native12_GLOBAL__N_124unique_dim_cuda_templateIhEESt5tupleIJNSH_6TensorESM_SM_EERKSM_lbbbEUlllE0_EEPmJS6_EEE10hipError_tPvRmT3_T4_T5_T6_T7_T9_mT8_P12ihipStream_tbDpT10_ENKUlT_T0_E_clISt17integral_constantIbLb1EES1C_EEDaS17_S18_EUlS17_E_NS1_11comp_targetILNS1_3genE5ELNS1_11target_archE942ELNS1_3gpuE9ELNS1_3repE0EEENS1_30default_config_static_selectorELNS0_4arch9wavefront6targetE1EEEvT1_, .Lfunc_end179-_ZN7rocprim17ROCPRIM_400000_NS6detail17trampoline_kernelINS0_14default_configENS1_25partition_config_selectorILNS1_17partition_subalgoE8ElNS0_10empty_typeEbEEZZNS1_14partition_implILS5_8ELb0ES3_jPlPS6_PKS6_NS0_5tupleIJS9_S6_EEENSD_IJSA_SA_EEENS0_18inequality_wrapperIZN2at6native12_GLOBAL__N_124unique_dim_cuda_templateIhEESt5tupleIJNSH_6TensorESM_SM_EERKSM_lbbbEUlllE0_EEPmJS6_EEE10hipError_tPvRmT3_T4_T5_T6_T7_T9_mT8_P12ihipStream_tbDpT10_ENKUlT_T0_E_clISt17integral_constantIbLb1EES1C_EEDaS17_S18_EUlS17_E_NS1_11comp_targetILNS1_3genE5ELNS1_11target_archE942ELNS1_3gpuE9ELNS1_3repE0EEENS1_30default_config_static_selectorELNS0_4arch9wavefront6targetE1EEEvT1_
                                        ; -- End function
	.section	.AMDGPU.csdata,"",@progbits
; Kernel info:
; codeLenInByte = 0
; NumSgprs: 4
; NumVgprs: 0
; NumAgprs: 0
; TotalNumVgprs: 0
; ScratchSize: 0
; MemoryBound: 0
; FloatMode: 240
; IeeeMode: 1
; LDSByteSize: 0 bytes/workgroup (compile time only)
; SGPRBlocks: 0
; VGPRBlocks: 0
; NumSGPRsForWavesPerEU: 4
; NumVGPRsForWavesPerEU: 1
; AccumOffset: 4
; Occupancy: 8
; WaveLimiterHint : 0
; COMPUTE_PGM_RSRC2:SCRATCH_EN: 0
; COMPUTE_PGM_RSRC2:USER_SGPR: 6
; COMPUTE_PGM_RSRC2:TRAP_HANDLER: 0
; COMPUTE_PGM_RSRC2:TGID_X_EN: 1
; COMPUTE_PGM_RSRC2:TGID_Y_EN: 0
; COMPUTE_PGM_RSRC2:TGID_Z_EN: 0
; COMPUTE_PGM_RSRC2:TIDIG_COMP_CNT: 0
; COMPUTE_PGM_RSRC3_GFX90A:ACCUM_OFFSET: 0
; COMPUTE_PGM_RSRC3_GFX90A:TG_SPLIT: 0
	.section	.text._ZN7rocprim17ROCPRIM_400000_NS6detail17trampoline_kernelINS0_14default_configENS1_25partition_config_selectorILNS1_17partition_subalgoE8ElNS0_10empty_typeEbEEZZNS1_14partition_implILS5_8ELb0ES3_jPlPS6_PKS6_NS0_5tupleIJS9_S6_EEENSD_IJSA_SA_EEENS0_18inequality_wrapperIZN2at6native12_GLOBAL__N_124unique_dim_cuda_templateIhEESt5tupleIJNSH_6TensorESM_SM_EERKSM_lbbbEUlllE0_EEPmJS6_EEE10hipError_tPvRmT3_T4_T5_T6_T7_T9_mT8_P12ihipStream_tbDpT10_ENKUlT_T0_E_clISt17integral_constantIbLb1EES1C_EEDaS17_S18_EUlS17_E_NS1_11comp_targetILNS1_3genE4ELNS1_11target_archE910ELNS1_3gpuE8ELNS1_3repE0EEENS1_30default_config_static_selectorELNS0_4arch9wavefront6targetE1EEEvT1_,"axG",@progbits,_ZN7rocprim17ROCPRIM_400000_NS6detail17trampoline_kernelINS0_14default_configENS1_25partition_config_selectorILNS1_17partition_subalgoE8ElNS0_10empty_typeEbEEZZNS1_14partition_implILS5_8ELb0ES3_jPlPS6_PKS6_NS0_5tupleIJS9_S6_EEENSD_IJSA_SA_EEENS0_18inequality_wrapperIZN2at6native12_GLOBAL__N_124unique_dim_cuda_templateIhEESt5tupleIJNSH_6TensorESM_SM_EERKSM_lbbbEUlllE0_EEPmJS6_EEE10hipError_tPvRmT3_T4_T5_T6_T7_T9_mT8_P12ihipStream_tbDpT10_ENKUlT_T0_E_clISt17integral_constantIbLb1EES1C_EEDaS17_S18_EUlS17_E_NS1_11comp_targetILNS1_3genE4ELNS1_11target_archE910ELNS1_3gpuE8ELNS1_3repE0EEENS1_30default_config_static_selectorELNS0_4arch9wavefront6targetE1EEEvT1_,comdat
	.globl	_ZN7rocprim17ROCPRIM_400000_NS6detail17trampoline_kernelINS0_14default_configENS1_25partition_config_selectorILNS1_17partition_subalgoE8ElNS0_10empty_typeEbEEZZNS1_14partition_implILS5_8ELb0ES3_jPlPS6_PKS6_NS0_5tupleIJS9_S6_EEENSD_IJSA_SA_EEENS0_18inequality_wrapperIZN2at6native12_GLOBAL__N_124unique_dim_cuda_templateIhEESt5tupleIJNSH_6TensorESM_SM_EERKSM_lbbbEUlllE0_EEPmJS6_EEE10hipError_tPvRmT3_T4_T5_T6_T7_T9_mT8_P12ihipStream_tbDpT10_ENKUlT_T0_E_clISt17integral_constantIbLb1EES1C_EEDaS17_S18_EUlS17_E_NS1_11comp_targetILNS1_3genE4ELNS1_11target_archE910ELNS1_3gpuE8ELNS1_3repE0EEENS1_30default_config_static_selectorELNS0_4arch9wavefront6targetE1EEEvT1_ ; -- Begin function _ZN7rocprim17ROCPRIM_400000_NS6detail17trampoline_kernelINS0_14default_configENS1_25partition_config_selectorILNS1_17partition_subalgoE8ElNS0_10empty_typeEbEEZZNS1_14partition_implILS5_8ELb0ES3_jPlPS6_PKS6_NS0_5tupleIJS9_S6_EEENSD_IJSA_SA_EEENS0_18inequality_wrapperIZN2at6native12_GLOBAL__N_124unique_dim_cuda_templateIhEESt5tupleIJNSH_6TensorESM_SM_EERKSM_lbbbEUlllE0_EEPmJS6_EEE10hipError_tPvRmT3_T4_T5_T6_T7_T9_mT8_P12ihipStream_tbDpT10_ENKUlT_T0_E_clISt17integral_constantIbLb1EES1C_EEDaS17_S18_EUlS17_E_NS1_11comp_targetILNS1_3genE4ELNS1_11target_archE910ELNS1_3gpuE8ELNS1_3repE0EEENS1_30default_config_static_selectorELNS0_4arch9wavefront6targetE1EEEvT1_
	.p2align	8
	.type	_ZN7rocprim17ROCPRIM_400000_NS6detail17trampoline_kernelINS0_14default_configENS1_25partition_config_selectorILNS1_17partition_subalgoE8ElNS0_10empty_typeEbEEZZNS1_14partition_implILS5_8ELb0ES3_jPlPS6_PKS6_NS0_5tupleIJS9_S6_EEENSD_IJSA_SA_EEENS0_18inequality_wrapperIZN2at6native12_GLOBAL__N_124unique_dim_cuda_templateIhEESt5tupleIJNSH_6TensorESM_SM_EERKSM_lbbbEUlllE0_EEPmJS6_EEE10hipError_tPvRmT3_T4_T5_T6_T7_T9_mT8_P12ihipStream_tbDpT10_ENKUlT_T0_E_clISt17integral_constantIbLb1EES1C_EEDaS17_S18_EUlS17_E_NS1_11comp_targetILNS1_3genE4ELNS1_11target_archE910ELNS1_3gpuE8ELNS1_3repE0EEENS1_30default_config_static_selectorELNS0_4arch9wavefront6targetE1EEEvT1_,@function
_ZN7rocprim17ROCPRIM_400000_NS6detail17trampoline_kernelINS0_14default_configENS1_25partition_config_selectorILNS1_17partition_subalgoE8ElNS0_10empty_typeEbEEZZNS1_14partition_implILS5_8ELb0ES3_jPlPS6_PKS6_NS0_5tupleIJS9_S6_EEENSD_IJSA_SA_EEENS0_18inequality_wrapperIZN2at6native12_GLOBAL__N_124unique_dim_cuda_templateIhEESt5tupleIJNSH_6TensorESM_SM_EERKSM_lbbbEUlllE0_EEPmJS6_EEE10hipError_tPvRmT3_T4_T5_T6_T7_T9_mT8_P12ihipStream_tbDpT10_ENKUlT_T0_E_clISt17integral_constantIbLb1EES1C_EEDaS17_S18_EUlS17_E_NS1_11comp_targetILNS1_3genE4ELNS1_11target_archE910ELNS1_3gpuE8ELNS1_3repE0EEENS1_30default_config_static_selectorELNS0_4arch9wavefront6targetE1EEEvT1_: ; @_ZN7rocprim17ROCPRIM_400000_NS6detail17trampoline_kernelINS0_14default_configENS1_25partition_config_selectorILNS1_17partition_subalgoE8ElNS0_10empty_typeEbEEZZNS1_14partition_implILS5_8ELb0ES3_jPlPS6_PKS6_NS0_5tupleIJS9_S6_EEENSD_IJSA_SA_EEENS0_18inequality_wrapperIZN2at6native12_GLOBAL__N_124unique_dim_cuda_templateIhEESt5tupleIJNSH_6TensorESM_SM_EERKSM_lbbbEUlllE0_EEPmJS6_EEE10hipError_tPvRmT3_T4_T5_T6_T7_T9_mT8_P12ihipStream_tbDpT10_ENKUlT_T0_E_clISt17integral_constantIbLb1EES1C_EEDaS17_S18_EUlS17_E_NS1_11comp_targetILNS1_3genE4ELNS1_11target_archE910ELNS1_3gpuE8ELNS1_3repE0EEENS1_30default_config_static_selectorELNS0_4arch9wavefront6targetE1EEEvT1_
; %bb.0:
	s_load_dwordx2 s[28:29], s[4:5], 0x28
	s_load_dwordx8 s[20:27], s[4:5], 0x40
	s_load_dwordx4 s[16:19], s[4:5], 0x60
	v_cmp_ne_u32_e64 s[2:3], 0, v0
	v_cmp_eq_u32_e64 s[0:1], 0, v0
	s_and_saveexec_b64 s[6:7], s[0:1]
	s_cbranch_execz .LBB180_4
; %bb.1:
	s_mov_b64 s[10:11], exec
	v_mbcnt_lo_u32_b32 v1, s10, 0
	v_mbcnt_hi_u32_b32 v1, s11, v1
	v_cmp_eq_u32_e32 vcc, 0, v1
                                        ; implicit-def: $vgpr2
	s_and_saveexec_b64 s[8:9], vcc
	s_cbranch_execz .LBB180_3
; %bb.2:
	s_load_dwordx2 s[12:13], s[4:5], 0x78
	s_bcnt1_i32_b64 s10, s[10:11]
	v_mov_b32_e32 v2, 0
	v_mov_b32_e32 v3, s10
	s_waitcnt lgkmcnt(0)
	global_atomic_add v2, v2, v3, s[12:13] glc
.LBB180_3:
	s_or_b64 exec, exec, s[8:9]
	s_waitcnt vmcnt(0)
	v_readfirstlane_b32 s8, v2
	v_add_u32_e32 v1, s8, v1
	v_mov_b32_e32 v2, 0
	ds_write_b32 v2, v1
.LBB180_4:
	s_or_b64 exec, exec, s[6:7]
	v_mov_b32_e32 v3, 0
	s_load_dwordx4 s[8:11], s[4:5], 0x8
	s_load_dword s6, s[4:5], 0x70
	s_waitcnt lgkmcnt(0)
	s_barrier
	ds_read_b32 v1, v3
	s_waitcnt lgkmcnt(0)
	s_barrier
	global_load_dwordx2 v[4:5], v3, s[22:23]
	s_lshl_b64 s[4:5], s[10:11], 3
	s_mul_i32 s14, s6, 0x500
	s_add_u32 s8, s8, s4
	s_addc_u32 s4, s9, s5
	s_add_i32 s5, s14, s10
	s_add_i32 s6, s6, -1
	s_sub_i32 s48, s24, s5
	v_mov_b32_e32 v8, s4
	s_add_u32 s4, s10, s14
	s_addc_u32 s5, s11, 0
	v_readfirstlane_b32 s33, v1
	v_mov_b32_e32 v6, s24
	v_mov_b32_e32 v7, s25
	s_movk_i32 s7, 0x500
	s_cmp_eq_u32 s33, s6
	v_mul_lo_u32 v2, v1, s7
	v_cmp_ge_u64_e32 vcc, s[4:5], v[6:7]
	s_cselect_b64 s[24:25], -1, 0
	v_lshlrev_b64 v[2:3], 3, v[2:3]
	s_and_b64 s[6:7], vcc, s[24:25]
	v_add_co_u32_e64 v18, s[4:5], s8, v2
	s_xor_b64 s[30:31], s[6:7], -1
	s_mov_b64 s[12:13], -1
	v_addc_co_u32_e64 v19, s[4:5], v8, v3, s[4:5]
	s_and_b64 vcc, exec, s[30:31]
	s_waitcnt vmcnt(0)
	v_readfirstlane_b32 s22, v4
	v_readfirstlane_b32 s23, v5
	s_cbranch_vccz .LBB180_6
; %bb.5:
	v_lshlrev_b32_e32 v1, 3, v0
	v_add_co_u32_e32 v12, vcc, v18, v1
	v_addc_co_u32_e32 v13, vcc, 0, v19, vcc
	v_add_co_u32_e32 v2, vcc, 0x1000, v12
	v_readfirstlane_b32 s4, v18
	v_readfirstlane_b32 s5, v19
	v_addc_co_u32_e32 v3, vcc, 0, v13, vcc
	s_nop 3
	global_load_dwordx2 v[4:5], v1, s[4:5]
	global_load_dwordx2 v[6:7], v1, s[4:5] offset:2048
	global_load_dwordx2 v[8:9], v[2:3], off
	global_load_dwordx2 v[10:11], v[2:3], off offset:2048
	v_add_co_u32_e32 v2, vcc, 0x2000, v12
	v_addc_co_u32_e32 v3, vcc, 0, v13, vcc
	global_load_dwordx2 v[2:3], v[2:3], off
	s_mov_b64 s[12:13], 0
	s_waitcnt vmcnt(3)
	ds_write2st64_b64 v1, v[4:5], v[6:7] offset1:4
	s_waitcnt vmcnt(1)
	ds_write2st64_b64 v1, v[8:9], v[10:11] offset0:8 offset1:12
	s_waitcnt vmcnt(0)
	ds_write_b64 v1, v[2:3] offset:8192
	s_waitcnt lgkmcnt(0)
	s_barrier
.LBB180_6:
	s_andn2_b64 vcc, exec, s[12:13]
	s_addk_i32 s48, 0x500
	s_cbranch_vccnz .LBB180_18
; %bb.7:
	v_cmp_gt_u32_e32 vcc, s48, v0
                                        ; implicit-def: $vgpr2_vgpr3_vgpr4_vgpr5_vgpr6_vgpr7_vgpr8_vgpr9_vgpr10_vgpr11_vgpr12_vgpr13_vgpr14_vgpr15_vgpr16_vgpr17
	s_and_saveexec_b64 s[4:5], vcc
	s_cbranch_execz .LBB180_9
; %bb.8:
	v_lshlrev_b32_e32 v1, 3, v0
	v_readfirstlane_b32 s8, v18
	v_readfirstlane_b32 s9, v19
	s_nop 4
	global_load_dwordx2 v[2:3], v1, s[8:9]
.LBB180_9:
	s_or_b64 exec, exec, s[4:5]
	v_or_b32_e32 v1, 0x100, v0
	v_cmp_gt_u32_e32 vcc, s48, v1
	s_and_saveexec_b64 s[4:5], vcc
	s_cbranch_execz .LBB180_11
; %bb.10:
	v_lshlrev_b32_e32 v1, 3, v0
	v_readfirstlane_b32 s8, v18
	v_readfirstlane_b32 s9, v19
	s_nop 4
	global_load_dwordx2 v[4:5], v1, s[8:9] offset:2048
.LBB180_11:
	s_or_b64 exec, exec, s[4:5]
	v_or_b32_e32 v1, 0x200, v0
	v_cmp_gt_u32_e32 vcc, s48, v1
	s_and_saveexec_b64 s[4:5], vcc
	s_cbranch_execz .LBB180_13
; %bb.12:
	v_lshlrev_b32_e32 v1, 3, v1
	v_readfirstlane_b32 s8, v18
	v_readfirstlane_b32 s9, v19
	s_nop 4
	global_load_dwordx2 v[6:7], v1, s[8:9]
.LBB180_13:
	s_or_b64 exec, exec, s[4:5]
	v_or_b32_e32 v1, 0x300, v0
	v_cmp_gt_u32_e32 vcc, s48, v1
	s_and_saveexec_b64 s[4:5], vcc
	s_cbranch_execz .LBB180_15
; %bb.14:
	v_lshlrev_b32_e32 v1, 3, v1
	v_readfirstlane_b32 s8, v18
	v_readfirstlane_b32 s9, v19
	s_nop 4
	global_load_dwordx2 v[8:9], v1, s[8:9]
.LBB180_15:
	;; [unrolled: 12-line block ×3, first 2 shown]
	s_or_b64 exec, exec, s[4:5]
	v_lshlrev_b32_e32 v1, 3, v0
	s_waitcnt vmcnt(0)
	ds_write2st64_b64 v1, v[2:3], v[4:5] offset1:4
	ds_write2st64_b64 v1, v[6:7], v[8:9] offset0:8 offset1:12
	ds_write_b64 v1, v[10:11] offset:8192
	s_waitcnt lgkmcnt(0)
	s_barrier
.LBB180_18:
	v_mul_u32_u24_e32 v1, 5, v0
	v_lshlrev_b32_e32 v26, 3, v1
	ds_read2_b64 v[6:9], v26 offset1:1
	ds_read2_b64 v[2:5], v26 offset0:2 offset1:3
	ds_read_b64 v[10:11], v26 offset:32
	s_cmp_lg_u32 s33, 0
	s_cselect_b64 s[34:35], -1, 0
	s_cmp_lg_u64 s[10:11], 0
	s_cselect_b64 s[4:5], -1, 0
	s_or_b64 s[4:5], s[4:5], s[34:35]
	v_mad_u32_u24 v24, v0, 5, 1
	v_mad_u32_u24 v22, v0, 5, 2
	;; [unrolled: 1-line block ×4, first 2 shown]
	s_mov_b64 s[8:9], 0
	s_and_b64 vcc, exec, s[4:5]
	v_cmp_gt_i64_e64 s[4:5], s[26:27], 0
	s_waitcnt lgkmcnt(0)
	s_barrier
	s_cbranch_vccz .LBB180_27
; %bb.19:
	global_load_dwordx2 v[14:15], v[18:19], off offset:-8
	v_cndmask_b32_e64 v12, 0, 1, s[4:5]
	v_lshlrev_b32_e32 v27, 3, v0
	s_and_b64 vcc, exec, s[30:31]
	v_cmp_ne_u32_e64 s[4:5], 1, v12
	ds_write_b64 v27, v[10:11]
	s_cbranch_vccz .LBB180_28
; %bb.20:
	v_mul_lo_u32 v16, v5, s26
	v_mul_lo_u32 v17, v4, s27
	v_mad_u64_u32 v[12:13], s[10:11], v4, s26, 0
	s_and_b64 vcc, exec, s[4:5]
	v_add3_u32 v13, v13, v17, v16
	s_cbranch_vccnz .LBB180_31
; %bb.21:
	v_mov_b32_e32 v17, s17
	v_add_co_u32_e32 v16, vcc, s16, v12
	v_pk_mov_b32 v[18:19], s[16:17], s[16:17] op_sel:[0,1]
	v_addc_co_u32_e32 v17, vcc, v17, v13, vcc
	v_mad_u64_u32 v[18:19], s[8:9], v10, s26, v[18:19]
	v_mul_lo_u32 v20, v10, s27
	v_mul_lo_u32 v21, v11, s26
	v_add3_u32 v19, v21, v19, v20
	global_load_ubyte v20, v[16:17], off
	global_load_ubyte v21, v[18:19], off
	s_mov_b64 s[8:9], -1
	s_waitcnt vmcnt(0)
	v_cmp_eq_u16_e32 vcc, v20, v21
	s_and_saveexec_b64 s[10:11], vcc
	s_cbranch_execz .LBB180_30
; %bb.22:
	s_mov_b64 s[14:15], 1
	s_mov_b64 s[8:9], 0
                                        ; implicit-def: $sgpr12_sgpr13
	s_branch .LBB180_25
.LBB180_23:                             ;   in Loop: Header=BB180_25 Depth=1
	v_mov_b32_e32 v29, s15
	v_add_co_u32_e32 v20, vcc, s14, v16
	v_addc_co_u32_e32 v21, vcc, v17, v29, vcc
	v_add_co_u32_e32 v28, vcc, s14, v18
	v_addc_co_u32_e32 v29, vcc, v19, v29, vcc
	global_load_ubyte v30, v[20:21], off
	global_load_ubyte v31, v[28:29], off
	s_add_u32 s36, s14, 1
	s_addc_u32 s37, s15, 0
	s_andn2_b64 s[12:13], s[12:13], exec
	s_waitcnt vmcnt(0)
	v_cmp_ne_u16_e32 vcc, v30, v31
	s_and_b64 s[38:39], vcc, exec
	s_or_b64 s[12:13], s[12:13], s[38:39]
.LBB180_24:                             ;   in Loop: Header=BB180_25 Depth=1
	s_and_b64 s[38:39], exec, s[12:13]
	s_or_b64 s[8:9], s[38:39], s[8:9]
	v_pk_mov_b32 v[20:21], s[14:15], s[14:15] op_sel:[0,1]
	s_mov_b64 s[14:15], s[36:37]
	s_andn2_b64 exec, exec, s[8:9]
	s_cbranch_execz .LBB180_29
.LBB180_25:                             ; =>This Inner Loop Header: Depth=1
	s_or_b64 s[12:13], s[12:13], exec
	s_cmp_eq_u64 s[26:27], s[14:15]
	s_cbranch_scc0 .LBB180_23
; %bb.26:                               ;   in Loop: Header=BB180_25 Depth=1
                                        ; implicit-def: $sgpr36_sgpr37
	s_mov_b64 s[14:15], s[26:27]
	s_branch .LBB180_24
.LBB180_27:
                                        ; implicit-def: $sgpr12_sgpr13
                                        ; implicit-def: $vgpr13
                                        ; implicit-def: $vgpr16
	s_branch .LBB180_129
.LBB180_28:
                                        ; implicit-def: $sgpr12_sgpr13
                                        ; implicit-def: $vgpr13
                                        ; implicit-def: $vgpr16
	s_cbranch_execnz .LBB180_70
	s_branch .LBB180_128
.LBB180_29:
	s_or_b64 exec, exec, s[8:9]
	v_cmp_gt_i64_e32 vcc, s[26:27], v[20:21]
	s_orn2_b64 s[8:9], vcc, exec
.LBB180_30:
	s_or_b64 exec, exec, s[10:11]
.LBB180_31:
	v_mul_lo_u32 v16, v3, s26
	v_mul_lo_u32 v17, v2, s27
	v_mad_u64_u32 v[18:19], s[10:11], v2, s26, 0
	v_add3_u32 v19, v19, v17, v16
	s_mov_b64 s[10:11], 0
	s_and_b64 vcc, exec, s[4:5]
	s_mov_b64 s[12:13], 0
	s_cbranch_vccnz .LBB180_40
; %bb.32:
	v_mov_b32_e32 v17, s17
	v_add_co_u32_e32 v16, vcc, s16, v18
	v_addc_co_u32_e32 v17, vcc, v17, v19, vcc
	v_mov_b32_e32 v20, s17
	v_add_co_u32_e32 v12, vcc, s16, v12
	v_addc_co_u32_e32 v13, vcc, v20, v13, vcc
	global_load_ubyte v20, v[16:17], off
	global_load_ubyte v21, v[12:13], off
	s_mov_b64 s[12:13], -1
	s_waitcnt vmcnt(0)
	v_cmp_eq_u16_e32 vcc, v20, v21
	s_and_saveexec_b64 s[14:15], vcc
	s_cbranch_execz .LBB180_39
; %bb.33:
	s_mov_b64 s[38:39], 1
	s_mov_b64 s[12:13], 0
                                        ; implicit-def: $sgpr36_sgpr37
	s_branch .LBB180_36
.LBB180_34:                             ;   in Loop: Header=BB180_36 Depth=1
	v_mov_b32_e32 v29, s39
	v_add_co_u32_e32 v20, vcc, s38, v16
	v_addc_co_u32_e32 v21, vcc, v17, v29, vcc
	v_add_co_u32_e32 v28, vcc, s38, v12
	v_addc_co_u32_e32 v29, vcc, v13, v29, vcc
	global_load_ubyte v30, v[20:21], off
	global_load_ubyte v31, v[28:29], off
	s_add_u32 s40, s38, 1
	s_addc_u32 s41, s39, 0
	s_andn2_b64 s[36:37], s[36:37], exec
	s_waitcnt vmcnt(0)
	v_cmp_ne_u16_e32 vcc, v30, v31
	s_and_b64 s[42:43], vcc, exec
	s_or_b64 s[36:37], s[36:37], s[42:43]
.LBB180_35:                             ;   in Loop: Header=BB180_36 Depth=1
	s_and_b64 s[42:43], exec, s[36:37]
	s_or_b64 s[12:13], s[42:43], s[12:13]
	v_pk_mov_b32 v[20:21], s[38:39], s[38:39] op_sel:[0,1]
	s_mov_b64 s[38:39], s[40:41]
	s_andn2_b64 exec, exec, s[12:13]
	s_cbranch_execz .LBB180_38
.LBB180_36:                             ; =>This Inner Loop Header: Depth=1
	s_or_b64 s[36:37], s[36:37], exec
	s_cmp_eq_u64 s[26:27], s[38:39]
	s_cbranch_scc0 .LBB180_34
; %bb.37:                               ;   in Loop: Header=BB180_36 Depth=1
                                        ; implicit-def: $sgpr40_sgpr41
	s_mov_b64 s[38:39], s[26:27]
	s_branch .LBB180_35
.LBB180_38:
	s_or_b64 exec, exec, s[12:13]
	v_cmp_gt_i64_e32 vcc, s[26:27], v[20:21]
	s_orn2_b64 s[12:13], vcc, exec
.LBB180_39:
	s_or_b64 exec, exec, s[14:15]
.LBB180_40:
	v_mul_lo_u32 v12, v9, s26
	v_mul_lo_u32 v13, v8, s27
	v_mad_u64_u32 v[16:17], s[14:15], v8, s26, 0
	s_and_b64 vcc, exec, s[4:5]
	v_add3_u32 v17, v17, v13, v12
	s_cbranch_vccnz .LBB180_49
; %bb.41:
	v_mov_b32_e32 v13, s17
	v_add_co_u32_e32 v12, vcc, s16, v16
	v_addc_co_u32_e32 v13, vcc, v13, v17, vcc
	v_mov_b32_e32 v20, s17
	v_add_co_u32_e32 v18, vcc, s16, v18
	v_addc_co_u32_e32 v19, vcc, v20, v19, vcc
	global_load_ubyte v20, v[12:13], off
	global_load_ubyte v21, v[18:19], off
	s_mov_b64 s[10:11], -1
	s_waitcnt vmcnt(0)
	v_cmp_eq_u16_e32 vcc, v20, v21
	s_and_saveexec_b64 s[14:15], vcc
	s_cbranch_execz .LBB180_48
; %bb.42:
	s_mov_b64 s[38:39], 1
	s_mov_b64 s[10:11], 0
                                        ; implicit-def: $sgpr36_sgpr37
	s_branch .LBB180_45
.LBB180_43:                             ;   in Loop: Header=BB180_45 Depth=1
	v_mov_b32_e32 v29, s39
	v_add_co_u32_e32 v20, vcc, s38, v12
	v_addc_co_u32_e32 v21, vcc, v13, v29, vcc
	v_add_co_u32_e32 v28, vcc, s38, v18
	v_addc_co_u32_e32 v29, vcc, v19, v29, vcc
	global_load_ubyte v30, v[20:21], off
	global_load_ubyte v31, v[28:29], off
	s_add_u32 s40, s38, 1
	s_addc_u32 s41, s39, 0
	s_andn2_b64 s[36:37], s[36:37], exec
	s_waitcnt vmcnt(0)
	v_cmp_ne_u16_e32 vcc, v30, v31
	s_and_b64 s[42:43], vcc, exec
	s_or_b64 s[36:37], s[36:37], s[42:43]
.LBB180_44:                             ;   in Loop: Header=BB180_45 Depth=1
	s_and_b64 s[42:43], exec, s[36:37]
	s_or_b64 s[10:11], s[42:43], s[10:11]
	v_pk_mov_b32 v[20:21], s[38:39], s[38:39] op_sel:[0,1]
	s_mov_b64 s[38:39], s[40:41]
	s_andn2_b64 exec, exec, s[10:11]
	s_cbranch_execz .LBB180_47
.LBB180_45:                             ; =>This Inner Loop Header: Depth=1
	s_or_b64 s[36:37], s[36:37], exec
	s_cmp_eq_u64 s[26:27], s[38:39]
	s_cbranch_scc0 .LBB180_43
; %bb.46:                               ;   in Loop: Header=BB180_45 Depth=1
                                        ; implicit-def: $sgpr40_sgpr41
	s_mov_b64 s[38:39], s[26:27]
	s_branch .LBB180_44
.LBB180_47:
	s_or_b64 exec, exec, s[10:11]
	v_cmp_gt_i64_e32 vcc, s[26:27], v[20:21]
	s_orn2_b64 s[10:11], vcc, exec
.LBB180_48:
	s_or_b64 exec, exec, s[14:15]
.LBB180_49:
	v_mul_lo_u32 v18, v7, s26
	v_mul_lo_u32 v19, v6, s27
	v_mad_u64_u32 v[12:13], s[14:15], v6, s26, 0
	v_add3_u32 v13, v13, v19, v18
	s_and_b64 vcc, exec, s[4:5]
	s_mov_b64 s[36:37], 0
	s_cbranch_vccnz .LBB180_58
; %bb.50:
	v_mov_b32_e32 v19, s17
	v_add_co_u32_e32 v18, vcc, s16, v12
	v_addc_co_u32_e32 v19, vcc, v19, v13, vcc
	v_mov_b32_e32 v20, s17
	v_add_co_u32_e32 v16, vcc, s16, v16
	v_addc_co_u32_e32 v17, vcc, v20, v17, vcc
	global_load_ubyte v20, v[18:19], off
	global_load_ubyte v21, v[16:17], off
	s_mov_b64 s[36:37], -1
	s_waitcnt vmcnt(0)
	v_cmp_eq_u16_e32 vcc, v20, v21
	s_and_saveexec_b64 s[14:15], vcc
	s_cbranch_execz .LBB180_57
; %bb.51:
	s_mov_b64 s[40:41], 1
	s_mov_b64 s[36:37], 0
                                        ; implicit-def: $sgpr38_sgpr39
	s_branch .LBB180_54
.LBB180_52:                             ;   in Loop: Header=BB180_54 Depth=1
	v_mov_b32_e32 v29, s41
	v_add_co_u32_e32 v20, vcc, s40, v18
	v_addc_co_u32_e32 v21, vcc, v19, v29, vcc
	v_add_co_u32_e32 v28, vcc, s40, v16
	v_addc_co_u32_e32 v29, vcc, v17, v29, vcc
	global_load_ubyte v30, v[20:21], off
	global_load_ubyte v31, v[28:29], off
	s_add_u32 s42, s40, 1
	s_addc_u32 s43, s41, 0
	s_andn2_b64 s[38:39], s[38:39], exec
	s_waitcnt vmcnt(0)
	v_cmp_ne_u16_e32 vcc, v30, v31
	s_and_b64 s[44:45], vcc, exec
	s_or_b64 s[38:39], s[38:39], s[44:45]
.LBB180_53:                             ;   in Loop: Header=BB180_54 Depth=1
	s_and_b64 s[44:45], exec, s[38:39]
	s_or_b64 s[36:37], s[44:45], s[36:37]
	v_pk_mov_b32 v[20:21], s[40:41], s[40:41] op_sel:[0,1]
	s_mov_b64 s[40:41], s[42:43]
	s_andn2_b64 exec, exec, s[36:37]
	s_cbranch_execz .LBB180_56
.LBB180_54:                             ; =>This Inner Loop Header: Depth=1
	s_or_b64 s[38:39], s[38:39], exec
	s_cmp_eq_u64 s[26:27], s[40:41]
	s_cbranch_scc0 .LBB180_52
; %bb.55:                               ;   in Loop: Header=BB180_54 Depth=1
                                        ; implicit-def: $sgpr42_sgpr43
	s_mov_b64 s[40:41], s[26:27]
	s_branch .LBB180_53
.LBB180_56:
	s_or_b64 exec, exec, s[36:37]
	v_cmp_gt_i64_e32 vcc, s[26:27], v[20:21]
	s_orn2_b64 s[36:37], vcc, exec
.LBB180_57:
	s_or_b64 exec, exec, s[14:15]
.LBB180_58:
	s_waitcnt vmcnt(0)
	v_pk_mov_b32 v[18:19], v[14:15], v[14:15] op_sel:[0,1]
	s_waitcnt lgkmcnt(0)
	s_barrier
	s_and_saveexec_b64 s[14:15], s[2:3]
	s_cbranch_execz .LBB180_60
; %bb.59:
	v_add_u32_e32 v16, -8, v27
	ds_read_b64 v[18:19], v16
.LBB180_60:
	s_or_b64 exec, exec, s[14:15]
	v_cndmask_b32_e64 v17, 0, 1, s[12:13]
	v_cndmask_b32_e64 v16, 0, 1, s[10:11]
	;; [unrolled: 1-line block ×3, first 2 shown]
	v_lshlrev_b16_e32 v17, 8, v17
	v_lshlrev_b16_e32 v20, 8, v20
	v_or_b32_sdwa v21, v16, v17 dst_sel:WORD_1 dst_unused:UNUSED_PAD src0_sel:DWORD src1_sel:DWORD
	s_mov_b64 s[10:11], 0
	s_and_b64 vcc, exec, s[4:5]
	s_mov_b64 s[12:13], 0
	s_cbranch_vccnz .LBB180_69
; %bb.61:
	v_pk_mov_b32 v[16:17], s[16:17], s[16:17] op_sel:[0,1]
	s_waitcnt lgkmcnt(0)
	v_mad_u64_u32 v[16:17], s[12:13], v18, s26, v[16:17]
	v_mul_lo_u32 v18, v18, s27
	v_mul_lo_u32 v19, v19, s26
	v_add3_u32 v17, v19, v17, v18
	v_mov_b32_e32 v18, s17
	v_add_co_u32_e32 v12, vcc, s16, v12
	v_addc_co_u32_e32 v13, vcc, v18, v13, vcc
	global_load_ubyte v18, v[16:17], off
	global_load_ubyte v19, v[12:13], off
	s_mov_b64 s[12:13], -1
	s_waitcnt vmcnt(0)
	v_cmp_eq_u16_e32 vcc, v18, v19
	s_and_saveexec_b64 s[14:15], vcc
	s_cbranch_execz .LBB180_68
; %bb.62:
	s_mov_b64 s[38:39], 1
	s_mov_b64 s[12:13], 0
                                        ; implicit-def: $sgpr36_sgpr37
	s_branch .LBB180_65
.LBB180_63:                             ;   in Loop: Header=BB180_65 Depth=1
	v_mov_b32_e32 v29, s39
	v_add_co_u32_e32 v18, vcc, s38, v16
	v_addc_co_u32_e32 v19, vcc, v17, v29, vcc
	v_add_co_u32_e32 v28, vcc, s38, v12
	v_addc_co_u32_e32 v29, vcc, v13, v29, vcc
	global_load_ubyte v30, v[18:19], off
	global_load_ubyte v31, v[28:29], off
	s_add_u32 s40, s38, 1
	s_addc_u32 s41, s39, 0
	s_andn2_b64 s[36:37], s[36:37], exec
	s_waitcnt vmcnt(0)
	v_cmp_ne_u16_e32 vcc, v30, v31
	s_and_b64 s[42:43], vcc, exec
	s_or_b64 s[36:37], s[36:37], s[42:43]
.LBB180_64:                             ;   in Loop: Header=BB180_65 Depth=1
	s_and_b64 s[42:43], exec, s[36:37]
	s_or_b64 s[12:13], s[42:43], s[12:13]
	v_pk_mov_b32 v[18:19], s[38:39], s[38:39] op_sel:[0,1]
	s_mov_b64 s[38:39], s[40:41]
	s_andn2_b64 exec, exec, s[12:13]
	s_cbranch_execz .LBB180_67
.LBB180_65:                             ; =>This Inner Loop Header: Depth=1
	s_or_b64 s[36:37], s[36:37], exec
	s_cmp_eq_u64 s[26:27], s[38:39]
	s_cbranch_scc0 .LBB180_63
; %bb.66:                               ;   in Loop: Header=BB180_65 Depth=1
                                        ; implicit-def: $sgpr40_sgpr41
	s_mov_b64 s[38:39], s[26:27]
	s_branch .LBB180_64
.LBB180_67:
	s_or_b64 exec, exec, s[12:13]
	v_cmp_gt_i64_e32 vcc, s[26:27], v[18:19]
	s_orn2_b64 s[12:13], vcc, exec
.LBB180_68:
	s_or_b64 exec, exec, s[14:15]
.LBB180_69:
	v_cndmask_b32_e64 v13, 0, 1, s[8:9]
	v_or_b32_e32 v16, v20, v21
	s_and_b64 vcc, exec, s[10:11]
	s_cbranch_vccz .LBB180_128
.LBB180_70:
	v_cmp_gt_u32_e32 vcc, s48, v23
	s_mov_b64 s[10:11], 0
	s_mov_b64 s[8:9], 0
	s_and_saveexec_b64 s[12:13], vcc
	s_cbranch_execz .LBB180_81
; %bb.71:
	s_and_b64 vcc, exec, s[4:5]
	s_mov_b64 s[14:15], 0
	s_cbranch_vccnz .LBB180_80
; %bb.72:
	v_pk_mov_b32 v[16:17], s[16:17], s[16:17] op_sel:[0,1]
	v_mad_u64_u32 v[12:13], s[8:9], v4, s26, v[16:17]
	s_waitcnt lgkmcnt(0)
	v_mul_lo_u32 v18, v4, s27
	v_mul_lo_u32 v19, v5, s26
	v_add3_u32 v13, v19, v13, v18
	v_mad_u64_u32 v[16:17], s[8:9], v10, s26, v[16:17]
	v_mul_lo_u32 v18, v10, s27
	v_mul_lo_u32 v19, v11, s26
	v_add3_u32 v17, v19, v17, v18
	global_load_ubyte v18, v[12:13], off
	global_load_ubyte v19, v[16:17], off
	s_mov_b64 s[14:15], -1
	s_waitcnt vmcnt(0)
	v_cmp_eq_u16_e32 vcc, v18, v19
	s_and_saveexec_b64 s[8:9], vcc
	s_cbranch_execz .LBB180_79
; %bb.73:
	s_mov_b64 s[38:39], 1
	s_mov_b64 s[14:15], 0
                                        ; implicit-def: $sgpr36_sgpr37
	s_branch .LBB180_76
.LBB180_74:                             ;   in Loop: Header=BB180_76 Depth=1
	v_mov_b32_e32 v21, s39
	v_add_co_u32_e32 v18, vcc, s38, v12
	v_addc_co_u32_e32 v19, vcc, v13, v21, vcc
	v_add_co_u32_e32 v20, vcc, s38, v16
	v_addc_co_u32_e32 v21, vcc, v17, v21, vcc
	global_load_ubyte v28, v[18:19], off
	global_load_ubyte v29, v[20:21], off
	s_add_u32 s40, s38, 1
	s_addc_u32 s41, s39, 0
	s_andn2_b64 s[36:37], s[36:37], exec
	s_waitcnt vmcnt(0)
	v_cmp_ne_u16_e32 vcc, v28, v29
	s_and_b64 s[42:43], vcc, exec
	s_or_b64 s[36:37], s[36:37], s[42:43]
.LBB180_75:                             ;   in Loop: Header=BB180_76 Depth=1
	s_and_b64 s[42:43], exec, s[36:37]
	s_or_b64 s[14:15], s[42:43], s[14:15]
	v_pk_mov_b32 v[18:19], s[38:39], s[38:39] op_sel:[0,1]
	s_mov_b64 s[38:39], s[40:41]
	s_andn2_b64 exec, exec, s[14:15]
	s_cbranch_execz .LBB180_78
.LBB180_76:                             ; =>This Inner Loop Header: Depth=1
	s_or_b64 s[36:37], s[36:37], exec
	s_cmp_eq_u64 s[26:27], s[38:39]
	s_cbranch_scc0 .LBB180_74
; %bb.77:                               ;   in Loop: Header=BB180_76 Depth=1
                                        ; implicit-def: $sgpr40_sgpr41
	s_mov_b64 s[38:39], s[26:27]
	s_branch .LBB180_75
.LBB180_78:
	s_or_b64 exec, exec, s[14:15]
	v_cmp_gt_i64_e32 vcc, s[26:27], v[18:19]
	s_orn2_b64 s[14:15], vcc, exec
.LBB180_79:
	s_or_b64 exec, exec, s[8:9]
.LBB180_80:
	s_and_b64 s[8:9], s[14:15], exec
.LBB180_81:
	s_or_b64 exec, exec, s[12:13]
	v_cmp_gt_u32_e32 vcc, s48, v25
	s_and_saveexec_b64 s[12:13], vcc
	s_cbranch_execz .LBB180_92
; %bb.82:
	s_and_b64 vcc, exec, s[4:5]
	s_mov_b64 s[14:15], 0
	s_cbranch_vccnz .LBB180_91
; %bb.83:
	v_pk_mov_b32 v[16:17], s[16:17], s[16:17] op_sel:[0,1]
	v_mad_u64_u32 v[12:13], s[10:11], v2, s26, v[16:17]
	s_waitcnt lgkmcnt(0)
	v_mul_lo_u32 v18, v2, s27
	v_mul_lo_u32 v19, v3, s26
	v_add3_u32 v13, v19, v13, v18
	v_mad_u64_u32 v[16:17], s[10:11], v4, s26, v[16:17]
	v_mul_lo_u32 v18, v4, s27
	v_mul_lo_u32 v19, v5, s26
	v_add3_u32 v17, v19, v17, v18
	global_load_ubyte v18, v[12:13], off
	global_load_ubyte v19, v[16:17], off
	s_mov_b64 s[14:15], -1
	s_waitcnt vmcnt(0)
	v_cmp_eq_u16_e32 vcc, v18, v19
	s_and_saveexec_b64 s[10:11], vcc
	s_cbranch_execz .LBB180_90
; %bb.84:
	s_mov_b64 s[38:39], 1
	s_mov_b64 s[14:15], 0
                                        ; implicit-def: $sgpr36_sgpr37
	s_branch .LBB180_87
.LBB180_85:                             ;   in Loop: Header=BB180_87 Depth=1
	v_mov_b32_e32 v21, s39
	v_add_co_u32_e32 v18, vcc, s38, v12
	v_addc_co_u32_e32 v19, vcc, v13, v21, vcc
	v_add_co_u32_e32 v20, vcc, s38, v16
	v_addc_co_u32_e32 v21, vcc, v17, v21, vcc
	global_load_ubyte v28, v[18:19], off
	global_load_ubyte v29, v[20:21], off
	s_add_u32 s40, s38, 1
	s_addc_u32 s41, s39, 0
	s_andn2_b64 s[36:37], s[36:37], exec
	s_waitcnt vmcnt(0)
	v_cmp_ne_u16_e32 vcc, v28, v29
	s_and_b64 s[42:43], vcc, exec
	s_or_b64 s[36:37], s[36:37], s[42:43]
.LBB180_86:                             ;   in Loop: Header=BB180_87 Depth=1
	s_and_b64 s[42:43], exec, s[36:37]
	s_or_b64 s[14:15], s[42:43], s[14:15]
	v_pk_mov_b32 v[18:19], s[38:39], s[38:39] op_sel:[0,1]
	s_mov_b64 s[38:39], s[40:41]
	s_andn2_b64 exec, exec, s[14:15]
	s_cbranch_execz .LBB180_89
.LBB180_87:                             ; =>This Inner Loop Header: Depth=1
	s_or_b64 s[36:37], s[36:37], exec
	s_cmp_eq_u64 s[26:27], s[38:39]
	s_cbranch_scc0 .LBB180_85
; %bb.88:                               ;   in Loop: Header=BB180_87 Depth=1
                                        ; implicit-def: $sgpr40_sgpr41
	s_mov_b64 s[38:39], s[26:27]
	s_branch .LBB180_86
.LBB180_89:
	s_or_b64 exec, exec, s[14:15]
	v_cmp_gt_i64_e32 vcc, s[26:27], v[18:19]
	s_orn2_b64 s[14:15], vcc, exec
.LBB180_90:
	s_or_b64 exec, exec, s[10:11]
.LBB180_91:
	s_and_b64 s[10:11], s[14:15], exec
.LBB180_92:
	s_or_b64 exec, exec, s[12:13]
	v_cmp_gt_u32_e32 vcc, s48, v22
	s_mov_b64 s[12:13], 0
	s_mov_b64 s[14:15], 0
	s_and_saveexec_b64 s[36:37], vcc
	s_cbranch_execz .LBB180_103
; %bb.93:
	s_and_b64 vcc, exec, s[4:5]
	s_mov_b64 s[38:39], 0
	s_cbranch_vccnz .LBB180_102
; %bb.94:
	v_pk_mov_b32 v[16:17], s[16:17], s[16:17] op_sel:[0,1]
	v_mad_u64_u32 v[12:13], s[14:15], v8, s26, v[16:17]
	s_waitcnt lgkmcnt(0)
	v_mul_lo_u32 v18, v8, s27
	v_mul_lo_u32 v19, v9, s26
	v_add3_u32 v13, v19, v13, v18
	v_mad_u64_u32 v[16:17], s[14:15], v2, s26, v[16:17]
	v_mul_lo_u32 v18, v2, s27
	v_mul_lo_u32 v19, v3, s26
	v_add3_u32 v17, v19, v17, v18
	global_load_ubyte v18, v[12:13], off
	global_load_ubyte v19, v[16:17], off
	s_mov_b64 s[38:39], -1
	s_waitcnt vmcnt(0)
	v_cmp_eq_u16_e32 vcc, v18, v19
	s_and_saveexec_b64 s[14:15], vcc
	s_cbranch_execz .LBB180_101
; %bb.95:
	s_mov_b64 s[42:43], 1
	s_mov_b64 s[38:39], 0
                                        ; implicit-def: $sgpr40_sgpr41
	s_branch .LBB180_98
.LBB180_96:                             ;   in Loop: Header=BB180_98 Depth=1
	v_mov_b32_e32 v21, s43
	v_add_co_u32_e32 v18, vcc, s42, v12
	v_addc_co_u32_e32 v19, vcc, v13, v21, vcc
	v_add_co_u32_e32 v20, vcc, s42, v16
	v_addc_co_u32_e32 v21, vcc, v17, v21, vcc
	global_load_ubyte v28, v[18:19], off
	global_load_ubyte v29, v[20:21], off
	s_add_u32 s44, s42, 1
	s_addc_u32 s45, s43, 0
	s_andn2_b64 s[40:41], s[40:41], exec
	s_waitcnt vmcnt(0)
	v_cmp_ne_u16_e32 vcc, v28, v29
	s_and_b64 s[46:47], vcc, exec
	s_or_b64 s[40:41], s[40:41], s[46:47]
.LBB180_97:                             ;   in Loop: Header=BB180_98 Depth=1
	s_and_b64 s[46:47], exec, s[40:41]
	s_or_b64 s[38:39], s[46:47], s[38:39]
	v_pk_mov_b32 v[18:19], s[42:43], s[42:43] op_sel:[0,1]
	s_mov_b64 s[42:43], s[44:45]
	s_andn2_b64 exec, exec, s[38:39]
	s_cbranch_execz .LBB180_100
.LBB180_98:                             ; =>This Inner Loop Header: Depth=1
	s_or_b64 s[40:41], s[40:41], exec
	s_cmp_eq_u64 s[26:27], s[42:43]
	s_cbranch_scc0 .LBB180_96
; %bb.99:                               ;   in Loop: Header=BB180_98 Depth=1
                                        ; implicit-def: $sgpr44_sgpr45
	s_mov_b64 s[42:43], s[26:27]
	s_branch .LBB180_97
.LBB180_100:
	s_or_b64 exec, exec, s[38:39]
	v_cmp_gt_i64_e32 vcc, s[26:27], v[18:19]
	s_orn2_b64 s[38:39], vcc, exec
.LBB180_101:
	s_or_b64 exec, exec, s[14:15]
.LBB180_102:
	s_and_b64 s[14:15], s[38:39], exec
.LBB180_103:
	s_or_b64 exec, exec, s[36:37]
	v_cmp_gt_u32_e32 vcc, s48, v24
	s_and_saveexec_b64 s[36:37], vcc
	s_cbranch_execz .LBB180_114
; %bb.104:
	s_and_b64 vcc, exec, s[4:5]
	s_mov_b64 s[38:39], 0
	s_cbranch_vccnz .LBB180_113
; %bb.105:
	v_pk_mov_b32 v[16:17], s[16:17], s[16:17] op_sel:[0,1]
	v_mad_u64_u32 v[12:13], s[12:13], v6, s26, v[16:17]
	s_waitcnt lgkmcnt(0)
	v_mul_lo_u32 v18, v6, s27
	v_mul_lo_u32 v19, v7, s26
	v_add3_u32 v13, v19, v13, v18
	v_mad_u64_u32 v[16:17], s[12:13], v8, s26, v[16:17]
	v_mul_lo_u32 v18, v8, s27
	v_mul_lo_u32 v19, v9, s26
	v_add3_u32 v17, v19, v17, v18
	global_load_ubyte v18, v[12:13], off
	global_load_ubyte v19, v[16:17], off
	s_mov_b64 s[38:39], -1
	s_waitcnt vmcnt(0)
	v_cmp_eq_u16_e32 vcc, v18, v19
	s_and_saveexec_b64 s[12:13], vcc
	s_cbranch_execz .LBB180_112
; %bb.106:
	s_mov_b64 s[42:43], 1
	s_mov_b64 s[38:39], 0
                                        ; implicit-def: $sgpr40_sgpr41
	s_branch .LBB180_109
.LBB180_107:                            ;   in Loop: Header=BB180_109 Depth=1
	v_mov_b32_e32 v21, s43
	v_add_co_u32_e32 v18, vcc, s42, v12
	v_addc_co_u32_e32 v19, vcc, v13, v21, vcc
	v_add_co_u32_e32 v20, vcc, s42, v16
	v_addc_co_u32_e32 v21, vcc, v17, v21, vcc
	global_load_ubyte v28, v[18:19], off
	global_load_ubyte v29, v[20:21], off
	s_add_u32 s44, s42, 1
	s_addc_u32 s45, s43, 0
	s_andn2_b64 s[40:41], s[40:41], exec
	s_waitcnt vmcnt(0)
	v_cmp_ne_u16_e32 vcc, v28, v29
	s_and_b64 s[46:47], vcc, exec
	s_or_b64 s[40:41], s[40:41], s[46:47]
.LBB180_108:                            ;   in Loop: Header=BB180_109 Depth=1
	s_and_b64 s[46:47], exec, s[40:41]
	s_or_b64 s[38:39], s[46:47], s[38:39]
	v_pk_mov_b32 v[18:19], s[42:43], s[42:43] op_sel:[0,1]
	s_mov_b64 s[42:43], s[44:45]
	s_andn2_b64 exec, exec, s[38:39]
	s_cbranch_execz .LBB180_111
.LBB180_109:                            ; =>This Inner Loop Header: Depth=1
	s_or_b64 s[40:41], s[40:41], exec
	s_cmp_eq_u64 s[26:27], s[42:43]
	s_cbranch_scc0 .LBB180_107
; %bb.110:                              ;   in Loop: Header=BB180_109 Depth=1
                                        ; implicit-def: $sgpr44_sgpr45
	s_mov_b64 s[42:43], s[26:27]
	s_branch .LBB180_108
.LBB180_111:
	s_or_b64 exec, exec, s[38:39]
	v_cmp_gt_i64_e32 vcc, s[26:27], v[18:19]
	s_orn2_b64 s[38:39], vcc, exec
.LBB180_112:
	s_or_b64 exec, exec, s[12:13]
.LBB180_113:
	s_and_b64 s[12:13], s[38:39], exec
.LBB180_114:
	s_or_b64 exec, exec, s[36:37]
	s_waitcnt lgkmcnt(0)
	s_barrier
	s_and_saveexec_b64 s[36:37], s[2:3]
	s_cbranch_execz .LBB180_116
; %bb.115:
	v_add_u32_e32 v12, -8, v27
	s_waitcnt vmcnt(0)
	ds_read_b64 v[14:15], v12
.LBB180_116:
	s_or_b64 exec, exec, s[36:37]
	v_cndmask_b32_e64 v13, 0, 1, s[10:11]
	v_cndmask_b32_e64 v12, 0, 1, s[14:15]
	v_cndmask_b32_e64 v16, 0, 1, s[12:13]
	v_lshlrev_b16_e32 v13, 8, v13
	v_cmp_gt_u32_e32 vcc, s48, v1
	v_lshlrev_b16_e32 v18, 8, v16
	v_or_b32_sdwa v19, v12, v13 dst_sel:WORD_1 dst_unused:UNUSED_PAD src0_sel:DWORD src1_sel:DWORD
	s_mov_b64 s[12:13], 0
	s_and_saveexec_b64 s[10:11], vcc
	s_cbranch_execz .LBB180_127
; %bb.117:
	s_and_b64 vcc, exec, s[4:5]
	s_cbranch_vccnz .LBB180_126
; %bb.118:
	v_pk_mov_b32 v[16:17], s[16:17], s[16:17] op_sel:[0,1]
	s_waitcnt vmcnt(0) lgkmcnt(0)
	v_mad_u64_u32 v[12:13], s[4:5], v14, s26, v[16:17]
	v_mul_lo_u32 v14, v14, s27
	v_mul_lo_u32 v15, v15, s26
	v_add3_u32 v13, v15, v13, v14
	v_mad_u64_u32 v[14:15], s[4:5], v6, s26, v[16:17]
	v_mul_lo_u32 v16, v6, s27
	v_mul_lo_u32 v17, v7, s26
	v_add3_u32 v15, v17, v15, v16
	global_load_ubyte v16, v[12:13], off
	global_load_ubyte v17, v[14:15], off
	s_mov_b64 s[12:13], -1
	s_waitcnt vmcnt(0)
	v_cmp_eq_u16_e32 vcc, v16, v17
	s_and_saveexec_b64 s[4:5], vcc
	s_cbranch_execz .LBB180_125
; %bb.119:
	s_mov_b64 s[36:37], 1
	s_mov_b64 s[12:13], 0
                                        ; implicit-def: $sgpr14_sgpr15
	s_branch .LBB180_122
.LBB180_120:                            ;   in Loop: Header=BB180_122 Depth=1
	v_mov_b32_e32 v21, s37
	v_add_co_u32_e32 v16, vcc, s36, v12
	v_addc_co_u32_e32 v17, vcc, v13, v21, vcc
	v_add_co_u32_e32 v20, vcc, s36, v14
	v_addc_co_u32_e32 v21, vcc, v15, v21, vcc
	global_load_ubyte v27, v[16:17], off
	global_load_ubyte v28, v[20:21], off
	s_add_u32 s38, s36, 1
	s_addc_u32 s39, s37, 0
	s_andn2_b64 s[14:15], s[14:15], exec
	s_waitcnt vmcnt(0)
	v_cmp_ne_u16_e32 vcc, v27, v28
	s_and_b64 s[40:41], vcc, exec
	s_or_b64 s[14:15], s[14:15], s[40:41]
.LBB180_121:                            ;   in Loop: Header=BB180_122 Depth=1
	s_and_b64 s[40:41], exec, s[14:15]
	s_or_b64 s[12:13], s[40:41], s[12:13]
	v_pk_mov_b32 v[16:17], s[36:37], s[36:37] op_sel:[0,1]
	s_mov_b64 s[36:37], s[38:39]
	s_andn2_b64 exec, exec, s[12:13]
	s_cbranch_execz .LBB180_124
.LBB180_122:                            ; =>This Inner Loop Header: Depth=1
	s_or_b64 s[14:15], s[14:15], exec
	s_cmp_eq_u64 s[26:27], s[36:37]
	s_cbranch_scc0 .LBB180_120
; %bb.123:                              ;   in Loop: Header=BB180_122 Depth=1
                                        ; implicit-def: $sgpr38_sgpr39
	s_mov_b64 s[36:37], s[26:27]
	s_branch .LBB180_121
.LBB180_124:
	s_or_b64 exec, exec, s[12:13]
	v_cmp_gt_i64_e32 vcc, s[26:27], v[16:17]
	s_orn2_b64 s[12:13], vcc, exec
.LBB180_125:
	s_or_b64 exec, exec, s[4:5]
.LBB180_126:
	s_and_b64 s[12:13], s[12:13], exec
.LBB180_127:
	s_or_b64 exec, exec, s[10:11]
	v_cndmask_b32_e64 v13, 0, 1, s[8:9]
	v_or_b32_e32 v16, v18, v19
.LBB180_128:
	s_mov_b64 s[8:9], -1
	s_cbranch_execnz .LBB180_237
.LBB180_129:
	v_lshlrev_b32_e32 v12, 5, v0
	v_sub_u32_e32 v20, v26, v12
	s_mov_b64 s[12:13], 0
	v_cmp_gt_i64_e64 s[10:11], s[26:27], 0
	s_and_b64 vcc, exec, s[30:31]
	ds_write_b64 v20, v[10:11]
	s_cbranch_vccz .LBB180_137
; %bb.130:
	s_waitcnt vmcnt(0) lgkmcnt(1)
	v_mul_lo_u32 v14, v5, s26
	v_mul_lo_u32 v15, v4, s27
	v_mad_u64_u32 v[12:13], s[4:5], v4, s26, 0
	v_cndmask_b32_e64 v16, 0, 1, s[10:11]
	v_cmp_ne_u32_e64 s[4:5], 1, v16
	s_andn2_b64 vcc, exec, s[10:11]
	v_add3_u32 v13, v13, v15, v14
	s_cbranch_vccnz .LBB180_140
; %bb.131:
	v_mov_b32_e32 v15, s17
	v_add_co_u32_e32 v14, vcc, s16, v12
	v_pk_mov_b32 v[16:17], s[16:17], s[16:17] op_sel:[0,1]
	v_addc_co_u32_e32 v15, vcc, v15, v13, vcc
	v_mad_u64_u32 v[16:17], s[12:13], v10, s26, v[16:17]
	v_mul_lo_u32 v18, v10, s27
	v_mul_lo_u32 v19, v11, s26
	v_add3_u32 v17, v19, v17, v18
	global_load_ubyte v18, v[14:15], off
	global_load_ubyte v19, v[16:17], off
	s_mov_b64 s[12:13], -1
	s_waitcnt vmcnt(0)
	v_cmp_eq_u16_e32 vcc, v18, v19
	s_and_saveexec_b64 s[14:15], vcc
	s_cbranch_execz .LBB180_139
; %bb.132:
	s_mov_b64 s[38:39], 1
	s_mov_b64 s[12:13], 0
                                        ; implicit-def: $sgpr36_sgpr37
	s_branch .LBB180_135
.LBB180_133:                            ;   in Loop: Header=BB180_135 Depth=1
	v_mov_b32_e32 v21, s39
	v_add_co_u32_e32 v18, vcc, s38, v14
	v_addc_co_u32_e32 v19, vcc, v15, v21, vcc
	v_add_co_u32_e32 v26, vcc, s38, v16
	v_addc_co_u32_e32 v27, vcc, v17, v21, vcc
	global_load_ubyte v21, v[18:19], off
	global_load_ubyte v28, v[26:27], off
	s_add_u32 s40, s38, 1
	s_addc_u32 s41, s39, 0
	s_andn2_b64 s[36:37], s[36:37], exec
	s_waitcnt vmcnt(0)
	v_cmp_ne_u16_e32 vcc, v21, v28
	s_and_b64 s[42:43], vcc, exec
	s_or_b64 s[36:37], s[36:37], s[42:43]
.LBB180_134:                            ;   in Loop: Header=BB180_135 Depth=1
	s_and_b64 s[42:43], exec, s[36:37]
	s_or_b64 s[12:13], s[42:43], s[12:13]
	v_pk_mov_b32 v[18:19], s[38:39], s[38:39] op_sel:[0,1]
	s_mov_b64 s[38:39], s[40:41]
	s_andn2_b64 exec, exec, s[12:13]
	s_cbranch_execz .LBB180_138
.LBB180_135:                            ; =>This Inner Loop Header: Depth=1
	s_or_b64 s[36:37], s[36:37], exec
	s_cmp_eq_u64 s[26:27], s[38:39]
	s_cbranch_scc0 .LBB180_133
; %bb.136:                              ;   in Loop: Header=BB180_135 Depth=1
                                        ; implicit-def: $sgpr40_sgpr41
	s_mov_b64 s[38:39], s[26:27]
	s_branch .LBB180_134
.LBB180_137:
                                        ; implicit-def: $sgpr12_sgpr13
                                        ; implicit-def: $vgpr13
                                        ; implicit-def: $vgpr16
	s_cbranch_execnz .LBB180_179
	s_branch .LBB180_237
.LBB180_138:
	s_or_b64 exec, exec, s[12:13]
	v_cmp_gt_i64_e32 vcc, s[26:27], v[18:19]
	s_orn2_b64 s[12:13], vcc, exec
.LBB180_139:
	s_or_b64 exec, exec, s[14:15]
.LBB180_140:
	v_mul_lo_u32 v16, v3, s26
	v_mul_lo_u32 v17, v2, s27
	v_mad_u64_u32 v[14:15], s[14:15], v2, s26, 0
	v_add3_u32 v15, v15, v17, v16
	s_mov_b64 s[14:15], 0
	s_and_b64 vcc, exec, s[4:5]
	s_mov_b64 s[36:37], 0
	s_cbranch_vccnz .LBB180_149
; %bb.141:
	v_mov_b32_e32 v17, s17
	v_add_co_u32_e32 v16, vcc, s16, v14
	v_addc_co_u32_e32 v17, vcc, v17, v15, vcc
	v_mov_b32_e32 v18, s17
	v_add_co_u32_e32 v12, vcc, s16, v12
	v_addc_co_u32_e32 v13, vcc, v18, v13, vcc
	global_load_ubyte v18, v[16:17], off
	global_load_ubyte v19, v[12:13], off
	s_mov_b64 s[36:37], -1
	s_waitcnt vmcnt(0)
	v_cmp_eq_u16_e32 vcc, v18, v19
	s_and_saveexec_b64 s[38:39], vcc
	s_cbranch_execz .LBB180_148
; %bb.142:
	s_mov_b64 s[42:43], 1
	s_mov_b64 s[36:37], 0
                                        ; implicit-def: $sgpr40_sgpr41
	s_branch .LBB180_145
.LBB180_143:                            ;   in Loop: Header=BB180_145 Depth=1
	v_mov_b32_e32 v21, s43
	v_add_co_u32_e32 v18, vcc, s42, v16
	v_addc_co_u32_e32 v19, vcc, v17, v21, vcc
	v_add_co_u32_e32 v26, vcc, s42, v12
	v_addc_co_u32_e32 v27, vcc, v13, v21, vcc
	global_load_ubyte v21, v[18:19], off
	global_load_ubyte v28, v[26:27], off
	s_add_u32 s44, s42, 1
	s_addc_u32 s45, s43, 0
	s_andn2_b64 s[40:41], s[40:41], exec
	s_waitcnt vmcnt(0)
	v_cmp_ne_u16_e32 vcc, v21, v28
	s_and_b64 s[46:47], vcc, exec
	s_or_b64 s[40:41], s[40:41], s[46:47]
.LBB180_144:                            ;   in Loop: Header=BB180_145 Depth=1
	s_and_b64 s[46:47], exec, s[40:41]
	s_or_b64 s[36:37], s[46:47], s[36:37]
	v_pk_mov_b32 v[18:19], s[42:43], s[42:43] op_sel:[0,1]
	s_mov_b64 s[42:43], s[44:45]
	s_andn2_b64 exec, exec, s[36:37]
	s_cbranch_execz .LBB180_147
.LBB180_145:                            ; =>This Inner Loop Header: Depth=1
	s_or_b64 s[40:41], s[40:41], exec
	s_cmp_eq_u64 s[26:27], s[42:43]
	s_cbranch_scc0 .LBB180_143
; %bb.146:                              ;   in Loop: Header=BB180_145 Depth=1
                                        ; implicit-def: $sgpr44_sgpr45
	s_mov_b64 s[42:43], s[26:27]
	s_branch .LBB180_144
.LBB180_147:
	s_or_b64 exec, exec, s[36:37]
	v_cmp_gt_i64_e32 vcc, s[26:27], v[18:19]
	s_orn2_b64 s[36:37], vcc, exec
.LBB180_148:
	s_or_b64 exec, exec, s[38:39]
.LBB180_149:
	v_mul_lo_u32 v16, v9, s26
	v_mul_lo_u32 v17, v8, s27
	v_mad_u64_u32 v[12:13], s[38:39], v8, s26, 0
	s_and_b64 vcc, exec, s[4:5]
	v_add3_u32 v13, v13, v17, v16
	s_cbranch_vccnz .LBB180_158
; %bb.150:
	v_mov_b32_e32 v17, s17
	v_add_co_u32_e32 v16, vcc, s16, v12
	v_addc_co_u32_e32 v17, vcc, v17, v13, vcc
	v_mov_b32_e32 v18, s17
	v_add_co_u32_e32 v14, vcc, s16, v14
	v_addc_co_u32_e32 v15, vcc, v18, v15, vcc
	global_load_ubyte v18, v[16:17], off
	global_load_ubyte v19, v[14:15], off
	s_mov_b64 s[14:15], -1
	s_waitcnt vmcnt(0)
	v_cmp_eq_u16_e32 vcc, v18, v19
	s_and_saveexec_b64 s[38:39], vcc
	s_cbranch_execz .LBB180_157
; %bb.151:
	s_mov_b64 s[42:43], 1
	s_mov_b64 s[14:15], 0
                                        ; implicit-def: $sgpr40_sgpr41
	s_branch .LBB180_154
.LBB180_152:                            ;   in Loop: Header=BB180_154 Depth=1
	v_mov_b32_e32 v21, s43
	v_add_co_u32_e32 v18, vcc, s42, v16
	v_addc_co_u32_e32 v19, vcc, v17, v21, vcc
	v_add_co_u32_e32 v26, vcc, s42, v14
	v_addc_co_u32_e32 v27, vcc, v15, v21, vcc
	global_load_ubyte v21, v[18:19], off
	global_load_ubyte v28, v[26:27], off
	s_add_u32 s44, s42, 1
	s_addc_u32 s45, s43, 0
	s_andn2_b64 s[40:41], s[40:41], exec
	s_waitcnt vmcnt(0)
	v_cmp_ne_u16_e32 vcc, v21, v28
	s_and_b64 s[46:47], vcc, exec
	s_or_b64 s[40:41], s[40:41], s[46:47]
.LBB180_153:                            ;   in Loop: Header=BB180_154 Depth=1
	s_and_b64 s[46:47], exec, s[40:41]
	s_or_b64 s[14:15], s[46:47], s[14:15]
	v_pk_mov_b32 v[18:19], s[42:43], s[42:43] op_sel:[0,1]
	s_mov_b64 s[42:43], s[44:45]
	s_andn2_b64 exec, exec, s[14:15]
	s_cbranch_execz .LBB180_156
.LBB180_154:                            ; =>This Inner Loop Header: Depth=1
	s_or_b64 s[40:41], s[40:41], exec
	s_cmp_eq_u64 s[26:27], s[42:43]
	s_cbranch_scc0 .LBB180_152
; %bb.155:                              ;   in Loop: Header=BB180_154 Depth=1
                                        ; implicit-def: $sgpr44_sgpr45
	s_mov_b64 s[42:43], s[26:27]
	s_branch .LBB180_153
.LBB180_156:
	s_or_b64 exec, exec, s[14:15]
	v_cmp_gt_i64_e32 vcc, s[26:27], v[18:19]
	s_orn2_b64 s[14:15], vcc, exec
.LBB180_157:
	s_or_b64 exec, exec, s[38:39]
.LBB180_158:
	v_mul_lo_u32 v16, v7, s26
	v_mul_lo_u32 v17, v6, s27
	v_mad_u64_u32 v[14:15], s[38:39], v6, s26, 0
	v_add3_u32 v15, v15, v17, v16
	s_and_b64 vcc, exec, s[4:5]
	s_mov_b64 s[40:41], 0
	s_cbranch_vccnz .LBB180_167
; %bb.159:
	v_mov_b32_e32 v17, s17
	v_add_co_u32_e32 v16, vcc, s16, v14
	v_addc_co_u32_e32 v17, vcc, v17, v15, vcc
	v_mov_b32_e32 v18, s17
	v_add_co_u32_e32 v12, vcc, s16, v12
	v_addc_co_u32_e32 v13, vcc, v18, v13, vcc
	global_load_ubyte v18, v[16:17], off
	global_load_ubyte v19, v[12:13], off
	s_mov_b64 s[40:41], -1
	s_waitcnt vmcnt(0)
	v_cmp_eq_u16_e32 vcc, v18, v19
	s_and_saveexec_b64 s[38:39], vcc
	s_cbranch_execz .LBB180_166
; %bb.160:
	s_mov_b64 s[44:45], 1
	s_mov_b64 s[40:41], 0
                                        ; implicit-def: $sgpr42_sgpr43
	s_branch .LBB180_163
.LBB180_161:                            ;   in Loop: Header=BB180_163 Depth=1
	v_mov_b32_e32 v21, s45
	v_add_co_u32_e32 v18, vcc, s44, v16
	v_addc_co_u32_e32 v19, vcc, v17, v21, vcc
	v_add_co_u32_e32 v26, vcc, s44, v12
	v_addc_co_u32_e32 v27, vcc, v13, v21, vcc
	global_load_ubyte v21, v[18:19], off
	global_load_ubyte v28, v[26:27], off
	s_add_u32 s46, s44, 1
	s_addc_u32 s47, s45, 0
	s_andn2_b64 s[42:43], s[42:43], exec
	s_waitcnt vmcnt(0)
	v_cmp_ne_u16_e32 vcc, v21, v28
	s_and_b64 s[50:51], vcc, exec
	s_or_b64 s[42:43], s[42:43], s[50:51]
.LBB180_162:                            ;   in Loop: Header=BB180_163 Depth=1
	s_and_b64 s[50:51], exec, s[42:43]
	s_or_b64 s[40:41], s[50:51], s[40:41]
	v_pk_mov_b32 v[18:19], s[44:45], s[44:45] op_sel:[0,1]
	s_mov_b64 s[44:45], s[46:47]
	s_andn2_b64 exec, exec, s[40:41]
	s_cbranch_execz .LBB180_165
.LBB180_163:                            ; =>This Inner Loop Header: Depth=1
	s_or_b64 s[42:43], s[42:43], exec
	s_cmp_eq_u64 s[26:27], s[44:45]
	s_cbranch_scc0 .LBB180_161
; %bb.164:                              ;   in Loop: Header=BB180_163 Depth=1
                                        ; implicit-def: $sgpr46_sgpr47
	s_mov_b64 s[44:45], s[26:27]
	s_branch .LBB180_162
.LBB180_165:
	s_or_b64 exec, exec, s[40:41]
	v_cmp_gt_i64_e32 vcc, s[26:27], v[18:19]
	s_orn2_b64 s[40:41], vcc, exec
.LBB180_166:
	s_or_b64 exec, exec, s[38:39]
.LBB180_167:
	v_cndmask_b32_e64 v13, 0, 1, s[36:37]
	v_cndmask_b32_e64 v16, 0, 1, s[40:41]
	;; [unrolled: 1-line block ×3, first 2 shown]
	v_lshlrev_b16_e32 v16, 8, v16
	v_lshlrev_b16_e32 v13, 8, v13
	v_or_b32_e32 v16, 1, v16
	v_or_b32_sdwa v12, v12, v13 dst_sel:WORD_1 dst_unused:UNUSED_PAD src0_sel:DWORD src1_sel:DWORD
	v_or_b32_sdwa v12, v16, v12 dst_sel:DWORD dst_unused:UNUSED_PAD src0_sel:WORD_0 src1_sel:DWORD
	v_cndmask_b32_e64 v13, 0, 1, s[12:13]
	s_waitcnt lgkmcnt(0)
	s_barrier
	s_waitcnt lgkmcnt(0)
                                        ; implicit-def: $sgpr12_sgpr13
                                        ; implicit-def: $vgpr16
	s_and_saveexec_b64 s[14:15], s[2:3]
	s_xor_b64 s[14:15], exec, s[14:15]
	s_cbranch_execz .LBB180_178
; %bb.168:
	s_mov_b32 s42, 0x3020104
	s_and_b64 vcc, exec, s[4:5]
	s_mov_b64 s[12:13], 0
	s_cbranch_vccnz .LBB180_177
; %bb.169:
	v_add_u32_e32 v16, -8, v20
	ds_read_b64 v[16:17], v16
	v_pk_mov_b32 v[18:19], s[16:17], s[16:17] op_sel:[0,1]
	v_add_co_u32_e32 v14, vcc, s16, v14
	s_mov_b64 s[12:13], -1
	s_waitcnt lgkmcnt(0)
	v_mul_lo_u32 v21, v16, s27
	v_mul_lo_u32 v26, v17, s26
	v_mad_u64_u32 v[16:17], s[4:5], v16, s26, v[18:19]
	v_mov_b32_e32 v18, s17
	v_addc_co_u32_e32 v15, vcc, v18, v15, vcc
	v_add3_u32 v17, v26, v17, v21
	global_load_ubyte v18, v[14:15], off
	global_load_ubyte v19, v[16:17], off
	s_waitcnt vmcnt(0)
	v_cmp_eq_u16_e32 vcc, v19, v18
	s_and_saveexec_b64 s[4:5], vcc
	s_cbranch_execz .LBB180_176
; %bb.170:
	s_mov_b64 s[38:39], 1
	s_mov_b64 s[12:13], 0
                                        ; implicit-def: $sgpr36_sgpr37
	s_branch .LBB180_173
.LBB180_171:                            ;   in Loop: Header=BB180_173 Depth=1
	v_mov_b32_e32 v21, s39
	v_add_co_u32_e32 v18, vcc, s38, v16
	v_addc_co_u32_e32 v19, vcc, v17, v21, vcc
	v_add_co_u32_e32 v26, vcc, s38, v14
	v_addc_co_u32_e32 v27, vcc, v15, v21, vcc
	global_load_ubyte v21, v[18:19], off
	global_load_ubyte v28, v[26:27], off
	s_add_u32 s40, s38, 1
	s_addc_u32 s41, s39, 0
	s_andn2_b64 s[36:37], s[36:37], exec
	s_waitcnt vmcnt(0)
	v_cmp_ne_u16_e32 vcc, v21, v28
	s_and_b64 s[44:45], vcc, exec
	s_or_b64 s[36:37], s[36:37], s[44:45]
.LBB180_172:                            ;   in Loop: Header=BB180_173 Depth=1
	s_and_b64 s[44:45], exec, s[36:37]
	s_or_b64 s[12:13], s[44:45], s[12:13]
	v_pk_mov_b32 v[18:19], s[38:39], s[38:39] op_sel:[0,1]
	s_mov_b64 s[38:39], s[40:41]
	s_andn2_b64 exec, exec, s[12:13]
	s_cbranch_execz .LBB180_175
.LBB180_173:                            ; =>This Inner Loop Header: Depth=1
	s_or_b64 s[36:37], s[36:37], exec
	s_cmp_eq_u64 s[26:27], s[38:39]
	s_cbranch_scc0 .LBB180_171
; %bb.174:                              ;   in Loop: Header=BB180_173 Depth=1
                                        ; implicit-def: $sgpr40_sgpr41
	s_mov_b64 s[38:39], s[26:27]
	s_branch .LBB180_172
.LBB180_175:
	s_or_b64 exec, exec, s[12:13]
	v_cmp_gt_i64_e32 vcc, s[26:27], v[18:19]
	s_orn2_b64 s[12:13], vcc, exec
.LBB180_176:
	s_or_b64 exec, exec, s[4:5]
.LBB180_177:
	v_perm_b32 v16, v12, v12, s42
	s_and_b64 s[12:13], s[12:13], exec
	s_or_b64 s[8:9], s[8:9], exec
.LBB180_178:
	s_or_b64 exec, exec, s[14:15]
	s_branch .LBB180_237
.LBB180_179:
	v_cmp_gt_u32_e32 vcc, s48, v23
	s_mov_b64 s[12:13], 0
	s_mov_b64 s[4:5], 0
	s_and_saveexec_b64 s[14:15], vcc
	s_cbranch_execz .LBB180_190
; %bb.180:
	s_andn2_b64 vcc, exec, s[10:11]
	s_mov_b64 s[36:37], 0
	s_cbranch_vccnz .LBB180_189
; %bb.181:
	s_waitcnt vmcnt(0) lgkmcnt(1)
	v_pk_mov_b32 v[14:15], s[16:17], s[16:17] op_sel:[0,1]
	v_mad_u64_u32 v[12:13], s[4:5], v4, s26, v[14:15]
	v_mul_lo_u32 v16, v4, s27
	v_mul_lo_u32 v17, v5, s26
	v_add3_u32 v13, v17, v13, v16
	v_mad_u64_u32 v[14:15], s[4:5], v10, s26, v[14:15]
	v_mul_lo_u32 v16, v10, s27
	v_mul_lo_u32 v17, v11, s26
	v_add3_u32 v15, v17, v15, v16
	global_load_ubyte v16, v[12:13], off
	global_load_ubyte v17, v[14:15], off
	s_mov_b64 s[36:37], -1
	s_waitcnt vmcnt(0)
	v_cmp_eq_u16_e32 vcc, v16, v17
	s_and_saveexec_b64 s[4:5], vcc
	s_cbranch_execz .LBB180_188
; %bb.182:
	s_mov_b64 s[40:41], 1
	s_mov_b64 s[36:37], 0
                                        ; implicit-def: $sgpr38_sgpr39
	s_branch .LBB180_185
.LBB180_183:                            ;   in Loop: Header=BB180_185 Depth=1
	v_mov_b32_e32 v19, s41
	v_add_co_u32_e32 v16, vcc, s40, v12
	v_addc_co_u32_e32 v17, vcc, v13, v19, vcc
	v_add_co_u32_e32 v18, vcc, s40, v14
	v_addc_co_u32_e32 v19, vcc, v15, v19, vcc
	global_load_ubyte v21, v[16:17], off
	global_load_ubyte v26, v[18:19], off
	s_add_u32 s42, s40, 1
	s_addc_u32 s43, s41, 0
	s_andn2_b64 s[38:39], s[38:39], exec
	s_waitcnt vmcnt(0)
	v_cmp_ne_u16_e32 vcc, v21, v26
	s_and_b64 s[44:45], vcc, exec
	s_or_b64 s[38:39], s[38:39], s[44:45]
.LBB180_184:                            ;   in Loop: Header=BB180_185 Depth=1
	s_and_b64 s[44:45], exec, s[38:39]
	s_or_b64 s[36:37], s[44:45], s[36:37]
	v_pk_mov_b32 v[16:17], s[40:41], s[40:41] op_sel:[0,1]
	s_mov_b64 s[40:41], s[42:43]
	s_andn2_b64 exec, exec, s[36:37]
	s_cbranch_execz .LBB180_187
.LBB180_185:                            ; =>This Inner Loop Header: Depth=1
	s_or_b64 s[38:39], s[38:39], exec
	s_cmp_eq_u64 s[26:27], s[40:41]
	s_cbranch_scc0 .LBB180_183
; %bb.186:                              ;   in Loop: Header=BB180_185 Depth=1
                                        ; implicit-def: $sgpr42_sgpr43
	s_mov_b64 s[40:41], s[26:27]
	s_branch .LBB180_184
.LBB180_187:
	s_or_b64 exec, exec, s[36:37]
	v_cmp_gt_i64_e32 vcc, s[26:27], v[16:17]
	s_orn2_b64 s[36:37], vcc, exec
.LBB180_188:
	s_or_b64 exec, exec, s[4:5]
.LBB180_189:
	s_and_b64 s[4:5], s[36:37], exec
.LBB180_190:
	s_or_b64 exec, exec, s[14:15]
	v_cmp_gt_u32_e32 vcc, s48, v25
	s_and_saveexec_b64 s[14:15], vcc
	s_cbranch_execz .LBB180_201
; %bb.191:
	s_andn2_b64 vcc, exec, s[10:11]
	s_mov_b64 s[36:37], 0
	s_cbranch_vccnz .LBB180_200
; %bb.192:
	s_waitcnt vmcnt(0) lgkmcnt(1)
	v_pk_mov_b32 v[14:15], s[16:17], s[16:17] op_sel:[0,1]
	v_mad_u64_u32 v[12:13], s[12:13], v2, s26, v[14:15]
	v_mul_lo_u32 v16, v2, s27
	v_mul_lo_u32 v17, v3, s26
	v_add3_u32 v13, v17, v13, v16
	v_mad_u64_u32 v[14:15], s[12:13], v4, s26, v[14:15]
	v_mul_lo_u32 v16, v4, s27
	v_mul_lo_u32 v17, v5, s26
	v_add3_u32 v15, v17, v15, v16
	global_load_ubyte v16, v[12:13], off
	global_load_ubyte v17, v[14:15], off
	s_mov_b64 s[36:37], -1
	s_waitcnt vmcnt(0)
	v_cmp_eq_u16_e32 vcc, v16, v17
	s_and_saveexec_b64 s[12:13], vcc
	s_cbranch_execz .LBB180_199
; %bb.193:
	s_mov_b64 s[40:41], 1
	s_mov_b64 s[36:37], 0
                                        ; implicit-def: $sgpr38_sgpr39
	s_branch .LBB180_196
.LBB180_194:                            ;   in Loop: Header=BB180_196 Depth=1
	v_mov_b32_e32 v19, s41
	v_add_co_u32_e32 v16, vcc, s40, v12
	v_addc_co_u32_e32 v17, vcc, v13, v19, vcc
	v_add_co_u32_e32 v18, vcc, s40, v14
	v_addc_co_u32_e32 v19, vcc, v15, v19, vcc
	global_load_ubyte v21, v[16:17], off
	global_load_ubyte v26, v[18:19], off
	s_add_u32 s42, s40, 1
	s_addc_u32 s43, s41, 0
	s_andn2_b64 s[38:39], s[38:39], exec
	s_waitcnt vmcnt(0)
	v_cmp_ne_u16_e32 vcc, v21, v26
	s_and_b64 s[44:45], vcc, exec
	s_or_b64 s[38:39], s[38:39], s[44:45]
.LBB180_195:                            ;   in Loop: Header=BB180_196 Depth=1
	s_and_b64 s[44:45], exec, s[38:39]
	s_or_b64 s[36:37], s[44:45], s[36:37]
	v_pk_mov_b32 v[16:17], s[40:41], s[40:41] op_sel:[0,1]
	s_mov_b64 s[40:41], s[42:43]
	s_andn2_b64 exec, exec, s[36:37]
	s_cbranch_execz .LBB180_198
.LBB180_196:                            ; =>This Inner Loop Header: Depth=1
	s_or_b64 s[38:39], s[38:39], exec
	s_cmp_eq_u64 s[26:27], s[40:41]
	s_cbranch_scc0 .LBB180_194
; %bb.197:                              ;   in Loop: Header=BB180_196 Depth=1
                                        ; implicit-def: $sgpr42_sgpr43
	s_mov_b64 s[40:41], s[26:27]
	s_branch .LBB180_195
.LBB180_198:
	s_or_b64 exec, exec, s[36:37]
	v_cmp_gt_i64_e32 vcc, s[26:27], v[16:17]
	s_orn2_b64 s[36:37], vcc, exec
.LBB180_199:
	s_or_b64 exec, exec, s[12:13]
.LBB180_200:
	s_and_b64 s[12:13], s[36:37], exec
.LBB180_201:
	s_or_b64 exec, exec, s[14:15]
	v_cmp_gt_u32_e32 vcc, s48, v22
	s_mov_b64 s[14:15], 0
	s_mov_b64 s[36:37], 0
	s_and_saveexec_b64 s[38:39], vcc
	s_cbranch_execz .LBB180_212
; %bb.202:
	s_andn2_b64 vcc, exec, s[10:11]
	s_mov_b64 s[40:41], 0
	s_cbranch_vccnz .LBB180_211
; %bb.203:
	s_waitcnt vmcnt(0) lgkmcnt(1)
	v_pk_mov_b32 v[14:15], s[16:17], s[16:17] op_sel:[0,1]
	v_mad_u64_u32 v[12:13], s[36:37], v8, s26, v[14:15]
	v_mul_lo_u32 v16, v8, s27
	v_mul_lo_u32 v17, v9, s26
	v_add3_u32 v13, v17, v13, v16
	v_mad_u64_u32 v[14:15], s[36:37], v2, s26, v[14:15]
	v_mul_lo_u32 v16, v2, s27
	v_mul_lo_u32 v17, v3, s26
	v_add3_u32 v15, v17, v15, v16
	global_load_ubyte v16, v[12:13], off
	global_load_ubyte v17, v[14:15], off
	s_mov_b64 s[40:41], -1
	s_waitcnt vmcnt(0)
	v_cmp_eq_u16_e32 vcc, v16, v17
	s_and_saveexec_b64 s[36:37], vcc
	s_cbranch_execz .LBB180_210
; %bb.204:
	s_mov_b64 s[44:45], 1
	s_mov_b64 s[40:41], 0
                                        ; implicit-def: $sgpr42_sgpr43
	s_branch .LBB180_207
.LBB180_205:                            ;   in Loop: Header=BB180_207 Depth=1
	v_mov_b32_e32 v19, s45
	v_add_co_u32_e32 v16, vcc, s44, v12
	v_addc_co_u32_e32 v17, vcc, v13, v19, vcc
	v_add_co_u32_e32 v18, vcc, s44, v14
	v_addc_co_u32_e32 v19, vcc, v15, v19, vcc
	global_load_ubyte v21, v[16:17], off
	global_load_ubyte v26, v[18:19], off
	s_add_u32 s46, s44, 1
	s_addc_u32 s47, s45, 0
	s_andn2_b64 s[42:43], s[42:43], exec
	s_waitcnt vmcnt(0)
	v_cmp_ne_u16_e32 vcc, v21, v26
	s_and_b64 s[50:51], vcc, exec
	s_or_b64 s[42:43], s[42:43], s[50:51]
.LBB180_206:                            ;   in Loop: Header=BB180_207 Depth=1
	s_and_b64 s[50:51], exec, s[42:43]
	s_or_b64 s[40:41], s[50:51], s[40:41]
	v_pk_mov_b32 v[16:17], s[44:45], s[44:45] op_sel:[0,1]
	s_mov_b64 s[44:45], s[46:47]
	s_andn2_b64 exec, exec, s[40:41]
	s_cbranch_execz .LBB180_209
.LBB180_207:                            ; =>This Inner Loop Header: Depth=1
	s_or_b64 s[42:43], s[42:43], exec
	s_cmp_eq_u64 s[26:27], s[44:45]
	s_cbranch_scc0 .LBB180_205
; %bb.208:                              ;   in Loop: Header=BB180_207 Depth=1
                                        ; implicit-def: $sgpr46_sgpr47
	s_mov_b64 s[44:45], s[26:27]
	s_branch .LBB180_206
.LBB180_209:
	s_or_b64 exec, exec, s[40:41]
	v_cmp_gt_i64_e32 vcc, s[26:27], v[16:17]
	s_orn2_b64 s[40:41], vcc, exec
.LBB180_210:
	s_or_b64 exec, exec, s[36:37]
.LBB180_211:
	s_and_b64 s[36:37], s[40:41], exec
.LBB180_212:
	s_or_b64 exec, exec, s[38:39]
	v_cmp_gt_u32_e32 vcc, s48, v24
	s_and_saveexec_b64 s[38:39], vcc
	s_cbranch_execz .LBB180_223
; %bb.213:
	s_andn2_b64 vcc, exec, s[10:11]
	s_mov_b64 s[40:41], 0
	s_cbranch_vccnz .LBB180_222
; %bb.214:
	s_waitcnt vmcnt(0) lgkmcnt(1)
	v_pk_mov_b32 v[14:15], s[16:17], s[16:17] op_sel:[0,1]
	v_mad_u64_u32 v[12:13], s[14:15], v6, s26, v[14:15]
	v_mul_lo_u32 v16, v6, s27
	v_mul_lo_u32 v17, v7, s26
	v_add3_u32 v13, v17, v13, v16
	v_mad_u64_u32 v[14:15], s[14:15], v8, s26, v[14:15]
	v_mul_lo_u32 v16, v8, s27
	v_mul_lo_u32 v17, v9, s26
	v_add3_u32 v15, v17, v15, v16
	global_load_ubyte v16, v[12:13], off
	global_load_ubyte v17, v[14:15], off
	s_mov_b64 s[40:41], -1
	s_waitcnt vmcnt(0)
	v_cmp_eq_u16_e32 vcc, v16, v17
	s_and_saveexec_b64 s[14:15], vcc
	s_cbranch_execz .LBB180_221
; %bb.215:
	s_mov_b64 s[44:45], 1
	s_mov_b64 s[40:41], 0
                                        ; implicit-def: $sgpr42_sgpr43
	s_branch .LBB180_218
.LBB180_216:                            ;   in Loop: Header=BB180_218 Depth=1
	v_mov_b32_e32 v19, s45
	v_add_co_u32_e32 v16, vcc, s44, v12
	v_addc_co_u32_e32 v17, vcc, v13, v19, vcc
	v_add_co_u32_e32 v18, vcc, s44, v14
	v_addc_co_u32_e32 v19, vcc, v15, v19, vcc
	global_load_ubyte v21, v[16:17], off
	global_load_ubyte v26, v[18:19], off
	s_add_u32 s46, s44, 1
	s_addc_u32 s47, s45, 0
	s_andn2_b64 s[42:43], s[42:43], exec
	s_waitcnt vmcnt(0)
	v_cmp_ne_u16_e32 vcc, v21, v26
	s_and_b64 s[50:51], vcc, exec
	s_or_b64 s[42:43], s[42:43], s[50:51]
.LBB180_217:                            ;   in Loop: Header=BB180_218 Depth=1
	s_and_b64 s[50:51], exec, s[42:43]
	s_or_b64 s[40:41], s[50:51], s[40:41]
	v_pk_mov_b32 v[16:17], s[44:45], s[44:45] op_sel:[0,1]
	s_mov_b64 s[44:45], s[46:47]
	s_andn2_b64 exec, exec, s[40:41]
	s_cbranch_execz .LBB180_220
.LBB180_218:                            ; =>This Inner Loop Header: Depth=1
	s_or_b64 s[42:43], s[42:43], exec
	s_cmp_eq_u64 s[26:27], s[44:45]
	s_cbranch_scc0 .LBB180_216
; %bb.219:                              ;   in Loop: Header=BB180_218 Depth=1
                                        ; implicit-def: $sgpr46_sgpr47
	s_mov_b64 s[44:45], s[26:27]
	s_branch .LBB180_217
.LBB180_220:
	s_or_b64 exec, exec, s[40:41]
	v_cmp_gt_i64_e32 vcc, s[26:27], v[16:17]
	s_orn2_b64 s[40:41], vcc, exec
.LBB180_221:
	s_or_b64 exec, exec, s[14:15]
.LBB180_222:
	s_and_b64 s[14:15], s[40:41], exec
.LBB180_223:
	s_or_b64 exec, exec, s[38:39]
	v_cndmask_b32_e64 v13, 0, 1, s[12:13]
	s_waitcnt vmcnt(0) lgkmcnt(1)
	v_cndmask_b32_e64 v14, 0, 1, s[14:15]
	v_cndmask_b32_e64 v12, 0, 1, s[36:37]
	v_lshlrev_b16_e32 v14, 8, v14
	v_lshlrev_b16_e32 v13, 8, v13
	v_or_b32_e32 v14, 1, v14
	v_or_b32_sdwa v12, v12, v13 dst_sel:WORD_1 dst_unused:UNUSED_PAD src0_sel:DWORD src1_sel:DWORD
	v_or_b32_sdwa v12, v14, v12 dst_sel:DWORD dst_unused:UNUSED_PAD src0_sel:WORD_0 src1_sel:DWORD
	v_cndmask_b32_e64 v13, 0, 1, s[4:5]
	s_waitcnt lgkmcnt(0)
	s_barrier
	s_waitcnt lgkmcnt(0)
                                        ; implicit-def: $sgpr12_sgpr13
                                        ; implicit-def: $vgpr16
	s_and_saveexec_b64 s[4:5], s[2:3]
	s_cbranch_execz .LBB180_236
; %bb.224:
	v_cmp_gt_u32_e32 vcc, s48, v1
	s_mov_b32 s38, 0x3020104
	s_mov_b64 s[12:13], 0
	s_and_saveexec_b64 s[2:3], vcc
	s_cbranch_execz .LBB180_235
; %bb.225:
	s_andn2_b64 vcc, exec, s[10:11]
	s_cbranch_vccnz .LBB180_234
; %bb.226:
	v_add_u32_e32 v14, -8, v20
	ds_read_b64 v[14:15], v14
	v_pk_mov_b32 v[16:17], s[16:17], s[16:17] op_sel:[0,1]
	s_mov_b64 s[12:13], -1
	s_waitcnt lgkmcnt(0)
	v_mul_lo_u32 v18, v14, s27
	v_mul_lo_u32 v19, v15, s26
	v_mad_u64_u32 v[14:15], s[10:11], v14, s26, v[16:17]
	v_add3_u32 v15, v19, v15, v18
	v_mad_u64_u32 v[16:17], s[10:11], v6, s26, v[16:17]
	v_mul_lo_u32 v18, v6, s27
	v_mul_lo_u32 v19, v7, s26
	v_add3_u32 v17, v19, v17, v18
	global_load_ubyte v18, v[14:15], off
	global_load_ubyte v19, v[16:17], off
	s_waitcnt vmcnt(0)
	v_cmp_eq_u16_e32 vcc, v18, v19
	s_and_saveexec_b64 s[10:11], vcc
	s_cbranch_execz .LBB180_233
; %bb.227:
	s_mov_b64 s[16:17], 1
	s_mov_b64 s[12:13], 0
                                        ; implicit-def: $sgpr14_sgpr15
	s_branch .LBB180_230
.LBB180_228:                            ;   in Loop: Header=BB180_230 Depth=1
	v_mov_b32_e32 v21, s17
	v_add_co_u32_e32 v18, vcc, s16, v14
	v_addc_co_u32_e32 v19, vcc, v15, v21, vcc
	v_add_co_u32_e32 v20, vcc, s16, v16
	v_addc_co_u32_e32 v21, vcc, v17, v21, vcc
	global_load_ubyte v26, v[18:19], off
	global_load_ubyte v27, v[20:21], off
	s_add_u32 s36, s16, 1
	s_addc_u32 s37, s17, 0
	s_andn2_b64 s[14:15], s[14:15], exec
	s_waitcnt vmcnt(0)
	v_cmp_ne_u16_e32 vcc, v26, v27
	s_and_b64 s[40:41], vcc, exec
	s_or_b64 s[14:15], s[14:15], s[40:41]
.LBB180_229:                            ;   in Loop: Header=BB180_230 Depth=1
	s_and_b64 s[40:41], exec, s[14:15]
	s_or_b64 s[12:13], s[40:41], s[12:13]
	v_pk_mov_b32 v[18:19], s[16:17], s[16:17] op_sel:[0,1]
	s_mov_b64 s[16:17], s[36:37]
	s_andn2_b64 exec, exec, s[12:13]
	s_cbranch_execz .LBB180_232
.LBB180_230:                            ; =>This Inner Loop Header: Depth=1
	s_or_b64 s[14:15], s[14:15], exec
	s_cmp_eq_u64 s[26:27], s[16:17]
	s_cbranch_scc0 .LBB180_228
; %bb.231:                              ;   in Loop: Header=BB180_230 Depth=1
                                        ; implicit-def: $sgpr36_sgpr37
	s_mov_b64 s[16:17], s[26:27]
	s_branch .LBB180_229
.LBB180_232:
	s_or_b64 exec, exec, s[12:13]
	v_cmp_gt_i64_e32 vcc, s[26:27], v[18:19]
	s_orn2_b64 s[12:13], vcc, exec
.LBB180_233:
	s_or_b64 exec, exec, s[10:11]
.LBB180_234:
	s_and_b64 s[12:13], s[12:13], exec
.LBB180_235:
	s_or_b64 exec, exec, s[2:3]
	v_perm_b32 v16, v12, v12, s38
	s_and_b64 s[12:13], s[12:13], exec
	s_or_b64 s[8:9], s[8:9], exec
.LBB180_236:
	s_or_b64 exec, exec, s[4:5]
.LBB180_237:
	s_and_saveexec_b64 s[2:3], s[8:9]
	s_cbranch_execz .LBB180_239
; %bb.238:
	s_waitcnt vmcnt(0) lgkmcnt(0)
	v_lshrrev_b32_e32 v14, 24, v16
	s_movk_i32 s4, 0xff
	v_lshlrev_b16_e32 v14, 8, v14
	v_and_b32_sdwa v15, v16, s4 dst_sel:DWORD dst_unused:UNUSED_PAD src0_sel:WORD_1 src1_sel:DWORD
	v_or_b32_sdwa v14, v15, v14 dst_sel:WORD_1 dst_unused:UNUSED_PAD src0_sel:DWORD src1_sel:DWORD
	v_mov_b32_e32 v15, 8
	v_cndmask_b32_e64 v12, 0, 1, s[12:13]
	v_lshrrev_b32_sdwa v15, v15, v16 dst_sel:BYTE_1 dst_unused:UNUSED_PAD src0_sel:DWORD src1_sel:DWORD
	v_or_b32_e32 v12, v12, v15
	s_mov_b32 s4, 0xffff
	v_or_b32_sdwa v12, v12, v14 dst_sel:DWORD dst_unused:UNUSED_PAD src0_sel:WORD_0 src1_sel:DWORD
	v_and_b32_sdwa v13, s4, v13 dst_sel:DWORD dst_unused:UNUSED_PAD src0_sel:DWORD src1_sel:BYTE_0
.LBB180_239:
	s_or_b64 exec, exec, s[2:3]
	s_andn2_b64 vcc, exec, s[6:7]
	s_cbranch_vccnz .LBB180_241
; %bb.240:
	v_cmp_gt_u32_e32 vcc, s48, v1
	v_cndmask_b32_e32 v1, 0, v12, vcc
	v_and_b32_e32 v1, 0xffff00ff, v1
	v_cmp_gt_u32_e64 s[2:3], s48, v24
	v_cndmask_b32_e64 v1, v1, v12, s[2:3]
	s_waitcnt vmcnt(0) lgkmcnt(0)
	v_lshrrev_b32_e32 v14, 24, v1
	s_mov_b32 s4, 0x40c0100
	v_perm_b32 v1, v14, v1, s4
	v_cmp_gt_u32_e64 s[4:5], s48, v22
	v_cmp_gt_u32_e64 s[6:7], s48, v25
	v_cndmask_b32_e64 v1, v1, v12, s[4:5]
	s_or_b64 s[4:5], s[6:7], s[4:5]
	s_or_b64 s[2:3], s[4:5], s[2:3]
	s_or_b64 vcc, s[2:3], vcc
	v_and_b32_e32 v1, 0xffffff, v1
	v_cndmask_b32_e32 v14, 0, v13, vcc
	v_cndmask_b32_e64 v1, v1, v12, s[6:7]
	v_and_b32_e32 v14, 0xffffff00, v14
	v_cmp_gt_u32_e32 vcc, s48, v23
	v_cndmask_b32_e32 v1, v1, v12, vcc
	v_cndmask_b32_e32 v12, v14, v13, vcc
	s_mov_b32 s2, 0x3020104
	v_and_b32_e32 v13, 0xff, v12
	v_perm_b32 v12, v1, v1, s2
.LBB180_241:
	v_and_b32_e32 v1, 0xff, v12
	v_bfe_u32 v25, v12, 8, 8
	v_bfe_u32 v27, v12, 16, 8
	s_waitcnt vmcnt(0) lgkmcnt(0)
	v_alignbit_b32 v14, v13, v12, 24
	v_and_b32_e32 v28, 0xff, v14
	v_and_b32_e32 v14, 0xff, v13
	v_add3_u32 v15, v25, v1, v27
	v_add3_u32 v31, v15, v28, v14
	v_mbcnt_lo_u32_b32 v14, -1, 0
	v_mbcnt_hi_u32_b32 v29, -1, v14
	v_and_b32_e32 v14, 15, v29
	v_cmp_eq_u32_e64 s[14:15], 0, v14
	v_cmp_lt_u32_e64 s[12:13], 1, v14
	v_cmp_lt_u32_e64 s[10:11], 3, v14
	;; [unrolled: 1-line block ×3, first 2 shown]
	v_and_b32_e32 v14, 16, v29
	v_cmp_eq_u32_e64 s[6:7], 0, v14
	v_or_b32_e32 v14, 63, v0
	v_cmp_lt_u32_e64 s[2:3], 31, v29
	v_lshrrev_b32_e32 v30, 6, v0
	v_cmp_eq_u32_e64 s[4:5], v14, v0
	s_and_b64 vcc, exec, s[34:35]
	s_barrier
	s_cbranch_vccz .LBB180_272
; %bb.242:
	v_mov_b32_dpp v14, v31 row_shr:1 row_mask:0xf bank_mask:0xf
	v_cndmask_b32_e64 v14, v14, 0, s[14:15]
	v_add_u32_e32 v14, v14, v31
	s_nop 1
	v_mov_b32_dpp v15, v14 row_shr:2 row_mask:0xf bank_mask:0xf
	v_cndmask_b32_e64 v15, 0, v15, s[12:13]
	v_add_u32_e32 v14, v14, v15
	s_nop 1
	;; [unrolled: 4-line block ×4, first 2 shown]
	v_mov_b32_dpp v15, v14 row_bcast:15 row_mask:0xf bank_mask:0xf
	v_cndmask_b32_e64 v15, v15, 0, s[6:7]
	v_add_u32_e32 v14, v14, v15
	s_nop 1
	v_mov_b32_dpp v15, v14 row_bcast:31 row_mask:0xf bank_mask:0xf
	v_cndmask_b32_e64 v15, 0, v15, s[2:3]
	v_add_u32_e32 v14, v14, v15
	s_and_saveexec_b64 s[16:17], s[4:5]
	s_cbranch_execz .LBB180_244
; %bb.243:
	v_lshlrev_b32_e32 v15, 2, v30
	ds_write_b32 v15, v14
.LBB180_244:
	s_or_b64 exec, exec, s[16:17]
	v_cmp_gt_u32_e32 vcc, 4, v0
	s_waitcnt lgkmcnt(0)
	s_barrier
	s_and_saveexec_b64 s[16:17], vcc
	s_cbranch_execz .LBB180_246
; %bb.245:
	v_lshlrev_b32_e32 v15, 2, v0
	ds_read_b32 v16, v15
	v_and_b32_e32 v17, 3, v29
	v_cmp_ne_u32_e32 vcc, 0, v17
	s_waitcnt lgkmcnt(0)
	v_mov_b32_dpp v18, v16 row_shr:1 row_mask:0xf bank_mask:0xf
	v_cndmask_b32_e32 v18, 0, v18, vcc
	v_add_u32_e32 v16, v18, v16
	v_cmp_lt_u32_e32 vcc, 1, v17
	s_nop 0
	v_mov_b32_dpp v18, v16 row_shr:2 row_mask:0xf bank_mask:0xf
	v_cndmask_b32_e32 v17, 0, v18, vcc
	v_add_u32_e32 v16, v16, v17
	ds_write_b32 v15, v16
.LBB180_246:
	s_or_b64 exec, exec, s[16:17]
	v_cmp_gt_u32_e32 vcc, 64, v0
	v_cmp_lt_u32_e64 s[16:17], 63, v0
	s_waitcnt lgkmcnt(0)
	s_barrier
	s_waitcnt lgkmcnt(0)
                                        ; implicit-def: $vgpr24
	s_and_saveexec_b64 s[26:27], s[16:17]
	s_cbranch_execz .LBB180_248
; %bb.247:
	v_lshl_add_u32 v15, v30, 2, -4
	ds_read_b32 v24, v15
	s_waitcnt lgkmcnt(0)
	v_add_u32_e32 v14, v24, v14
.LBB180_248:
	s_or_b64 exec, exec, s[26:27]
	v_add_u32_e32 v15, -1, v29
	v_and_b32_e32 v16, 64, v29
	v_cmp_lt_i32_e64 s[16:17], v15, v16
	v_cndmask_b32_e64 v15, v15, v29, s[16:17]
	v_lshlrev_b32_e32 v15, 2, v15
	ds_bpermute_b32 v26, v15, v14
	v_cmp_eq_u32_e64 s[16:17], 0, v29
	s_and_saveexec_b64 s[26:27], vcc
	s_cbranch_execz .LBB180_271
; %bb.249:
	v_mov_b32_e32 v23, 0
	ds_read_b32 v14, v23 offset:12
	s_and_saveexec_b64 s[34:35], s[16:17]
	s_cbranch_execz .LBB180_251
; %bb.250:
	s_add_i32 s36, s33, 64
	s_mov_b32 s37, 0
	s_lshl_b64 s[36:37], s[36:37], 3
	s_add_u32 s36, s18, s36
	v_mov_b32_e32 v15, 1
	s_addc_u32 s37, s19, s37
	s_waitcnt lgkmcnt(0)
	global_store_dwordx2 v23, v[14:15], s[36:37]
.LBB180_251:
	s_or_b64 exec, exec, s[34:35]
	v_xad_u32 v16, v29, -1, s33
	v_add_u32_e32 v22, 64, v16
	v_lshlrev_b64 v[18:19], 3, v[22:23]
	v_mov_b32_e32 v15, s19
	v_add_co_u32_e32 v18, vcc, s18, v18
	v_addc_co_u32_e32 v19, vcc, v15, v19, vcc
	global_load_dwordx2 v[20:21], v[18:19], off glc
	s_waitcnt vmcnt(0)
	v_cmp_eq_u16_sdwa s[36:37], v21, v23 src0_sel:BYTE_0 src1_sel:DWORD
	s_and_saveexec_b64 s[34:35], s[36:37]
	s_cbranch_execz .LBB180_257
; %bb.252:
	s_mov_b32 s38, 1
	s_mov_b64 s[36:37], 0
	v_mov_b32_e32 v15, 0
.LBB180_253:                            ; =>This Loop Header: Depth=1
                                        ;     Child Loop BB180_254 Depth 2
	s_max_u32 s39, s38, 1
.LBB180_254:                            ;   Parent Loop BB180_253 Depth=1
                                        ; =>  This Inner Loop Header: Depth=2
	s_add_i32 s39, s39, -1
	s_cmp_eq_u32 s39, 0
	s_sleep 1
	s_cbranch_scc0 .LBB180_254
; %bb.255:                              ;   in Loop: Header=BB180_253 Depth=1
	global_load_dwordx2 v[20:21], v[18:19], off glc
	s_cmp_lt_u32 s38, 32
	s_cselect_b64 s[40:41], -1, 0
	s_cmp_lg_u64 s[40:41], 0
	s_addc_u32 s38, s38, 0
	s_waitcnt vmcnt(0)
	v_cmp_ne_u16_sdwa s[40:41], v21, v15 src0_sel:BYTE_0 src1_sel:DWORD
	s_or_b64 s[36:37], s[40:41], s[36:37]
	s_andn2_b64 exec, exec, s[36:37]
	s_cbranch_execnz .LBB180_253
; %bb.256:
	s_or_b64 exec, exec, s[36:37]
.LBB180_257:
	s_or_b64 exec, exec, s[34:35]
	v_and_b32_e32 v32, 63, v29
	v_mov_b32_e32 v15, 2
	v_cmp_ne_u32_e32 vcc, 63, v32
	v_cmp_eq_u16_sdwa s[34:35], v21, v15 src0_sel:BYTE_0 src1_sel:DWORD
	v_lshlrev_b64 v[18:19], v29, -1
	v_addc_co_u32_e32 v23, vcc, 0, v29, vcc
	v_and_b32_e32 v17, s35, v19
	v_lshlrev_b32_e32 v33, 2, v23
	v_or_b32_e32 v17, 0x80000000, v17
	ds_bpermute_b32 v23, v33, v20
	v_and_b32_e32 v22, s34, v18
	v_ffbl_b32_e32 v17, v17
	v_add_u32_e32 v17, 32, v17
	v_ffbl_b32_e32 v22, v22
	v_min_u32_e32 v17, v22, v17
	v_cmp_lt_u32_e32 vcc, v32, v17
	s_waitcnt lgkmcnt(0)
	v_cndmask_b32_e32 v22, 0, v23, vcc
	v_cmp_gt_u32_e32 vcc, 62, v32
	v_add_u32_e32 v20, v22, v20
	v_cndmask_b32_e64 v22, 0, 1, vcc
	v_lshlrev_b32_e32 v22, 1, v22
	v_add_lshl_u32 v34, v22, v29, 2
	ds_bpermute_b32 v22, v34, v20
	v_add_u32_e32 v35, 2, v32
	v_cmp_le_u32_e32 vcc, v35, v17
	v_add_u32_e32 v37, 4, v32
	v_add_u32_e32 v39, 8, v32
	s_waitcnt lgkmcnt(0)
	v_cndmask_b32_e32 v22, 0, v22, vcc
	v_cmp_gt_u32_e32 vcc, 60, v32
	v_add_u32_e32 v20, v20, v22
	v_cndmask_b32_e64 v22, 0, 1, vcc
	v_lshlrev_b32_e32 v22, 2, v22
	v_add_lshl_u32 v36, v22, v29, 2
	ds_bpermute_b32 v22, v36, v20
	v_cmp_le_u32_e32 vcc, v37, v17
	v_add_u32_e32 v42, 16, v32
	v_add_u32_e32 v44, 32, v32
	s_waitcnt lgkmcnt(0)
	v_cndmask_b32_e32 v22, 0, v22, vcc
	v_cmp_gt_u32_e32 vcc, 56, v32
	v_add_u32_e32 v20, v20, v22
	v_cndmask_b32_e64 v22, 0, 1, vcc
	v_lshlrev_b32_e32 v22, 3, v22
	v_add_lshl_u32 v38, v22, v29, 2
	ds_bpermute_b32 v22, v38, v20
	v_cmp_le_u32_e32 vcc, v39, v17
	s_waitcnt lgkmcnt(0)
	v_cndmask_b32_e32 v22, 0, v22, vcc
	v_cmp_gt_u32_e32 vcc, 48, v32
	v_add_u32_e32 v20, v20, v22
	v_cndmask_b32_e64 v22, 0, 1, vcc
	v_lshlrev_b32_e32 v22, 4, v22
	v_add_lshl_u32 v41, v22, v29, 2
	ds_bpermute_b32 v22, v41, v20
	v_cmp_le_u32_e32 vcc, v42, v17
	;; [unrolled: 9-line block ×3, first 2 shown]
	s_waitcnt lgkmcnt(0)
	v_cndmask_b32_e32 v17, 0, v22, vcc
	v_add_u32_e32 v20, v20, v17
	v_mov_b32_e32 v17, 0
	s_branch .LBB180_259
.LBB180_258:                            ;   in Loop: Header=BB180_259 Depth=1
	s_or_b64 exec, exec, s[34:35]
	v_cmp_eq_u16_sdwa s[34:35], v21, v15 src0_sel:BYTE_0 src1_sel:DWORD
	v_and_b32_e32 v22, s35, v19
	v_or_b32_e32 v22, 0x80000000, v22
	ds_bpermute_b32 v45, v33, v20
	v_and_b32_e32 v23, s34, v18
	v_ffbl_b32_e32 v22, v22
	v_add_u32_e32 v22, 32, v22
	v_ffbl_b32_e32 v23, v23
	v_min_u32_e32 v22, v23, v22
	v_cmp_lt_u32_e32 vcc, v32, v22
	s_waitcnt lgkmcnt(0)
	v_cndmask_b32_e32 v23, 0, v45, vcc
	v_add_u32_e32 v20, v23, v20
	ds_bpermute_b32 v23, v34, v20
	v_cmp_le_u32_e32 vcc, v35, v22
	v_subrev_u32_e32 v16, 64, v16
	s_waitcnt lgkmcnt(0)
	v_cndmask_b32_e32 v23, 0, v23, vcc
	v_add_u32_e32 v20, v20, v23
	ds_bpermute_b32 v23, v36, v20
	v_cmp_le_u32_e32 vcc, v37, v22
	s_waitcnt lgkmcnt(0)
	v_cndmask_b32_e32 v23, 0, v23, vcc
	v_add_u32_e32 v20, v20, v23
	ds_bpermute_b32 v23, v38, v20
	v_cmp_le_u32_e32 vcc, v39, v22
	;; [unrolled: 5-line block ×4, first 2 shown]
	s_waitcnt lgkmcnt(0)
	v_cndmask_b32_e32 v22, 0, v23, vcc
	v_add3_u32 v20, v22, v40, v20
.LBB180_259:                            ; =>This Loop Header: Depth=1
                                        ;     Child Loop BB180_262 Depth 2
                                        ;       Child Loop BB180_263 Depth 3
	v_cmp_ne_u16_sdwa s[34:35], v21, v15 src0_sel:BYTE_0 src1_sel:DWORD
	v_cndmask_b32_e64 v21, 0, 1, s[34:35]
	;;#ASMSTART
	;;#ASMEND
	v_cmp_ne_u32_e32 vcc, 0, v21
	s_cmp_lg_u64 vcc, exec
	v_mov_b32_e32 v40, v20
	s_cbranch_scc1 .LBB180_266
; %bb.260:                              ;   in Loop: Header=BB180_259 Depth=1
	v_lshlrev_b64 v[20:21], 3, v[16:17]
	v_mov_b32_e32 v23, s19
	v_add_co_u32_e32 v22, vcc, s18, v20
	v_addc_co_u32_e32 v23, vcc, v23, v21, vcc
	global_load_dwordx2 v[20:21], v[22:23], off glc
	s_waitcnt vmcnt(0)
	v_cmp_eq_u16_sdwa s[36:37], v21, v17 src0_sel:BYTE_0 src1_sel:DWORD
	s_and_saveexec_b64 s[34:35], s[36:37]
	s_cbranch_execz .LBB180_258
; %bb.261:                              ;   in Loop: Header=BB180_259 Depth=1
	s_mov_b32 s38, 1
	s_mov_b64 s[36:37], 0
.LBB180_262:                            ;   Parent Loop BB180_259 Depth=1
                                        ; =>  This Loop Header: Depth=2
                                        ;       Child Loop BB180_263 Depth 3
	s_max_u32 s39, s38, 1
.LBB180_263:                            ;   Parent Loop BB180_259 Depth=1
                                        ;     Parent Loop BB180_262 Depth=2
                                        ; =>    This Inner Loop Header: Depth=3
	s_add_i32 s39, s39, -1
	s_cmp_eq_u32 s39, 0
	s_sleep 1
	s_cbranch_scc0 .LBB180_263
; %bb.264:                              ;   in Loop: Header=BB180_262 Depth=2
	global_load_dwordx2 v[20:21], v[22:23], off glc
	s_cmp_lt_u32 s38, 32
	s_cselect_b64 s[40:41], -1, 0
	s_cmp_lg_u64 s[40:41], 0
	s_addc_u32 s38, s38, 0
	s_waitcnt vmcnt(0)
	v_cmp_ne_u16_sdwa s[40:41], v21, v17 src0_sel:BYTE_0 src1_sel:DWORD
	s_or_b64 s[36:37], s[40:41], s[36:37]
	s_andn2_b64 exec, exec, s[36:37]
	s_cbranch_execnz .LBB180_262
; %bb.265:                              ;   in Loop: Header=BB180_259 Depth=1
	s_or_b64 exec, exec, s[36:37]
	s_branch .LBB180_258
.LBB180_266:                            ;   in Loop: Header=BB180_259 Depth=1
                                        ; implicit-def: $vgpr20
                                        ; implicit-def: $vgpr21
	s_cbranch_execz .LBB180_259
; %bb.267:
	s_and_saveexec_b64 s[34:35], s[16:17]
	s_cbranch_execz .LBB180_269
; %bb.268:
	s_add_i32 s36, s33, 64
	s_mov_b32 s37, 0
	s_lshl_b64 s[36:37], s[36:37], 3
	s_add_u32 s36, s18, s36
	v_add_u32_e32 v16, v40, v14
	v_mov_b32_e32 v17, 2
	s_addc_u32 s37, s19, s37
	v_mov_b32_e32 v15, 0
	s_movk_i32 s33, 0x2800
	global_store_dwordx2 v15, v[16:17], s[36:37]
	v_add_u32_e64 v15, s33, 0
	ds_write2_b32 v15, v14, v40 offset1:2
.LBB180_269:
	s_or_b64 exec, exec, s[34:35]
	s_and_b64 exec, exec, s[0:1]
	s_cbranch_execz .LBB180_271
; %bb.270:
	v_mov_b32_e32 v14, 0
	ds_write_b32 v14, v40 offset:12
.LBB180_271:
	s_or_b64 exec, exec, s[26:27]
	v_mov_b32_e32 v14, 0
	s_waitcnt lgkmcnt(0)
	s_barrier
	ds_read_b32 v14, v14 offset:12
	v_cndmask_b32_e64 v15, v26, v24, s[16:17]
	v_cndmask_b32_e64 v15, v15, 0, s[0:1]
	s_movk_i32 s16, 0x2800
	s_waitcnt lgkmcnt(0)
	v_add_u32_e32 v26, v14, v15
	v_add_u32_e64 v14, s16, 0
	s_barrier
	ds_read2_b32 v[14:15], v14 offset1:2
	v_add_u32_e32 v24, v26, v1
	v_add_u32_e32 v22, v24, v25
	;; [unrolled: 1-line block ×4, first 2 shown]
	v_lshrrev_b64 v[16:17], 24, v[12:13]
	s_branch .LBB180_282
.LBB180_272:
                                        ; implicit-def: $vgpr18
                                        ; implicit-def: $vgpr20
                                        ; implicit-def: $vgpr22
                                        ; implicit-def: $vgpr24
                                        ; implicit-def: $vgpr26
                                        ; implicit-def: $vgpr15
	v_lshrrev_b64 v[16:17], 24, v[12:13]
	s_cbranch_execz .LBB180_282
; %bb.273:
	s_waitcnt lgkmcnt(0)
	v_mov_b32_dpp v14, v31 row_shr:1 row_mask:0xf bank_mask:0xf
	v_cndmask_b32_e64 v14, v14, 0, s[14:15]
	v_add_u32_e32 v14, v14, v31
	s_nop 1
	v_mov_b32_dpp v15, v14 row_shr:2 row_mask:0xf bank_mask:0xf
	v_cndmask_b32_e64 v15, 0, v15, s[12:13]
	v_add_u32_e32 v14, v14, v15
	s_nop 1
	;; [unrolled: 4-line block ×4, first 2 shown]
	v_mov_b32_dpp v15, v14 row_bcast:15 row_mask:0xf bank_mask:0xf
	v_cndmask_b32_e64 v15, v15, 0, s[6:7]
	v_add_u32_e32 v14, v14, v15
	s_nop 1
	v_mov_b32_dpp v15, v14 row_bcast:31 row_mask:0xf bank_mask:0xf
	v_cndmask_b32_e64 v15, 0, v15, s[2:3]
	v_add_u32_e32 v14, v14, v15
	s_and_saveexec_b64 s[2:3], s[4:5]
	s_cbranch_execz .LBB180_275
; %bb.274:
	v_lshlrev_b32_e32 v15, 2, v30
	ds_write_b32 v15, v14
.LBB180_275:
	s_or_b64 exec, exec, s[2:3]
	v_cmp_gt_u32_e32 vcc, 4, v0
	s_waitcnt lgkmcnt(0)
	s_barrier
	s_and_saveexec_b64 s[2:3], vcc
	s_cbranch_execz .LBB180_277
; %bb.276:
	v_lshlrev_b32_e32 v15, 2, v0
	ds_read_b32 v17, v15
	v_and_b32_e32 v18, 3, v29
	v_cmp_ne_u32_e32 vcc, 0, v18
	s_waitcnt lgkmcnt(0)
	v_mov_b32_dpp v19, v17 row_shr:1 row_mask:0xf bank_mask:0xf
	v_cndmask_b32_e32 v19, 0, v19, vcc
	v_add_u32_e32 v17, v19, v17
	v_cmp_lt_u32_e32 vcc, 1, v18
	s_nop 0
	v_mov_b32_dpp v19, v17 row_shr:2 row_mask:0xf bank_mask:0xf
	v_cndmask_b32_e32 v18, 0, v19, vcc
	v_add_u32_e32 v17, v17, v18
	ds_write_b32 v15, v17
.LBB180_277:
	s_or_b64 exec, exec, s[2:3]
	v_cmp_lt_u32_e32 vcc, 63, v0
	v_mov_b32_e32 v15, 0
	v_mov_b32_e32 v17, 0
	s_waitcnt lgkmcnt(0)
	s_barrier
	s_and_saveexec_b64 s[2:3], vcc
	s_cbranch_execz .LBB180_279
; %bb.278:
	v_lshl_add_u32 v17, v30, 2, -4
	ds_read_b32 v17, v17
.LBB180_279:
	s_or_b64 exec, exec, s[2:3]
	v_add_u32_e32 v18, -1, v29
	v_and_b32_e32 v19, 64, v29
	v_cmp_lt_i32_e32 vcc, v18, v19
	v_cndmask_b32_e32 v18, v18, v29, vcc
	s_waitcnt lgkmcnt(0)
	v_add_u32_e32 v14, v17, v14
	v_lshlrev_b32_e32 v18, 2, v18
	ds_bpermute_b32 v18, v18, v14
	ds_read_b32 v14, v15 offset:12
	s_and_saveexec_b64 s[2:3], s[0:1]
	s_cbranch_execz .LBB180_281
; %bb.280:
	v_mov_b32_e32 v19, 0
	v_mov_b32_e32 v15, 2
	s_waitcnt lgkmcnt(0)
	global_store_dwordx2 v19, v[14:15], s[18:19] offset:512
.LBB180_281:
	s_or_b64 exec, exec, s[2:3]
	v_cmp_eq_u32_e32 vcc, 0, v29
	s_waitcnt lgkmcnt(1)
	v_cndmask_b32_e32 v17, v18, v17, vcc
	v_cndmask_b32_e64 v26, v17, 0, s[0:1]
	v_add_u32_e32 v24, v26, v1
	v_add_u32_e32 v22, v24, v25
	;; [unrolled: 1-line block ×3, first 2 shown]
	v_mov_b32_e32 v15, 0
	v_add_u32_e32 v18, v20, v28
	s_waitcnt lgkmcnt(0)
	s_barrier
.LBB180_282:
	s_movk_i32 s2, 0x101
	s_waitcnt lgkmcnt(0)
	v_cmp_gt_u32_e32 vcc, s2, v14
	v_lshrrev_b32_e32 v1, 8, v12
	s_mov_b64 s[2:3], -1
	s_cbranch_vccnz .LBB180_286
; %bb.283:
	s_and_b64 vcc, exec, s[2:3]
	s_cbranch_vccnz .LBB180_302
.LBB180_284:
	s_and_b64 s[0:1], s[0:1], s[24:25]
	s_and_saveexec_b64 s[2:3], s[0:1]
	s_cbranch_execnz .LBB180_316
.LBB180_285:
	s_endpgm
.LBB180_286:
	v_add_u32_e32 v17, v15, v14
	v_cmp_lt_u32_e32 vcc, v26, v17
	s_or_b64 s[4:5], s[30:31], vcc
	s_and_saveexec_b64 s[2:3], s[4:5]
	s_cbranch_execz .LBB180_289
; %bb.287:
	v_and_b32_e32 v19, 1, v12
	v_cmp_eq_u32_e32 vcc, 1, v19
	s_and_b64 exec, exec, vcc
	s_cbranch_execz .LBB180_289
; %bb.288:
	s_lshl_b64 s[4:5], s[22:23], 3
	s_add_u32 s4, s28, s4
	v_mov_b32_e32 v27, 0
	s_addc_u32 s5, s29, s5
	v_lshlrev_b64 v[28:29], 3, v[26:27]
	v_mov_b32_e32 v19, s5
	v_add_co_u32_e32 v28, vcc, s4, v28
	v_addc_co_u32_e32 v29, vcc, v19, v29, vcc
	global_store_dwordx2 v[28:29], v[6:7], off
.LBB180_289:
	s_or_b64 exec, exec, s[2:3]
	v_cmp_lt_u32_e32 vcc, v24, v17
	s_or_b64 s[4:5], s[30:31], vcc
	s_and_saveexec_b64 s[2:3], s[4:5]
	s_cbranch_execz .LBB180_292
; %bb.290:
	v_and_b32_e32 v19, 1, v1
	v_cmp_eq_u32_e32 vcc, 1, v19
	s_and_b64 exec, exec, vcc
	s_cbranch_execz .LBB180_292
; %bb.291:
	s_lshl_b64 s[4:5], s[22:23], 3
	s_add_u32 s4, s28, s4
	v_mov_b32_e32 v25, 0
	s_addc_u32 s5, s29, s5
	v_lshlrev_b64 v[28:29], 3, v[24:25]
	v_mov_b32_e32 v19, s5
	v_add_co_u32_e32 v28, vcc, s4, v28
	v_addc_co_u32_e32 v29, vcc, v19, v29, vcc
	global_store_dwordx2 v[28:29], v[8:9], off
.LBB180_292:
	s_or_b64 exec, exec, s[2:3]
	v_cmp_lt_u32_e32 vcc, v22, v17
	s_or_b64 s[4:5], s[30:31], vcc
	s_and_saveexec_b64 s[2:3], s[4:5]
	s_cbranch_execz .LBB180_295
; %bb.293:
	v_mov_b32_e32 v19, 1
	v_and_b32_sdwa v19, v19, v12 dst_sel:DWORD dst_unused:UNUSED_PAD src0_sel:DWORD src1_sel:WORD_1
	v_cmp_eq_u32_e32 vcc, 1, v19
	s_and_b64 exec, exec, vcc
	s_cbranch_execz .LBB180_295
; %bb.294:
	s_lshl_b64 s[4:5], s[22:23], 3
	s_add_u32 s4, s28, s4
	v_mov_b32_e32 v23, 0
	s_addc_u32 s5, s29, s5
	v_lshlrev_b64 v[28:29], 3, v[22:23]
	v_mov_b32_e32 v19, s5
	v_add_co_u32_e32 v28, vcc, s4, v28
	v_addc_co_u32_e32 v29, vcc, v19, v29, vcc
	global_store_dwordx2 v[28:29], v[2:3], off
.LBB180_295:
	s_or_b64 exec, exec, s[2:3]
	v_cmp_lt_u32_e32 vcc, v20, v17
	s_or_b64 s[4:5], s[30:31], vcc
	s_and_saveexec_b64 s[2:3], s[4:5]
	s_cbranch_execz .LBB180_298
; %bb.296:
	v_and_b32_e32 v19, 1, v16
	v_cmp_eq_u32_e32 vcc, 1, v19
	s_and_b64 exec, exec, vcc
	s_cbranch_execz .LBB180_298
; %bb.297:
	s_lshl_b64 s[4:5], s[22:23], 3
	s_add_u32 s4, s28, s4
	v_mov_b32_e32 v21, 0
	s_addc_u32 s5, s29, s5
	v_lshlrev_b64 v[28:29], 3, v[20:21]
	v_mov_b32_e32 v19, s5
	v_add_co_u32_e32 v28, vcc, s4, v28
	v_addc_co_u32_e32 v29, vcc, v19, v29, vcc
	global_store_dwordx2 v[28:29], v[4:5], off
.LBB180_298:
	s_or_b64 exec, exec, s[2:3]
	v_cmp_lt_u32_e32 vcc, v18, v17
	s_or_b64 s[4:5], s[30:31], vcc
	s_and_saveexec_b64 s[2:3], s[4:5]
	s_cbranch_execz .LBB180_301
; %bb.299:
	v_and_b32_e32 v17, 1, v13
	v_cmp_eq_u32_e32 vcc, 1, v17
	s_and_b64 exec, exec, vcc
	s_cbranch_execz .LBB180_301
; %bb.300:
	s_lshl_b64 s[4:5], s[22:23], 3
	s_add_u32 s4, s28, s4
	v_mov_b32_e32 v19, 0
	s_addc_u32 s5, s29, s5
	v_lshlrev_b64 v[28:29], 3, v[18:19]
	v_mov_b32_e32 v17, s5
	v_add_co_u32_e32 v28, vcc, s4, v28
	v_addc_co_u32_e32 v29, vcc, v17, v29, vcc
	global_store_dwordx2 v[28:29], v[10:11], off
.LBB180_301:
	s_or_b64 exec, exec, s[2:3]
	s_branch .LBB180_284
.LBB180_302:
	v_and_b32_e32 v17, 1, v12
	v_cmp_eq_u32_e32 vcc, 1, v17
	s_and_saveexec_b64 s[2:3], vcc
	s_cbranch_execz .LBB180_304
; %bb.303:
	v_sub_u32_e32 v17, v26, v15
	v_lshlrev_b32_e32 v17, 3, v17
	ds_write_b64 v17, v[6:7]
.LBB180_304:
	s_or_b64 exec, exec, s[2:3]
	v_and_b32_e32 v1, 1, v1
	v_cmp_eq_u32_e32 vcc, 1, v1
	s_and_saveexec_b64 s[2:3], vcc
	s_cbranch_execz .LBB180_306
; %bb.305:
	v_sub_u32_e32 v1, v24, v15
	v_lshlrev_b32_e32 v1, 3, v1
	ds_write_b64 v1, v[8:9]
.LBB180_306:
	s_or_b64 exec, exec, s[2:3]
	v_mov_b32_e32 v1, 1
	v_and_b32_sdwa v1, v1, v12 dst_sel:DWORD dst_unused:UNUSED_PAD src0_sel:DWORD src1_sel:WORD_1
	v_cmp_eq_u32_e32 vcc, 1, v1
	s_and_saveexec_b64 s[2:3], vcc
	s_cbranch_execz .LBB180_308
; %bb.307:
	v_sub_u32_e32 v1, v22, v15
	v_lshlrev_b32_e32 v1, 3, v1
	ds_write_b64 v1, v[2:3]
.LBB180_308:
	s_or_b64 exec, exec, s[2:3]
	v_and_b32_e32 v1, 1, v16
	v_cmp_eq_u32_e32 vcc, 1, v1
	s_and_saveexec_b64 s[2:3], vcc
	s_cbranch_execz .LBB180_310
; %bb.309:
	v_sub_u32_e32 v1, v20, v15
	v_lshlrev_b32_e32 v1, 3, v1
	ds_write_b64 v1, v[4:5]
.LBB180_310:
	s_or_b64 exec, exec, s[2:3]
	v_and_b32_e32 v1, 1, v13
	v_cmp_eq_u32_e32 vcc, 1, v1
	s_and_saveexec_b64 s[2:3], vcc
	s_cbranch_execz .LBB180_312
; %bb.311:
	v_sub_u32_e32 v1, v18, v15
	v_lshlrev_b32_e32 v1, 3, v1
	ds_write_b64 v1, v[10:11]
.LBB180_312:
	s_or_b64 exec, exec, s[2:3]
	v_cmp_lt_u32_e32 vcc, v0, v14
	s_waitcnt lgkmcnt(0)
	s_barrier
	s_and_saveexec_b64 s[2:3], vcc
	s_cbranch_execz .LBB180_315
; %bb.313:
	v_mov_b32_e32 v1, 0
	v_mov_b32_e32 v2, v15
	;; [unrolled: 1-line block ×3, first 2 shown]
	v_lshlrev_b64 v[2:3], 3, v[2:3]
	v_mov_b32_e32 v4, s29
	v_add_co_u32_e32 v2, vcc, s28, v2
	v_addc_co_u32_e32 v3, vcc, v4, v3, vcc
	s_lshl_b64 s[4:5], s[22:23], 3
	v_mov_b32_e32 v4, s5
	v_add_co_u32_e32 v2, vcc, s4, v2
	v_addc_co_u32_e32 v3, vcc, v3, v4, vcc
	v_lshlrev_b32_e32 v4, 3, v0
	s_mov_b64 s[4:5], 0
.LBB180_314:                            ; =>This Inner Loop Header: Depth=1
	ds_read_b64 v[6:7], v4
	v_lshlrev_b64 v[8:9], 3, v[0:1]
	v_add_co_u32_e32 v8, vcc, v2, v8
	v_add_u32_e32 v0, 0x100, v0
	v_addc_co_u32_e32 v9, vcc, v3, v9, vcc
	v_cmp_ge_u32_e32 vcc, v0, v14
	v_add_u32_e32 v4, 0x800, v4
	s_or_b64 s[4:5], vcc, s[4:5]
	s_waitcnt lgkmcnt(0)
	global_store_dwordx2 v[8:9], v[6:7], off
	s_andn2_b64 exec, exec, s[4:5]
	s_cbranch_execnz .LBB180_314
.LBB180_315:
	s_or_b64 exec, exec, s[2:3]
	s_and_b64 s[0:1], s[0:1], s[24:25]
	s_and_saveexec_b64 s[2:3], s[0:1]
	s_cbranch_execz .LBB180_285
.LBB180_316:
	v_mov_b32_e32 v0, s23
	v_add_co_u32_e32 v1, vcc, s22, v14
	v_addc_co_u32_e32 v3, vcc, 0, v0, vcc
	v_add_co_u32_e32 v0, vcc, v1, v15
	v_mov_b32_e32 v2, 0
	v_addc_co_u32_e32 v1, vcc, 0, v3, vcc
	global_store_dwordx2 v2, v[0:1], s[20:21]
	s_endpgm
	.section	.rodata,"a",@progbits
	.p2align	6, 0x0
	.amdhsa_kernel _ZN7rocprim17ROCPRIM_400000_NS6detail17trampoline_kernelINS0_14default_configENS1_25partition_config_selectorILNS1_17partition_subalgoE8ElNS0_10empty_typeEbEEZZNS1_14partition_implILS5_8ELb0ES3_jPlPS6_PKS6_NS0_5tupleIJS9_S6_EEENSD_IJSA_SA_EEENS0_18inequality_wrapperIZN2at6native12_GLOBAL__N_124unique_dim_cuda_templateIhEESt5tupleIJNSH_6TensorESM_SM_EERKSM_lbbbEUlllE0_EEPmJS6_EEE10hipError_tPvRmT3_T4_T5_T6_T7_T9_mT8_P12ihipStream_tbDpT10_ENKUlT_T0_E_clISt17integral_constantIbLb1EES1C_EEDaS17_S18_EUlS17_E_NS1_11comp_targetILNS1_3genE4ELNS1_11target_archE910ELNS1_3gpuE8ELNS1_3repE0EEENS1_30default_config_static_selectorELNS0_4arch9wavefront6targetE1EEEvT1_
		.amdhsa_group_segment_fixed_size 10252
		.amdhsa_private_segment_fixed_size 0
		.amdhsa_kernarg_size 136
		.amdhsa_user_sgpr_count 6
		.amdhsa_user_sgpr_private_segment_buffer 1
		.amdhsa_user_sgpr_dispatch_ptr 0
		.amdhsa_user_sgpr_queue_ptr 0
		.amdhsa_user_sgpr_kernarg_segment_ptr 1
		.amdhsa_user_sgpr_dispatch_id 0
		.amdhsa_user_sgpr_flat_scratch_init 0
		.amdhsa_user_sgpr_kernarg_preload_length 0
		.amdhsa_user_sgpr_kernarg_preload_offset 0
		.amdhsa_user_sgpr_private_segment_size 0
		.amdhsa_uses_dynamic_stack 0
		.amdhsa_system_sgpr_private_segment_wavefront_offset 0
		.amdhsa_system_sgpr_workgroup_id_x 1
		.amdhsa_system_sgpr_workgroup_id_y 0
		.amdhsa_system_sgpr_workgroup_id_z 0
		.amdhsa_system_sgpr_workgroup_info 0
		.amdhsa_system_vgpr_workitem_id 0
		.amdhsa_next_free_vgpr 46
		.amdhsa_next_free_sgpr 52
		.amdhsa_accum_offset 48
		.amdhsa_reserve_vcc 1
		.amdhsa_reserve_flat_scratch 0
		.amdhsa_float_round_mode_32 0
		.amdhsa_float_round_mode_16_64 0
		.amdhsa_float_denorm_mode_32 3
		.amdhsa_float_denorm_mode_16_64 3
		.amdhsa_dx10_clamp 1
		.amdhsa_ieee_mode 1
		.amdhsa_fp16_overflow 0
		.amdhsa_tg_split 0
		.amdhsa_exception_fp_ieee_invalid_op 0
		.amdhsa_exception_fp_denorm_src 0
		.amdhsa_exception_fp_ieee_div_zero 0
		.amdhsa_exception_fp_ieee_overflow 0
		.amdhsa_exception_fp_ieee_underflow 0
		.amdhsa_exception_fp_ieee_inexact 0
		.amdhsa_exception_int_div_zero 0
	.end_amdhsa_kernel
	.section	.text._ZN7rocprim17ROCPRIM_400000_NS6detail17trampoline_kernelINS0_14default_configENS1_25partition_config_selectorILNS1_17partition_subalgoE8ElNS0_10empty_typeEbEEZZNS1_14partition_implILS5_8ELb0ES3_jPlPS6_PKS6_NS0_5tupleIJS9_S6_EEENSD_IJSA_SA_EEENS0_18inequality_wrapperIZN2at6native12_GLOBAL__N_124unique_dim_cuda_templateIhEESt5tupleIJNSH_6TensorESM_SM_EERKSM_lbbbEUlllE0_EEPmJS6_EEE10hipError_tPvRmT3_T4_T5_T6_T7_T9_mT8_P12ihipStream_tbDpT10_ENKUlT_T0_E_clISt17integral_constantIbLb1EES1C_EEDaS17_S18_EUlS17_E_NS1_11comp_targetILNS1_3genE4ELNS1_11target_archE910ELNS1_3gpuE8ELNS1_3repE0EEENS1_30default_config_static_selectorELNS0_4arch9wavefront6targetE1EEEvT1_,"axG",@progbits,_ZN7rocprim17ROCPRIM_400000_NS6detail17trampoline_kernelINS0_14default_configENS1_25partition_config_selectorILNS1_17partition_subalgoE8ElNS0_10empty_typeEbEEZZNS1_14partition_implILS5_8ELb0ES3_jPlPS6_PKS6_NS0_5tupleIJS9_S6_EEENSD_IJSA_SA_EEENS0_18inequality_wrapperIZN2at6native12_GLOBAL__N_124unique_dim_cuda_templateIhEESt5tupleIJNSH_6TensorESM_SM_EERKSM_lbbbEUlllE0_EEPmJS6_EEE10hipError_tPvRmT3_T4_T5_T6_T7_T9_mT8_P12ihipStream_tbDpT10_ENKUlT_T0_E_clISt17integral_constantIbLb1EES1C_EEDaS17_S18_EUlS17_E_NS1_11comp_targetILNS1_3genE4ELNS1_11target_archE910ELNS1_3gpuE8ELNS1_3repE0EEENS1_30default_config_static_selectorELNS0_4arch9wavefront6targetE1EEEvT1_,comdat
.Lfunc_end180:
	.size	_ZN7rocprim17ROCPRIM_400000_NS6detail17trampoline_kernelINS0_14default_configENS1_25partition_config_selectorILNS1_17partition_subalgoE8ElNS0_10empty_typeEbEEZZNS1_14partition_implILS5_8ELb0ES3_jPlPS6_PKS6_NS0_5tupleIJS9_S6_EEENSD_IJSA_SA_EEENS0_18inequality_wrapperIZN2at6native12_GLOBAL__N_124unique_dim_cuda_templateIhEESt5tupleIJNSH_6TensorESM_SM_EERKSM_lbbbEUlllE0_EEPmJS6_EEE10hipError_tPvRmT3_T4_T5_T6_T7_T9_mT8_P12ihipStream_tbDpT10_ENKUlT_T0_E_clISt17integral_constantIbLb1EES1C_EEDaS17_S18_EUlS17_E_NS1_11comp_targetILNS1_3genE4ELNS1_11target_archE910ELNS1_3gpuE8ELNS1_3repE0EEENS1_30default_config_static_selectorELNS0_4arch9wavefront6targetE1EEEvT1_, .Lfunc_end180-_ZN7rocprim17ROCPRIM_400000_NS6detail17trampoline_kernelINS0_14default_configENS1_25partition_config_selectorILNS1_17partition_subalgoE8ElNS0_10empty_typeEbEEZZNS1_14partition_implILS5_8ELb0ES3_jPlPS6_PKS6_NS0_5tupleIJS9_S6_EEENSD_IJSA_SA_EEENS0_18inequality_wrapperIZN2at6native12_GLOBAL__N_124unique_dim_cuda_templateIhEESt5tupleIJNSH_6TensorESM_SM_EERKSM_lbbbEUlllE0_EEPmJS6_EEE10hipError_tPvRmT3_T4_T5_T6_T7_T9_mT8_P12ihipStream_tbDpT10_ENKUlT_T0_E_clISt17integral_constantIbLb1EES1C_EEDaS17_S18_EUlS17_E_NS1_11comp_targetILNS1_3genE4ELNS1_11target_archE910ELNS1_3gpuE8ELNS1_3repE0EEENS1_30default_config_static_selectorELNS0_4arch9wavefront6targetE1EEEvT1_
                                        ; -- End function
	.section	.AMDGPU.csdata,"",@progbits
; Kernel info:
; codeLenInByte = 10016
; NumSgprs: 56
; NumVgprs: 46
; NumAgprs: 0
; TotalNumVgprs: 46
; ScratchSize: 0
; MemoryBound: 0
; FloatMode: 240
; IeeeMode: 1
; LDSByteSize: 10252 bytes/workgroup (compile time only)
; SGPRBlocks: 6
; VGPRBlocks: 5
; NumSGPRsForWavesPerEU: 56
; NumVGPRsForWavesPerEU: 46
; AccumOffset: 48
; Occupancy: 6
; WaveLimiterHint : 1
; COMPUTE_PGM_RSRC2:SCRATCH_EN: 0
; COMPUTE_PGM_RSRC2:USER_SGPR: 6
; COMPUTE_PGM_RSRC2:TRAP_HANDLER: 0
; COMPUTE_PGM_RSRC2:TGID_X_EN: 1
; COMPUTE_PGM_RSRC2:TGID_Y_EN: 0
; COMPUTE_PGM_RSRC2:TGID_Z_EN: 0
; COMPUTE_PGM_RSRC2:TIDIG_COMP_CNT: 0
; COMPUTE_PGM_RSRC3_GFX90A:ACCUM_OFFSET: 11
; COMPUTE_PGM_RSRC3_GFX90A:TG_SPLIT: 0
	.section	.text._ZN7rocprim17ROCPRIM_400000_NS6detail17trampoline_kernelINS0_14default_configENS1_25partition_config_selectorILNS1_17partition_subalgoE8ElNS0_10empty_typeEbEEZZNS1_14partition_implILS5_8ELb0ES3_jPlPS6_PKS6_NS0_5tupleIJS9_S6_EEENSD_IJSA_SA_EEENS0_18inequality_wrapperIZN2at6native12_GLOBAL__N_124unique_dim_cuda_templateIhEESt5tupleIJNSH_6TensorESM_SM_EERKSM_lbbbEUlllE0_EEPmJS6_EEE10hipError_tPvRmT3_T4_T5_T6_T7_T9_mT8_P12ihipStream_tbDpT10_ENKUlT_T0_E_clISt17integral_constantIbLb1EES1C_EEDaS17_S18_EUlS17_E_NS1_11comp_targetILNS1_3genE3ELNS1_11target_archE908ELNS1_3gpuE7ELNS1_3repE0EEENS1_30default_config_static_selectorELNS0_4arch9wavefront6targetE1EEEvT1_,"axG",@progbits,_ZN7rocprim17ROCPRIM_400000_NS6detail17trampoline_kernelINS0_14default_configENS1_25partition_config_selectorILNS1_17partition_subalgoE8ElNS0_10empty_typeEbEEZZNS1_14partition_implILS5_8ELb0ES3_jPlPS6_PKS6_NS0_5tupleIJS9_S6_EEENSD_IJSA_SA_EEENS0_18inequality_wrapperIZN2at6native12_GLOBAL__N_124unique_dim_cuda_templateIhEESt5tupleIJNSH_6TensorESM_SM_EERKSM_lbbbEUlllE0_EEPmJS6_EEE10hipError_tPvRmT3_T4_T5_T6_T7_T9_mT8_P12ihipStream_tbDpT10_ENKUlT_T0_E_clISt17integral_constantIbLb1EES1C_EEDaS17_S18_EUlS17_E_NS1_11comp_targetILNS1_3genE3ELNS1_11target_archE908ELNS1_3gpuE7ELNS1_3repE0EEENS1_30default_config_static_selectorELNS0_4arch9wavefront6targetE1EEEvT1_,comdat
	.globl	_ZN7rocprim17ROCPRIM_400000_NS6detail17trampoline_kernelINS0_14default_configENS1_25partition_config_selectorILNS1_17partition_subalgoE8ElNS0_10empty_typeEbEEZZNS1_14partition_implILS5_8ELb0ES3_jPlPS6_PKS6_NS0_5tupleIJS9_S6_EEENSD_IJSA_SA_EEENS0_18inequality_wrapperIZN2at6native12_GLOBAL__N_124unique_dim_cuda_templateIhEESt5tupleIJNSH_6TensorESM_SM_EERKSM_lbbbEUlllE0_EEPmJS6_EEE10hipError_tPvRmT3_T4_T5_T6_T7_T9_mT8_P12ihipStream_tbDpT10_ENKUlT_T0_E_clISt17integral_constantIbLb1EES1C_EEDaS17_S18_EUlS17_E_NS1_11comp_targetILNS1_3genE3ELNS1_11target_archE908ELNS1_3gpuE7ELNS1_3repE0EEENS1_30default_config_static_selectorELNS0_4arch9wavefront6targetE1EEEvT1_ ; -- Begin function _ZN7rocprim17ROCPRIM_400000_NS6detail17trampoline_kernelINS0_14default_configENS1_25partition_config_selectorILNS1_17partition_subalgoE8ElNS0_10empty_typeEbEEZZNS1_14partition_implILS5_8ELb0ES3_jPlPS6_PKS6_NS0_5tupleIJS9_S6_EEENSD_IJSA_SA_EEENS0_18inequality_wrapperIZN2at6native12_GLOBAL__N_124unique_dim_cuda_templateIhEESt5tupleIJNSH_6TensorESM_SM_EERKSM_lbbbEUlllE0_EEPmJS6_EEE10hipError_tPvRmT3_T4_T5_T6_T7_T9_mT8_P12ihipStream_tbDpT10_ENKUlT_T0_E_clISt17integral_constantIbLb1EES1C_EEDaS17_S18_EUlS17_E_NS1_11comp_targetILNS1_3genE3ELNS1_11target_archE908ELNS1_3gpuE7ELNS1_3repE0EEENS1_30default_config_static_selectorELNS0_4arch9wavefront6targetE1EEEvT1_
	.p2align	8
	.type	_ZN7rocprim17ROCPRIM_400000_NS6detail17trampoline_kernelINS0_14default_configENS1_25partition_config_selectorILNS1_17partition_subalgoE8ElNS0_10empty_typeEbEEZZNS1_14partition_implILS5_8ELb0ES3_jPlPS6_PKS6_NS0_5tupleIJS9_S6_EEENSD_IJSA_SA_EEENS0_18inequality_wrapperIZN2at6native12_GLOBAL__N_124unique_dim_cuda_templateIhEESt5tupleIJNSH_6TensorESM_SM_EERKSM_lbbbEUlllE0_EEPmJS6_EEE10hipError_tPvRmT3_T4_T5_T6_T7_T9_mT8_P12ihipStream_tbDpT10_ENKUlT_T0_E_clISt17integral_constantIbLb1EES1C_EEDaS17_S18_EUlS17_E_NS1_11comp_targetILNS1_3genE3ELNS1_11target_archE908ELNS1_3gpuE7ELNS1_3repE0EEENS1_30default_config_static_selectorELNS0_4arch9wavefront6targetE1EEEvT1_,@function
_ZN7rocprim17ROCPRIM_400000_NS6detail17trampoline_kernelINS0_14default_configENS1_25partition_config_selectorILNS1_17partition_subalgoE8ElNS0_10empty_typeEbEEZZNS1_14partition_implILS5_8ELb0ES3_jPlPS6_PKS6_NS0_5tupleIJS9_S6_EEENSD_IJSA_SA_EEENS0_18inequality_wrapperIZN2at6native12_GLOBAL__N_124unique_dim_cuda_templateIhEESt5tupleIJNSH_6TensorESM_SM_EERKSM_lbbbEUlllE0_EEPmJS6_EEE10hipError_tPvRmT3_T4_T5_T6_T7_T9_mT8_P12ihipStream_tbDpT10_ENKUlT_T0_E_clISt17integral_constantIbLb1EES1C_EEDaS17_S18_EUlS17_E_NS1_11comp_targetILNS1_3genE3ELNS1_11target_archE908ELNS1_3gpuE7ELNS1_3repE0EEENS1_30default_config_static_selectorELNS0_4arch9wavefront6targetE1EEEvT1_: ; @_ZN7rocprim17ROCPRIM_400000_NS6detail17trampoline_kernelINS0_14default_configENS1_25partition_config_selectorILNS1_17partition_subalgoE8ElNS0_10empty_typeEbEEZZNS1_14partition_implILS5_8ELb0ES3_jPlPS6_PKS6_NS0_5tupleIJS9_S6_EEENSD_IJSA_SA_EEENS0_18inequality_wrapperIZN2at6native12_GLOBAL__N_124unique_dim_cuda_templateIhEESt5tupleIJNSH_6TensorESM_SM_EERKSM_lbbbEUlllE0_EEPmJS6_EEE10hipError_tPvRmT3_T4_T5_T6_T7_T9_mT8_P12ihipStream_tbDpT10_ENKUlT_T0_E_clISt17integral_constantIbLb1EES1C_EEDaS17_S18_EUlS17_E_NS1_11comp_targetILNS1_3genE3ELNS1_11target_archE908ELNS1_3gpuE7ELNS1_3repE0EEENS1_30default_config_static_selectorELNS0_4arch9wavefront6targetE1EEEvT1_
; %bb.0:
	.section	.rodata,"a",@progbits
	.p2align	6, 0x0
	.amdhsa_kernel _ZN7rocprim17ROCPRIM_400000_NS6detail17trampoline_kernelINS0_14default_configENS1_25partition_config_selectorILNS1_17partition_subalgoE8ElNS0_10empty_typeEbEEZZNS1_14partition_implILS5_8ELb0ES3_jPlPS6_PKS6_NS0_5tupleIJS9_S6_EEENSD_IJSA_SA_EEENS0_18inequality_wrapperIZN2at6native12_GLOBAL__N_124unique_dim_cuda_templateIhEESt5tupleIJNSH_6TensorESM_SM_EERKSM_lbbbEUlllE0_EEPmJS6_EEE10hipError_tPvRmT3_T4_T5_T6_T7_T9_mT8_P12ihipStream_tbDpT10_ENKUlT_T0_E_clISt17integral_constantIbLb1EES1C_EEDaS17_S18_EUlS17_E_NS1_11comp_targetILNS1_3genE3ELNS1_11target_archE908ELNS1_3gpuE7ELNS1_3repE0EEENS1_30default_config_static_selectorELNS0_4arch9wavefront6targetE1EEEvT1_
		.amdhsa_group_segment_fixed_size 0
		.amdhsa_private_segment_fixed_size 0
		.amdhsa_kernarg_size 136
		.amdhsa_user_sgpr_count 6
		.amdhsa_user_sgpr_private_segment_buffer 1
		.amdhsa_user_sgpr_dispatch_ptr 0
		.amdhsa_user_sgpr_queue_ptr 0
		.amdhsa_user_sgpr_kernarg_segment_ptr 1
		.amdhsa_user_sgpr_dispatch_id 0
		.amdhsa_user_sgpr_flat_scratch_init 0
		.amdhsa_user_sgpr_kernarg_preload_length 0
		.amdhsa_user_sgpr_kernarg_preload_offset 0
		.amdhsa_user_sgpr_private_segment_size 0
		.amdhsa_uses_dynamic_stack 0
		.amdhsa_system_sgpr_private_segment_wavefront_offset 0
		.amdhsa_system_sgpr_workgroup_id_x 1
		.amdhsa_system_sgpr_workgroup_id_y 0
		.amdhsa_system_sgpr_workgroup_id_z 0
		.amdhsa_system_sgpr_workgroup_info 0
		.amdhsa_system_vgpr_workitem_id 0
		.amdhsa_next_free_vgpr 1
		.amdhsa_next_free_sgpr 0
		.amdhsa_accum_offset 4
		.amdhsa_reserve_vcc 0
		.amdhsa_reserve_flat_scratch 0
		.amdhsa_float_round_mode_32 0
		.amdhsa_float_round_mode_16_64 0
		.amdhsa_float_denorm_mode_32 3
		.amdhsa_float_denorm_mode_16_64 3
		.amdhsa_dx10_clamp 1
		.amdhsa_ieee_mode 1
		.amdhsa_fp16_overflow 0
		.amdhsa_tg_split 0
		.amdhsa_exception_fp_ieee_invalid_op 0
		.amdhsa_exception_fp_denorm_src 0
		.amdhsa_exception_fp_ieee_div_zero 0
		.amdhsa_exception_fp_ieee_overflow 0
		.amdhsa_exception_fp_ieee_underflow 0
		.amdhsa_exception_fp_ieee_inexact 0
		.amdhsa_exception_int_div_zero 0
	.end_amdhsa_kernel
	.section	.text._ZN7rocprim17ROCPRIM_400000_NS6detail17trampoline_kernelINS0_14default_configENS1_25partition_config_selectorILNS1_17partition_subalgoE8ElNS0_10empty_typeEbEEZZNS1_14partition_implILS5_8ELb0ES3_jPlPS6_PKS6_NS0_5tupleIJS9_S6_EEENSD_IJSA_SA_EEENS0_18inequality_wrapperIZN2at6native12_GLOBAL__N_124unique_dim_cuda_templateIhEESt5tupleIJNSH_6TensorESM_SM_EERKSM_lbbbEUlllE0_EEPmJS6_EEE10hipError_tPvRmT3_T4_T5_T6_T7_T9_mT8_P12ihipStream_tbDpT10_ENKUlT_T0_E_clISt17integral_constantIbLb1EES1C_EEDaS17_S18_EUlS17_E_NS1_11comp_targetILNS1_3genE3ELNS1_11target_archE908ELNS1_3gpuE7ELNS1_3repE0EEENS1_30default_config_static_selectorELNS0_4arch9wavefront6targetE1EEEvT1_,"axG",@progbits,_ZN7rocprim17ROCPRIM_400000_NS6detail17trampoline_kernelINS0_14default_configENS1_25partition_config_selectorILNS1_17partition_subalgoE8ElNS0_10empty_typeEbEEZZNS1_14partition_implILS5_8ELb0ES3_jPlPS6_PKS6_NS0_5tupleIJS9_S6_EEENSD_IJSA_SA_EEENS0_18inequality_wrapperIZN2at6native12_GLOBAL__N_124unique_dim_cuda_templateIhEESt5tupleIJNSH_6TensorESM_SM_EERKSM_lbbbEUlllE0_EEPmJS6_EEE10hipError_tPvRmT3_T4_T5_T6_T7_T9_mT8_P12ihipStream_tbDpT10_ENKUlT_T0_E_clISt17integral_constantIbLb1EES1C_EEDaS17_S18_EUlS17_E_NS1_11comp_targetILNS1_3genE3ELNS1_11target_archE908ELNS1_3gpuE7ELNS1_3repE0EEENS1_30default_config_static_selectorELNS0_4arch9wavefront6targetE1EEEvT1_,comdat
.Lfunc_end181:
	.size	_ZN7rocprim17ROCPRIM_400000_NS6detail17trampoline_kernelINS0_14default_configENS1_25partition_config_selectorILNS1_17partition_subalgoE8ElNS0_10empty_typeEbEEZZNS1_14partition_implILS5_8ELb0ES3_jPlPS6_PKS6_NS0_5tupleIJS9_S6_EEENSD_IJSA_SA_EEENS0_18inequality_wrapperIZN2at6native12_GLOBAL__N_124unique_dim_cuda_templateIhEESt5tupleIJNSH_6TensorESM_SM_EERKSM_lbbbEUlllE0_EEPmJS6_EEE10hipError_tPvRmT3_T4_T5_T6_T7_T9_mT8_P12ihipStream_tbDpT10_ENKUlT_T0_E_clISt17integral_constantIbLb1EES1C_EEDaS17_S18_EUlS17_E_NS1_11comp_targetILNS1_3genE3ELNS1_11target_archE908ELNS1_3gpuE7ELNS1_3repE0EEENS1_30default_config_static_selectorELNS0_4arch9wavefront6targetE1EEEvT1_, .Lfunc_end181-_ZN7rocprim17ROCPRIM_400000_NS6detail17trampoline_kernelINS0_14default_configENS1_25partition_config_selectorILNS1_17partition_subalgoE8ElNS0_10empty_typeEbEEZZNS1_14partition_implILS5_8ELb0ES3_jPlPS6_PKS6_NS0_5tupleIJS9_S6_EEENSD_IJSA_SA_EEENS0_18inequality_wrapperIZN2at6native12_GLOBAL__N_124unique_dim_cuda_templateIhEESt5tupleIJNSH_6TensorESM_SM_EERKSM_lbbbEUlllE0_EEPmJS6_EEE10hipError_tPvRmT3_T4_T5_T6_T7_T9_mT8_P12ihipStream_tbDpT10_ENKUlT_T0_E_clISt17integral_constantIbLb1EES1C_EEDaS17_S18_EUlS17_E_NS1_11comp_targetILNS1_3genE3ELNS1_11target_archE908ELNS1_3gpuE7ELNS1_3repE0EEENS1_30default_config_static_selectorELNS0_4arch9wavefront6targetE1EEEvT1_
                                        ; -- End function
	.section	.AMDGPU.csdata,"",@progbits
; Kernel info:
; codeLenInByte = 0
; NumSgprs: 4
; NumVgprs: 0
; NumAgprs: 0
; TotalNumVgprs: 0
; ScratchSize: 0
; MemoryBound: 0
; FloatMode: 240
; IeeeMode: 1
; LDSByteSize: 0 bytes/workgroup (compile time only)
; SGPRBlocks: 0
; VGPRBlocks: 0
; NumSGPRsForWavesPerEU: 4
; NumVGPRsForWavesPerEU: 1
; AccumOffset: 4
; Occupancy: 8
; WaveLimiterHint : 0
; COMPUTE_PGM_RSRC2:SCRATCH_EN: 0
; COMPUTE_PGM_RSRC2:USER_SGPR: 6
; COMPUTE_PGM_RSRC2:TRAP_HANDLER: 0
; COMPUTE_PGM_RSRC2:TGID_X_EN: 1
; COMPUTE_PGM_RSRC2:TGID_Y_EN: 0
; COMPUTE_PGM_RSRC2:TGID_Z_EN: 0
; COMPUTE_PGM_RSRC2:TIDIG_COMP_CNT: 0
; COMPUTE_PGM_RSRC3_GFX90A:ACCUM_OFFSET: 0
; COMPUTE_PGM_RSRC3_GFX90A:TG_SPLIT: 0
	.section	.text._ZN7rocprim17ROCPRIM_400000_NS6detail17trampoline_kernelINS0_14default_configENS1_25partition_config_selectorILNS1_17partition_subalgoE8ElNS0_10empty_typeEbEEZZNS1_14partition_implILS5_8ELb0ES3_jPlPS6_PKS6_NS0_5tupleIJS9_S6_EEENSD_IJSA_SA_EEENS0_18inequality_wrapperIZN2at6native12_GLOBAL__N_124unique_dim_cuda_templateIhEESt5tupleIJNSH_6TensorESM_SM_EERKSM_lbbbEUlllE0_EEPmJS6_EEE10hipError_tPvRmT3_T4_T5_T6_T7_T9_mT8_P12ihipStream_tbDpT10_ENKUlT_T0_E_clISt17integral_constantIbLb1EES1C_EEDaS17_S18_EUlS17_E_NS1_11comp_targetILNS1_3genE2ELNS1_11target_archE906ELNS1_3gpuE6ELNS1_3repE0EEENS1_30default_config_static_selectorELNS0_4arch9wavefront6targetE1EEEvT1_,"axG",@progbits,_ZN7rocprim17ROCPRIM_400000_NS6detail17trampoline_kernelINS0_14default_configENS1_25partition_config_selectorILNS1_17partition_subalgoE8ElNS0_10empty_typeEbEEZZNS1_14partition_implILS5_8ELb0ES3_jPlPS6_PKS6_NS0_5tupleIJS9_S6_EEENSD_IJSA_SA_EEENS0_18inequality_wrapperIZN2at6native12_GLOBAL__N_124unique_dim_cuda_templateIhEESt5tupleIJNSH_6TensorESM_SM_EERKSM_lbbbEUlllE0_EEPmJS6_EEE10hipError_tPvRmT3_T4_T5_T6_T7_T9_mT8_P12ihipStream_tbDpT10_ENKUlT_T0_E_clISt17integral_constantIbLb1EES1C_EEDaS17_S18_EUlS17_E_NS1_11comp_targetILNS1_3genE2ELNS1_11target_archE906ELNS1_3gpuE6ELNS1_3repE0EEENS1_30default_config_static_selectorELNS0_4arch9wavefront6targetE1EEEvT1_,comdat
	.globl	_ZN7rocprim17ROCPRIM_400000_NS6detail17trampoline_kernelINS0_14default_configENS1_25partition_config_selectorILNS1_17partition_subalgoE8ElNS0_10empty_typeEbEEZZNS1_14partition_implILS5_8ELb0ES3_jPlPS6_PKS6_NS0_5tupleIJS9_S6_EEENSD_IJSA_SA_EEENS0_18inequality_wrapperIZN2at6native12_GLOBAL__N_124unique_dim_cuda_templateIhEESt5tupleIJNSH_6TensorESM_SM_EERKSM_lbbbEUlllE0_EEPmJS6_EEE10hipError_tPvRmT3_T4_T5_T6_T7_T9_mT8_P12ihipStream_tbDpT10_ENKUlT_T0_E_clISt17integral_constantIbLb1EES1C_EEDaS17_S18_EUlS17_E_NS1_11comp_targetILNS1_3genE2ELNS1_11target_archE906ELNS1_3gpuE6ELNS1_3repE0EEENS1_30default_config_static_selectorELNS0_4arch9wavefront6targetE1EEEvT1_ ; -- Begin function _ZN7rocprim17ROCPRIM_400000_NS6detail17trampoline_kernelINS0_14default_configENS1_25partition_config_selectorILNS1_17partition_subalgoE8ElNS0_10empty_typeEbEEZZNS1_14partition_implILS5_8ELb0ES3_jPlPS6_PKS6_NS0_5tupleIJS9_S6_EEENSD_IJSA_SA_EEENS0_18inequality_wrapperIZN2at6native12_GLOBAL__N_124unique_dim_cuda_templateIhEESt5tupleIJNSH_6TensorESM_SM_EERKSM_lbbbEUlllE0_EEPmJS6_EEE10hipError_tPvRmT3_T4_T5_T6_T7_T9_mT8_P12ihipStream_tbDpT10_ENKUlT_T0_E_clISt17integral_constantIbLb1EES1C_EEDaS17_S18_EUlS17_E_NS1_11comp_targetILNS1_3genE2ELNS1_11target_archE906ELNS1_3gpuE6ELNS1_3repE0EEENS1_30default_config_static_selectorELNS0_4arch9wavefront6targetE1EEEvT1_
	.p2align	8
	.type	_ZN7rocprim17ROCPRIM_400000_NS6detail17trampoline_kernelINS0_14default_configENS1_25partition_config_selectorILNS1_17partition_subalgoE8ElNS0_10empty_typeEbEEZZNS1_14partition_implILS5_8ELb0ES3_jPlPS6_PKS6_NS0_5tupleIJS9_S6_EEENSD_IJSA_SA_EEENS0_18inequality_wrapperIZN2at6native12_GLOBAL__N_124unique_dim_cuda_templateIhEESt5tupleIJNSH_6TensorESM_SM_EERKSM_lbbbEUlllE0_EEPmJS6_EEE10hipError_tPvRmT3_T4_T5_T6_T7_T9_mT8_P12ihipStream_tbDpT10_ENKUlT_T0_E_clISt17integral_constantIbLb1EES1C_EEDaS17_S18_EUlS17_E_NS1_11comp_targetILNS1_3genE2ELNS1_11target_archE906ELNS1_3gpuE6ELNS1_3repE0EEENS1_30default_config_static_selectorELNS0_4arch9wavefront6targetE1EEEvT1_,@function
_ZN7rocprim17ROCPRIM_400000_NS6detail17trampoline_kernelINS0_14default_configENS1_25partition_config_selectorILNS1_17partition_subalgoE8ElNS0_10empty_typeEbEEZZNS1_14partition_implILS5_8ELb0ES3_jPlPS6_PKS6_NS0_5tupleIJS9_S6_EEENSD_IJSA_SA_EEENS0_18inequality_wrapperIZN2at6native12_GLOBAL__N_124unique_dim_cuda_templateIhEESt5tupleIJNSH_6TensorESM_SM_EERKSM_lbbbEUlllE0_EEPmJS6_EEE10hipError_tPvRmT3_T4_T5_T6_T7_T9_mT8_P12ihipStream_tbDpT10_ENKUlT_T0_E_clISt17integral_constantIbLb1EES1C_EEDaS17_S18_EUlS17_E_NS1_11comp_targetILNS1_3genE2ELNS1_11target_archE906ELNS1_3gpuE6ELNS1_3repE0EEENS1_30default_config_static_selectorELNS0_4arch9wavefront6targetE1EEEvT1_: ; @_ZN7rocprim17ROCPRIM_400000_NS6detail17trampoline_kernelINS0_14default_configENS1_25partition_config_selectorILNS1_17partition_subalgoE8ElNS0_10empty_typeEbEEZZNS1_14partition_implILS5_8ELb0ES3_jPlPS6_PKS6_NS0_5tupleIJS9_S6_EEENSD_IJSA_SA_EEENS0_18inequality_wrapperIZN2at6native12_GLOBAL__N_124unique_dim_cuda_templateIhEESt5tupleIJNSH_6TensorESM_SM_EERKSM_lbbbEUlllE0_EEPmJS6_EEE10hipError_tPvRmT3_T4_T5_T6_T7_T9_mT8_P12ihipStream_tbDpT10_ENKUlT_T0_E_clISt17integral_constantIbLb1EES1C_EEDaS17_S18_EUlS17_E_NS1_11comp_targetILNS1_3genE2ELNS1_11target_archE906ELNS1_3gpuE6ELNS1_3repE0EEENS1_30default_config_static_selectorELNS0_4arch9wavefront6targetE1EEEvT1_
; %bb.0:
	.section	.rodata,"a",@progbits
	.p2align	6, 0x0
	.amdhsa_kernel _ZN7rocprim17ROCPRIM_400000_NS6detail17trampoline_kernelINS0_14default_configENS1_25partition_config_selectorILNS1_17partition_subalgoE8ElNS0_10empty_typeEbEEZZNS1_14partition_implILS5_8ELb0ES3_jPlPS6_PKS6_NS0_5tupleIJS9_S6_EEENSD_IJSA_SA_EEENS0_18inequality_wrapperIZN2at6native12_GLOBAL__N_124unique_dim_cuda_templateIhEESt5tupleIJNSH_6TensorESM_SM_EERKSM_lbbbEUlllE0_EEPmJS6_EEE10hipError_tPvRmT3_T4_T5_T6_T7_T9_mT8_P12ihipStream_tbDpT10_ENKUlT_T0_E_clISt17integral_constantIbLb1EES1C_EEDaS17_S18_EUlS17_E_NS1_11comp_targetILNS1_3genE2ELNS1_11target_archE906ELNS1_3gpuE6ELNS1_3repE0EEENS1_30default_config_static_selectorELNS0_4arch9wavefront6targetE1EEEvT1_
		.amdhsa_group_segment_fixed_size 0
		.amdhsa_private_segment_fixed_size 0
		.amdhsa_kernarg_size 136
		.amdhsa_user_sgpr_count 6
		.amdhsa_user_sgpr_private_segment_buffer 1
		.amdhsa_user_sgpr_dispatch_ptr 0
		.amdhsa_user_sgpr_queue_ptr 0
		.amdhsa_user_sgpr_kernarg_segment_ptr 1
		.amdhsa_user_sgpr_dispatch_id 0
		.amdhsa_user_sgpr_flat_scratch_init 0
		.amdhsa_user_sgpr_kernarg_preload_length 0
		.amdhsa_user_sgpr_kernarg_preload_offset 0
		.amdhsa_user_sgpr_private_segment_size 0
		.amdhsa_uses_dynamic_stack 0
		.amdhsa_system_sgpr_private_segment_wavefront_offset 0
		.amdhsa_system_sgpr_workgroup_id_x 1
		.amdhsa_system_sgpr_workgroup_id_y 0
		.amdhsa_system_sgpr_workgroup_id_z 0
		.amdhsa_system_sgpr_workgroup_info 0
		.amdhsa_system_vgpr_workitem_id 0
		.amdhsa_next_free_vgpr 1
		.amdhsa_next_free_sgpr 0
		.amdhsa_accum_offset 4
		.amdhsa_reserve_vcc 0
		.amdhsa_reserve_flat_scratch 0
		.amdhsa_float_round_mode_32 0
		.amdhsa_float_round_mode_16_64 0
		.amdhsa_float_denorm_mode_32 3
		.amdhsa_float_denorm_mode_16_64 3
		.amdhsa_dx10_clamp 1
		.amdhsa_ieee_mode 1
		.amdhsa_fp16_overflow 0
		.amdhsa_tg_split 0
		.amdhsa_exception_fp_ieee_invalid_op 0
		.amdhsa_exception_fp_denorm_src 0
		.amdhsa_exception_fp_ieee_div_zero 0
		.amdhsa_exception_fp_ieee_overflow 0
		.amdhsa_exception_fp_ieee_underflow 0
		.amdhsa_exception_fp_ieee_inexact 0
		.amdhsa_exception_int_div_zero 0
	.end_amdhsa_kernel
	.section	.text._ZN7rocprim17ROCPRIM_400000_NS6detail17trampoline_kernelINS0_14default_configENS1_25partition_config_selectorILNS1_17partition_subalgoE8ElNS0_10empty_typeEbEEZZNS1_14partition_implILS5_8ELb0ES3_jPlPS6_PKS6_NS0_5tupleIJS9_S6_EEENSD_IJSA_SA_EEENS0_18inequality_wrapperIZN2at6native12_GLOBAL__N_124unique_dim_cuda_templateIhEESt5tupleIJNSH_6TensorESM_SM_EERKSM_lbbbEUlllE0_EEPmJS6_EEE10hipError_tPvRmT3_T4_T5_T6_T7_T9_mT8_P12ihipStream_tbDpT10_ENKUlT_T0_E_clISt17integral_constantIbLb1EES1C_EEDaS17_S18_EUlS17_E_NS1_11comp_targetILNS1_3genE2ELNS1_11target_archE906ELNS1_3gpuE6ELNS1_3repE0EEENS1_30default_config_static_selectorELNS0_4arch9wavefront6targetE1EEEvT1_,"axG",@progbits,_ZN7rocprim17ROCPRIM_400000_NS6detail17trampoline_kernelINS0_14default_configENS1_25partition_config_selectorILNS1_17partition_subalgoE8ElNS0_10empty_typeEbEEZZNS1_14partition_implILS5_8ELb0ES3_jPlPS6_PKS6_NS0_5tupleIJS9_S6_EEENSD_IJSA_SA_EEENS0_18inequality_wrapperIZN2at6native12_GLOBAL__N_124unique_dim_cuda_templateIhEESt5tupleIJNSH_6TensorESM_SM_EERKSM_lbbbEUlllE0_EEPmJS6_EEE10hipError_tPvRmT3_T4_T5_T6_T7_T9_mT8_P12ihipStream_tbDpT10_ENKUlT_T0_E_clISt17integral_constantIbLb1EES1C_EEDaS17_S18_EUlS17_E_NS1_11comp_targetILNS1_3genE2ELNS1_11target_archE906ELNS1_3gpuE6ELNS1_3repE0EEENS1_30default_config_static_selectorELNS0_4arch9wavefront6targetE1EEEvT1_,comdat
.Lfunc_end182:
	.size	_ZN7rocprim17ROCPRIM_400000_NS6detail17trampoline_kernelINS0_14default_configENS1_25partition_config_selectorILNS1_17partition_subalgoE8ElNS0_10empty_typeEbEEZZNS1_14partition_implILS5_8ELb0ES3_jPlPS6_PKS6_NS0_5tupleIJS9_S6_EEENSD_IJSA_SA_EEENS0_18inequality_wrapperIZN2at6native12_GLOBAL__N_124unique_dim_cuda_templateIhEESt5tupleIJNSH_6TensorESM_SM_EERKSM_lbbbEUlllE0_EEPmJS6_EEE10hipError_tPvRmT3_T4_T5_T6_T7_T9_mT8_P12ihipStream_tbDpT10_ENKUlT_T0_E_clISt17integral_constantIbLb1EES1C_EEDaS17_S18_EUlS17_E_NS1_11comp_targetILNS1_3genE2ELNS1_11target_archE906ELNS1_3gpuE6ELNS1_3repE0EEENS1_30default_config_static_selectorELNS0_4arch9wavefront6targetE1EEEvT1_, .Lfunc_end182-_ZN7rocprim17ROCPRIM_400000_NS6detail17trampoline_kernelINS0_14default_configENS1_25partition_config_selectorILNS1_17partition_subalgoE8ElNS0_10empty_typeEbEEZZNS1_14partition_implILS5_8ELb0ES3_jPlPS6_PKS6_NS0_5tupleIJS9_S6_EEENSD_IJSA_SA_EEENS0_18inequality_wrapperIZN2at6native12_GLOBAL__N_124unique_dim_cuda_templateIhEESt5tupleIJNSH_6TensorESM_SM_EERKSM_lbbbEUlllE0_EEPmJS6_EEE10hipError_tPvRmT3_T4_T5_T6_T7_T9_mT8_P12ihipStream_tbDpT10_ENKUlT_T0_E_clISt17integral_constantIbLb1EES1C_EEDaS17_S18_EUlS17_E_NS1_11comp_targetILNS1_3genE2ELNS1_11target_archE906ELNS1_3gpuE6ELNS1_3repE0EEENS1_30default_config_static_selectorELNS0_4arch9wavefront6targetE1EEEvT1_
                                        ; -- End function
	.section	.AMDGPU.csdata,"",@progbits
; Kernel info:
; codeLenInByte = 0
; NumSgprs: 4
; NumVgprs: 0
; NumAgprs: 0
; TotalNumVgprs: 0
; ScratchSize: 0
; MemoryBound: 0
; FloatMode: 240
; IeeeMode: 1
; LDSByteSize: 0 bytes/workgroup (compile time only)
; SGPRBlocks: 0
; VGPRBlocks: 0
; NumSGPRsForWavesPerEU: 4
; NumVGPRsForWavesPerEU: 1
; AccumOffset: 4
; Occupancy: 8
; WaveLimiterHint : 0
; COMPUTE_PGM_RSRC2:SCRATCH_EN: 0
; COMPUTE_PGM_RSRC2:USER_SGPR: 6
; COMPUTE_PGM_RSRC2:TRAP_HANDLER: 0
; COMPUTE_PGM_RSRC2:TGID_X_EN: 1
; COMPUTE_PGM_RSRC2:TGID_Y_EN: 0
; COMPUTE_PGM_RSRC2:TGID_Z_EN: 0
; COMPUTE_PGM_RSRC2:TIDIG_COMP_CNT: 0
; COMPUTE_PGM_RSRC3_GFX90A:ACCUM_OFFSET: 0
; COMPUTE_PGM_RSRC3_GFX90A:TG_SPLIT: 0
	.section	.text._ZN7rocprim17ROCPRIM_400000_NS6detail17trampoline_kernelINS0_14default_configENS1_25partition_config_selectorILNS1_17partition_subalgoE8ElNS0_10empty_typeEbEEZZNS1_14partition_implILS5_8ELb0ES3_jPlPS6_PKS6_NS0_5tupleIJS9_S6_EEENSD_IJSA_SA_EEENS0_18inequality_wrapperIZN2at6native12_GLOBAL__N_124unique_dim_cuda_templateIhEESt5tupleIJNSH_6TensorESM_SM_EERKSM_lbbbEUlllE0_EEPmJS6_EEE10hipError_tPvRmT3_T4_T5_T6_T7_T9_mT8_P12ihipStream_tbDpT10_ENKUlT_T0_E_clISt17integral_constantIbLb1EES1C_EEDaS17_S18_EUlS17_E_NS1_11comp_targetILNS1_3genE10ELNS1_11target_archE1200ELNS1_3gpuE4ELNS1_3repE0EEENS1_30default_config_static_selectorELNS0_4arch9wavefront6targetE1EEEvT1_,"axG",@progbits,_ZN7rocprim17ROCPRIM_400000_NS6detail17trampoline_kernelINS0_14default_configENS1_25partition_config_selectorILNS1_17partition_subalgoE8ElNS0_10empty_typeEbEEZZNS1_14partition_implILS5_8ELb0ES3_jPlPS6_PKS6_NS0_5tupleIJS9_S6_EEENSD_IJSA_SA_EEENS0_18inequality_wrapperIZN2at6native12_GLOBAL__N_124unique_dim_cuda_templateIhEESt5tupleIJNSH_6TensorESM_SM_EERKSM_lbbbEUlllE0_EEPmJS6_EEE10hipError_tPvRmT3_T4_T5_T6_T7_T9_mT8_P12ihipStream_tbDpT10_ENKUlT_T0_E_clISt17integral_constantIbLb1EES1C_EEDaS17_S18_EUlS17_E_NS1_11comp_targetILNS1_3genE10ELNS1_11target_archE1200ELNS1_3gpuE4ELNS1_3repE0EEENS1_30default_config_static_selectorELNS0_4arch9wavefront6targetE1EEEvT1_,comdat
	.globl	_ZN7rocprim17ROCPRIM_400000_NS6detail17trampoline_kernelINS0_14default_configENS1_25partition_config_selectorILNS1_17partition_subalgoE8ElNS0_10empty_typeEbEEZZNS1_14partition_implILS5_8ELb0ES3_jPlPS6_PKS6_NS0_5tupleIJS9_S6_EEENSD_IJSA_SA_EEENS0_18inequality_wrapperIZN2at6native12_GLOBAL__N_124unique_dim_cuda_templateIhEESt5tupleIJNSH_6TensorESM_SM_EERKSM_lbbbEUlllE0_EEPmJS6_EEE10hipError_tPvRmT3_T4_T5_T6_T7_T9_mT8_P12ihipStream_tbDpT10_ENKUlT_T0_E_clISt17integral_constantIbLb1EES1C_EEDaS17_S18_EUlS17_E_NS1_11comp_targetILNS1_3genE10ELNS1_11target_archE1200ELNS1_3gpuE4ELNS1_3repE0EEENS1_30default_config_static_selectorELNS0_4arch9wavefront6targetE1EEEvT1_ ; -- Begin function _ZN7rocprim17ROCPRIM_400000_NS6detail17trampoline_kernelINS0_14default_configENS1_25partition_config_selectorILNS1_17partition_subalgoE8ElNS0_10empty_typeEbEEZZNS1_14partition_implILS5_8ELb0ES3_jPlPS6_PKS6_NS0_5tupleIJS9_S6_EEENSD_IJSA_SA_EEENS0_18inequality_wrapperIZN2at6native12_GLOBAL__N_124unique_dim_cuda_templateIhEESt5tupleIJNSH_6TensorESM_SM_EERKSM_lbbbEUlllE0_EEPmJS6_EEE10hipError_tPvRmT3_T4_T5_T6_T7_T9_mT8_P12ihipStream_tbDpT10_ENKUlT_T0_E_clISt17integral_constantIbLb1EES1C_EEDaS17_S18_EUlS17_E_NS1_11comp_targetILNS1_3genE10ELNS1_11target_archE1200ELNS1_3gpuE4ELNS1_3repE0EEENS1_30default_config_static_selectorELNS0_4arch9wavefront6targetE1EEEvT1_
	.p2align	8
	.type	_ZN7rocprim17ROCPRIM_400000_NS6detail17trampoline_kernelINS0_14default_configENS1_25partition_config_selectorILNS1_17partition_subalgoE8ElNS0_10empty_typeEbEEZZNS1_14partition_implILS5_8ELb0ES3_jPlPS6_PKS6_NS0_5tupleIJS9_S6_EEENSD_IJSA_SA_EEENS0_18inequality_wrapperIZN2at6native12_GLOBAL__N_124unique_dim_cuda_templateIhEESt5tupleIJNSH_6TensorESM_SM_EERKSM_lbbbEUlllE0_EEPmJS6_EEE10hipError_tPvRmT3_T4_T5_T6_T7_T9_mT8_P12ihipStream_tbDpT10_ENKUlT_T0_E_clISt17integral_constantIbLb1EES1C_EEDaS17_S18_EUlS17_E_NS1_11comp_targetILNS1_3genE10ELNS1_11target_archE1200ELNS1_3gpuE4ELNS1_3repE0EEENS1_30default_config_static_selectorELNS0_4arch9wavefront6targetE1EEEvT1_,@function
_ZN7rocprim17ROCPRIM_400000_NS6detail17trampoline_kernelINS0_14default_configENS1_25partition_config_selectorILNS1_17partition_subalgoE8ElNS0_10empty_typeEbEEZZNS1_14partition_implILS5_8ELb0ES3_jPlPS6_PKS6_NS0_5tupleIJS9_S6_EEENSD_IJSA_SA_EEENS0_18inequality_wrapperIZN2at6native12_GLOBAL__N_124unique_dim_cuda_templateIhEESt5tupleIJNSH_6TensorESM_SM_EERKSM_lbbbEUlllE0_EEPmJS6_EEE10hipError_tPvRmT3_T4_T5_T6_T7_T9_mT8_P12ihipStream_tbDpT10_ENKUlT_T0_E_clISt17integral_constantIbLb1EES1C_EEDaS17_S18_EUlS17_E_NS1_11comp_targetILNS1_3genE10ELNS1_11target_archE1200ELNS1_3gpuE4ELNS1_3repE0EEENS1_30default_config_static_selectorELNS0_4arch9wavefront6targetE1EEEvT1_: ; @_ZN7rocprim17ROCPRIM_400000_NS6detail17trampoline_kernelINS0_14default_configENS1_25partition_config_selectorILNS1_17partition_subalgoE8ElNS0_10empty_typeEbEEZZNS1_14partition_implILS5_8ELb0ES3_jPlPS6_PKS6_NS0_5tupleIJS9_S6_EEENSD_IJSA_SA_EEENS0_18inequality_wrapperIZN2at6native12_GLOBAL__N_124unique_dim_cuda_templateIhEESt5tupleIJNSH_6TensorESM_SM_EERKSM_lbbbEUlllE0_EEPmJS6_EEE10hipError_tPvRmT3_T4_T5_T6_T7_T9_mT8_P12ihipStream_tbDpT10_ENKUlT_T0_E_clISt17integral_constantIbLb1EES1C_EEDaS17_S18_EUlS17_E_NS1_11comp_targetILNS1_3genE10ELNS1_11target_archE1200ELNS1_3gpuE4ELNS1_3repE0EEENS1_30default_config_static_selectorELNS0_4arch9wavefront6targetE1EEEvT1_
; %bb.0:
	.section	.rodata,"a",@progbits
	.p2align	6, 0x0
	.amdhsa_kernel _ZN7rocprim17ROCPRIM_400000_NS6detail17trampoline_kernelINS0_14default_configENS1_25partition_config_selectorILNS1_17partition_subalgoE8ElNS0_10empty_typeEbEEZZNS1_14partition_implILS5_8ELb0ES3_jPlPS6_PKS6_NS0_5tupleIJS9_S6_EEENSD_IJSA_SA_EEENS0_18inequality_wrapperIZN2at6native12_GLOBAL__N_124unique_dim_cuda_templateIhEESt5tupleIJNSH_6TensorESM_SM_EERKSM_lbbbEUlllE0_EEPmJS6_EEE10hipError_tPvRmT3_T4_T5_T6_T7_T9_mT8_P12ihipStream_tbDpT10_ENKUlT_T0_E_clISt17integral_constantIbLb1EES1C_EEDaS17_S18_EUlS17_E_NS1_11comp_targetILNS1_3genE10ELNS1_11target_archE1200ELNS1_3gpuE4ELNS1_3repE0EEENS1_30default_config_static_selectorELNS0_4arch9wavefront6targetE1EEEvT1_
		.amdhsa_group_segment_fixed_size 0
		.amdhsa_private_segment_fixed_size 0
		.amdhsa_kernarg_size 136
		.amdhsa_user_sgpr_count 6
		.amdhsa_user_sgpr_private_segment_buffer 1
		.amdhsa_user_sgpr_dispatch_ptr 0
		.amdhsa_user_sgpr_queue_ptr 0
		.amdhsa_user_sgpr_kernarg_segment_ptr 1
		.amdhsa_user_sgpr_dispatch_id 0
		.amdhsa_user_sgpr_flat_scratch_init 0
		.amdhsa_user_sgpr_kernarg_preload_length 0
		.amdhsa_user_sgpr_kernarg_preload_offset 0
		.amdhsa_user_sgpr_private_segment_size 0
		.amdhsa_uses_dynamic_stack 0
		.amdhsa_system_sgpr_private_segment_wavefront_offset 0
		.amdhsa_system_sgpr_workgroup_id_x 1
		.amdhsa_system_sgpr_workgroup_id_y 0
		.amdhsa_system_sgpr_workgroup_id_z 0
		.amdhsa_system_sgpr_workgroup_info 0
		.amdhsa_system_vgpr_workitem_id 0
		.amdhsa_next_free_vgpr 1
		.amdhsa_next_free_sgpr 0
		.amdhsa_accum_offset 4
		.amdhsa_reserve_vcc 0
		.amdhsa_reserve_flat_scratch 0
		.amdhsa_float_round_mode_32 0
		.amdhsa_float_round_mode_16_64 0
		.amdhsa_float_denorm_mode_32 3
		.amdhsa_float_denorm_mode_16_64 3
		.amdhsa_dx10_clamp 1
		.amdhsa_ieee_mode 1
		.amdhsa_fp16_overflow 0
		.amdhsa_tg_split 0
		.amdhsa_exception_fp_ieee_invalid_op 0
		.amdhsa_exception_fp_denorm_src 0
		.amdhsa_exception_fp_ieee_div_zero 0
		.amdhsa_exception_fp_ieee_overflow 0
		.amdhsa_exception_fp_ieee_underflow 0
		.amdhsa_exception_fp_ieee_inexact 0
		.amdhsa_exception_int_div_zero 0
	.end_amdhsa_kernel
	.section	.text._ZN7rocprim17ROCPRIM_400000_NS6detail17trampoline_kernelINS0_14default_configENS1_25partition_config_selectorILNS1_17partition_subalgoE8ElNS0_10empty_typeEbEEZZNS1_14partition_implILS5_8ELb0ES3_jPlPS6_PKS6_NS0_5tupleIJS9_S6_EEENSD_IJSA_SA_EEENS0_18inequality_wrapperIZN2at6native12_GLOBAL__N_124unique_dim_cuda_templateIhEESt5tupleIJNSH_6TensorESM_SM_EERKSM_lbbbEUlllE0_EEPmJS6_EEE10hipError_tPvRmT3_T4_T5_T6_T7_T9_mT8_P12ihipStream_tbDpT10_ENKUlT_T0_E_clISt17integral_constantIbLb1EES1C_EEDaS17_S18_EUlS17_E_NS1_11comp_targetILNS1_3genE10ELNS1_11target_archE1200ELNS1_3gpuE4ELNS1_3repE0EEENS1_30default_config_static_selectorELNS0_4arch9wavefront6targetE1EEEvT1_,"axG",@progbits,_ZN7rocprim17ROCPRIM_400000_NS6detail17trampoline_kernelINS0_14default_configENS1_25partition_config_selectorILNS1_17partition_subalgoE8ElNS0_10empty_typeEbEEZZNS1_14partition_implILS5_8ELb0ES3_jPlPS6_PKS6_NS0_5tupleIJS9_S6_EEENSD_IJSA_SA_EEENS0_18inequality_wrapperIZN2at6native12_GLOBAL__N_124unique_dim_cuda_templateIhEESt5tupleIJNSH_6TensorESM_SM_EERKSM_lbbbEUlllE0_EEPmJS6_EEE10hipError_tPvRmT3_T4_T5_T6_T7_T9_mT8_P12ihipStream_tbDpT10_ENKUlT_T0_E_clISt17integral_constantIbLb1EES1C_EEDaS17_S18_EUlS17_E_NS1_11comp_targetILNS1_3genE10ELNS1_11target_archE1200ELNS1_3gpuE4ELNS1_3repE0EEENS1_30default_config_static_selectorELNS0_4arch9wavefront6targetE1EEEvT1_,comdat
.Lfunc_end183:
	.size	_ZN7rocprim17ROCPRIM_400000_NS6detail17trampoline_kernelINS0_14default_configENS1_25partition_config_selectorILNS1_17partition_subalgoE8ElNS0_10empty_typeEbEEZZNS1_14partition_implILS5_8ELb0ES3_jPlPS6_PKS6_NS0_5tupleIJS9_S6_EEENSD_IJSA_SA_EEENS0_18inequality_wrapperIZN2at6native12_GLOBAL__N_124unique_dim_cuda_templateIhEESt5tupleIJNSH_6TensorESM_SM_EERKSM_lbbbEUlllE0_EEPmJS6_EEE10hipError_tPvRmT3_T4_T5_T6_T7_T9_mT8_P12ihipStream_tbDpT10_ENKUlT_T0_E_clISt17integral_constantIbLb1EES1C_EEDaS17_S18_EUlS17_E_NS1_11comp_targetILNS1_3genE10ELNS1_11target_archE1200ELNS1_3gpuE4ELNS1_3repE0EEENS1_30default_config_static_selectorELNS0_4arch9wavefront6targetE1EEEvT1_, .Lfunc_end183-_ZN7rocprim17ROCPRIM_400000_NS6detail17trampoline_kernelINS0_14default_configENS1_25partition_config_selectorILNS1_17partition_subalgoE8ElNS0_10empty_typeEbEEZZNS1_14partition_implILS5_8ELb0ES3_jPlPS6_PKS6_NS0_5tupleIJS9_S6_EEENSD_IJSA_SA_EEENS0_18inequality_wrapperIZN2at6native12_GLOBAL__N_124unique_dim_cuda_templateIhEESt5tupleIJNSH_6TensorESM_SM_EERKSM_lbbbEUlllE0_EEPmJS6_EEE10hipError_tPvRmT3_T4_T5_T6_T7_T9_mT8_P12ihipStream_tbDpT10_ENKUlT_T0_E_clISt17integral_constantIbLb1EES1C_EEDaS17_S18_EUlS17_E_NS1_11comp_targetILNS1_3genE10ELNS1_11target_archE1200ELNS1_3gpuE4ELNS1_3repE0EEENS1_30default_config_static_selectorELNS0_4arch9wavefront6targetE1EEEvT1_
                                        ; -- End function
	.section	.AMDGPU.csdata,"",@progbits
; Kernel info:
; codeLenInByte = 0
; NumSgprs: 4
; NumVgprs: 0
; NumAgprs: 0
; TotalNumVgprs: 0
; ScratchSize: 0
; MemoryBound: 0
; FloatMode: 240
; IeeeMode: 1
; LDSByteSize: 0 bytes/workgroup (compile time only)
; SGPRBlocks: 0
; VGPRBlocks: 0
; NumSGPRsForWavesPerEU: 4
; NumVGPRsForWavesPerEU: 1
; AccumOffset: 4
; Occupancy: 8
; WaveLimiterHint : 0
; COMPUTE_PGM_RSRC2:SCRATCH_EN: 0
; COMPUTE_PGM_RSRC2:USER_SGPR: 6
; COMPUTE_PGM_RSRC2:TRAP_HANDLER: 0
; COMPUTE_PGM_RSRC2:TGID_X_EN: 1
; COMPUTE_PGM_RSRC2:TGID_Y_EN: 0
; COMPUTE_PGM_RSRC2:TGID_Z_EN: 0
; COMPUTE_PGM_RSRC2:TIDIG_COMP_CNT: 0
; COMPUTE_PGM_RSRC3_GFX90A:ACCUM_OFFSET: 0
; COMPUTE_PGM_RSRC3_GFX90A:TG_SPLIT: 0
	.section	.text._ZN7rocprim17ROCPRIM_400000_NS6detail17trampoline_kernelINS0_14default_configENS1_25partition_config_selectorILNS1_17partition_subalgoE8ElNS0_10empty_typeEbEEZZNS1_14partition_implILS5_8ELb0ES3_jPlPS6_PKS6_NS0_5tupleIJS9_S6_EEENSD_IJSA_SA_EEENS0_18inequality_wrapperIZN2at6native12_GLOBAL__N_124unique_dim_cuda_templateIhEESt5tupleIJNSH_6TensorESM_SM_EERKSM_lbbbEUlllE0_EEPmJS6_EEE10hipError_tPvRmT3_T4_T5_T6_T7_T9_mT8_P12ihipStream_tbDpT10_ENKUlT_T0_E_clISt17integral_constantIbLb1EES1C_EEDaS17_S18_EUlS17_E_NS1_11comp_targetILNS1_3genE9ELNS1_11target_archE1100ELNS1_3gpuE3ELNS1_3repE0EEENS1_30default_config_static_selectorELNS0_4arch9wavefront6targetE1EEEvT1_,"axG",@progbits,_ZN7rocprim17ROCPRIM_400000_NS6detail17trampoline_kernelINS0_14default_configENS1_25partition_config_selectorILNS1_17partition_subalgoE8ElNS0_10empty_typeEbEEZZNS1_14partition_implILS5_8ELb0ES3_jPlPS6_PKS6_NS0_5tupleIJS9_S6_EEENSD_IJSA_SA_EEENS0_18inequality_wrapperIZN2at6native12_GLOBAL__N_124unique_dim_cuda_templateIhEESt5tupleIJNSH_6TensorESM_SM_EERKSM_lbbbEUlllE0_EEPmJS6_EEE10hipError_tPvRmT3_T4_T5_T6_T7_T9_mT8_P12ihipStream_tbDpT10_ENKUlT_T0_E_clISt17integral_constantIbLb1EES1C_EEDaS17_S18_EUlS17_E_NS1_11comp_targetILNS1_3genE9ELNS1_11target_archE1100ELNS1_3gpuE3ELNS1_3repE0EEENS1_30default_config_static_selectorELNS0_4arch9wavefront6targetE1EEEvT1_,comdat
	.globl	_ZN7rocprim17ROCPRIM_400000_NS6detail17trampoline_kernelINS0_14default_configENS1_25partition_config_selectorILNS1_17partition_subalgoE8ElNS0_10empty_typeEbEEZZNS1_14partition_implILS5_8ELb0ES3_jPlPS6_PKS6_NS0_5tupleIJS9_S6_EEENSD_IJSA_SA_EEENS0_18inequality_wrapperIZN2at6native12_GLOBAL__N_124unique_dim_cuda_templateIhEESt5tupleIJNSH_6TensorESM_SM_EERKSM_lbbbEUlllE0_EEPmJS6_EEE10hipError_tPvRmT3_T4_T5_T6_T7_T9_mT8_P12ihipStream_tbDpT10_ENKUlT_T0_E_clISt17integral_constantIbLb1EES1C_EEDaS17_S18_EUlS17_E_NS1_11comp_targetILNS1_3genE9ELNS1_11target_archE1100ELNS1_3gpuE3ELNS1_3repE0EEENS1_30default_config_static_selectorELNS0_4arch9wavefront6targetE1EEEvT1_ ; -- Begin function _ZN7rocprim17ROCPRIM_400000_NS6detail17trampoline_kernelINS0_14default_configENS1_25partition_config_selectorILNS1_17partition_subalgoE8ElNS0_10empty_typeEbEEZZNS1_14partition_implILS5_8ELb0ES3_jPlPS6_PKS6_NS0_5tupleIJS9_S6_EEENSD_IJSA_SA_EEENS0_18inequality_wrapperIZN2at6native12_GLOBAL__N_124unique_dim_cuda_templateIhEESt5tupleIJNSH_6TensorESM_SM_EERKSM_lbbbEUlllE0_EEPmJS6_EEE10hipError_tPvRmT3_T4_T5_T6_T7_T9_mT8_P12ihipStream_tbDpT10_ENKUlT_T0_E_clISt17integral_constantIbLb1EES1C_EEDaS17_S18_EUlS17_E_NS1_11comp_targetILNS1_3genE9ELNS1_11target_archE1100ELNS1_3gpuE3ELNS1_3repE0EEENS1_30default_config_static_selectorELNS0_4arch9wavefront6targetE1EEEvT1_
	.p2align	8
	.type	_ZN7rocprim17ROCPRIM_400000_NS6detail17trampoline_kernelINS0_14default_configENS1_25partition_config_selectorILNS1_17partition_subalgoE8ElNS0_10empty_typeEbEEZZNS1_14partition_implILS5_8ELb0ES3_jPlPS6_PKS6_NS0_5tupleIJS9_S6_EEENSD_IJSA_SA_EEENS0_18inequality_wrapperIZN2at6native12_GLOBAL__N_124unique_dim_cuda_templateIhEESt5tupleIJNSH_6TensorESM_SM_EERKSM_lbbbEUlllE0_EEPmJS6_EEE10hipError_tPvRmT3_T4_T5_T6_T7_T9_mT8_P12ihipStream_tbDpT10_ENKUlT_T0_E_clISt17integral_constantIbLb1EES1C_EEDaS17_S18_EUlS17_E_NS1_11comp_targetILNS1_3genE9ELNS1_11target_archE1100ELNS1_3gpuE3ELNS1_3repE0EEENS1_30default_config_static_selectorELNS0_4arch9wavefront6targetE1EEEvT1_,@function
_ZN7rocprim17ROCPRIM_400000_NS6detail17trampoline_kernelINS0_14default_configENS1_25partition_config_selectorILNS1_17partition_subalgoE8ElNS0_10empty_typeEbEEZZNS1_14partition_implILS5_8ELb0ES3_jPlPS6_PKS6_NS0_5tupleIJS9_S6_EEENSD_IJSA_SA_EEENS0_18inequality_wrapperIZN2at6native12_GLOBAL__N_124unique_dim_cuda_templateIhEESt5tupleIJNSH_6TensorESM_SM_EERKSM_lbbbEUlllE0_EEPmJS6_EEE10hipError_tPvRmT3_T4_T5_T6_T7_T9_mT8_P12ihipStream_tbDpT10_ENKUlT_T0_E_clISt17integral_constantIbLb1EES1C_EEDaS17_S18_EUlS17_E_NS1_11comp_targetILNS1_3genE9ELNS1_11target_archE1100ELNS1_3gpuE3ELNS1_3repE0EEENS1_30default_config_static_selectorELNS0_4arch9wavefront6targetE1EEEvT1_: ; @_ZN7rocprim17ROCPRIM_400000_NS6detail17trampoline_kernelINS0_14default_configENS1_25partition_config_selectorILNS1_17partition_subalgoE8ElNS0_10empty_typeEbEEZZNS1_14partition_implILS5_8ELb0ES3_jPlPS6_PKS6_NS0_5tupleIJS9_S6_EEENSD_IJSA_SA_EEENS0_18inequality_wrapperIZN2at6native12_GLOBAL__N_124unique_dim_cuda_templateIhEESt5tupleIJNSH_6TensorESM_SM_EERKSM_lbbbEUlllE0_EEPmJS6_EEE10hipError_tPvRmT3_T4_T5_T6_T7_T9_mT8_P12ihipStream_tbDpT10_ENKUlT_T0_E_clISt17integral_constantIbLb1EES1C_EEDaS17_S18_EUlS17_E_NS1_11comp_targetILNS1_3genE9ELNS1_11target_archE1100ELNS1_3gpuE3ELNS1_3repE0EEENS1_30default_config_static_selectorELNS0_4arch9wavefront6targetE1EEEvT1_
; %bb.0:
	.section	.rodata,"a",@progbits
	.p2align	6, 0x0
	.amdhsa_kernel _ZN7rocprim17ROCPRIM_400000_NS6detail17trampoline_kernelINS0_14default_configENS1_25partition_config_selectorILNS1_17partition_subalgoE8ElNS0_10empty_typeEbEEZZNS1_14partition_implILS5_8ELb0ES3_jPlPS6_PKS6_NS0_5tupleIJS9_S6_EEENSD_IJSA_SA_EEENS0_18inequality_wrapperIZN2at6native12_GLOBAL__N_124unique_dim_cuda_templateIhEESt5tupleIJNSH_6TensorESM_SM_EERKSM_lbbbEUlllE0_EEPmJS6_EEE10hipError_tPvRmT3_T4_T5_T6_T7_T9_mT8_P12ihipStream_tbDpT10_ENKUlT_T0_E_clISt17integral_constantIbLb1EES1C_EEDaS17_S18_EUlS17_E_NS1_11comp_targetILNS1_3genE9ELNS1_11target_archE1100ELNS1_3gpuE3ELNS1_3repE0EEENS1_30default_config_static_selectorELNS0_4arch9wavefront6targetE1EEEvT1_
		.amdhsa_group_segment_fixed_size 0
		.amdhsa_private_segment_fixed_size 0
		.amdhsa_kernarg_size 136
		.amdhsa_user_sgpr_count 6
		.amdhsa_user_sgpr_private_segment_buffer 1
		.amdhsa_user_sgpr_dispatch_ptr 0
		.amdhsa_user_sgpr_queue_ptr 0
		.amdhsa_user_sgpr_kernarg_segment_ptr 1
		.amdhsa_user_sgpr_dispatch_id 0
		.amdhsa_user_sgpr_flat_scratch_init 0
		.amdhsa_user_sgpr_kernarg_preload_length 0
		.amdhsa_user_sgpr_kernarg_preload_offset 0
		.amdhsa_user_sgpr_private_segment_size 0
		.amdhsa_uses_dynamic_stack 0
		.amdhsa_system_sgpr_private_segment_wavefront_offset 0
		.amdhsa_system_sgpr_workgroup_id_x 1
		.amdhsa_system_sgpr_workgroup_id_y 0
		.amdhsa_system_sgpr_workgroup_id_z 0
		.amdhsa_system_sgpr_workgroup_info 0
		.amdhsa_system_vgpr_workitem_id 0
		.amdhsa_next_free_vgpr 1
		.amdhsa_next_free_sgpr 0
		.amdhsa_accum_offset 4
		.amdhsa_reserve_vcc 0
		.amdhsa_reserve_flat_scratch 0
		.amdhsa_float_round_mode_32 0
		.amdhsa_float_round_mode_16_64 0
		.amdhsa_float_denorm_mode_32 3
		.amdhsa_float_denorm_mode_16_64 3
		.amdhsa_dx10_clamp 1
		.amdhsa_ieee_mode 1
		.amdhsa_fp16_overflow 0
		.amdhsa_tg_split 0
		.amdhsa_exception_fp_ieee_invalid_op 0
		.amdhsa_exception_fp_denorm_src 0
		.amdhsa_exception_fp_ieee_div_zero 0
		.amdhsa_exception_fp_ieee_overflow 0
		.amdhsa_exception_fp_ieee_underflow 0
		.amdhsa_exception_fp_ieee_inexact 0
		.amdhsa_exception_int_div_zero 0
	.end_amdhsa_kernel
	.section	.text._ZN7rocprim17ROCPRIM_400000_NS6detail17trampoline_kernelINS0_14default_configENS1_25partition_config_selectorILNS1_17partition_subalgoE8ElNS0_10empty_typeEbEEZZNS1_14partition_implILS5_8ELb0ES3_jPlPS6_PKS6_NS0_5tupleIJS9_S6_EEENSD_IJSA_SA_EEENS0_18inequality_wrapperIZN2at6native12_GLOBAL__N_124unique_dim_cuda_templateIhEESt5tupleIJNSH_6TensorESM_SM_EERKSM_lbbbEUlllE0_EEPmJS6_EEE10hipError_tPvRmT3_T4_T5_T6_T7_T9_mT8_P12ihipStream_tbDpT10_ENKUlT_T0_E_clISt17integral_constantIbLb1EES1C_EEDaS17_S18_EUlS17_E_NS1_11comp_targetILNS1_3genE9ELNS1_11target_archE1100ELNS1_3gpuE3ELNS1_3repE0EEENS1_30default_config_static_selectorELNS0_4arch9wavefront6targetE1EEEvT1_,"axG",@progbits,_ZN7rocprim17ROCPRIM_400000_NS6detail17trampoline_kernelINS0_14default_configENS1_25partition_config_selectorILNS1_17partition_subalgoE8ElNS0_10empty_typeEbEEZZNS1_14partition_implILS5_8ELb0ES3_jPlPS6_PKS6_NS0_5tupleIJS9_S6_EEENSD_IJSA_SA_EEENS0_18inequality_wrapperIZN2at6native12_GLOBAL__N_124unique_dim_cuda_templateIhEESt5tupleIJNSH_6TensorESM_SM_EERKSM_lbbbEUlllE0_EEPmJS6_EEE10hipError_tPvRmT3_T4_T5_T6_T7_T9_mT8_P12ihipStream_tbDpT10_ENKUlT_T0_E_clISt17integral_constantIbLb1EES1C_EEDaS17_S18_EUlS17_E_NS1_11comp_targetILNS1_3genE9ELNS1_11target_archE1100ELNS1_3gpuE3ELNS1_3repE0EEENS1_30default_config_static_selectorELNS0_4arch9wavefront6targetE1EEEvT1_,comdat
.Lfunc_end184:
	.size	_ZN7rocprim17ROCPRIM_400000_NS6detail17trampoline_kernelINS0_14default_configENS1_25partition_config_selectorILNS1_17partition_subalgoE8ElNS0_10empty_typeEbEEZZNS1_14partition_implILS5_8ELb0ES3_jPlPS6_PKS6_NS0_5tupleIJS9_S6_EEENSD_IJSA_SA_EEENS0_18inequality_wrapperIZN2at6native12_GLOBAL__N_124unique_dim_cuda_templateIhEESt5tupleIJNSH_6TensorESM_SM_EERKSM_lbbbEUlllE0_EEPmJS6_EEE10hipError_tPvRmT3_T4_T5_T6_T7_T9_mT8_P12ihipStream_tbDpT10_ENKUlT_T0_E_clISt17integral_constantIbLb1EES1C_EEDaS17_S18_EUlS17_E_NS1_11comp_targetILNS1_3genE9ELNS1_11target_archE1100ELNS1_3gpuE3ELNS1_3repE0EEENS1_30default_config_static_selectorELNS0_4arch9wavefront6targetE1EEEvT1_, .Lfunc_end184-_ZN7rocprim17ROCPRIM_400000_NS6detail17trampoline_kernelINS0_14default_configENS1_25partition_config_selectorILNS1_17partition_subalgoE8ElNS0_10empty_typeEbEEZZNS1_14partition_implILS5_8ELb0ES3_jPlPS6_PKS6_NS0_5tupleIJS9_S6_EEENSD_IJSA_SA_EEENS0_18inequality_wrapperIZN2at6native12_GLOBAL__N_124unique_dim_cuda_templateIhEESt5tupleIJNSH_6TensorESM_SM_EERKSM_lbbbEUlllE0_EEPmJS6_EEE10hipError_tPvRmT3_T4_T5_T6_T7_T9_mT8_P12ihipStream_tbDpT10_ENKUlT_T0_E_clISt17integral_constantIbLb1EES1C_EEDaS17_S18_EUlS17_E_NS1_11comp_targetILNS1_3genE9ELNS1_11target_archE1100ELNS1_3gpuE3ELNS1_3repE0EEENS1_30default_config_static_selectorELNS0_4arch9wavefront6targetE1EEEvT1_
                                        ; -- End function
	.section	.AMDGPU.csdata,"",@progbits
; Kernel info:
; codeLenInByte = 0
; NumSgprs: 4
; NumVgprs: 0
; NumAgprs: 0
; TotalNumVgprs: 0
; ScratchSize: 0
; MemoryBound: 0
; FloatMode: 240
; IeeeMode: 1
; LDSByteSize: 0 bytes/workgroup (compile time only)
; SGPRBlocks: 0
; VGPRBlocks: 0
; NumSGPRsForWavesPerEU: 4
; NumVGPRsForWavesPerEU: 1
; AccumOffset: 4
; Occupancy: 8
; WaveLimiterHint : 0
; COMPUTE_PGM_RSRC2:SCRATCH_EN: 0
; COMPUTE_PGM_RSRC2:USER_SGPR: 6
; COMPUTE_PGM_RSRC2:TRAP_HANDLER: 0
; COMPUTE_PGM_RSRC2:TGID_X_EN: 1
; COMPUTE_PGM_RSRC2:TGID_Y_EN: 0
; COMPUTE_PGM_RSRC2:TGID_Z_EN: 0
; COMPUTE_PGM_RSRC2:TIDIG_COMP_CNT: 0
; COMPUTE_PGM_RSRC3_GFX90A:ACCUM_OFFSET: 0
; COMPUTE_PGM_RSRC3_GFX90A:TG_SPLIT: 0
	.section	.text._ZN7rocprim17ROCPRIM_400000_NS6detail17trampoline_kernelINS0_14default_configENS1_25partition_config_selectorILNS1_17partition_subalgoE8ElNS0_10empty_typeEbEEZZNS1_14partition_implILS5_8ELb0ES3_jPlPS6_PKS6_NS0_5tupleIJS9_S6_EEENSD_IJSA_SA_EEENS0_18inequality_wrapperIZN2at6native12_GLOBAL__N_124unique_dim_cuda_templateIhEESt5tupleIJNSH_6TensorESM_SM_EERKSM_lbbbEUlllE0_EEPmJS6_EEE10hipError_tPvRmT3_T4_T5_T6_T7_T9_mT8_P12ihipStream_tbDpT10_ENKUlT_T0_E_clISt17integral_constantIbLb1EES1C_EEDaS17_S18_EUlS17_E_NS1_11comp_targetILNS1_3genE8ELNS1_11target_archE1030ELNS1_3gpuE2ELNS1_3repE0EEENS1_30default_config_static_selectorELNS0_4arch9wavefront6targetE1EEEvT1_,"axG",@progbits,_ZN7rocprim17ROCPRIM_400000_NS6detail17trampoline_kernelINS0_14default_configENS1_25partition_config_selectorILNS1_17partition_subalgoE8ElNS0_10empty_typeEbEEZZNS1_14partition_implILS5_8ELb0ES3_jPlPS6_PKS6_NS0_5tupleIJS9_S6_EEENSD_IJSA_SA_EEENS0_18inequality_wrapperIZN2at6native12_GLOBAL__N_124unique_dim_cuda_templateIhEESt5tupleIJNSH_6TensorESM_SM_EERKSM_lbbbEUlllE0_EEPmJS6_EEE10hipError_tPvRmT3_T4_T5_T6_T7_T9_mT8_P12ihipStream_tbDpT10_ENKUlT_T0_E_clISt17integral_constantIbLb1EES1C_EEDaS17_S18_EUlS17_E_NS1_11comp_targetILNS1_3genE8ELNS1_11target_archE1030ELNS1_3gpuE2ELNS1_3repE0EEENS1_30default_config_static_selectorELNS0_4arch9wavefront6targetE1EEEvT1_,comdat
	.globl	_ZN7rocprim17ROCPRIM_400000_NS6detail17trampoline_kernelINS0_14default_configENS1_25partition_config_selectorILNS1_17partition_subalgoE8ElNS0_10empty_typeEbEEZZNS1_14partition_implILS5_8ELb0ES3_jPlPS6_PKS6_NS0_5tupleIJS9_S6_EEENSD_IJSA_SA_EEENS0_18inequality_wrapperIZN2at6native12_GLOBAL__N_124unique_dim_cuda_templateIhEESt5tupleIJNSH_6TensorESM_SM_EERKSM_lbbbEUlllE0_EEPmJS6_EEE10hipError_tPvRmT3_T4_T5_T6_T7_T9_mT8_P12ihipStream_tbDpT10_ENKUlT_T0_E_clISt17integral_constantIbLb1EES1C_EEDaS17_S18_EUlS17_E_NS1_11comp_targetILNS1_3genE8ELNS1_11target_archE1030ELNS1_3gpuE2ELNS1_3repE0EEENS1_30default_config_static_selectorELNS0_4arch9wavefront6targetE1EEEvT1_ ; -- Begin function _ZN7rocprim17ROCPRIM_400000_NS6detail17trampoline_kernelINS0_14default_configENS1_25partition_config_selectorILNS1_17partition_subalgoE8ElNS0_10empty_typeEbEEZZNS1_14partition_implILS5_8ELb0ES3_jPlPS6_PKS6_NS0_5tupleIJS9_S6_EEENSD_IJSA_SA_EEENS0_18inequality_wrapperIZN2at6native12_GLOBAL__N_124unique_dim_cuda_templateIhEESt5tupleIJNSH_6TensorESM_SM_EERKSM_lbbbEUlllE0_EEPmJS6_EEE10hipError_tPvRmT3_T4_T5_T6_T7_T9_mT8_P12ihipStream_tbDpT10_ENKUlT_T0_E_clISt17integral_constantIbLb1EES1C_EEDaS17_S18_EUlS17_E_NS1_11comp_targetILNS1_3genE8ELNS1_11target_archE1030ELNS1_3gpuE2ELNS1_3repE0EEENS1_30default_config_static_selectorELNS0_4arch9wavefront6targetE1EEEvT1_
	.p2align	8
	.type	_ZN7rocprim17ROCPRIM_400000_NS6detail17trampoline_kernelINS0_14default_configENS1_25partition_config_selectorILNS1_17partition_subalgoE8ElNS0_10empty_typeEbEEZZNS1_14partition_implILS5_8ELb0ES3_jPlPS6_PKS6_NS0_5tupleIJS9_S6_EEENSD_IJSA_SA_EEENS0_18inequality_wrapperIZN2at6native12_GLOBAL__N_124unique_dim_cuda_templateIhEESt5tupleIJNSH_6TensorESM_SM_EERKSM_lbbbEUlllE0_EEPmJS6_EEE10hipError_tPvRmT3_T4_T5_T6_T7_T9_mT8_P12ihipStream_tbDpT10_ENKUlT_T0_E_clISt17integral_constantIbLb1EES1C_EEDaS17_S18_EUlS17_E_NS1_11comp_targetILNS1_3genE8ELNS1_11target_archE1030ELNS1_3gpuE2ELNS1_3repE0EEENS1_30default_config_static_selectorELNS0_4arch9wavefront6targetE1EEEvT1_,@function
_ZN7rocprim17ROCPRIM_400000_NS6detail17trampoline_kernelINS0_14default_configENS1_25partition_config_selectorILNS1_17partition_subalgoE8ElNS0_10empty_typeEbEEZZNS1_14partition_implILS5_8ELb0ES3_jPlPS6_PKS6_NS0_5tupleIJS9_S6_EEENSD_IJSA_SA_EEENS0_18inequality_wrapperIZN2at6native12_GLOBAL__N_124unique_dim_cuda_templateIhEESt5tupleIJNSH_6TensorESM_SM_EERKSM_lbbbEUlllE0_EEPmJS6_EEE10hipError_tPvRmT3_T4_T5_T6_T7_T9_mT8_P12ihipStream_tbDpT10_ENKUlT_T0_E_clISt17integral_constantIbLb1EES1C_EEDaS17_S18_EUlS17_E_NS1_11comp_targetILNS1_3genE8ELNS1_11target_archE1030ELNS1_3gpuE2ELNS1_3repE0EEENS1_30default_config_static_selectorELNS0_4arch9wavefront6targetE1EEEvT1_: ; @_ZN7rocprim17ROCPRIM_400000_NS6detail17trampoline_kernelINS0_14default_configENS1_25partition_config_selectorILNS1_17partition_subalgoE8ElNS0_10empty_typeEbEEZZNS1_14partition_implILS5_8ELb0ES3_jPlPS6_PKS6_NS0_5tupleIJS9_S6_EEENSD_IJSA_SA_EEENS0_18inequality_wrapperIZN2at6native12_GLOBAL__N_124unique_dim_cuda_templateIhEESt5tupleIJNSH_6TensorESM_SM_EERKSM_lbbbEUlllE0_EEPmJS6_EEE10hipError_tPvRmT3_T4_T5_T6_T7_T9_mT8_P12ihipStream_tbDpT10_ENKUlT_T0_E_clISt17integral_constantIbLb1EES1C_EEDaS17_S18_EUlS17_E_NS1_11comp_targetILNS1_3genE8ELNS1_11target_archE1030ELNS1_3gpuE2ELNS1_3repE0EEENS1_30default_config_static_selectorELNS0_4arch9wavefront6targetE1EEEvT1_
; %bb.0:
	.section	.rodata,"a",@progbits
	.p2align	6, 0x0
	.amdhsa_kernel _ZN7rocprim17ROCPRIM_400000_NS6detail17trampoline_kernelINS0_14default_configENS1_25partition_config_selectorILNS1_17partition_subalgoE8ElNS0_10empty_typeEbEEZZNS1_14partition_implILS5_8ELb0ES3_jPlPS6_PKS6_NS0_5tupleIJS9_S6_EEENSD_IJSA_SA_EEENS0_18inequality_wrapperIZN2at6native12_GLOBAL__N_124unique_dim_cuda_templateIhEESt5tupleIJNSH_6TensorESM_SM_EERKSM_lbbbEUlllE0_EEPmJS6_EEE10hipError_tPvRmT3_T4_T5_T6_T7_T9_mT8_P12ihipStream_tbDpT10_ENKUlT_T0_E_clISt17integral_constantIbLb1EES1C_EEDaS17_S18_EUlS17_E_NS1_11comp_targetILNS1_3genE8ELNS1_11target_archE1030ELNS1_3gpuE2ELNS1_3repE0EEENS1_30default_config_static_selectorELNS0_4arch9wavefront6targetE1EEEvT1_
		.amdhsa_group_segment_fixed_size 0
		.amdhsa_private_segment_fixed_size 0
		.amdhsa_kernarg_size 136
		.amdhsa_user_sgpr_count 6
		.amdhsa_user_sgpr_private_segment_buffer 1
		.amdhsa_user_sgpr_dispatch_ptr 0
		.amdhsa_user_sgpr_queue_ptr 0
		.amdhsa_user_sgpr_kernarg_segment_ptr 1
		.amdhsa_user_sgpr_dispatch_id 0
		.amdhsa_user_sgpr_flat_scratch_init 0
		.amdhsa_user_sgpr_kernarg_preload_length 0
		.amdhsa_user_sgpr_kernarg_preload_offset 0
		.amdhsa_user_sgpr_private_segment_size 0
		.amdhsa_uses_dynamic_stack 0
		.amdhsa_system_sgpr_private_segment_wavefront_offset 0
		.amdhsa_system_sgpr_workgroup_id_x 1
		.amdhsa_system_sgpr_workgroup_id_y 0
		.amdhsa_system_sgpr_workgroup_id_z 0
		.amdhsa_system_sgpr_workgroup_info 0
		.amdhsa_system_vgpr_workitem_id 0
		.amdhsa_next_free_vgpr 1
		.amdhsa_next_free_sgpr 0
		.amdhsa_accum_offset 4
		.amdhsa_reserve_vcc 0
		.amdhsa_reserve_flat_scratch 0
		.amdhsa_float_round_mode_32 0
		.amdhsa_float_round_mode_16_64 0
		.amdhsa_float_denorm_mode_32 3
		.amdhsa_float_denorm_mode_16_64 3
		.amdhsa_dx10_clamp 1
		.amdhsa_ieee_mode 1
		.amdhsa_fp16_overflow 0
		.amdhsa_tg_split 0
		.amdhsa_exception_fp_ieee_invalid_op 0
		.amdhsa_exception_fp_denorm_src 0
		.amdhsa_exception_fp_ieee_div_zero 0
		.amdhsa_exception_fp_ieee_overflow 0
		.amdhsa_exception_fp_ieee_underflow 0
		.amdhsa_exception_fp_ieee_inexact 0
		.amdhsa_exception_int_div_zero 0
	.end_amdhsa_kernel
	.section	.text._ZN7rocprim17ROCPRIM_400000_NS6detail17trampoline_kernelINS0_14default_configENS1_25partition_config_selectorILNS1_17partition_subalgoE8ElNS0_10empty_typeEbEEZZNS1_14partition_implILS5_8ELb0ES3_jPlPS6_PKS6_NS0_5tupleIJS9_S6_EEENSD_IJSA_SA_EEENS0_18inequality_wrapperIZN2at6native12_GLOBAL__N_124unique_dim_cuda_templateIhEESt5tupleIJNSH_6TensorESM_SM_EERKSM_lbbbEUlllE0_EEPmJS6_EEE10hipError_tPvRmT3_T4_T5_T6_T7_T9_mT8_P12ihipStream_tbDpT10_ENKUlT_T0_E_clISt17integral_constantIbLb1EES1C_EEDaS17_S18_EUlS17_E_NS1_11comp_targetILNS1_3genE8ELNS1_11target_archE1030ELNS1_3gpuE2ELNS1_3repE0EEENS1_30default_config_static_selectorELNS0_4arch9wavefront6targetE1EEEvT1_,"axG",@progbits,_ZN7rocprim17ROCPRIM_400000_NS6detail17trampoline_kernelINS0_14default_configENS1_25partition_config_selectorILNS1_17partition_subalgoE8ElNS0_10empty_typeEbEEZZNS1_14partition_implILS5_8ELb0ES3_jPlPS6_PKS6_NS0_5tupleIJS9_S6_EEENSD_IJSA_SA_EEENS0_18inequality_wrapperIZN2at6native12_GLOBAL__N_124unique_dim_cuda_templateIhEESt5tupleIJNSH_6TensorESM_SM_EERKSM_lbbbEUlllE0_EEPmJS6_EEE10hipError_tPvRmT3_T4_T5_T6_T7_T9_mT8_P12ihipStream_tbDpT10_ENKUlT_T0_E_clISt17integral_constantIbLb1EES1C_EEDaS17_S18_EUlS17_E_NS1_11comp_targetILNS1_3genE8ELNS1_11target_archE1030ELNS1_3gpuE2ELNS1_3repE0EEENS1_30default_config_static_selectorELNS0_4arch9wavefront6targetE1EEEvT1_,comdat
.Lfunc_end185:
	.size	_ZN7rocprim17ROCPRIM_400000_NS6detail17trampoline_kernelINS0_14default_configENS1_25partition_config_selectorILNS1_17partition_subalgoE8ElNS0_10empty_typeEbEEZZNS1_14partition_implILS5_8ELb0ES3_jPlPS6_PKS6_NS0_5tupleIJS9_S6_EEENSD_IJSA_SA_EEENS0_18inequality_wrapperIZN2at6native12_GLOBAL__N_124unique_dim_cuda_templateIhEESt5tupleIJNSH_6TensorESM_SM_EERKSM_lbbbEUlllE0_EEPmJS6_EEE10hipError_tPvRmT3_T4_T5_T6_T7_T9_mT8_P12ihipStream_tbDpT10_ENKUlT_T0_E_clISt17integral_constantIbLb1EES1C_EEDaS17_S18_EUlS17_E_NS1_11comp_targetILNS1_3genE8ELNS1_11target_archE1030ELNS1_3gpuE2ELNS1_3repE0EEENS1_30default_config_static_selectorELNS0_4arch9wavefront6targetE1EEEvT1_, .Lfunc_end185-_ZN7rocprim17ROCPRIM_400000_NS6detail17trampoline_kernelINS0_14default_configENS1_25partition_config_selectorILNS1_17partition_subalgoE8ElNS0_10empty_typeEbEEZZNS1_14partition_implILS5_8ELb0ES3_jPlPS6_PKS6_NS0_5tupleIJS9_S6_EEENSD_IJSA_SA_EEENS0_18inequality_wrapperIZN2at6native12_GLOBAL__N_124unique_dim_cuda_templateIhEESt5tupleIJNSH_6TensorESM_SM_EERKSM_lbbbEUlllE0_EEPmJS6_EEE10hipError_tPvRmT3_T4_T5_T6_T7_T9_mT8_P12ihipStream_tbDpT10_ENKUlT_T0_E_clISt17integral_constantIbLb1EES1C_EEDaS17_S18_EUlS17_E_NS1_11comp_targetILNS1_3genE8ELNS1_11target_archE1030ELNS1_3gpuE2ELNS1_3repE0EEENS1_30default_config_static_selectorELNS0_4arch9wavefront6targetE1EEEvT1_
                                        ; -- End function
	.section	.AMDGPU.csdata,"",@progbits
; Kernel info:
; codeLenInByte = 0
; NumSgprs: 4
; NumVgprs: 0
; NumAgprs: 0
; TotalNumVgprs: 0
; ScratchSize: 0
; MemoryBound: 0
; FloatMode: 240
; IeeeMode: 1
; LDSByteSize: 0 bytes/workgroup (compile time only)
; SGPRBlocks: 0
; VGPRBlocks: 0
; NumSGPRsForWavesPerEU: 4
; NumVGPRsForWavesPerEU: 1
; AccumOffset: 4
; Occupancy: 8
; WaveLimiterHint : 0
; COMPUTE_PGM_RSRC2:SCRATCH_EN: 0
; COMPUTE_PGM_RSRC2:USER_SGPR: 6
; COMPUTE_PGM_RSRC2:TRAP_HANDLER: 0
; COMPUTE_PGM_RSRC2:TGID_X_EN: 1
; COMPUTE_PGM_RSRC2:TGID_Y_EN: 0
; COMPUTE_PGM_RSRC2:TGID_Z_EN: 0
; COMPUTE_PGM_RSRC2:TIDIG_COMP_CNT: 0
; COMPUTE_PGM_RSRC3_GFX90A:ACCUM_OFFSET: 0
; COMPUTE_PGM_RSRC3_GFX90A:TG_SPLIT: 0
	.section	.text._ZN7rocprim17ROCPRIM_400000_NS6detail31init_lookback_scan_state_kernelINS1_19lookback_scan_stateIjLb1ELb1EEENS1_16block_id_wrapperIjLb0EEEEEvT_jT0_jPNS7_10value_typeE,"axG",@progbits,_ZN7rocprim17ROCPRIM_400000_NS6detail31init_lookback_scan_state_kernelINS1_19lookback_scan_stateIjLb1ELb1EEENS1_16block_id_wrapperIjLb0EEEEEvT_jT0_jPNS7_10value_typeE,comdat
	.protected	_ZN7rocprim17ROCPRIM_400000_NS6detail31init_lookback_scan_state_kernelINS1_19lookback_scan_stateIjLb1ELb1EEENS1_16block_id_wrapperIjLb0EEEEEvT_jT0_jPNS7_10value_typeE ; -- Begin function _ZN7rocprim17ROCPRIM_400000_NS6detail31init_lookback_scan_state_kernelINS1_19lookback_scan_stateIjLb1ELb1EEENS1_16block_id_wrapperIjLb0EEEEEvT_jT0_jPNS7_10value_typeE
	.globl	_ZN7rocprim17ROCPRIM_400000_NS6detail31init_lookback_scan_state_kernelINS1_19lookback_scan_stateIjLb1ELb1EEENS1_16block_id_wrapperIjLb0EEEEEvT_jT0_jPNS7_10value_typeE
	.p2align	8
	.type	_ZN7rocprim17ROCPRIM_400000_NS6detail31init_lookback_scan_state_kernelINS1_19lookback_scan_stateIjLb1ELb1EEENS1_16block_id_wrapperIjLb0EEEEEvT_jT0_jPNS7_10value_typeE,@function
_ZN7rocprim17ROCPRIM_400000_NS6detail31init_lookback_scan_state_kernelINS1_19lookback_scan_stateIjLb1ELb1EEENS1_16block_id_wrapperIjLb0EEEEEvT_jT0_jPNS7_10value_typeE: ; @_ZN7rocprim17ROCPRIM_400000_NS6detail31init_lookback_scan_state_kernelINS1_19lookback_scan_stateIjLb1ELb1EEENS1_16block_id_wrapperIjLb0EEEEEvT_jT0_jPNS7_10value_typeE
; %bb.0:
	s_load_dword s7, s[4:5], 0x2c
	s_load_dwordx2 s[2:3], s[4:5], 0x18
	s_load_dwordx2 s[0:1], s[4:5], 0x0
	s_load_dword s8, s[4:5], 0x8
	s_waitcnt lgkmcnt(0)
	s_and_b32 s7, s7, 0xffff
	s_mul_i32 s6, s6, s7
	s_cmp_eq_u64 s[2:3], 0
	v_add_u32_e32 v0, s6, v0
	s_cbranch_scc1 .LBB186_9
; %bb.1:
	s_load_dword s6, s[4:5], 0x10
	s_mov_b32 s7, 0
	s_waitcnt lgkmcnt(0)
	s_cmp_lt_u32 s6, s8
	s_cselect_b32 s4, s6, 0
	v_cmp_eq_u32_e32 vcc, s4, v0
	s_and_saveexec_b64 s[4:5], vcc
	s_cbranch_execz .LBB186_8
; %bb.2:
	s_add_i32 s6, s6, 64
	s_lshl_b64 s[6:7], s[6:7], 3
	s_add_u32 s6, s0, s6
	s_addc_u32 s7, s1, s7
	v_mov_b32_e32 v2, 0
	global_load_dwordx2 v[4:5], v2, s[6:7] glc
	s_waitcnt vmcnt(0)
	v_and_b32_e32 v3, 0xff, v5
	v_cmp_ne_u64_e32 vcc, 0, v[2:3]
	s_cbranch_vccnz .LBB186_7
; %bb.3:
	s_mov_b32 s9, 1
.LBB186_4:                              ; =>This Loop Header: Depth=1
                                        ;     Child Loop BB186_5 Depth 2
	s_max_u32 s10, s9, 1
.LBB186_5:                              ;   Parent Loop BB186_4 Depth=1
                                        ; =>  This Inner Loop Header: Depth=2
	s_add_i32 s10, s10, -1
	s_cmp_eq_u32 s10, 0
	s_sleep 1
	s_cbranch_scc0 .LBB186_5
; %bb.6:                                ;   in Loop: Header=BB186_4 Depth=1
	global_load_dwordx2 v[4:5], v2, s[6:7] glc
	s_cmp_lt_u32 s9, 32
	s_cselect_b64 s[10:11], -1, 0
	s_cmp_lg_u64 s[10:11], 0
	s_addc_u32 s9, s9, 0
	s_waitcnt vmcnt(0)
	v_and_b32_e32 v3, 0xff, v5
	v_cmp_ne_u64_e32 vcc, 0, v[2:3]
	s_cbranch_vccz .LBB186_4
.LBB186_7:
	v_mov_b32_e32 v1, 0
	global_store_dword v1, v4, s[2:3]
.LBB186_8:
	s_or_b64 exec, exec, s[4:5]
.LBB186_9:
	v_cmp_gt_u32_e32 vcc, s8, v0
	s_and_saveexec_b64 s[2:3], vcc
	s_cbranch_execnz .LBB186_12
; %bb.10:
	s_or_b64 exec, exec, s[2:3]
	v_cmp_gt_u32_e32 vcc, 64, v0
	s_and_saveexec_b64 s[2:3], vcc
	s_cbranch_execnz .LBB186_13
.LBB186_11:
	s_endpgm
.LBB186_12:
	v_add_u32_e32 v2, 64, v0
	v_mov_b32_e32 v3, 0
	v_lshlrev_b64 v[4:5], 3, v[2:3]
	v_mov_b32_e32 v1, s1
	v_add_co_u32_e32 v4, vcc, s0, v4
	v_addc_co_u32_e32 v5, vcc, v1, v5, vcc
	v_mov_b32_e32 v2, v3
	global_store_dwordx2 v[4:5], v[2:3], off
	s_or_b64 exec, exec, s[2:3]
	v_cmp_gt_u32_e32 vcc, 64, v0
	s_and_saveexec_b64 s[2:3], vcc
	s_cbranch_execz .LBB186_11
.LBB186_13:
	v_mov_b32_e32 v1, 0
	v_lshlrev_b64 v[2:3], 3, v[0:1]
	v_mov_b32_e32 v0, s1
	v_add_co_u32_e32 v2, vcc, s0, v2
	v_addc_co_u32_e32 v3, vcc, v0, v3, vcc
	v_mov_b32_e32 v5, 0xff
	v_mov_b32_e32 v4, v1
	global_store_dwordx2 v[2:3], v[4:5], off
	s_endpgm
	.section	.rodata,"a",@progbits
	.p2align	6, 0x0
	.amdhsa_kernel _ZN7rocprim17ROCPRIM_400000_NS6detail31init_lookback_scan_state_kernelINS1_19lookback_scan_stateIjLb1ELb1EEENS1_16block_id_wrapperIjLb0EEEEEvT_jT0_jPNS7_10value_typeE
		.amdhsa_group_segment_fixed_size 0
		.amdhsa_private_segment_fixed_size 0
		.amdhsa_kernarg_size 288
		.amdhsa_user_sgpr_count 6
		.amdhsa_user_sgpr_private_segment_buffer 1
		.amdhsa_user_sgpr_dispatch_ptr 0
		.amdhsa_user_sgpr_queue_ptr 0
		.amdhsa_user_sgpr_kernarg_segment_ptr 1
		.amdhsa_user_sgpr_dispatch_id 0
		.amdhsa_user_sgpr_flat_scratch_init 0
		.amdhsa_user_sgpr_kernarg_preload_length 0
		.amdhsa_user_sgpr_kernarg_preload_offset 0
		.amdhsa_user_sgpr_private_segment_size 0
		.amdhsa_uses_dynamic_stack 0
		.amdhsa_system_sgpr_private_segment_wavefront_offset 0
		.amdhsa_system_sgpr_workgroup_id_x 1
		.amdhsa_system_sgpr_workgroup_id_y 0
		.amdhsa_system_sgpr_workgroup_id_z 0
		.amdhsa_system_sgpr_workgroup_info 0
		.amdhsa_system_vgpr_workitem_id 0
		.amdhsa_next_free_vgpr 6
		.amdhsa_next_free_sgpr 12
		.amdhsa_accum_offset 8
		.amdhsa_reserve_vcc 1
		.amdhsa_reserve_flat_scratch 0
		.amdhsa_float_round_mode_32 0
		.amdhsa_float_round_mode_16_64 0
		.amdhsa_float_denorm_mode_32 3
		.amdhsa_float_denorm_mode_16_64 3
		.amdhsa_dx10_clamp 1
		.amdhsa_ieee_mode 1
		.amdhsa_fp16_overflow 0
		.amdhsa_tg_split 0
		.amdhsa_exception_fp_ieee_invalid_op 0
		.amdhsa_exception_fp_denorm_src 0
		.amdhsa_exception_fp_ieee_div_zero 0
		.amdhsa_exception_fp_ieee_overflow 0
		.amdhsa_exception_fp_ieee_underflow 0
		.amdhsa_exception_fp_ieee_inexact 0
		.amdhsa_exception_int_div_zero 0
	.end_amdhsa_kernel
	.section	.text._ZN7rocprim17ROCPRIM_400000_NS6detail31init_lookback_scan_state_kernelINS1_19lookback_scan_stateIjLb1ELb1EEENS1_16block_id_wrapperIjLb0EEEEEvT_jT0_jPNS7_10value_typeE,"axG",@progbits,_ZN7rocprim17ROCPRIM_400000_NS6detail31init_lookback_scan_state_kernelINS1_19lookback_scan_stateIjLb1ELb1EEENS1_16block_id_wrapperIjLb0EEEEEvT_jT0_jPNS7_10value_typeE,comdat
.Lfunc_end186:
	.size	_ZN7rocprim17ROCPRIM_400000_NS6detail31init_lookback_scan_state_kernelINS1_19lookback_scan_stateIjLb1ELb1EEENS1_16block_id_wrapperIjLb0EEEEEvT_jT0_jPNS7_10value_typeE, .Lfunc_end186-_ZN7rocprim17ROCPRIM_400000_NS6detail31init_lookback_scan_state_kernelINS1_19lookback_scan_stateIjLb1ELb1EEENS1_16block_id_wrapperIjLb0EEEEEvT_jT0_jPNS7_10value_typeE
                                        ; -- End function
	.section	.AMDGPU.csdata,"",@progbits
; Kernel info:
; codeLenInByte = 364
; NumSgprs: 16
; NumVgprs: 6
; NumAgprs: 0
; TotalNumVgprs: 6
; ScratchSize: 0
; MemoryBound: 0
; FloatMode: 240
; IeeeMode: 1
; LDSByteSize: 0 bytes/workgroup (compile time only)
; SGPRBlocks: 1
; VGPRBlocks: 0
; NumSGPRsForWavesPerEU: 16
; NumVGPRsForWavesPerEU: 6
; AccumOffset: 8
; Occupancy: 8
; WaveLimiterHint : 0
; COMPUTE_PGM_RSRC2:SCRATCH_EN: 0
; COMPUTE_PGM_RSRC2:USER_SGPR: 6
; COMPUTE_PGM_RSRC2:TRAP_HANDLER: 0
; COMPUTE_PGM_RSRC2:TGID_X_EN: 1
; COMPUTE_PGM_RSRC2:TGID_Y_EN: 0
; COMPUTE_PGM_RSRC2:TGID_Z_EN: 0
; COMPUTE_PGM_RSRC2:TIDIG_COMP_CNT: 0
; COMPUTE_PGM_RSRC3_GFX90A:ACCUM_OFFSET: 1
; COMPUTE_PGM_RSRC3_GFX90A:TG_SPLIT: 0
	.section	.text._ZN7rocprim17ROCPRIM_400000_NS6detail17trampoline_kernelINS0_14default_configENS1_25partition_config_selectorILNS1_17partition_subalgoE8ElNS0_10empty_typeEbEEZZNS1_14partition_implILS5_8ELb0ES3_jPlPS6_PKS6_NS0_5tupleIJS9_S6_EEENSD_IJSA_SA_EEENS0_18inequality_wrapperIZN2at6native12_GLOBAL__N_124unique_dim_cuda_templateIhEESt5tupleIJNSH_6TensorESM_SM_EERKSM_lbbbEUlllE0_EEPmJS6_EEE10hipError_tPvRmT3_T4_T5_T6_T7_T9_mT8_P12ihipStream_tbDpT10_ENKUlT_T0_E_clISt17integral_constantIbLb1EES1B_IbLb0EEEEDaS17_S18_EUlS17_E_NS1_11comp_targetILNS1_3genE0ELNS1_11target_archE4294967295ELNS1_3gpuE0ELNS1_3repE0EEENS1_30default_config_static_selectorELNS0_4arch9wavefront6targetE1EEEvT1_,"axG",@progbits,_ZN7rocprim17ROCPRIM_400000_NS6detail17trampoline_kernelINS0_14default_configENS1_25partition_config_selectorILNS1_17partition_subalgoE8ElNS0_10empty_typeEbEEZZNS1_14partition_implILS5_8ELb0ES3_jPlPS6_PKS6_NS0_5tupleIJS9_S6_EEENSD_IJSA_SA_EEENS0_18inequality_wrapperIZN2at6native12_GLOBAL__N_124unique_dim_cuda_templateIhEESt5tupleIJNSH_6TensorESM_SM_EERKSM_lbbbEUlllE0_EEPmJS6_EEE10hipError_tPvRmT3_T4_T5_T6_T7_T9_mT8_P12ihipStream_tbDpT10_ENKUlT_T0_E_clISt17integral_constantIbLb1EES1B_IbLb0EEEEDaS17_S18_EUlS17_E_NS1_11comp_targetILNS1_3genE0ELNS1_11target_archE4294967295ELNS1_3gpuE0ELNS1_3repE0EEENS1_30default_config_static_selectorELNS0_4arch9wavefront6targetE1EEEvT1_,comdat
	.globl	_ZN7rocprim17ROCPRIM_400000_NS6detail17trampoline_kernelINS0_14default_configENS1_25partition_config_selectorILNS1_17partition_subalgoE8ElNS0_10empty_typeEbEEZZNS1_14partition_implILS5_8ELb0ES3_jPlPS6_PKS6_NS0_5tupleIJS9_S6_EEENSD_IJSA_SA_EEENS0_18inequality_wrapperIZN2at6native12_GLOBAL__N_124unique_dim_cuda_templateIhEESt5tupleIJNSH_6TensorESM_SM_EERKSM_lbbbEUlllE0_EEPmJS6_EEE10hipError_tPvRmT3_T4_T5_T6_T7_T9_mT8_P12ihipStream_tbDpT10_ENKUlT_T0_E_clISt17integral_constantIbLb1EES1B_IbLb0EEEEDaS17_S18_EUlS17_E_NS1_11comp_targetILNS1_3genE0ELNS1_11target_archE4294967295ELNS1_3gpuE0ELNS1_3repE0EEENS1_30default_config_static_selectorELNS0_4arch9wavefront6targetE1EEEvT1_ ; -- Begin function _ZN7rocprim17ROCPRIM_400000_NS6detail17trampoline_kernelINS0_14default_configENS1_25partition_config_selectorILNS1_17partition_subalgoE8ElNS0_10empty_typeEbEEZZNS1_14partition_implILS5_8ELb0ES3_jPlPS6_PKS6_NS0_5tupleIJS9_S6_EEENSD_IJSA_SA_EEENS0_18inequality_wrapperIZN2at6native12_GLOBAL__N_124unique_dim_cuda_templateIhEESt5tupleIJNSH_6TensorESM_SM_EERKSM_lbbbEUlllE0_EEPmJS6_EEE10hipError_tPvRmT3_T4_T5_T6_T7_T9_mT8_P12ihipStream_tbDpT10_ENKUlT_T0_E_clISt17integral_constantIbLb1EES1B_IbLb0EEEEDaS17_S18_EUlS17_E_NS1_11comp_targetILNS1_3genE0ELNS1_11target_archE4294967295ELNS1_3gpuE0ELNS1_3repE0EEENS1_30default_config_static_selectorELNS0_4arch9wavefront6targetE1EEEvT1_
	.p2align	8
	.type	_ZN7rocprim17ROCPRIM_400000_NS6detail17trampoline_kernelINS0_14default_configENS1_25partition_config_selectorILNS1_17partition_subalgoE8ElNS0_10empty_typeEbEEZZNS1_14partition_implILS5_8ELb0ES3_jPlPS6_PKS6_NS0_5tupleIJS9_S6_EEENSD_IJSA_SA_EEENS0_18inequality_wrapperIZN2at6native12_GLOBAL__N_124unique_dim_cuda_templateIhEESt5tupleIJNSH_6TensorESM_SM_EERKSM_lbbbEUlllE0_EEPmJS6_EEE10hipError_tPvRmT3_T4_T5_T6_T7_T9_mT8_P12ihipStream_tbDpT10_ENKUlT_T0_E_clISt17integral_constantIbLb1EES1B_IbLb0EEEEDaS17_S18_EUlS17_E_NS1_11comp_targetILNS1_3genE0ELNS1_11target_archE4294967295ELNS1_3gpuE0ELNS1_3repE0EEENS1_30default_config_static_selectorELNS0_4arch9wavefront6targetE1EEEvT1_,@function
_ZN7rocprim17ROCPRIM_400000_NS6detail17trampoline_kernelINS0_14default_configENS1_25partition_config_selectorILNS1_17partition_subalgoE8ElNS0_10empty_typeEbEEZZNS1_14partition_implILS5_8ELb0ES3_jPlPS6_PKS6_NS0_5tupleIJS9_S6_EEENSD_IJSA_SA_EEENS0_18inequality_wrapperIZN2at6native12_GLOBAL__N_124unique_dim_cuda_templateIhEESt5tupleIJNSH_6TensorESM_SM_EERKSM_lbbbEUlllE0_EEPmJS6_EEE10hipError_tPvRmT3_T4_T5_T6_T7_T9_mT8_P12ihipStream_tbDpT10_ENKUlT_T0_E_clISt17integral_constantIbLb1EES1B_IbLb0EEEEDaS17_S18_EUlS17_E_NS1_11comp_targetILNS1_3genE0ELNS1_11target_archE4294967295ELNS1_3gpuE0ELNS1_3repE0EEENS1_30default_config_static_selectorELNS0_4arch9wavefront6targetE1EEEvT1_: ; @_ZN7rocprim17ROCPRIM_400000_NS6detail17trampoline_kernelINS0_14default_configENS1_25partition_config_selectorILNS1_17partition_subalgoE8ElNS0_10empty_typeEbEEZZNS1_14partition_implILS5_8ELb0ES3_jPlPS6_PKS6_NS0_5tupleIJS9_S6_EEENSD_IJSA_SA_EEENS0_18inequality_wrapperIZN2at6native12_GLOBAL__N_124unique_dim_cuda_templateIhEESt5tupleIJNSH_6TensorESM_SM_EERKSM_lbbbEUlllE0_EEPmJS6_EEE10hipError_tPvRmT3_T4_T5_T6_T7_T9_mT8_P12ihipStream_tbDpT10_ENKUlT_T0_E_clISt17integral_constantIbLb1EES1B_IbLb0EEEEDaS17_S18_EUlS17_E_NS1_11comp_targetILNS1_3genE0ELNS1_11target_archE4294967295ELNS1_3gpuE0ELNS1_3repE0EEENS1_30default_config_static_selectorELNS0_4arch9wavefront6targetE1EEEvT1_
; %bb.0:
	.section	.rodata,"a",@progbits
	.p2align	6, 0x0
	.amdhsa_kernel _ZN7rocprim17ROCPRIM_400000_NS6detail17trampoline_kernelINS0_14default_configENS1_25partition_config_selectorILNS1_17partition_subalgoE8ElNS0_10empty_typeEbEEZZNS1_14partition_implILS5_8ELb0ES3_jPlPS6_PKS6_NS0_5tupleIJS9_S6_EEENSD_IJSA_SA_EEENS0_18inequality_wrapperIZN2at6native12_GLOBAL__N_124unique_dim_cuda_templateIhEESt5tupleIJNSH_6TensorESM_SM_EERKSM_lbbbEUlllE0_EEPmJS6_EEE10hipError_tPvRmT3_T4_T5_T6_T7_T9_mT8_P12ihipStream_tbDpT10_ENKUlT_T0_E_clISt17integral_constantIbLb1EES1B_IbLb0EEEEDaS17_S18_EUlS17_E_NS1_11comp_targetILNS1_3genE0ELNS1_11target_archE4294967295ELNS1_3gpuE0ELNS1_3repE0EEENS1_30default_config_static_selectorELNS0_4arch9wavefront6targetE1EEEvT1_
		.amdhsa_group_segment_fixed_size 0
		.amdhsa_private_segment_fixed_size 0
		.amdhsa_kernarg_size 120
		.amdhsa_user_sgpr_count 6
		.amdhsa_user_sgpr_private_segment_buffer 1
		.amdhsa_user_sgpr_dispatch_ptr 0
		.amdhsa_user_sgpr_queue_ptr 0
		.amdhsa_user_sgpr_kernarg_segment_ptr 1
		.amdhsa_user_sgpr_dispatch_id 0
		.amdhsa_user_sgpr_flat_scratch_init 0
		.amdhsa_user_sgpr_kernarg_preload_length 0
		.amdhsa_user_sgpr_kernarg_preload_offset 0
		.amdhsa_user_sgpr_private_segment_size 0
		.amdhsa_uses_dynamic_stack 0
		.amdhsa_system_sgpr_private_segment_wavefront_offset 0
		.amdhsa_system_sgpr_workgroup_id_x 1
		.amdhsa_system_sgpr_workgroup_id_y 0
		.amdhsa_system_sgpr_workgroup_id_z 0
		.amdhsa_system_sgpr_workgroup_info 0
		.amdhsa_system_vgpr_workitem_id 0
		.amdhsa_next_free_vgpr 1
		.amdhsa_next_free_sgpr 0
		.amdhsa_accum_offset 4
		.amdhsa_reserve_vcc 0
		.amdhsa_reserve_flat_scratch 0
		.amdhsa_float_round_mode_32 0
		.amdhsa_float_round_mode_16_64 0
		.amdhsa_float_denorm_mode_32 3
		.amdhsa_float_denorm_mode_16_64 3
		.amdhsa_dx10_clamp 1
		.amdhsa_ieee_mode 1
		.amdhsa_fp16_overflow 0
		.amdhsa_tg_split 0
		.amdhsa_exception_fp_ieee_invalid_op 0
		.amdhsa_exception_fp_denorm_src 0
		.amdhsa_exception_fp_ieee_div_zero 0
		.amdhsa_exception_fp_ieee_overflow 0
		.amdhsa_exception_fp_ieee_underflow 0
		.amdhsa_exception_fp_ieee_inexact 0
		.amdhsa_exception_int_div_zero 0
	.end_amdhsa_kernel
	.section	.text._ZN7rocprim17ROCPRIM_400000_NS6detail17trampoline_kernelINS0_14default_configENS1_25partition_config_selectorILNS1_17partition_subalgoE8ElNS0_10empty_typeEbEEZZNS1_14partition_implILS5_8ELb0ES3_jPlPS6_PKS6_NS0_5tupleIJS9_S6_EEENSD_IJSA_SA_EEENS0_18inequality_wrapperIZN2at6native12_GLOBAL__N_124unique_dim_cuda_templateIhEESt5tupleIJNSH_6TensorESM_SM_EERKSM_lbbbEUlllE0_EEPmJS6_EEE10hipError_tPvRmT3_T4_T5_T6_T7_T9_mT8_P12ihipStream_tbDpT10_ENKUlT_T0_E_clISt17integral_constantIbLb1EES1B_IbLb0EEEEDaS17_S18_EUlS17_E_NS1_11comp_targetILNS1_3genE0ELNS1_11target_archE4294967295ELNS1_3gpuE0ELNS1_3repE0EEENS1_30default_config_static_selectorELNS0_4arch9wavefront6targetE1EEEvT1_,"axG",@progbits,_ZN7rocprim17ROCPRIM_400000_NS6detail17trampoline_kernelINS0_14default_configENS1_25partition_config_selectorILNS1_17partition_subalgoE8ElNS0_10empty_typeEbEEZZNS1_14partition_implILS5_8ELb0ES3_jPlPS6_PKS6_NS0_5tupleIJS9_S6_EEENSD_IJSA_SA_EEENS0_18inequality_wrapperIZN2at6native12_GLOBAL__N_124unique_dim_cuda_templateIhEESt5tupleIJNSH_6TensorESM_SM_EERKSM_lbbbEUlllE0_EEPmJS6_EEE10hipError_tPvRmT3_T4_T5_T6_T7_T9_mT8_P12ihipStream_tbDpT10_ENKUlT_T0_E_clISt17integral_constantIbLb1EES1B_IbLb0EEEEDaS17_S18_EUlS17_E_NS1_11comp_targetILNS1_3genE0ELNS1_11target_archE4294967295ELNS1_3gpuE0ELNS1_3repE0EEENS1_30default_config_static_selectorELNS0_4arch9wavefront6targetE1EEEvT1_,comdat
.Lfunc_end187:
	.size	_ZN7rocprim17ROCPRIM_400000_NS6detail17trampoline_kernelINS0_14default_configENS1_25partition_config_selectorILNS1_17partition_subalgoE8ElNS0_10empty_typeEbEEZZNS1_14partition_implILS5_8ELb0ES3_jPlPS6_PKS6_NS0_5tupleIJS9_S6_EEENSD_IJSA_SA_EEENS0_18inequality_wrapperIZN2at6native12_GLOBAL__N_124unique_dim_cuda_templateIhEESt5tupleIJNSH_6TensorESM_SM_EERKSM_lbbbEUlllE0_EEPmJS6_EEE10hipError_tPvRmT3_T4_T5_T6_T7_T9_mT8_P12ihipStream_tbDpT10_ENKUlT_T0_E_clISt17integral_constantIbLb1EES1B_IbLb0EEEEDaS17_S18_EUlS17_E_NS1_11comp_targetILNS1_3genE0ELNS1_11target_archE4294967295ELNS1_3gpuE0ELNS1_3repE0EEENS1_30default_config_static_selectorELNS0_4arch9wavefront6targetE1EEEvT1_, .Lfunc_end187-_ZN7rocprim17ROCPRIM_400000_NS6detail17trampoline_kernelINS0_14default_configENS1_25partition_config_selectorILNS1_17partition_subalgoE8ElNS0_10empty_typeEbEEZZNS1_14partition_implILS5_8ELb0ES3_jPlPS6_PKS6_NS0_5tupleIJS9_S6_EEENSD_IJSA_SA_EEENS0_18inequality_wrapperIZN2at6native12_GLOBAL__N_124unique_dim_cuda_templateIhEESt5tupleIJNSH_6TensorESM_SM_EERKSM_lbbbEUlllE0_EEPmJS6_EEE10hipError_tPvRmT3_T4_T5_T6_T7_T9_mT8_P12ihipStream_tbDpT10_ENKUlT_T0_E_clISt17integral_constantIbLb1EES1B_IbLb0EEEEDaS17_S18_EUlS17_E_NS1_11comp_targetILNS1_3genE0ELNS1_11target_archE4294967295ELNS1_3gpuE0ELNS1_3repE0EEENS1_30default_config_static_selectorELNS0_4arch9wavefront6targetE1EEEvT1_
                                        ; -- End function
	.section	.AMDGPU.csdata,"",@progbits
; Kernel info:
; codeLenInByte = 0
; NumSgprs: 4
; NumVgprs: 0
; NumAgprs: 0
; TotalNumVgprs: 0
; ScratchSize: 0
; MemoryBound: 0
; FloatMode: 240
; IeeeMode: 1
; LDSByteSize: 0 bytes/workgroup (compile time only)
; SGPRBlocks: 0
; VGPRBlocks: 0
; NumSGPRsForWavesPerEU: 4
; NumVGPRsForWavesPerEU: 1
; AccumOffset: 4
; Occupancy: 8
; WaveLimiterHint : 0
; COMPUTE_PGM_RSRC2:SCRATCH_EN: 0
; COMPUTE_PGM_RSRC2:USER_SGPR: 6
; COMPUTE_PGM_RSRC2:TRAP_HANDLER: 0
; COMPUTE_PGM_RSRC2:TGID_X_EN: 1
; COMPUTE_PGM_RSRC2:TGID_Y_EN: 0
; COMPUTE_PGM_RSRC2:TGID_Z_EN: 0
; COMPUTE_PGM_RSRC2:TIDIG_COMP_CNT: 0
; COMPUTE_PGM_RSRC3_GFX90A:ACCUM_OFFSET: 0
; COMPUTE_PGM_RSRC3_GFX90A:TG_SPLIT: 0
	.section	.text._ZN7rocprim17ROCPRIM_400000_NS6detail17trampoline_kernelINS0_14default_configENS1_25partition_config_selectorILNS1_17partition_subalgoE8ElNS0_10empty_typeEbEEZZNS1_14partition_implILS5_8ELb0ES3_jPlPS6_PKS6_NS0_5tupleIJS9_S6_EEENSD_IJSA_SA_EEENS0_18inequality_wrapperIZN2at6native12_GLOBAL__N_124unique_dim_cuda_templateIhEESt5tupleIJNSH_6TensorESM_SM_EERKSM_lbbbEUlllE0_EEPmJS6_EEE10hipError_tPvRmT3_T4_T5_T6_T7_T9_mT8_P12ihipStream_tbDpT10_ENKUlT_T0_E_clISt17integral_constantIbLb1EES1B_IbLb0EEEEDaS17_S18_EUlS17_E_NS1_11comp_targetILNS1_3genE5ELNS1_11target_archE942ELNS1_3gpuE9ELNS1_3repE0EEENS1_30default_config_static_selectorELNS0_4arch9wavefront6targetE1EEEvT1_,"axG",@progbits,_ZN7rocprim17ROCPRIM_400000_NS6detail17trampoline_kernelINS0_14default_configENS1_25partition_config_selectorILNS1_17partition_subalgoE8ElNS0_10empty_typeEbEEZZNS1_14partition_implILS5_8ELb0ES3_jPlPS6_PKS6_NS0_5tupleIJS9_S6_EEENSD_IJSA_SA_EEENS0_18inequality_wrapperIZN2at6native12_GLOBAL__N_124unique_dim_cuda_templateIhEESt5tupleIJNSH_6TensorESM_SM_EERKSM_lbbbEUlllE0_EEPmJS6_EEE10hipError_tPvRmT3_T4_T5_T6_T7_T9_mT8_P12ihipStream_tbDpT10_ENKUlT_T0_E_clISt17integral_constantIbLb1EES1B_IbLb0EEEEDaS17_S18_EUlS17_E_NS1_11comp_targetILNS1_3genE5ELNS1_11target_archE942ELNS1_3gpuE9ELNS1_3repE0EEENS1_30default_config_static_selectorELNS0_4arch9wavefront6targetE1EEEvT1_,comdat
	.globl	_ZN7rocprim17ROCPRIM_400000_NS6detail17trampoline_kernelINS0_14default_configENS1_25partition_config_selectorILNS1_17partition_subalgoE8ElNS0_10empty_typeEbEEZZNS1_14partition_implILS5_8ELb0ES3_jPlPS6_PKS6_NS0_5tupleIJS9_S6_EEENSD_IJSA_SA_EEENS0_18inequality_wrapperIZN2at6native12_GLOBAL__N_124unique_dim_cuda_templateIhEESt5tupleIJNSH_6TensorESM_SM_EERKSM_lbbbEUlllE0_EEPmJS6_EEE10hipError_tPvRmT3_T4_T5_T6_T7_T9_mT8_P12ihipStream_tbDpT10_ENKUlT_T0_E_clISt17integral_constantIbLb1EES1B_IbLb0EEEEDaS17_S18_EUlS17_E_NS1_11comp_targetILNS1_3genE5ELNS1_11target_archE942ELNS1_3gpuE9ELNS1_3repE0EEENS1_30default_config_static_selectorELNS0_4arch9wavefront6targetE1EEEvT1_ ; -- Begin function _ZN7rocprim17ROCPRIM_400000_NS6detail17trampoline_kernelINS0_14default_configENS1_25partition_config_selectorILNS1_17partition_subalgoE8ElNS0_10empty_typeEbEEZZNS1_14partition_implILS5_8ELb0ES3_jPlPS6_PKS6_NS0_5tupleIJS9_S6_EEENSD_IJSA_SA_EEENS0_18inequality_wrapperIZN2at6native12_GLOBAL__N_124unique_dim_cuda_templateIhEESt5tupleIJNSH_6TensorESM_SM_EERKSM_lbbbEUlllE0_EEPmJS6_EEE10hipError_tPvRmT3_T4_T5_T6_T7_T9_mT8_P12ihipStream_tbDpT10_ENKUlT_T0_E_clISt17integral_constantIbLb1EES1B_IbLb0EEEEDaS17_S18_EUlS17_E_NS1_11comp_targetILNS1_3genE5ELNS1_11target_archE942ELNS1_3gpuE9ELNS1_3repE0EEENS1_30default_config_static_selectorELNS0_4arch9wavefront6targetE1EEEvT1_
	.p2align	8
	.type	_ZN7rocprim17ROCPRIM_400000_NS6detail17trampoline_kernelINS0_14default_configENS1_25partition_config_selectorILNS1_17partition_subalgoE8ElNS0_10empty_typeEbEEZZNS1_14partition_implILS5_8ELb0ES3_jPlPS6_PKS6_NS0_5tupleIJS9_S6_EEENSD_IJSA_SA_EEENS0_18inequality_wrapperIZN2at6native12_GLOBAL__N_124unique_dim_cuda_templateIhEESt5tupleIJNSH_6TensorESM_SM_EERKSM_lbbbEUlllE0_EEPmJS6_EEE10hipError_tPvRmT3_T4_T5_T6_T7_T9_mT8_P12ihipStream_tbDpT10_ENKUlT_T0_E_clISt17integral_constantIbLb1EES1B_IbLb0EEEEDaS17_S18_EUlS17_E_NS1_11comp_targetILNS1_3genE5ELNS1_11target_archE942ELNS1_3gpuE9ELNS1_3repE0EEENS1_30default_config_static_selectorELNS0_4arch9wavefront6targetE1EEEvT1_,@function
_ZN7rocprim17ROCPRIM_400000_NS6detail17trampoline_kernelINS0_14default_configENS1_25partition_config_selectorILNS1_17partition_subalgoE8ElNS0_10empty_typeEbEEZZNS1_14partition_implILS5_8ELb0ES3_jPlPS6_PKS6_NS0_5tupleIJS9_S6_EEENSD_IJSA_SA_EEENS0_18inequality_wrapperIZN2at6native12_GLOBAL__N_124unique_dim_cuda_templateIhEESt5tupleIJNSH_6TensorESM_SM_EERKSM_lbbbEUlllE0_EEPmJS6_EEE10hipError_tPvRmT3_T4_T5_T6_T7_T9_mT8_P12ihipStream_tbDpT10_ENKUlT_T0_E_clISt17integral_constantIbLb1EES1B_IbLb0EEEEDaS17_S18_EUlS17_E_NS1_11comp_targetILNS1_3genE5ELNS1_11target_archE942ELNS1_3gpuE9ELNS1_3repE0EEENS1_30default_config_static_selectorELNS0_4arch9wavefront6targetE1EEEvT1_: ; @_ZN7rocprim17ROCPRIM_400000_NS6detail17trampoline_kernelINS0_14default_configENS1_25partition_config_selectorILNS1_17partition_subalgoE8ElNS0_10empty_typeEbEEZZNS1_14partition_implILS5_8ELb0ES3_jPlPS6_PKS6_NS0_5tupleIJS9_S6_EEENSD_IJSA_SA_EEENS0_18inequality_wrapperIZN2at6native12_GLOBAL__N_124unique_dim_cuda_templateIhEESt5tupleIJNSH_6TensorESM_SM_EERKSM_lbbbEUlllE0_EEPmJS6_EEE10hipError_tPvRmT3_T4_T5_T6_T7_T9_mT8_P12ihipStream_tbDpT10_ENKUlT_T0_E_clISt17integral_constantIbLb1EES1B_IbLb0EEEEDaS17_S18_EUlS17_E_NS1_11comp_targetILNS1_3genE5ELNS1_11target_archE942ELNS1_3gpuE9ELNS1_3repE0EEENS1_30default_config_static_selectorELNS0_4arch9wavefront6targetE1EEEvT1_
; %bb.0:
	.section	.rodata,"a",@progbits
	.p2align	6, 0x0
	.amdhsa_kernel _ZN7rocprim17ROCPRIM_400000_NS6detail17trampoline_kernelINS0_14default_configENS1_25partition_config_selectorILNS1_17partition_subalgoE8ElNS0_10empty_typeEbEEZZNS1_14partition_implILS5_8ELb0ES3_jPlPS6_PKS6_NS0_5tupleIJS9_S6_EEENSD_IJSA_SA_EEENS0_18inequality_wrapperIZN2at6native12_GLOBAL__N_124unique_dim_cuda_templateIhEESt5tupleIJNSH_6TensorESM_SM_EERKSM_lbbbEUlllE0_EEPmJS6_EEE10hipError_tPvRmT3_T4_T5_T6_T7_T9_mT8_P12ihipStream_tbDpT10_ENKUlT_T0_E_clISt17integral_constantIbLb1EES1B_IbLb0EEEEDaS17_S18_EUlS17_E_NS1_11comp_targetILNS1_3genE5ELNS1_11target_archE942ELNS1_3gpuE9ELNS1_3repE0EEENS1_30default_config_static_selectorELNS0_4arch9wavefront6targetE1EEEvT1_
		.amdhsa_group_segment_fixed_size 0
		.amdhsa_private_segment_fixed_size 0
		.amdhsa_kernarg_size 120
		.amdhsa_user_sgpr_count 6
		.amdhsa_user_sgpr_private_segment_buffer 1
		.amdhsa_user_sgpr_dispatch_ptr 0
		.amdhsa_user_sgpr_queue_ptr 0
		.amdhsa_user_sgpr_kernarg_segment_ptr 1
		.amdhsa_user_sgpr_dispatch_id 0
		.amdhsa_user_sgpr_flat_scratch_init 0
		.amdhsa_user_sgpr_kernarg_preload_length 0
		.amdhsa_user_sgpr_kernarg_preload_offset 0
		.amdhsa_user_sgpr_private_segment_size 0
		.amdhsa_uses_dynamic_stack 0
		.amdhsa_system_sgpr_private_segment_wavefront_offset 0
		.amdhsa_system_sgpr_workgroup_id_x 1
		.amdhsa_system_sgpr_workgroup_id_y 0
		.amdhsa_system_sgpr_workgroup_id_z 0
		.amdhsa_system_sgpr_workgroup_info 0
		.amdhsa_system_vgpr_workitem_id 0
		.amdhsa_next_free_vgpr 1
		.amdhsa_next_free_sgpr 0
		.amdhsa_accum_offset 4
		.amdhsa_reserve_vcc 0
		.amdhsa_reserve_flat_scratch 0
		.amdhsa_float_round_mode_32 0
		.amdhsa_float_round_mode_16_64 0
		.amdhsa_float_denorm_mode_32 3
		.amdhsa_float_denorm_mode_16_64 3
		.amdhsa_dx10_clamp 1
		.amdhsa_ieee_mode 1
		.amdhsa_fp16_overflow 0
		.amdhsa_tg_split 0
		.amdhsa_exception_fp_ieee_invalid_op 0
		.amdhsa_exception_fp_denorm_src 0
		.amdhsa_exception_fp_ieee_div_zero 0
		.amdhsa_exception_fp_ieee_overflow 0
		.amdhsa_exception_fp_ieee_underflow 0
		.amdhsa_exception_fp_ieee_inexact 0
		.amdhsa_exception_int_div_zero 0
	.end_amdhsa_kernel
	.section	.text._ZN7rocprim17ROCPRIM_400000_NS6detail17trampoline_kernelINS0_14default_configENS1_25partition_config_selectorILNS1_17partition_subalgoE8ElNS0_10empty_typeEbEEZZNS1_14partition_implILS5_8ELb0ES3_jPlPS6_PKS6_NS0_5tupleIJS9_S6_EEENSD_IJSA_SA_EEENS0_18inequality_wrapperIZN2at6native12_GLOBAL__N_124unique_dim_cuda_templateIhEESt5tupleIJNSH_6TensorESM_SM_EERKSM_lbbbEUlllE0_EEPmJS6_EEE10hipError_tPvRmT3_T4_T5_T6_T7_T9_mT8_P12ihipStream_tbDpT10_ENKUlT_T0_E_clISt17integral_constantIbLb1EES1B_IbLb0EEEEDaS17_S18_EUlS17_E_NS1_11comp_targetILNS1_3genE5ELNS1_11target_archE942ELNS1_3gpuE9ELNS1_3repE0EEENS1_30default_config_static_selectorELNS0_4arch9wavefront6targetE1EEEvT1_,"axG",@progbits,_ZN7rocprim17ROCPRIM_400000_NS6detail17trampoline_kernelINS0_14default_configENS1_25partition_config_selectorILNS1_17partition_subalgoE8ElNS0_10empty_typeEbEEZZNS1_14partition_implILS5_8ELb0ES3_jPlPS6_PKS6_NS0_5tupleIJS9_S6_EEENSD_IJSA_SA_EEENS0_18inequality_wrapperIZN2at6native12_GLOBAL__N_124unique_dim_cuda_templateIhEESt5tupleIJNSH_6TensorESM_SM_EERKSM_lbbbEUlllE0_EEPmJS6_EEE10hipError_tPvRmT3_T4_T5_T6_T7_T9_mT8_P12ihipStream_tbDpT10_ENKUlT_T0_E_clISt17integral_constantIbLb1EES1B_IbLb0EEEEDaS17_S18_EUlS17_E_NS1_11comp_targetILNS1_3genE5ELNS1_11target_archE942ELNS1_3gpuE9ELNS1_3repE0EEENS1_30default_config_static_selectorELNS0_4arch9wavefront6targetE1EEEvT1_,comdat
.Lfunc_end188:
	.size	_ZN7rocprim17ROCPRIM_400000_NS6detail17trampoline_kernelINS0_14default_configENS1_25partition_config_selectorILNS1_17partition_subalgoE8ElNS0_10empty_typeEbEEZZNS1_14partition_implILS5_8ELb0ES3_jPlPS6_PKS6_NS0_5tupleIJS9_S6_EEENSD_IJSA_SA_EEENS0_18inequality_wrapperIZN2at6native12_GLOBAL__N_124unique_dim_cuda_templateIhEESt5tupleIJNSH_6TensorESM_SM_EERKSM_lbbbEUlllE0_EEPmJS6_EEE10hipError_tPvRmT3_T4_T5_T6_T7_T9_mT8_P12ihipStream_tbDpT10_ENKUlT_T0_E_clISt17integral_constantIbLb1EES1B_IbLb0EEEEDaS17_S18_EUlS17_E_NS1_11comp_targetILNS1_3genE5ELNS1_11target_archE942ELNS1_3gpuE9ELNS1_3repE0EEENS1_30default_config_static_selectorELNS0_4arch9wavefront6targetE1EEEvT1_, .Lfunc_end188-_ZN7rocprim17ROCPRIM_400000_NS6detail17trampoline_kernelINS0_14default_configENS1_25partition_config_selectorILNS1_17partition_subalgoE8ElNS0_10empty_typeEbEEZZNS1_14partition_implILS5_8ELb0ES3_jPlPS6_PKS6_NS0_5tupleIJS9_S6_EEENSD_IJSA_SA_EEENS0_18inequality_wrapperIZN2at6native12_GLOBAL__N_124unique_dim_cuda_templateIhEESt5tupleIJNSH_6TensorESM_SM_EERKSM_lbbbEUlllE0_EEPmJS6_EEE10hipError_tPvRmT3_T4_T5_T6_T7_T9_mT8_P12ihipStream_tbDpT10_ENKUlT_T0_E_clISt17integral_constantIbLb1EES1B_IbLb0EEEEDaS17_S18_EUlS17_E_NS1_11comp_targetILNS1_3genE5ELNS1_11target_archE942ELNS1_3gpuE9ELNS1_3repE0EEENS1_30default_config_static_selectorELNS0_4arch9wavefront6targetE1EEEvT1_
                                        ; -- End function
	.section	.AMDGPU.csdata,"",@progbits
; Kernel info:
; codeLenInByte = 0
; NumSgprs: 4
; NumVgprs: 0
; NumAgprs: 0
; TotalNumVgprs: 0
; ScratchSize: 0
; MemoryBound: 0
; FloatMode: 240
; IeeeMode: 1
; LDSByteSize: 0 bytes/workgroup (compile time only)
; SGPRBlocks: 0
; VGPRBlocks: 0
; NumSGPRsForWavesPerEU: 4
; NumVGPRsForWavesPerEU: 1
; AccumOffset: 4
; Occupancy: 8
; WaveLimiterHint : 0
; COMPUTE_PGM_RSRC2:SCRATCH_EN: 0
; COMPUTE_PGM_RSRC2:USER_SGPR: 6
; COMPUTE_PGM_RSRC2:TRAP_HANDLER: 0
; COMPUTE_PGM_RSRC2:TGID_X_EN: 1
; COMPUTE_PGM_RSRC2:TGID_Y_EN: 0
; COMPUTE_PGM_RSRC2:TGID_Z_EN: 0
; COMPUTE_PGM_RSRC2:TIDIG_COMP_CNT: 0
; COMPUTE_PGM_RSRC3_GFX90A:ACCUM_OFFSET: 0
; COMPUTE_PGM_RSRC3_GFX90A:TG_SPLIT: 0
	.section	.text._ZN7rocprim17ROCPRIM_400000_NS6detail17trampoline_kernelINS0_14default_configENS1_25partition_config_selectorILNS1_17partition_subalgoE8ElNS0_10empty_typeEbEEZZNS1_14partition_implILS5_8ELb0ES3_jPlPS6_PKS6_NS0_5tupleIJS9_S6_EEENSD_IJSA_SA_EEENS0_18inequality_wrapperIZN2at6native12_GLOBAL__N_124unique_dim_cuda_templateIhEESt5tupleIJNSH_6TensorESM_SM_EERKSM_lbbbEUlllE0_EEPmJS6_EEE10hipError_tPvRmT3_T4_T5_T6_T7_T9_mT8_P12ihipStream_tbDpT10_ENKUlT_T0_E_clISt17integral_constantIbLb1EES1B_IbLb0EEEEDaS17_S18_EUlS17_E_NS1_11comp_targetILNS1_3genE4ELNS1_11target_archE910ELNS1_3gpuE8ELNS1_3repE0EEENS1_30default_config_static_selectorELNS0_4arch9wavefront6targetE1EEEvT1_,"axG",@progbits,_ZN7rocprim17ROCPRIM_400000_NS6detail17trampoline_kernelINS0_14default_configENS1_25partition_config_selectorILNS1_17partition_subalgoE8ElNS0_10empty_typeEbEEZZNS1_14partition_implILS5_8ELb0ES3_jPlPS6_PKS6_NS0_5tupleIJS9_S6_EEENSD_IJSA_SA_EEENS0_18inequality_wrapperIZN2at6native12_GLOBAL__N_124unique_dim_cuda_templateIhEESt5tupleIJNSH_6TensorESM_SM_EERKSM_lbbbEUlllE0_EEPmJS6_EEE10hipError_tPvRmT3_T4_T5_T6_T7_T9_mT8_P12ihipStream_tbDpT10_ENKUlT_T0_E_clISt17integral_constantIbLb1EES1B_IbLb0EEEEDaS17_S18_EUlS17_E_NS1_11comp_targetILNS1_3genE4ELNS1_11target_archE910ELNS1_3gpuE8ELNS1_3repE0EEENS1_30default_config_static_selectorELNS0_4arch9wavefront6targetE1EEEvT1_,comdat
	.globl	_ZN7rocprim17ROCPRIM_400000_NS6detail17trampoline_kernelINS0_14default_configENS1_25partition_config_selectorILNS1_17partition_subalgoE8ElNS0_10empty_typeEbEEZZNS1_14partition_implILS5_8ELb0ES3_jPlPS6_PKS6_NS0_5tupleIJS9_S6_EEENSD_IJSA_SA_EEENS0_18inequality_wrapperIZN2at6native12_GLOBAL__N_124unique_dim_cuda_templateIhEESt5tupleIJNSH_6TensorESM_SM_EERKSM_lbbbEUlllE0_EEPmJS6_EEE10hipError_tPvRmT3_T4_T5_T6_T7_T9_mT8_P12ihipStream_tbDpT10_ENKUlT_T0_E_clISt17integral_constantIbLb1EES1B_IbLb0EEEEDaS17_S18_EUlS17_E_NS1_11comp_targetILNS1_3genE4ELNS1_11target_archE910ELNS1_3gpuE8ELNS1_3repE0EEENS1_30default_config_static_selectorELNS0_4arch9wavefront6targetE1EEEvT1_ ; -- Begin function _ZN7rocprim17ROCPRIM_400000_NS6detail17trampoline_kernelINS0_14default_configENS1_25partition_config_selectorILNS1_17partition_subalgoE8ElNS0_10empty_typeEbEEZZNS1_14partition_implILS5_8ELb0ES3_jPlPS6_PKS6_NS0_5tupleIJS9_S6_EEENSD_IJSA_SA_EEENS0_18inequality_wrapperIZN2at6native12_GLOBAL__N_124unique_dim_cuda_templateIhEESt5tupleIJNSH_6TensorESM_SM_EERKSM_lbbbEUlllE0_EEPmJS6_EEE10hipError_tPvRmT3_T4_T5_T6_T7_T9_mT8_P12ihipStream_tbDpT10_ENKUlT_T0_E_clISt17integral_constantIbLb1EES1B_IbLb0EEEEDaS17_S18_EUlS17_E_NS1_11comp_targetILNS1_3genE4ELNS1_11target_archE910ELNS1_3gpuE8ELNS1_3repE0EEENS1_30default_config_static_selectorELNS0_4arch9wavefront6targetE1EEEvT1_
	.p2align	8
	.type	_ZN7rocprim17ROCPRIM_400000_NS6detail17trampoline_kernelINS0_14default_configENS1_25partition_config_selectorILNS1_17partition_subalgoE8ElNS0_10empty_typeEbEEZZNS1_14partition_implILS5_8ELb0ES3_jPlPS6_PKS6_NS0_5tupleIJS9_S6_EEENSD_IJSA_SA_EEENS0_18inequality_wrapperIZN2at6native12_GLOBAL__N_124unique_dim_cuda_templateIhEESt5tupleIJNSH_6TensorESM_SM_EERKSM_lbbbEUlllE0_EEPmJS6_EEE10hipError_tPvRmT3_T4_T5_T6_T7_T9_mT8_P12ihipStream_tbDpT10_ENKUlT_T0_E_clISt17integral_constantIbLb1EES1B_IbLb0EEEEDaS17_S18_EUlS17_E_NS1_11comp_targetILNS1_3genE4ELNS1_11target_archE910ELNS1_3gpuE8ELNS1_3repE0EEENS1_30default_config_static_selectorELNS0_4arch9wavefront6targetE1EEEvT1_,@function
_ZN7rocprim17ROCPRIM_400000_NS6detail17trampoline_kernelINS0_14default_configENS1_25partition_config_selectorILNS1_17partition_subalgoE8ElNS0_10empty_typeEbEEZZNS1_14partition_implILS5_8ELb0ES3_jPlPS6_PKS6_NS0_5tupleIJS9_S6_EEENSD_IJSA_SA_EEENS0_18inequality_wrapperIZN2at6native12_GLOBAL__N_124unique_dim_cuda_templateIhEESt5tupleIJNSH_6TensorESM_SM_EERKSM_lbbbEUlllE0_EEPmJS6_EEE10hipError_tPvRmT3_T4_T5_T6_T7_T9_mT8_P12ihipStream_tbDpT10_ENKUlT_T0_E_clISt17integral_constantIbLb1EES1B_IbLb0EEEEDaS17_S18_EUlS17_E_NS1_11comp_targetILNS1_3genE4ELNS1_11target_archE910ELNS1_3gpuE8ELNS1_3repE0EEENS1_30default_config_static_selectorELNS0_4arch9wavefront6targetE1EEEvT1_: ; @_ZN7rocprim17ROCPRIM_400000_NS6detail17trampoline_kernelINS0_14default_configENS1_25partition_config_selectorILNS1_17partition_subalgoE8ElNS0_10empty_typeEbEEZZNS1_14partition_implILS5_8ELb0ES3_jPlPS6_PKS6_NS0_5tupleIJS9_S6_EEENSD_IJSA_SA_EEENS0_18inequality_wrapperIZN2at6native12_GLOBAL__N_124unique_dim_cuda_templateIhEESt5tupleIJNSH_6TensorESM_SM_EERKSM_lbbbEUlllE0_EEPmJS6_EEE10hipError_tPvRmT3_T4_T5_T6_T7_T9_mT8_P12ihipStream_tbDpT10_ENKUlT_T0_E_clISt17integral_constantIbLb1EES1B_IbLb0EEEEDaS17_S18_EUlS17_E_NS1_11comp_targetILNS1_3genE4ELNS1_11target_archE910ELNS1_3gpuE8ELNS1_3repE0EEENS1_30default_config_static_selectorELNS0_4arch9wavefront6targetE1EEEvT1_
; %bb.0:
	s_load_dwordx8 s[20:27], s[4:5], 0x40
	s_load_dwordx4 s[0:3], s[4:5], 0x8
	s_load_dwordx4 s[28:31], s[4:5], 0x60
	s_load_dword s7, s[4:5], 0x70
	s_waitcnt lgkmcnt(0)
	v_mov_b32_e32 v2, s24
	s_lshl_b64 s[8:9], s[2:3], 3
	s_add_u32 s12, s0, s8
	s_mul_i32 s8, s7, 0x500
	s_addc_u32 s13, s1, s9
	s_add_i32 s1, s8, s2
	s_add_i32 s10, s7, -1
	s_sub_i32 s7, s24, s1
	s_add_u32 s8, s2, s8
	s_addc_u32 s9, s3, 0
	v_mov_b32_e32 v3, s25
	s_cmp_eq_u32 s6, s10
	s_load_dwordx2 s[22:23], s[22:23], 0x0
	v_cmp_ge_u64_e32 vcc, s[8:9], v[2:3]
	s_cselect_b64 s[24:25], -1, 0
	s_mul_i32 s0, s6, 0x500
	s_mov_b32 s1, 0
	s_and_b64 s[8:9], s[24:25], vcc
	s_xor_b64 s[34:35], s[8:9], -1
	s_lshl_b64 s[0:1], s[0:1], 3
	s_add_u32 s0, s12, s0
	s_mov_b64 s[10:11], -1
	s_addc_u32 s1, s13, s1
	s_and_b64 vcc, exec, s[34:35]
	s_cbranch_vccz .LBB189_2
; %bb.1:
	v_lshlrev_b32_e32 v1, 3, v0
	v_mov_b32_e32 v2, s1
	v_add_co_u32_e32 v12, vcc, s0, v1
	v_addc_co_u32_e32 v13, vcc, 0, v2, vcc
	v_add_co_u32_e32 v2, vcc, 0x1000, v12
	v_addc_co_u32_e32 v3, vcc, 0, v13, vcc
	global_load_dwordx2 v[4:5], v1, s[0:1]
	global_load_dwordx2 v[6:7], v1, s[0:1] offset:2048
	global_load_dwordx2 v[8:9], v[2:3], off
	global_load_dwordx2 v[10:11], v[2:3], off offset:2048
	v_add_co_u32_e32 v2, vcc, 0x2000, v12
	v_addc_co_u32_e32 v3, vcc, 0, v13, vcc
	global_load_dwordx2 v[2:3], v[2:3], off
	s_mov_b64 s[10:11], 0
	s_waitcnt vmcnt(3)
	ds_write2st64_b64 v1, v[4:5], v[6:7] offset1:4
	s_waitcnt vmcnt(1)
	ds_write2st64_b64 v1, v[8:9], v[10:11] offset0:8 offset1:12
	s_waitcnt vmcnt(0)
	ds_write_b64 v1, v[2:3] offset:8192
	s_waitcnt lgkmcnt(0)
	s_barrier
.LBB189_2:
	s_andn2_b64 vcc, exec, s[10:11]
	s_addk_i32 s7, 0x500
	s_cbranch_vccnz .LBB189_14
; %bb.3:
	v_cmp_gt_u32_e32 vcc, s7, v0
                                        ; implicit-def: $vgpr2_vgpr3_vgpr4_vgpr5_vgpr6_vgpr7_vgpr8_vgpr9_vgpr10_vgpr11_vgpr12_vgpr13_vgpr14_vgpr15_vgpr16_vgpr17
	s_and_saveexec_b64 s[10:11], vcc
	s_cbranch_execz .LBB189_5
; %bb.4:
	v_lshlrev_b32_e32 v1, 3, v0
	global_load_dwordx2 v[2:3], v1, s[0:1]
.LBB189_5:
	s_or_b64 exec, exec, s[10:11]
	v_or_b32_e32 v1, 0x100, v0
	v_cmp_gt_u32_e32 vcc, s7, v1
	s_and_saveexec_b64 s[10:11], vcc
	s_cbranch_execz .LBB189_7
; %bb.6:
	v_lshlrev_b32_e32 v1, 3, v0
	global_load_dwordx2 v[4:5], v1, s[0:1] offset:2048
.LBB189_7:
	s_or_b64 exec, exec, s[10:11]
	v_or_b32_e32 v1, 0x200, v0
	v_cmp_gt_u32_e32 vcc, s7, v1
	s_and_saveexec_b64 s[10:11], vcc
	s_cbranch_execz .LBB189_9
; %bb.8:
	v_lshlrev_b32_e32 v1, 3, v1
	global_load_dwordx2 v[6:7], v1, s[0:1]
.LBB189_9:
	s_or_b64 exec, exec, s[10:11]
	v_or_b32_e32 v1, 0x300, v0
	v_cmp_gt_u32_e32 vcc, s7, v1
	s_and_saveexec_b64 s[10:11], vcc
	s_cbranch_execz .LBB189_11
; %bb.10:
	v_lshlrev_b32_e32 v1, 3, v1
	global_load_dwordx2 v[8:9], v1, s[0:1]
.LBB189_11:
	;; [unrolled: 9-line block ×3, first 2 shown]
	s_or_b64 exec, exec, s[10:11]
	v_lshlrev_b32_e32 v1, 3, v0
	s_waitcnt vmcnt(0)
	ds_write2st64_b64 v1, v[2:3], v[4:5] offset1:4
	ds_write2st64_b64 v1, v[6:7], v[8:9] offset0:8 offset1:12
	ds_write_b64 v1, v[10:11] offset:8192
	s_waitcnt lgkmcnt(0)
	s_barrier
.LBB189_14:
	v_mul_u32_u24_e32 v1, 5, v0
	v_lshlrev_b32_e32 v24, 3, v1
	s_waitcnt lgkmcnt(0)
	ds_read2_b64 v[6:9], v24 offset1:1
	ds_read2_b64 v[2:5], v24 offset0:2 offset1:3
	ds_read_b64 v[10:11], v24 offset:32
	s_cmp_lg_u32 s6, 0
	s_cselect_b64 s[16:17], -1, 0
	s_cmp_lg_u64 s[2:3], 0
	s_cselect_b64 s[2:3], -1, 0
	s_or_b64 s[2:3], s[16:17], s[2:3]
	v_mad_u32_u24 v22, v0, 5, 1
	v_mad_u32_u24 v20, v0, 5, 2
	;; [unrolled: 1-line block ×4, first 2 shown]
	s_mov_b64 s[10:11], 0
	s_and_b64 vcc, exec, s[2:3]
	v_cmp_gt_i64_e64 s[12:13], s[26:27], 0
	s_waitcnt lgkmcnt(0)
	s_barrier
	s_cbranch_vccz .LBB189_23
; %bb.15:
	s_add_u32 s0, s0, -8
	s_addc_u32 s1, s1, -1
	s_load_dwordx2 s[2:3], s[0:1], 0x0
	v_cndmask_b32_e64 v12, 0, 1, s[12:13]
	v_lshlrev_b32_e32 v25, 3, v0
	s_and_b64 vcc, exec, s[34:35]
	v_cmp_ne_u32_e64 s[0:1], 1, v12
	ds_write_b64 v25, v[10:11]
	s_cbranch_vccz .LBB189_24
; %bb.16:
	v_mul_lo_u32 v14, v5, s26
	v_mul_lo_u32 v15, v4, s27
	v_mad_u64_u32 v[12:13], s[12:13], v4, s26, 0
	s_and_b64 vcc, exec, s[0:1]
	v_add3_u32 v13, v13, v15, v14
	s_cbranch_vccnz .LBB189_27
; %bb.17:
	v_mov_b32_e32 v15, s29
	v_add_co_u32_e32 v14, vcc, s28, v12
	v_pk_mov_b32 v[16:17], s[28:29], s[28:29] op_sel:[0,1]
	v_addc_co_u32_e32 v15, vcc, v15, v13, vcc
	v_mad_u64_u32 v[16:17], s[10:11], v10, s26, v[16:17]
	v_mul_lo_u32 v18, v10, s27
	v_mul_lo_u32 v19, v11, s26
	v_add3_u32 v17, v19, v17, v18
	global_load_ubyte v18, v[14:15], off
	global_load_ubyte v19, v[16:17], off
	s_mov_b64 s[10:11], -1
	s_waitcnt vmcnt(0)
	v_cmp_eq_u16_e32 vcc, v18, v19
	s_and_saveexec_b64 s[12:13], vcc
	s_cbranch_execz .LBB189_26
; %bb.18:
	s_mov_b64 s[18:19], 1
	s_mov_b64 s[10:11], 0
                                        ; implicit-def: $sgpr14_sgpr15
	s_branch .LBB189_21
.LBB189_19:                             ;   in Loop: Header=BB189_21 Depth=1
	v_mov_b32_e32 v27, s19
	v_add_co_u32_e32 v18, vcc, s18, v14
	v_addc_co_u32_e32 v19, vcc, v15, v27, vcc
	v_add_co_u32_e32 v26, vcc, s18, v16
	v_addc_co_u32_e32 v27, vcc, v17, v27, vcc
	global_load_ubyte v28, v[18:19], off
	global_load_ubyte v29, v[26:27], off
	s_add_u32 s36, s18, 1
	s_addc_u32 s37, s19, 0
	s_andn2_b64 s[14:15], s[14:15], exec
	s_waitcnt vmcnt(0)
	v_cmp_ne_u16_e32 vcc, v28, v29
	s_and_b64 s[38:39], vcc, exec
	s_or_b64 s[14:15], s[14:15], s[38:39]
.LBB189_20:                             ;   in Loop: Header=BB189_21 Depth=1
	s_and_b64 s[38:39], exec, s[14:15]
	s_or_b64 s[10:11], s[38:39], s[10:11]
	v_pk_mov_b32 v[18:19], s[18:19], s[18:19] op_sel:[0,1]
	s_mov_b64 s[18:19], s[36:37]
	s_andn2_b64 exec, exec, s[10:11]
	s_cbranch_execz .LBB189_25
.LBB189_21:                             ; =>This Inner Loop Header: Depth=1
	s_or_b64 s[14:15], s[14:15], exec
	s_cmp_eq_u64 s[26:27], s[18:19]
	s_cbranch_scc0 .LBB189_19
; %bb.22:                               ;   in Loop: Header=BB189_21 Depth=1
                                        ; implicit-def: $sgpr36_sgpr37
	s_mov_b64 s[18:19], s[26:27]
	s_branch .LBB189_20
.LBB189_23:
                                        ; implicit-def: $sgpr12_sgpr13
                                        ; implicit-def: $vgpr13
                                        ; implicit-def: $vgpr15
	s_branch .LBB189_125
.LBB189_24:
                                        ; implicit-def: $sgpr12_sgpr13
                                        ; implicit-def: $vgpr13
                                        ; implicit-def: $vgpr15
	s_cbranch_execnz .LBB189_66
	s_branch .LBB189_124
.LBB189_25:
	s_or_b64 exec, exec, s[10:11]
	v_cmp_gt_i64_e32 vcc, s[26:27], v[18:19]
	s_orn2_b64 s[10:11], vcc, exec
.LBB189_26:
	s_or_b64 exec, exec, s[12:13]
.LBB189_27:
	v_mul_lo_u32 v14, v3, s26
	v_mul_lo_u32 v15, v2, s27
	v_mad_u64_u32 v[16:17], s[12:13], v2, s26, 0
	v_add3_u32 v17, v17, v15, v14
	s_mov_b64 s[12:13], 0
	s_and_b64 vcc, exec, s[0:1]
	s_mov_b64 s[14:15], 0
	s_cbranch_vccnz .LBB189_36
; %bb.28:
	v_mov_b32_e32 v15, s29
	v_add_co_u32_e32 v14, vcc, s28, v16
	v_addc_co_u32_e32 v15, vcc, v15, v17, vcc
	v_mov_b32_e32 v18, s29
	v_add_co_u32_e32 v12, vcc, s28, v12
	v_addc_co_u32_e32 v13, vcc, v18, v13, vcc
	global_load_ubyte v18, v[14:15], off
	global_load_ubyte v19, v[12:13], off
	s_mov_b64 s[14:15], -1
	s_waitcnt vmcnt(0)
	v_cmp_eq_u16_e32 vcc, v18, v19
	s_and_saveexec_b64 s[18:19], vcc
	s_cbranch_execz .LBB189_35
; %bb.29:
	s_mov_b64 s[38:39], 1
	s_mov_b64 s[14:15], 0
                                        ; implicit-def: $sgpr36_sgpr37
	s_branch .LBB189_32
.LBB189_30:                             ;   in Loop: Header=BB189_32 Depth=1
	v_mov_b32_e32 v27, s39
	v_add_co_u32_e32 v18, vcc, s38, v14
	v_addc_co_u32_e32 v19, vcc, v15, v27, vcc
	v_add_co_u32_e32 v26, vcc, s38, v12
	v_addc_co_u32_e32 v27, vcc, v13, v27, vcc
	global_load_ubyte v28, v[18:19], off
	global_load_ubyte v29, v[26:27], off
	s_add_u32 s40, s38, 1
	s_addc_u32 s41, s39, 0
	s_andn2_b64 s[36:37], s[36:37], exec
	s_waitcnt vmcnt(0)
	v_cmp_ne_u16_e32 vcc, v28, v29
	s_and_b64 s[42:43], vcc, exec
	s_or_b64 s[36:37], s[36:37], s[42:43]
.LBB189_31:                             ;   in Loop: Header=BB189_32 Depth=1
	s_and_b64 s[42:43], exec, s[36:37]
	s_or_b64 s[14:15], s[42:43], s[14:15]
	v_pk_mov_b32 v[18:19], s[38:39], s[38:39] op_sel:[0,1]
	s_mov_b64 s[38:39], s[40:41]
	s_andn2_b64 exec, exec, s[14:15]
	s_cbranch_execz .LBB189_34
.LBB189_32:                             ; =>This Inner Loop Header: Depth=1
	s_or_b64 s[36:37], s[36:37], exec
	s_cmp_eq_u64 s[26:27], s[38:39]
	s_cbranch_scc0 .LBB189_30
; %bb.33:                               ;   in Loop: Header=BB189_32 Depth=1
                                        ; implicit-def: $sgpr40_sgpr41
	s_mov_b64 s[38:39], s[26:27]
	s_branch .LBB189_31
.LBB189_34:
	s_or_b64 exec, exec, s[14:15]
	v_cmp_gt_i64_e32 vcc, s[26:27], v[18:19]
	s_orn2_b64 s[14:15], vcc, exec
.LBB189_35:
	s_or_b64 exec, exec, s[18:19]
.LBB189_36:
	v_mul_lo_u32 v12, v9, s26
	v_mul_lo_u32 v13, v8, s27
	v_mad_u64_u32 v[14:15], s[18:19], v8, s26, 0
	s_and_b64 vcc, exec, s[0:1]
	v_add3_u32 v15, v15, v13, v12
	s_cbranch_vccnz .LBB189_45
; %bb.37:
	v_mov_b32_e32 v13, s29
	v_add_co_u32_e32 v12, vcc, s28, v14
	v_addc_co_u32_e32 v13, vcc, v13, v15, vcc
	v_mov_b32_e32 v18, s29
	v_add_co_u32_e32 v16, vcc, s28, v16
	v_addc_co_u32_e32 v17, vcc, v18, v17, vcc
	global_load_ubyte v18, v[12:13], off
	global_load_ubyte v19, v[16:17], off
	s_mov_b64 s[12:13], -1
	s_waitcnt vmcnt(0)
	v_cmp_eq_u16_e32 vcc, v18, v19
	s_and_saveexec_b64 s[18:19], vcc
	s_cbranch_execz .LBB189_44
; %bb.38:
	s_mov_b64 s[38:39], 1
	s_mov_b64 s[12:13], 0
                                        ; implicit-def: $sgpr36_sgpr37
	s_branch .LBB189_41
.LBB189_39:                             ;   in Loop: Header=BB189_41 Depth=1
	v_mov_b32_e32 v27, s39
	v_add_co_u32_e32 v18, vcc, s38, v12
	v_addc_co_u32_e32 v19, vcc, v13, v27, vcc
	v_add_co_u32_e32 v26, vcc, s38, v16
	v_addc_co_u32_e32 v27, vcc, v17, v27, vcc
	global_load_ubyte v28, v[18:19], off
	global_load_ubyte v29, v[26:27], off
	s_add_u32 s40, s38, 1
	s_addc_u32 s41, s39, 0
	s_andn2_b64 s[36:37], s[36:37], exec
	s_waitcnt vmcnt(0)
	v_cmp_ne_u16_e32 vcc, v28, v29
	s_and_b64 s[42:43], vcc, exec
	s_or_b64 s[36:37], s[36:37], s[42:43]
.LBB189_40:                             ;   in Loop: Header=BB189_41 Depth=1
	s_and_b64 s[42:43], exec, s[36:37]
	s_or_b64 s[12:13], s[42:43], s[12:13]
	v_pk_mov_b32 v[18:19], s[38:39], s[38:39] op_sel:[0,1]
	s_mov_b64 s[38:39], s[40:41]
	s_andn2_b64 exec, exec, s[12:13]
	s_cbranch_execz .LBB189_43
.LBB189_41:                             ; =>This Inner Loop Header: Depth=1
	s_or_b64 s[36:37], s[36:37], exec
	s_cmp_eq_u64 s[26:27], s[38:39]
	s_cbranch_scc0 .LBB189_39
; %bb.42:                               ;   in Loop: Header=BB189_41 Depth=1
                                        ; implicit-def: $sgpr40_sgpr41
	s_mov_b64 s[38:39], s[26:27]
	s_branch .LBB189_40
.LBB189_43:
	s_or_b64 exec, exec, s[12:13]
	v_cmp_gt_i64_e32 vcc, s[26:27], v[18:19]
	s_orn2_b64 s[12:13], vcc, exec
.LBB189_44:
	s_or_b64 exec, exec, s[18:19]
.LBB189_45:
	v_mul_lo_u32 v16, v7, s26
	v_mul_lo_u32 v17, v6, s27
	v_mad_u64_u32 v[12:13], s[18:19], v6, s26, 0
	v_add3_u32 v13, v13, v17, v16
	s_and_b64 vcc, exec, s[0:1]
	s_mov_b64 s[36:37], 0
	s_cbranch_vccnz .LBB189_54
; %bb.46:
	v_mov_b32_e32 v17, s29
	v_add_co_u32_e32 v16, vcc, s28, v12
	v_addc_co_u32_e32 v17, vcc, v17, v13, vcc
	v_mov_b32_e32 v18, s29
	v_add_co_u32_e32 v14, vcc, s28, v14
	v_addc_co_u32_e32 v15, vcc, v18, v15, vcc
	global_load_ubyte v18, v[16:17], off
	global_load_ubyte v19, v[14:15], off
	s_mov_b64 s[36:37], -1
	s_waitcnt vmcnt(0)
	v_cmp_eq_u16_e32 vcc, v18, v19
	s_and_saveexec_b64 s[18:19], vcc
	s_cbranch_execz .LBB189_53
; %bb.47:
	s_mov_b64 s[40:41], 1
	s_mov_b64 s[36:37], 0
                                        ; implicit-def: $sgpr38_sgpr39
	s_branch .LBB189_50
.LBB189_48:                             ;   in Loop: Header=BB189_50 Depth=1
	v_mov_b32_e32 v27, s41
	v_add_co_u32_e32 v18, vcc, s40, v16
	v_addc_co_u32_e32 v19, vcc, v17, v27, vcc
	v_add_co_u32_e32 v26, vcc, s40, v14
	v_addc_co_u32_e32 v27, vcc, v15, v27, vcc
	global_load_ubyte v28, v[18:19], off
	global_load_ubyte v29, v[26:27], off
	s_add_u32 s42, s40, 1
	s_addc_u32 s43, s41, 0
	s_andn2_b64 s[38:39], s[38:39], exec
	s_waitcnt vmcnt(0)
	v_cmp_ne_u16_e32 vcc, v28, v29
	s_and_b64 s[44:45], vcc, exec
	s_or_b64 s[38:39], s[38:39], s[44:45]
.LBB189_49:                             ;   in Loop: Header=BB189_50 Depth=1
	s_and_b64 s[44:45], exec, s[38:39]
	s_or_b64 s[36:37], s[44:45], s[36:37]
	v_pk_mov_b32 v[18:19], s[40:41], s[40:41] op_sel:[0,1]
	s_mov_b64 s[40:41], s[42:43]
	s_andn2_b64 exec, exec, s[36:37]
	s_cbranch_execz .LBB189_52
.LBB189_50:                             ; =>This Inner Loop Header: Depth=1
	s_or_b64 s[38:39], s[38:39], exec
	s_cmp_eq_u64 s[26:27], s[40:41]
	s_cbranch_scc0 .LBB189_48
; %bb.51:                               ;   in Loop: Header=BB189_50 Depth=1
                                        ; implicit-def: $sgpr42_sgpr43
	s_mov_b64 s[40:41], s[26:27]
	s_branch .LBB189_49
.LBB189_52:
	s_or_b64 exec, exec, s[36:37]
	v_cmp_gt_i64_e32 vcc, s[26:27], v[18:19]
	s_orn2_b64 s[36:37], vcc, exec
.LBB189_53:
	s_or_b64 exec, exec, s[18:19]
.LBB189_54:
	v_cmp_ne_u32_e32 vcc, 0, v0
	s_waitcnt lgkmcnt(0)
	v_pk_mov_b32 v[16:17], s[2:3], s[2:3] op_sel:[0,1]
	s_barrier
	s_and_saveexec_b64 s[18:19], vcc
	s_cbranch_execz .LBB189_56
; %bb.55:
	v_add_u32_e32 v14, -8, v25
	ds_read_b64 v[16:17], v14
.LBB189_56:
	s_or_b64 exec, exec, s[18:19]
	v_cndmask_b32_e64 v15, 0, 1, s[14:15]
	v_cndmask_b32_e64 v14, 0, 1, s[12:13]
	;; [unrolled: 1-line block ×3, first 2 shown]
	v_lshlrev_b16_e32 v15, 8, v15
	v_lshlrev_b16_e32 v18, 8, v18
	v_or_b32_sdwa v19, v14, v15 dst_sel:WORD_1 dst_unused:UNUSED_PAD src0_sel:DWORD src1_sel:DWORD
	s_mov_b64 s[14:15], 0
	s_and_b64 vcc, exec, s[0:1]
	s_mov_b64 s[12:13], 0
	s_cbranch_vccnz .LBB189_65
; %bb.57:
	v_pk_mov_b32 v[14:15], s[28:29], s[28:29] op_sel:[0,1]
	s_waitcnt lgkmcnt(0)
	v_mad_u64_u32 v[14:15], s[12:13], v16, s26, v[14:15]
	v_mul_lo_u32 v16, v16, s27
	v_mul_lo_u32 v17, v17, s26
	v_add3_u32 v15, v17, v15, v16
	v_mov_b32_e32 v16, s29
	v_add_co_u32_e32 v12, vcc, s28, v12
	v_addc_co_u32_e32 v13, vcc, v16, v13, vcc
	global_load_ubyte v16, v[14:15], off
	global_load_ubyte v17, v[12:13], off
	s_mov_b64 s[12:13], -1
	s_waitcnt vmcnt(0)
	v_cmp_eq_u16_e32 vcc, v16, v17
	s_and_saveexec_b64 s[18:19], vcc
	s_cbranch_execz .LBB189_64
; %bb.58:
	s_mov_b64 s[38:39], 1
	s_mov_b64 s[12:13], 0
                                        ; implicit-def: $sgpr36_sgpr37
	s_branch .LBB189_61
.LBB189_59:                             ;   in Loop: Header=BB189_61 Depth=1
	v_mov_b32_e32 v27, s39
	v_add_co_u32_e32 v16, vcc, s38, v14
	v_addc_co_u32_e32 v17, vcc, v15, v27, vcc
	v_add_co_u32_e32 v26, vcc, s38, v12
	v_addc_co_u32_e32 v27, vcc, v13, v27, vcc
	global_load_ubyte v28, v[16:17], off
	global_load_ubyte v29, v[26:27], off
	s_add_u32 s40, s38, 1
	s_addc_u32 s41, s39, 0
	s_andn2_b64 s[36:37], s[36:37], exec
	s_waitcnt vmcnt(0)
	v_cmp_ne_u16_e32 vcc, v28, v29
	s_and_b64 s[42:43], vcc, exec
	s_or_b64 s[36:37], s[36:37], s[42:43]
.LBB189_60:                             ;   in Loop: Header=BB189_61 Depth=1
	s_and_b64 s[42:43], exec, s[36:37]
	s_or_b64 s[12:13], s[42:43], s[12:13]
	v_pk_mov_b32 v[16:17], s[38:39], s[38:39] op_sel:[0,1]
	s_mov_b64 s[38:39], s[40:41]
	s_andn2_b64 exec, exec, s[12:13]
	s_cbranch_execz .LBB189_63
.LBB189_61:                             ; =>This Inner Loop Header: Depth=1
	s_or_b64 s[36:37], s[36:37], exec
	s_cmp_eq_u64 s[26:27], s[38:39]
	s_cbranch_scc0 .LBB189_59
; %bb.62:                               ;   in Loop: Header=BB189_61 Depth=1
                                        ; implicit-def: $sgpr40_sgpr41
	s_mov_b64 s[38:39], s[26:27]
	s_branch .LBB189_60
.LBB189_63:
	s_or_b64 exec, exec, s[12:13]
	v_cmp_gt_i64_e32 vcc, s[26:27], v[16:17]
	s_orn2_b64 s[12:13], vcc, exec
.LBB189_64:
	s_or_b64 exec, exec, s[18:19]
.LBB189_65:
	v_cndmask_b32_e64 v13, 0, 1, s[10:11]
	v_or_b32_e32 v15, v18, v19
	s_and_b64 vcc, exec, s[14:15]
	s_cbranch_vccz .LBB189_124
.LBB189_66:
	v_cmp_gt_u32_e32 vcc, s7, v21
	s_mov_b64 s[12:13], 0
	s_mov_b64 s[10:11], 0
	s_and_saveexec_b64 s[14:15], vcc
	s_cbranch_execz .LBB189_77
; %bb.67:
	s_and_b64 vcc, exec, s[0:1]
	s_mov_b64 s[18:19], 0
	s_cbranch_vccnz .LBB189_76
; %bb.68:
	v_pk_mov_b32 v[14:15], s[28:29], s[28:29] op_sel:[0,1]
	v_mad_u64_u32 v[12:13], s[10:11], v4, s26, v[14:15]
	s_waitcnt lgkmcnt(0)
	v_mul_lo_u32 v16, v4, s27
	v_mul_lo_u32 v17, v5, s26
	v_add3_u32 v13, v17, v13, v16
	v_mad_u64_u32 v[14:15], s[10:11], v10, s26, v[14:15]
	v_mul_lo_u32 v16, v10, s27
	v_mul_lo_u32 v17, v11, s26
	v_add3_u32 v15, v17, v15, v16
	global_load_ubyte v16, v[12:13], off
	global_load_ubyte v17, v[14:15], off
	s_mov_b64 s[18:19], -1
	s_waitcnt vmcnt(0)
	v_cmp_eq_u16_e32 vcc, v16, v17
	s_and_saveexec_b64 s[10:11], vcc
	s_cbranch_execz .LBB189_75
; %bb.69:
	s_mov_b64 s[38:39], 1
	s_mov_b64 s[18:19], 0
                                        ; implicit-def: $sgpr36_sgpr37
	s_branch .LBB189_72
.LBB189_70:                             ;   in Loop: Header=BB189_72 Depth=1
	v_mov_b32_e32 v19, s39
	v_add_co_u32_e32 v16, vcc, s38, v12
	v_addc_co_u32_e32 v17, vcc, v13, v19, vcc
	v_add_co_u32_e32 v18, vcc, s38, v14
	v_addc_co_u32_e32 v19, vcc, v15, v19, vcc
	global_load_ubyte v26, v[16:17], off
	global_load_ubyte v27, v[18:19], off
	s_add_u32 s40, s38, 1
	s_addc_u32 s41, s39, 0
	s_andn2_b64 s[36:37], s[36:37], exec
	s_waitcnt vmcnt(0)
	v_cmp_ne_u16_e32 vcc, v26, v27
	s_and_b64 s[42:43], vcc, exec
	s_or_b64 s[36:37], s[36:37], s[42:43]
.LBB189_71:                             ;   in Loop: Header=BB189_72 Depth=1
	s_and_b64 s[42:43], exec, s[36:37]
	s_or_b64 s[18:19], s[42:43], s[18:19]
	v_pk_mov_b32 v[16:17], s[38:39], s[38:39] op_sel:[0,1]
	s_mov_b64 s[38:39], s[40:41]
	s_andn2_b64 exec, exec, s[18:19]
	s_cbranch_execz .LBB189_74
.LBB189_72:                             ; =>This Inner Loop Header: Depth=1
	s_or_b64 s[36:37], s[36:37], exec
	s_cmp_eq_u64 s[26:27], s[38:39]
	s_cbranch_scc0 .LBB189_70
; %bb.73:                               ;   in Loop: Header=BB189_72 Depth=1
                                        ; implicit-def: $sgpr40_sgpr41
	s_mov_b64 s[38:39], s[26:27]
	s_branch .LBB189_71
.LBB189_74:
	s_or_b64 exec, exec, s[18:19]
	v_cmp_gt_i64_e32 vcc, s[26:27], v[16:17]
	s_orn2_b64 s[18:19], vcc, exec
.LBB189_75:
	s_or_b64 exec, exec, s[10:11]
.LBB189_76:
	s_and_b64 s[10:11], s[18:19], exec
.LBB189_77:
	s_or_b64 exec, exec, s[14:15]
	v_cmp_gt_u32_e32 vcc, s7, v23
	s_and_saveexec_b64 s[14:15], vcc
	s_cbranch_execz .LBB189_88
; %bb.78:
	s_and_b64 vcc, exec, s[0:1]
	s_mov_b64 s[18:19], 0
	s_cbranch_vccnz .LBB189_87
; %bb.79:
	v_pk_mov_b32 v[14:15], s[28:29], s[28:29] op_sel:[0,1]
	v_mad_u64_u32 v[12:13], s[12:13], v2, s26, v[14:15]
	s_waitcnt lgkmcnt(0)
	v_mul_lo_u32 v16, v2, s27
	v_mul_lo_u32 v17, v3, s26
	v_add3_u32 v13, v17, v13, v16
	v_mad_u64_u32 v[14:15], s[12:13], v4, s26, v[14:15]
	v_mul_lo_u32 v16, v4, s27
	v_mul_lo_u32 v17, v5, s26
	v_add3_u32 v15, v17, v15, v16
	global_load_ubyte v16, v[12:13], off
	global_load_ubyte v17, v[14:15], off
	s_mov_b64 s[18:19], -1
	s_waitcnt vmcnt(0)
	v_cmp_eq_u16_e32 vcc, v16, v17
	s_and_saveexec_b64 s[12:13], vcc
	s_cbranch_execz .LBB189_86
; %bb.80:
	s_mov_b64 s[38:39], 1
	s_mov_b64 s[18:19], 0
                                        ; implicit-def: $sgpr36_sgpr37
	s_branch .LBB189_83
.LBB189_81:                             ;   in Loop: Header=BB189_83 Depth=1
	v_mov_b32_e32 v19, s39
	v_add_co_u32_e32 v16, vcc, s38, v12
	v_addc_co_u32_e32 v17, vcc, v13, v19, vcc
	v_add_co_u32_e32 v18, vcc, s38, v14
	v_addc_co_u32_e32 v19, vcc, v15, v19, vcc
	global_load_ubyte v26, v[16:17], off
	global_load_ubyte v27, v[18:19], off
	s_add_u32 s40, s38, 1
	s_addc_u32 s41, s39, 0
	s_andn2_b64 s[36:37], s[36:37], exec
	s_waitcnt vmcnt(0)
	v_cmp_ne_u16_e32 vcc, v26, v27
	s_and_b64 s[42:43], vcc, exec
	s_or_b64 s[36:37], s[36:37], s[42:43]
.LBB189_82:                             ;   in Loop: Header=BB189_83 Depth=1
	s_and_b64 s[42:43], exec, s[36:37]
	s_or_b64 s[18:19], s[42:43], s[18:19]
	v_pk_mov_b32 v[16:17], s[38:39], s[38:39] op_sel:[0,1]
	s_mov_b64 s[38:39], s[40:41]
	s_andn2_b64 exec, exec, s[18:19]
	s_cbranch_execz .LBB189_85
.LBB189_83:                             ; =>This Inner Loop Header: Depth=1
	s_or_b64 s[36:37], s[36:37], exec
	s_cmp_eq_u64 s[26:27], s[38:39]
	s_cbranch_scc0 .LBB189_81
; %bb.84:                               ;   in Loop: Header=BB189_83 Depth=1
                                        ; implicit-def: $sgpr40_sgpr41
	s_mov_b64 s[38:39], s[26:27]
	s_branch .LBB189_82
.LBB189_85:
	s_or_b64 exec, exec, s[18:19]
	v_cmp_gt_i64_e32 vcc, s[26:27], v[16:17]
	s_orn2_b64 s[18:19], vcc, exec
.LBB189_86:
	s_or_b64 exec, exec, s[12:13]
.LBB189_87:
	s_and_b64 s[12:13], s[18:19], exec
.LBB189_88:
	s_or_b64 exec, exec, s[14:15]
	v_cmp_gt_u32_e32 vcc, s7, v20
	s_mov_b64 s[14:15], 0
	s_mov_b64 s[18:19], 0
	s_and_saveexec_b64 s[36:37], vcc
	s_cbranch_execz .LBB189_99
; %bb.89:
	s_and_b64 vcc, exec, s[0:1]
	s_mov_b64 s[38:39], 0
	s_cbranch_vccnz .LBB189_98
; %bb.90:
	v_pk_mov_b32 v[14:15], s[28:29], s[28:29] op_sel:[0,1]
	v_mad_u64_u32 v[12:13], s[18:19], v8, s26, v[14:15]
	s_waitcnt lgkmcnt(0)
	v_mul_lo_u32 v16, v8, s27
	v_mul_lo_u32 v17, v9, s26
	v_add3_u32 v13, v17, v13, v16
	v_mad_u64_u32 v[14:15], s[18:19], v2, s26, v[14:15]
	v_mul_lo_u32 v16, v2, s27
	v_mul_lo_u32 v17, v3, s26
	v_add3_u32 v15, v17, v15, v16
	global_load_ubyte v16, v[12:13], off
	global_load_ubyte v17, v[14:15], off
	s_mov_b64 s[38:39], -1
	s_waitcnt vmcnt(0)
	v_cmp_eq_u16_e32 vcc, v16, v17
	s_and_saveexec_b64 s[18:19], vcc
	s_cbranch_execz .LBB189_97
; %bb.91:
	s_mov_b64 s[42:43], 1
	s_mov_b64 s[38:39], 0
                                        ; implicit-def: $sgpr40_sgpr41
	s_branch .LBB189_94
.LBB189_92:                             ;   in Loop: Header=BB189_94 Depth=1
	v_mov_b32_e32 v19, s43
	v_add_co_u32_e32 v16, vcc, s42, v12
	v_addc_co_u32_e32 v17, vcc, v13, v19, vcc
	v_add_co_u32_e32 v18, vcc, s42, v14
	v_addc_co_u32_e32 v19, vcc, v15, v19, vcc
	global_load_ubyte v26, v[16:17], off
	global_load_ubyte v27, v[18:19], off
	s_add_u32 s44, s42, 1
	s_addc_u32 s45, s43, 0
	s_andn2_b64 s[40:41], s[40:41], exec
	s_waitcnt vmcnt(0)
	v_cmp_ne_u16_e32 vcc, v26, v27
	s_and_b64 s[46:47], vcc, exec
	s_or_b64 s[40:41], s[40:41], s[46:47]
.LBB189_93:                             ;   in Loop: Header=BB189_94 Depth=1
	s_and_b64 s[46:47], exec, s[40:41]
	s_or_b64 s[38:39], s[46:47], s[38:39]
	v_pk_mov_b32 v[16:17], s[42:43], s[42:43] op_sel:[0,1]
	s_mov_b64 s[42:43], s[44:45]
	s_andn2_b64 exec, exec, s[38:39]
	s_cbranch_execz .LBB189_96
.LBB189_94:                             ; =>This Inner Loop Header: Depth=1
	s_or_b64 s[40:41], s[40:41], exec
	s_cmp_eq_u64 s[26:27], s[42:43]
	s_cbranch_scc0 .LBB189_92
; %bb.95:                               ;   in Loop: Header=BB189_94 Depth=1
                                        ; implicit-def: $sgpr44_sgpr45
	s_mov_b64 s[42:43], s[26:27]
	s_branch .LBB189_93
.LBB189_96:
	s_or_b64 exec, exec, s[38:39]
	v_cmp_gt_i64_e32 vcc, s[26:27], v[16:17]
	s_orn2_b64 s[38:39], vcc, exec
.LBB189_97:
	s_or_b64 exec, exec, s[18:19]
.LBB189_98:
	s_and_b64 s[18:19], s[38:39], exec
.LBB189_99:
	s_or_b64 exec, exec, s[36:37]
	v_cmp_gt_u32_e32 vcc, s7, v22
	s_and_saveexec_b64 s[36:37], vcc
	s_cbranch_execz .LBB189_110
; %bb.100:
	s_and_b64 vcc, exec, s[0:1]
	s_mov_b64 s[38:39], 0
	s_cbranch_vccnz .LBB189_109
; %bb.101:
	v_pk_mov_b32 v[14:15], s[28:29], s[28:29] op_sel:[0,1]
	v_mad_u64_u32 v[12:13], s[14:15], v6, s26, v[14:15]
	s_waitcnt lgkmcnt(0)
	v_mul_lo_u32 v16, v6, s27
	v_mul_lo_u32 v17, v7, s26
	v_add3_u32 v13, v17, v13, v16
	v_mad_u64_u32 v[14:15], s[14:15], v8, s26, v[14:15]
	v_mul_lo_u32 v16, v8, s27
	v_mul_lo_u32 v17, v9, s26
	v_add3_u32 v15, v17, v15, v16
	global_load_ubyte v16, v[12:13], off
	global_load_ubyte v17, v[14:15], off
	s_mov_b64 s[38:39], -1
	s_waitcnt vmcnt(0)
	v_cmp_eq_u16_e32 vcc, v16, v17
	s_and_saveexec_b64 s[14:15], vcc
	s_cbranch_execz .LBB189_108
; %bb.102:
	s_mov_b64 s[42:43], 1
	s_mov_b64 s[38:39], 0
                                        ; implicit-def: $sgpr40_sgpr41
	s_branch .LBB189_105
.LBB189_103:                            ;   in Loop: Header=BB189_105 Depth=1
	v_mov_b32_e32 v19, s43
	v_add_co_u32_e32 v16, vcc, s42, v12
	v_addc_co_u32_e32 v17, vcc, v13, v19, vcc
	v_add_co_u32_e32 v18, vcc, s42, v14
	v_addc_co_u32_e32 v19, vcc, v15, v19, vcc
	global_load_ubyte v26, v[16:17], off
	global_load_ubyte v27, v[18:19], off
	s_add_u32 s44, s42, 1
	s_addc_u32 s45, s43, 0
	s_andn2_b64 s[40:41], s[40:41], exec
	s_waitcnt vmcnt(0)
	v_cmp_ne_u16_e32 vcc, v26, v27
	s_and_b64 s[46:47], vcc, exec
	s_or_b64 s[40:41], s[40:41], s[46:47]
.LBB189_104:                            ;   in Loop: Header=BB189_105 Depth=1
	s_and_b64 s[46:47], exec, s[40:41]
	s_or_b64 s[38:39], s[46:47], s[38:39]
	v_pk_mov_b32 v[16:17], s[42:43], s[42:43] op_sel:[0,1]
	s_mov_b64 s[42:43], s[44:45]
	s_andn2_b64 exec, exec, s[38:39]
	s_cbranch_execz .LBB189_107
.LBB189_105:                            ; =>This Inner Loop Header: Depth=1
	s_or_b64 s[40:41], s[40:41], exec
	s_cmp_eq_u64 s[26:27], s[42:43]
	s_cbranch_scc0 .LBB189_103
; %bb.106:                              ;   in Loop: Header=BB189_105 Depth=1
                                        ; implicit-def: $sgpr44_sgpr45
	s_mov_b64 s[42:43], s[26:27]
	s_branch .LBB189_104
.LBB189_107:
	s_or_b64 exec, exec, s[38:39]
	v_cmp_gt_i64_e32 vcc, s[26:27], v[16:17]
	s_orn2_b64 s[38:39], vcc, exec
.LBB189_108:
	s_or_b64 exec, exec, s[14:15]
.LBB189_109:
	s_and_b64 s[14:15], s[38:39], exec
.LBB189_110:
	s_or_b64 exec, exec, s[36:37]
	v_cmp_ne_u32_e32 vcc, 0, v0
	s_waitcnt lgkmcnt(0)
	v_pk_mov_b32 v[14:15], s[2:3], s[2:3] op_sel:[0,1]
	s_barrier
	s_and_saveexec_b64 s[2:3], vcc
	s_cbranch_execz .LBB189_112
; %bb.111:
	v_add_u32_e32 v12, -8, v25
	ds_read_b64 v[14:15], v12
.LBB189_112:
	s_or_b64 exec, exec, s[2:3]
	v_cndmask_b32_e64 v13, 0, 1, s[12:13]
	v_cndmask_b32_e64 v12, 0, 1, s[18:19]
	;; [unrolled: 1-line block ×3, first 2 shown]
	v_lshlrev_b16_e32 v13, 8, v13
	v_cmp_gt_u32_e32 vcc, s7, v1
	v_lshlrev_b16_e32 v18, 8, v16
	v_or_b32_sdwa v19, v12, v13 dst_sel:WORD_1 dst_unused:UNUSED_PAD src0_sel:DWORD src1_sel:DWORD
	s_mov_b64 s[12:13], 0
	s_and_saveexec_b64 s[2:3], vcc
	s_cbranch_execz .LBB189_123
; %bb.113:
	s_and_b64 vcc, exec, s[0:1]
	s_cbranch_vccnz .LBB189_122
; %bb.114:
	v_pk_mov_b32 v[16:17], s[28:29], s[28:29] op_sel:[0,1]
	s_waitcnt lgkmcnt(0)
	v_mad_u64_u32 v[12:13], s[0:1], v14, s26, v[16:17]
	v_mul_lo_u32 v14, v14, s27
	v_mul_lo_u32 v15, v15, s26
	v_add3_u32 v13, v15, v13, v14
	v_mad_u64_u32 v[14:15], s[0:1], v6, s26, v[16:17]
	v_mul_lo_u32 v16, v6, s27
	v_mul_lo_u32 v17, v7, s26
	v_add3_u32 v15, v17, v15, v16
	global_load_ubyte v16, v[12:13], off
	global_load_ubyte v17, v[14:15], off
	s_mov_b64 s[12:13], -1
	s_waitcnt vmcnt(0)
	v_cmp_eq_u16_e32 vcc, v16, v17
	s_and_saveexec_b64 s[0:1], vcc
	s_cbranch_execz .LBB189_121
; %bb.115:
	s_mov_b64 s[18:19], 1
	s_mov_b64 s[12:13], 0
                                        ; implicit-def: $sgpr14_sgpr15
	s_branch .LBB189_118
.LBB189_116:                            ;   in Loop: Header=BB189_118 Depth=1
	v_mov_b32_e32 v25, s19
	v_add_co_u32_e32 v16, vcc, s18, v12
	v_addc_co_u32_e32 v17, vcc, v13, v25, vcc
	v_add_co_u32_e32 v26, vcc, s18, v14
	v_addc_co_u32_e32 v27, vcc, v15, v25, vcc
	global_load_ubyte v25, v[16:17], off
	global_load_ubyte v28, v[26:27], off
	s_add_u32 s36, s18, 1
	s_addc_u32 s37, s19, 0
	s_andn2_b64 s[14:15], s[14:15], exec
	s_waitcnt vmcnt(0)
	v_cmp_ne_u16_e32 vcc, v25, v28
	s_and_b64 s[38:39], vcc, exec
	s_or_b64 s[14:15], s[14:15], s[38:39]
.LBB189_117:                            ;   in Loop: Header=BB189_118 Depth=1
	s_and_b64 s[38:39], exec, s[14:15]
	s_or_b64 s[12:13], s[38:39], s[12:13]
	v_pk_mov_b32 v[16:17], s[18:19], s[18:19] op_sel:[0,1]
	s_mov_b64 s[18:19], s[36:37]
	s_andn2_b64 exec, exec, s[12:13]
	s_cbranch_execz .LBB189_120
.LBB189_118:                            ; =>This Inner Loop Header: Depth=1
	s_or_b64 s[14:15], s[14:15], exec
	s_cmp_eq_u64 s[26:27], s[18:19]
	s_cbranch_scc0 .LBB189_116
; %bb.119:                              ;   in Loop: Header=BB189_118 Depth=1
                                        ; implicit-def: $sgpr36_sgpr37
	s_mov_b64 s[18:19], s[26:27]
	s_branch .LBB189_117
.LBB189_120:
	s_or_b64 exec, exec, s[12:13]
	v_cmp_gt_i64_e32 vcc, s[26:27], v[16:17]
	s_orn2_b64 s[12:13], vcc, exec
.LBB189_121:
	s_or_b64 exec, exec, s[0:1]
.LBB189_122:
	s_and_b64 s[12:13], s[12:13], exec
.LBB189_123:
	s_or_b64 exec, exec, s[2:3]
	v_cndmask_b32_e64 v13, 0, 1, s[10:11]
	s_waitcnt lgkmcnt(0)
	v_or_b32_e32 v15, v18, v19
.LBB189_124:
	s_mov_b64 s[10:11], -1
	s_cbranch_execnz .LBB189_233
.LBB189_125:
	v_lshlrev_b32_e32 v12, 5, v0
	v_sub_u32_e32 v24, v24, v12
	s_mov_b64 s[12:13], 0
	s_waitcnt lgkmcnt(0)
	v_cmp_gt_i64_e64 s[2:3], s[26:27], 0
	s_and_b64 vcc, exec, s[34:35]
	ds_write_b64 v24, v[10:11]
	s_cbranch_vccz .LBB189_133
; %bb.126:
	v_mul_lo_u32 v14, v5, s26
	v_mul_lo_u32 v15, v4, s27
	v_mad_u64_u32 v[12:13], s[0:1], v4, s26, 0
	v_cndmask_b32_e64 v16, 0, 1, s[2:3]
	v_cmp_ne_u32_e64 s[0:1], 1, v16
	s_andn2_b64 vcc, exec, s[2:3]
	v_add3_u32 v13, v13, v15, v14
	s_cbranch_vccnz .LBB189_136
; %bb.127:
	v_mov_b32_e32 v15, s29
	v_add_co_u32_e32 v14, vcc, s28, v12
	v_pk_mov_b32 v[16:17], s[28:29], s[28:29] op_sel:[0,1]
	v_addc_co_u32_e32 v15, vcc, v15, v13, vcc
	v_mad_u64_u32 v[16:17], s[12:13], v10, s26, v[16:17]
	v_mul_lo_u32 v18, v10, s27
	v_mul_lo_u32 v19, v11, s26
	v_add3_u32 v17, v19, v17, v18
	global_load_ubyte v18, v[14:15], off
	global_load_ubyte v19, v[16:17], off
	s_mov_b64 s[12:13], -1
	s_waitcnt vmcnt(0)
	v_cmp_eq_u16_e32 vcc, v18, v19
	s_and_saveexec_b64 s[14:15], vcc
	s_cbranch_execz .LBB189_135
; %bb.128:
	s_mov_b64 s[36:37], 1
	s_mov_b64 s[12:13], 0
                                        ; implicit-def: $sgpr18_sgpr19
	s_branch .LBB189_131
.LBB189_129:                            ;   in Loop: Header=BB189_131 Depth=1
	v_mov_b32_e32 v25, s37
	v_add_co_u32_e32 v18, vcc, s36, v14
	v_addc_co_u32_e32 v19, vcc, v15, v25, vcc
	v_add_co_u32_e32 v26, vcc, s36, v16
	v_addc_co_u32_e32 v27, vcc, v17, v25, vcc
	global_load_ubyte v25, v[18:19], off
	global_load_ubyte v28, v[26:27], off
	s_add_u32 s38, s36, 1
	s_addc_u32 s39, s37, 0
	s_andn2_b64 s[18:19], s[18:19], exec
	s_waitcnt vmcnt(0)
	v_cmp_ne_u16_e32 vcc, v25, v28
	s_and_b64 s[40:41], vcc, exec
	s_or_b64 s[18:19], s[18:19], s[40:41]
.LBB189_130:                            ;   in Loop: Header=BB189_131 Depth=1
	s_and_b64 s[40:41], exec, s[18:19]
	s_or_b64 s[12:13], s[40:41], s[12:13]
	v_pk_mov_b32 v[18:19], s[36:37], s[36:37] op_sel:[0,1]
	s_mov_b64 s[36:37], s[38:39]
	s_andn2_b64 exec, exec, s[12:13]
	s_cbranch_execz .LBB189_134
.LBB189_131:                            ; =>This Inner Loop Header: Depth=1
	s_or_b64 s[18:19], s[18:19], exec
	s_cmp_eq_u64 s[26:27], s[36:37]
	s_cbranch_scc0 .LBB189_129
; %bb.132:                              ;   in Loop: Header=BB189_131 Depth=1
                                        ; implicit-def: $sgpr38_sgpr39
	s_mov_b64 s[36:37], s[26:27]
	s_branch .LBB189_130
.LBB189_133:
                                        ; implicit-def: $sgpr12_sgpr13
                                        ; implicit-def: $vgpr13
                                        ; implicit-def: $vgpr15
	s_cbranch_execnz .LBB189_175
	s_branch .LBB189_233
.LBB189_134:
	s_or_b64 exec, exec, s[12:13]
	v_cmp_gt_i64_e32 vcc, s[26:27], v[18:19]
	s_orn2_b64 s[12:13], vcc, exec
.LBB189_135:
	s_or_b64 exec, exec, s[14:15]
.LBB189_136:
	v_mul_lo_u32 v16, v3, s26
	v_mul_lo_u32 v17, v2, s27
	v_mad_u64_u32 v[14:15], s[14:15], v2, s26, 0
	v_add3_u32 v15, v15, v17, v16
	s_mov_b64 s[14:15], 0
	s_and_b64 vcc, exec, s[0:1]
	s_mov_b64 s[18:19], 0
	s_cbranch_vccnz .LBB189_145
; %bb.137:
	v_mov_b32_e32 v17, s29
	v_add_co_u32_e32 v16, vcc, s28, v14
	v_addc_co_u32_e32 v17, vcc, v17, v15, vcc
	v_mov_b32_e32 v18, s29
	v_add_co_u32_e32 v12, vcc, s28, v12
	v_addc_co_u32_e32 v13, vcc, v18, v13, vcc
	global_load_ubyte v18, v[16:17], off
	global_load_ubyte v19, v[12:13], off
	s_mov_b64 s[18:19], -1
	s_waitcnt vmcnt(0)
	v_cmp_eq_u16_e32 vcc, v18, v19
	s_and_saveexec_b64 s[36:37], vcc
	s_cbranch_execz .LBB189_144
; %bb.138:
	s_mov_b64 s[40:41], 1
	s_mov_b64 s[18:19], 0
                                        ; implicit-def: $sgpr38_sgpr39
	s_branch .LBB189_141
.LBB189_139:                            ;   in Loop: Header=BB189_141 Depth=1
	v_mov_b32_e32 v25, s41
	v_add_co_u32_e32 v18, vcc, s40, v16
	v_addc_co_u32_e32 v19, vcc, v17, v25, vcc
	v_add_co_u32_e32 v26, vcc, s40, v12
	v_addc_co_u32_e32 v27, vcc, v13, v25, vcc
	global_load_ubyte v25, v[18:19], off
	global_load_ubyte v28, v[26:27], off
	s_add_u32 s42, s40, 1
	s_addc_u32 s43, s41, 0
	s_andn2_b64 s[38:39], s[38:39], exec
	s_waitcnt vmcnt(0)
	v_cmp_ne_u16_e32 vcc, v25, v28
	s_and_b64 s[44:45], vcc, exec
	s_or_b64 s[38:39], s[38:39], s[44:45]
.LBB189_140:                            ;   in Loop: Header=BB189_141 Depth=1
	s_and_b64 s[44:45], exec, s[38:39]
	s_or_b64 s[18:19], s[44:45], s[18:19]
	v_pk_mov_b32 v[18:19], s[40:41], s[40:41] op_sel:[0,1]
	s_mov_b64 s[40:41], s[42:43]
	s_andn2_b64 exec, exec, s[18:19]
	s_cbranch_execz .LBB189_143
.LBB189_141:                            ; =>This Inner Loop Header: Depth=1
	s_or_b64 s[38:39], s[38:39], exec
	s_cmp_eq_u64 s[26:27], s[40:41]
	s_cbranch_scc0 .LBB189_139
; %bb.142:                              ;   in Loop: Header=BB189_141 Depth=1
                                        ; implicit-def: $sgpr42_sgpr43
	s_mov_b64 s[40:41], s[26:27]
	s_branch .LBB189_140
.LBB189_143:
	s_or_b64 exec, exec, s[18:19]
	v_cmp_gt_i64_e32 vcc, s[26:27], v[18:19]
	s_orn2_b64 s[18:19], vcc, exec
.LBB189_144:
	s_or_b64 exec, exec, s[36:37]
.LBB189_145:
	v_mul_lo_u32 v16, v9, s26
	v_mul_lo_u32 v17, v8, s27
	v_mad_u64_u32 v[12:13], s[36:37], v8, s26, 0
	s_and_b64 vcc, exec, s[0:1]
	v_add3_u32 v13, v13, v17, v16
	s_cbranch_vccnz .LBB189_154
; %bb.146:
	v_mov_b32_e32 v17, s29
	v_add_co_u32_e32 v16, vcc, s28, v12
	v_addc_co_u32_e32 v17, vcc, v17, v13, vcc
	v_mov_b32_e32 v18, s29
	v_add_co_u32_e32 v14, vcc, s28, v14
	v_addc_co_u32_e32 v15, vcc, v18, v15, vcc
	global_load_ubyte v18, v[16:17], off
	global_load_ubyte v19, v[14:15], off
	s_mov_b64 s[14:15], -1
	s_waitcnt vmcnt(0)
	v_cmp_eq_u16_e32 vcc, v18, v19
	s_and_saveexec_b64 s[36:37], vcc
	s_cbranch_execz .LBB189_153
; %bb.147:
	s_mov_b64 s[40:41], 1
	s_mov_b64 s[14:15], 0
                                        ; implicit-def: $sgpr38_sgpr39
	s_branch .LBB189_150
.LBB189_148:                            ;   in Loop: Header=BB189_150 Depth=1
	v_mov_b32_e32 v25, s41
	v_add_co_u32_e32 v18, vcc, s40, v16
	v_addc_co_u32_e32 v19, vcc, v17, v25, vcc
	v_add_co_u32_e32 v26, vcc, s40, v14
	v_addc_co_u32_e32 v27, vcc, v15, v25, vcc
	global_load_ubyte v25, v[18:19], off
	global_load_ubyte v28, v[26:27], off
	s_add_u32 s42, s40, 1
	s_addc_u32 s43, s41, 0
	s_andn2_b64 s[38:39], s[38:39], exec
	s_waitcnt vmcnt(0)
	v_cmp_ne_u16_e32 vcc, v25, v28
	s_and_b64 s[44:45], vcc, exec
	s_or_b64 s[38:39], s[38:39], s[44:45]
.LBB189_149:                            ;   in Loop: Header=BB189_150 Depth=1
	s_and_b64 s[44:45], exec, s[38:39]
	s_or_b64 s[14:15], s[44:45], s[14:15]
	v_pk_mov_b32 v[18:19], s[40:41], s[40:41] op_sel:[0,1]
	s_mov_b64 s[40:41], s[42:43]
	s_andn2_b64 exec, exec, s[14:15]
	s_cbranch_execz .LBB189_152
.LBB189_150:                            ; =>This Inner Loop Header: Depth=1
	s_or_b64 s[38:39], s[38:39], exec
	s_cmp_eq_u64 s[26:27], s[40:41]
	s_cbranch_scc0 .LBB189_148
; %bb.151:                              ;   in Loop: Header=BB189_150 Depth=1
                                        ; implicit-def: $sgpr42_sgpr43
	s_mov_b64 s[40:41], s[26:27]
	s_branch .LBB189_149
.LBB189_152:
	s_or_b64 exec, exec, s[14:15]
	v_cmp_gt_i64_e32 vcc, s[26:27], v[18:19]
	s_orn2_b64 s[14:15], vcc, exec
.LBB189_153:
	s_or_b64 exec, exec, s[36:37]
.LBB189_154:
	v_mul_lo_u32 v16, v7, s26
	v_mul_lo_u32 v17, v6, s27
	v_mad_u64_u32 v[14:15], s[36:37], v6, s26, 0
	v_add3_u32 v25, v15, v17, v16
	s_and_b64 vcc, exec, s[0:1]
	s_mov_b64 s[38:39], 0
	s_cbranch_vccnz .LBB189_163
; %bb.155:
	v_mov_b32_e32 v15, s29
	v_add_co_u32_e32 v16, vcc, s28, v14
	v_addc_co_u32_e32 v17, vcc, v15, v25, vcc
	v_add_co_u32_e32 v12, vcc, s28, v12
	v_addc_co_u32_e32 v13, vcc, v15, v13, vcc
	global_load_ubyte v15, v[16:17], off
	global_load_ubyte v18, v[12:13], off
	s_mov_b64 s[38:39], -1
	s_waitcnt vmcnt(0)
	v_cmp_eq_u16_e32 vcc, v15, v18
	s_and_saveexec_b64 s[36:37], vcc
	s_cbranch_execz .LBB189_162
; %bb.156:
	s_mov_b64 s[42:43], 1
	s_mov_b64 s[38:39], 0
                                        ; implicit-def: $sgpr40_sgpr41
	s_branch .LBB189_159
.LBB189_157:                            ;   in Loop: Header=BB189_159 Depth=1
	v_mov_b32_e32 v15, s43
	v_add_co_u32_e32 v18, vcc, s42, v16
	v_addc_co_u32_e32 v19, vcc, v17, v15, vcc
	v_add_co_u32_e32 v26, vcc, s42, v12
	v_addc_co_u32_e32 v27, vcc, v13, v15, vcc
	global_load_ubyte v15, v[18:19], off
	global_load_ubyte v28, v[26:27], off
	s_add_u32 s44, s42, 1
	s_addc_u32 s45, s43, 0
	s_andn2_b64 s[40:41], s[40:41], exec
	s_waitcnt vmcnt(0)
	v_cmp_ne_u16_e32 vcc, v15, v28
	s_and_b64 s[46:47], vcc, exec
	s_or_b64 s[40:41], s[40:41], s[46:47]
.LBB189_158:                            ;   in Loop: Header=BB189_159 Depth=1
	s_and_b64 s[46:47], exec, s[40:41]
	s_or_b64 s[38:39], s[46:47], s[38:39]
	v_pk_mov_b32 v[18:19], s[42:43], s[42:43] op_sel:[0,1]
	s_mov_b64 s[42:43], s[44:45]
	s_andn2_b64 exec, exec, s[38:39]
	s_cbranch_execz .LBB189_161
.LBB189_159:                            ; =>This Inner Loop Header: Depth=1
	s_or_b64 s[40:41], s[40:41], exec
	s_cmp_eq_u64 s[26:27], s[42:43]
	s_cbranch_scc0 .LBB189_157
; %bb.160:                              ;   in Loop: Header=BB189_159 Depth=1
                                        ; implicit-def: $sgpr44_sgpr45
	s_mov_b64 s[42:43], s[26:27]
	s_branch .LBB189_158
.LBB189_161:
	s_or_b64 exec, exec, s[38:39]
	v_cmp_gt_i64_e32 vcc, s[26:27], v[18:19]
	s_orn2_b64 s[38:39], vcc, exec
.LBB189_162:
	s_or_b64 exec, exec, s[36:37]
.LBB189_163:
	v_cndmask_b32_e64 v13, 0, 1, s[18:19]
	v_cndmask_b32_e64 v15, 0, 1, s[38:39]
	;; [unrolled: 1-line block ×3, first 2 shown]
	v_lshlrev_b16_e32 v15, 8, v15
	v_lshlrev_b16_e32 v13, 8, v13
	v_or_b32_e32 v15, 1, v15
	v_or_b32_sdwa v12, v12, v13 dst_sel:WORD_1 dst_unused:UNUSED_PAD src0_sel:DWORD src1_sel:DWORD
	v_or_b32_sdwa v12, v15, v12 dst_sel:DWORD dst_unused:UNUSED_PAD src0_sel:WORD_0 src1_sel:DWORD
	v_cndmask_b32_e64 v13, 0, 1, s[12:13]
	v_cmp_ne_u32_e32 vcc, 0, v0
	s_waitcnt lgkmcnt(0)
	s_barrier
	s_waitcnt lgkmcnt(0)
                                        ; implicit-def: $sgpr12_sgpr13
                                        ; implicit-def: $vgpr15
	s_and_saveexec_b64 s[14:15], vcc
	s_xor_b64 s[14:15], exec, s[14:15]
	s_cbranch_execz .LBB189_174
; %bb.164:
	s_mov_b32 s33, 0x3020104
	s_and_b64 vcc, exec, s[0:1]
	s_mov_b64 s[12:13], 0
	s_cbranch_vccnz .LBB189_173
; %bb.165:
	v_add_u32_e32 v15, -8, v24
	ds_read_b64 v[16:17], v15
	v_pk_mov_b32 v[18:19], s[28:29], s[28:29] op_sel:[0,1]
	v_add_co_u32_e32 v14, vcc, s28, v14
	s_mov_b64 s[12:13], -1
	s_waitcnt lgkmcnt(0)
	v_mul_lo_u32 v15, v16, s27
	v_mul_lo_u32 v26, v17, s26
	v_mad_u64_u32 v[16:17], s[0:1], v16, s26, v[18:19]
	v_add3_u32 v17, v26, v17, v15
	v_mov_b32_e32 v15, s29
	v_addc_co_u32_e32 v15, vcc, v15, v25, vcc
	global_load_ubyte v18, v[14:15], off
	global_load_ubyte v19, v[16:17], off
	s_waitcnt vmcnt(0)
	v_cmp_eq_u16_e32 vcc, v19, v18
	s_and_saveexec_b64 s[0:1], vcc
	s_cbranch_execz .LBB189_172
; %bb.166:
	s_mov_b64 s[36:37], 1
	s_mov_b64 s[12:13], 0
                                        ; implicit-def: $sgpr18_sgpr19
	s_branch .LBB189_169
.LBB189_167:                            ;   in Loop: Header=BB189_169 Depth=1
	v_mov_b32_e32 v25, s37
	v_add_co_u32_e32 v18, vcc, s36, v16
	v_addc_co_u32_e32 v19, vcc, v17, v25, vcc
	v_add_co_u32_e32 v26, vcc, s36, v14
	v_addc_co_u32_e32 v27, vcc, v15, v25, vcc
	global_load_ubyte v25, v[18:19], off
	global_load_ubyte v28, v[26:27], off
	s_add_u32 s38, s36, 1
	s_addc_u32 s39, s37, 0
	s_andn2_b64 s[18:19], s[18:19], exec
	s_waitcnt vmcnt(0)
	v_cmp_ne_u16_e32 vcc, v25, v28
	s_and_b64 s[40:41], vcc, exec
	s_or_b64 s[18:19], s[18:19], s[40:41]
.LBB189_168:                            ;   in Loop: Header=BB189_169 Depth=1
	s_and_b64 s[40:41], exec, s[18:19]
	s_or_b64 s[12:13], s[40:41], s[12:13]
	v_pk_mov_b32 v[18:19], s[36:37], s[36:37] op_sel:[0,1]
	s_mov_b64 s[36:37], s[38:39]
	s_andn2_b64 exec, exec, s[12:13]
	s_cbranch_execz .LBB189_171
.LBB189_169:                            ; =>This Inner Loop Header: Depth=1
	s_or_b64 s[18:19], s[18:19], exec
	s_cmp_eq_u64 s[26:27], s[36:37]
	s_cbranch_scc0 .LBB189_167
; %bb.170:                              ;   in Loop: Header=BB189_169 Depth=1
                                        ; implicit-def: $sgpr38_sgpr39
	s_mov_b64 s[36:37], s[26:27]
	s_branch .LBB189_168
.LBB189_171:
	s_or_b64 exec, exec, s[12:13]
	v_cmp_gt_i64_e32 vcc, s[26:27], v[18:19]
	s_orn2_b64 s[12:13], vcc, exec
.LBB189_172:
	s_or_b64 exec, exec, s[0:1]
.LBB189_173:
	v_perm_b32 v15, v12, v12, s33
	s_and_b64 s[12:13], s[12:13], exec
	s_or_b64 s[10:11], s[10:11], exec
.LBB189_174:
	s_or_b64 exec, exec, s[14:15]
	s_branch .LBB189_233
.LBB189_175:
	v_cmp_gt_u32_e32 vcc, s7, v21
	s_mov_b64 s[12:13], 0
	s_mov_b64 s[0:1], 0
	s_and_saveexec_b64 s[14:15], vcc
	s_cbranch_execz .LBB189_186
; %bb.176:
	s_andn2_b64 vcc, exec, s[2:3]
	s_mov_b64 s[18:19], 0
	s_cbranch_vccnz .LBB189_185
; %bb.177:
	v_pk_mov_b32 v[14:15], s[28:29], s[28:29] op_sel:[0,1]
	v_mad_u64_u32 v[12:13], s[0:1], v4, s26, v[14:15]
	v_mul_lo_u32 v16, v4, s27
	v_mul_lo_u32 v17, v5, s26
	v_add3_u32 v13, v17, v13, v16
	v_mad_u64_u32 v[14:15], s[0:1], v10, s26, v[14:15]
	v_mul_lo_u32 v16, v10, s27
	v_mul_lo_u32 v17, v11, s26
	v_add3_u32 v15, v17, v15, v16
	global_load_ubyte v16, v[12:13], off
	global_load_ubyte v17, v[14:15], off
	s_mov_b64 s[18:19], -1
	s_waitcnt vmcnt(0)
	v_cmp_eq_u16_e32 vcc, v16, v17
	s_and_saveexec_b64 s[0:1], vcc
	s_cbranch_execz .LBB189_184
; %bb.178:
	s_mov_b64 s[38:39], 1
	s_mov_b64 s[18:19], 0
                                        ; implicit-def: $sgpr36_sgpr37
	s_branch .LBB189_181
.LBB189_179:                            ;   in Loop: Header=BB189_181 Depth=1
	v_mov_b32_e32 v19, s39
	v_add_co_u32_e32 v16, vcc, s38, v12
	v_addc_co_u32_e32 v17, vcc, v13, v19, vcc
	v_add_co_u32_e32 v18, vcc, s38, v14
	v_addc_co_u32_e32 v19, vcc, v15, v19, vcc
	global_load_ubyte v25, v[16:17], off
	global_load_ubyte v26, v[18:19], off
	s_add_u32 s40, s38, 1
	s_addc_u32 s41, s39, 0
	s_andn2_b64 s[36:37], s[36:37], exec
	s_waitcnt vmcnt(0)
	v_cmp_ne_u16_e32 vcc, v25, v26
	s_and_b64 s[42:43], vcc, exec
	s_or_b64 s[36:37], s[36:37], s[42:43]
.LBB189_180:                            ;   in Loop: Header=BB189_181 Depth=1
	s_and_b64 s[42:43], exec, s[36:37]
	s_or_b64 s[18:19], s[42:43], s[18:19]
	v_pk_mov_b32 v[16:17], s[38:39], s[38:39] op_sel:[0,1]
	s_mov_b64 s[38:39], s[40:41]
	s_andn2_b64 exec, exec, s[18:19]
	s_cbranch_execz .LBB189_183
.LBB189_181:                            ; =>This Inner Loop Header: Depth=1
	s_or_b64 s[36:37], s[36:37], exec
	s_cmp_eq_u64 s[26:27], s[38:39]
	s_cbranch_scc0 .LBB189_179
; %bb.182:                              ;   in Loop: Header=BB189_181 Depth=1
                                        ; implicit-def: $sgpr40_sgpr41
	s_mov_b64 s[38:39], s[26:27]
	s_branch .LBB189_180
.LBB189_183:
	s_or_b64 exec, exec, s[18:19]
	v_cmp_gt_i64_e32 vcc, s[26:27], v[16:17]
	s_orn2_b64 s[18:19], vcc, exec
.LBB189_184:
	s_or_b64 exec, exec, s[0:1]
.LBB189_185:
	s_and_b64 s[0:1], s[18:19], exec
.LBB189_186:
	s_or_b64 exec, exec, s[14:15]
	v_cmp_gt_u32_e32 vcc, s7, v23
	s_and_saveexec_b64 s[14:15], vcc
	s_cbranch_execz .LBB189_197
; %bb.187:
	s_andn2_b64 vcc, exec, s[2:3]
	s_mov_b64 s[18:19], 0
	s_cbranch_vccnz .LBB189_196
; %bb.188:
	v_pk_mov_b32 v[14:15], s[28:29], s[28:29] op_sel:[0,1]
	v_mad_u64_u32 v[12:13], s[12:13], v2, s26, v[14:15]
	v_mul_lo_u32 v16, v2, s27
	v_mul_lo_u32 v17, v3, s26
	v_add3_u32 v13, v17, v13, v16
	v_mad_u64_u32 v[14:15], s[12:13], v4, s26, v[14:15]
	v_mul_lo_u32 v16, v4, s27
	v_mul_lo_u32 v17, v5, s26
	v_add3_u32 v15, v17, v15, v16
	global_load_ubyte v16, v[12:13], off
	global_load_ubyte v17, v[14:15], off
	s_mov_b64 s[18:19], -1
	s_waitcnt vmcnt(0)
	v_cmp_eq_u16_e32 vcc, v16, v17
	s_and_saveexec_b64 s[12:13], vcc
	s_cbranch_execz .LBB189_195
; %bb.189:
	s_mov_b64 s[38:39], 1
	s_mov_b64 s[18:19], 0
                                        ; implicit-def: $sgpr36_sgpr37
	s_branch .LBB189_192
.LBB189_190:                            ;   in Loop: Header=BB189_192 Depth=1
	v_mov_b32_e32 v19, s39
	v_add_co_u32_e32 v16, vcc, s38, v12
	v_addc_co_u32_e32 v17, vcc, v13, v19, vcc
	v_add_co_u32_e32 v18, vcc, s38, v14
	v_addc_co_u32_e32 v19, vcc, v15, v19, vcc
	global_load_ubyte v25, v[16:17], off
	global_load_ubyte v26, v[18:19], off
	s_add_u32 s40, s38, 1
	s_addc_u32 s41, s39, 0
	s_andn2_b64 s[36:37], s[36:37], exec
	s_waitcnt vmcnt(0)
	v_cmp_ne_u16_e32 vcc, v25, v26
	s_and_b64 s[42:43], vcc, exec
	s_or_b64 s[36:37], s[36:37], s[42:43]
.LBB189_191:                            ;   in Loop: Header=BB189_192 Depth=1
	s_and_b64 s[42:43], exec, s[36:37]
	s_or_b64 s[18:19], s[42:43], s[18:19]
	v_pk_mov_b32 v[16:17], s[38:39], s[38:39] op_sel:[0,1]
	s_mov_b64 s[38:39], s[40:41]
	s_andn2_b64 exec, exec, s[18:19]
	s_cbranch_execz .LBB189_194
.LBB189_192:                            ; =>This Inner Loop Header: Depth=1
	s_or_b64 s[36:37], s[36:37], exec
	s_cmp_eq_u64 s[26:27], s[38:39]
	s_cbranch_scc0 .LBB189_190
; %bb.193:                              ;   in Loop: Header=BB189_192 Depth=1
                                        ; implicit-def: $sgpr40_sgpr41
	s_mov_b64 s[38:39], s[26:27]
	s_branch .LBB189_191
.LBB189_194:
	s_or_b64 exec, exec, s[18:19]
	v_cmp_gt_i64_e32 vcc, s[26:27], v[16:17]
	s_orn2_b64 s[18:19], vcc, exec
.LBB189_195:
	s_or_b64 exec, exec, s[12:13]
.LBB189_196:
	s_and_b64 s[12:13], s[18:19], exec
.LBB189_197:
	s_or_b64 exec, exec, s[14:15]
	v_cmp_gt_u32_e32 vcc, s7, v20
	s_mov_b64 s[14:15], 0
	s_mov_b64 s[18:19], 0
	s_and_saveexec_b64 s[36:37], vcc
	s_cbranch_execz .LBB189_208
; %bb.198:
	s_andn2_b64 vcc, exec, s[2:3]
	s_mov_b64 s[38:39], 0
	s_cbranch_vccnz .LBB189_207
; %bb.199:
	v_pk_mov_b32 v[14:15], s[28:29], s[28:29] op_sel:[0,1]
	v_mad_u64_u32 v[12:13], s[18:19], v8, s26, v[14:15]
	v_mul_lo_u32 v16, v8, s27
	v_mul_lo_u32 v17, v9, s26
	v_add3_u32 v13, v17, v13, v16
	v_mad_u64_u32 v[14:15], s[18:19], v2, s26, v[14:15]
	v_mul_lo_u32 v16, v2, s27
	v_mul_lo_u32 v17, v3, s26
	v_add3_u32 v15, v17, v15, v16
	global_load_ubyte v16, v[12:13], off
	global_load_ubyte v17, v[14:15], off
	s_mov_b64 s[38:39], -1
	s_waitcnt vmcnt(0)
	v_cmp_eq_u16_e32 vcc, v16, v17
	s_and_saveexec_b64 s[18:19], vcc
	s_cbranch_execz .LBB189_206
; %bb.200:
	s_mov_b64 s[42:43], 1
	s_mov_b64 s[38:39], 0
                                        ; implicit-def: $sgpr40_sgpr41
	s_branch .LBB189_203
.LBB189_201:                            ;   in Loop: Header=BB189_203 Depth=1
	v_mov_b32_e32 v19, s43
	v_add_co_u32_e32 v16, vcc, s42, v12
	v_addc_co_u32_e32 v17, vcc, v13, v19, vcc
	v_add_co_u32_e32 v18, vcc, s42, v14
	v_addc_co_u32_e32 v19, vcc, v15, v19, vcc
	global_load_ubyte v25, v[16:17], off
	global_load_ubyte v26, v[18:19], off
	s_add_u32 s44, s42, 1
	s_addc_u32 s45, s43, 0
	s_andn2_b64 s[40:41], s[40:41], exec
	s_waitcnt vmcnt(0)
	v_cmp_ne_u16_e32 vcc, v25, v26
	s_and_b64 s[46:47], vcc, exec
	s_or_b64 s[40:41], s[40:41], s[46:47]
.LBB189_202:                            ;   in Loop: Header=BB189_203 Depth=1
	s_and_b64 s[46:47], exec, s[40:41]
	s_or_b64 s[38:39], s[46:47], s[38:39]
	v_pk_mov_b32 v[16:17], s[42:43], s[42:43] op_sel:[0,1]
	s_mov_b64 s[42:43], s[44:45]
	s_andn2_b64 exec, exec, s[38:39]
	s_cbranch_execz .LBB189_205
.LBB189_203:                            ; =>This Inner Loop Header: Depth=1
	s_or_b64 s[40:41], s[40:41], exec
	s_cmp_eq_u64 s[26:27], s[42:43]
	s_cbranch_scc0 .LBB189_201
; %bb.204:                              ;   in Loop: Header=BB189_203 Depth=1
                                        ; implicit-def: $sgpr44_sgpr45
	s_mov_b64 s[42:43], s[26:27]
	s_branch .LBB189_202
.LBB189_205:
	s_or_b64 exec, exec, s[38:39]
	v_cmp_gt_i64_e32 vcc, s[26:27], v[16:17]
	s_orn2_b64 s[38:39], vcc, exec
.LBB189_206:
	s_or_b64 exec, exec, s[18:19]
.LBB189_207:
	s_and_b64 s[18:19], s[38:39], exec
.LBB189_208:
	s_or_b64 exec, exec, s[36:37]
	v_cmp_gt_u32_e32 vcc, s7, v22
	s_and_saveexec_b64 s[36:37], vcc
	s_cbranch_execz .LBB189_219
; %bb.209:
	s_andn2_b64 vcc, exec, s[2:3]
	s_mov_b64 s[38:39], 0
	s_cbranch_vccnz .LBB189_218
; %bb.210:
	v_pk_mov_b32 v[14:15], s[28:29], s[28:29] op_sel:[0,1]
	v_mad_u64_u32 v[12:13], s[14:15], v6, s26, v[14:15]
	v_mul_lo_u32 v16, v6, s27
	v_mul_lo_u32 v17, v7, s26
	v_add3_u32 v13, v17, v13, v16
	v_mad_u64_u32 v[14:15], s[14:15], v8, s26, v[14:15]
	v_mul_lo_u32 v16, v8, s27
	v_mul_lo_u32 v17, v9, s26
	v_add3_u32 v15, v17, v15, v16
	global_load_ubyte v16, v[12:13], off
	global_load_ubyte v17, v[14:15], off
	s_mov_b64 s[38:39], -1
	s_waitcnt vmcnt(0)
	v_cmp_eq_u16_e32 vcc, v16, v17
	s_and_saveexec_b64 s[14:15], vcc
	s_cbranch_execz .LBB189_217
; %bb.211:
	s_mov_b64 s[42:43], 1
	s_mov_b64 s[38:39], 0
                                        ; implicit-def: $sgpr40_sgpr41
	s_branch .LBB189_214
.LBB189_212:                            ;   in Loop: Header=BB189_214 Depth=1
	v_mov_b32_e32 v19, s43
	v_add_co_u32_e32 v16, vcc, s42, v12
	v_addc_co_u32_e32 v17, vcc, v13, v19, vcc
	v_add_co_u32_e32 v18, vcc, s42, v14
	v_addc_co_u32_e32 v19, vcc, v15, v19, vcc
	global_load_ubyte v25, v[16:17], off
	global_load_ubyte v26, v[18:19], off
	s_add_u32 s44, s42, 1
	s_addc_u32 s45, s43, 0
	s_andn2_b64 s[40:41], s[40:41], exec
	s_waitcnt vmcnt(0)
	v_cmp_ne_u16_e32 vcc, v25, v26
	s_and_b64 s[46:47], vcc, exec
	s_or_b64 s[40:41], s[40:41], s[46:47]
.LBB189_213:                            ;   in Loop: Header=BB189_214 Depth=1
	s_and_b64 s[46:47], exec, s[40:41]
	s_or_b64 s[38:39], s[46:47], s[38:39]
	v_pk_mov_b32 v[16:17], s[42:43], s[42:43] op_sel:[0,1]
	s_mov_b64 s[42:43], s[44:45]
	s_andn2_b64 exec, exec, s[38:39]
	s_cbranch_execz .LBB189_216
.LBB189_214:                            ; =>This Inner Loop Header: Depth=1
	s_or_b64 s[40:41], s[40:41], exec
	s_cmp_eq_u64 s[26:27], s[42:43]
	s_cbranch_scc0 .LBB189_212
; %bb.215:                              ;   in Loop: Header=BB189_214 Depth=1
                                        ; implicit-def: $sgpr44_sgpr45
	s_mov_b64 s[42:43], s[26:27]
	s_branch .LBB189_213
.LBB189_216:
	s_or_b64 exec, exec, s[38:39]
	v_cmp_gt_i64_e32 vcc, s[26:27], v[16:17]
	s_orn2_b64 s[38:39], vcc, exec
.LBB189_217:
	s_or_b64 exec, exec, s[14:15]
.LBB189_218:
	s_and_b64 s[14:15], s[38:39], exec
.LBB189_219:
	s_or_b64 exec, exec, s[36:37]
	v_cndmask_b32_e64 v13, 0, 1, s[12:13]
	v_cndmask_b32_e64 v14, 0, 1, s[14:15]
	;; [unrolled: 1-line block ×3, first 2 shown]
	v_lshlrev_b16_e32 v14, 8, v14
	v_lshlrev_b16_e32 v13, 8, v13
	v_or_b32_e32 v14, 1, v14
	v_or_b32_sdwa v12, v12, v13 dst_sel:WORD_1 dst_unused:UNUSED_PAD src0_sel:DWORD src1_sel:DWORD
	v_or_b32_sdwa v12, v14, v12 dst_sel:DWORD dst_unused:UNUSED_PAD src0_sel:WORD_0 src1_sel:DWORD
	v_cndmask_b32_e64 v13, 0, 1, s[0:1]
	v_cmp_ne_u32_e32 vcc, 0, v0
	s_waitcnt lgkmcnt(0)
	s_barrier
	s_waitcnt lgkmcnt(0)
                                        ; implicit-def: $sgpr12_sgpr13
                                        ; implicit-def: $vgpr15
	s_and_saveexec_b64 s[0:1], vcc
	s_cbranch_execz .LBB189_232
; %bb.220:
	v_cmp_gt_u32_e32 vcc, s7, v1
	s_mov_b32 s33, 0x3020104
	s_mov_b64 s[14:15], 0
	s_and_saveexec_b64 s[12:13], vcc
	s_cbranch_execz .LBB189_231
; %bb.221:
	s_andn2_b64 vcc, exec, s[2:3]
	s_cbranch_vccnz .LBB189_230
; %bb.222:
	v_add_u32_e32 v14, -8, v24
	ds_read_b64 v[14:15], v14
	v_pk_mov_b32 v[16:17], s[28:29], s[28:29] op_sel:[0,1]
	s_mov_b64 s[14:15], -1
	s_waitcnt lgkmcnt(0)
	v_mul_lo_u32 v18, v14, s27
	v_mul_lo_u32 v19, v15, s26
	v_mad_u64_u32 v[14:15], s[2:3], v14, s26, v[16:17]
	v_add3_u32 v15, v19, v15, v18
	v_mad_u64_u32 v[16:17], s[2:3], v6, s26, v[16:17]
	v_mul_lo_u32 v18, v6, s27
	v_mul_lo_u32 v19, v7, s26
	v_add3_u32 v17, v19, v17, v18
	global_load_ubyte v18, v[14:15], off
	global_load_ubyte v19, v[16:17], off
	s_waitcnt vmcnt(0)
	v_cmp_eq_u16_e32 vcc, v18, v19
	s_and_saveexec_b64 s[2:3], vcc
	s_cbranch_execz .LBB189_229
; %bb.223:
	s_mov_b64 s[28:29], 1
	s_mov_b64 s[14:15], 0
                                        ; implicit-def: $sgpr18_sgpr19
	s_branch .LBB189_226
.LBB189_224:                            ;   in Loop: Header=BB189_226 Depth=1
	v_mov_b32_e32 v25, s29
	v_add_co_u32_e32 v18, vcc, s28, v14
	v_addc_co_u32_e32 v19, vcc, v15, v25, vcc
	v_add_co_u32_e32 v24, vcc, s28, v16
	v_addc_co_u32_e32 v25, vcc, v17, v25, vcc
	global_load_ubyte v26, v[18:19], off
	global_load_ubyte v27, v[24:25], off
	s_add_u32 s36, s28, 1
	s_addc_u32 s37, s29, 0
	s_andn2_b64 s[18:19], s[18:19], exec
	s_waitcnt vmcnt(0)
	v_cmp_ne_u16_e32 vcc, v26, v27
	s_and_b64 s[38:39], vcc, exec
	s_or_b64 s[18:19], s[18:19], s[38:39]
.LBB189_225:                            ;   in Loop: Header=BB189_226 Depth=1
	s_and_b64 s[38:39], exec, s[18:19]
	s_or_b64 s[14:15], s[38:39], s[14:15]
	v_pk_mov_b32 v[18:19], s[28:29], s[28:29] op_sel:[0,1]
	s_mov_b64 s[28:29], s[36:37]
	s_andn2_b64 exec, exec, s[14:15]
	s_cbranch_execz .LBB189_228
.LBB189_226:                            ; =>This Inner Loop Header: Depth=1
	s_or_b64 s[18:19], s[18:19], exec
	s_cmp_eq_u64 s[26:27], s[28:29]
	s_cbranch_scc0 .LBB189_224
; %bb.227:                              ;   in Loop: Header=BB189_226 Depth=1
                                        ; implicit-def: $sgpr36_sgpr37
	s_mov_b64 s[28:29], s[26:27]
	s_branch .LBB189_225
.LBB189_228:
	s_or_b64 exec, exec, s[14:15]
	v_cmp_gt_i64_e32 vcc, s[26:27], v[18:19]
	s_orn2_b64 s[14:15], vcc, exec
.LBB189_229:
	s_or_b64 exec, exec, s[2:3]
.LBB189_230:
	s_and_b64 s[14:15], s[14:15], exec
.LBB189_231:
	s_or_b64 exec, exec, s[12:13]
	v_perm_b32 v15, v12, v12, s33
	s_and_b64 s[12:13], s[14:15], exec
	s_or_b64 s[10:11], s[10:11], exec
.LBB189_232:
	s_or_b64 exec, exec, s[0:1]
.LBB189_233:
	s_and_saveexec_b64 s[0:1], s[10:11]
	s_cbranch_execz .LBB189_235
; %bb.234:
	v_lshrrev_b32_e32 v14, 24, v15
	s_waitcnt lgkmcnt(0)
	s_movk_i32 s2, 0xff
	v_lshlrev_b16_e32 v14, 8, v14
	v_and_b32_sdwa v16, v15, s2 dst_sel:DWORD dst_unused:UNUSED_PAD src0_sel:WORD_1 src1_sel:DWORD
	v_or_b32_sdwa v14, v16, v14 dst_sel:WORD_1 dst_unused:UNUSED_PAD src0_sel:DWORD src1_sel:DWORD
	v_mov_b32_e32 v16, 8
	v_cndmask_b32_e64 v12, 0, 1, s[12:13]
	v_lshrrev_b32_sdwa v15, v16, v15 dst_sel:BYTE_1 dst_unused:UNUSED_PAD src0_sel:DWORD src1_sel:DWORD
	v_or_b32_e32 v12, v12, v15
	s_mov_b32 s2, 0xffff
	v_or_b32_sdwa v12, v12, v14 dst_sel:DWORD dst_unused:UNUSED_PAD src0_sel:WORD_0 src1_sel:DWORD
	v_and_b32_sdwa v13, s2, v13 dst_sel:DWORD dst_unused:UNUSED_PAD src0_sel:DWORD src1_sel:BYTE_0
.LBB189_235:
	s_or_b64 exec, exec, s[0:1]
	s_andn2_b64 vcc, exec, s[8:9]
	s_cbranch_vccnz .LBB189_237
; %bb.236:
	v_cmp_gt_u32_e32 vcc, s7, v1
	v_cndmask_b32_e32 v1, 0, v12, vcc
	v_and_b32_e32 v1, 0xffff00ff, v1
	v_cmp_gt_u32_e64 s[0:1], s7, v22
	v_cndmask_b32_e64 v1, v1, v12, s[0:1]
	v_lshrrev_b32_e32 v14, 24, v1
	s_waitcnt lgkmcnt(0)
	s_mov_b32 s2, 0x40c0100
	v_perm_b32 v1, v14, v1, s2
	v_cmp_gt_u32_e64 s[2:3], s7, v20
	v_cmp_gt_u32_e64 s[8:9], s7, v23
	v_cndmask_b32_e64 v1, v1, v12, s[2:3]
	s_or_b64 s[2:3], s[8:9], s[2:3]
	s_or_b64 s[0:1], s[2:3], s[0:1]
	s_or_b64 vcc, s[0:1], vcc
	v_and_b32_e32 v1, 0xffffff, v1
	v_cndmask_b32_e32 v14, 0, v13, vcc
	v_cndmask_b32_e64 v1, v1, v12, s[8:9]
	v_and_b32_e32 v14, 0xffffff00, v14
	v_cmp_gt_u32_e32 vcc, s7, v21
	v_cndmask_b32_e32 v1, v1, v12, vcc
	v_cndmask_b32_e32 v12, v14, v13, vcc
	s_mov_b32 s0, 0x3020104
	v_and_b32_e32 v13, 0xff, v12
	v_perm_b32 v12, v1, v1, s0
.LBB189_237:
	v_and_b32_e32 v1, 0xff, v12
	v_bfe_u32 v25, v12, 8, 8
	v_bfe_u32 v27, v12, 16, 8
	v_alignbit_b32 v14, v13, v12, 24
	v_and_b32_e32 v28, 0xff, v14
	v_and_b32_e32 v14, 0xff, v13
	v_add3_u32 v15, v25, v1, v27
	v_add3_u32 v31, v15, v28, v14
	v_mbcnt_lo_u32_b32 v14, -1, 0
	v_mbcnt_hi_u32_b32 v29, -1, v14
	v_and_b32_e32 v14, 15, v29
	v_cmp_eq_u32_e64 s[14:15], 0, v14
	v_cmp_lt_u32_e64 s[12:13], 1, v14
	v_cmp_lt_u32_e64 s[10:11], 3, v14
	;; [unrolled: 1-line block ×3, first 2 shown]
	v_and_b32_e32 v14, 16, v29
	v_cmp_eq_u32_e64 s[18:19], 0, v14
	v_or_b32_e32 v14, 63, v0
	v_cmp_lt_u32_e64 s[0:1], 31, v29
	v_lshrrev_b32_e32 v30, 6, v0
	s_waitcnt lgkmcnt(0)
	v_cmp_eq_u32_e64 s[2:3], v14, v0
	s_and_b64 vcc, exec, s[16:17]
	s_barrier
	s_cbranch_vccz .LBB189_268
; %bb.238:
	v_mov_b32_dpp v14, v31 row_shr:1 row_mask:0xf bank_mask:0xf
	v_cndmask_b32_e64 v14, v14, 0, s[14:15]
	v_add_u32_e32 v14, v14, v31
	s_nop 1
	v_mov_b32_dpp v15, v14 row_shr:2 row_mask:0xf bank_mask:0xf
	v_cndmask_b32_e64 v15, 0, v15, s[12:13]
	v_add_u32_e32 v14, v14, v15
	s_nop 1
	;; [unrolled: 4-line block ×4, first 2 shown]
	v_mov_b32_dpp v15, v14 row_bcast:15 row_mask:0xf bank_mask:0xf
	v_cndmask_b32_e64 v15, v15, 0, s[18:19]
	v_add_u32_e32 v14, v14, v15
	s_nop 1
	v_mov_b32_dpp v15, v14 row_bcast:31 row_mask:0xf bank_mask:0xf
	v_cndmask_b32_e64 v15, 0, v15, s[0:1]
	v_add_u32_e32 v14, v14, v15
	s_and_saveexec_b64 s[16:17], s[2:3]
	s_cbranch_execz .LBB189_240
; %bb.239:
	v_lshlrev_b32_e32 v15, 2, v30
	ds_write_b32 v15, v14
.LBB189_240:
	s_or_b64 exec, exec, s[16:17]
	v_cmp_gt_u32_e32 vcc, 4, v0
	s_waitcnt lgkmcnt(0)
	s_barrier
	s_and_saveexec_b64 s[16:17], vcc
	s_cbranch_execz .LBB189_242
; %bb.241:
	v_lshlrev_b32_e32 v15, 2, v0
	ds_read_b32 v16, v15
	v_and_b32_e32 v17, 3, v29
	v_cmp_ne_u32_e32 vcc, 0, v17
	s_waitcnt lgkmcnt(0)
	v_mov_b32_dpp v18, v16 row_shr:1 row_mask:0xf bank_mask:0xf
	v_cndmask_b32_e32 v18, 0, v18, vcc
	v_add_u32_e32 v16, v18, v16
	v_cmp_lt_u32_e32 vcc, 1, v17
	s_nop 0
	v_mov_b32_dpp v18, v16 row_shr:2 row_mask:0xf bank_mask:0xf
	v_cndmask_b32_e32 v17, 0, v18, vcc
	v_add_u32_e32 v16, v16, v17
	ds_write_b32 v15, v16
.LBB189_242:
	s_or_b64 exec, exec, s[16:17]
	v_cmp_gt_u32_e32 vcc, 64, v0
	v_cmp_lt_u32_e64 s[16:17], 63, v0
	s_waitcnt lgkmcnt(0)
	s_barrier
	s_waitcnt lgkmcnt(0)
                                        ; implicit-def: $vgpr24
	s_and_saveexec_b64 s[26:27], s[16:17]
	s_cbranch_execz .LBB189_244
; %bb.243:
	v_lshl_add_u32 v15, v30, 2, -4
	ds_read_b32 v24, v15
	s_waitcnt lgkmcnt(0)
	v_add_u32_e32 v14, v24, v14
.LBB189_244:
	s_or_b64 exec, exec, s[26:27]
	v_add_u32_e32 v15, -1, v29
	v_and_b32_e32 v16, 64, v29
	v_cmp_lt_i32_e64 s[16:17], v15, v16
	v_cndmask_b32_e64 v15, v15, v29, s[16:17]
	v_lshlrev_b32_e32 v15, 2, v15
	ds_bpermute_b32 v26, v15, v14
	v_cmp_eq_u32_e64 s[16:17], 0, v29
	s_and_saveexec_b64 s[26:27], vcc
	s_cbranch_execz .LBB189_267
; %bb.245:
	v_mov_b32_e32 v23, 0
	ds_read_b32 v14, v23 offset:12
	s_and_saveexec_b64 s[28:29], s[16:17]
	s_cbranch_execz .LBB189_247
; %bb.246:
	s_add_i32 s36, s6, 64
	s_mov_b32 s37, 0
	s_lshl_b64 s[36:37], s[36:37], 3
	s_add_u32 s36, s30, s36
	v_mov_b32_e32 v15, 1
	s_addc_u32 s37, s31, s37
	s_waitcnt lgkmcnt(0)
	global_store_dwordx2 v23, v[14:15], s[36:37]
.LBB189_247:
	s_or_b64 exec, exec, s[28:29]
	v_xad_u32 v16, v29, -1, s6
	v_add_u32_e32 v22, 64, v16
	v_lshlrev_b64 v[18:19], 3, v[22:23]
	v_mov_b32_e32 v15, s31
	v_add_co_u32_e32 v18, vcc, s30, v18
	v_addc_co_u32_e32 v19, vcc, v15, v19, vcc
	global_load_dwordx2 v[20:21], v[18:19], off glc
	s_waitcnt vmcnt(0)
	v_cmp_eq_u16_sdwa s[36:37], v21, v23 src0_sel:BYTE_0 src1_sel:DWORD
	s_and_saveexec_b64 s[28:29], s[36:37]
	s_cbranch_execz .LBB189_253
; %bb.248:
	s_mov_b32 s7, 1
	s_mov_b64 s[36:37], 0
	v_mov_b32_e32 v15, 0
.LBB189_249:                            ; =>This Loop Header: Depth=1
                                        ;     Child Loop BB189_250 Depth 2
	s_max_u32 s33, s7, 1
.LBB189_250:                            ;   Parent Loop BB189_249 Depth=1
                                        ; =>  This Inner Loop Header: Depth=2
	s_add_i32 s33, s33, -1
	s_cmp_eq_u32 s33, 0
	s_sleep 1
	s_cbranch_scc0 .LBB189_250
; %bb.251:                              ;   in Loop: Header=BB189_249 Depth=1
	global_load_dwordx2 v[20:21], v[18:19], off glc
	s_cmp_lt_u32 s7, 32
	s_cselect_b64 s[38:39], -1, 0
	s_cmp_lg_u64 s[38:39], 0
	s_addc_u32 s7, s7, 0
	s_waitcnt vmcnt(0)
	v_cmp_ne_u16_sdwa s[38:39], v21, v15 src0_sel:BYTE_0 src1_sel:DWORD
	s_or_b64 s[36:37], s[38:39], s[36:37]
	s_andn2_b64 exec, exec, s[36:37]
	s_cbranch_execnz .LBB189_249
; %bb.252:
	s_or_b64 exec, exec, s[36:37]
.LBB189_253:
	s_or_b64 exec, exec, s[28:29]
	v_and_b32_e32 v32, 63, v29
	v_mov_b32_e32 v15, 2
	v_cmp_ne_u32_e32 vcc, 63, v32
	v_cmp_eq_u16_sdwa s[28:29], v21, v15 src0_sel:BYTE_0 src1_sel:DWORD
	v_lshlrev_b64 v[18:19], v29, -1
	v_addc_co_u32_e32 v23, vcc, 0, v29, vcc
	v_and_b32_e32 v17, s29, v19
	v_lshlrev_b32_e32 v33, 2, v23
	v_or_b32_e32 v17, 0x80000000, v17
	ds_bpermute_b32 v23, v33, v20
	v_and_b32_e32 v22, s28, v18
	v_ffbl_b32_e32 v17, v17
	v_add_u32_e32 v17, 32, v17
	v_ffbl_b32_e32 v22, v22
	v_min_u32_e32 v17, v22, v17
	v_cmp_lt_u32_e32 vcc, v32, v17
	s_waitcnt lgkmcnt(0)
	v_cndmask_b32_e32 v22, 0, v23, vcc
	v_cmp_gt_u32_e32 vcc, 62, v32
	v_add_u32_e32 v20, v22, v20
	v_cndmask_b32_e64 v22, 0, 1, vcc
	v_lshlrev_b32_e32 v22, 1, v22
	v_add_lshl_u32 v34, v22, v29, 2
	ds_bpermute_b32 v22, v34, v20
	v_add_u32_e32 v35, 2, v32
	v_cmp_le_u32_e32 vcc, v35, v17
	v_add_u32_e32 v37, 4, v32
	v_add_u32_e32 v39, 8, v32
	s_waitcnt lgkmcnt(0)
	v_cndmask_b32_e32 v22, 0, v22, vcc
	v_cmp_gt_u32_e32 vcc, 60, v32
	v_add_u32_e32 v20, v20, v22
	v_cndmask_b32_e64 v22, 0, 1, vcc
	v_lshlrev_b32_e32 v22, 2, v22
	v_add_lshl_u32 v36, v22, v29, 2
	ds_bpermute_b32 v22, v36, v20
	v_cmp_le_u32_e32 vcc, v37, v17
	v_add_u32_e32 v42, 16, v32
	v_add_u32_e32 v44, 32, v32
	s_waitcnt lgkmcnt(0)
	v_cndmask_b32_e32 v22, 0, v22, vcc
	v_cmp_gt_u32_e32 vcc, 56, v32
	v_add_u32_e32 v20, v20, v22
	v_cndmask_b32_e64 v22, 0, 1, vcc
	v_lshlrev_b32_e32 v22, 3, v22
	v_add_lshl_u32 v38, v22, v29, 2
	ds_bpermute_b32 v22, v38, v20
	v_cmp_le_u32_e32 vcc, v39, v17
	s_waitcnt lgkmcnt(0)
	v_cndmask_b32_e32 v22, 0, v22, vcc
	v_cmp_gt_u32_e32 vcc, 48, v32
	v_add_u32_e32 v20, v20, v22
	v_cndmask_b32_e64 v22, 0, 1, vcc
	v_lshlrev_b32_e32 v22, 4, v22
	v_add_lshl_u32 v41, v22, v29, 2
	ds_bpermute_b32 v22, v41, v20
	v_cmp_le_u32_e32 vcc, v42, v17
	;; [unrolled: 9-line block ×3, first 2 shown]
	s_waitcnt lgkmcnt(0)
	v_cndmask_b32_e32 v17, 0, v22, vcc
	v_add_u32_e32 v20, v20, v17
	v_mov_b32_e32 v17, 0
	s_branch .LBB189_255
.LBB189_254:                            ;   in Loop: Header=BB189_255 Depth=1
	s_or_b64 exec, exec, s[28:29]
	v_cmp_eq_u16_sdwa s[28:29], v21, v15 src0_sel:BYTE_0 src1_sel:DWORD
	v_and_b32_e32 v22, s29, v19
	v_or_b32_e32 v22, 0x80000000, v22
	ds_bpermute_b32 v45, v33, v20
	v_and_b32_e32 v23, s28, v18
	v_ffbl_b32_e32 v22, v22
	v_add_u32_e32 v22, 32, v22
	v_ffbl_b32_e32 v23, v23
	v_min_u32_e32 v22, v23, v22
	v_cmp_lt_u32_e32 vcc, v32, v22
	s_waitcnt lgkmcnt(0)
	v_cndmask_b32_e32 v23, 0, v45, vcc
	v_add_u32_e32 v20, v23, v20
	ds_bpermute_b32 v23, v34, v20
	v_cmp_le_u32_e32 vcc, v35, v22
	v_subrev_u32_e32 v16, 64, v16
	s_waitcnt lgkmcnt(0)
	v_cndmask_b32_e32 v23, 0, v23, vcc
	v_add_u32_e32 v20, v20, v23
	ds_bpermute_b32 v23, v36, v20
	v_cmp_le_u32_e32 vcc, v37, v22
	s_waitcnt lgkmcnt(0)
	v_cndmask_b32_e32 v23, 0, v23, vcc
	v_add_u32_e32 v20, v20, v23
	ds_bpermute_b32 v23, v38, v20
	v_cmp_le_u32_e32 vcc, v39, v22
	;; [unrolled: 5-line block ×4, first 2 shown]
	s_waitcnt lgkmcnt(0)
	v_cndmask_b32_e32 v22, 0, v23, vcc
	v_add3_u32 v20, v22, v40, v20
.LBB189_255:                            ; =>This Loop Header: Depth=1
                                        ;     Child Loop BB189_258 Depth 2
                                        ;       Child Loop BB189_259 Depth 3
	v_cmp_ne_u16_sdwa s[28:29], v21, v15 src0_sel:BYTE_0 src1_sel:DWORD
	v_cndmask_b32_e64 v21, 0, 1, s[28:29]
	;;#ASMSTART
	;;#ASMEND
	v_cmp_ne_u32_e32 vcc, 0, v21
	s_cmp_lg_u64 vcc, exec
	v_mov_b32_e32 v40, v20
	s_cbranch_scc1 .LBB189_262
; %bb.256:                              ;   in Loop: Header=BB189_255 Depth=1
	v_lshlrev_b64 v[20:21], 3, v[16:17]
	v_mov_b32_e32 v23, s31
	v_add_co_u32_e32 v22, vcc, s30, v20
	v_addc_co_u32_e32 v23, vcc, v23, v21, vcc
	global_load_dwordx2 v[20:21], v[22:23], off glc
	s_waitcnt vmcnt(0)
	v_cmp_eq_u16_sdwa s[36:37], v21, v17 src0_sel:BYTE_0 src1_sel:DWORD
	s_and_saveexec_b64 s[28:29], s[36:37]
	s_cbranch_execz .LBB189_254
; %bb.257:                              ;   in Loop: Header=BB189_255 Depth=1
	s_mov_b32 s7, 1
	s_mov_b64 s[36:37], 0
.LBB189_258:                            ;   Parent Loop BB189_255 Depth=1
                                        ; =>  This Loop Header: Depth=2
                                        ;       Child Loop BB189_259 Depth 3
	s_max_u32 s33, s7, 1
.LBB189_259:                            ;   Parent Loop BB189_255 Depth=1
                                        ;     Parent Loop BB189_258 Depth=2
                                        ; =>    This Inner Loop Header: Depth=3
	s_add_i32 s33, s33, -1
	s_cmp_eq_u32 s33, 0
	s_sleep 1
	s_cbranch_scc0 .LBB189_259
; %bb.260:                              ;   in Loop: Header=BB189_258 Depth=2
	global_load_dwordx2 v[20:21], v[22:23], off glc
	s_cmp_lt_u32 s7, 32
	s_cselect_b64 s[38:39], -1, 0
	s_cmp_lg_u64 s[38:39], 0
	s_addc_u32 s7, s7, 0
	s_waitcnt vmcnt(0)
	v_cmp_ne_u16_sdwa s[38:39], v21, v17 src0_sel:BYTE_0 src1_sel:DWORD
	s_or_b64 s[36:37], s[38:39], s[36:37]
	s_andn2_b64 exec, exec, s[36:37]
	s_cbranch_execnz .LBB189_258
; %bb.261:                              ;   in Loop: Header=BB189_255 Depth=1
	s_or_b64 exec, exec, s[36:37]
	s_branch .LBB189_254
.LBB189_262:                            ;   in Loop: Header=BB189_255 Depth=1
                                        ; implicit-def: $vgpr20
                                        ; implicit-def: $vgpr21
	s_cbranch_execz .LBB189_255
; %bb.263:
	s_and_saveexec_b64 s[28:29], s[16:17]
	s_cbranch_execz .LBB189_265
; %bb.264:
	s_add_i32 s6, s6, 64
	s_mov_b32 s7, 0
	s_lshl_b64 s[6:7], s[6:7], 3
	s_add_u32 s6, s30, s6
	v_add_u32_e32 v16, v40, v14
	v_mov_b32_e32 v17, 2
	s_addc_u32 s7, s31, s7
	v_mov_b32_e32 v15, 0
	global_store_dwordx2 v15, v[16:17], s[6:7]
	s_movk_i32 s6, 0x2800
	v_add_u32_e64 v15, s6, 0
	ds_write2_b32 v15, v14, v40 offset1:2
.LBB189_265:
	s_or_b64 exec, exec, s[28:29]
	v_cmp_eq_u32_e32 vcc, 0, v0
	s_and_b64 exec, exec, vcc
	s_cbranch_execz .LBB189_267
; %bb.266:
	v_mov_b32_e32 v14, 0
	ds_write_b32 v14, v40 offset:12
.LBB189_267:
	s_or_b64 exec, exec, s[26:27]
	v_mov_b32_e32 v14, 0
	s_waitcnt lgkmcnt(0)
	s_barrier
	ds_read_b32 v14, v14 offset:12
	v_cndmask_b32_e64 v15, v26, v24, s[16:17]
	v_cmp_ne_u32_e32 vcc, 0, v0
	v_cndmask_b32_e32 v15, 0, v15, vcc
	s_movk_i32 s6, 0x2800
	s_waitcnt lgkmcnt(0)
	v_add_u32_e32 v26, v14, v15
	v_add_u32_e64 v14, s6, 0
	s_barrier
	ds_read2_b32 v[14:15], v14 offset1:2
	v_add_u32_e32 v24, v26, v1
	v_add_u32_e32 v22, v24, v25
	;; [unrolled: 1-line block ×4, first 2 shown]
	s_load_dwordx2 s[4:5], s[4:5], 0x28
	v_lshrrev_b64 v[16:17], 24, v[12:13]
	s_branch .LBB189_278
.LBB189_268:
                                        ; implicit-def: $vgpr18
                                        ; implicit-def: $vgpr20
                                        ; implicit-def: $vgpr22
                                        ; implicit-def: $vgpr24
                                        ; implicit-def: $vgpr26
                                        ; implicit-def: $vgpr15
	s_load_dwordx2 s[4:5], s[4:5], 0x28
	v_lshrrev_b64 v[16:17], 24, v[12:13]
	s_cbranch_execz .LBB189_278
; %bb.269:
	s_waitcnt lgkmcnt(0)
	v_mov_b32_dpp v14, v31 row_shr:1 row_mask:0xf bank_mask:0xf
	v_cndmask_b32_e64 v14, v14, 0, s[14:15]
	v_add_u32_e32 v14, v14, v31
	s_nop 1
	v_mov_b32_dpp v15, v14 row_shr:2 row_mask:0xf bank_mask:0xf
	v_cndmask_b32_e64 v15, 0, v15, s[12:13]
	v_add_u32_e32 v14, v14, v15
	s_nop 1
	v_mov_b32_dpp v15, v14 row_shr:4 row_mask:0xf bank_mask:0xf
	v_cndmask_b32_e64 v15, 0, v15, s[10:11]
	v_add_u32_e32 v14, v14, v15
	s_nop 1
	v_mov_b32_dpp v15, v14 row_shr:8 row_mask:0xf bank_mask:0xf
	v_cndmask_b32_e64 v15, 0, v15, s[8:9]
	v_add_u32_e32 v14, v14, v15
	s_nop 1
	v_mov_b32_dpp v15, v14 row_bcast:15 row_mask:0xf bank_mask:0xf
	v_cndmask_b32_e64 v15, v15, 0, s[18:19]
	v_add_u32_e32 v14, v14, v15
	s_nop 1
	v_mov_b32_dpp v15, v14 row_bcast:31 row_mask:0xf bank_mask:0xf
	v_cndmask_b32_e64 v15, 0, v15, s[0:1]
	v_add_u32_e32 v14, v14, v15
	s_and_saveexec_b64 s[0:1], s[2:3]
	s_cbranch_execz .LBB189_271
; %bb.270:
	v_lshlrev_b32_e32 v15, 2, v30
	ds_write_b32 v15, v14
.LBB189_271:
	s_or_b64 exec, exec, s[0:1]
	v_cmp_gt_u32_e32 vcc, 4, v0
	s_waitcnt lgkmcnt(0)
	s_barrier
	s_and_saveexec_b64 s[0:1], vcc
	s_cbranch_execz .LBB189_273
; %bb.272:
	v_lshlrev_b32_e32 v15, 2, v0
	ds_read_b32 v17, v15
	v_and_b32_e32 v18, 3, v29
	v_cmp_ne_u32_e32 vcc, 0, v18
	s_waitcnt lgkmcnt(0)
	v_mov_b32_dpp v19, v17 row_shr:1 row_mask:0xf bank_mask:0xf
	v_cndmask_b32_e32 v19, 0, v19, vcc
	v_add_u32_e32 v17, v19, v17
	v_cmp_lt_u32_e32 vcc, 1, v18
	s_nop 0
	v_mov_b32_dpp v19, v17 row_shr:2 row_mask:0xf bank_mask:0xf
	v_cndmask_b32_e32 v18, 0, v19, vcc
	v_add_u32_e32 v17, v17, v18
	ds_write_b32 v15, v17
.LBB189_273:
	s_or_b64 exec, exec, s[0:1]
	v_cmp_lt_u32_e32 vcc, 63, v0
	v_mov_b32_e32 v15, 0
	v_mov_b32_e32 v17, 0
	s_waitcnt lgkmcnt(0)
	s_barrier
	s_and_saveexec_b64 s[0:1], vcc
	s_cbranch_execz .LBB189_275
; %bb.274:
	v_lshl_add_u32 v17, v30, 2, -4
	ds_read_b32 v17, v17
.LBB189_275:
	s_or_b64 exec, exec, s[0:1]
	v_add_u32_e32 v18, -1, v29
	v_and_b32_e32 v19, 64, v29
	v_cmp_lt_i32_e32 vcc, v18, v19
	v_cndmask_b32_e32 v18, v18, v29, vcc
	s_waitcnt lgkmcnt(0)
	v_add_u32_e32 v14, v17, v14
	v_lshlrev_b32_e32 v18, 2, v18
	ds_bpermute_b32 v18, v18, v14
	ds_read_b32 v14, v15 offset:12
	v_cmp_eq_u32_e32 vcc, 0, v0
	s_and_saveexec_b64 s[0:1], vcc
	s_cbranch_execz .LBB189_277
; %bb.276:
	v_mov_b32_e32 v19, 0
	v_mov_b32_e32 v15, 2
	s_waitcnt lgkmcnt(0)
	global_store_dwordx2 v19, v[14:15], s[30:31] offset:512
.LBB189_277:
	s_or_b64 exec, exec, s[0:1]
	v_cmp_eq_u32_e64 s[0:1], 0, v29
	s_waitcnt lgkmcnt(1)
	v_cndmask_b32_e64 v17, v18, v17, s[0:1]
	v_cndmask_b32_e64 v26, v17, 0, vcc
	v_add_u32_e32 v24, v26, v1
	v_add_u32_e32 v22, v24, v25
	;; [unrolled: 1-line block ×3, first 2 shown]
	v_mov_b32_e32 v15, 0
	v_add_u32_e32 v18, v20, v28
	s_waitcnt lgkmcnt(0)
	s_barrier
.LBB189_278:
	s_movk_i32 s0, 0x101
	s_waitcnt lgkmcnt(0)
	v_cmp_gt_u32_e32 vcc, s0, v14
	v_lshrrev_b32_e32 v1, 8, v12
	s_mov_b64 s[0:1], -1
	s_cbranch_vccnz .LBB189_282
; %bb.279:
	s_and_b64 vcc, exec, s[0:1]
	s_cbranch_vccnz .LBB189_298
.LBB189_280:
	v_cmp_eq_u32_e32 vcc, 0, v0
	s_and_b64 s[0:1], vcc, s[24:25]
	s_and_saveexec_b64 s[2:3], s[0:1]
	s_cbranch_execnz .LBB189_312
.LBB189_281:
	s_endpgm
.LBB189_282:
	v_add_u32_e32 v17, v15, v14
	v_cmp_lt_u32_e32 vcc, v26, v17
	s_or_b64 s[2:3], s[34:35], vcc
	s_and_saveexec_b64 s[0:1], s[2:3]
	s_cbranch_execz .LBB189_285
; %bb.283:
	v_and_b32_e32 v19, 1, v12
	v_cmp_eq_u32_e32 vcc, 1, v19
	s_and_b64 exec, exec, vcc
	s_cbranch_execz .LBB189_285
; %bb.284:
	s_lshl_b64 s[2:3], s[22:23], 3
	s_add_u32 s2, s4, s2
	v_mov_b32_e32 v27, 0
	s_addc_u32 s3, s5, s3
	v_lshlrev_b64 v[28:29], 3, v[26:27]
	v_mov_b32_e32 v19, s3
	v_add_co_u32_e32 v28, vcc, s2, v28
	v_addc_co_u32_e32 v29, vcc, v19, v29, vcc
	global_store_dwordx2 v[28:29], v[6:7], off
.LBB189_285:
	s_or_b64 exec, exec, s[0:1]
	v_cmp_lt_u32_e32 vcc, v24, v17
	s_or_b64 s[2:3], s[34:35], vcc
	s_and_saveexec_b64 s[0:1], s[2:3]
	s_cbranch_execz .LBB189_288
; %bb.286:
	v_and_b32_e32 v19, 1, v1
	v_cmp_eq_u32_e32 vcc, 1, v19
	s_and_b64 exec, exec, vcc
	s_cbranch_execz .LBB189_288
; %bb.287:
	s_lshl_b64 s[2:3], s[22:23], 3
	s_add_u32 s2, s4, s2
	v_mov_b32_e32 v25, 0
	s_addc_u32 s3, s5, s3
	v_lshlrev_b64 v[28:29], 3, v[24:25]
	v_mov_b32_e32 v19, s3
	v_add_co_u32_e32 v28, vcc, s2, v28
	v_addc_co_u32_e32 v29, vcc, v19, v29, vcc
	global_store_dwordx2 v[28:29], v[8:9], off
.LBB189_288:
	s_or_b64 exec, exec, s[0:1]
	v_cmp_lt_u32_e32 vcc, v22, v17
	s_or_b64 s[2:3], s[34:35], vcc
	s_and_saveexec_b64 s[0:1], s[2:3]
	s_cbranch_execz .LBB189_291
; %bb.289:
	v_mov_b32_e32 v19, 1
	v_and_b32_sdwa v19, v19, v12 dst_sel:DWORD dst_unused:UNUSED_PAD src0_sel:DWORD src1_sel:WORD_1
	v_cmp_eq_u32_e32 vcc, 1, v19
	s_and_b64 exec, exec, vcc
	s_cbranch_execz .LBB189_291
; %bb.290:
	s_lshl_b64 s[2:3], s[22:23], 3
	s_add_u32 s2, s4, s2
	v_mov_b32_e32 v23, 0
	s_addc_u32 s3, s5, s3
	v_lshlrev_b64 v[28:29], 3, v[22:23]
	v_mov_b32_e32 v19, s3
	v_add_co_u32_e32 v28, vcc, s2, v28
	v_addc_co_u32_e32 v29, vcc, v19, v29, vcc
	global_store_dwordx2 v[28:29], v[2:3], off
.LBB189_291:
	s_or_b64 exec, exec, s[0:1]
	v_cmp_lt_u32_e32 vcc, v20, v17
	s_or_b64 s[2:3], s[34:35], vcc
	s_and_saveexec_b64 s[0:1], s[2:3]
	s_cbranch_execz .LBB189_294
; %bb.292:
	v_and_b32_e32 v19, 1, v16
	v_cmp_eq_u32_e32 vcc, 1, v19
	s_and_b64 exec, exec, vcc
	s_cbranch_execz .LBB189_294
; %bb.293:
	s_lshl_b64 s[2:3], s[22:23], 3
	s_add_u32 s2, s4, s2
	v_mov_b32_e32 v21, 0
	s_addc_u32 s3, s5, s3
	v_lshlrev_b64 v[28:29], 3, v[20:21]
	v_mov_b32_e32 v19, s3
	v_add_co_u32_e32 v28, vcc, s2, v28
	v_addc_co_u32_e32 v29, vcc, v19, v29, vcc
	global_store_dwordx2 v[28:29], v[4:5], off
.LBB189_294:
	s_or_b64 exec, exec, s[0:1]
	v_cmp_lt_u32_e32 vcc, v18, v17
	s_or_b64 s[2:3], s[34:35], vcc
	s_and_saveexec_b64 s[0:1], s[2:3]
	s_cbranch_execz .LBB189_297
; %bb.295:
	v_and_b32_e32 v17, 1, v13
	v_cmp_eq_u32_e32 vcc, 1, v17
	s_and_b64 exec, exec, vcc
	s_cbranch_execz .LBB189_297
; %bb.296:
	s_lshl_b64 s[2:3], s[22:23], 3
	s_add_u32 s2, s4, s2
	v_mov_b32_e32 v19, 0
	s_addc_u32 s3, s5, s3
	v_lshlrev_b64 v[28:29], 3, v[18:19]
	v_mov_b32_e32 v17, s3
	v_add_co_u32_e32 v28, vcc, s2, v28
	v_addc_co_u32_e32 v29, vcc, v17, v29, vcc
	global_store_dwordx2 v[28:29], v[10:11], off
.LBB189_297:
	s_or_b64 exec, exec, s[0:1]
	s_branch .LBB189_280
.LBB189_298:
	v_and_b32_e32 v17, 1, v12
	v_cmp_eq_u32_e32 vcc, 1, v17
	s_and_saveexec_b64 s[0:1], vcc
	s_cbranch_execz .LBB189_300
; %bb.299:
	v_sub_u32_e32 v17, v26, v15
	v_lshlrev_b32_e32 v17, 3, v17
	ds_write_b64 v17, v[6:7]
.LBB189_300:
	s_or_b64 exec, exec, s[0:1]
	v_and_b32_e32 v1, 1, v1
	v_cmp_eq_u32_e32 vcc, 1, v1
	s_and_saveexec_b64 s[0:1], vcc
	s_cbranch_execz .LBB189_302
; %bb.301:
	v_sub_u32_e32 v1, v24, v15
	v_lshlrev_b32_e32 v1, 3, v1
	ds_write_b64 v1, v[8:9]
.LBB189_302:
	s_or_b64 exec, exec, s[0:1]
	v_mov_b32_e32 v1, 1
	v_and_b32_sdwa v1, v1, v12 dst_sel:DWORD dst_unused:UNUSED_PAD src0_sel:DWORD src1_sel:WORD_1
	v_cmp_eq_u32_e32 vcc, 1, v1
	s_and_saveexec_b64 s[0:1], vcc
	s_cbranch_execz .LBB189_304
; %bb.303:
	v_sub_u32_e32 v1, v22, v15
	v_lshlrev_b32_e32 v1, 3, v1
	ds_write_b64 v1, v[2:3]
.LBB189_304:
	s_or_b64 exec, exec, s[0:1]
	v_and_b32_e32 v1, 1, v16
	v_cmp_eq_u32_e32 vcc, 1, v1
	s_and_saveexec_b64 s[0:1], vcc
	s_cbranch_execz .LBB189_306
; %bb.305:
	v_sub_u32_e32 v1, v20, v15
	v_lshlrev_b32_e32 v1, 3, v1
	ds_write_b64 v1, v[4:5]
.LBB189_306:
	s_or_b64 exec, exec, s[0:1]
	v_and_b32_e32 v1, 1, v13
	v_cmp_eq_u32_e32 vcc, 1, v1
	s_and_saveexec_b64 s[0:1], vcc
	s_cbranch_execz .LBB189_308
; %bb.307:
	v_sub_u32_e32 v1, v18, v15
	v_lshlrev_b32_e32 v1, 3, v1
	ds_write_b64 v1, v[10:11]
.LBB189_308:
	s_or_b64 exec, exec, s[0:1]
	v_cmp_lt_u32_e32 vcc, v0, v14
	s_waitcnt lgkmcnt(0)
	s_barrier
	s_and_saveexec_b64 s[0:1], vcc
	s_cbranch_execz .LBB189_311
; %bb.309:
	v_mov_b32_e32 v3, 0
	v_mov_b32_e32 v2, v15
	v_lshlrev_b64 v[4:5], 3, v[2:3]
	v_mov_b32_e32 v1, s5
	v_add_co_u32_e32 v2, vcc, s4, v4
	v_addc_co_u32_e32 v4, vcc, v1, v5, vcc
	s_lshl_b64 s[2:3], s[22:23], 3
	v_mov_b32_e32 v5, s3
	v_add_co_u32_e32 v1, vcc, s2, v2
	v_addc_co_u32_e32 v4, vcc, v4, v5, vcc
	v_lshlrev_b32_e32 v5, 3, v0
	s_mov_b64 s[2:3], 0
	v_mov_b32_e32 v2, v0
.LBB189_310:                            ; =>This Inner Loop Header: Depth=1
	ds_read_b64 v[6:7], v5
	v_lshlrev_b64 v[8:9], 3, v[2:3]
	v_add_co_u32_e32 v8, vcc, v1, v8
	v_add_u32_e32 v2, 0x100, v2
	v_addc_co_u32_e32 v9, vcc, v4, v9, vcc
	v_cmp_ge_u32_e32 vcc, v2, v14
	v_add_u32_e32 v5, 0x800, v5
	s_or_b64 s[2:3], vcc, s[2:3]
	s_waitcnt lgkmcnt(0)
	global_store_dwordx2 v[8:9], v[6:7], off
	s_andn2_b64 exec, exec, s[2:3]
	s_cbranch_execnz .LBB189_310
.LBB189_311:
	s_or_b64 exec, exec, s[0:1]
	v_cmp_eq_u32_e32 vcc, 0, v0
	s_and_b64 s[0:1], vcc, s[24:25]
	s_and_saveexec_b64 s[2:3], s[0:1]
	s_cbranch_execz .LBB189_281
.LBB189_312:
	v_mov_b32_e32 v0, s23
	v_add_co_u32_e32 v1, vcc, s22, v14
	v_addc_co_u32_e32 v3, vcc, 0, v0, vcc
	v_add_co_u32_e32 v0, vcc, v1, v15
	v_mov_b32_e32 v2, 0
	v_addc_co_u32_e32 v1, vcc, 0, v3, vcc
	global_store_dwordx2 v2, v[0:1], s[20:21]
	s_endpgm
	.section	.rodata,"a",@progbits
	.p2align	6, 0x0
	.amdhsa_kernel _ZN7rocprim17ROCPRIM_400000_NS6detail17trampoline_kernelINS0_14default_configENS1_25partition_config_selectorILNS1_17partition_subalgoE8ElNS0_10empty_typeEbEEZZNS1_14partition_implILS5_8ELb0ES3_jPlPS6_PKS6_NS0_5tupleIJS9_S6_EEENSD_IJSA_SA_EEENS0_18inequality_wrapperIZN2at6native12_GLOBAL__N_124unique_dim_cuda_templateIhEESt5tupleIJNSH_6TensorESM_SM_EERKSM_lbbbEUlllE0_EEPmJS6_EEE10hipError_tPvRmT3_T4_T5_T6_T7_T9_mT8_P12ihipStream_tbDpT10_ENKUlT_T0_E_clISt17integral_constantIbLb1EES1B_IbLb0EEEEDaS17_S18_EUlS17_E_NS1_11comp_targetILNS1_3genE4ELNS1_11target_archE910ELNS1_3gpuE8ELNS1_3repE0EEENS1_30default_config_static_selectorELNS0_4arch9wavefront6targetE1EEEvT1_
		.amdhsa_group_segment_fixed_size 10252
		.amdhsa_private_segment_fixed_size 0
		.amdhsa_kernarg_size 120
		.amdhsa_user_sgpr_count 6
		.amdhsa_user_sgpr_private_segment_buffer 1
		.amdhsa_user_sgpr_dispatch_ptr 0
		.amdhsa_user_sgpr_queue_ptr 0
		.amdhsa_user_sgpr_kernarg_segment_ptr 1
		.amdhsa_user_sgpr_dispatch_id 0
		.amdhsa_user_sgpr_flat_scratch_init 0
		.amdhsa_user_sgpr_kernarg_preload_length 0
		.amdhsa_user_sgpr_kernarg_preload_offset 0
		.amdhsa_user_sgpr_private_segment_size 0
		.amdhsa_uses_dynamic_stack 0
		.amdhsa_system_sgpr_private_segment_wavefront_offset 0
		.amdhsa_system_sgpr_workgroup_id_x 1
		.amdhsa_system_sgpr_workgroup_id_y 0
		.amdhsa_system_sgpr_workgroup_id_z 0
		.amdhsa_system_sgpr_workgroup_info 0
		.amdhsa_system_vgpr_workitem_id 0
		.amdhsa_next_free_vgpr 46
		.amdhsa_next_free_sgpr 48
		.amdhsa_accum_offset 48
		.amdhsa_reserve_vcc 1
		.amdhsa_reserve_flat_scratch 0
		.amdhsa_float_round_mode_32 0
		.amdhsa_float_round_mode_16_64 0
		.amdhsa_float_denorm_mode_32 3
		.amdhsa_float_denorm_mode_16_64 3
		.amdhsa_dx10_clamp 1
		.amdhsa_ieee_mode 1
		.amdhsa_fp16_overflow 0
		.amdhsa_tg_split 0
		.amdhsa_exception_fp_ieee_invalid_op 0
		.amdhsa_exception_fp_denorm_src 0
		.amdhsa_exception_fp_ieee_div_zero 0
		.amdhsa_exception_fp_ieee_overflow 0
		.amdhsa_exception_fp_ieee_underflow 0
		.amdhsa_exception_fp_ieee_inexact 0
		.amdhsa_exception_int_div_zero 0
	.end_amdhsa_kernel
	.section	.text._ZN7rocprim17ROCPRIM_400000_NS6detail17trampoline_kernelINS0_14default_configENS1_25partition_config_selectorILNS1_17partition_subalgoE8ElNS0_10empty_typeEbEEZZNS1_14partition_implILS5_8ELb0ES3_jPlPS6_PKS6_NS0_5tupleIJS9_S6_EEENSD_IJSA_SA_EEENS0_18inequality_wrapperIZN2at6native12_GLOBAL__N_124unique_dim_cuda_templateIhEESt5tupleIJNSH_6TensorESM_SM_EERKSM_lbbbEUlllE0_EEPmJS6_EEE10hipError_tPvRmT3_T4_T5_T6_T7_T9_mT8_P12ihipStream_tbDpT10_ENKUlT_T0_E_clISt17integral_constantIbLb1EES1B_IbLb0EEEEDaS17_S18_EUlS17_E_NS1_11comp_targetILNS1_3genE4ELNS1_11target_archE910ELNS1_3gpuE8ELNS1_3repE0EEENS1_30default_config_static_selectorELNS0_4arch9wavefront6targetE1EEEvT1_,"axG",@progbits,_ZN7rocprim17ROCPRIM_400000_NS6detail17trampoline_kernelINS0_14default_configENS1_25partition_config_selectorILNS1_17partition_subalgoE8ElNS0_10empty_typeEbEEZZNS1_14partition_implILS5_8ELb0ES3_jPlPS6_PKS6_NS0_5tupleIJS9_S6_EEENSD_IJSA_SA_EEENS0_18inequality_wrapperIZN2at6native12_GLOBAL__N_124unique_dim_cuda_templateIhEESt5tupleIJNSH_6TensorESM_SM_EERKSM_lbbbEUlllE0_EEPmJS6_EEE10hipError_tPvRmT3_T4_T5_T6_T7_T9_mT8_P12ihipStream_tbDpT10_ENKUlT_T0_E_clISt17integral_constantIbLb1EES1B_IbLb0EEEEDaS17_S18_EUlS17_E_NS1_11comp_targetILNS1_3genE4ELNS1_11target_archE910ELNS1_3gpuE8ELNS1_3repE0EEENS1_30default_config_static_selectorELNS0_4arch9wavefront6targetE1EEEvT1_,comdat
.Lfunc_end189:
	.size	_ZN7rocprim17ROCPRIM_400000_NS6detail17trampoline_kernelINS0_14default_configENS1_25partition_config_selectorILNS1_17partition_subalgoE8ElNS0_10empty_typeEbEEZZNS1_14partition_implILS5_8ELb0ES3_jPlPS6_PKS6_NS0_5tupleIJS9_S6_EEENSD_IJSA_SA_EEENS0_18inequality_wrapperIZN2at6native12_GLOBAL__N_124unique_dim_cuda_templateIhEESt5tupleIJNSH_6TensorESM_SM_EERKSM_lbbbEUlllE0_EEPmJS6_EEE10hipError_tPvRmT3_T4_T5_T6_T7_T9_mT8_P12ihipStream_tbDpT10_ENKUlT_T0_E_clISt17integral_constantIbLb1EES1B_IbLb0EEEEDaS17_S18_EUlS17_E_NS1_11comp_targetILNS1_3genE4ELNS1_11target_archE910ELNS1_3gpuE8ELNS1_3repE0EEENS1_30default_config_static_selectorELNS0_4arch9wavefront6targetE1EEEvT1_, .Lfunc_end189-_ZN7rocprim17ROCPRIM_400000_NS6detail17trampoline_kernelINS0_14default_configENS1_25partition_config_selectorILNS1_17partition_subalgoE8ElNS0_10empty_typeEbEEZZNS1_14partition_implILS5_8ELb0ES3_jPlPS6_PKS6_NS0_5tupleIJS9_S6_EEENSD_IJSA_SA_EEENS0_18inequality_wrapperIZN2at6native12_GLOBAL__N_124unique_dim_cuda_templateIhEESt5tupleIJNSH_6TensorESM_SM_EERKSM_lbbbEUlllE0_EEPmJS6_EEE10hipError_tPvRmT3_T4_T5_T6_T7_T9_mT8_P12ihipStream_tbDpT10_ENKUlT_T0_E_clISt17integral_constantIbLb1EES1B_IbLb0EEEEDaS17_S18_EUlS17_E_NS1_11comp_targetILNS1_3genE4ELNS1_11target_archE910ELNS1_3gpuE8ELNS1_3repE0EEENS1_30default_config_static_selectorELNS0_4arch9wavefront6targetE1EEEvT1_
                                        ; -- End function
	.section	.AMDGPU.csdata,"",@progbits
; Kernel info:
; codeLenInByte = 9812
; NumSgprs: 52
; NumVgprs: 46
; NumAgprs: 0
; TotalNumVgprs: 46
; ScratchSize: 0
; MemoryBound: 0
; FloatMode: 240
; IeeeMode: 1
; LDSByteSize: 10252 bytes/workgroup (compile time only)
; SGPRBlocks: 6
; VGPRBlocks: 5
; NumSGPRsForWavesPerEU: 52
; NumVGPRsForWavesPerEU: 46
; AccumOffset: 48
; Occupancy: 6
; WaveLimiterHint : 1
; COMPUTE_PGM_RSRC2:SCRATCH_EN: 0
; COMPUTE_PGM_RSRC2:USER_SGPR: 6
; COMPUTE_PGM_RSRC2:TRAP_HANDLER: 0
; COMPUTE_PGM_RSRC2:TGID_X_EN: 1
; COMPUTE_PGM_RSRC2:TGID_Y_EN: 0
; COMPUTE_PGM_RSRC2:TGID_Z_EN: 0
; COMPUTE_PGM_RSRC2:TIDIG_COMP_CNT: 0
; COMPUTE_PGM_RSRC3_GFX90A:ACCUM_OFFSET: 11
; COMPUTE_PGM_RSRC3_GFX90A:TG_SPLIT: 0
	.section	.text._ZN7rocprim17ROCPRIM_400000_NS6detail17trampoline_kernelINS0_14default_configENS1_25partition_config_selectorILNS1_17partition_subalgoE8ElNS0_10empty_typeEbEEZZNS1_14partition_implILS5_8ELb0ES3_jPlPS6_PKS6_NS0_5tupleIJS9_S6_EEENSD_IJSA_SA_EEENS0_18inequality_wrapperIZN2at6native12_GLOBAL__N_124unique_dim_cuda_templateIhEESt5tupleIJNSH_6TensorESM_SM_EERKSM_lbbbEUlllE0_EEPmJS6_EEE10hipError_tPvRmT3_T4_T5_T6_T7_T9_mT8_P12ihipStream_tbDpT10_ENKUlT_T0_E_clISt17integral_constantIbLb1EES1B_IbLb0EEEEDaS17_S18_EUlS17_E_NS1_11comp_targetILNS1_3genE3ELNS1_11target_archE908ELNS1_3gpuE7ELNS1_3repE0EEENS1_30default_config_static_selectorELNS0_4arch9wavefront6targetE1EEEvT1_,"axG",@progbits,_ZN7rocprim17ROCPRIM_400000_NS6detail17trampoline_kernelINS0_14default_configENS1_25partition_config_selectorILNS1_17partition_subalgoE8ElNS0_10empty_typeEbEEZZNS1_14partition_implILS5_8ELb0ES3_jPlPS6_PKS6_NS0_5tupleIJS9_S6_EEENSD_IJSA_SA_EEENS0_18inequality_wrapperIZN2at6native12_GLOBAL__N_124unique_dim_cuda_templateIhEESt5tupleIJNSH_6TensorESM_SM_EERKSM_lbbbEUlllE0_EEPmJS6_EEE10hipError_tPvRmT3_T4_T5_T6_T7_T9_mT8_P12ihipStream_tbDpT10_ENKUlT_T0_E_clISt17integral_constantIbLb1EES1B_IbLb0EEEEDaS17_S18_EUlS17_E_NS1_11comp_targetILNS1_3genE3ELNS1_11target_archE908ELNS1_3gpuE7ELNS1_3repE0EEENS1_30default_config_static_selectorELNS0_4arch9wavefront6targetE1EEEvT1_,comdat
	.globl	_ZN7rocprim17ROCPRIM_400000_NS6detail17trampoline_kernelINS0_14default_configENS1_25partition_config_selectorILNS1_17partition_subalgoE8ElNS0_10empty_typeEbEEZZNS1_14partition_implILS5_8ELb0ES3_jPlPS6_PKS6_NS0_5tupleIJS9_S6_EEENSD_IJSA_SA_EEENS0_18inequality_wrapperIZN2at6native12_GLOBAL__N_124unique_dim_cuda_templateIhEESt5tupleIJNSH_6TensorESM_SM_EERKSM_lbbbEUlllE0_EEPmJS6_EEE10hipError_tPvRmT3_T4_T5_T6_T7_T9_mT8_P12ihipStream_tbDpT10_ENKUlT_T0_E_clISt17integral_constantIbLb1EES1B_IbLb0EEEEDaS17_S18_EUlS17_E_NS1_11comp_targetILNS1_3genE3ELNS1_11target_archE908ELNS1_3gpuE7ELNS1_3repE0EEENS1_30default_config_static_selectorELNS0_4arch9wavefront6targetE1EEEvT1_ ; -- Begin function _ZN7rocprim17ROCPRIM_400000_NS6detail17trampoline_kernelINS0_14default_configENS1_25partition_config_selectorILNS1_17partition_subalgoE8ElNS0_10empty_typeEbEEZZNS1_14partition_implILS5_8ELb0ES3_jPlPS6_PKS6_NS0_5tupleIJS9_S6_EEENSD_IJSA_SA_EEENS0_18inequality_wrapperIZN2at6native12_GLOBAL__N_124unique_dim_cuda_templateIhEESt5tupleIJNSH_6TensorESM_SM_EERKSM_lbbbEUlllE0_EEPmJS6_EEE10hipError_tPvRmT3_T4_T5_T6_T7_T9_mT8_P12ihipStream_tbDpT10_ENKUlT_T0_E_clISt17integral_constantIbLb1EES1B_IbLb0EEEEDaS17_S18_EUlS17_E_NS1_11comp_targetILNS1_3genE3ELNS1_11target_archE908ELNS1_3gpuE7ELNS1_3repE0EEENS1_30default_config_static_selectorELNS0_4arch9wavefront6targetE1EEEvT1_
	.p2align	8
	.type	_ZN7rocprim17ROCPRIM_400000_NS6detail17trampoline_kernelINS0_14default_configENS1_25partition_config_selectorILNS1_17partition_subalgoE8ElNS0_10empty_typeEbEEZZNS1_14partition_implILS5_8ELb0ES3_jPlPS6_PKS6_NS0_5tupleIJS9_S6_EEENSD_IJSA_SA_EEENS0_18inequality_wrapperIZN2at6native12_GLOBAL__N_124unique_dim_cuda_templateIhEESt5tupleIJNSH_6TensorESM_SM_EERKSM_lbbbEUlllE0_EEPmJS6_EEE10hipError_tPvRmT3_T4_T5_T6_T7_T9_mT8_P12ihipStream_tbDpT10_ENKUlT_T0_E_clISt17integral_constantIbLb1EES1B_IbLb0EEEEDaS17_S18_EUlS17_E_NS1_11comp_targetILNS1_3genE3ELNS1_11target_archE908ELNS1_3gpuE7ELNS1_3repE0EEENS1_30default_config_static_selectorELNS0_4arch9wavefront6targetE1EEEvT1_,@function
_ZN7rocprim17ROCPRIM_400000_NS6detail17trampoline_kernelINS0_14default_configENS1_25partition_config_selectorILNS1_17partition_subalgoE8ElNS0_10empty_typeEbEEZZNS1_14partition_implILS5_8ELb0ES3_jPlPS6_PKS6_NS0_5tupleIJS9_S6_EEENSD_IJSA_SA_EEENS0_18inequality_wrapperIZN2at6native12_GLOBAL__N_124unique_dim_cuda_templateIhEESt5tupleIJNSH_6TensorESM_SM_EERKSM_lbbbEUlllE0_EEPmJS6_EEE10hipError_tPvRmT3_T4_T5_T6_T7_T9_mT8_P12ihipStream_tbDpT10_ENKUlT_T0_E_clISt17integral_constantIbLb1EES1B_IbLb0EEEEDaS17_S18_EUlS17_E_NS1_11comp_targetILNS1_3genE3ELNS1_11target_archE908ELNS1_3gpuE7ELNS1_3repE0EEENS1_30default_config_static_selectorELNS0_4arch9wavefront6targetE1EEEvT1_: ; @_ZN7rocprim17ROCPRIM_400000_NS6detail17trampoline_kernelINS0_14default_configENS1_25partition_config_selectorILNS1_17partition_subalgoE8ElNS0_10empty_typeEbEEZZNS1_14partition_implILS5_8ELb0ES3_jPlPS6_PKS6_NS0_5tupleIJS9_S6_EEENSD_IJSA_SA_EEENS0_18inequality_wrapperIZN2at6native12_GLOBAL__N_124unique_dim_cuda_templateIhEESt5tupleIJNSH_6TensorESM_SM_EERKSM_lbbbEUlllE0_EEPmJS6_EEE10hipError_tPvRmT3_T4_T5_T6_T7_T9_mT8_P12ihipStream_tbDpT10_ENKUlT_T0_E_clISt17integral_constantIbLb1EES1B_IbLb0EEEEDaS17_S18_EUlS17_E_NS1_11comp_targetILNS1_3genE3ELNS1_11target_archE908ELNS1_3gpuE7ELNS1_3repE0EEENS1_30default_config_static_selectorELNS0_4arch9wavefront6targetE1EEEvT1_
; %bb.0:
	.section	.rodata,"a",@progbits
	.p2align	6, 0x0
	.amdhsa_kernel _ZN7rocprim17ROCPRIM_400000_NS6detail17trampoline_kernelINS0_14default_configENS1_25partition_config_selectorILNS1_17partition_subalgoE8ElNS0_10empty_typeEbEEZZNS1_14partition_implILS5_8ELb0ES3_jPlPS6_PKS6_NS0_5tupleIJS9_S6_EEENSD_IJSA_SA_EEENS0_18inequality_wrapperIZN2at6native12_GLOBAL__N_124unique_dim_cuda_templateIhEESt5tupleIJNSH_6TensorESM_SM_EERKSM_lbbbEUlllE0_EEPmJS6_EEE10hipError_tPvRmT3_T4_T5_T6_T7_T9_mT8_P12ihipStream_tbDpT10_ENKUlT_T0_E_clISt17integral_constantIbLb1EES1B_IbLb0EEEEDaS17_S18_EUlS17_E_NS1_11comp_targetILNS1_3genE3ELNS1_11target_archE908ELNS1_3gpuE7ELNS1_3repE0EEENS1_30default_config_static_selectorELNS0_4arch9wavefront6targetE1EEEvT1_
		.amdhsa_group_segment_fixed_size 0
		.amdhsa_private_segment_fixed_size 0
		.amdhsa_kernarg_size 120
		.amdhsa_user_sgpr_count 6
		.amdhsa_user_sgpr_private_segment_buffer 1
		.amdhsa_user_sgpr_dispatch_ptr 0
		.amdhsa_user_sgpr_queue_ptr 0
		.amdhsa_user_sgpr_kernarg_segment_ptr 1
		.amdhsa_user_sgpr_dispatch_id 0
		.amdhsa_user_sgpr_flat_scratch_init 0
		.amdhsa_user_sgpr_kernarg_preload_length 0
		.amdhsa_user_sgpr_kernarg_preload_offset 0
		.amdhsa_user_sgpr_private_segment_size 0
		.amdhsa_uses_dynamic_stack 0
		.amdhsa_system_sgpr_private_segment_wavefront_offset 0
		.amdhsa_system_sgpr_workgroup_id_x 1
		.amdhsa_system_sgpr_workgroup_id_y 0
		.amdhsa_system_sgpr_workgroup_id_z 0
		.amdhsa_system_sgpr_workgroup_info 0
		.amdhsa_system_vgpr_workitem_id 0
		.amdhsa_next_free_vgpr 1
		.amdhsa_next_free_sgpr 0
		.amdhsa_accum_offset 4
		.amdhsa_reserve_vcc 0
		.amdhsa_reserve_flat_scratch 0
		.amdhsa_float_round_mode_32 0
		.amdhsa_float_round_mode_16_64 0
		.amdhsa_float_denorm_mode_32 3
		.amdhsa_float_denorm_mode_16_64 3
		.amdhsa_dx10_clamp 1
		.amdhsa_ieee_mode 1
		.amdhsa_fp16_overflow 0
		.amdhsa_tg_split 0
		.amdhsa_exception_fp_ieee_invalid_op 0
		.amdhsa_exception_fp_denorm_src 0
		.amdhsa_exception_fp_ieee_div_zero 0
		.amdhsa_exception_fp_ieee_overflow 0
		.amdhsa_exception_fp_ieee_underflow 0
		.amdhsa_exception_fp_ieee_inexact 0
		.amdhsa_exception_int_div_zero 0
	.end_amdhsa_kernel
	.section	.text._ZN7rocprim17ROCPRIM_400000_NS6detail17trampoline_kernelINS0_14default_configENS1_25partition_config_selectorILNS1_17partition_subalgoE8ElNS0_10empty_typeEbEEZZNS1_14partition_implILS5_8ELb0ES3_jPlPS6_PKS6_NS0_5tupleIJS9_S6_EEENSD_IJSA_SA_EEENS0_18inequality_wrapperIZN2at6native12_GLOBAL__N_124unique_dim_cuda_templateIhEESt5tupleIJNSH_6TensorESM_SM_EERKSM_lbbbEUlllE0_EEPmJS6_EEE10hipError_tPvRmT3_T4_T5_T6_T7_T9_mT8_P12ihipStream_tbDpT10_ENKUlT_T0_E_clISt17integral_constantIbLb1EES1B_IbLb0EEEEDaS17_S18_EUlS17_E_NS1_11comp_targetILNS1_3genE3ELNS1_11target_archE908ELNS1_3gpuE7ELNS1_3repE0EEENS1_30default_config_static_selectorELNS0_4arch9wavefront6targetE1EEEvT1_,"axG",@progbits,_ZN7rocprim17ROCPRIM_400000_NS6detail17trampoline_kernelINS0_14default_configENS1_25partition_config_selectorILNS1_17partition_subalgoE8ElNS0_10empty_typeEbEEZZNS1_14partition_implILS5_8ELb0ES3_jPlPS6_PKS6_NS0_5tupleIJS9_S6_EEENSD_IJSA_SA_EEENS0_18inequality_wrapperIZN2at6native12_GLOBAL__N_124unique_dim_cuda_templateIhEESt5tupleIJNSH_6TensorESM_SM_EERKSM_lbbbEUlllE0_EEPmJS6_EEE10hipError_tPvRmT3_T4_T5_T6_T7_T9_mT8_P12ihipStream_tbDpT10_ENKUlT_T0_E_clISt17integral_constantIbLb1EES1B_IbLb0EEEEDaS17_S18_EUlS17_E_NS1_11comp_targetILNS1_3genE3ELNS1_11target_archE908ELNS1_3gpuE7ELNS1_3repE0EEENS1_30default_config_static_selectorELNS0_4arch9wavefront6targetE1EEEvT1_,comdat
.Lfunc_end190:
	.size	_ZN7rocprim17ROCPRIM_400000_NS6detail17trampoline_kernelINS0_14default_configENS1_25partition_config_selectorILNS1_17partition_subalgoE8ElNS0_10empty_typeEbEEZZNS1_14partition_implILS5_8ELb0ES3_jPlPS6_PKS6_NS0_5tupleIJS9_S6_EEENSD_IJSA_SA_EEENS0_18inequality_wrapperIZN2at6native12_GLOBAL__N_124unique_dim_cuda_templateIhEESt5tupleIJNSH_6TensorESM_SM_EERKSM_lbbbEUlllE0_EEPmJS6_EEE10hipError_tPvRmT3_T4_T5_T6_T7_T9_mT8_P12ihipStream_tbDpT10_ENKUlT_T0_E_clISt17integral_constantIbLb1EES1B_IbLb0EEEEDaS17_S18_EUlS17_E_NS1_11comp_targetILNS1_3genE3ELNS1_11target_archE908ELNS1_3gpuE7ELNS1_3repE0EEENS1_30default_config_static_selectorELNS0_4arch9wavefront6targetE1EEEvT1_, .Lfunc_end190-_ZN7rocprim17ROCPRIM_400000_NS6detail17trampoline_kernelINS0_14default_configENS1_25partition_config_selectorILNS1_17partition_subalgoE8ElNS0_10empty_typeEbEEZZNS1_14partition_implILS5_8ELb0ES3_jPlPS6_PKS6_NS0_5tupleIJS9_S6_EEENSD_IJSA_SA_EEENS0_18inequality_wrapperIZN2at6native12_GLOBAL__N_124unique_dim_cuda_templateIhEESt5tupleIJNSH_6TensorESM_SM_EERKSM_lbbbEUlllE0_EEPmJS6_EEE10hipError_tPvRmT3_T4_T5_T6_T7_T9_mT8_P12ihipStream_tbDpT10_ENKUlT_T0_E_clISt17integral_constantIbLb1EES1B_IbLb0EEEEDaS17_S18_EUlS17_E_NS1_11comp_targetILNS1_3genE3ELNS1_11target_archE908ELNS1_3gpuE7ELNS1_3repE0EEENS1_30default_config_static_selectorELNS0_4arch9wavefront6targetE1EEEvT1_
                                        ; -- End function
	.section	.AMDGPU.csdata,"",@progbits
; Kernel info:
; codeLenInByte = 0
; NumSgprs: 4
; NumVgprs: 0
; NumAgprs: 0
; TotalNumVgprs: 0
; ScratchSize: 0
; MemoryBound: 0
; FloatMode: 240
; IeeeMode: 1
; LDSByteSize: 0 bytes/workgroup (compile time only)
; SGPRBlocks: 0
; VGPRBlocks: 0
; NumSGPRsForWavesPerEU: 4
; NumVGPRsForWavesPerEU: 1
; AccumOffset: 4
; Occupancy: 8
; WaveLimiterHint : 0
; COMPUTE_PGM_RSRC2:SCRATCH_EN: 0
; COMPUTE_PGM_RSRC2:USER_SGPR: 6
; COMPUTE_PGM_RSRC2:TRAP_HANDLER: 0
; COMPUTE_PGM_RSRC2:TGID_X_EN: 1
; COMPUTE_PGM_RSRC2:TGID_Y_EN: 0
; COMPUTE_PGM_RSRC2:TGID_Z_EN: 0
; COMPUTE_PGM_RSRC2:TIDIG_COMP_CNT: 0
; COMPUTE_PGM_RSRC3_GFX90A:ACCUM_OFFSET: 0
; COMPUTE_PGM_RSRC3_GFX90A:TG_SPLIT: 0
	.section	.text._ZN7rocprim17ROCPRIM_400000_NS6detail17trampoline_kernelINS0_14default_configENS1_25partition_config_selectorILNS1_17partition_subalgoE8ElNS0_10empty_typeEbEEZZNS1_14partition_implILS5_8ELb0ES3_jPlPS6_PKS6_NS0_5tupleIJS9_S6_EEENSD_IJSA_SA_EEENS0_18inequality_wrapperIZN2at6native12_GLOBAL__N_124unique_dim_cuda_templateIhEESt5tupleIJNSH_6TensorESM_SM_EERKSM_lbbbEUlllE0_EEPmJS6_EEE10hipError_tPvRmT3_T4_T5_T6_T7_T9_mT8_P12ihipStream_tbDpT10_ENKUlT_T0_E_clISt17integral_constantIbLb1EES1B_IbLb0EEEEDaS17_S18_EUlS17_E_NS1_11comp_targetILNS1_3genE2ELNS1_11target_archE906ELNS1_3gpuE6ELNS1_3repE0EEENS1_30default_config_static_selectorELNS0_4arch9wavefront6targetE1EEEvT1_,"axG",@progbits,_ZN7rocprim17ROCPRIM_400000_NS6detail17trampoline_kernelINS0_14default_configENS1_25partition_config_selectorILNS1_17partition_subalgoE8ElNS0_10empty_typeEbEEZZNS1_14partition_implILS5_8ELb0ES3_jPlPS6_PKS6_NS0_5tupleIJS9_S6_EEENSD_IJSA_SA_EEENS0_18inequality_wrapperIZN2at6native12_GLOBAL__N_124unique_dim_cuda_templateIhEESt5tupleIJNSH_6TensorESM_SM_EERKSM_lbbbEUlllE0_EEPmJS6_EEE10hipError_tPvRmT3_T4_T5_T6_T7_T9_mT8_P12ihipStream_tbDpT10_ENKUlT_T0_E_clISt17integral_constantIbLb1EES1B_IbLb0EEEEDaS17_S18_EUlS17_E_NS1_11comp_targetILNS1_3genE2ELNS1_11target_archE906ELNS1_3gpuE6ELNS1_3repE0EEENS1_30default_config_static_selectorELNS0_4arch9wavefront6targetE1EEEvT1_,comdat
	.globl	_ZN7rocprim17ROCPRIM_400000_NS6detail17trampoline_kernelINS0_14default_configENS1_25partition_config_selectorILNS1_17partition_subalgoE8ElNS0_10empty_typeEbEEZZNS1_14partition_implILS5_8ELb0ES3_jPlPS6_PKS6_NS0_5tupleIJS9_S6_EEENSD_IJSA_SA_EEENS0_18inequality_wrapperIZN2at6native12_GLOBAL__N_124unique_dim_cuda_templateIhEESt5tupleIJNSH_6TensorESM_SM_EERKSM_lbbbEUlllE0_EEPmJS6_EEE10hipError_tPvRmT3_T4_T5_T6_T7_T9_mT8_P12ihipStream_tbDpT10_ENKUlT_T0_E_clISt17integral_constantIbLb1EES1B_IbLb0EEEEDaS17_S18_EUlS17_E_NS1_11comp_targetILNS1_3genE2ELNS1_11target_archE906ELNS1_3gpuE6ELNS1_3repE0EEENS1_30default_config_static_selectorELNS0_4arch9wavefront6targetE1EEEvT1_ ; -- Begin function _ZN7rocprim17ROCPRIM_400000_NS6detail17trampoline_kernelINS0_14default_configENS1_25partition_config_selectorILNS1_17partition_subalgoE8ElNS0_10empty_typeEbEEZZNS1_14partition_implILS5_8ELb0ES3_jPlPS6_PKS6_NS0_5tupleIJS9_S6_EEENSD_IJSA_SA_EEENS0_18inequality_wrapperIZN2at6native12_GLOBAL__N_124unique_dim_cuda_templateIhEESt5tupleIJNSH_6TensorESM_SM_EERKSM_lbbbEUlllE0_EEPmJS6_EEE10hipError_tPvRmT3_T4_T5_T6_T7_T9_mT8_P12ihipStream_tbDpT10_ENKUlT_T0_E_clISt17integral_constantIbLb1EES1B_IbLb0EEEEDaS17_S18_EUlS17_E_NS1_11comp_targetILNS1_3genE2ELNS1_11target_archE906ELNS1_3gpuE6ELNS1_3repE0EEENS1_30default_config_static_selectorELNS0_4arch9wavefront6targetE1EEEvT1_
	.p2align	8
	.type	_ZN7rocprim17ROCPRIM_400000_NS6detail17trampoline_kernelINS0_14default_configENS1_25partition_config_selectorILNS1_17partition_subalgoE8ElNS0_10empty_typeEbEEZZNS1_14partition_implILS5_8ELb0ES3_jPlPS6_PKS6_NS0_5tupleIJS9_S6_EEENSD_IJSA_SA_EEENS0_18inequality_wrapperIZN2at6native12_GLOBAL__N_124unique_dim_cuda_templateIhEESt5tupleIJNSH_6TensorESM_SM_EERKSM_lbbbEUlllE0_EEPmJS6_EEE10hipError_tPvRmT3_T4_T5_T6_T7_T9_mT8_P12ihipStream_tbDpT10_ENKUlT_T0_E_clISt17integral_constantIbLb1EES1B_IbLb0EEEEDaS17_S18_EUlS17_E_NS1_11comp_targetILNS1_3genE2ELNS1_11target_archE906ELNS1_3gpuE6ELNS1_3repE0EEENS1_30default_config_static_selectorELNS0_4arch9wavefront6targetE1EEEvT1_,@function
_ZN7rocprim17ROCPRIM_400000_NS6detail17trampoline_kernelINS0_14default_configENS1_25partition_config_selectorILNS1_17partition_subalgoE8ElNS0_10empty_typeEbEEZZNS1_14partition_implILS5_8ELb0ES3_jPlPS6_PKS6_NS0_5tupleIJS9_S6_EEENSD_IJSA_SA_EEENS0_18inequality_wrapperIZN2at6native12_GLOBAL__N_124unique_dim_cuda_templateIhEESt5tupleIJNSH_6TensorESM_SM_EERKSM_lbbbEUlllE0_EEPmJS6_EEE10hipError_tPvRmT3_T4_T5_T6_T7_T9_mT8_P12ihipStream_tbDpT10_ENKUlT_T0_E_clISt17integral_constantIbLb1EES1B_IbLb0EEEEDaS17_S18_EUlS17_E_NS1_11comp_targetILNS1_3genE2ELNS1_11target_archE906ELNS1_3gpuE6ELNS1_3repE0EEENS1_30default_config_static_selectorELNS0_4arch9wavefront6targetE1EEEvT1_: ; @_ZN7rocprim17ROCPRIM_400000_NS6detail17trampoline_kernelINS0_14default_configENS1_25partition_config_selectorILNS1_17partition_subalgoE8ElNS0_10empty_typeEbEEZZNS1_14partition_implILS5_8ELb0ES3_jPlPS6_PKS6_NS0_5tupleIJS9_S6_EEENSD_IJSA_SA_EEENS0_18inequality_wrapperIZN2at6native12_GLOBAL__N_124unique_dim_cuda_templateIhEESt5tupleIJNSH_6TensorESM_SM_EERKSM_lbbbEUlllE0_EEPmJS6_EEE10hipError_tPvRmT3_T4_T5_T6_T7_T9_mT8_P12ihipStream_tbDpT10_ENKUlT_T0_E_clISt17integral_constantIbLb1EES1B_IbLb0EEEEDaS17_S18_EUlS17_E_NS1_11comp_targetILNS1_3genE2ELNS1_11target_archE906ELNS1_3gpuE6ELNS1_3repE0EEENS1_30default_config_static_selectorELNS0_4arch9wavefront6targetE1EEEvT1_
; %bb.0:
	.section	.rodata,"a",@progbits
	.p2align	6, 0x0
	.amdhsa_kernel _ZN7rocprim17ROCPRIM_400000_NS6detail17trampoline_kernelINS0_14default_configENS1_25partition_config_selectorILNS1_17partition_subalgoE8ElNS0_10empty_typeEbEEZZNS1_14partition_implILS5_8ELb0ES3_jPlPS6_PKS6_NS0_5tupleIJS9_S6_EEENSD_IJSA_SA_EEENS0_18inequality_wrapperIZN2at6native12_GLOBAL__N_124unique_dim_cuda_templateIhEESt5tupleIJNSH_6TensorESM_SM_EERKSM_lbbbEUlllE0_EEPmJS6_EEE10hipError_tPvRmT3_T4_T5_T6_T7_T9_mT8_P12ihipStream_tbDpT10_ENKUlT_T0_E_clISt17integral_constantIbLb1EES1B_IbLb0EEEEDaS17_S18_EUlS17_E_NS1_11comp_targetILNS1_3genE2ELNS1_11target_archE906ELNS1_3gpuE6ELNS1_3repE0EEENS1_30default_config_static_selectorELNS0_4arch9wavefront6targetE1EEEvT1_
		.amdhsa_group_segment_fixed_size 0
		.amdhsa_private_segment_fixed_size 0
		.amdhsa_kernarg_size 120
		.amdhsa_user_sgpr_count 6
		.amdhsa_user_sgpr_private_segment_buffer 1
		.amdhsa_user_sgpr_dispatch_ptr 0
		.amdhsa_user_sgpr_queue_ptr 0
		.amdhsa_user_sgpr_kernarg_segment_ptr 1
		.amdhsa_user_sgpr_dispatch_id 0
		.amdhsa_user_sgpr_flat_scratch_init 0
		.amdhsa_user_sgpr_kernarg_preload_length 0
		.amdhsa_user_sgpr_kernarg_preload_offset 0
		.amdhsa_user_sgpr_private_segment_size 0
		.amdhsa_uses_dynamic_stack 0
		.amdhsa_system_sgpr_private_segment_wavefront_offset 0
		.amdhsa_system_sgpr_workgroup_id_x 1
		.amdhsa_system_sgpr_workgroup_id_y 0
		.amdhsa_system_sgpr_workgroup_id_z 0
		.amdhsa_system_sgpr_workgroup_info 0
		.amdhsa_system_vgpr_workitem_id 0
		.amdhsa_next_free_vgpr 1
		.amdhsa_next_free_sgpr 0
		.amdhsa_accum_offset 4
		.amdhsa_reserve_vcc 0
		.amdhsa_reserve_flat_scratch 0
		.amdhsa_float_round_mode_32 0
		.amdhsa_float_round_mode_16_64 0
		.amdhsa_float_denorm_mode_32 3
		.amdhsa_float_denorm_mode_16_64 3
		.amdhsa_dx10_clamp 1
		.amdhsa_ieee_mode 1
		.amdhsa_fp16_overflow 0
		.amdhsa_tg_split 0
		.amdhsa_exception_fp_ieee_invalid_op 0
		.amdhsa_exception_fp_denorm_src 0
		.amdhsa_exception_fp_ieee_div_zero 0
		.amdhsa_exception_fp_ieee_overflow 0
		.amdhsa_exception_fp_ieee_underflow 0
		.amdhsa_exception_fp_ieee_inexact 0
		.amdhsa_exception_int_div_zero 0
	.end_amdhsa_kernel
	.section	.text._ZN7rocprim17ROCPRIM_400000_NS6detail17trampoline_kernelINS0_14default_configENS1_25partition_config_selectorILNS1_17partition_subalgoE8ElNS0_10empty_typeEbEEZZNS1_14partition_implILS5_8ELb0ES3_jPlPS6_PKS6_NS0_5tupleIJS9_S6_EEENSD_IJSA_SA_EEENS0_18inequality_wrapperIZN2at6native12_GLOBAL__N_124unique_dim_cuda_templateIhEESt5tupleIJNSH_6TensorESM_SM_EERKSM_lbbbEUlllE0_EEPmJS6_EEE10hipError_tPvRmT3_T4_T5_T6_T7_T9_mT8_P12ihipStream_tbDpT10_ENKUlT_T0_E_clISt17integral_constantIbLb1EES1B_IbLb0EEEEDaS17_S18_EUlS17_E_NS1_11comp_targetILNS1_3genE2ELNS1_11target_archE906ELNS1_3gpuE6ELNS1_3repE0EEENS1_30default_config_static_selectorELNS0_4arch9wavefront6targetE1EEEvT1_,"axG",@progbits,_ZN7rocprim17ROCPRIM_400000_NS6detail17trampoline_kernelINS0_14default_configENS1_25partition_config_selectorILNS1_17partition_subalgoE8ElNS0_10empty_typeEbEEZZNS1_14partition_implILS5_8ELb0ES3_jPlPS6_PKS6_NS0_5tupleIJS9_S6_EEENSD_IJSA_SA_EEENS0_18inequality_wrapperIZN2at6native12_GLOBAL__N_124unique_dim_cuda_templateIhEESt5tupleIJNSH_6TensorESM_SM_EERKSM_lbbbEUlllE0_EEPmJS6_EEE10hipError_tPvRmT3_T4_T5_T6_T7_T9_mT8_P12ihipStream_tbDpT10_ENKUlT_T0_E_clISt17integral_constantIbLb1EES1B_IbLb0EEEEDaS17_S18_EUlS17_E_NS1_11comp_targetILNS1_3genE2ELNS1_11target_archE906ELNS1_3gpuE6ELNS1_3repE0EEENS1_30default_config_static_selectorELNS0_4arch9wavefront6targetE1EEEvT1_,comdat
.Lfunc_end191:
	.size	_ZN7rocprim17ROCPRIM_400000_NS6detail17trampoline_kernelINS0_14default_configENS1_25partition_config_selectorILNS1_17partition_subalgoE8ElNS0_10empty_typeEbEEZZNS1_14partition_implILS5_8ELb0ES3_jPlPS6_PKS6_NS0_5tupleIJS9_S6_EEENSD_IJSA_SA_EEENS0_18inequality_wrapperIZN2at6native12_GLOBAL__N_124unique_dim_cuda_templateIhEESt5tupleIJNSH_6TensorESM_SM_EERKSM_lbbbEUlllE0_EEPmJS6_EEE10hipError_tPvRmT3_T4_T5_T6_T7_T9_mT8_P12ihipStream_tbDpT10_ENKUlT_T0_E_clISt17integral_constantIbLb1EES1B_IbLb0EEEEDaS17_S18_EUlS17_E_NS1_11comp_targetILNS1_3genE2ELNS1_11target_archE906ELNS1_3gpuE6ELNS1_3repE0EEENS1_30default_config_static_selectorELNS0_4arch9wavefront6targetE1EEEvT1_, .Lfunc_end191-_ZN7rocprim17ROCPRIM_400000_NS6detail17trampoline_kernelINS0_14default_configENS1_25partition_config_selectorILNS1_17partition_subalgoE8ElNS0_10empty_typeEbEEZZNS1_14partition_implILS5_8ELb0ES3_jPlPS6_PKS6_NS0_5tupleIJS9_S6_EEENSD_IJSA_SA_EEENS0_18inequality_wrapperIZN2at6native12_GLOBAL__N_124unique_dim_cuda_templateIhEESt5tupleIJNSH_6TensorESM_SM_EERKSM_lbbbEUlllE0_EEPmJS6_EEE10hipError_tPvRmT3_T4_T5_T6_T7_T9_mT8_P12ihipStream_tbDpT10_ENKUlT_T0_E_clISt17integral_constantIbLb1EES1B_IbLb0EEEEDaS17_S18_EUlS17_E_NS1_11comp_targetILNS1_3genE2ELNS1_11target_archE906ELNS1_3gpuE6ELNS1_3repE0EEENS1_30default_config_static_selectorELNS0_4arch9wavefront6targetE1EEEvT1_
                                        ; -- End function
	.section	.AMDGPU.csdata,"",@progbits
; Kernel info:
; codeLenInByte = 0
; NumSgprs: 4
; NumVgprs: 0
; NumAgprs: 0
; TotalNumVgprs: 0
; ScratchSize: 0
; MemoryBound: 0
; FloatMode: 240
; IeeeMode: 1
; LDSByteSize: 0 bytes/workgroup (compile time only)
; SGPRBlocks: 0
; VGPRBlocks: 0
; NumSGPRsForWavesPerEU: 4
; NumVGPRsForWavesPerEU: 1
; AccumOffset: 4
; Occupancy: 8
; WaveLimiterHint : 0
; COMPUTE_PGM_RSRC2:SCRATCH_EN: 0
; COMPUTE_PGM_RSRC2:USER_SGPR: 6
; COMPUTE_PGM_RSRC2:TRAP_HANDLER: 0
; COMPUTE_PGM_RSRC2:TGID_X_EN: 1
; COMPUTE_PGM_RSRC2:TGID_Y_EN: 0
; COMPUTE_PGM_RSRC2:TGID_Z_EN: 0
; COMPUTE_PGM_RSRC2:TIDIG_COMP_CNT: 0
; COMPUTE_PGM_RSRC3_GFX90A:ACCUM_OFFSET: 0
; COMPUTE_PGM_RSRC3_GFX90A:TG_SPLIT: 0
	.section	.text._ZN7rocprim17ROCPRIM_400000_NS6detail17trampoline_kernelINS0_14default_configENS1_25partition_config_selectorILNS1_17partition_subalgoE8ElNS0_10empty_typeEbEEZZNS1_14partition_implILS5_8ELb0ES3_jPlPS6_PKS6_NS0_5tupleIJS9_S6_EEENSD_IJSA_SA_EEENS0_18inequality_wrapperIZN2at6native12_GLOBAL__N_124unique_dim_cuda_templateIhEESt5tupleIJNSH_6TensorESM_SM_EERKSM_lbbbEUlllE0_EEPmJS6_EEE10hipError_tPvRmT3_T4_T5_T6_T7_T9_mT8_P12ihipStream_tbDpT10_ENKUlT_T0_E_clISt17integral_constantIbLb1EES1B_IbLb0EEEEDaS17_S18_EUlS17_E_NS1_11comp_targetILNS1_3genE10ELNS1_11target_archE1200ELNS1_3gpuE4ELNS1_3repE0EEENS1_30default_config_static_selectorELNS0_4arch9wavefront6targetE1EEEvT1_,"axG",@progbits,_ZN7rocprim17ROCPRIM_400000_NS6detail17trampoline_kernelINS0_14default_configENS1_25partition_config_selectorILNS1_17partition_subalgoE8ElNS0_10empty_typeEbEEZZNS1_14partition_implILS5_8ELb0ES3_jPlPS6_PKS6_NS0_5tupleIJS9_S6_EEENSD_IJSA_SA_EEENS0_18inequality_wrapperIZN2at6native12_GLOBAL__N_124unique_dim_cuda_templateIhEESt5tupleIJNSH_6TensorESM_SM_EERKSM_lbbbEUlllE0_EEPmJS6_EEE10hipError_tPvRmT3_T4_T5_T6_T7_T9_mT8_P12ihipStream_tbDpT10_ENKUlT_T0_E_clISt17integral_constantIbLb1EES1B_IbLb0EEEEDaS17_S18_EUlS17_E_NS1_11comp_targetILNS1_3genE10ELNS1_11target_archE1200ELNS1_3gpuE4ELNS1_3repE0EEENS1_30default_config_static_selectorELNS0_4arch9wavefront6targetE1EEEvT1_,comdat
	.globl	_ZN7rocprim17ROCPRIM_400000_NS6detail17trampoline_kernelINS0_14default_configENS1_25partition_config_selectorILNS1_17partition_subalgoE8ElNS0_10empty_typeEbEEZZNS1_14partition_implILS5_8ELb0ES3_jPlPS6_PKS6_NS0_5tupleIJS9_S6_EEENSD_IJSA_SA_EEENS0_18inequality_wrapperIZN2at6native12_GLOBAL__N_124unique_dim_cuda_templateIhEESt5tupleIJNSH_6TensorESM_SM_EERKSM_lbbbEUlllE0_EEPmJS6_EEE10hipError_tPvRmT3_T4_T5_T6_T7_T9_mT8_P12ihipStream_tbDpT10_ENKUlT_T0_E_clISt17integral_constantIbLb1EES1B_IbLb0EEEEDaS17_S18_EUlS17_E_NS1_11comp_targetILNS1_3genE10ELNS1_11target_archE1200ELNS1_3gpuE4ELNS1_3repE0EEENS1_30default_config_static_selectorELNS0_4arch9wavefront6targetE1EEEvT1_ ; -- Begin function _ZN7rocprim17ROCPRIM_400000_NS6detail17trampoline_kernelINS0_14default_configENS1_25partition_config_selectorILNS1_17partition_subalgoE8ElNS0_10empty_typeEbEEZZNS1_14partition_implILS5_8ELb0ES3_jPlPS6_PKS6_NS0_5tupleIJS9_S6_EEENSD_IJSA_SA_EEENS0_18inequality_wrapperIZN2at6native12_GLOBAL__N_124unique_dim_cuda_templateIhEESt5tupleIJNSH_6TensorESM_SM_EERKSM_lbbbEUlllE0_EEPmJS6_EEE10hipError_tPvRmT3_T4_T5_T6_T7_T9_mT8_P12ihipStream_tbDpT10_ENKUlT_T0_E_clISt17integral_constantIbLb1EES1B_IbLb0EEEEDaS17_S18_EUlS17_E_NS1_11comp_targetILNS1_3genE10ELNS1_11target_archE1200ELNS1_3gpuE4ELNS1_3repE0EEENS1_30default_config_static_selectorELNS0_4arch9wavefront6targetE1EEEvT1_
	.p2align	8
	.type	_ZN7rocprim17ROCPRIM_400000_NS6detail17trampoline_kernelINS0_14default_configENS1_25partition_config_selectorILNS1_17partition_subalgoE8ElNS0_10empty_typeEbEEZZNS1_14partition_implILS5_8ELb0ES3_jPlPS6_PKS6_NS0_5tupleIJS9_S6_EEENSD_IJSA_SA_EEENS0_18inequality_wrapperIZN2at6native12_GLOBAL__N_124unique_dim_cuda_templateIhEESt5tupleIJNSH_6TensorESM_SM_EERKSM_lbbbEUlllE0_EEPmJS6_EEE10hipError_tPvRmT3_T4_T5_T6_T7_T9_mT8_P12ihipStream_tbDpT10_ENKUlT_T0_E_clISt17integral_constantIbLb1EES1B_IbLb0EEEEDaS17_S18_EUlS17_E_NS1_11comp_targetILNS1_3genE10ELNS1_11target_archE1200ELNS1_3gpuE4ELNS1_3repE0EEENS1_30default_config_static_selectorELNS0_4arch9wavefront6targetE1EEEvT1_,@function
_ZN7rocprim17ROCPRIM_400000_NS6detail17trampoline_kernelINS0_14default_configENS1_25partition_config_selectorILNS1_17partition_subalgoE8ElNS0_10empty_typeEbEEZZNS1_14partition_implILS5_8ELb0ES3_jPlPS6_PKS6_NS0_5tupleIJS9_S6_EEENSD_IJSA_SA_EEENS0_18inequality_wrapperIZN2at6native12_GLOBAL__N_124unique_dim_cuda_templateIhEESt5tupleIJNSH_6TensorESM_SM_EERKSM_lbbbEUlllE0_EEPmJS6_EEE10hipError_tPvRmT3_T4_T5_T6_T7_T9_mT8_P12ihipStream_tbDpT10_ENKUlT_T0_E_clISt17integral_constantIbLb1EES1B_IbLb0EEEEDaS17_S18_EUlS17_E_NS1_11comp_targetILNS1_3genE10ELNS1_11target_archE1200ELNS1_3gpuE4ELNS1_3repE0EEENS1_30default_config_static_selectorELNS0_4arch9wavefront6targetE1EEEvT1_: ; @_ZN7rocprim17ROCPRIM_400000_NS6detail17trampoline_kernelINS0_14default_configENS1_25partition_config_selectorILNS1_17partition_subalgoE8ElNS0_10empty_typeEbEEZZNS1_14partition_implILS5_8ELb0ES3_jPlPS6_PKS6_NS0_5tupleIJS9_S6_EEENSD_IJSA_SA_EEENS0_18inequality_wrapperIZN2at6native12_GLOBAL__N_124unique_dim_cuda_templateIhEESt5tupleIJNSH_6TensorESM_SM_EERKSM_lbbbEUlllE0_EEPmJS6_EEE10hipError_tPvRmT3_T4_T5_T6_T7_T9_mT8_P12ihipStream_tbDpT10_ENKUlT_T0_E_clISt17integral_constantIbLb1EES1B_IbLb0EEEEDaS17_S18_EUlS17_E_NS1_11comp_targetILNS1_3genE10ELNS1_11target_archE1200ELNS1_3gpuE4ELNS1_3repE0EEENS1_30default_config_static_selectorELNS0_4arch9wavefront6targetE1EEEvT1_
; %bb.0:
	.section	.rodata,"a",@progbits
	.p2align	6, 0x0
	.amdhsa_kernel _ZN7rocprim17ROCPRIM_400000_NS6detail17trampoline_kernelINS0_14default_configENS1_25partition_config_selectorILNS1_17partition_subalgoE8ElNS0_10empty_typeEbEEZZNS1_14partition_implILS5_8ELb0ES3_jPlPS6_PKS6_NS0_5tupleIJS9_S6_EEENSD_IJSA_SA_EEENS0_18inequality_wrapperIZN2at6native12_GLOBAL__N_124unique_dim_cuda_templateIhEESt5tupleIJNSH_6TensorESM_SM_EERKSM_lbbbEUlllE0_EEPmJS6_EEE10hipError_tPvRmT3_T4_T5_T6_T7_T9_mT8_P12ihipStream_tbDpT10_ENKUlT_T0_E_clISt17integral_constantIbLb1EES1B_IbLb0EEEEDaS17_S18_EUlS17_E_NS1_11comp_targetILNS1_3genE10ELNS1_11target_archE1200ELNS1_3gpuE4ELNS1_3repE0EEENS1_30default_config_static_selectorELNS0_4arch9wavefront6targetE1EEEvT1_
		.amdhsa_group_segment_fixed_size 0
		.amdhsa_private_segment_fixed_size 0
		.amdhsa_kernarg_size 120
		.amdhsa_user_sgpr_count 6
		.amdhsa_user_sgpr_private_segment_buffer 1
		.amdhsa_user_sgpr_dispatch_ptr 0
		.amdhsa_user_sgpr_queue_ptr 0
		.amdhsa_user_sgpr_kernarg_segment_ptr 1
		.amdhsa_user_sgpr_dispatch_id 0
		.amdhsa_user_sgpr_flat_scratch_init 0
		.amdhsa_user_sgpr_kernarg_preload_length 0
		.amdhsa_user_sgpr_kernarg_preload_offset 0
		.amdhsa_user_sgpr_private_segment_size 0
		.amdhsa_uses_dynamic_stack 0
		.amdhsa_system_sgpr_private_segment_wavefront_offset 0
		.amdhsa_system_sgpr_workgroup_id_x 1
		.amdhsa_system_sgpr_workgroup_id_y 0
		.amdhsa_system_sgpr_workgroup_id_z 0
		.amdhsa_system_sgpr_workgroup_info 0
		.amdhsa_system_vgpr_workitem_id 0
		.amdhsa_next_free_vgpr 1
		.amdhsa_next_free_sgpr 0
		.amdhsa_accum_offset 4
		.amdhsa_reserve_vcc 0
		.amdhsa_reserve_flat_scratch 0
		.amdhsa_float_round_mode_32 0
		.amdhsa_float_round_mode_16_64 0
		.amdhsa_float_denorm_mode_32 3
		.amdhsa_float_denorm_mode_16_64 3
		.amdhsa_dx10_clamp 1
		.amdhsa_ieee_mode 1
		.amdhsa_fp16_overflow 0
		.amdhsa_tg_split 0
		.amdhsa_exception_fp_ieee_invalid_op 0
		.amdhsa_exception_fp_denorm_src 0
		.amdhsa_exception_fp_ieee_div_zero 0
		.amdhsa_exception_fp_ieee_overflow 0
		.amdhsa_exception_fp_ieee_underflow 0
		.amdhsa_exception_fp_ieee_inexact 0
		.amdhsa_exception_int_div_zero 0
	.end_amdhsa_kernel
	.section	.text._ZN7rocprim17ROCPRIM_400000_NS6detail17trampoline_kernelINS0_14default_configENS1_25partition_config_selectorILNS1_17partition_subalgoE8ElNS0_10empty_typeEbEEZZNS1_14partition_implILS5_8ELb0ES3_jPlPS6_PKS6_NS0_5tupleIJS9_S6_EEENSD_IJSA_SA_EEENS0_18inequality_wrapperIZN2at6native12_GLOBAL__N_124unique_dim_cuda_templateIhEESt5tupleIJNSH_6TensorESM_SM_EERKSM_lbbbEUlllE0_EEPmJS6_EEE10hipError_tPvRmT3_T4_T5_T6_T7_T9_mT8_P12ihipStream_tbDpT10_ENKUlT_T0_E_clISt17integral_constantIbLb1EES1B_IbLb0EEEEDaS17_S18_EUlS17_E_NS1_11comp_targetILNS1_3genE10ELNS1_11target_archE1200ELNS1_3gpuE4ELNS1_3repE0EEENS1_30default_config_static_selectorELNS0_4arch9wavefront6targetE1EEEvT1_,"axG",@progbits,_ZN7rocprim17ROCPRIM_400000_NS6detail17trampoline_kernelINS0_14default_configENS1_25partition_config_selectorILNS1_17partition_subalgoE8ElNS0_10empty_typeEbEEZZNS1_14partition_implILS5_8ELb0ES3_jPlPS6_PKS6_NS0_5tupleIJS9_S6_EEENSD_IJSA_SA_EEENS0_18inequality_wrapperIZN2at6native12_GLOBAL__N_124unique_dim_cuda_templateIhEESt5tupleIJNSH_6TensorESM_SM_EERKSM_lbbbEUlllE0_EEPmJS6_EEE10hipError_tPvRmT3_T4_T5_T6_T7_T9_mT8_P12ihipStream_tbDpT10_ENKUlT_T0_E_clISt17integral_constantIbLb1EES1B_IbLb0EEEEDaS17_S18_EUlS17_E_NS1_11comp_targetILNS1_3genE10ELNS1_11target_archE1200ELNS1_3gpuE4ELNS1_3repE0EEENS1_30default_config_static_selectorELNS0_4arch9wavefront6targetE1EEEvT1_,comdat
.Lfunc_end192:
	.size	_ZN7rocprim17ROCPRIM_400000_NS6detail17trampoline_kernelINS0_14default_configENS1_25partition_config_selectorILNS1_17partition_subalgoE8ElNS0_10empty_typeEbEEZZNS1_14partition_implILS5_8ELb0ES3_jPlPS6_PKS6_NS0_5tupleIJS9_S6_EEENSD_IJSA_SA_EEENS0_18inequality_wrapperIZN2at6native12_GLOBAL__N_124unique_dim_cuda_templateIhEESt5tupleIJNSH_6TensorESM_SM_EERKSM_lbbbEUlllE0_EEPmJS6_EEE10hipError_tPvRmT3_T4_T5_T6_T7_T9_mT8_P12ihipStream_tbDpT10_ENKUlT_T0_E_clISt17integral_constantIbLb1EES1B_IbLb0EEEEDaS17_S18_EUlS17_E_NS1_11comp_targetILNS1_3genE10ELNS1_11target_archE1200ELNS1_3gpuE4ELNS1_3repE0EEENS1_30default_config_static_selectorELNS0_4arch9wavefront6targetE1EEEvT1_, .Lfunc_end192-_ZN7rocprim17ROCPRIM_400000_NS6detail17trampoline_kernelINS0_14default_configENS1_25partition_config_selectorILNS1_17partition_subalgoE8ElNS0_10empty_typeEbEEZZNS1_14partition_implILS5_8ELb0ES3_jPlPS6_PKS6_NS0_5tupleIJS9_S6_EEENSD_IJSA_SA_EEENS0_18inequality_wrapperIZN2at6native12_GLOBAL__N_124unique_dim_cuda_templateIhEESt5tupleIJNSH_6TensorESM_SM_EERKSM_lbbbEUlllE0_EEPmJS6_EEE10hipError_tPvRmT3_T4_T5_T6_T7_T9_mT8_P12ihipStream_tbDpT10_ENKUlT_T0_E_clISt17integral_constantIbLb1EES1B_IbLb0EEEEDaS17_S18_EUlS17_E_NS1_11comp_targetILNS1_3genE10ELNS1_11target_archE1200ELNS1_3gpuE4ELNS1_3repE0EEENS1_30default_config_static_selectorELNS0_4arch9wavefront6targetE1EEEvT1_
                                        ; -- End function
	.section	.AMDGPU.csdata,"",@progbits
; Kernel info:
; codeLenInByte = 0
; NumSgprs: 4
; NumVgprs: 0
; NumAgprs: 0
; TotalNumVgprs: 0
; ScratchSize: 0
; MemoryBound: 0
; FloatMode: 240
; IeeeMode: 1
; LDSByteSize: 0 bytes/workgroup (compile time only)
; SGPRBlocks: 0
; VGPRBlocks: 0
; NumSGPRsForWavesPerEU: 4
; NumVGPRsForWavesPerEU: 1
; AccumOffset: 4
; Occupancy: 8
; WaveLimiterHint : 0
; COMPUTE_PGM_RSRC2:SCRATCH_EN: 0
; COMPUTE_PGM_RSRC2:USER_SGPR: 6
; COMPUTE_PGM_RSRC2:TRAP_HANDLER: 0
; COMPUTE_PGM_RSRC2:TGID_X_EN: 1
; COMPUTE_PGM_RSRC2:TGID_Y_EN: 0
; COMPUTE_PGM_RSRC2:TGID_Z_EN: 0
; COMPUTE_PGM_RSRC2:TIDIG_COMP_CNT: 0
; COMPUTE_PGM_RSRC3_GFX90A:ACCUM_OFFSET: 0
; COMPUTE_PGM_RSRC3_GFX90A:TG_SPLIT: 0
	.section	.text._ZN7rocprim17ROCPRIM_400000_NS6detail17trampoline_kernelINS0_14default_configENS1_25partition_config_selectorILNS1_17partition_subalgoE8ElNS0_10empty_typeEbEEZZNS1_14partition_implILS5_8ELb0ES3_jPlPS6_PKS6_NS0_5tupleIJS9_S6_EEENSD_IJSA_SA_EEENS0_18inequality_wrapperIZN2at6native12_GLOBAL__N_124unique_dim_cuda_templateIhEESt5tupleIJNSH_6TensorESM_SM_EERKSM_lbbbEUlllE0_EEPmJS6_EEE10hipError_tPvRmT3_T4_T5_T6_T7_T9_mT8_P12ihipStream_tbDpT10_ENKUlT_T0_E_clISt17integral_constantIbLb1EES1B_IbLb0EEEEDaS17_S18_EUlS17_E_NS1_11comp_targetILNS1_3genE9ELNS1_11target_archE1100ELNS1_3gpuE3ELNS1_3repE0EEENS1_30default_config_static_selectorELNS0_4arch9wavefront6targetE1EEEvT1_,"axG",@progbits,_ZN7rocprim17ROCPRIM_400000_NS6detail17trampoline_kernelINS0_14default_configENS1_25partition_config_selectorILNS1_17partition_subalgoE8ElNS0_10empty_typeEbEEZZNS1_14partition_implILS5_8ELb0ES3_jPlPS6_PKS6_NS0_5tupleIJS9_S6_EEENSD_IJSA_SA_EEENS0_18inequality_wrapperIZN2at6native12_GLOBAL__N_124unique_dim_cuda_templateIhEESt5tupleIJNSH_6TensorESM_SM_EERKSM_lbbbEUlllE0_EEPmJS6_EEE10hipError_tPvRmT3_T4_T5_T6_T7_T9_mT8_P12ihipStream_tbDpT10_ENKUlT_T0_E_clISt17integral_constantIbLb1EES1B_IbLb0EEEEDaS17_S18_EUlS17_E_NS1_11comp_targetILNS1_3genE9ELNS1_11target_archE1100ELNS1_3gpuE3ELNS1_3repE0EEENS1_30default_config_static_selectorELNS0_4arch9wavefront6targetE1EEEvT1_,comdat
	.globl	_ZN7rocprim17ROCPRIM_400000_NS6detail17trampoline_kernelINS0_14default_configENS1_25partition_config_selectorILNS1_17partition_subalgoE8ElNS0_10empty_typeEbEEZZNS1_14partition_implILS5_8ELb0ES3_jPlPS6_PKS6_NS0_5tupleIJS9_S6_EEENSD_IJSA_SA_EEENS0_18inequality_wrapperIZN2at6native12_GLOBAL__N_124unique_dim_cuda_templateIhEESt5tupleIJNSH_6TensorESM_SM_EERKSM_lbbbEUlllE0_EEPmJS6_EEE10hipError_tPvRmT3_T4_T5_T6_T7_T9_mT8_P12ihipStream_tbDpT10_ENKUlT_T0_E_clISt17integral_constantIbLb1EES1B_IbLb0EEEEDaS17_S18_EUlS17_E_NS1_11comp_targetILNS1_3genE9ELNS1_11target_archE1100ELNS1_3gpuE3ELNS1_3repE0EEENS1_30default_config_static_selectorELNS0_4arch9wavefront6targetE1EEEvT1_ ; -- Begin function _ZN7rocprim17ROCPRIM_400000_NS6detail17trampoline_kernelINS0_14default_configENS1_25partition_config_selectorILNS1_17partition_subalgoE8ElNS0_10empty_typeEbEEZZNS1_14partition_implILS5_8ELb0ES3_jPlPS6_PKS6_NS0_5tupleIJS9_S6_EEENSD_IJSA_SA_EEENS0_18inequality_wrapperIZN2at6native12_GLOBAL__N_124unique_dim_cuda_templateIhEESt5tupleIJNSH_6TensorESM_SM_EERKSM_lbbbEUlllE0_EEPmJS6_EEE10hipError_tPvRmT3_T4_T5_T6_T7_T9_mT8_P12ihipStream_tbDpT10_ENKUlT_T0_E_clISt17integral_constantIbLb1EES1B_IbLb0EEEEDaS17_S18_EUlS17_E_NS1_11comp_targetILNS1_3genE9ELNS1_11target_archE1100ELNS1_3gpuE3ELNS1_3repE0EEENS1_30default_config_static_selectorELNS0_4arch9wavefront6targetE1EEEvT1_
	.p2align	8
	.type	_ZN7rocprim17ROCPRIM_400000_NS6detail17trampoline_kernelINS0_14default_configENS1_25partition_config_selectorILNS1_17partition_subalgoE8ElNS0_10empty_typeEbEEZZNS1_14partition_implILS5_8ELb0ES3_jPlPS6_PKS6_NS0_5tupleIJS9_S6_EEENSD_IJSA_SA_EEENS0_18inequality_wrapperIZN2at6native12_GLOBAL__N_124unique_dim_cuda_templateIhEESt5tupleIJNSH_6TensorESM_SM_EERKSM_lbbbEUlllE0_EEPmJS6_EEE10hipError_tPvRmT3_T4_T5_T6_T7_T9_mT8_P12ihipStream_tbDpT10_ENKUlT_T0_E_clISt17integral_constantIbLb1EES1B_IbLb0EEEEDaS17_S18_EUlS17_E_NS1_11comp_targetILNS1_3genE9ELNS1_11target_archE1100ELNS1_3gpuE3ELNS1_3repE0EEENS1_30default_config_static_selectorELNS0_4arch9wavefront6targetE1EEEvT1_,@function
_ZN7rocprim17ROCPRIM_400000_NS6detail17trampoline_kernelINS0_14default_configENS1_25partition_config_selectorILNS1_17partition_subalgoE8ElNS0_10empty_typeEbEEZZNS1_14partition_implILS5_8ELb0ES3_jPlPS6_PKS6_NS0_5tupleIJS9_S6_EEENSD_IJSA_SA_EEENS0_18inequality_wrapperIZN2at6native12_GLOBAL__N_124unique_dim_cuda_templateIhEESt5tupleIJNSH_6TensorESM_SM_EERKSM_lbbbEUlllE0_EEPmJS6_EEE10hipError_tPvRmT3_T4_T5_T6_T7_T9_mT8_P12ihipStream_tbDpT10_ENKUlT_T0_E_clISt17integral_constantIbLb1EES1B_IbLb0EEEEDaS17_S18_EUlS17_E_NS1_11comp_targetILNS1_3genE9ELNS1_11target_archE1100ELNS1_3gpuE3ELNS1_3repE0EEENS1_30default_config_static_selectorELNS0_4arch9wavefront6targetE1EEEvT1_: ; @_ZN7rocprim17ROCPRIM_400000_NS6detail17trampoline_kernelINS0_14default_configENS1_25partition_config_selectorILNS1_17partition_subalgoE8ElNS0_10empty_typeEbEEZZNS1_14partition_implILS5_8ELb0ES3_jPlPS6_PKS6_NS0_5tupleIJS9_S6_EEENSD_IJSA_SA_EEENS0_18inequality_wrapperIZN2at6native12_GLOBAL__N_124unique_dim_cuda_templateIhEESt5tupleIJNSH_6TensorESM_SM_EERKSM_lbbbEUlllE0_EEPmJS6_EEE10hipError_tPvRmT3_T4_T5_T6_T7_T9_mT8_P12ihipStream_tbDpT10_ENKUlT_T0_E_clISt17integral_constantIbLb1EES1B_IbLb0EEEEDaS17_S18_EUlS17_E_NS1_11comp_targetILNS1_3genE9ELNS1_11target_archE1100ELNS1_3gpuE3ELNS1_3repE0EEENS1_30default_config_static_selectorELNS0_4arch9wavefront6targetE1EEEvT1_
; %bb.0:
	.section	.rodata,"a",@progbits
	.p2align	6, 0x0
	.amdhsa_kernel _ZN7rocprim17ROCPRIM_400000_NS6detail17trampoline_kernelINS0_14default_configENS1_25partition_config_selectorILNS1_17partition_subalgoE8ElNS0_10empty_typeEbEEZZNS1_14partition_implILS5_8ELb0ES3_jPlPS6_PKS6_NS0_5tupleIJS9_S6_EEENSD_IJSA_SA_EEENS0_18inequality_wrapperIZN2at6native12_GLOBAL__N_124unique_dim_cuda_templateIhEESt5tupleIJNSH_6TensorESM_SM_EERKSM_lbbbEUlllE0_EEPmJS6_EEE10hipError_tPvRmT3_T4_T5_T6_T7_T9_mT8_P12ihipStream_tbDpT10_ENKUlT_T0_E_clISt17integral_constantIbLb1EES1B_IbLb0EEEEDaS17_S18_EUlS17_E_NS1_11comp_targetILNS1_3genE9ELNS1_11target_archE1100ELNS1_3gpuE3ELNS1_3repE0EEENS1_30default_config_static_selectorELNS0_4arch9wavefront6targetE1EEEvT1_
		.amdhsa_group_segment_fixed_size 0
		.amdhsa_private_segment_fixed_size 0
		.amdhsa_kernarg_size 120
		.amdhsa_user_sgpr_count 6
		.amdhsa_user_sgpr_private_segment_buffer 1
		.amdhsa_user_sgpr_dispatch_ptr 0
		.amdhsa_user_sgpr_queue_ptr 0
		.amdhsa_user_sgpr_kernarg_segment_ptr 1
		.amdhsa_user_sgpr_dispatch_id 0
		.amdhsa_user_sgpr_flat_scratch_init 0
		.amdhsa_user_sgpr_kernarg_preload_length 0
		.amdhsa_user_sgpr_kernarg_preload_offset 0
		.amdhsa_user_sgpr_private_segment_size 0
		.amdhsa_uses_dynamic_stack 0
		.amdhsa_system_sgpr_private_segment_wavefront_offset 0
		.amdhsa_system_sgpr_workgroup_id_x 1
		.amdhsa_system_sgpr_workgroup_id_y 0
		.amdhsa_system_sgpr_workgroup_id_z 0
		.amdhsa_system_sgpr_workgroup_info 0
		.amdhsa_system_vgpr_workitem_id 0
		.amdhsa_next_free_vgpr 1
		.amdhsa_next_free_sgpr 0
		.amdhsa_accum_offset 4
		.amdhsa_reserve_vcc 0
		.amdhsa_reserve_flat_scratch 0
		.amdhsa_float_round_mode_32 0
		.amdhsa_float_round_mode_16_64 0
		.amdhsa_float_denorm_mode_32 3
		.amdhsa_float_denorm_mode_16_64 3
		.amdhsa_dx10_clamp 1
		.amdhsa_ieee_mode 1
		.amdhsa_fp16_overflow 0
		.amdhsa_tg_split 0
		.amdhsa_exception_fp_ieee_invalid_op 0
		.amdhsa_exception_fp_denorm_src 0
		.amdhsa_exception_fp_ieee_div_zero 0
		.amdhsa_exception_fp_ieee_overflow 0
		.amdhsa_exception_fp_ieee_underflow 0
		.amdhsa_exception_fp_ieee_inexact 0
		.amdhsa_exception_int_div_zero 0
	.end_amdhsa_kernel
	.section	.text._ZN7rocprim17ROCPRIM_400000_NS6detail17trampoline_kernelINS0_14default_configENS1_25partition_config_selectorILNS1_17partition_subalgoE8ElNS0_10empty_typeEbEEZZNS1_14partition_implILS5_8ELb0ES3_jPlPS6_PKS6_NS0_5tupleIJS9_S6_EEENSD_IJSA_SA_EEENS0_18inequality_wrapperIZN2at6native12_GLOBAL__N_124unique_dim_cuda_templateIhEESt5tupleIJNSH_6TensorESM_SM_EERKSM_lbbbEUlllE0_EEPmJS6_EEE10hipError_tPvRmT3_T4_T5_T6_T7_T9_mT8_P12ihipStream_tbDpT10_ENKUlT_T0_E_clISt17integral_constantIbLb1EES1B_IbLb0EEEEDaS17_S18_EUlS17_E_NS1_11comp_targetILNS1_3genE9ELNS1_11target_archE1100ELNS1_3gpuE3ELNS1_3repE0EEENS1_30default_config_static_selectorELNS0_4arch9wavefront6targetE1EEEvT1_,"axG",@progbits,_ZN7rocprim17ROCPRIM_400000_NS6detail17trampoline_kernelINS0_14default_configENS1_25partition_config_selectorILNS1_17partition_subalgoE8ElNS0_10empty_typeEbEEZZNS1_14partition_implILS5_8ELb0ES3_jPlPS6_PKS6_NS0_5tupleIJS9_S6_EEENSD_IJSA_SA_EEENS0_18inequality_wrapperIZN2at6native12_GLOBAL__N_124unique_dim_cuda_templateIhEESt5tupleIJNSH_6TensorESM_SM_EERKSM_lbbbEUlllE0_EEPmJS6_EEE10hipError_tPvRmT3_T4_T5_T6_T7_T9_mT8_P12ihipStream_tbDpT10_ENKUlT_T0_E_clISt17integral_constantIbLb1EES1B_IbLb0EEEEDaS17_S18_EUlS17_E_NS1_11comp_targetILNS1_3genE9ELNS1_11target_archE1100ELNS1_3gpuE3ELNS1_3repE0EEENS1_30default_config_static_selectorELNS0_4arch9wavefront6targetE1EEEvT1_,comdat
.Lfunc_end193:
	.size	_ZN7rocprim17ROCPRIM_400000_NS6detail17trampoline_kernelINS0_14default_configENS1_25partition_config_selectorILNS1_17partition_subalgoE8ElNS0_10empty_typeEbEEZZNS1_14partition_implILS5_8ELb0ES3_jPlPS6_PKS6_NS0_5tupleIJS9_S6_EEENSD_IJSA_SA_EEENS0_18inequality_wrapperIZN2at6native12_GLOBAL__N_124unique_dim_cuda_templateIhEESt5tupleIJNSH_6TensorESM_SM_EERKSM_lbbbEUlllE0_EEPmJS6_EEE10hipError_tPvRmT3_T4_T5_T6_T7_T9_mT8_P12ihipStream_tbDpT10_ENKUlT_T0_E_clISt17integral_constantIbLb1EES1B_IbLb0EEEEDaS17_S18_EUlS17_E_NS1_11comp_targetILNS1_3genE9ELNS1_11target_archE1100ELNS1_3gpuE3ELNS1_3repE0EEENS1_30default_config_static_selectorELNS0_4arch9wavefront6targetE1EEEvT1_, .Lfunc_end193-_ZN7rocprim17ROCPRIM_400000_NS6detail17trampoline_kernelINS0_14default_configENS1_25partition_config_selectorILNS1_17partition_subalgoE8ElNS0_10empty_typeEbEEZZNS1_14partition_implILS5_8ELb0ES3_jPlPS6_PKS6_NS0_5tupleIJS9_S6_EEENSD_IJSA_SA_EEENS0_18inequality_wrapperIZN2at6native12_GLOBAL__N_124unique_dim_cuda_templateIhEESt5tupleIJNSH_6TensorESM_SM_EERKSM_lbbbEUlllE0_EEPmJS6_EEE10hipError_tPvRmT3_T4_T5_T6_T7_T9_mT8_P12ihipStream_tbDpT10_ENKUlT_T0_E_clISt17integral_constantIbLb1EES1B_IbLb0EEEEDaS17_S18_EUlS17_E_NS1_11comp_targetILNS1_3genE9ELNS1_11target_archE1100ELNS1_3gpuE3ELNS1_3repE0EEENS1_30default_config_static_selectorELNS0_4arch9wavefront6targetE1EEEvT1_
                                        ; -- End function
	.section	.AMDGPU.csdata,"",@progbits
; Kernel info:
; codeLenInByte = 0
; NumSgprs: 4
; NumVgprs: 0
; NumAgprs: 0
; TotalNumVgprs: 0
; ScratchSize: 0
; MemoryBound: 0
; FloatMode: 240
; IeeeMode: 1
; LDSByteSize: 0 bytes/workgroup (compile time only)
; SGPRBlocks: 0
; VGPRBlocks: 0
; NumSGPRsForWavesPerEU: 4
; NumVGPRsForWavesPerEU: 1
; AccumOffset: 4
; Occupancy: 8
; WaveLimiterHint : 0
; COMPUTE_PGM_RSRC2:SCRATCH_EN: 0
; COMPUTE_PGM_RSRC2:USER_SGPR: 6
; COMPUTE_PGM_RSRC2:TRAP_HANDLER: 0
; COMPUTE_PGM_RSRC2:TGID_X_EN: 1
; COMPUTE_PGM_RSRC2:TGID_Y_EN: 0
; COMPUTE_PGM_RSRC2:TGID_Z_EN: 0
; COMPUTE_PGM_RSRC2:TIDIG_COMP_CNT: 0
; COMPUTE_PGM_RSRC3_GFX90A:ACCUM_OFFSET: 0
; COMPUTE_PGM_RSRC3_GFX90A:TG_SPLIT: 0
	.section	.text._ZN7rocprim17ROCPRIM_400000_NS6detail17trampoline_kernelINS0_14default_configENS1_25partition_config_selectorILNS1_17partition_subalgoE8ElNS0_10empty_typeEbEEZZNS1_14partition_implILS5_8ELb0ES3_jPlPS6_PKS6_NS0_5tupleIJS9_S6_EEENSD_IJSA_SA_EEENS0_18inequality_wrapperIZN2at6native12_GLOBAL__N_124unique_dim_cuda_templateIhEESt5tupleIJNSH_6TensorESM_SM_EERKSM_lbbbEUlllE0_EEPmJS6_EEE10hipError_tPvRmT3_T4_T5_T6_T7_T9_mT8_P12ihipStream_tbDpT10_ENKUlT_T0_E_clISt17integral_constantIbLb1EES1B_IbLb0EEEEDaS17_S18_EUlS17_E_NS1_11comp_targetILNS1_3genE8ELNS1_11target_archE1030ELNS1_3gpuE2ELNS1_3repE0EEENS1_30default_config_static_selectorELNS0_4arch9wavefront6targetE1EEEvT1_,"axG",@progbits,_ZN7rocprim17ROCPRIM_400000_NS6detail17trampoline_kernelINS0_14default_configENS1_25partition_config_selectorILNS1_17partition_subalgoE8ElNS0_10empty_typeEbEEZZNS1_14partition_implILS5_8ELb0ES3_jPlPS6_PKS6_NS0_5tupleIJS9_S6_EEENSD_IJSA_SA_EEENS0_18inequality_wrapperIZN2at6native12_GLOBAL__N_124unique_dim_cuda_templateIhEESt5tupleIJNSH_6TensorESM_SM_EERKSM_lbbbEUlllE0_EEPmJS6_EEE10hipError_tPvRmT3_T4_T5_T6_T7_T9_mT8_P12ihipStream_tbDpT10_ENKUlT_T0_E_clISt17integral_constantIbLb1EES1B_IbLb0EEEEDaS17_S18_EUlS17_E_NS1_11comp_targetILNS1_3genE8ELNS1_11target_archE1030ELNS1_3gpuE2ELNS1_3repE0EEENS1_30default_config_static_selectorELNS0_4arch9wavefront6targetE1EEEvT1_,comdat
	.globl	_ZN7rocprim17ROCPRIM_400000_NS6detail17trampoline_kernelINS0_14default_configENS1_25partition_config_selectorILNS1_17partition_subalgoE8ElNS0_10empty_typeEbEEZZNS1_14partition_implILS5_8ELb0ES3_jPlPS6_PKS6_NS0_5tupleIJS9_S6_EEENSD_IJSA_SA_EEENS0_18inequality_wrapperIZN2at6native12_GLOBAL__N_124unique_dim_cuda_templateIhEESt5tupleIJNSH_6TensorESM_SM_EERKSM_lbbbEUlllE0_EEPmJS6_EEE10hipError_tPvRmT3_T4_T5_T6_T7_T9_mT8_P12ihipStream_tbDpT10_ENKUlT_T0_E_clISt17integral_constantIbLb1EES1B_IbLb0EEEEDaS17_S18_EUlS17_E_NS1_11comp_targetILNS1_3genE8ELNS1_11target_archE1030ELNS1_3gpuE2ELNS1_3repE0EEENS1_30default_config_static_selectorELNS0_4arch9wavefront6targetE1EEEvT1_ ; -- Begin function _ZN7rocprim17ROCPRIM_400000_NS6detail17trampoline_kernelINS0_14default_configENS1_25partition_config_selectorILNS1_17partition_subalgoE8ElNS0_10empty_typeEbEEZZNS1_14partition_implILS5_8ELb0ES3_jPlPS6_PKS6_NS0_5tupleIJS9_S6_EEENSD_IJSA_SA_EEENS0_18inequality_wrapperIZN2at6native12_GLOBAL__N_124unique_dim_cuda_templateIhEESt5tupleIJNSH_6TensorESM_SM_EERKSM_lbbbEUlllE0_EEPmJS6_EEE10hipError_tPvRmT3_T4_T5_T6_T7_T9_mT8_P12ihipStream_tbDpT10_ENKUlT_T0_E_clISt17integral_constantIbLb1EES1B_IbLb0EEEEDaS17_S18_EUlS17_E_NS1_11comp_targetILNS1_3genE8ELNS1_11target_archE1030ELNS1_3gpuE2ELNS1_3repE0EEENS1_30default_config_static_selectorELNS0_4arch9wavefront6targetE1EEEvT1_
	.p2align	8
	.type	_ZN7rocprim17ROCPRIM_400000_NS6detail17trampoline_kernelINS0_14default_configENS1_25partition_config_selectorILNS1_17partition_subalgoE8ElNS0_10empty_typeEbEEZZNS1_14partition_implILS5_8ELb0ES3_jPlPS6_PKS6_NS0_5tupleIJS9_S6_EEENSD_IJSA_SA_EEENS0_18inequality_wrapperIZN2at6native12_GLOBAL__N_124unique_dim_cuda_templateIhEESt5tupleIJNSH_6TensorESM_SM_EERKSM_lbbbEUlllE0_EEPmJS6_EEE10hipError_tPvRmT3_T4_T5_T6_T7_T9_mT8_P12ihipStream_tbDpT10_ENKUlT_T0_E_clISt17integral_constantIbLb1EES1B_IbLb0EEEEDaS17_S18_EUlS17_E_NS1_11comp_targetILNS1_3genE8ELNS1_11target_archE1030ELNS1_3gpuE2ELNS1_3repE0EEENS1_30default_config_static_selectorELNS0_4arch9wavefront6targetE1EEEvT1_,@function
_ZN7rocprim17ROCPRIM_400000_NS6detail17trampoline_kernelINS0_14default_configENS1_25partition_config_selectorILNS1_17partition_subalgoE8ElNS0_10empty_typeEbEEZZNS1_14partition_implILS5_8ELb0ES3_jPlPS6_PKS6_NS0_5tupleIJS9_S6_EEENSD_IJSA_SA_EEENS0_18inequality_wrapperIZN2at6native12_GLOBAL__N_124unique_dim_cuda_templateIhEESt5tupleIJNSH_6TensorESM_SM_EERKSM_lbbbEUlllE0_EEPmJS6_EEE10hipError_tPvRmT3_T4_T5_T6_T7_T9_mT8_P12ihipStream_tbDpT10_ENKUlT_T0_E_clISt17integral_constantIbLb1EES1B_IbLb0EEEEDaS17_S18_EUlS17_E_NS1_11comp_targetILNS1_3genE8ELNS1_11target_archE1030ELNS1_3gpuE2ELNS1_3repE0EEENS1_30default_config_static_selectorELNS0_4arch9wavefront6targetE1EEEvT1_: ; @_ZN7rocprim17ROCPRIM_400000_NS6detail17trampoline_kernelINS0_14default_configENS1_25partition_config_selectorILNS1_17partition_subalgoE8ElNS0_10empty_typeEbEEZZNS1_14partition_implILS5_8ELb0ES3_jPlPS6_PKS6_NS0_5tupleIJS9_S6_EEENSD_IJSA_SA_EEENS0_18inequality_wrapperIZN2at6native12_GLOBAL__N_124unique_dim_cuda_templateIhEESt5tupleIJNSH_6TensorESM_SM_EERKSM_lbbbEUlllE0_EEPmJS6_EEE10hipError_tPvRmT3_T4_T5_T6_T7_T9_mT8_P12ihipStream_tbDpT10_ENKUlT_T0_E_clISt17integral_constantIbLb1EES1B_IbLb0EEEEDaS17_S18_EUlS17_E_NS1_11comp_targetILNS1_3genE8ELNS1_11target_archE1030ELNS1_3gpuE2ELNS1_3repE0EEENS1_30default_config_static_selectorELNS0_4arch9wavefront6targetE1EEEvT1_
; %bb.0:
	.section	.rodata,"a",@progbits
	.p2align	6, 0x0
	.amdhsa_kernel _ZN7rocprim17ROCPRIM_400000_NS6detail17trampoline_kernelINS0_14default_configENS1_25partition_config_selectorILNS1_17partition_subalgoE8ElNS0_10empty_typeEbEEZZNS1_14partition_implILS5_8ELb0ES3_jPlPS6_PKS6_NS0_5tupleIJS9_S6_EEENSD_IJSA_SA_EEENS0_18inequality_wrapperIZN2at6native12_GLOBAL__N_124unique_dim_cuda_templateIhEESt5tupleIJNSH_6TensorESM_SM_EERKSM_lbbbEUlllE0_EEPmJS6_EEE10hipError_tPvRmT3_T4_T5_T6_T7_T9_mT8_P12ihipStream_tbDpT10_ENKUlT_T0_E_clISt17integral_constantIbLb1EES1B_IbLb0EEEEDaS17_S18_EUlS17_E_NS1_11comp_targetILNS1_3genE8ELNS1_11target_archE1030ELNS1_3gpuE2ELNS1_3repE0EEENS1_30default_config_static_selectorELNS0_4arch9wavefront6targetE1EEEvT1_
		.amdhsa_group_segment_fixed_size 0
		.amdhsa_private_segment_fixed_size 0
		.amdhsa_kernarg_size 120
		.amdhsa_user_sgpr_count 6
		.amdhsa_user_sgpr_private_segment_buffer 1
		.amdhsa_user_sgpr_dispatch_ptr 0
		.amdhsa_user_sgpr_queue_ptr 0
		.amdhsa_user_sgpr_kernarg_segment_ptr 1
		.amdhsa_user_sgpr_dispatch_id 0
		.amdhsa_user_sgpr_flat_scratch_init 0
		.amdhsa_user_sgpr_kernarg_preload_length 0
		.amdhsa_user_sgpr_kernarg_preload_offset 0
		.amdhsa_user_sgpr_private_segment_size 0
		.amdhsa_uses_dynamic_stack 0
		.amdhsa_system_sgpr_private_segment_wavefront_offset 0
		.amdhsa_system_sgpr_workgroup_id_x 1
		.amdhsa_system_sgpr_workgroup_id_y 0
		.amdhsa_system_sgpr_workgroup_id_z 0
		.amdhsa_system_sgpr_workgroup_info 0
		.amdhsa_system_vgpr_workitem_id 0
		.amdhsa_next_free_vgpr 1
		.amdhsa_next_free_sgpr 0
		.amdhsa_accum_offset 4
		.amdhsa_reserve_vcc 0
		.amdhsa_reserve_flat_scratch 0
		.amdhsa_float_round_mode_32 0
		.amdhsa_float_round_mode_16_64 0
		.amdhsa_float_denorm_mode_32 3
		.amdhsa_float_denorm_mode_16_64 3
		.amdhsa_dx10_clamp 1
		.amdhsa_ieee_mode 1
		.amdhsa_fp16_overflow 0
		.amdhsa_tg_split 0
		.amdhsa_exception_fp_ieee_invalid_op 0
		.amdhsa_exception_fp_denorm_src 0
		.amdhsa_exception_fp_ieee_div_zero 0
		.amdhsa_exception_fp_ieee_overflow 0
		.amdhsa_exception_fp_ieee_underflow 0
		.amdhsa_exception_fp_ieee_inexact 0
		.amdhsa_exception_int_div_zero 0
	.end_amdhsa_kernel
	.section	.text._ZN7rocprim17ROCPRIM_400000_NS6detail17trampoline_kernelINS0_14default_configENS1_25partition_config_selectorILNS1_17partition_subalgoE8ElNS0_10empty_typeEbEEZZNS1_14partition_implILS5_8ELb0ES3_jPlPS6_PKS6_NS0_5tupleIJS9_S6_EEENSD_IJSA_SA_EEENS0_18inequality_wrapperIZN2at6native12_GLOBAL__N_124unique_dim_cuda_templateIhEESt5tupleIJNSH_6TensorESM_SM_EERKSM_lbbbEUlllE0_EEPmJS6_EEE10hipError_tPvRmT3_T4_T5_T6_T7_T9_mT8_P12ihipStream_tbDpT10_ENKUlT_T0_E_clISt17integral_constantIbLb1EES1B_IbLb0EEEEDaS17_S18_EUlS17_E_NS1_11comp_targetILNS1_3genE8ELNS1_11target_archE1030ELNS1_3gpuE2ELNS1_3repE0EEENS1_30default_config_static_selectorELNS0_4arch9wavefront6targetE1EEEvT1_,"axG",@progbits,_ZN7rocprim17ROCPRIM_400000_NS6detail17trampoline_kernelINS0_14default_configENS1_25partition_config_selectorILNS1_17partition_subalgoE8ElNS0_10empty_typeEbEEZZNS1_14partition_implILS5_8ELb0ES3_jPlPS6_PKS6_NS0_5tupleIJS9_S6_EEENSD_IJSA_SA_EEENS0_18inequality_wrapperIZN2at6native12_GLOBAL__N_124unique_dim_cuda_templateIhEESt5tupleIJNSH_6TensorESM_SM_EERKSM_lbbbEUlllE0_EEPmJS6_EEE10hipError_tPvRmT3_T4_T5_T6_T7_T9_mT8_P12ihipStream_tbDpT10_ENKUlT_T0_E_clISt17integral_constantIbLb1EES1B_IbLb0EEEEDaS17_S18_EUlS17_E_NS1_11comp_targetILNS1_3genE8ELNS1_11target_archE1030ELNS1_3gpuE2ELNS1_3repE0EEENS1_30default_config_static_selectorELNS0_4arch9wavefront6targetE1EEEvT1_,comdat
.Lfunc_end194:
	.size	_ZN7rocprim17ROCPRIM_400000_NS6detail17trampoline_kernelINS0_14default_configENS1_25partition_config_selectorILNS1_17partition_subalgoE8ElNS0_10empty_typeEbEEZZNS1_14partition_implILS5_8ELb0ES3_jPlPS6_PKS6_NS0_5tupleIJS9_S6_EEENSD_IJSA_SA_EEENS0_18inequality_wrapperIZN2at6native12_GLOBAL__N_124unique_dim_cuda_templateIhEESt5tupleIJNSH_6TensorESM_SM_EERKSM_lbbbEUlllE0_EEPmJS6_EEE10hipError_tPvRmT3_T4_T5_T6_T7_T9_mT8_P12ihipStream_tbDpT10_ENKUlT_T0_E_clISt17integral_constantIbLb1EES1B_IbLb0EEEEDaS17_S18_EUlS17_E_NS1_11comp_targetILNS1_3genE8ELNS1_11target_archE1030ELNS1_3gpuE2ELNS1_3repE0EEENS1_30default_config_static_selectorELNS0_4arch9wavefront6targetE1EEEvT1_, .Lfunc_end194-_ZN7rocprim17ROCPRIM_400000_NS6detail17trampoline_kernelINS0_14default_configENS1_25partition_config_selectorILNS1_17partition_subalgoE8ElNS0_10empty_typeEbEEZZNS1_14partition_implILS5_8ELb0ES3_jPlPS6_PKS6_NS0_5tupleIJS9_S6_EEENSD_IJSA_SA_EEENS0_18inequality_wrapperIZN2at6native12_GLOBAL__N_124unique_dim_cuda_templateIhEESt5tupleIJNSH_6TensorESM_SM_EERKSM_lbbbEUlllE0_EEPmJS6_EEE10hipError_tPvRmT3_T4_T5_T6_T7_T9_mT8_P12ihipStream_tbDpT10_ENKUlT_T0_E_clISt17integral_constantIbLb1EES1B_IbLb0EEEEDaS17_S18_EUlS17_E_NS1_11comp_targetILNS1_3genE8ELNS1_11target_archE1030ELNS1_3gpuE2ELNS1_3repE0EEENS1_30default_config_static_selectorELNS0_4arch9wavefront6targetE1EEEvT1_
                                        ; -- End function
	.section	.AMDGPU.csdata,"",@progbits
; Kernel info:
; codeLenInByte = 0
; NumSgprs: 4
; NumVgprs: 0
; NumAgprs: 0
; TotalNumVgprs: 0
; ScratchSize: 0
; MemoryBound: 0
; FloatMode: 240
; IeeeMode: 1
; LDSByteSize: 0 bytes/workgroup (compile time only)
; SGPRBlocks: 0
; VGPRBlocks: 0
; NumSGPRsForWavesPerEU: 4
; NumVGPRsForWavesPerEU: 1
; AccumOffset: 4
; Occupancy: 8
; WaveLimiterHint : 0
; COMPUTE_PGM_RSRC2:SCRATCH_EN: 0
; COMPUTE_PGM_RSRC2:USER_SGPR: 6
; COMPUTE_PGM_RSRC2:TRAP_HANDLER: 0
; COMPUTE_PGM_RSRC2:TGID_X_EN: 1
; COMPUTE_PGM_RSRC2:TGID_Y_EN: 0
; COMPUTE_PGM_RSRC2:TGID_Z_EN: 0
; COMPUTE_PGM_RSRC2:TIDIG_COMP_CNT: 0
; COMPUTE_PGM_RSRC3_GFX90A:ACCUM_OFFSET: 0
; COMPUTE_PGM_RSRC3_GFX90A:TG_SPLIT: 0
	.section	.text._ZN7rocprim17ROCPRIM_400000_NS6detail31init_lookback_scan_state_kernelINS1_19lookback_scan_stateIjLb0ELb1EEENS1_16block_id_wrapperIjLb1EEEEEvT_jT0_jPNS7_10value_typeE,"axG",@progbits,_ZN7rocprim17ROCPRIM_400000_NS6detail31init_lookback_scan_state_kernelINS1_19lookback_scan_stateIjLb0ELb1EEENS1_16block_id_wrapperIjLb1EEEEEvT_jT0_jPNS7_10value_typeE,comdat
	.protected	_ZN7rocprim17ROCPRIM_400000_NS6detail31init_lookback_scan_state_kernelINS1_19lookback_scan_stateIjLb0ELb1EEENS1_16block_id_wrapperIjLb1EEEEEvT_jT0_jPNS7_10value_typeE ; -- Begin function _ZN7rocprim17ROCPRIM_400000_NS6detail31init_lookback_scan_state_kernelINS1_19lookback_scan_stateIjLb0ELb1EEENS1_16block_id_wrapperIjLb1EEEEEvT_jT0_jPNS7_10value_typeE
	.globl	_ZN7rocprim17ROCPRIM_400000_NS6detail31init_lookback_scan_state_kernelINS1_19lookback_scan_stateIjLb0ELb1EEENS1_16block_id_wrapperIjLb1EEEEEvT_jT0_jPNS7_10value_typeE
	.p2align	8
	.type	_ZN7rocprim17ROCPRIM_400000_NS6detail31init_lookback_scan_state_kernelINS1_19lookback_scan_stateIjLb0ELb1EEENS1_16block_id_wrapperIjLb1EEEEEvT_jT0_jPNS7_10value_typeE,@function
_ZN7rocprim17ROCPRIM_400000_NS6detail31init_lookback_scan_state_kernelINS1_19lookback_scan_stateIjLb0ELb1EEENS1_16block_id_wrapperIjLb1EEEEEvT_jT0_jPNS7_10value_typeE: ; @_ZN7rocprim17ROCPRIM_400000_NS6detail31init_lookback_scan_state_kernelINS1_19lookback_scan_stateIjLb0ELb1EEENS1_16block_id_wrapperIjLb1EEEEEvT_jT0_jPNS7_10value_typeE
; %bb.0:
	s_load_dword s7, s[4:5], 0x34
	s_load_dwordx2 s[2:3], s[4:5], 0x20
	s_load_dwordx2 s[0:1], s[4:5], 0x0
	s_load_dword s10, s[4:5], 0x8
	s_waitcnt lgkmcnt(0)
	s_and_b32 s7, s7, 0xffff
	s_mul_i32 s6, s6, s7
	s_cmp_eq_u64 s[2:3], 0
	v_add_u32_e32 v0, s6, v0
	s_cbranch_scc1 .LBB195_6
; %bb.1:
	s_load_dword s8, s[4:5], 0x18
	s_mov_b32 s9, 0
	s_waitcnt lgkmcnt(0)
	s_cmp_lt_u32 s8, s10
	s_cselect_b32 s6, s8, 0
	v_cmp_eq_u32_e32 vcc, s6, v0
	s_and_saveexec_b64 s[6:7], vcc
	s_cbranch_execz .LBB195_5
; %bb.2:
	s_add_i32 s8, s8, 64
	s_lshl_b64 s[8:9], s[8:9], 3
	s_add_u32 s8, s0, s8
	s_addc_u32 s9, s1, s9
	v_mov_b32_e32 v4, 0
	global_load_dwordx2 v[2:3], v4, s[8:9] glc
	s_waitcnt vmcnt(0)
	v_and_b32_e32 v5, 0xff, v3
	v_cmp_ne_u64_e32 vcc, 0, v[4:5]
	s_cbranch_vccnz .LBB195_4
.LBB195_3:                              ; =>This Inner Loop Header: Depth=1
	global_load_dwordx2 v[2:3], v4, s[8:9] glc
	s_waitcnt vmcnt(0)
	v_and_b32_e32 v5, 0xff, v3
	v_cmp_eq_u64_e32 vcc, 0, v[4:5]
	s_cbranch_vccnz .LBB195_3
.LBB195_4:
	v_mov_b32_e32 v1, 0
	global_store_dword v1, v2, s[2:3]
.LBB195_5:
	s_or_b64 exec, exec, s[6:7]
.LBB195_6:
	v_cmp_eq_u32_e32 vcc, 0, v0
	s_and_saveexec_b64 s[2:3], vcc
	s_cbranch_execnz .LBB195_10
; %bb.7:
	s_or_b64 exec, exec, s[2:3]
	v_cmp_gt_u32_e32 vcc, s10, v0
	s_and_saveexec_b64 s[2:3], vcc
	s_cbranch_execnz .LBB195_11
.LBB195_8:
	s_or_b64 exec, exec, s[2:3]
	v_cmp_gt_u32_e32 vcc, 64, v0
	s_and_saveexec_b64 s[2:3], vcc
	s_cbranch_execnz .LBB195_12
.LBB195_9:
	s_endpgm
.LBB195_10:
	s_load_dwordx2 s[4:5], s[4:5], 0x10
	v_mov_b32_e32 v1, 0
	s_waitcnt lgkmcnt(0)
	global_store_dword v1, v1, s[4:5]
	s_or_b64 exec, exec, s[2:3]
	v_cmp_gt_u32_e32 vcc, s10, v0
	s_and_saveexec_b64 s[2:3], vcc
	s_cbranch_execz .LBB195_8
.LBB195_11:
	v_add_u32_e32 v2, 64, v0
	v_mov_b32_e32 v3, 0
	v_lshlrev_b64 v[4:5], 3, v[2:3]
	v_mov_b32_e32 v1, s1
	v_add_co_u32_e32 v4, vcc, s0, v4
	v_addc_co_u32_e32 v5, vcc, v1, v5, vcc
	v_mov_b32_e32 v2, v3
	global_store_dwordx2 v[4:5], v[2:3], off
	s_or_b64 exec, exec, s[2:3]
	v_cmp_gt_u32_e32 vcc, 64, v0
	s_and_saveexec_b64 s[2:3], vcc
	s_cbranch_execz .LBB195_9
.LBB195_12:
	v_mov_b32_e32 v1, 0
	v_lshlrev_b64 v[2:3], 3, v[0:1]
	v_mov_b32_e32 v0, s1
	v_add_co_u32_e32 v2, vcc, s0, v2
	v_addc_co_u32_e32 v3, vcc, v0, v3, vcc
	v_mov_b32_e32 v5, 0xff
	v_mov_b32_e32 v4, v1
	global_store_dwordx2 v[2:3], v[4:5], off
	s_endpgm
	.section	.rodata,"a",@progbits
	.p2align	6, 0x0
	.amdhsa_kernel _ZN7rocprim17ROCPRIM_400000_NS6detail31init_lookback_scan_state_kernelINS1_19lookback_scan_stateIjLb0ELb1EEENS1_16block_id_wrapperIjLb1EEEEEvT_jT0_jPNS7_10value_typeE
		.amdhsa_group_segment_fixed_size 0
		.amdhsa_private_segment_fixed_size 0
		.amdhsa_kernarg_size 296
		.amdhsa_user_sgpr_count 6
		.amdhsa_user_sgpr_private_segment_buffer 1
		.amdhsa_user_sgpr_dispatch_ptr 0
		.amdhsa_user_sgpr_queue_ptr 0
		.amdhsa_user_sgpr_kernarg_segment_ptr 1
		.amdhsa_user_sgpr_dispatch_id 0
		.amdhsa_user_sgpr_flat_scratch_init 0
		.amdhsa_user_sgpr_kernarg_preload_length 0
		.amdhsa_user_sgpr_kernarg_preload_offset 0
		.amdhsa_user_sgpr_private_segment_size 0
		.amdhsa_uses_dynamic_stack 0
		.amdhsa_system_sgpr_private_segment_wavefront_offset 0
		.amdhsa_system_sgpr_workgroup_id_x 1
		.amdhsa_system_sgpr_workgroup_id_y 0
		.amdhsa_system_sgpr_workgroup_id_z 0
		.amdhsa_system_sgpr_workgroup_info 0
		.amdhsa_system_vgpr_workitem_id 0
		.amdhsa_next_free_vgpr 6
		.amdhsa_next_free_sgpr 11
		.amdhsa_accum_offset 8
		.amdhsa_reserve_vcc 1
		.amdhsa_reserve_flat_scratch 0
		.amdhsa_float_round_mode_32 0
		.amdhsa_float_round_mode_16_64 0
		.amdhsa_float_denorm_mode_32 3
		.amdhsa_float_denorm_mode_16_64 3
		.amdhsa_dx10_clamp 1
		.amdhsa_ieee_mode 1
		.amdhsa_fp16_overflow 0
		.amdhsa_tg_split 0
		.amdhsa_exception_fp_ieee_invalid_op 0
		.amdhsa_exception_fp_denorm_src 0
		.amdhsa_exception_fp_ieee_div_zero 0
		.amdhsa_exception_fp_ieee_overflow 0
		.amdhsa_exception_fp_ieee_underflow 0
		.amdhsa_exception_fp_ieee_inexact 0
		.amdhsa_exception_int_div_zero 0
	.end_amdhsa_kernel
	.section	.text._ZN7rocprim17ROCPRIM_400000_NS6detail31init_lookback_scan_state_kernelINS1_19lookback_scan_stateIjLb0ELb1EEENS1_16block_id_wrapperIjLb1EEEEEvT_jT0_jPNS7_10value_typeE,"axG",@progbits,_ZN7rocprim17ROCPRIM_400000_NS6detail31init_lookback_scan_state_kernelINS1_19lookback_scan_stateIjLb0ELb1EEENS1_16block_id_wrapperIjLb1EEEEEvT_jT0_jPNS7_10value_typeE,comdat
.Lfunc_end195:
	.size	_ZN7rocprim17ROCPRIM_400000_NS6detail31init_lookback_scan_state_kernelINS1_19lookback_scan_stateIjLb0ELb1EEENS1_16block_id_wrapperIjLb1EEEEEvT_jT0_jPNS7_10value_typeE, .Lfunc_end195-_ZN7rocprim17ROCPRIM_400000_NS6detail31init_lookback_scan_state_kernelINS1_19lookback_scan_stateIjLb0ELb1EEENS1_16block_id_wrapperIjLb1EEEEEvT_jT0_jPNS7_10value_typeE
                                        ; -- End function
	.section	.AMDGPU.csdata,"",@progbits
; Kernel info:
; codeLenInByte = 380
; NumSgprs: 15
; NumVgprs: 6
; NumAgprs: 0
; TotalNumVgprs: 6
; ScratchSize: 0
; MemoryBound: 0
; FloatMode: 240
; IeeeMode: 1
; LDSByteSize: 0 bytes/workgroup (compile time only)
; SGPRBlocks: 1
; VGPRBlocks: 0
; NumSGPRsForWavesPerEU: 15
; NumVGPRsForWavesPerEU: 6
; AccumOffset: 8
; Occupancy: 8
; WaveLimiterHint : 0
; COMPUTE_PGM_RSRC2:SCRATCH_EN: 0
; COMPUTE_PGM_RSRC2:USER_SGPR: 6
; COMPUTE_PGM_RSRC2:TRAP_HANDLER: 0
; COMPUTE_PGM_RSRC2:TGID_X_EN: 1
; COMPUTE_PGM_RSRC2:TGID_Y_EN: 0
; COMPUTE_PGM_RSRC2:TGID_Z_EN: 0
; COMPUTE_PGM_RSRC2:TIDIG_COMP_CNT: 0
; COMPUTE_PGM_RSRC3_GFX90A:ACCUM_OFFSET: 1
; COMPUTE_PGM_RSRC3_GFX90A:TG_SPLIT: 0
	.section	.text._ZN7rocprim17ROCPRIM_400000_NS6detail17trampoline_kernelINS0_14default_configENS1_25partition_config_selectorILNS1_17partition_subalgoE8ElNS0_10empty_typeEbEEZZNS1_14partition_implILS5_8ELb0ES3_jPlPS6_PKS6_NS0_5tupleIJS9_S6_EEENSD_IJSA_SA_EEENS0_18inequality_wrapperIZN2at6native12_GLOBAL__N_124unique_dim_cuda_templateIhEESt5tupleIJNSH_6TensorESM_SM_EERKSM_lbbbEUlllE0_EEPmJS6_EEE10hipError_tPvRmT3_T4_T5_T6_T7_T9_mT8_P12ihipStream_tbDpT10_ENKUlT_T0_E_clISt17integral_constantIbLb0EES1B_IbLb1EEEEDaS17_S18_EUlS17_E_NS1_11comp_targetILNS1_3genE0ELNS1_11target_archE4294967295ELNS1_3gpuE0ELNS1_3repE0EEENS1_30default_config_static_selectorELNS0_4arch9wavefront6targetE1EEEvT1_,"axG",@progbits,_ZN7rocprim17ROCPRIM_400000_NS6detail17trampoline_kernelINS0_14default_configENS1_25partition_config_selectorILNS1_17partition_subalgoE8ElNS0_10empty_typeEbEEZZNS1_14partition_implILS5_8ELb0ES3_jPlPS6_PKS6_NS0_5tupleIJS9_S6_EEENSD_IJSA_SA_EEENS0_18inequality_wrapperIZN2at6native12_GLOBAL__N_124unique_dim_cuda_templateIhEESt5tupleIJNSH_6TensorESM_SM_EERKSM_lbbbEUlllE0_EEPmJS6_EEE10hipError_tPvRmT3_T4_T5_T6_T7_T9_mT8_P12ihipStream_tbDpT10_ENKUlT_T0_E_clISt17integral_constantIbLb0EES1B_IbLb1EEEEDaS17_S18_EUlS17_E_NS1_11comp_targetILNS1_3genE0ELNS1_11target_archE4294967295ELNS1_3gpuE0ELNS1_3repE0EEENS1_30default_config_static_selectorELNS0_4arch9wavefront6targetE1EEEvT1_,comdat
	.globl	_ZN7rocprim17ROCPRIM_400000_NS6detail17trampoline_kernelINS0_14default_configENS1_25partition_config_selectorILNS1_17partition_subalgoE8ElNS0_10empty_typeEbEEZZNS1_14partition_implILS5_8ELb0ES3_jPlPS6_PKS6_NS0_5tupleIJS9_S6_EEENSD_IJSA_SA_EEENS0_18inequality_wrapperIZN2at6native12_GLOBAL__N_124unique_dim_cuda_templateIhEESt5tupleIJNSH_6TensorESM_SM_EERKSM_lbbbEUlllE0_EEPmJS6_EEE10hipError_tPvRmT3_T4_T5_T6_T7_T9_mT8_P12ihipStream_tbDpT10_ENKUlT_T0_E_clISt17integral_constantIbLb0EES1B_IbLb1EEEEDaS17_S18_EUlS17_E_NS1_11comp_targetILNS1_3genE0ELNS1_11target_archE4294967295ELNS1_3gpuE0ELNS1_3repE0EEENS1_30default_config_static_selectorELNS0_4arch9wavefront6targetE1EEEvT1_ ; -- Begin function _ZN7rocprim17ROCPRIM_400000_NS6detail17trampoline_kernelINS0_14default_configENS1_25partition_config_selectorILNS1_17partition_subalgoE8ElNS0_10empty_typeEbEEZZNS1_14partition_implILS5_8ELb0ES3_jPlPS6_PKS6_NS0_5tupleIJS9_S6_EEENSD_IJSA_SA_EEENS0_18inequality_wrapperIZN2at6native12_GLOBAL__N_124unique_dim_cuda_templateIhEESt5tupleIJNSH_6TensorESM_SM_EERKSM_lbbbEUlllE0_EEPmJS6_EEE10hipError_tPvRmT3_T4_T5_T6_T7_T9_mT8_P12ihipStream_tbDpT10_ENKUlT_T0_E_clISt17integral_constantIbLb0EES1B_IbLb1EEEEDaS17_S18_EUlS17_E_NS1_11comp_targetILNS1_3genE0ELNS1_11target_archE4294967295ELNS1_3gpuE0ELNS1_3repE0EEENS1_30default_config_static_selectorELNS0_4arch9wavefront6targetE1EEEvT1_
	.p2align	8
	.type	_ZN7rocprim17ROCPRIM_400000_NS6detail17trampoline_kernelINS0_14default_configENS1_25partition_config_selectorILNS1_17partition_subalgoE8ElNS0_10empty_typeEbEEZZNS1_14partition_implILS5_8ELb0ES3_jPlPS6_PKS6_NS0_5tupleIJS9_S6_EEENSD_IJSA_SA_EEENS0_18inequality_wrapperIZN2at6native12_GLOBAL__N_124unique_dim_cuda_templateIhEESt5tupleIJNSH_6TensorESM_SM_EERKSM_lbbbEUlllE0_EEPmJS6_EEE10hipError_tPvRmT3_T4_T5_T6_T7_T9_mT8_P12ihipStream_tbDpT10_ENKUlT_T0_E_clISt17integral_constantIbLb0EES1B_IbLb1EEEEDaS17_S18_EUlS17_E_NS1_11comp_targetILNS1_3genE0ELNS1_11target_archE4294967295ELNS1_3gpuE0ELNS1_3repE0EEENS1_30default_config_static_selectorELNS0_4arch9wavefront6targetE1EEEvT1_,@function
_ZN7rocprim17ROCPRIM_400000_NS6detail17trampoline_kernelINS0_14default_configENS1_25partition_config_selectorILNS1_17partition_subalgoE8ElNS0_10empty_typeEbEEZZNS1_14partition_implILS5_8ELb0ES3_jPlPS6_PKS6_NS0_5tupleIJS9_S6_EEENSD_IJSA_SA_EEENS0_18inequality_wrapperIZN2at6native12_GLOBAL__N_124unique_dim_cuda_templateIhEESt5tupleIJNSH_6TensorESM_SM_EERKSM_lbbbEUlllE0_EEPmJS6_EEE10hipError_tPvRmT3_T4_T5_T6_T7_T9_mT8_P12ihipStream_tbDpT10_ENKUlT_T0_E_clISt17integral_constantIbLb0EES1B_IbLb1EEEEDaS17_S18_EUlS17_E_NS1_11comp_targetILNS1_3genE0ELNS1_11target_archE4294967295ELNS1_3gpuE0ELNS1_3repE0EEENS1_30default_config_static_selectorELNS0_4arch9wavefront6targetE1EEEvT1_: ; @_ZN7rocprim17ROCPRIM_400000_NS6detail17trampoline_kernelINS0_14default_configENS1_25partition_config_selectorILNS1_17partition_subalgoE8ElNS0_10empty_typeEbEEZZNS1_14partition_implILS5_8ELb0ES3_jPlPS6_PKS6_NS0_5tupleIJS9_S6_EEENSD_IJSA_SA_EEENS0_18inequality_wrapperIZN2at6native12_GLOBAL__N_124unique_dim_cuda_templateIhEESt5tupleIJNSH_6TensorESM_SM_EERKSM_lbbbEUlllE0_EEPmJS6_EEE10hipError_tPvRmT3_T4_T5_T6_T7_T9_mT8_P12ihipStream_tbDpT10_ENKUlT_T0_E_clISt17integral_constantIbLb0EES1B_IbLb1EEEEDaS17_S18_EUlS17_E_NS1_11comp_targetILNS1_3genE0ELNS1_11target_archE4294967295ELNS1_3gpuE0ELNS1_3repE0EEENS1_30default_config_static_selectorELNS0_4arch9wavefront6targetE1EEEvT1_
; %bb.0:
	.section	.rodata,"a",@progbits
	.p2align	6, 0x0
	.amdhsa_kernel _ZN7rocprim17ROCPRIM_400000_NS6detail17trampoline_kernelINS0_14default_configENS1_25partition_config_selectorILNS1_17partition_subalgoE8ElNS0_10empty_typeEbEEZZNS1_14partition_implILS5_8ELb0ES3_jPlPS6_PKS6_NS0_5tupleIJS9_S6_EEENSD_IJSA_SA_EEENS0_18inequality_wrapperIZN2at6native12_GLOBAL__N_124unique_dim_cuda_templateIhEESt5tupleIJNSH_6TensorESM_SM_EERKSM_lbbbEUlllE0_EEPmJS6_EEE10hipError_tPvRmT3_T4_T5_T6_T7_T9_mT8_P12ihipStream_tbDpT10_ENKUlT_T0_E_clISt17integral_constantIbLb0EES1B_IbLb1EEEEDaS17_S18_EUlS17_E_NS1_11comp_targetILNS1_3genE0ELNS1_11target_archE4294967295ELNS1_3gpuE0ELNS1_3repE0EEENS1_30default_config_static_selectorELNS0_4arch9wavefront6targetE1EEEvT1_
		.amdhsa_group_segment_fixed_size 0
		.amdhsa_private_segment_fixed_size 0
		.amdhsa_kernarg_size 136
		.amdhsa_user_sgpr_count 6
		.amdhsa_user_sgpr_private_segment_buffer 1
		.amdhsa_user_sgpr_dispatch_ptr 0
		.amdhsa_user_sgpr_queue_ptr 0
		.amdhsa_user_sgpr_kernarg_segment_ptr 1
		.amdhsa_user_sgpr_dispatch_id 0
		.amdhsa_user_sgpr_flat_scratch_init 0
		.amdhsa_user_sgpr_kernarg_preload_length 0
		.amdhsa_user_sgpr_kernarg_preload_offset 0
		.amdhsa_user_sgpr_private_segment_size 0
		.amdhsa_uses_dynamic_stack 0
		.amdhsa_system_sgpr_private_segment_wavefront_offset 0
		.amdhsa_system_sgpr_workgroup_id_x 1
		.amdhsa_system_sgpr_workgroup_id_y 0
		.amdhsa_system_sgpr_workgroup_id_z 0
		.amdhsa_system_sgpr_workgroup_info 0
		.amdhsa_system_vgpr_workitem_id 0
		.amdhsa_next_free_vgpr 1
		.amdhsa_next_free_sgpr 0
		.amdhsa_accum_offset 4
		.amdhsa_reserve_vcc 0
		.amdhsa_reserve_flat_scratch 0
		.amdhsa_float_round_mode_32 0
		.amdhsa_float_round_mode_16_64 0
		.amdhsa_float_denorm_mode_32 3
		.amdhsa_float_denorm_mode_16_64 3
		.amdhsa_dx10_clamp 1
		.amdhsa_ieee_mode 1
		.amdhsa_fp16_overflow 0
		.amdhsa_tg_split 0
		.amdhsa_exception_fp_ieee_invalid_op 0
		.amdhsa_exception_fp_denorm_src 0
		.amdhsa_exception_fp_ieee_div_zero 0
		.amdhsa_exception_fp_ieee_overflow 0
		.amdhsa_exception_fp_ieee_underflow 0
		.amdhsa_exception_fp_ieee_inexact 0
		.amdhsa_exception_int_div_zero 0
	.end_amdhsa_kernel
	.section	.text._ZN7rocprim17ROCPRIM_400000_NS6detail17trampoline_kernelINS0_14default_configENS1_25partition_config_selectorILNS1_17partition_subalgoE8ElNS0_10empty_typeEbEEZZNS1_14partition_implILS5_8ELb0ES3_jPlPS6_PKS6_NS0_5tupleIJS9_S6_EEENSD_IJSA_SA_EEENS0_18inequality_wrapperIZN2at6native12_GLOBAL__N_124unique_dim_cuda_templateIhEESt5tupleIJNSH_6TensorESM_SM_EERKSM_lbbbEUlllE0_EEPmJS6_EEE10hipError_tPvRmT3_T4_T5_T6_T7_T9_mT8_P12ihipStream_tbDpT10_ENKUlT_T0_E_clISt17integral_constantIbLb0EES1B_IbLb1EEEEDaS17_S18_EUlS17_E_NS1_11comp_targetILNS1_3genE0ELNS1_11target_archE4294967295ELNS1_3gpuE0ELNS1_3repE0EEENS1_30default_config_static_selectorELNS0_4arch9wavefront6targetE1EEEvT1_,"axG",@progbits,_ZN7rocprim17ROCPRIM_400000_NS6detail17trampoline_kernelINS0_14default_configENS1_25partition_config_selectorILNS1_17partition_subalgoE8ElNS0_10empty_typeEbEEZZNS1_14partition_implILS5_8ELb0ES3_jPlPS6_PKS6_NS0_5tupleIJS9_S6_EEENSD_IJSA_SA_EEENS0_18inequality_wrapperIZN2at6native12_GLOBAL__N_124unique_dim_cuda_templateIhEESt5tupleIJNSH_6TensorESM_SM_EERKSM_lbbbEUlllE0_EEPmJS6_EEE10hipError_tPvRmT3_T4_T5_T6_T7_T9_mT8_P12ihipStream_tbDpT10_ENKUlT_T0_E_clISt17integral_constantIbLb0EES1B_IbLb1EEEEDaS17_S18_EUlS17_E_NS1_11comp_targetILNS1_3genE0ELNS1_11target_archE4294967295ELNS1_3gpuE0ELNS1_3repE0EEENS1_30default_config_static_selectorELNS0_4arch9wavefront6targetE1EEEvT1_,comdat
.Lfunc_end196:
	.size	_ZN7rocprim17ROCPRIM_400000_NS6detail17trampoline_kernelINS0_14default_configENS1_25partition_config_selectorILNS1_17partition_subalgoE8ElNS0_10empty_typeEbEEZZNS1_14partition_implILS5_8ELb0ES3_jPlPS6_PKS6_NS0_5tupleIJS9_S6_EEENSD_IJSA_SA_EEENS0_18inequality_wrapperIZN2at6native12_GLOBAL__N_124unique_dim_cuda_templateIhEESt5tupleIJNSH_6TensorESM_SM_EERKSM_lbbbEUlllE0_EEPmJS6_EEE10hipError_tPvRmT3_T4_T5_T6_T7_T9_mT8_P12ihipStream_tbDpT10_ENKUlT_T0_E_clISt17integral_constantIbLb0EES1B_IbLb1EEEEDaS17_S18_EUlS17_E_NS1_11comp_targetILNS1_3genE0ELNS1_11target_archE4294967295ELNS1_3gpuE0ELNS1_3repE0EEENS1_30default_config_static_selectorELNS0_4arch9wavefront6targetE1EEEvT1_, .Lfunc_end196-_ZN7rocprim17ROCPRIM_400000_NS6detail17trampoline_kernelINS0_14default_configENS1_25partition_config_selectorILNS1_17partition_subalgoE8ElNS0_10empty_typeEbEEZZNS1_14partition_implILS5_8ELb0ES3_jPlPS6_PKS6_NS0_5tupleIJS9_S6_EEENSD_IJSA_SA_EEENS0_18inequality_wrapperIZN2at6native12_GLOBAL__N_124unique_dim_cuda_templateIhEESt5tupleIJNSH_6TensorESM_SM_EERKSM_lbbbEUlllE0_EEPmJS6_EEE10hipError_tPvRmT3_T4_T5_T6_T7_T9_mT8_P12ihipStream_tbDpT10_ENKUlT_T0_E_clISt17integral_constantIbLb0EES1B_IbLb1EEEEDaS17_S18_EUlS17_E_NS1_11comp_targetILNS1_3genE0ELNS1_11target_archE4294967295ELNS1_3gpuE0ELNS1_3repE0EEENS1_30default_config_static_selectorELNS0_4arch9wavefront6targetE1EEEvT1_
                                        ; -- End function
	.section	.AMDGPU.csdata,"",@progbits
; Kernel info:
; codeLenInByte = 0
; NumSgprs: 4
; NumVgprs: 0
; NumAgprs: 0
; TotalNumVgprs: 0
; ScratchSize: 0
; MemoryBound: 0
; FloatMode: 240
; IeeeMode: 1
; LDSByteSize: 0 bytes/workgroup (compile time only)
; SGPRBlocks: 0
; VGPRBlocks: 0
; NumSGPRsForWavesPerEU: 4
; NumVGPRsForWavesPerEU: 1
; AccumOffset: 4
; Occupancy: 8
; WaveLimiterHint : 0
; COMPUTE_PGM_RSRC2:SCRATCH_EN: 0
; COMPUTE_PGM_RSRC2:USER_SGPR: 6
; COMPUTE_PGM_RSRC2:TRAP_HANDLER: 0
; COMPUTE_PGM_RSRC2:TGID_X_EN: 1
; COMPUTE_PGM_RSRC2:TGID_Y_EN: 0
; COMPUTE_PGM_RSRC2:TGID_Z_EN: 0
; COMPUTE_PGM_RSRC2:TIDIG_COMP_CNT: 0
; COMPUTE_PGM_RSRC3_GFX90A:ACCUM_OFFSET: 0
; COMPUTE_PGM_RSRC3_GFX90A:TG_SPLIT: 0
	.section	.text._ZN7rocprim17ROCPRIM_400000_NS6detail17trampoline_kernelINS0_14default_configENS1_25partition_config_selectorILNS1_17partition_subalgoE8ElNS0_10empty_typeEbEEZZNS1_14partition_implILS5_8ELb0ES3_jPlPS6_PKS6_NS0_5tupleIJS9_S6_EEENSD_IJSA_SA_EEENS0_18inequality_wrapperIZN2at6native12_GLOBAL__N_124unique_dim_cuda_templateIhEESt5tupleIJNSH_6TensorESM_SM_EERKSM_lbbbEUlllE0_EEPmJS6_EEE10hipError_tPvRmT3_T4_T5_T6_T7_T9_mT8_P12ihipStream_tbDpT10_ENKUlT_T0_E_clISt17integral_constantIbLb0EES1B_IbLb1EEEEDaS17_S18_EUlS17_E_NS1_11comp_targetILNS1_3genE5ELNS1_11target_archE942ELNS1_3gpuE9ELNS1_3repE0EEENS1_30default_config_static_selectorELNS0_4arch9wavefront6targetE1EEEvT1_,"axG",@progbits,_ZN7rocprim17ROCPRIM_400000_NS6detail17trampoline_kernelINS0_14default_configENS1_25partition_config_selectorILNS1_17partition_subalgoE8ElNS0_10empty_typeEbEEZZNS1_14partition_implILS5_8ELb0ES3_jPlPS6_PKS6_NS0_5tupleIJS9_S6_EEENSD_IJSA_SA_EEENS0_18inequality_wrapperIZN2at6native12_GLOBAL__N_124unique_dim_cuda_templateIhEESt5tupleIJNSH_6TensorESM_SM_EERKSM_lbbbEUlllE0_EEPmJS6_EEE10hipError_tPvRmT3_T4_T5_T6_T7_T9_mT8_P12ihipStream_tbDpT10_ENKUlT_T0_E_clISt17integral_constantIbLb0EES1B_IbLb1EEEEDaS17_S18_EUlS17_E_NS1_11comp_targetILNS1_3genE5ELNS1_11target_archE942ELNS1_3gpuE9ELNS1_3repE0EEENS1_30default_config_static_selectorELNS0_4arch9wavefront6targetE1EEEvT1_,comdat
	.globl	_ZN7rocprim17ROCPRIM_400000_NS6detail17trampoline_kernelINS0_14default_configENS1_25partition_config_selectorILNS1_17partition_subalgoE8ElNS0_10empty_typeEbEEZZNS1_14partition_implILS5_8ELb0ES3_jPlPS6_PKS6_NS0_5tupleIJS9_S6_EEENSD_IJSA_SA_EEENS0_18inequality_wrapperIZN2at6native12_GLOBAL__N_124unique_dim_cuda_templateIhEESt5tupleIJNSH_6TensorESM_SM_EERKSM_lbbbEUlllE0_EEPmJS6_EEE10hipError_tPvRmT3_T4_T5_T6_T7_T9_mT8_P12ihipStream_tbDpT10_ENKUlT_T0_E_clISt17integral_constantIbLb0EES1B_IbLb1EEEEDaS17_S18_EUlS17_E_NS1_11comp_targetILNS1_3genE5ELNS1_11target_archE942ELNS1_3gpuE9ELNS1_3repE0EEENS1_30default_config_static_selectorELNS0_4arch9wavefront6targetE1EEEvT1_ ; -- Begin function _ZN7rocprim17ROCPRIM_400000_NS6detail17trampoline_kernelINS0_14default_configENS1_25partition_config_selectorILNS1_17partition_subalgoE8ElNS0_10empty_typeEbEEZZNS1_14partition_implILS5_8ELb0ES3_jPlPS6_PKS6_NS0_5tupleIJS9_S6_EEENSD_IJSA_SA_EEENS0_18inequality_wrapperIZN2at6native12_GLOBAL__N_124unique_dim_cuda_templateIhEESt5tupleIJNSH_6TensorESM_SM_EERKSM_lbbbEUlllE0_EEPmJS6_EEE10hipError_tPvRmT3_T4_T5_T6_T7_T9_mT8_P12ihipStream_tbDpT10_ENKUlT_T0_E_clISt17integral_constantIbLb0EES1B_IbLb1EEEEDaS17_S18_EUlS17_E_NS1_11comp_targetILNS1_3genE5ELNS1_11target_archE942ELNS1_3gpuE9ELNS1_3repE0EEENS1_30default_config_static_selectorELNS0_4arch9wavefront6targetE1EEEvT1_
	.p2align	8
	.type	_ZN7rocprim17ROCPRIM_400000_NS6detail17trampoline_kernelINS0_14default_configENS1_25partition_config_selectorILNS1_17partition_subalgoE8ElNS0_10empty_typeEbEEZZNS1_14partition_implILS5_8ELb0ES3_jPlPS6_PKS6_NS0_5tupleIJS9_S6_EEENSD_IJSA_SA_EEENS0_18inequality_wrapperIZN2at6native12_GLOBAL__N_124unique_dim_cuda_templateIhEESt5tupleIJNSH_6TensorESM_SM_EERKSM_lbbbEUlllE0_EEPmJS6_EEE10hipError_tPvRmT3_T4_T5_T6_T7_T9_mT8_P12ihipStream_tbDpT10_ENKUlT_T0_E_clISt17integral_constantIbLb0EES1B_IbLb1EEEEDaS17_S18_EUlS17_E_NS1_11comp_targetILNS1_3genE5ELNS1_11target_archE942ELNS1_3gpuE9ELNS1_3repE0EEENS1_30default_config_static_selectorELNS0_4arch9wavefront6targetE1EEEvT1_,@function
_ZN7rocprim17ROCPRIM_400000_NS6detail17trampoline_kernelINS0_14default_configENS1_25partition_config_selectorILNS1_17partition_subalgoE8ElNS0_10empty_typeEbEEZZNS1_14partition_implILS5_8ELb0ES3_jPlPS6_PKS6_NS0_5tupleIJS9_S6_EEENSD_IJSA_SA_EEENS0_18inequality_wrapperIZN2at6native12_GLOBAL__N_124unique_dim_cuda_templateIhEESt5tupleIJNSH_6TensorESM_SM_EERKSM_lbbbEUlllE0_EEPmJS6_EEE10hipError_tPvRmT3_T4_T5_T6_T7_T9_mT8_P12ihipStream_tbDpT10_ENKUlT_T0_E_clISt17integral_constantIbLb0EES1B_IbLb1EEEEDaS17_S18_EUlS17_E_NS1_11comp_targetILNS1_3genE5ELNS1_11target_archE942ELNS1_3gpuE9ELNS1_3repE0EEENS1_30default_config_static_selectorELNS0_4arch9wavefront6targetE1EEEvT1_: ; @_ZN7rocprim17ROCPRIM_400000_NS6detail17trampoline_kernelINS0_14default_configENS1_25partition_config_selectorILNS1_17partition_subalgoE8ElNS0_10empty_typeEbEEZZNS1_14partition_implILS5_8ELb0ES3_jPlPS6_PKS6_NS0_5tupleIJS9_S6_EEENSD_IJSA_SA_EEENS0_18inequality_wrapperIZN2at6native12_GLOBAL__N_124unique_dim_cuda_templateIhEESt5tupleIJNSH_6TensorESM_SM_EERKSM_lbbbEUlllE0_EEPmJS6_EEE10hipError_tPvRmT3_T4_T5_T6_T7_T9_mT8_P12ihipStream_tbDpT10_ENKUlT_T0_E_clISt17integral_constantIbLb0EES1B_IbLb1EEEEDaS17_S18_EUlS17_E_NS1_11comp_targetILNS1_3genE5ELNS1_11target_archE942ELNS1_3gpuE9ELNS1_3repE0EEENS1_30default_config_static_selectorELNS0_4arch9wavefront6targetE1EEEvT1_
; %bb.0:
	.section	.rodata,"a",@progbits
	.p2align	6, 0x0
	.amdhsa_kernel _ZN7rocprim17ROCPRIM_400000_NS6detail17trampoline_kernelINS0_14default_configENS1_25partition_config_selectorILNS1_17partition_subalgoE8ElNS0_10empty_typeEbEEZZNS1_14partition_implILS5_8ELb0ES3_jPlPS6_PKS6_NS0_5tupleIJS9_S6_EEENSD_IJSA_SA_EEENS0_18inequality_wrapperIZN2at6native12_GLOBAL__N_124unique_dim_cuda_templateIhEESt5tupleIJNSH_6TensorESM_SM_EERKSM_lbbbEUlllE0_EEPmJS6_EEE10hipError_tPvRmT3_T4_T5_T6_T7_T9_mT8_P12ihipStream_tbDpT10_ENKUlT_T0_E_clISt17integral_constantIbLb0EES1B_IbLb1EEEEDaS17_S18_EUlS17_E_NS1_11comp_targetILNS1_3genE5ELNS1_11target_archE942ELNS1_3gpuE9ELNS1_3repE0EEENS1_30default_config_static_selectorELNS0_4arch9wavefront6targetE1EEEvT1_
		.amdhsa_group_segment_fixed_size 0
		.amdhsa_private_segment_fixed_size 0
		.amdhsa_kernarg_size 136
		.amdhsa_user_sgpr_count 6
		.amdhsa_user_sgpr_private_segment_buffer 1
		.amdhsa_user_sgpr_dispatch_ptr 0
		.amdhsa_user_sgpr_queue_ptr 0
		.amdhsa_user_sgpr_kernarg_segment_ptr 1
		.amdhsa_user_sgpr_dispatch_id 0
		.amdhsa_user_sgpr_flat_scratch_init 0
		.amdhsa_user_sgpr_kernarg_preload_length 0
		.amdhsa_user_sgpr_kernarg_preload_offset 0
		.amdhsa_user_sgpr_private_segment_size 0
		.amdhsa_uses_dynamic_stack 0
		.amdhsa_system_sgpr_private_segment_wavefront_offset 0
		.amdhsa_system_sgpr_workgroup_id_x 1
		.amdhsa_system_sgpr_workgroup_id_y 0
		.amdhsa_system_sgpr_workgroup_id_z 0
		.amdhsa_system_sgpr_workgroup_info 0
		.amdhsa_system_vgpr_workitem_id 0
		.amdhsa_next_free_vgpr 1
		.amdhsa_next_free_sgpr 0
		.amdhsa_accum_offset 4
		.amdhsa_reserve_vcc 0
		.amdhsa_reserve_flat_scratch 0
		.amdhsa_float_round_mode_32 0
		.amdhsa_float_round_mode_16_64 0
		.amdhsa_float_denorm_mode_32 3
		.amdhsa_float_denorm_mode_16_64 3
		.amdhsa_dx10_clamp 1
		.amdhsa_ieee_mode 1
		.amdhsa_fp16_overflow 0
		.amdhsa_tg_split 0
		.amdhsa_exception_fp_ieee_invalid_op 0
		.amdhsa_exception_fp_denorm_src 0
		.amdhsa_exception_fp_ieee_div_zero 0
		.amdhsa_exception_fp_ieee_overflow 0
		.amdhsa_exception_fp_ieee_underflow 0
		.amdhsa_exception_fp_ieee_inexact 0
		.amdhsa_exception_int_div_zero 0
	.end_amdhsa_kernel
	.section	.text._ZN7rocprim17ROCPRIM_400000_NS6detail17trampoline_kernelINS0_14default_configENS1_25partition_config_selectorILNS1_17partition_subalgoE8ElNS0_10empty_typeEbEEZZNS1_14partition_implILS5_8ELb0ES3_jPlPS6_PKS6_NS0_5tupleIJS9_S6_EEENSD_IJSA_SA_EEENS0_18inequality_wrapperIZN2at6native12_GLOBAL__N_124unique_dim_cuda_templateIhEESt5tupleIJNSH_6TensorESM_SM_EERKSM_lbbbEUlllE0_EEPmJS6_EEE10hipError_tPvRmT3_T4_T5_T6_T7_T9_mT8_P12ihipStream_tbDpT10_ENKUlT_T0_E_clISt17integral_constantIbLb0EES1B_IbLb1EEEEDaS17_S18_EUlS17_E_NS1_11comp_targetILNS1_3genE5ELNS1_11target_archE942ELNS1_3gpuE9ELNS1_3repE0EEENS1_30default_config_static_selectorELNS0_4arch9wavefront6targetE1EEEvT1_,"axG",@progbits,_ZN7rocprim17ROCPRIM_400000_NS6detail17trampoline_kernelINS0_14default_configENS1_25partition_config_selectorILNS1_17partition_subalgoE8ElNS0_10empty_typeEbEEZZNS1_14partition_implILS5_8ELb0ES3_jPlPS6_PKS6_NS0_5tupleIJS9_S6_EEENSD_IJSA_SA_EEENS0_18inequality_wrapperIZN2at6native12_GLOBAL__N_124unique_dim_cuda_templateIhEESt5tupleIJNSH_6TensorESM_SM_EERKSM_lbbbEUlllE0_EEPmJS6_EEE10hipError_tPvRmT3_T4_T5_T6_T7_T9_mT8_P12ihipStream_tbDpT10_ENKUlT_T0_E_clISt17integral_constantIbLb0EES1B_IbLb1EEEEDaS17_S18_EUlS17_E_NS1_11comp_targetILNS1_3genE5ELNS1_11target_archE942ELNS1_3gpuE9ELNS1_3repE0EEENS1_30default_config_static_selectorELNS0_4arch9wavefront6targetE1EEEvT1_,comdat
.Lfunc_end197:
	.size	_ZN7rocprim17ROCPRIM_400000_NS6detail17trampoline_kernelINS0_14default_configENS1_25partition_config_selectorILNS1_17partition_subalgoE8ElNS0_10empty_typeEbEEZZNS1_14partition_implILS5_8ELb0ES3_jPlPS6_PKS6_NS0_5tupleIJS9_S6_EEENSD_IJSA_SA_EEENS0_18inequality_wrapperIZN2at6native12_GLOBAL__N_124unique_dim_cuda_templateIhEESt5tupleIJNSH_6TensorESM_SM_EERKSM_lbbbEUlllE0_EEPmJS6_EEE10hipError_tPvRmT3_T4_T5_T6_T7_T9_mT8_P12ihipStream_tbDpT10_ENKUlT_T0_E_clISt17integral_constantIbLb0EES1B_IbLb1EEEEDaS17_S18_EUlS17_E_NS1_11comp_targetILNS1_3genE5ELNS1_11target_archE942ELNS1_3gpuE9ELNS1_3repE0EEENS1_30default_config_static_selectorELNS0_4arch9wavefront6targetE1EEEvT1_, .Lfunc_end197-_ZN7rocprim17ROCPRIM_400000_NS6detail17trampoline_kernelINS0_14default_configENS1_25partition_config_selectorILNS1_17partition_subalgoE8ElNS0_10empty_typeEbEEZZNS1_14partition_implILS5_8ELb0ES3_jPlPS6_PKS6_NS0_5tupleIJS9_S6_EEENSD_IJSA_SA_EEENS0_18inequality_wrapperIZN2at6native12_GLOBAL__N_124unique_dim_cuda_templateIhEESt5tupleIJNSH_6TensorESM_SM_EERKSM_lbbbEUlllE0_EEPmJS6_EEE10hipError_tPvRmT3_T4_T5_T6_T7_T9_mT8_P12ihipStream_tbDpT10_ENKUlT_T0_E_clISt17integral_constantIbLb0EES1B_IbLb1EEEEDaS17_S18_EUlS17_E_NS1_11comp_targetILNS1_3genE5ELNS1_11target_archE942ELNS1_3gpuE9ELNS1_3repE0EEENS1_30default_config_static_selectorELNS0_4arch9wavefront6targetE1EEEvT1_
                                        ; -- End function
	.section	.AMDGPU.csdata,"",@progbits
; Kernel info:
; codeLenInByte = 0
; NumSgprs: 4
; NumVgprs: 0
; NumAgprs: 0
; TotalNumVgprs: 0
; ScratchSize: 0
; MemoryBound: 0
; FloatMode: 240
; IeeeMode: 1
; LDSByteSize: 0 bytes/workgroup (compile time only)
; SGPRBlocks: 0
; VGPRBlocks: 0
; NumSGPRsForWavesPerEU: 4
; NumVGPRsForWavesPerEU: 1
; AccumOffset: 4
; Occupancy: 8
; WaveLimiterHint : 0
; COMPUTE_PGM_RSRC2:SCRATCH_EN: 0
; COMPUTE_PGM_RSRC2:USER_SGPR: 6
; COMPUTE_PGM_RSRC2:TRAP_HANDLER: 0
; COMPUTE_PGM_RSRC2:TGID_X_EN: 1
; COMPUTE_PGM_RSRC2:TGID_Y_EN: 0
; COMPUTE_PGM_RSRC2:TGID_Z_EN: 0
; COMPUTE_PGM_RSRC2:TIDIG_COMP_CNT: 0
; COMPUTE_PGM_RSRC3_GFX90A:ACCUM_OFFSET: 0
; COMPUTE_PGM_RSRC3_GFX90A:TG_SPLIT: 0
	.section	.text._ZN7rocprim17ROCPRIM_400000_NS6detail17trampoline_kernelINS0_14default_configENS1_25partition_config_selectorILNS1_17partition_subalgoE8ElNS0_10empty_typeEbEEZZNS1_14partition_implILS5_8ELb0ES3_jPlPS6_PKS6_NS0_5tupleIJS9_S6_EEENSD_IJSA_SA_EEENS0_18inequality_wrapperIZN2at6native12_GLOBAL__N_124unique_dim_cuda_templateIhEESt5tupleIJNSH_6TensorESM_SM_EERKSM_lbbbEUlllE0_EEPmJS6_EEE10hipError_tPvRmT3_T4_T5_T6_T7_T9_mT8_P12ihipStream_tbDpT10_ENKUlT_T0_E_clISt17integral_constantIbLb0EES1B_IbLb1EEEEDaS17_S18_EUlS17_E_NS1_11comp_targetILNS1_3genE4ELNS1_11target_archE910ELNS1_3gpuE8ELNS1_3repE0EEENS1_30default_config_static_selectorELNS0_4arch9wavefront6targetE1EEEvT1_,"axG",@progbits,_ZN7rocprim17ROCPRIM_400000_NS6detail17trampoline_kernelINS0_14default_configENS1_25partition_config_selectorILNS1_17partition_subalgoE8ElNS0_10empty_typeEbEEZZNS1_14partition_implILS5_8ELb0ES3_jPlPS6_PKS6_NS0_5tupleIJS9_S6_EEENSD_IJSA_SA_EEENS0_18inequality_wrapperIZN2at6native12_GLOBAL__N_124unique_dim_cuda_templateIhEESt5tupleIJNSH_6TensorESM_SM_EERKSM_lbbbEUlllE0_EEPmJS6_EEE10hipError_tPvRmT3_T4_T5_T6_T7_T9_mT8_P12ihipStream_tbDpT10_ENKUlT_T0_E_clISt17integral_constantIbLb0EES1B_IbLb1EEEEDaS17_S18_EUlS17_E_NS1_11comp_targetILNS1_3genE4ELNS1_11target_archE910ELNS1_3gpuE8ELNS1_3repE0EEENS1_30default_config_static_selectorELNS0_4arch9wavefront6targetE1EEEvT1_,comdat
	.globl	_ZN7rocprim17ROCPRIM_400000_NS6detail17trampoline_kernelINS0_14default_configENS1_25partition_config_selectorILNS1_17partition_subalgoE8ElNS0_10empty_typeEbEEZZNS1_14partition_implILS5_8ELb0ES3_jPlPS6_PKS6_NS0_5tupleIJS9_S6_EEENSD_IJSA_SA_EEENS0_18inequality_wrapperIZN2at6native12_GLOBAL__N_124unique_dim_cuda_templateIhEESt5tupleIJNSH_6TensorESM_SM_EERKSM_lbbbEUlllE0_EEPmJS6_EEE10hipError_tPvRmT3_T4_T5_T6_T7_T9_mT8_P12ihipStream_tbDpT10_ENKUlT_T0_E_clISt17integral_constantIbLb0EES1B_IbLb1EEEEDaS17_S18_EUlS17_E_NS1_11comp_targetILNS1_3genE4ELNS1_11target_archE910ELNS1_3gpuE8ELNS1_3repE0EEENS1_30default_config_static_selectorELNS0_4arch9wavefront6targetE1EEEvT1_ ; -- Begin function _ZN7rocprim17ROCPRIM_400000_NS6detail17trampoline_kernelINS0_14default_configENS1_25partition_config_selectorILNS1_17partition_subalgoE8ElNS0_10empty_typeEbEEZZNS1_14partition_implILS5_8ELb0ES3_jPlPS6_PKS6_NS0_5tupleIJS9_S6_EEENSD_IJSA_SA_EEENS0_18inequality_wrapperIZN2at6native12_GLOBAL__N_124unique_dim_cuda_templateIhEESt5tupleIJNSH_6TensorESM_SM_EERKSM_lbbbEUlllE0_EEPmJS6_EEE10hipError_tPvRmT3_T4_T5_T6_T7_T9_mT8_P12ihipStream_tbDpT10_ENKUlT_T0_E_clISt17integral_constantIbLb0EES1B_IbLb1EEEEDaS17_S18_EUlS17_E_NS1_11comp_targetILNS1_3genE4ELNS1_11target_archE910ELNS1_3gpuE8ELNS1_3repE0EEENS1_30default_config_static_selectorELNS0_4arch9wavefront6targetE1EEEvT1_
	.p2align	8
	.type	_ZN7rocprim17ROCPRIM_400000_NS6detail17trampoline_kernelINS0_14default_configENS1_25partition_config_selectorILNS1_17partition_subalgoE8ElNS0_10empty_typeEbEEZZNS1_14partition_implILS5_8ELb0ES3_jPlPS6_PKS6_NS0_5tupleIJS9_S6_EEENSD_IJSA_SA_EEENS0_18inequality_wrapperIZN2at6native12_GLOBAL__N_124unique_dim_cuda_templateIhEESt5tupleIJNSH_6TensorESM_SM_EERKSM_lbbbEUlllE0_EEPmJS6_EEE10hipError_tPvRmT3_T4_T5_T6_T7_T9_mT8_P12ihipStream_tbDpT10_ENKUlT_T0_E_clISt17integral_constantIbLb0EES1B_IbLb1EEEEDaS17_S18_EUlS17_E_NS1_11comp_targetILNS1_3genE4ELNS1_11target_archE910ELNS1_3gpuE8ELNS1_3repE0EEENS1_30default_config_static_selectorELNS0_4arch9wavefront6targetE1EEEvT1_,@function
_ZN7rocprim17ROCPRIM_400000_NS6detail17trampoline_kernelINS0_14default_configENS1_25partition_config_selectorILNS1_17partition_subalgoE8ElNS0_10empty_typeEbEEZZNS1_14partition_implILS5_8ELb0ES3_jPlPS6_PKS6_NS0_5tupleIJS9_S6_EEENSD_IJSA_SA_EEENS0_18inequality_wrapperIZN2at6native12_GLOBAL__N_124unique_dim_cuda_templateIhEESt5tupleIJNSH_6TensorESM_SM_EERKSM_lbbbEUlllE0_EEPmJS6_EEE10hipError_tPvRmT3_T4_T5_T6_T7_T9_mT8_P12ihipStream_tbDpT10_ENKUlT_T0_E_clISt17integral_constantIbLb0EES1B_IbLb1EEEEDaS17_S18_EUlS17_E_NS1_11comp_targetILNS1_3genE4ELNS1_11target_archE910ELNS1_3gpuE8ELNS1_3repE0EEENS1_30default_config_static_selectorELNS0_4arch9wavefront6targetE1EEEvT1_: ; @_ZN7rocprim17ROCPRIM_400000_NS6detail17trampoline_kernelINS0_14default_configENS1_25partition_config_selectorILNS1_17partition_subalgoE8ElNS0_10empty_typeEbEEZZNS1_14partition_implILS5_8ELb0ES3_jPlPS6_PKS6_NS0_5tupleIJS9_S6_EEENSD_IJSA_SA_EEENS0_18inequality_wrapperIZN2at6native12_GLOBAL__N_124unique_dim_cuda_templateIhEESt5tupleIJNSH_6TensorESM_SM_EERKSM_lbbbEUlllE0_EEPmJS6_EEE10hipError_tPvRmT3_T4_T5_T6_T7_T9_mT8_P12ihipStream_tbDpT10_ENKUlT_T0_E_clISt17integral_constantIbLb0EES1B_IbLb1EEEEDaS17_S18_EUlS17_E_NS1_11comp_targetILNS1_3genE4ELNS1_11target_archE910ELNS1_3gpuE8ELNS1_3repE0EEENS1_30default_config_static_selectorELNS0_4arch9wavefront6targetE1EEEvT1_
; %bb.0:
	s_load_dwordx2 s[28:29], s[4:5], 0x28
	s_load_dwordx8 s[20:27], s[4:5], 0x40
	s_load_dwordx4 s[16:19], s[4:5], 0x60
	v_cmp_ne_u32_e64 s[2:3], 0, v0
	v_cmp_eq_u32_e64 s[0:1], 0, v0
	s_and_saveexec_b64 s[6:7], s[0:1]
	s_cbranch_execz .LBB198_4
; %bb.1:
	s_mov_b64 s[10:11], exec
	v_mbcnt_lo_u32_b32 v1, s10, 0
	v_mbcnt_hi_u32_b32 v1, s11, v1
	v_cmp_eq_u32_e32 vcc, 0, v1
                                        ; implicit-def: $vgpr2
	s_and_saveexec_b64 s[8:9], vcc
	s_cbranch_execz .LBB198_3
; %bb.2:
	s_load_dwordx2 s[12:13], s[4:5], 0x78
	s_bcnt1_i32_b64 s10, s[10:11]
	v_mov_b32_e32 v2, 0
	v_mov_b32_e32 v3, s10
	s_waitcnt lgkmcnt(0)
	global_atomic_add v2, v2, v3, s[12:13] glc
.LBB198_3:
	s_or_b64 exec, exec, s[8:9]
	s_waitcnt vmcnt(0)
	v_readfirstlane_b32 s8, v2
	v_add_u32_e32 v1, s8, v1
	v_mov_b32_e32 v2, 0
	ds_write_b32 v2, v1
.LBB198_4:
	s_or_b64 exec, exec, s[6:7]
	v_mov_b32_e32 v3, 0
	s_load_dwordx4 s[8:11], s[4:5], 0x8
	s_load_dword s6, s[4:5], 0x70
	s_waitcnt lgkmcnt(0)
	s_barrier
	ds_read_b32 v1, v3
	s_waitcnt lgkmcnt(0)
	s_barrier
	global_load_dwordx2 v[4:5], v3, s[22:23]
	s_lshl_b64 s[4:5], s[10:11], 3
	s_mul_i32 s14, s6, 0x500
	s_add_u32 s8, s8, s4
	s_addc_u32 s4, s9, s5
	s_add_i32 s5, s14, s10
	s_add_i32 s6, s6, -1
	s_sub_i32 s48, s24, s5
	v_mov_b32_e32 v8, s4
	s_add_u32 s4, s10, s14
	s_addc_u32 s5, s11, 0
	v_readfirstlane_b32 s33, v1
	v_mov_b32_e32 v6, s24
	v_mov_b32_e32 v7, s25
	s_movk_i32 s7, 0x500
	s_cmp_eq_u32 s33, s6
	v_mul_lo_u32 v2, v1, s7
	v_cmp_ge_u64_e32 vcc, s[4:5], v[6:7]
	s_cselect_b64 s[24:25], -1, 0
	v_lshlrev_b64 v[2:3], 3, v[2:3]
	s_and_b64 s[6:7], vcc, s[24:25]
	v_add_co_u32_e64 v18, s[4:5], s8, v2
	s_xor_b64 s[30:31], s[6:7], -1
	s_mov_b64 s[12:13], -1
	v_addc_co_u32_e64 v19, s[4:5], v8, v3, s[4:5]
	s_and_b64 vcc, exec, s[30:31]
	s_waitcnt vmcnt(0)
	v_readfirstlane_b32 s22, v4
	v_readfirstlane_b32 s23, v5
	s_cbranch_vccz .LBB198_6
; %bb.5:
	v_lshlrev_b32_e32 v1, 3, v0
	v_add_co_u32_e32 v12, vcc, v18, v1
	v_addc_co_u32_e32 v13, vcc, 0, v19, vcc
	v_add_co_u32_e32 v2, vcc, 0x1000, v12
	v_readfirstlane_b32 s4, v18
	v_readfirstlane_b32 s5, v19
	v_addc_co_u32_e32 v3, vcc, 0, v13, vcc
	s_nop 3
	global_load_dwordx2 v[4:5], v1, s[4:5]
	global_load_dwordx2 v[6:7], v1, s[4:5] offset:2048
	global_load_dwordx2 v[8:9], v[2:3], off
	global_load_dwordx2 v[10:11], v[2:3], off offset:2048
	v_add_co_u32_e32 v2, vcc, 0x2000, v12
	v_addc_co_u32_e32 v3, vcc, 0, v13, vcc
	global_load_dwordx2 v[2:3], v[2:3], off
	s_mov_b64 s[12:13], 0
	s_waitcnt vmcnt(3)
	ds_write2st64_b64 v1, v[4:5], v[6:7] offset1:4
	s_waitcnt vmcnt(1)
	ds_write2st64_b64 v1, v[8:9], v[10:11] offset0:8 offset1:12
	s_waitcnt vmcnt(0)
	ds_write_b64 v1, v[2:3] offset:8192
	s_waitcnt lgkmcnt(0)
	s_barrier
.LBB198_6:
	s_andn2_b64 vcc, exec, s[12:13]
	s_addk_i32 s48, 0x500
	s_cbranch_vccnz .LBB198_18
; %bb.7:
	v_cmp_gt_u32_e32 vcc, s48, v0
                                        ; implicit-def: $vgpr2_vgpr3_vgpr4_vgpr5_vgpr6_vgpr7_vgpr8_vgpr9_vgpr10_vgpr11_vgpr12_vgpr13_vgpr14_vgpr15_vgpr16_vgpr17
	s_and_saveexec_b64 s[4:5], vcc
	s_cbranch_execz .LBB198_9
; %bb.8:
	v_lshlrev_b32_e32 v1, 3, v0
	v_readfirstlane_b32 s8, v18
	v_readfirstlane_b32 s9, v19
	s_nop 4
	global_load_dwordx2 v[2:3], v1, s[8:9]
.LBB198_9:
	s_or_b64 exec, exec, s[4:5]
	v_or_b32_e32 v1, 0x100, v0
	v_cmp_gt_u32_e32 vcc, s48, v1
	s_and_saveexec_b64 s[4:5], vcc
	s_cbranch_execz .LBB198_11
; %bb.10:
	v_lshlrev_b32_e32 v1, 3, v0
	v_readfirstlane_b32 s8, v18
	v_readfirstlane_b32 s9, v19
	s_nop 4
	global_load_dwordx2 v[4:5], v1, s[8:9] offset:2048
.LBB198_11:
	s_or_b64 exec, exec, s[4:5]
	v_or_b32_e32 v1, 0x200, v0
	v_cmp_gt_u32_e32 vcc, s48, v1
	s_and_saveexec_b64 s[4:5], vcc
	s_cbranch_execz .LBB198_13
; %bb.12:
	v_lshlrev_b32_e32 v1, 3, v1
	v_readfirstlane_b32 s8, v18
	v_readfirstlane_b32 s9, v19
	s_nop 4
	global_load_dwordx2 v[6:7], v1, s[8:9]
.LBB198_13:
	s_or_b64 exec, exec, s[4:5]
	v_or_b32_e32 v1, 0x300, v0
	v_cmp_gt_u32_e32 vcc, s48, v1
	s_and_saveexec_b64 s[4:5], vcc
	s_cbranch_execz .LBB198_15
; %bb.14:
	v_lshlrev_b32_e32 v1, 3, v1
	v_readfirstlane_b32 s8, v18
	v_readfirstlane_b32 s9, v19
	s_nop 4
	global_load_dwordx2 v[8:9], v1, s[8:9]
.LBB198_15:
	;; [unrolled: 12-line block ×3, first 2 shown]
	s_or_b64 exec, exec, s[4:5]
	v_lshlrev_b32_e32 v1, 3, v0
	s_waitcnt vmcnt(0)
	ds_write2st64_b64 v1, v[2:3], v[4:5] offset1:4
	ds_write2st64_b64 v1, v[6:7], v[8:9] offset0:8 offset1:12
	ds_write_b64 v1, v[10:11] offset:8192
	s_waitcnt lgkmcnt(0)
	s_barrier
.LBB198_18:
	v_mul_u32_u24_e32 v1, 5, v0
	v_lshlrev_b32_e32 v26, 3, v1
	ds_read2_b64 v[6:9], v26 offset1:1
	ds_read2_b64 v[2:5], v26 offset0:2 offset1:3
	ds_read_b64 v[10:11], v26 offset:32
	s_cmp_lg_u32 s33, 0
	s_cselect_b64 s[34:35], -1, 0
	s_cmp_lg_u64 s[10:11], 0
	s_cselect_b64 s[4:5], -1, 0
	s_or_b64 s[4:5], s[4:5], s[34:35]
	v_mad_u32_u24 v24, v0, 5, 1
	v_mad_u32_u24 v22, v0, 5, 2
	;; [unrolled: 1-line block ×4, first 2 shown]
	s_mov_b64 s[8:9], 0
	s_and_b64 vcc, exec, s[4:5]
	v_cmp_gt_i64_e64 s[4:5], s[26:27], 0
	s_waitcnt lgkmcnt(0)
	s_barrier
	s_cbranch_vccz .LBB198_27
; %bb.19:
	global_load_dwordx2 v[14:15], v[18:19], off offset:-8
	v_cndmask_b32_e64 v12, 0, 1, s[4:5]
	v_lshlrev_b32_e32 v27, 3, v0
	s_and_b64 vcc, exec, s[30:31]
	v_cmp_ne_u32_e64 s[4:5], 1, v12
	ds_write_b64 v27, v[10:11]
	s_cbranch_vccz .LBB198_28
; %bb.20:
	v_mul_lo_u32 v16, v5, s26
	v_mul_lo_u32 v17, v4, s27
	v_mad_u64_u32 v[12:13], s[10:11], v4, s26, 0
	s_and_b64 vcc, exec, s[4:5]
	v_add3_u32 v13, v13, v17, v16
	s_cbranch_vccnz .LBB198_31
; %bb.21:
	v_mov_b32_e32 v17, s17
	v_add_co_u32_e32 v16, vcc, s16, v12
	v_pk_mov_b32 v[18:19], s[16:17], s[16:17] op_sel:[0,1]
	v_addc_co_u32_e32 v17, vcc, v17, v13, vcc
	v_mad_u64_u32 v[18:19], s[8:9], v10, s26, v[18:19]
	v_mul_lo_u32 v20, v10, s27
	v_mul_lo_u32 v21, v11, s26
	v_add3_u32 v19, v21, v19, v20
	global_load_ubyte v20, v[16:17], off
	global_load_ubyte v21, v[18:19], off
	s_mov_b64 s[8:9], -1
	s_waitcnt vmcnt(0)
	v_cmp_eq_u16_e32 vcc, v20, v21
	s_and_saveexec_b64 s[10:11], vcc
	s_cbranch_execz .LBB198_30
; %bb.22:
	s_mov_b64 s[14:15], 1
	s_mov_b64 s[8:9], 0
                                        ; implicit-def: $sgpr12_sgpr13
	s_branch .LBB198_25
.LBB198_23:                             ;   in Loop: Header=BB198_25 Depth=1
	v_mov_b32_e32 v29, s15
	v_add_co_u32_e32 v20, vcc, s14, v16
	v_addc_co_u32_e32 v21, vcc, v17, v29, vcc
	v_add_co_u32_e32 v28, vcc, s14, v18
	v_addc_co_u32_e32 v29, vcc, v19, v29, vcc
	global_load_ubyte v30, v[20:21], off
	global_load_ubyte v31, v[28:29], off
	s_add_u32 s36, s14, 1
	s_addc_u32 s37, s15, 0
	s_andn2_b64 s[12:13], s[12:13], exec
	s_waitcnt vmcnt(0)
	v_cmp_ne_u16_e32 vcc, v30, v31
	s_and_b64 s[38:39], vcc, exec
	s_or_b64 s[12:13], s[12:13], s[38:39]
.LBB198_24:                             ;   in Loop: Header=BB198_25 Depth=1
	s_and_b64 s[38:39], exec, s[12:13]
	s_or_b64 s[8:9], s[38:39], s[8:9]
	v_pk_mov_b32 v[20:21], s[14:15], s[14:15] op_sel:[0,1]
	s_mov_b64 s[14:15], s[36:37]
	s_andn2_b64 exec, exec, s[8:9]
	s_cbranch_execz .LBB198_29
.LBB198_25:                             ; =>This Inner Loop Header: Depth=1
	s_or_b64 s[12:13], s[12:13], exec
	s_cmp_eq_u64 s[26:27], s[14:15]
	s_cbranch_scc0 .LBB198_23
; %bb.26:                               ;   in Loop: Header=BB198_25 Depth=1
                                        ; implicit-def: $sgpr36_sgpr37
	s_mov_b64 s[14:15], s[26:27]
	s_branch .LBB198_24
.LBB198_27:
                                        ; implicit-def: $sgpr12_sgpr13
                                        ; implicit-def: $vgpr13
                                        ; implicit-def: $vgpr16
	s_branch .LBB198_129
.LBB198_28:
                                        ; implicit-def: $sgpr12_sgpr13
                                        ; implicit-def: $vgpr13
                                        ; implicit-def: $vgpr16
	s_cbranch_execnz .LBB198_70
	s_branch .LBB198_128
.LBB198_29:
	s_or_b64 exec, exec, s[8:9]
	v_cmp_gt_i64_e32 vcc, s[26:27], v[20:21]
	s_orn2_b64 s[8:9], vcc, exec
.LBB198_30:
	s_or_b64 exec, exec, s[10:11]
.LBB198_31:
	v_mul_lo_u32 v16, v3, s26
	v_mul_lo_u32 v17, v2, s27
	v_mad_u64_u32 v[18:19], s[10:11], v2, s26, 0
	v_add3_u32 v19, v19, v17, v16
	s_mov_b64 s[10:11], 0
	s_and_b64 vcc, exec, s[4:5]
	s_mov_b64 s[12:13], 0
	s_cbranch_vccnz .LBB198_40
; %bb.32:
	v_mov_b32_e32 v17, s17
	v_add_co_u32_e32 v16, vcc, s16, v18
	v_addc_co_u32_e32 v17, vcc, v17, v19, vcc
	v_mov_b32_e32 v20, s17
	v_add_co_u32_e32 v12, vcc, s16, v12
	v_addc_co_u32_e32 v13, vcc, v20, v13, vcc
	global_load_ubyte v20, v[16:17], off
	global_load_ubyte v21, v[12:13], off
	s_mov_b64 s[12:13], -1
	s_waitcnt vmcnt(0)
	v_cmp_eq_u16_e32 vcc, v20, v21
	s_and_saveexec_b64 s[14:15], vcc
	s_cbranch_execz .LBB198_39
; %bb.33:
	s_mov_b64 s[38:39], 1
	s_mov_b64 s[12:13], 0
                                        ; implicit-def: $sgpr36_sgpr37
	s_branch .LBB198_36
.LBB198_34:                             ;   in Loop: Header=BB198_36 Depth=1
	v_mov_b32_e32 v29, s39
	v_add_co_u32_e32 v20, vcc, s38, v16
	v_addc_co_u32_e32 v21, vcc, v17, v29, vcc
	v_add_co_u32_e32 v28, vcc, s38, v12
	v_addc_co_u32_e32 v29, vcc, v13, v29, vcc
	global_load_ubyte v30, v[20:21], off
	global_load_ubyte v31, v[28:29], off
	s_add_u32 s40, s38, 1
	s_addc_u32 s41, s39, 0
	s_andn2_b64 s[36:37], s[36:37], exec
	s_waitcnt vmcnt(0)
	v_cmp_ne_u16_e32 vcc, v30, v31
	s_and_b64 s[42:43], vcc, exec
	s_or_b64 s[36:37], s[36:37], s[42:43]
.LBB198_35:                             ;   in Loop: Header=BB198_36 Depth=1
	s_and_b64 s[42:43], exec, s[36:37]
	s_or_b64 s[12:13], s[42:43], s[12:13]
	v_pk_mov_b32 v[20:21], s[38:39], s[38:39] op_sel:[0,1]
	s_mov_b64 s[38:39], s[40:41]
	s_andn2_b64 exec, exec, s[12:13]
	s_cbranch_execz .LBB198_38
.LBB198_36:                             ; =>This Inner Loop Header: Depth=1
	s_or_b64 s[36:37], s[36:37], exec
	s_cmp_eq_u64 s[26:27], s[38:39]
	s_cbranch_scc0 .LBB198_34
; %bb.37:                               ;   in Loop: Header=BB198_36 Depth=1
                                        ; implicit-def: $sgpr40_sgpr41
	s_mov_b64 s[38:39], s[26:27]
	s_branch .LBB198_35
.LBB198_38:
	s_or_b64 exec, exec, s[12:13]
	v_cmp_gt_i64_e32 vcc, s[26:27], v[20:21]
	s_orn2_b64 s[12:13], vcc, exec
.LBB198_39:
	s_or_b64 exec, exec, s[14:15]
.LBB198_40:
	v_mul_lo_u32 v12, v9, s26
	v_mul_lo_u32 v13, v8, s27
	v_mad_u64_u32 v[16:17], s[14:15], v8, s26, 0
	s_and_b64 vcc, exec, s[4:5]
	v_add3_u32 v17, v17, v13, v12
	s_cbranch_vccnz .LBB198_49
; %bb.41:
	v_mov_b32_e32 v13, s17
	v_add_co_u32_e32 v12, vcc, s16, v16
	v_addc_co_u32_e32 v13, vcc, v13, v17, vcc
	v_mov_b32_e32 v20, s17
	v_add_co_u32_e32 v18, vcc, s16, v18
	v_addc_co_u32_e32 v19, vcc, v20, v19, vcc
	global_load_ubyte v20, v[12:13], off
	global_load_ubyte v21, v[18:19], off
	s_mov_b64 s[10:11], -1
	s_waitcnt vmcnt(0)
	v_cmp_eq_u16_e32 vcc, v20, v21
	s_and_saveexec_b64 s[14:15], vcc
	s_cbranch_execz .LBB198_48
; %bb.42:
	s_mov_b64 s[38:39], 1
	s_mov_b64 s[10:11], 0
                                        ; implicit-def: $sgpr36_sgpr37
	s_branch .LBB198_45
.LBB198_43:                             ;   in Loop: Header=BB198_45 Depth=1
	v_mov_b32_e32 v29, s39
	v_add_co_u32_e32 v20, vcc, s38, v12
	v_addc_co_u32_e32 v21, vcc, v13, v29, vcc
	v_add_co_u32_e32 v28, vcc, s38, v18
	v_addc_co_u32_e32 v29, vcc, v19, v29, vcc
	global_load_ubyte v30, v[20:21], off
	global_load_ubyte v31, v[28:29], off
	s_add_u32 s40, s38, 1
	s_addc_u32 s41, s39, 0
	s_andn2_b64 s[36:37], s[36:37], exec
	s_waitcnt vmcnt(0)
	v_cmp_ne_u16_e32 vcc, v30, v31
	s_and_b64 s[42:43], vcc, exec
	s_or_b64 s[36:37], s[36:37], s[42:43]
.LBB198_44:                             ;   in Loop: Header=BB198_45 Depth=1
	s_and_b64 s[42:43], exec, s[36:37]
	s_or_b64 s[10:11], s[42:43], s[10:11]
	v_pk_mov_b32 v[20:21], s[38:39], s[38:39] op_sel:[0,1]
	s_mov_b64 s[38:39], s[40:41]
	s_andn2_b64 exec, exec, s[10:11]
	s_cbranch_execz .LBB198_47
.LBB198_45:                             ; =>This Inner Loop Header: Depth=1
	s_or_b64 s[36:37], s[36:37], exec
	s_cmp_eq_u64 s[26:27], s[38:39]
	s_cbranch_scc0 .LBB198_43
; %bb.46:                               ;   in Loop: Header=BB198_45 Depth=1
                                        ; implicit-def: $sgpr40_sgpr41
	s_mov_b64 s[38:39], s[26:27]
	s_branch .LBB198_44
.LBB198_47:
	s_or_b64 exec, exec, s[10:11]
	v_cmp_gt_i64_e32 vcc, s[26:27], v[20:21]
	s_orn2_b64 s[10:11], vcc, exec
.LBB198_48:
	s_or_b64 exec, exec, s[14:15]
.LBB198_49:
	v_mul_lo_u32 v18, v7, s26
	v_mul_lo_u32 v19, v6, s27
	v_mad_u64_u32 v[12:13], s[14:15], v6, s26, 0
	v_add3_u32 v13, v13, v19, v18
	s_and_b64 vcc, exec, s[4:5]
	s_mov_b64 s[36:37], 0
	s_cbranch_vccnz .LBB198_58
; %bb.50:
	v_mov_b32_e32 v19, s17
	v_add_co_u32_e32 v18, vcc, s16, v12
	v_addc_co_u32_e32 v19, vcc, v19, v13, vcc
	v_mov_b32_e32 v20, s17
	v_add_co_u32_e32 v16, vcc, s16, v16
	v_addc_co_u32_e32 v17, vcc, v20, v17, vcc
	global_load_ubyte v20, v[18:19], off
	global_load_ubyte v21, v[16:17], off
	s_mov_b64 s[36:37], -1
	s_waitcnt vmcnt(0)
	v_cmp_eq_u16_e32 vcc, v20, v21
	s_and_saveexec_b64 s[14:15], vcc
	s_cbranch_execz .LBB198_57
; %bb.51:
	s_mov_b64 s[40:41], 1
	s_mov_b64 s[36:37], 0
                                        ; implicit-def: $sgpr38_sgpr39
	s_branch .LBB198_54
.LBB198_52:                             ;   in Loop: Header=BB198_54 Depth=1
	v_mov_b32_e32 v29, s41
	v_add_co_u32_e32 v20, vcc, s40, v18
	v_addc_co_u32_e32 v21, vcc, v19, v29, vcc
	v_add_co_u32_e32 v28, vcc, s40, v16
	v_addc_co_u32_e32 v29, vcc, v17, v29, vcc
	global_load_ubyte v30, v[20:21], off
	global_load_ubyte v31, v[28:29], off
	s_add_u32 s42, s40, 1
	s_addc_u32 s43, s41, 0
	s_andn2_b64 s[38:39], s[38:39], exec
	s_waitcnt vmcnt(0)
	v_cmp_ne_u16_e32 vcc, v30, v31
	s_and_b64 s[44:45], vcc, exec
	s_or_b64 s[38:39], s[38:39], s[44:45]
.LBB198_53:                             ;   in Loop: Header=BB198_54 Depth=1
	s_and_b64 s[44:45], exec, s[38:39]
	s_or_b64 s[36:37], s[44:45], s[36:37]
	v_pk_mov_b32 v[20:21], s[40:41], s[40:41] op_sel:[0,1]
	s_mov_b64 s[40:41], s[42:43]
	s_andn2_b64 exec, exec, s[36:37]
	s_cbranch_execz .LBB198_56
.LBB198_54:                             ; =>This Inner Loop Header: Depth=1
	s_or_b64 s[38:39], s[38:39], exec
	s_cmp_eq_u64 s[26:27], s[40:41]
	s_cbranch_scc0 .LBB198_52
; %bb.55:                               ;   in Loop: Header=BB198_54 Depth=1
                                        ; implicit-def: $sgpr42_sgpr43
	s_mov_b64 s[40:41], s[26:27]
	s_branch .LBB198_53
.LBB198_56:
	s_or_b64 exec, exec, s[36:37]
	v_cmp_gt_i64_e32 vcc, s[26:27], v[20:21]
	s_orn2_b64 s[36:37], vcc, exec
.LBB198_57:
	s_or_b64 exec, exec, s[14:15]
.LBB198_58:
	s_waitcnt vmcnt(0)
	v_pk_mov_b32 v[18:19], v[14:15], v[14:15] op_sel:[0,1]
	s_waitcnt lgkmcnt(0)
	s_barrier
	s_and_saveexec_b64 s[14:15], s[2:3]
	s_cbranch_execz .LBB198_60
; %bb.59:
	v_add_u32_e32 v16, -8, v27
	ds_read_b64 v[18:19], v16
.LBB198_60:
	s_or_b64 exec, exec, s[14:15]
	v_cndmask_b32_e64 v17, 0, 1, s[12:13]
	v_cndmask_b32_e64 v16, 0, 1, s[10:11]
	;; [unrolled: 1-line block ×3, first 2 shown]
	v_lshlrev_b16_e32 v17, 8, v17
	v_lshlrev_b16_e32 v20, 8, v20
	v_or_b32_sdwa v21, v16, v17 dst_sel:WORD_1 dst_unused:UNUSED_PAD src0_sel:DWORD src1_sel:DWORD
	s_mov_b64 s[10:11], 0
	s_and_b64 vcc, exec, s[4:5]
	s_mov_b64 s[12:13], 0
	s_cbranch_vccnz .LBB198_69
; %bb.61:
	v_pk_mov_b32 v[16:17], s[16:17], s[16:17] op_sel:[0,1]
	s_waitcnt lgkmcnt(0)
	v_mad_u64_u32 v[16:17], s[12:13], v18, s26, v[16:17]
	v_mul_lo_u32 v18, v18, s27
	v_mul_lo_u32 v19, v19, s26
	v_add3_u32 v17, v19, v17, v18
	v_mov_b32_e32 v18, s17
	v_add_co_u32_e32 v12, vcc, s16, v12
	v_addc_co_u32_e32 v13, vcc, v18, v13, vcc
	global_load_ubyte v18, v[16:17], off
	global_load_ubyte v19, v[12:13], off
	s_mov_b64 s[12:13], -1
	s_waitcnt vmcnt(0)
	v_cmp_eq_u16_e32 vcc, v18, v19
	s_and_saveexec_b64 s[14:15], vcc
	s_cbranch_execz .LBB198_68
; %bb.62:
	s_mov_b64 s[38:39], 1
	s_mov_b64 s[12:13], 0
                                        ; implicit-def: $sgpr36_sgpr37
	s_branch .LBB198_65
.LBB198_63:                             ;   in Loop: Header=BB198_65 Depth=1
	v_mov_b32_e32 v29, s39
	v_add_co_u32_e32 v18, vcc, s38, v16
	v_addc_co_u32_e32 v19, vcc, v17, v29, vcc
	v_add_co_u32_e32 v28, vcc, s38, v12
	v_addc_co_u32_e32 v29, vcc, v13, v29, vcc
	global_load_ubyte v30, v[18:19], off
	global_load_ubyte v31, v[28:29], off
	s_add_u32 s40, s38, 1
	s_addc_u32 s41, s39, 0
	s_andn2_b64 s[36:37], s[36:37], exec
	s_waitcnt vmcnt(0)
	v_cmp_ne_u16_e32 vcc, v30, v31
	s_and_b64 s[42:43], vcc, exec
	s_or_b64 s[36:37], s[36:37], s[42:43]
.LBB198_64:                             ;   in Loop: Header=BB198_65 Depth=1
	s_and_b64 s[42:43], exec, s[36:37]
	s_or_b64 s[12:13], s[42:43], s[12:13]
	v_pk_mov_b32 v[18:19], s[38:39], s[38:39] op_sel:[0,1]
	s_mov_b64 s[38:39], s[40:41]
	s_andn2_b64 exec, exec, s[12:13]
	s_cbranch_execz .LBB198_67
.LBB198_65:                             ; =>This Inner Loop Header: Depth=1
	s_or_b64 s[36:37], s[36:37], exec
	s_cmp_eq_u64 s[26:27], s[38:39]
	s_cbranch_scc0 .LBB198_63
; %bb.66:                               ;   in Loop: Header=BB198_65 Depth=1
                                        ; implicit-def: $sgpr40_sgpr41
	s_mov_b64 s[38:39], s[26:27]
	s_branch .LBB198_64
.LBB198_67:
	s_or_b64 exec, exec, s[12:13]
	v_cmp_gt_i64_e32 vcc, s[26:27], v[18:19]
	s_orn2_b64 s[12:13], vcc, exec
.LBB198_68:
	s_or_b64 exec, exec, s[14:15]
.LBB198_69:
	v_cndmask_b32_e64 v13, 0, 1, s[8:9]
	v_or_b32_e32 v16, v20, v21
	s_and_b64 vcc, exec, s[10:11]
	s_cbranch_vccz .LBB198_128
.LBB198_70:
	v_cmp_gt_u32_e32 vcc, s48, v23
	s_mov_b64 s[10:11], 0
	s_mov_b64 s[8:9], 0
	s_and_saveexec_b64 s[12:13], vcc
	s_cbranch_execz .LBB198_81
; %bb.71:
	s_and_b64 vcc, exec, s[4:5]
	s_mov_b64 s[14:15], 0
	s_cbranch_vccnz .LBB198_80
; %bb.72:
	v_pk_mov_b32 v[16:17], s[16:17], s[16:17] op_sel:[0,1]
	v_mad_u64_u32 v[12:13], s[8:9], v4, s26, v[16:17]
	s_waitcnt lgkmcnt(0)
	v_mul_lo_u32 v18, v4, s27
	v_mul_lo_u32 v19, v5, s26
	v_add3_u32 v13, v19, v13, v18
	v_mad_u64_u32 v[16:17], s[8:9], v10, s26, v[16:17]
	v_mul_lo_u32 v18, v10, s27
	v_mul_lo_u32 v19, v11, s26
	v_add3_u32 v17, v19, v17, v18
	global_load_ubyte v18, v[12:13], off
	global_load_ubyte v19, v[16:17], off
	s_mov_b64 s[14:15], -1
	s_waitcnt vmcnt(0)
	v_cmp_eq_u16_e32 vcc, v18, v19
	s_and_saveexec_b64 s[8:9], vcc
	s_cbranch_execz .LBB198_79
; %bb.73:
	s_mov_b64 s[38:39], 1
	s_mov_b64 s[14:15], 0
                                        ; implicit-def: $sgpr36_sgpr37
	s_branch .LBB198_76
.LBB198_74:                             ;   in Loop: Header=BB198_76 Depth=1
	v_mov_b32_e32 v21, s39
	v_add_co_u32_e32 v18, vcc, s38, v12
	v_addc_co_u32_e32 v19, vcc, v13, v21, vcc
	v_add_co_u32_e32 v20, vcc, s38, v16
	v_addc_co_u32_e32 v21, vcc, v17, v21, vcc
	global_load_ubyte v28, v[18:19], off
	global_load_ubyte v29, v[20:21], off
	s_add_u32 s40, s38, 1
	s_addc_u32 s41, s39, 0
	s_andn2_b64 s[36:37], s[36:37], exec
	s_waitcnt vmcnt(0)
	v_cmp_ne_u16_e32 vcc, v28, v29
	s_and_b64 s[42:43], vcc, exec
	s_or_b64 s[36:37], s[36:37], s[42:43]
.LBB198_75:                             ;   in Loop: Header=BB198_76 Depth=1
	s_and_b64 s[42:43], exec, s[36:37]
	s_or_b64 s[14:15], s[42:43], s[14:15]
	v_pk_mov_b32 v[18:19], s[38:39], s[38:39] op_sel:[0,1]
	s_mov_b64 s[38:39], s[40:41]
	s_andn2_b64 exec, exec, s[14:15]
	s_cbranch_execz .LBB198_78
.LBB198_76:                             ; =>This Inner Loop Header: Depth=1
	s_or_b64 s[36:37], s[36:37], exec
	s_cmp_eq_u64 s[26:27], s[38:39]
	s_cbranch_scc0 .LBB198_74
; %bb.77:                               ;   in Loop: Header=BB198_76 Depth=1
                                        ; implicit-def: $sgpr40_sgpr41
	s_mov_b64 s[38:39], s[26:27]
	s_branch .LBB198_75
.LBB198_78:
	s_or_b64 exec, exec, s[14:15]
	v_cmp_gt_i64_e32 vcc, s[26:27], v[18:19]
	s_orn2_b64 s[14:15], vcc, exec
.LBB198_79:
	s_or_b64 exec, exec, s[8:9]
.LBB198_80:
	s_and_b64 s[8:9], s[14:15], exec
.LBB198_81:
	s_or_b64 exec, exec, s[12:13]
	v_cmp_gt_u32_e32 vcc, s48, v25
	s_and_saveexec_b64 s[12:13], vcc
	s_cbranch_execz .LBB198_92
; %bb.82:
	s_and_b64 vcc, exec, s[4:5]
	s_mov_b64 s[14:15], 0
	s_cbranch_vccnz .LBB198_91
; %bb.83:
	v_pk_mov_b32 v[16:17], s[16:17], s[16:17] op_sel:[0,1]
	v_mad_u64_u32 v[12:13], s[10:11], v2, s26, v[16:17]
	s_waitcnt lgkmcnt(0)
	v_mul_lo_u32 v18, v2, s27
	v_mul_lo_u32 v19, v3, s26
	v_add3_u32 v13, v19, v13, v18
	v_mad_u64_u32 v[16:17], s[10:11], v4, s26, v[16:17]
	v_mul_lo_u32 v18, v4, s27
	v_mul_lo_u32 v19, v5, s26
	v_add3_u32 v17, v19, v17, v18
	global_load_ubyte v18, v[12:13], off
	global_load_ubyte v19, v[16:17], off
	s_mov_b64 s[14:15], -1
	s_waitcnt vmcnt(0)
	v_cmp_eq_u16_e32 vcc, v18, v19
	s_and_saveexec_b64 s[10:11], vcc
	s_cbranch_execz .LBB198_90
; %bb.84:
	s_mov_b64 s[38:39], 1
	s_mov_b64 s[14:15], 0
                                        ; implicit-def: $sgpr36_sgpr37
	s_branch .LBB198_87
.LBB198_85:                             ;   in Loop: Header=BB198_87 Depth=1
	v_mov_b32_e32 v21, s39
	v_add_co_u32_e32 v18, vcc, s38, v12
	v_addc_co_u32_e32 v19, vcc, v13, v21, vcc
	v_add_co_u32_e32 v20, vcc, s38, v16
	v_addc_co_u32_e32 v21, vcc, v17, v21, vcc
	global_load_ubyte v28, v[18:19], off
	global_load_ubyte v29, v[20:21], off
	s_add_u32 s40, s38, 1
	s_addc_u32 s41, s39, 0
	s_andn2_b64 s[36:37], s[36:37], exec
	s_waitcnt vmcnt(0)
	v_cmp_ne_u16_e32 vcc, v28, v29
	s_and_b64 s[42:43], vcc, exec
	s_or_b64 s[36:37], s[36:37], s[42:43]
.LBB198_86:                             ;   in Loop: Header=BB198_87 Depth=1
	s_and_b64 s[42:43], exec, s[36:37]
	s_or_b64 s[14:15], s[42:43], s[14:15]
	v_pk_mov_b32 v[18:19], s[38:39], s[38:39] op_sel:[0,1]
	s_mov_b64 s[38:39], s[40:41]
	s_andn2_b64 exec, exec, s[14:15]
	s_cbranch_execz .LBB198_89
.LBB198_87:                             ; =>This Inner Loop Header: Depth=1
	s_or_b64 s[36:37], s[36:37], exec
	s_cmp_eq_u64 s[26:27], s[38:39]
	s_cbranch_scc0 .LBB198_85
; %bb.88:                               ;   in Loop: Header=BB198_87 Depth=1
                                        ; implicit-def: $sgpr40_sgpr41
	s_mov_b64 s[38:39], s[26:27]
	s_branch .LBB198_86
.LBB198_89:
	s_or_b64 exec, exec, s[14:15]
	v_cmp_gt_i64_e32 vcc, s[26:27], v[18:19]
	s_orn2_b64 s[14:15], vcc, exec
.LBB198_90:
	s_or_b64 exec, exec, s[10:11]
.LBB198_91:
	s_and_b64 s[10:11], s[14:15], exec
.LBB198_92:
	s_or_b64 exec, exec, s[12:13]
	v_cmp_gt_u32_e32 vcc, s48, v22
	s_mov_b64 s[12:13], 0
	s_mov_b64 s[14:15], 0
	s_and_saveexec_b64 s[36:37], vcc
	s_cbranch_execz .LBB198_103
; %bb.93:
	s_and_b64 vcc, exec, s[4:5]
	s_mov_b64 s[38:39], 0
	s_cbranch_vccnz .LBB198_102
; %bb.94:
	v_pk_mov_b32 v[16:17], s[16:17], s[16:17] op_sel:[0,1]
	v_mad_u64_u32 v[12:13], s[14:15], v8, s26, v[16:17]
	s_waitcnt lgkmcnt(0)
	v_mul_lo_u32 v18, v8, s27
	v_mul_lo_u32 v19, v9, s26
	v_add3_u32 v13, v19, v13, v18
	v_mad_u64_u32 v[16:17], s[14:15], v2, s26, v[16:17]
	v_mul_lo_u32 v18, v2, s27
	v_mul_lo_u32 v19, v3, s26
	v_add3_u32 v17, v19, v17, v18
	global_load_ubyte v18, v[12:13], off
	global_load_ubyte v19, v[16:17], off
	s_mov_b64 s[38:39], -1
	s_waitcnt vmcnt(0)
	v_cmp_eq_u16_e32 vcc, v18, v19
	s_and_saveexec_b64 s[14:15], vcc
	s_cbranch_execz .LBB198_101
; %bb.95:
	s_mov_b64 s[42:43], 1
	s_mov_b64 s[38:39], 0
                                        ; implicit-def: $sgpr40_sgpr41
	s_branch .LBB198_98
.LBB198_96:                             ;   in Loop: Header=BB198_98 Depth=1
	v_mov_b32_e32 v21, s43
	v_add_co_u32_e32 v18, vcc, s42, v12
	v_addc_co_u32_e32 v19, vcc, v13, v21, vcc
	v_add_co_u32_e32 v20, vcc, s42, v16
	v_addc_co_u32_e32 v21, vcc, v17, v21, vcc
	global_load_ubyte v28, v[18:19], off
	global_load_ubyte v29, v[20:21], off
	s_add_u32 s44, s42, 1
	s_addc_u32 s45, s43, 0
	s_andn2_b64 s[40:41], s[40:41], exec
	s_waitcnt vmcnt(0)
	v_cmp_ne_u16_e32 vcc, v28, v29
	s_and_b64 s[46:47], vcc, exec
	s_or_b64 s[40:41], s[40:41], s[46:47]
.LBB198_97:                             ;   in Loop: Header=BB198_98 Depth=1
	s_and_b64 s[46:47], exec, s[40:41]
	s_or_b64 s[38:39], s[46:47], s[38:39]
	v_pk_mov_b32 v[18:19], s[42:43], s[42:43] op_sel:[0,1]
	s_mov_b64 s[42:43], s[44:45]
	s_andn2_b64 exec, exec, s[38:39]
	s_cbranch_execz .LBB198_100
.LBB198_98:                             ; =>This Inner Loop Header: Depth=1
	s_or_b64 s[40:41], s[40:41], exec
	s_cmp_eq_u64 s[26:27], s[42:43]
	s_cbranch_scc0 .LBB198_96
; %bb.99:                               ;   in Loop: Header=BB198_98 Depth=1
                                        ; implicit-def: $sgpr44_sgpr45
	s_mov_b64 s[42:43], s[26:27]
	s_branch .LBB198_97
.LBB198_100:
	s_or_b64 exec, exec, s[38:39]
	v_cmp_gt_i64_e32 vcc, s[26:27], v[18:19]
	s_orn2_b64 s[38:39], vcc, exec
.LBB198_101:
	s_or_b64 exec, exec, s[14:15]
.LBB198_102:
	s_and_b64 s[14:15], s[38:39], exec
.LBB198_103:
	s_or_b64 exec, exec, s[36:37]
	v_cmp_gt_u32_e32 vcc, s48, v24
	s_and_saveexec_b64 s[36:37], vcc
	s_cbranch_execz .LBB198_114
; %bb.104:
	s_and_b64 vcc, exec, s[4:5]
	s_mov_b64 s[38:39], 0
	s_cbranch_vccnz .LBB198_113
; %bb.105:
	v_pk_mov_b32 v[16:17], s[16:17], s[16:17] op_sel:[0,1]
	v_mad_u64_u32 v[12:13], s[12:13], v6, s26, v[16:17]
	s_waitcnt lgkmcnt(0)
	v_mul_lo_u32 v18, v6, s27
	v_mul_lo_u32 v19, v7, s26
	v_add3_u32 v13, v19, v13, v18
	v_mad_u64_u32 v[16:17], s[12:13], v8, s26, v[16:17]
	v_mul_lo_u32 v18, v8, s27
	v_mul_lo_u32 v19, v9, s26
	v_add3_u32 v17, v19, v17, v18
	global_load_ubyte v18, v[12:13], off
	global_load_ubyte v19, v[16:17], off
	s_mov_b64 s[38:39], -1
	s_waitcnt vmcnt(0)
	v_cmp_eq_u16_e32 vcc, v18, v19
	s_and_saveexec_b64 s[12:13], vcc
	s_cbranch_execz .LBB198_112
; %bb.106:
	s_mov_b64 s[42:43], 1
	s_mov_b64 s[38:39], 0
                                        ; implicit-def: $sgpr40_sgpr41
	s_branch .LBB198_109
.LBB198_107:                            ;   in Loop: Header=BB198_109 Depth=1
	v_mov_b32_e32 v21, s43
	v_add_co_u32_e32 v18, vcc, s42, v12
	v_addc_co_u32_e32 v19, vcc, v13, v21, vcc
	v_add_co_u32_e32 v20, vcc, s42, v16
	v_addc_co_u32_e32 v21, vcc, v17, v21, vcc
	global_load_ubyte v28, v[18:19], off
	global_load_ubyte v29, v[20:21], off
	s_add_u32 s44, s42, 1
	s_addc_u32 s45, s43, 0
	s_andn2_b64 s[40:41], s[40:41], exec
	s_waitcnt vmcnt(0)
	v_cmp_ne_u16_e32 vcc, v28, v29
	s_and_b64 s[46:47], vcc, exec
	s_or_b64 s[40:41], s[40:41], s[46:47]
.LBB198_108:                            ;   in Loop: Header=BB198_109 Depth=1
	s_and_b64 s[46:47], exec, s[40:41]
	s_or_b64 s[38:39], s[46:47], s[38:39]
	v_pk_mov_b32 v[18:19], s[42:43], s[42:43] op_sel:[0,1]
	s_mov_b64 s[42:43], s[44:45]
	s_andn2_b64 exec, exec, s[38:39]
	s_cbranch_execz .LBB198_111
.LBB198_109:                            ; =>This Inner Loop Header: Depth=1
	s_or_b64 s[40:41], s[40:41], exec
	s_cmp_eq_u64 s[26:27], s[42:43]
	s_cbranch_scc0 .LBB198_107
; %bb.110:                              ;   in Loop: Header=BB198_109 Depth=1
                                        ; implicit-def: $sgpr44_sgpr45
	s_mov_b64 s[42:43], s[26:27]
	s_branch .LBB198_108
.LBB198_111:
	s_or_b64 exec, exec, s[38:39]
	v_cmp_gt_i64_e32 vcc, s[26:27], v[18:19]
	s_orn2_b64 s[38:39], vcc, exec
.LBB198_112:
	s_or_b64 exec, exec, s[12:13]
.LBB198_113:
	s_and_b64 s[12:13], s[38:39], exec
.LBB198_114:
	s_or_b64 exec, exec, s[36:37]
	s_waitcnt lgkmcnt(0)
	s_barrier
	s_and_saveexec_b64 s[36:37], s[2:3]
	s_cbranch_execz .LBB198_116
; %bb.115:
	v_add_u32_e32 v12, -8, v27
	s_waitcnt vmcnt(0)
	ds_read_b64 v[14:15], v12
.LBB198_116:
	s_or_b64 exec, exec, s[36:37]
	v_cndmask_b32_e64 v13, 0, 1, s[10:11]
	v_cndmask_b32_e64 v12, 0, 1, s[14:15]
	;; [unrolled: 1-line block ×3, first 2 shown]
	v_lshlrev_b16_e32 v13, 8, v13
	v_cmp_gt_u32_e32 vcc, s48, v1
	v_lshlrev_b16_e32 v18, 8, v16
	v_or_b32_sdwa v19, v12, v13 dst_sel:WORD_1 dst_unused:UNUSED_PAD src0_sel:DWORD src1_sel:DWORD
	s_mov_b64 s[12:13], 0
	s_and_saveexec_b64 s[10:11], vcc
	s_cbranch_execz .LBB198_127
; %bb.117:
	s_and_b64 vcc, exec, s[4:5]
	s_cbranch_vccnz .LBB198_126
; %bb.118:
	v_pk_mov_b32 v[16:17], s[16:17], s[16:17] op_sel:[0,1]
	s_waitcnt vmcnt(0) lgkmcnt(0)
	v_mad_u64_u32 v[12:13], s[4:5], v14, s26, v[16:17]
	v_mul_lo_u32 v14, v14, s27
	v_mul_lo_u32 v15, v15, s26
	v_add3_u32 v13, v15, v13, v14
	v_mad_u64_u32 v[14:15], s[4:5], v6, s26, v[16:17]
	v_mul_lo_u32 v16, v6, s27
	v_mul_lo_u32 v17, v7, s26
	v_add3_u32 v15, v17, v15, v16
	global_load_ubyte v16, v[12:13], off
	global_load_ubyte v17, v[14:15], off
	s_mov_b64 s[12:13], -1
	s_waitcnt vmcnt(0)
	v_cmp_eq_u16_e32 vcc, v16, v17
	s_and_saveexec_b64 s[4:5], vcc
	s_cbranch_execz .LBB198_125
; %bb.119:
	s_mov_b64 s[36:37], 1
	s_mov_b64 s[12:13], 0
                                        ; implicit-def: $sgpr14_sgpr15
	s_branch .LBB198_122
.LBB198_120:                            ;   in Loop: Header=BB198_122 Depth=1
	v_mov_b32_e32 v21, s37
	v_add_co_u32_e32 v16, vcc, s36, v12
	v_addc_co_u32_e32 v17, vcc, v13, v21, vcc
	v_add_co_u32_e32 v20, vcc, s36, v14
	v_addc_co_u32_e32 v21, vcc, v15, v21, vcc
	global_load_ubyte v27, v[16:17], off
	global_load_ubyte v28, v[20:21], off
	s_add_u32 s38, s36, 1
	s_addc_u32 s39, s37, 0
	s_andn2_b64 s[14:15], s[14:15], exec
	s_waitcnt vmcnt(0)
	v_cmp_ne_u16_e32 vcc, v27, v28
	s_and_b64 s[40:41], vcc, exec
	s_or_b64 s[14:15], s[14:15], s[40:41]
.LBB198_121:                            ;   in Loop: Header=BB198_122 Depth=1
	s_and_b64 s[40:41], exec, s[14:15]
	s_or_b64 s[12:13], s[40:41], s[12:13]
	v_pk_mov_b32 v[16:17], s[36:37], s[36:37] op_sel:[0,1]
	s_mov_b64 s[36:37], s[38:39]
	s_andn2_b64 exec, exec, s[12:13]
	s_cbranch_execz .LBB198_124
.LBB198_122:                            ; =>This Inner Loop Header: Depth=1
	s_or_b64 s[14:15], s[14:15], exec
	s_cmp_eq_u64 s[26:27], s[36:37]
	s_cbranch_scc0 .LBB198_120
; %bb.123:                              ;   in Loop: Header=BB198_122 Depth=1
                                        ; implicit-def: $sgpr38_sgpr39
	s_mov_b64 s[36:37], s[26:27]
	s_branch .LBB198_121
.LBB198_124:
	s_or_b64 exec, exec, s[12:13]
	v_cmp_gt_i64_e32 vcc, s[26:27], v[16:17]
	s_orn2_b64 s[12:13], vcc, exec
.LBB198_125:
	s_or_b64 exec, exec, s[4:5]
.LBB198_126:
	s_and_b64 s[12:13], s[12:13], exec
.LBB198_127:
	s_or_b64 exec, exec, s[10:11]
	v_cndmask_b32_e64 v13, 0, 1, s[8:9]
	v_or_b32_e32 v16, v18, v19
.LBB198_128:
	s_mov_b64 s[8:9], -1
	s_cbranch_execnz .LBB198_237
.LBB198_129:
	v_lshlrev_b32_e32 v12, 5, v0
	v_sub_u32_e32 v20, v26, v12
	s_mov_b64 s[12:13], 0
	v_cmp_gt_i64_e64 s[10:11], s[26:27], 0
	s_and_b64 vcc, exec, s[30:31]
	ds_write_b64 v20, v[10:11]
	s_cbranch_vccz .LBB198_137
; %bb.130:
	s_waitcnt vmcnt(0) lgkmcnt(1)
	v_mul_lo_u32 v14, v5, s26
	v_mul_lo_u32 v15, v4, s27
	v_mad_u64_u32 v[12:13], s[4:5], v4, s26, 0
	v_cndmask_b32_e64 v16, 0, 1, s[10:11]
	v_cmp_ne_u32_e64 s[4:5], 1, v16
	s_andn2_b64 vcc, exec, s[10:11]
	v_add3_u32 v13, v13, v15, v14
	s_cbranch_vccnz .LBB198_140
; %bb.131:
	v_mov_b32_e32 v15, s17
	v_add_co_u32_e32 v14, vcc, s16, v12
	v_pk_mov_b32 v[16:17], s[16:17], s[16:17] op_sel:[0,1]
	v_addc_co_u32_e32 v15, vcc, v15, v13, vcc
	v_mad_u64_u32 v[16:17], s[12:13], v10, s26, v[16:17]
	v_mul_lo_u32 v18, v10, s27
	v_mul_lo_u32 v19, v11, s26
	v_add3_u32 v17, v19, v17, v18
	global_load_ubyte v18, v[14:15], off
	global_load_ubyte v19, v[16:17], off
	s_mov_b64 s[12:13], -1
	s_waitcnt vmcnt(0)
	v_cmp_eq_u16_e32 vcc, v18, v19
	s_and_saveexec_b64 s[14:15], vcc
	s_cbranch_execz .LBB198_139
; %bb.132:
	s_mov_b64 s[38:39], 1
	s_mov_b64 s[12:13], 0
                                        ; implicit-def: $sgpr36_sgpr37
	s_branch .LBB198_135
.LBB198_133:                            ;   in Loop: Header=BB198_135 Depth=1
	v_mov_b32_e32 v21, s39
	v_add_co_u32_e32 v18, vcc, s38, v14
	v_addc_co_u32_e32 v19, vcc, v15, v21, vcc
	v_add_co_u32_e32 v26, vcc, s38, v16
	v_addc_co_u32_e32 v27, vcc, v17, v21, vcc
	global_load_ubyte v21, v[18:19], off
	global_load_ubyte v28, v[26:27], off
	s_add_u32 s40, s38, 1
	s_addc_u32 s41, s39, 0
	s_andn2_b64 s[36:37], s[36:37], exec
	s_waitcnt vmcnt(0)
	v_cmp_ne_u16_e32 vcc, v21, v28
	s_and_b64 s[42:43], vcc, exec
	s_or_b64 s[36:37], s[36:37], s[42:43]
.LBB198_134:                            ;   in Loop: Header=BB198_135 Depth=1
	s_and_b64 s[42:43], exec, s[36:37]
	s_or_b64 s[12:13], s[42:43], s[12:13]
	v_pk_mov_b32 v[18:19], s[38:39], s[38:39] op_sel:[0,1]
	s_mov_b64 s[38:39], s[40:41]
	s_andn2_b64 exec, exec, s[12:13]
	s_cbranch_execz .LBB198_138
.LBB198_135:                            ; =>This Inner Loop Header: Depth=1
	s_or_b64 s[36:37], s[36:37], exec
	s_cmp_eq_u64 s[26:27], s[38:39]
	s_cbranch_scc0 .LBB198_133
; %bb.136:                              ;   in Loop: Header=BB198_135 Depth=1
                                        ; implicit-def: $sgpr40_sgpr41
	s_mov_b64 s[38:39], s[26:27]
	s_branch .LBB198_134
.LBB198_137:
                                        ; implicit-def: $sgpr12_sgpr13
                                        ; implicit-def: $vgpr13
                                        ; implicit-def: $vgpr16
	s_cbranch_execnz .LBB198_179
	s_branch .LBB198_237
.LBB198_138:
	s_or_b64 exec, exec, s[12:13]
	v_cmp_gt_i64_e32 vcc, s[26:27], v[18:19]
	s_orn2_b64 s[12:13], vcc, exec
.LBB198_139:
	s_or_b64 exec, exec, s[14:15]
.LBB198_140:
	v_mul_lo_u32 v16, v3, s26
	v_mul_lo_u32 v17, v2, s27
	v_mad_u64_u32 v[14:15], s[14:15], v2, s26, 0
	v_add3_u32 v15, v15, v17, v16
	s_mov_b64 s[14:15], 0
	s_and_b64 vcc, exec, s[4:5]
	s_mov_b64 s[36:37], 0
	s_cbranch_vccnz .LBB198_149
; %bb.141:
	v_mov_b32_e32 v17, s17
	v_add_co_u32_e32 v16, vcc, s16, v14
	v_addc_co_u32_e32 v17, vcc, v17, v15, vcc
	v_mov_b32_e32 v18, s17
	v_add_co_u32_e32 v12, vcc, s16, v12
	v_addc_co_u32_e32 v13, vcc, v18, v13, vcc
	global_load_ubyte v18, v[16:17], off
	global_load_ubyte v19, v[12:13], off
	s_mov_b64 s[36:37], -1
	s_waitcnt vmcnt(0)
	v_cmp_eq_u16_e32 vcc, v18, v19
	s_and_saveexec_b64 s[38:39], vcc
	s_cbranch_execz .LBB198_148
; %bb.142:
	s_mov_b64 s[42:43], 1
	s_mov_b64 s[36:37], 0
                                        ; implicit-def: $sgpr40_sgpr41
	s_branch .LBB198_145
.LBB198_143:                            ;   in Loop: Header=BB198_145 Depth=1
	v_mov_b32_e32 v21, s43
	v_add_co_u32_e32 v18, vcc, s42, v16
	v_addc_co_u32_e32 v19, vcc, v17, v21, vcc
	v_add_co_u32_e32 v26, vcc, s42, v12
	v_addc_co_u32_e32 v27, vcc, v13, v21, vcc
	global_load_ubyte v21, v[18:19], off
	global_load_ubyte v28, v[26:27], off
	s_add_u32 s44, s42, 1
	s_addc_u32 s45, s43, 0
	s_andn2_b64 s[40:41], s[40:41], exec
	s_waitcnt vmcnt(0)
	v_cmp_ne_u16_e32 vcc, v21, v28
	s_and_b64 s[46:47], vcc, exec
	s_or_b64 s[40:41], s[40:41], s[46:47]
.LBB198_144:                            ;   in Loop: Header=BB198_145 Depth=1
	s_and_b64 s[46:47], exec, s[40:41]
	s_or_b64 s[36:37], s[46:47], s[36:37]
	v_pk_mov_b32 v[18:19], s[42:43], s[42:43] op_sel:[0,1]
	s_mov_b64 s[42:43], s[44:45]
	s_andn2_b64 exec, exec, s[36:37]
	s_cbranch_execz .LBB198_147
.LBB198_145:                            ; =>This Inner Loop Header: Depth=1
	s_or_b64 s[40:41], s[40:41], exec
	s_cmp_eq_u64 s[26:27], s[42:43]
	s_cbranch_scc0 .LBB198_143
; %bb.146:                              ;   in Loop: Header=BB198_145 Depth=1
                                        ; implicit-def: $sgpr44_sgpr45
	s_mov_b64 s[42:43], s[26:27]
	s_branch .LBB198_144
.LBB198_147:
	s_or_b64 exec, exec, s[36:37]
	v_cmp_gt_i64_e32 vcc, s[26:27], v[18:19]
	s_orn2_b64 s[36:37], vcc, exec
.LBB198_148:
	s_or_b64 exec, exec, s[38:39]
.LBB198_149:
	v_mul_lo_u32 v16, v9, s26
	v_mul_lo_u32 v17, v8, s27
	v_mad_u64_u32 v[12:13], s[38:39], v8, s26, 0
	s_and_b64 vcc, exec, s[4:5]
	v_add3_u32 v13, v13, v17, v16
	s_cbranch_vccnz .LBB198_158
; %bb.150:
	v_mov_b32_e32 v17, s17
	v_add_co_u32_e32 v16, vcc, s16, v12
	v_addc_co_u32_e32 v17, vcc, v17, v13, vcc
	v_mov_b32_e32 v18, s17
	v_add_co_u32_e32 v14, vcc, s16, v14
	v_addc_co_u32_e32 v15, vcc, v18, v15, vcc
	global_load_ubyte v18, v[16:17], off
	global_load_ubyte v19, v[14:15], off
	s_mov_b64 s[14:15], -1
	s_waitcnt vmcnt(0)
	v_cmp_eq_u16_e32 vcc, v18, v19
	s_and_saveexec_b64 s[38:39], vcc
	s_cbranch_execz .LBB198_157
; %bb.151:
	s_mov_b64 s[42:43], 1
	s_mov_b64 s[14:15], 0
                                        ; implicit-def: $sgpr40_sgpr41
	s_branch .LBB198_154
.LBB198_152:                            ;   in Loop: Header=BB198_154 Depth=1
	v_mov_b32_e32 v21, s43
	v_add_co_u32_e32 v18, vcc, s42, v16
	v_addc_co_u32_e32 v19, vcc, v17, v21, vcc
	v_add_co_u32_e32 v26, vcc, s42, v14
	v_addc_co_u32_e32 v27, vcc, v15, v21, vcc
	global_load_ubyte v21, v[18:19], off
	global_load_ubyte v28, v[26:27], off
	s_add_u32 s44, s42, 1
	s_addc_u32 s45, s43, 0
	s_andn2_b64 s[40:41], s[40:41], exec
	s_waitcnt vmcnt(0)
	v_cmp_ne_u16_e32 vcc, v21, v28
	s_and_b64 s[46:47], vcc, exec
	s_or_b64 s[40:41], s[40:41], s[46:47]
.LBB198_153:                            ;   in Loop: Header=BB198_154 Depth=1
	s_and_b64 s[46:47], exec, s[40:41]
	s_or_b64 s[14:15], s[46:47], s[14:15]
	v_pk_mov_b32 v[18:19], s[42:43], s[42:43] op_sel:[0,1]
	s_mov_b64 s[42:43], s[44:45]
	s_andn2_b64 exec, exec, s[14:15]
	s_cbranch_execz .LBB198_156
.LBB198_154:                            ; =>This Inner Loop Header: Depth=1
	s_or_b64 s[40:41], s[40:41], exec
	s_cmp_eq_u64 s[26:27], s[42:43]
	s_cbranch_scc0 .LBB198_152
; %bb.155:                              ;   in Loop: Header=BB198_154 Depth=1
                                        ; implicit-def: $sgpr44_sgpr45
	s_mov_b64 s[42:43], s[26:27]
	s_branch .LBB198_153
.LBB198_156:
	s_or_b64 exec, exec, s[14:15]
	v_cmp_gt_i64_e32 vcc, s[26:27], v[18:19]
	s_orn2_b64 s[14:15], vcc, exec
.LBB198_157:
	s_or_b64 exec, exec, s[38:39]
.LBB198_158:
	v_mul_lo_u32 v16, v7, s26
	v_mul_lo_u32 v17, v6, s27
	v_mad_u64_u32 v[14:15], s[38:39], v6, s26, 0
	v_add3_u32 v15, v15, v17, v16
	s_and_b64 vcc, exec, s[4:5]
	s_mov_b64 s[40:41], 0
	s_cbranch_vccnz .LBB198_167
; %bb.159:
	v_mov_b32_e32 v17, s17
	v_add_co_u32_e32 v16, vcc, s16, v14
	v_addc_co_u32_e32 v17, vcc, v17, v15, vcc
	v_mov_b32_e32 v18, s17
	v_add_co_u32_e32 v12, vcc, s16, v12
	v_addc_co_u32_e32 v13, vcc, v18, v13, vcc
	global_load_ubyte v18, v[16:17], off
	global_load_ubyte v19, v[12:13], off
	s_mov_b64 s[40:41], -1
	s_waitcnt vmcnt(0)
	v_cmp_eq_u16_e32 vcc, v18, v19
	s_and_saveexec_b64 s[38:39], vcc
	s_cbranch_execz .LBB198_166
; %bb.160:
	s_mov_b64 s[44:45], 1
	s_mov_b64 s[40:41], 0
                                        ; implicit-def: $sgpr42_sgpr43
	s_branch .LBB198_163
.LBB198_161:                            ;   in Loop: Header=BB198_163 Depth=1
	v_mov_b32_e32 v21, s45
	v_add_co_u32_e32 v18, vcc, s44, v16
	v_addc_co_u32_e32 v19, vcc, v17, v21, vcc
	v_add_co_u32_e32 v26, vcc, s44, v12
	v_addc_co_u32_e32 v27, vcc, v13, v21, vcc
	global_load_ubyte v21, v[18:19], off
	global_load_ubyte v28, v[26:27], off
	s_add_u32 s46, s44, 1
	s_addc_u32 s47, s45, 0
	s_andn2_b64 s[42:43], s[42:43], exec
	s_waitcnt vmcnt(0)
	v_cmp_ne_u16_e32 vcc, v21, v28
	s_and_b64 s[50:51], vcc, exec
	s_or_b64 s[42:43], s[42:43], s[50:51]
.LBB198_162:                            ;   in Loop: Header=BB198_163 Depth=1
	s_and_b64 s[50:51], exec, s[42:43]
	s_or_b64 s[40:41], s[50:51], s[40:41]
	v_pk_mov_b32 v[18:19], s[44:45], s[44:45] op_sel:[0,1]
	s_mov_b64 s[44:45], s[46:47]
	s_andn2_b64 exec, exec, s[40:41]
	s_cbranch_execz .LBB198_165
.LBB198_163:                            ; =>This Inner Loop Header: Depth=1
	s_or_b64 s[42:43], s[42:43], exec
	s_cmp_eq_u64 s[26:27], s[44:45]
	s_cbranch_scc0 .LBB198_161
; %bb.164:                              ;   in Loop: Header=BB198_163 Depth=1
                                        ; implicit-def: $sgpr46_sgpr47
	s_mov_b64 s[44:45], s[26:27]
	s_branch .LBB198_162
.LBB198_165:
	s_or_b64 exec, exec, s[40:41]
	v_cmp_gt_i64_e32 vcc, s[26:27], v[18:19]
	s_orn2_b64 s[40:41], vcc, exec
.LBB198_166:
	s_or_b64 exec, exec, s[38:39]
.LBB198_167:
	v_cndmask_b32_e64 v13, 0, 1, s[36:37]
	v_cndmask_b32_e64 v16, 0, 1, s[40:41]
	;; [unrolled: 1-line block ×3, first 2 shown]
	v_lshlrev_b16_e32 v16, 8, v16
	v_lshlrev_b16_e32 v13, 8, v13
	v_or_b32_e32 v16, 1, v16
	v_or_b32_sdwa v12, v12, v13 dst_sel:WORD_1 dst_unused:UNUSED_PAD src0_sel:DWORD src1_sel:DWORD
	v_or_b32_sdwa v12, v16, v12 dst_sel:DWORD dst_unused:UNUSED_PAD src0_sel:WORD_0 src1_sel:DWORD
	v_cndmask_b32_e64 v13, 0, 1, s[12:13]
	s_waitcnt lgkmcnt(0)
	s_barrier
	s_waitcnt lgkmcnt(0)
                                        ; implicit-def: $sgpr12_sgpr13
                                        ; implicit-def: $vgpr16
	s_and_saveexec_b64 s[14:15], s[2:3]
	s_xor_b64 s[14:15], exec, s[14:15]
	s_cbranch_execz .LBB198_178
; %bb.168:
	s_mov_b32 s42, 0x3020104
	s_and_b64 vcc, exec, s[4:5]
	s_mov_b64 s[12:13], 0
	s_cbranch_vccnz .LBB198_177
; %bb.169:
	v_add_u32_e32 v16, -8, v20
	ds_read_b64 v[16:17], v16
	v_pk_mov_b32 v[18:19], s[16:17], s[16:17] op_sel:[0,1]
	v_add_co_u32_e32 v14, vcc, s16, v14
	s_mov_b64 s[12:13], -1
	s_waitcnt lgkmcnt(0)
	v_mul_lo_u32 v21, v16, s27
	v_mul_lo_u32 v26, v17, s26
	v_mad_u64_u32 v[16:17], s[4:5], v16, s26, v[18:19]
	v_mov_b32_e32 v18, s17
	v_addc_co_u32_e32 v15, vcc, v18, v15, vcc
	v_add3_u32 v17, v26, v17, v21
	global_load_ubyte v18, v[14:15], off
	global_load_ubyte v19, v[16:17], off
	s_waitcnt vmcnt(0)
	v_cmp_eq_u16_e32 vcc, v19, v18
	s_and_saveexec_b64 s[4:5], vcc
	s_cbranch_execz .LBB198_176
; %bb.170:
	s_mov_b64 s[38:39], 1
	s_mov_b64 s[12:13], 0
                                        ; implicit-def: $sgpr36_sgpr37
	s_branch .LBB198_173
.LBB198_171:                            ;   in Loop: Header=BB198_173 Depth=1
	v_mov_b32_e32 v21, s39
	v_add_co_u32_e32 v18, vcc, s38, v16
	v_addc_co_u32_e32 v19, vcc, v17, v21, vcc
	v_add_co_u32_e32 v26, vcc, s38, v14
	v_addc_co_u32_e32 v27, vcc, v15, v21, vcc
	global_load_ubyte v21, v[18:19], off
	global_load_ubyte v28, v[26:27], off
	s_add_u32 s40, s38, 1
	s_addc_u32 s41, s39, 0
	s_andn2_b64 s[36:37], s[36:37], exec
	s_waitcnt vmcnt(0)
	v_cmp_ne_u16_e32 vcc, v21, v28
	s_and_b64 s[44:45], vcc, exec
	s_or_b64 s[36:37], s[36:37], s[44:45]
.LBB198_172:                            ;   in Loop: Header=BB198_173 Depth=1
	s_and_b64 s[44:45], exec, s[36:37]
	s_or_b64 s[12:13], s[44:45], s[12:13]
	v_pk_mov_b32 v[18:19], s[38:39], s[38:39] op_sel:[0,1]
	s_mov_b64 s[38:39], s[40:41]
	s_andn2_b64 exec, exec, s[12:13]
	s_cbranch_execz .LBB198_175
.LBB198_173:                            ; =>This Inner Loop Header: Depth=1
	s_or_b64 s[36:37], s[36:37], exec
	s_cmp_eq_u64 s[26:27], s[38:39]
	s_cbranch_scc0 .LBB198_171
; %bb.174:                              ;   in Loop: Header=BB198_173 Depth=1
                                        ; implicit-def: $sgpr40_sgpr41
	s_mov_b64 s[38:39], s[26:27]
	s_branch .LBB198_172
.LBB198_175:
	s_or_b64 exec, exec, s[12:13]
	v_cmp_gt_i64_e32 vcc, s[26:27], v[18:19]
	s_orn2_b64 s[12:13], vcc, exec
.LBB198_176:
	s_or_b64 exec, exec, s[4:5]
.LBB198_177:
	v_perm_b32 v16, v12, v12, s42
	s_and_b64 s[12:13], s[12:13], exec
	s_or_b64 s[8:9], s[8:9], exec
.LBB198_178:
	s_or_b64 exec, exec, s[14:15]
	s_branch .LBB198_237
.LBB198_179:
	v_cmp_gt_u32_e32 vcc, s48, v23
	s_mov_b64 s[12:13], 0
	s_mov_b64 s[4:5], 0
	s_and_saveexec_b64 s[14:15], vcc
	s_cbranch_execz .LBB198_190
; %bb.180:
	s_andn2_b64 vcc, exec, s[10:11]
	s_mov_b64 s[36:37], 0
	s_cbranch_vccnz .LBB198_189
; %bb.181:
	s_waitcnt vmcnt(0) lgkmcnt(1)
	v_pk_mov_b32 v[14:15], s[16:17], s[16:17] op_sel:[0,1]
	v_mad_u64_u32 v[12:13], s[4:5], v4, s26, v[14:15]
	v_mul_lo_u32 v16, v4, s27
	v_mul_lo_u32 v17, v5, s26
	v_add3_u32 v13, v17, v13, v16
	v_mad_u64_u32 v[14:15], s[4:5], v10, s26, v[14:15]
	v_mul_lo_u32 v16, v10, s27
	v_mul_lo_u32 v17, v11, s26
	v_add3_u32 v15, v17, v15, v16
	global_load_ubyte v16, v[12:13], off
	global_load_ubyte v17, v[14:15], off
	s_mov_b64 s[36:37], -1
	s_waitcnt vmcnt(0)
	v_cmp_eq_u16_e32 vcc, v16, v17
	s_and_saveexec_b64 s[4:5], vcc
	s_cbranch_execz .LBB198_188
; %bb.182:
	s_mov_b64 s[40:41], 1
	s_mov_b64 s[36:37], 0
                                        ; implicit-def: $sgpr38_sgpr39
	s_branch .LBB198_185
.LBB198_183:                            ;   in Loop: Header=BB198_185 Depth=1
	v_mov_b32_e32 v19, s41
	v_add_co_u32_e32 v16, vcc, s40, v12
	v_addc_co_u32_e32 v17, vcc, v13, v19, vcc
	v_add_co_u32_e32 v18, vcc, s40, v14
	v_addc_co_u32_e32 v19, vcc, v15, v19, vcc
	global_load_ubyte v21, v[16:17], off
	global_load_ubyte v26, v[18:19], off
	s_add_u32 s42, s40, 1
	s_addc_u32 s43, s41, 0
	s_andn2_b64 s[38:39], s[38:39], exec
	s_waitcnt vmcnt(0)
	v_cmp_ne_u16_e32 vcc, v21, v26
	s_and_b64 s[44:45], vcc, exec
	s_or_b64 s[38:39], s[38:39], s[44:45]
.LBB198_184:                            ;   in Loop: Header=BB198_185 Depth=1
	s_and_b64 s[44:45], exec, s[38:39]
	s_or_b64 s[36:37], s[44:45], s[36:37]
	v_pk_mov_b32 v[16:17], s[40:41], s[40:41] op_sel:[0,1]
	s_mov_b64 s[40:41], s[42:43]
	s_andn2_b64 exec, exec, s[36:37]
	s_cbranch_execz .LBB198_187
.LBB198_185:                            ; =>This Inner Loop Header: Depth=1
	s_or_b64 s[38:39], s[38:39], exec
	s_cmp_eq_u64 s[26:27], s[40:41]
	s_cbranch_scc0 .LBB198_183
; %bb.186:                              ;   in Loop: Header=BB198_185 Depth=1
                                        ; implicit-def: $sgpr42_sgpr43
	s_mov_b64 s[40:41], s[26:27]
	s_branch .LBB198_184
.LBB198_187:
	s_or_b64 exec, exec, s[36:37]
	v_cmp_gt_i64_e32 vcc, s[26:27], v[16:17]
	s_orn2_b64 s[36:37], vcc, exec
.LBB198_188:
	s_or_b64 exec, exec, s[4:5]
.LBB198_189:
	s_and_b64 s[4:5], s[36:37], exec
.LBB198_190:
	s_or_b64 exec, exec, s[14:15]
	v_cmp_gt_u32_e32 vcc, s48, v25
	s_and_saveexec_b64 s[14:15], vcc
	s_cbranch_execz .LBB198_201
; %bb.191:
	s_andn2_b64 vcc, exec, s[10:11]
	s_mov_b64 s[36:37], 0
	s_cbranch_vccnz .LBB198_200
; %bb.192:
	s_waitcnt vmcnt(0) lgkmcnt(1)
	v_pk_mov_b32 v[14:15], s[16:17], s[16:17] op_sel:[0,1]
	v_mad_u64_u32 v[12:13], s[12:13], v2, s26, v[14:15]
	v_mul_lo_u32 v16, v2, s27
	v_mul_lo_u32 v17, v3, s26
	v_add3_u32 v13, v17, v13, v16
	v_mad_u64_u32 v[14:15], s[12:13], v4, s26, v[14:15]
	v_mul_lo_u32 v16, v4, s27
	v_mul_lo_u32 v17, v5, s26
	v_add3_u32 v15, v17, v15, v16
	global_load_ubyte v16, v[12:13], off
	global_load_ubyte v17, v[14:15], off
	s_mov_b64 s[36:37], -1
	s_waitcnt vmcnt(0)
	v_cmp_eq_u16_e32 vcc, v16, v17
	s_and_saveexec_b64 s[12:13], vcc
	s_cbranch_execz .LBB198_199
; %bb.193:
	s_mov_b64 s[40:41], 1
	s_mov_b64 s[36:37], 0
                                        ; implicit-def: $sgpr38_sgpr39
	s_branch .LBB198_196
.LBB198_194:                            ;   in Loop: Header=BB198_196 Depth=1
	v_mov_b32_e32 v19, s41
	v_add_co_u32_e32 v16, vcc, s40, v12
	v_addc_co_u32_e32 v17, vcc, v13, v19, vcc
	v_add_co_u32_e32 v18, vcc, s40, v14
	v_addc_co_u32_e32 v19, vcc, v15, v19, vcc
	global_load_ubyte v21, v[16:17], off
	global_load_ubyte v26, v[18:19], off
	s_add_u32 s42, s40, 1
	s_addc_u32 s43, s41, 0
	s_andn2_b64 s[38:39], s[38:39], exec
	s_waitcnt vmcnt(0)
	v_cmp_ne_u16_e32 vcc, v21, v26
	s_and_b64 s[44:45], vcc, exec
	s_or_b64 s[38:39], s[38:39], s[44:45]
.LBB198_195:                            ;   in Loop: Header=BB198_196 Depth=1
	s_and_b64 s[44:45], exec, s[38:39]
	s_or_b64 s[36:37], s[44:45], s[36:37]
	v_pk_mov_b32 v[16:17], s[40:41], s[40:41] op_sel:[0,1]
	s_mov_b64 s[40:41], s[42:43]
	s_andn2_b64 exec, exec, s[36:37]
	s_cbranch_execz .LBB198_198
.LBB198_196:                            ; =>This Inner Loop Header: Depth=1
	s_or_b64 s[38:39], s[38:39], exec
	s_cmp_eq_u64 s[26:27], s[40:41]
	s_cbranch_scc0 .LBB198_194
; %bb.197:                              ;   in Loop: Header=BB198_196 Depth=1
                                        ; implicit-def: $sgpr42_sgpr43
	s_mov_b64 s[40:41], s[26:27]
	s_branch .LBB198_195
.LBB198_198:
	s_or_b64 exec, exec, s[36:37]
	v_cmp_gt_i64_e32 vcc, s[26:27], v[16:17]
	s_orn2_b64 s[36:37], vcc, exec
.LBB198_199:
	s_or_b64 exec, exec, s[12:13]
.LBB198_200:
	s_and_b64 s[12:13], s[36:37], exec
.LBB198_201:
	s_or_b64 exec, exec, s[14:15]
	v_cmp_gt_u32_e32 vcc, s48, v22
	s_mov_b64 s[14:15], 0
	s_mov_b64 s[36:37], 0
	s_and_saveexec_b64 s[38:39], vcc
	s_cbranch_execz .LBB198_212
; %bb.202:
	s_andn2_b64 vcc, exec, s[10:11]
	s_mov_b64 s[40:41], 0
	s_cbranch_vccnz .LBB198_211
; %bb.203:
	s_waitcnt vmcnt(0) lgkmcnt(1)
	v_pk_mov_b32 v[14:15], s[16:17], s[16:17] op_sel:[0,1]
	v_mad_u64_u32 v[12:13], s[36:37], v8, s26, v[14:15]
	v_mul_lo_u32 v16, v8, s27
	v_mul_lo_u32 v17, v9, s26
	v_add3_u32 v13, v17, v13, v16
	v_mad_u64_u32 v[14:15], s[36:37], v2, s26, v[14:15]
	v_mul_lo_u32 v16, v2, s27
	v_mul_lo_u32 v17, v3, s26
	v_add3_u32 v15, v17, v15, v16
	global_load_ubyte v16, v[12:13], off
	global_load_ubyte v17, v[14:15], off
	s_mov_b64 s[40:41], -1
	s_waitcnt vmcnt(0)
	v_cmp_eq_u16_e32 vcc, v16, v17
	s_and_saveexec_b64 s[36:37], vcc
	s_cbranch_execz .LBB198_210
; %bb.204:
	s_mov_b64 s[44:45], 1
	s_mov_b64 s[40:41], 0
                                        ; implicit-def: $sgpr42_sgpr43
	s_branch .LBB198_207
.LBB198_205:                            ;   in Loop: Header=BB198_207 Depth=1
	v_mov_b32_e32 v19, s45
	v_add_co_u32_e32 v16, vcc, s44, v12
	v_addc_co_u32_e32 v17, vcc, v13, v19, vcc
	v_add_co_u32_e32 v18, vcc, s44, v14
	v_addc_co_u32_e32 v19, vcc, v15, v19, vcc
	global_load_ubyte v21, v[16:17], off
	global_load_ubyte v26, v[18:19], off
	s_add_u32 s46, s44, 1
	s_addc_u32 s47, s45, 0
	s_andn2_b64 s[42:43], s[42:43], exec
	s_waitcnt vmcnt(0)
	v_cmp_ne_u16_e32 vcc, v21, v26
	s_and_b64 s[50:51], vcc, exec
	s_or_b64 s[42:43], s[42:43], s[50:51]
.LBB198_206:                            ;   in Loop: Header=BB198_207 Depth=1
	s_and_b64 s[50:51], exec, s[42:43]
	s_or_b64 s[40:41], s[50:51], s[40:41]
	v_pk_mov_b32 v[16:17], s[44:45], s[44:45] op_sel:[0,1]
	s_mov_b64 s[44:45], s[46:47]
	s_andn2_b64 exec, exec, s[40:41]
	s_cbranch_execz .LBB198_209
.LBB198_207:                            ; =>This Inner Loop Header: Depth=1
	s_or_b64 s[42:43], s[42:43], exec
	s_cmp_eq_u64 s[26:27], s[44:45]
	s_cbranch_scc0 .LBB198_205
; %bb.208:                              ;   in Loop: Header=BB198_207 Depth=1
                                        ; implicit-def: $sgpr46_sgpr47
	s_mov_b64 s[44:45], s[26:27]
	s_branch .LBB198_206
.LBB198_209:
	s_or_b64 exec, exec, s[40:41]
	v_cmp_gt_i64_e32 vcc, s[26:27], v[16:17]
	s_orn2_b64 s[40:41], vcc, exec
.LBB198_210:
	s_or_b64 exec, exec, s[36:37]
.LBB198_211:
	s_and_b64 s[36:37], s[40:41], exec
.LBB198_212:
	s_or_b64 exec, exec, s[38:39]
	v_cmp_gt_u32_e32 vcc, s48, v24
	s_and_saveexec_b64 s[38:39], vcc
	s_cbranch_execz .LBB198_223
; %bb.213:
	s_andn2_b64 vcc, exec, s[10:11]
	s_mov_b64 s[40:41], 0
	s_cbranch_vccnz .LBB198_222
; %bb.214:
	s_waitcnt vmcnt(0) lgkmcnt(1)
	v_pk_mov_b32 v[14:15], s[16:17], s[16:17] op_sel:[0,1]
	v_mad_u64_u32 v[12:13], s[14:15], v6, s26, v[14:15]
	v_mul_lo_u32 v16, v6, s27
	v_mul_lo_u32 v17, v7, s26
	v_add3_u32 v13, v17, v13, v16
	v_mad_u64_u32 v[14:15], s[14:15], v8, s26, v[14:15]
	v_mul_lo_u32 v16, v8, s27
	v_mul_lo_u32 v17, v9, s26
	v_add3_u32 v15, v17, v15, v16
	global_load_ubyte v16, v[12:13], off
	global_load_ubyte v17, v[14:15], off
	s_mov_b64 s[40:41], -1
	s_waitcnt vmcnt(0)
	v_cmp_eq_u16_e32 vcc, v16, v17
	s_and_saveexec_b64 s[14:15], vcc
	s_cbranch_execz .LBB198_221
; %bb.215:
	s_mov_b64 s[44:45], 1
	s_mov_b64 s[40:41], 0
                                        ; implicit-def: $sgpr42_sgpr43
	s_branch .LBB198_218
.LBB198_216:                            ;   in Loop: Header=BB198_218 Depth=1
	v_mov_b32_e32 v19, s45
	v_add_co_u32_e32 v16, vcc, s44, v12
	v_addc_co_u32_e32 v17, vcc, v13, v19, vcc
	v_add_co_u32_e32 v18, vcc, s44, v14
	v_addc_co_u32_e32 v19, vcc, v15, v19, vcc
	global_load_ubyte v21, v[16:17], off
	global_load_ubyte v26, v[18:19], off
	s_add_u32 s46, s44, 1
	s_addc_u32 s47, s45, 0
	s_andn2_b64 s[42:43], s[42:43], exec
	s_waitcnt vmcnt(0)
	v_cmp_ne_u16_e32 vcc, v21, v26
	s_and_b64 s[50:51], vcc, exec
	s_or_b64 s[42:43], s[42:43], s[50:51]
.LBB198_217:                            ;   in Loop: Header=BB198_218 Depth=1
	s_and_b64 s[50:51], exec, s[42:43]
	s_or_b64 s[40:41], s[50:51], s[40:41]
	v_pk_mov_b32 v[16:17], s[44:45], s[44:45] op_sel:[0,1]
	s_mov_b64 s[44:45], s[46:47]
	s_andn2_b64 exec, exec, s[40:41]
	s_cbranch_execz .LBB198_220
.LBB198_218:                            ; =>This Inner Loop Header: Depth=1
	s_or_b64 s[42:43], s[42:43], exec
	s_cmp_eq_u64 s[26:27], s[44:45]
	s_cbranch_scc0 .LBB198_216
; %bb.219:                              ;   in Loop: Header=BB198_218 Depth=1
                                        ; implicit-def: $sgpr46_sgpr47
	s_mov_b64 s[44:45], s[26:27]
	s_branch .LBB198_217
.LBB198_220:
	s_or_b64 exec, exec, s[40:41]
	v_cmp_gt_i64_e32 vcc, s[26:27], v[16:17]
	s_orn2_b64 s[40:41], vcc, exec
.LBB198_221:
	s_or_b64 exec, exec, s[14:15]
.LBB198_222:
	s_and_b64 s[14:15], s[40:41], exec
.LBB198_223:
	s_or_b64 exec, exec, s[38:39]
	v_cndmask_b32_e64 v13, 0, 1, s[12:13]
	s_waitcnt vmcnt(0) lgkmcnt(1)
	v_cndmask_b32_e64 v14, 0, 1, s[14:15]
	v_cndmask_b32_e64 v12, 0, 1, s[36:37]
	v_lshlrev_b16_e32 v14, 8, v14
	v_lshlrev_b16_e32 v13, 8, v13
	v_or_b32_e32 v14, 1, v14
	v_or_b32_sdwa v12, v12, v13 dst_sel:WORD_1 dst_unused:UNUSED_PAD src0_sel:DWORD src1_sel:DWORD
	v_or_b32_sdwa v12, v14, v12 dst_sel:DWORD dst_unused:UNUSED_PAD src0_sel:WORD_0 src1_sel:DWORD
	v_cndmask_b32_e64 v13, 0, 1, s[4:5]
	s_waitcnt lgkmcnt(0)
	s_barrier
	s_waitcnt lgkmcnt(0)
                                        ; implicit-def: $sgpr12_sgpr13
                                        ; implicit-def: $vgpr16
	s_and_saveexec_b64 s[4:5], s[2:3]
	s_cbranch_execz .LBB198_236
; %bb.224:
	v_cmp_gt_u32_e32 vcc, s48, v1
	s_mov_b32 s38, 0x3020104
	s_mov_b64 s[12:13], 0
	s_and_saveexec_b64 s[2:3], vcc
	s_cbranch_execz .LBB198_235
; %bb.225:
	s_andn2_b64 vcc, exec, s[10:11]
	s_cbranch_vccnz .LBB198_234
; %bb.226:
	v_add_u32_e32 v14, -8, v20
	ds_read_b64 v[14:15], v14
	v_pk_mov_b32 v[16:17], s[16:17], s[16:17] op_sel:[0,1]
	s_mov_b64 s[12:13], -1
	s_waitcnt lgkmcnt(0)
	v_mul_lo_u32 v18, v14, s27
	v_mul_lo_u32 v19, v15, s26
	v_mad_u64_u32 v[14:15], s[10:11], v14, s26, v[16:17]
	v_add3_u32 v15, v19, v15, v18
	v_mad_u64_u32 v[16:17], s[10:11], v6, s26, v[16:17]
	v_mul_lo_u32 v18, v6, s27
	v_mul_lo_u32 v19, v7, s26
	v_add3_u32 v17, v19, v17, v18
	global_load_ubyte v18, v[14:15], off
	global_load_ubyte v19, v[16:17], off
	s_waitcnt vmcnt(0)
	v_cmp_eq_u16_e32 vcc, v18, v19
	s_and_saveexec_b64 s[10:11], vcc
	s_cbranch_execz .LBB198_233
; %bb.227:
	s_mov_b64 s[16:17], 1
	s_mov_b64 s[12:13], 0
                                        ; implicit-def: $sgpr14_sgpr15
	s_branch .LBB198_230
.LBB198_228:                            ;   in Loop: Header=BB198_230 Depth=1
	v_mov_b32_e32 v21, s17
	v_add_co_u32_e32 v18, vcc, s16, v14
	v_addc_co_u32_e32 v19, vcc, v15, v21, vcc
	v_add_co_u32_e32 v20, vcc, s16, v16
	v_addc_co_u32_e32 v21, vcc, v17, v21, vcc
	global_load_ubyte v26, v[18:19], off
	global_load_ubyte v27, v[20:21], off
	s_add_u32 s36, s16, 1
	s_addc_u32 s37, s17, 0
	s_andn2_b64 s[14:15], s[14:15], exec
	s_waitcnt vmcnt(0)
	v_cmp_ne_u16_e32 vcc, v26, v27
	s_and_b64 s[40:41], vcc, exec
	s_or_b64 s[14:15], s[14:15], s[40:41]
.LBB198_229:                            ;   in Loop: Header=BB198_230 Depth=1
	s_and_b64 s[40:41], exec, s[14:15]
	s_or_b64 s[12:13], s[40:41], s[12:13]
	v_pk_mov_b32 v[18:19], s[16:17], s[16:17] op_sel:[0,1]
	s_mov_b64 s[16:17], s[36:37]
	s_andn2_b64 exec, exec, s[12:13]
	s_cbranch_execz .LBB198_232
.LBB198_230:                            ; =>This Inner Loop Header: Depth=1
	s_or_b64 s[14:15], s[14:15], exec
	s_cmp_eq_u64 s[26:27], s[16:17]
	s_cbranch_scc0 .LBB198_228
; %bb.231:                              ;   in Loop: Header=BB198_230 Depth=1
                                        ; implicit-def: $sgpr36_sgpr37
	s_mov_b64 s[16:17], s[26:27]
	s_branch .LBB198_229
.LBB198_232:
	s_or_b64 exec, exec, s[12:13]
	v_cmp_gt_i64_e32 vcc, s[26:27], v[18:19]
	s_orn2_b64 s[12:13], vcc, exec
.LBB198_233:
	s_or_b64 exec, exec, s[10:11]
.LBB198_234:
	s_and_b64 s[12:13], s[12:13], exec
.LBB198_235:
	s_or_b64 exec, exec, s[2:3]
	v_perm_b32 v16, v12, v12, s38
	s_and_b64 s[12:13], s[12:13], exec
	s_or_b64 s[8:9], s[8:9], exec
.LBB198_236:
	s_or_b64 exec, exec, s[4:5]
.LBB198_237:
	s_and_saveexec_b64 s[2:3], s[8:9]
	s_cbranch_execz .LBB198_239
; %bb.238:
	s_waitcnt vmcnt(0) lgkmcnt(0)
	v_lshrrev_b32_e32 v14, 24, v16
	s_movk_i32 s4, 0xff
	v_lshlrev_b16_e32 v14, 8, v14
	v_and_b32_sdwa v15, v16, s4 dst_sel:DWORD dst_unused:UNUSED_PAD src0_sel:WORD_1 src1_sel:DWORD
	v_or_b32_sdwa v14, v15, v14 dst_sel:WORD_1 dst_unused:UNUSED_PAD src0_sel:DWORD src1_sel:DWORD
	v_mov_b32_e32 v15, 8
	v_cndmask_b32_e64 v12, 0, 1, s[12:13]
	v_lshrrev_b32_sdwa v15, v15, v16 dst_sel:BYTE_1 dst_unused:UNUSED_PAD src0_sel:DWORD src1_sel:DWORD
	v_or_b32_e32 v12, v12, v15
	s_mov_b32 s4, 0xffff
	v_or_b32_sdwa v12, v12, v14 dst_sel:DWORD dst_unused:UNUSED_PAD src0_sel:WORD_0 src1_sel:DWORD
	v_and_b32_sdwa v13, s4, v13 dst_sel:DWORD dst_unused:UNUSED_PAD src0_sel:DWORD src1_sel:BYTE_0
.LBB198_239:
	s_or_b64 exec, exec, s[2:3]
	s_andn2_b64 vcc, exec, s[6:7]
	s_cbranch_vccnz .LBB198_241
; %bb.240:
	v_cmp_gt_u32_e32 vcc, s48, v1
	v_cndmask_b32_e32 v1, 0, v12, vcc
	v_and_b32_e32 v1, 0xffff00ff, v1
	v_cmp_gt_u32_e64 s[2:3], s48, v24
	v_cndmask_b32_e64 v1, v1, v12, s[2:3]
	s_waitcnt vmcnt(0) lgkmcnt(0)
	v_lshrrev_b32_e32 v14, 24, v1
	s_mov_b32 s4, 0x40c0100
	v_perm_b32 v1, v14, v1, s4
	v_cmp_gt_u32_e64 s[4:5], s48, v22
	v_cmp_gt_u32_e64 s[6:7], s48, v25
	v_cndmask_b32_e64 v1, v1, v12, s[4:5]
	s_or_b64 s[4:5], s[6:7], s[4:5]
	s_or_b64 s[2:3], s[4:5], s[2:3]
	s_or_b64 vcc, s[2:3], vcc
	v_and_b32_e32 v1, 0xffffff, v1
	v_cndmask_b32_e32 v14, 0, v13, vcc
	v_cndmask_b32_e64 v1, v1, v12, s[6:7]
	v_and_b32_e32 v14, 0xffffff00, v14
	v_cmp_gt_u32_e32 vcc, s48, v23
	v_cndmask_b32_e32 v1, v1, v12, vcc
	v_cndmask_b32_e32 v12, v14, v13, vcc
	s_mov_b32 s2, 0x3020104
	v_and_b32_e32 v13, 0xff, v12
	v_perm_b32 v12, v1, v1, s2
.LBB198_241:
	v_and_b32_e32 v1, 0xff, v12
	v_bfe_u32 v25, v12, 8, 8
	v_bfe_u32 v27, v12, 16, 8
	s_waitcnt vmcnt(0) lgkmcnt(0)
	v_alignbit_b32 v14, v13, v12, 24
	v_and_b32_e32 v28, 0xff, v14
	v_and_b32_e32 v14, 0xff, v13
	v_add3_u32 v15, v25, v1, v27
	v_add3_u32 v31, v15, v28, v14
	v_mbcnt_lo_u32_b32 v14, -1, 0
	v_mbcnt_hi_u32_b32 v29, -1, v14
	v_and_b32_e32 v14, 15, v29
	v_cmp_eq_u32_e64 s[14:15], 0, v14
	v_cmp_lt_u32_e64 s[12:13], 1, v14
	v_cmp_lt_u32_e64 s[10:11], 3, v14
	;; [unrolled: 1-line block ×3, first 2 shown]
	v_and_b32_e32 v14, 16, v29
	v_cmp_eq_u32_e64 s[6:7], 0, v14
	v_or_b32_e32 v14, 63, v0
	v_cmp_lt_u32_e64 s[2:3], 31, v29
	v_lshrrev_b32_e32 v30, 6, v0
	v_cmp_eq_u32_e64 s[4:5], v14, v0
	s_and_b64 vcc, exec, s[34:35]
	s_barrier
	s_cbranch_vccz .LBB198_268
; %bb.242:
	v_mov_b32_dpp v14, v31 row_shr:1 row_mask:0xf bank_mask:0xf
	v_cndmask_b32_e64 v14, v14, 0, s[14:15]
	v_add_u32_e32 v14, v14, v31
	s_nop 1
	v_mov_b32_dpp v15, v14 row_shr:2 row_mask:0xf bank_mask:0xf
	v_cndmask_b32_e64 v15, 0, v15, s[12:13]
	v_add_u32_e32 v14, v14, v15
	s_nop 1
	;; [unrolled: 4-line block ×4, first 2 shown]
	v_mov_b32_dpp v15, v14 row_bcast:15 row_mask:0xf bank_mask:0xf
	v_cndmask_b32_e64 v15, v15, 0, s[6:7]
	v_add_u32_e32 v14, v14, v15
	s_nop 1
	v_mov_b32_dpp v15, v14 row_bcast:31 row_mask:0xf bank_mask:0xf
	v_cndmask_b32_e64 v15, 0, v15, s[2:3]
	v_add_u32_e32 v14, v14, v15
	s_and_saveexec_b64 s[16:17], s[4:5]
	s_cbranch_execz .LBB198_244
; %bb.243:
	v_lshlrev_b32_e32 v15, 2, v30
	ds_write_b32 v15, v14
.LBB198_244:
	s_or_b64 exec, exec, s[16:17]
	v_cmp_gt_u32_e32 vcc, 4, v0
	s_waitcnt lgkmcnt(0)
	s_barrier
	s_and_saveexec_b64 s[16:17], vcc
	s_cbranch_execz .LBB198_246
; %bb.245:
	v_lshlrev_b32_e32 v15, 2, v0
	ds_read_b32 v16, v15
	v_and_b32_e32 v17, 3, v29
	v_cmp_ne_u32_e32 vcc, 0, v17
	s_waitcnt lgkmcnt(0)
	v_mov_b32_dpp v18, v16 row_shr:1 row_mask:0xf bank_mask:0xf
	v_cndmask_b32_e32 v18, 0, v18, vcc
	v_add_u32_e32 v16, v18, v16
	v_cmp_lt_u32_e32 vcc, 1, v17
	s_nop 0
	v_mov_b32_dpp v18, v16 row_shr:2 row_mask:0xf bank_mask:0xf
	v_cndmask_b32_e32 v17, 0, v18, vcc
	v_add_u32_e32 v16, v16, v17
	ds_write_b32 v15, v16
.LBB198_246:
	s_or_b64 exec, exec, s[16:17]
	v_cmp_gt_u32_e32 vcc, 64, v0
	v_cmp_lt_u32_e64 s[16:17], 63, v0
	s_waitcnt lgkmcnt(0)
	s_barrier
	s_waitcnt lgkmcnt(0)
                                        ; implicit-def: $vgpr24
	s_and_saveexec_b64 s[26:27], s[16:17]
	s_cbranch_execz .LBB198_248
; %bb.247:
	v_lshl_add_u32 v15, v30, 2, -4
	ds_read_b32 v24, v15
	s_waitcnt lgkmcnt(0)
	v_add_u32_e32 v14, v24, v14
.LBB198_248:
	s_or_b64 exec, exec, s[26:27]
	v_add_u32_e32 v15, -1, v29
	v_and_b32_e32 v16, 64, v29
	v_cmp_lt_i32_e64 s[16:17], v15, v16
	v_cndmask_b32_e64 v15, v15, v29, s[16:17]
	v_lshlrev_b32_e32 v15, 2, v15
	ds_bpermute_b32 v26, v15, v14
	v_cmp_eq_u32_e64 s[16:17], 0, v29
	s_and_saveexec_b64 s[26:27], vcc
	s_cbranch_execz .LBB198_267
; %bb.249:
	v_mov_b32_e32 v21, 0
	ds_read_b32 v14, v21 offset:12
	s_and_saveexec_b64 s[34:35], s[16:17]
	s_cbranch_execz .LBB198_251
; %bb.250:
	s_add_i32 s36, s33, 64
	s_mov_b32 s37, 0
	s_lshl_b64 s[36:37], s[36:37], 3
	s_add_u32 s36, s18, s36
	v_mov_b32_e32 v15, 1
	s_addc_u32 s37, s19, s37
	s_waitcnt lgkmcnt(0)
	global_store_dwordx2 v21, v[14:15], s[36:37]
.LBB198_251:
	s_or_b64 exec, exec, s[34:35]
	v_xad_u32 v16, v29, -1, s33
	v_add_u32_e32 v20, 64, v16
	v_lshlrev_b64 v[18:19], 3, v[20:21]
	v_mov_b32_e32 v15, s19
	v_add_co_u32_e32 v22, vcc, s18, v18
	v_addc_co_u32_e32 v23, vcc, v15, v19, vcc
	global_load_dwordx2 v[18:19], v[22:23], off glc
	s_waitcnt vmcnt(0)
	v_cmp_eq_u16_sdwa s[36:37], v19, v21 src0_sel:BYTE_0 src1_sel:DWORD
	s_and_saveexec_b64 s[34:35], s[36:37]
	s_cbranch_execz .LBB198_255
; %bb.252:
	s_mov_b64 s[36:37], 0
	v_mov_b32_e32 v15, 0
.LBB198_253:                            ; =>This Inner Loop Header: Depth=1
	global_load_dwordx2 v[18:19], v[22:23], off glc
	s_waitcnt vmcnt(0)
	v_cmp_ne_u16_sdwa s[38:39], v19, v15 src0_sel:BYTE_0 src1_sel:DWORD
	s_or_b64 s[36:37], s[38:39], s[36:37]
	s_andn2_b64 exec, exec, s[36:37]
	s_cbranch_execnz .LBB198_253
; %bb.254:
	s_or_b64 exec, exec, s[36:37]
.LBB198_255:
	s_or_b64 exec, exec, s[34:35]
	v_and_b32_e32 v32, 63, v29
	v_mov_b32_e32 v15, 2
	v_cmp_ne_u32_e32 vcc, 63, v32
	v_cmp_eq_u16_sdwa s[34:35], v19, v15 src0_sel:BYTE_0 src1_sel:DWORD
	v_lshlrev_b64 v[20:21], v29, -1
	v_addc_co_u32_e32 v23, vcc, 0, v29, vcc
	v_and_b32_e32 v17, s35, v21
	v_lshlrev_b32_e32 v33, 2, v23
	v_or_b32_e32 v17, 0x80000000, v17
	ds_bpermute_b32 v23, v33, v18
	v_and_b32_e32 v22, s34, v20
	v_ffbl_b32_e32 v17, v17
	v_add_u32_e32 v17, 32, v17
	v_ffbl_b32_e32 v22, v22
	v_min_u32_e32 v17, v22, v17
	v_cmp_lt_u32_e32 vcc, v32, v17
	s_waitcnt lgkmcnt(0)
	v_cndmask_b32_e32 v22, 0, v23, vcc
	v_cmp_gt_u32_e32 vcc, 62, v32
	v_add_u32_e32 v18, v22, v18
	v_cndmask_b32_e64 v22, 0, 1, vcc
	v_lshlrev_b32_e32 v22, 1, v22
	v_add_lshl_u32 v34, v22, v29, 2
	ds_bpermute_b32 v22, v34, v18
	v_add_u32_e32 v35, 2, v32
	v_cmp_le_u32_e32 vcc, v35, v17
	v_add_u32_e32 v37, 4, v32
	v_add_u32_e32 v39, 8, v32
	s_waitcnt lgkmcnt(0)
	v_cndmask_b32_e32 v22, 0, v22, vcc
	v_cmp_gt_u32_e32 vcc, 60, v32
	v_add_u32_e32 v18, v18, v22
	v_cndmask_b32_e64 v22, 0, 1, vcc
	v_lshlrev_b32_e32 v22, 2, v22
	v_add_lshl_u32 v36, v22, v29, 2
	ds_bpermute_b32 v22, v36, v18
	v_cmp_le_u32_e32 vcc, v37, v17
	v_add_u32_e32 v42, 16, v32
	v_add_u32_e32 v44, 32, v32
	s_waitcnt lgkmcnt(0)
	v_cndmask_b32_e32 v22, 0, v22, vcc
	v_cmp_gt_u32_e32 vcc, 56, v32
	v_add_u32_e32 v18, v18, v22
	v_cndmask_b32_e64 v22, 0, 1, vcc
	v_lshlrev_b32_e32 v22, 3, v22
	v_add_lshl_u32 v38, v22, v29, 2
	ds_bpermute_b32 v22, v38, v18
	v_cmp_le_u32_e32 vcc, v39, v17
	s_waitcnt lgkmcnt(0)
	v_cndmask_b32_e32 v22, 0, v22, vcc
	v_cmp_gt_u32_e32 vcc, 48, v32
	v_add_u32_e32 v18, v18, v22
	v_cndmask_b32_e64 v22, 0, 1, vcc
	v_lshlrev_b32_e32 v22, 4, v22
	v_add_lshl_u32 v41, v22, v29, 2
	ds_bpermute_b32 v22, v41, v18
	v_cmp_le_u32_e32 vcc, v42, v17
	;; [unrolled: 9-line block ×3, first 2 shown]
	s_waitcnt lgkmcnt(0)
	v_cndmask_b32_e32 v17, 0, v22, vcc
	v_add_u32_e32 v18, v18, v17
	v_mov_b32_e32 v17, 0
	s_branch .LBB198_257
.LBB198_256:                            ;   in Loop: Header=BB198_257 Depth=1
	s_or_b64 exec, exec, s[34:35]
	v_cmp_eq_u16_sdwa s[34:35], v19, v15 src0_sel:BYTE_0 src1_sel:DWORD
	v_and_b32_e32 v22, s35, v21
	v_or_b32_e32 v22, 0x80000000, v22
	ds_bpermute_b32 v45, v33, v18
	v_and_b32_e32 v23, s34, v20
	v_ffbl_b32_e32 v22, v22
	v_add_u32_e32 v22, 32, v22
	v_ffbl_b32_e32 v23, v23
	v_min_u32_e32 v22, v23, v22
	v_cmp_lt_u32_e32 vcc, v32, v22
	s_waitcnt lgkmcnt(0)
	v_cndmask_b32_e32 v23, 0, v45, vcc
	v_add_u32_e32 v18, v23, v18
	ds_bpermute_b32 v23, v34, v18
	v_cmp_le_u32_e32 vcc, v35, v22
	v_subrev_u32_e32 v16, 64, v16
	s_waitcnt lgkmcnt(0)
	v_cndmask_b32_e32 v23, 0, v23, vcc
	v_add_u32_e32 v18, v18, v23
	ds_bpermute_b32 v23, v36, v18
	v_cmp_le_u32_e32 vcc, v37, v22
	s_waitcnt lgkmcnt(0)
	v_cndmask_b32_e32 v23, 0, v23, vcc
	v_add_u32_e32 v18, v18, v23
	ds_bpermute_b32 v23, v38, v18
	v_cmp_le_u32_e32 vcc, v39, v22
	;; [unrolled: 5-line block ×4, first 2 shown]
	s_waitcnt lgkmcnt(0)
	v_cndmask_b32_e32 v22, 0, v23, vcc
	v_add3_u32 v18, v22, v40, v18
.LBB198_257:                            ; =>This Loop Header: Depth=1
                                        ;     Child Loop BB198_260 Depth 2
	v_cmp_ne_u16_sdwa s[34:35], v19, v15 src0_sel:BYTE_0 src1_sel:DWORD
	v_cndmask_b32_e64 v19, 0, 1, s[34:35]
	;;#ASMSTART
	;;#ASMEND
	v_cmp_ne_u32_e32 vcc, 0, v19
	s_cmp_lg_u64 vcc, exec
	v_mov_b32_e32 v40, v18
	s_cbranch_scc1 .LBB198_262
; %bb.258:                              ;   in Loop: Header=BB198_257 Depth=1
	v_lshlrev_b64 v[18:19], 3, v[16:17]
	v_mov_b32_e32 v23, s19
	v_add_co_u32_e32 v22, vcc, s18, v18
	v_addc_co_u32_e32 v23, vcc, v23, v19, vcc
	global_load_dwordx2 v[18:19], v[22:23], off glc
	s_waitcnt vmcnt(0)
	v_cmp_eq_u16_sdwa s[36:37], v19, v17 src0_sel:BYTE_0 src1_sel:DWORD
	s_and_saveexec_b64 s[34:35], s[36:37]
	s_cbranch_execz .LBB198_256
; %bb.259:                              ;   in Loop: Header=BB198_257 Depth=1
	s_mov_b64 s[36:37], 0
.LBB198_260:                            ;   Parent Loop BB198_257 Depth=1
                                        ; =>  This Inner Loop Header: Depth=2
	global_load_dwordx2 v[18:19], v[22:23], off glc
	s_waitcnt vmcnt(0)
	v_cmp_ne_u16_sdwa s[38:39], v19, v17 src0_sel:BYTE_0 src1_sel:DWORD
	s_or_b64 s[36:37], s[38:39], s[36:37]
	s_andn2_b64 exec, exec, s[36:37]
	s_cbranch_execnz .LBB198_260
; %bb.261:                              ;   in Loop: Header=BB198_257 Depth=1
	s_or_b64 exec, exec, s[36:37]
	s_branch .LBB198_256
.LBB198_262:                            ;   in Loop: Header=BB198_257 Depth=1
                                        ; implicit-def: $vgpr18
                                        ; implicit-def: $vgpr19
	s_cbranch_execz .LBB198_257
; %bb.263:
	s_and_saveexec_b64 s[34:35], s[16:17]
	s_cbranch_execz .LBB198_265
; %bb.264:
	s_add_i32 s36, s33, 64
	s_mov_b32 s37, 0
	s_lshl_b64 s[36:37], s[36:37], 3
	s_add_u32 s36, s18, s36
	v_add_u32_e32 v16, v40, v14
	v_mov_b32_e32 v17, 2
	s_addc_u32 s37, s19, s37
	v_mov_b32_e32 v15, 0
	s_movk_i32 s33, 0x2800
	global_store_dwordx2 v15, v[16:17], s[36:37]
	v_add_u32_e64 v15, s33, 0
	ds_write2_b32 v15, v14, v40 offset1:2
.LBB198_265:
	s_or_b64 exec, exec, s[34:35]
	s_and_b64 exec, exec, s[0:1]
	s_cbranch_execz .LBB198_267
; %bb.266:
	v_mov_b32_e32 v14, 0
	ds_write_b32 v14, v40 offset:12
.LBB198_267:
	s_or_b64 exec, exec, s[26:27]
	v_mov_b32_e32 v14, 0
	s_waitcnt lgkmcnt(0)
	s_barrier
	ds_read_b32 v14, v14 offset:12
	v_cndmask_b32_e64 v15, v26, v24, s[16:17]
	v_cndmask_b32_e64 v15, v15, 0, s[0:1]
	s_movk_i32 s16, 0x2800
	s_waitcnt lgkmcnt(0)
	v_add_u32_e32 v26, v14, v15
	v_add_u32_e64 v14, s16, 0
	s_barrier
	ds_read2_b32 v[14:15], v14 offset1:2
	v_add_u32_e32 v24, v26, v1
	v_add_u32_e32 v22, v24, v25
	;; [unrolled: 1-line block ×4, first 2 shown]
	v_lshrrev_b64 v[16:17], 24, v[12:13]
	s_branch .LBB198_278
.LBB198_268:
                                        ; implicit-def: $vgpr18
                                        ; implicit-def: $vgpr20
                                        ; implicit-def: $vgpr22
                                        ; implicit-def: $vgpr24
                                        ; implicit-def: $vgpr26
                                        ; implicit-def: $vgpr15
	v_lshrrev_b64 v[16:17], 24, v[12:13]
	s_cbranch_execz .LBB198_278
; %bb.269:
	s_waitcnt lgkmcnt(0)
	v_mov_b32_dpp v14, v31 row_shr:1 row_mask:0xf bank_mask:0xf
	v_cndmask_b32_e64 v14, v14, 0, s[14:15]
	v_add_u32_e32 v14, v14, v31
	s_nop 1
	v_mov_b32_dpp v15, v14 row_shr:2 row_mask:0xf bank_mask:0xf
	v_cndmask_b32_e64 v15, 0, v15, s[12:13]
	v_add_u32_e32 v14, v14, v15
	s_nop 1
	;; [unrolled: 4-line block ×4, first 2 shown]
	v_mov_b32_dpp v15, v14 row_bcast:15 row_mask:0xf bank_mask:0xf
	v_cndmask_b32_e64 v15, v15, 0, s[6:7]
	v_add_u32_e32 v14, v14, v15
	s_nop 1
	v_mov_b32_dpp v15, v14 row_bcast:31 row_mask:0xf bank_mask:0xf
	v_cndmask_b32_e64 v15, 0, v15, s[2:3]
	v_add_u32_e32 v14, v14, v15
	s_and_saveexec_b64 s[2:3], s[4:5]
	s_cbranch_execz .LBB198_271
; %bb.270:
	v_lshlrev_b32_e32 v15, 2, v30
	ds_write_b32 v15, v14
.LBB198_271:
	s_or_b64 exec, exec, s[2:3]
	v_cmp_gt_u32_e32 vcc, 4, v0
	s_waitcnt lgkmcnt(0)
	s_barrier
	s_and_saveexec_b64 s[2:3], vcc
	s_cbranch_execz .LBB198_273
; %bb.272:
	v_lshlrev_b32_e32 v15, 2, v0
	ds_read_b32 v17, v15
	v_and_b32_e32 v18, 3, v29
	v_cmp_ne_u32_e32 vcc, 0, v18
	s_waitcnt lgkmcnt(0)
	v_mov_b32_dpp v19, v17 row_shr:1 row_mask:0xf bank_mask:0xf
	v_cndmask_b32_e32 v19, 0, v19, vcc
	v_add_u32_e32 v17, v19, v17
	v_cmp_lt_u32_e32 vcc, 1, v18
	s_nop 0
	v_mov_b32_dpp v19, v17 row_shr:2 row_mask:0xf bank_mask:0xf
	v_cndmask_b32_e32 v18, 0, v19, vcc
	v_add_u32_e32 v17, v17, v18
	ds_write_b32 v15, v17
.LBB198_273:
	s_or_b64 exec, exec, s[2:3]
	v_cmp_lt_u32_e32 vcc, 63, v0
	v_mov_b32_e32 v15, 0
	v_mov_b32_e32 v17, 0
	s_waitcnt lgkmcnt(0)
	s_barrier
	s_and_saveexec_b64 s[2:3], vcc
	s_cbranch_execz .LBB198_275
; %bb.274:
	v_lshl_add_u32 v17, v30, 2, -4
	ds_read_b32 v17, v17
.LBB198_275:
	s_or_b64 exec, exec, s[2:3]
	v_add_u32_e32 v18, -1, v29
	v_and_b32_e32 v19, 64, v29
	v_cmp_lt_i32_e32 vcc, v18, v19
	v_cndmask_b32_e32 v18, v18, v29, vcc
	s_waitcnt lgkmcnt(0)
	v_add_u32_e32 v14, v17, v14
	v_lshlrev_b32_e32 v18, 2, v18
	ds_bpermute_b32 v18, v18, v14
	ds_read_b32 v14, v15 offset:12
	s_and_saveexec_b64 s[2:3], s[0:1]
	s_cbranch_execz .LBB198_277
; %bb.276:
	v_mov_b32_e32 v19, 0
	v_mov_b32_e32 v15, 2
	s_waitcnt lgkmcnt(0)
	global_store_dwordx2 v19, v[14:15], s[18:19] offset:512
.LBB198_277:
	s_or_b64 exec, exec, s[2:3]
	v_cmp_eq_u32_e32 vcc, 0, v29
	s_waitcnt lgkmcnt(1)
	v_cndmask_b32_e32 v17, v18, v17, vcc
	v_cndmask_b32_e64 v26, v17, 0, s[0:1]
	v_add_u32_e32 v24, v26, v1
	v_add_u32_e32 v22, v24, v25
	;; [unrolled: 1-line block ×3, first 2 shown]
	v_mov_b32_e32 v15, 0
	v_add_u32_e32 v18, v20, v28
	s_waitcnt lgkmcnt(0)
	s_barrier
.LBB198_278:
	s_movk_i32 s2, 0x101
	s_waitcnt lgkmcnt(0)
	v_cmp_gt_u32_e32 vcc, s2, v14
	v_lshrrev_b32_e32 v1, 8, v12
	s_mov_b64 s[2:3], -1
	s_cbranch_vccnz .LBB198_282
; %bb.279:
	s_and_b64 vcc, exec, s[2:3]
	s_cbranch_vccnz .LBB198_298
.LBB198_280:
	s_and_b64 s[0:1], s[0:1], s[24:25]
	s_and_saveexec_b64 s[2:3], s[0:1]
	s_cbranch_execnz .LBB198_312
.LBB198_281:
	s_endpgm
.LBB198_282:
	v_add_u32_e32 v17, v15, v14
	v_cmp_lt_u32_e32 vcc, v26, v17
	s_or_b64 s[4:5], s[30:31], vcc
	s_and_saveexec_b64 s[2:3], s[4:5]
	s_cbranch_execz .LBB198_285
; %bb.283:
	v_and_b32_e32 v19, 1, v12
	v_cmp_eq_u32_e32 vcc, 1, v19
	s_and_b64 exec, exec, vcc
	s_cbranch_execz .LBB198_285
; %bb.284:
	s_lshl_b64 s[4:5], s[22:23], 3
	s_add_u32 s4, s28, s4
	v_mov_b32_e32 v27, 0
	s_addc_u32 s5, s29, s5
	v_lshlrev_b64 v[28:29], 3, v[26:27]
	v_mov_b32_e32 v19, s5
	v_add_co_u32_e32 v28, vcc, s4, v28
	v_addc_co_u32_e32 v29, vcc, v19, v29, vcc
	global_store_dwordx2 v[28:29], v[6:7], off
.LBB198_285:
	s_or_b64 exec, exec, s[2:3]
	v_cmp_lt_u32_e32 vcc, v24, v17
	s_or_b64 s[4:5], s[30:31], vcc
	s_and_saveexec_b64 s[2:3], s[4:5]
	s_cbranch_execz .LBB198_288
; %bb.286:
	v_and_b32_e32 v19, 1, v1
	v_cmp_eq_u32_e32 vcc, 1, v19
	s_and_b64 exec, exec, vcc
	s_cbranch_execz .LBB198_288
; %bb.287:
	s_lshl_b64 s[4:5], s[22:23], 3
	s_add_u32 s4, s28, s4
	v_mov_b32_e32 v25, 0
	s_addc_u32 s5, s29, s5
	v_lshlrev_b64 v[28:29], 3, v[24:25]
	v_mov_b32_e32 v19, s5
	v_add_co_u32_e32 v28, vcc, s4, v28
	v_addc_co_u32_e32 v29, vcc, v19, v29, vcc
	global_store_dwordx2 v[28:29], v[8:9], off
.LBB198_288:
	s_or_b64 exec, exec, s[2:3]
	v_cmp_lt_u32_e32 vcc, v22, v17
	s_or_b64 s[4:5], s[30:31], vcc
	s_and_saveexec_b64 s[2:3], s[4:5]
	s_cbranch_execz .LBB198_291
; %bb.289:
	v_mov_b32_e32 v19, 1
	v_and_b32_sdwa v19, v19, v12 dst_sel:DWORD dst_unused:UNUSED_PAD src0_sel:DWORD src1_sel:WORD_1
	v_cmp_eq_u32_e32 vcc, 1, v19
	s_and_b64 exec, exec, vcc
	s_cbranch_execz .LBB198_291
; %bb.290:
	s_lshl_b64 s[4:5], s[22:23], 3
	s_add_u32 s4, s28, s4
	v_mov_b32_e32 v23, 0
	s_addc_u32 s5, s29, s5
	v_lshlrev_b64 v[28:29], 3, v[22:23]
	v_mov_b32_e32 v19, s5
	v_add_co_u32_e32 v28, vcc, s4, v28
	v_addc_co_u32_e32 v29, vcc, v19, v29, vcc
	global_store_dwordx2 v[28:29], v[2:3], off
.LBB198_291:
	s_or_b64 exec, exec, s[2:3]
	v_cmp_lt_u32_e32 vcc, v20, v17
	s_or_b64 s[4:5], s[30:31], vcc
	s_and_saveexec_b64 s[2:3], s[4:5]
	s_cbranch_execz .LBB198_294
; %bb.292:
	v_and_b32_e32 v19, 1, v16
	v_cmp_eq_u32_e32 vcc, 1, v19
	s_and_b64 exec, exec, vcc
	s_cbranch_execz .LBB198_294
; %bb.293:
	s_lshl_b64 s[4:5], s[22:23], 3
	s_add_u32 s4, s28, s4
	v_mov_b32_e32 v21, 0
	s_addc_u32 s5, s29, s5
	v_lshlrev_b64 v[28:29], 3, v[20:21]
	v_mov_b32_e32 v19, s5
	v_add_co_u32_e32 v28, vcc, s4, v28
	v_addc_co_u32_e32 v29, vcc, v19, v29, vcc
	global_store_dwordx2 v[28:29], v[4:5], off
.LBB198_294:
	s_or_b64 exec, exec, s[2:3]
	v_cmp_lt_u32_e32 vcc, v18, v17
	s_or_b64 s[4:5], s[30:31], vcc
	s_and_saveexec_b64 s[2:3], s[4:5]
	s_cbranch_execz .LBB198_297
; %bb.295:
	v_and_b32_e32 v17, 1, v13
	v_cmp_eq_u32_e32 vcc, 1, v17
	s_and_b64 exec, exec, vcc
	s_cbranch_execz .LBB198_297
; %bb.296:
	s_lshl_b64 s[4:5], s[22:23], 3
	s_add_u32 s4, s28, s4
	v_mov_b32_e32 v19, 0
	s_addc_u32 s5, s29, s5
	v_lshlrev_b64 v[28:29], 3, v[18:19]
	v_mov_b32_e32 v17, s5
	v_add_co_u32_e32 v28, vcc, s4, v28
	v_addc_co_u32_e32 v29, vcc, v17, v29, vcc
	global_store_dwordx2 v[28:29], v[10:11], off
.LBB198_297:
	s_or_b64 exec, exec, s[2:3]
	s_branch .LBB198_280
.LBB198_298:
	v_and_b32_e32 v17, 1, v12
	v_cmp_eq_u32_e32 vcc, 1, v17
	s_and_saveexec_b64 s[2:3], vcc
	s_cbranch_execz .LBB198_300
; %bb.299:
	v_sub_u32_e32 v17, v26, v15
	v_lshlrev_b32_e32 v17, 3, v17
	ds_write_b64 v17, v[6:7]
.LBB198_300:
	s_or_b64 exec, exec, s[2:3]
	v_and_b32_e32 v1, 1, v1
	v_cmp_eq_u32_e32 vcc, 1, v1
	s_and_saveexec_b64 s[2:3], vcc
	s_cbranch_execz .LBB198_302
; %bb.301:
	v_sub_u32_e32 v1, v24, v15
	v_lshlrev_b32_e32 v1, 3, v1
	ds_write_b64 v1, v[8:9]
.LBB198_302:
	s_or_b64 exec, exec, s[2:3]
	v_mov_b32_e32 v1, 1
	v_and_b32_sdwa v1, v1, v12 dst_sel:DWORD dst_unused:UNUSED_PAD src0_sel:DWORD src1_sel:WORD_1
	v_cmp_eq_u32_e32 vcc, 1, v1
	s_and_saveexec_b64 s[2:3], vcc
	s_cbranch_execz .LBB198_304
; %bb.303:
	v_sub_u32_e32 v1, v22, v15
	v_lshlrev_b32_e32 v1, 3, v1
	ds_write_b64 v1, v[2:3]
.LBB198_304:
	s_or_b64 exec, exec, s[2:3]
	v_and_b32_e32 v1, 1, v16
	v_cmp_eq_u32_e32 vcc, 1, v1
	s_and_saveexec_b64 s[2:3], vcc
	s_cbranch_execz .LBB198_306
; %bb.305:
	v_sub_u32_e32 v1, v20, v15
	v_lshlrev_b32_e32 v1, 3, v1
	ds_write_b64 v1, v[4:5]
.LBB198_306:
	s_or_b64 exec, exec, s[2:3]
	v_and_b32_e32 v1, 1, v13
	v_cmp_eq_u32_e32 vcc, 1, v1
	s_and_saveexec_b64 s[2:3], vcc
	s_cbranch_execz .LBB198_308
; %bb.307:
	v_sub_u32_e32 v1, v18, v15
	v_lshlrev_b32_e32 v1, 3, v1
	ds_write_b64 v1, v[10:11]
.LBB198_308:
	s_or_b64 exec, exec, s[2:3]
	v_cmp_lt_u32_e32 vcc, v0, v14
	s_waitcnt lgkmcnt(0)
	s_barrier
	s_and_saveexec_b64 s[2:3], vcc
	s_cbranch_execz .LBB198_311
; %bb.309:
	v_mov_b32_e32 v1, 0
	v_mov_b32_e32 v2, v15
	;; [unrolled: 1-line block ×3, first 2 shown]
	v_lshlrev_b64 v[2:3], 3, v[2:3]
	v_mov_b32_e32 v4, s29
	v_add_co_u32_e32 v2, vcc, s28, v2
	v_addc_co_u32_e32 v3, vcc, v4, v3, vcc
	s_lshl_b64 s[4:5], s[22:23], 3
	v_mov_b32_e32 v4, s5
	v_add_co_u32_e32 v2, vcc, s4, v2
	v_addc_co_u32_e32 v3, vcc, v3, v4, vcc
	v_lshlrev_b32_e32 v4, 3, v0
	s_mov_b64 s[4:5], 0
.LBB198_310:                            ; =>This Inner Loop Header: Depth=1
	ds_read_b64 v[6:7], v4
	v_lshlrev_b64 v[8:9], 3, v[0:1]
	v_add_co_u32_e32 v8, vcc, v2, v8
	v_add_u32_e32 v0, 0x100, v0
	v_addc_co_u32_e32 v9, vcc, v3, v9, vcc
	v_cmp_ge_u32_e32 vcc, v0, v14
	v_add_u32_e32 v4, 0x800, v4
	s_or_b64 s[4:5], vcc, s[4:5]
	s_waitcnt lgkmcnt(0)
	global_store_dwordx2 v[8:9], v[6:7], off
	s_andn2_b64 exec, exec, s[4:5]
	s_cbranch_execnz .LBB198_310
.LBB198_311:
	s_or_b64 exec, exec, s[2:3]
	s_and_b64 s[0:1], s[0:1], s[24:25]
	s_and_saveexec_b64 s[2:3], s[0:1]
	s_cbranch_execz .LBB198_281
.LBB198_312:
	v_mov_b32_e32 v0, s23
	v_add_co_u32_e32 v1, vcc, s22, v14
	v_addc_co_u32_e32 v3, vcc, 0, v0, vcc
	v_add_co_u32_e32 v0, vcc, v1, v15
	v_mov_b32_e32 v2, 0
	v_addc_co_u32_e32 v1, vcc, 0, v3, vcc
	global_store_dwordx2 v2, v[0:1], s[20:21]
	s_endpgm
	.section	.rodata,"a",@progbits
	.p2align	6, 0x0
	.amdhsa_kernel _ZN7rocprim17ROCPRIM_400000_NS6detail17trampoline_kernelINS0_14default_configENS1_25partition_config_selectorILNS1_17partition_subalgoE8ElNS0_10empty_typeEbEEZZNS1_14partition_implILS5_8ELb0ES3_jPlPS6_PKS6_NS0_5tupleIJS9_S6_EEENSD_IJSA_SA_EEENS0_18inequality_wrapperIZN2at6native12_GLOBAL__N_124unique_dim_cuda_templateIhEESt5tupleIJNSH_6TensorESM_SM_EERKSM_lbbbEUlllE0_EEPmJS6_EEE10hipError_tPvRmT3_T4_T5_T6_T7_T9_mT8_P12ihipStream_tbDpT10_ENKUlT_T0_E_clISt17integral_constantIbLb0EES1B_IbLb1EEEEDaS17_S18_EUlS17_E_NS1_11comp_targetILNS1_3genE4ELNS1_11target_archE910ELNS1_3gpuE8ELNS1_3repE0EEENS1_30default_config_static_selectorELNS0_4arch9wavefront6targetE1EEEvT1_
		.amdhsa_group_segment_fixed_size 10252
		.amdhsa_private_segment_fixed_size 0
		.amdhsa_kernarg_size 136
		.amdhsa_user_sgpr_count 6
		.amdhsa_user_sgpr_private_segment_buffer 1
		.amdhsa_user_sgpr_dispatch_ptr 0
		.amdhsa_user_sgpr_queue_ptr 0
		.amdhsa_user_sgpr_kernarg_segment_ptr 1
		.amdhsa_user_sgpr_dispatch_id 0
		.amdhsa_user_sgpr_flat_scratch_init 0
		.amdhsa_user_sgpr_kernarg_preload_length 0
		.amdhsa_user_sgpr_kernarg_preload_offset 0
		.amdhsa_user_sgpr_private_segment_size 0
		.amdhsa_uses_dynamic_stack 0
		.amdhsa_system_sgpr_private_segment_wavefront_offset 0
		.amdhsa_system_sgpr_workgroup_id_x 1
		.amdhsa_system_sgpr_workgroup_id_y 0
		.amdhsa_system_sgpr_workgroup_id_z 0
		.amdhsa_system_sgpr_workgroup_info 0
		.amdhsa_system_vgpr_workitem_id 0
		.amdhsa_next_free_vgpr 46
		.amdhsa_next_free_sgpr 52
		.amdhsa_accum_offset 48
		.amdhsa_reserve_vcc 1
		.amdhsa_reserve_flat_scratch 0
		.amdhsa_float_round_mode_32 0
		.amdhsa_float_round_mode_16_64 0
		.amdhsa_float_denorm_mode_32 3
		.amdhsa_float_denorm_mode_16_64 3
		.amdhsa_dx10_clamp 1
		.amdhsa_ieee_mode 1
		.amdhsa_fp16_overflow 0
		.amdhsa_tg_split 0
		.amdhsa_exception_fp_ieee_invalid_op 0
		.amdhsa_exception_fp_denorm_src 0
		.amdhsa_exception_fp_ieee_div_zero 0
		.amdhsa_exception_fp_ieee_overflow 0
		.amdhsa_exception_fp_ieee_underflow 0
		.amdhsa_exception_fp_ieee_inexact 0
		.amdhsa_exception_int_div_zero 0
	.end_amdhsa_kernel
	.section	.text._ZN7rocprim17ROCPRIM_400000_NS6detail17trampoline_kernelINS0_14default_configENS1_25partition_config_selectorILNS1_17partition_subalgoE8ElNS0_10empty_typeEbEEZZNS1_14partition_implILS5_8ELb0ES3_jPlPS6_PKS6_NS0_5tupleIJS9_S6_EEENSD_IJSA_SA_EEENS0_18inequality_wrapperIZN2at6native12_GLOBAL__N_124unique_dim_cuda_templateIhEESt5tupleIJNSH_6TensorESM_SM_EERKSM_lbbbEUlllE0_EEPmJS6_EEE10hipError_tPvRmT3_T4_T5_T6_T7_T9_mT8_P12ihipStream_tbDpT10_ENKUlT_T0_E_clISt17integral_constantIbLb0EES1B_IbLb1EEEEDaS17_S18_EUlS17_E_NS1_11comp_targetILNS1_3genE4ELNS1_11target_archE910ELNS1_3gpuE8ELNS1_3repE0EEENS1_30default_config_static_selectorELNS0_4arch9wavefront6targetE1EEEvT1_,"axG",@progbits,_ZN7rocprim17ROCPRIM_400000_NS6detail17trampoline_kernelINS0_14default_configENS1_25partition_config_selectorILNS1_17partition_subalgoE8ElNS0_10empty_typeEbEEZZNS1_14partition_implILS5_8ELb0ES3_jPlPS6_PKS6_NS0_5tupleIJS9_S6_EEENSD_IJSA_SA_EEENS0_18inequality_wrapperIZN2at6native12_GLOBAL__N_124unique_dim_cuda_templateIhEESt5tupleIJNSH_6TensorESM_SM_EERKSM_lbbbEUlllE0_EEPmJS6_EEE10hipError_tPvRmT3_T4_T5_T6_T7_T9_mT8_P12ihipStream_tbDpT10_ENKUlT_T0_E_clISt17integral_constantIbLb0EES1B_IbLb1EEEEDaS17_S18_EUlS17_E_NS1_11comp_targetILNS1_3genE4ELNS1_11target_archE910ELNS1_3gpuE8ELNS1_3repE0EEENS1_30default_config_static_selectorELNS0_4arch9wavefront6targetE1EEEvT1_,comdat
.Lfunc_end198:
	.size	_ZN7rocprim17ROCPRIM_400000_NS6detail17trampoline_kernelINS0_14default_configENS1_25partition_config_selectorILNS1_17partition_subalgoE8ElNS0_10empty_typeEbEEZZNS1_14partition_implILS5_8ELb0ES3_jPlPS6_PKS6_NS0_5tupleIJS9_S6_EEENSD_IJSA_SA_EEENS0_18inequality_wrapperIZN2at6native12_GLOBAL__N_124unique_dim_cuda_templateIhEESt5tupleIJNSH_6TensorESM_SM_EERKSM_lbbbEUlllE0_EEPmJS6_EEE10hipError_tPvRmT3_T4_T5_T6_T7_T9_mT8_P12ihipStream_tbDpT10_ENKUlT_T0_E_clISt17integral_constantIbLb0EES1B_IbLb1EEEEDaS17_S18_EUlS17_E_NS1_11comp_targetILNS1_3genE4ELNS1_11target_archE910ELNS1_3gpuE8ELNS1_3repE0EEENS1_30default_config_static_selectorELNS0_4arch9wavefront6targetE1EEEvT1_, .Lfunc_end198-_ZN7rocprim17ROCPRIM_400000_NS6detail17trampoline_kernelINS0_14default_configENS1_25partition_config_selectorILNS1_17partition_subalgoE8ElNS0_10empty_typeEbEEZZNS1_14partition_implILS5_8ELb0ES3_jPlPS6_PKS6_NS0_5tupleIJS9_S6_EEENSD_IJSA_SA_EEENS0_18inequality_wrapperIZN2at6native12_GLOBAL__N_124unique_dim_cuda_templateIhEESt5tupleIJNSH_6TensorESM_SM_EERKSM_lbbbEUlllE0_EEPmJS6_EEE10hipError_tPvRmT3_T4_T5_T6_T7_T9_mT8_P12ihipStream_tbDpT10_ENKUlT_T0_E_clISt17integral_constantIbLb0EES1B_IbLb1EEEEDaS17_S18_EUlS17_E_NS1_11comp_targetILNS1_3genE4ELNS1_11target_archE910ELNS1_3gpuE8ELNS1_3repE0EEENS1_30default_config_static_selectorELNS0_4arch9wavefront6targetE1EEEvT1_
                                        ; -- End function
	.section	.AMDGPU.csdata,"",@progbits
; Kernel info:
; codeLenInByte = 9936
; NumSgprs: 56
; NumVgprs: 46
; NumAgprs: 0
; TotalNumVgprs: 46
; ScratchSize: 0
; MemoryBound: 0
; FloatMode: 240
; IeeeMode: 1
; LDSByteSize: 10252 bytes/workgroup (compile time only)
; SGPRBlocks: 6
; VGPRBlocks: 5
; NumSGPRsForWavesPerEU: 56
; NumVGPRsForWavesPerEU: 46
; AccumOffset: 48
; Occupancy: 6
; WaveLimiterHint : 1
; COMPUTE_PGM_RSRC2:SCRATCH_EN: 0
; COMPUTE_PGM_RSRC2:USER_SGPR: 6
; COMPUTE_PGM_RSRC2:TRAP_HANDLER: 0
; COMPUTE_PGM_RSRC2:TGID_X_EN: 1
; COMPUTE_PGM_RSRC2:TGID_Y_EN: 0
; COMPUTE_PGM_RSRC2:TGID_Z_EN: 0
; COMPUTE_PGM_RSRC2:TIDIG_COMP_CNT: 0
; COMPUTE_PGM_RSRC3_GFX90A:ACCUM_OFFSET: 11
; COMPUTE_PGM_RSRC3_GFX90A:TG_SPLIT: 0
	.section	.text._ZN7rocprim17ROCPRIM_400000_NS6detail17trampoline_kernelINS0_14default_configENS1_25partition_config_selectorILNS1_17partition_subalgoE8ElNS0_10empty_typeEbEEZZNS1_14partition_implILS5_8ELb0ES3_jPlPS6_PKS6_NS0_5tupleIJS9_S6_EEENSD_IJSA_SA_EEENS0_18inequality_wrapperIZN2at6native12_GLOBAL__N_124unique_dim_cuda_templateIhEESt5tupleIJNSH_6TensorESM_SM_EERKSM_lbbbEUlllE0_EEPmJS6_EEE10hipError_tPvRmT3_T4_T5_T6_T7_T9_mT8_P12ihipStream_tbDpT10_ENKUlT_T0_E_clISt17integral_constantIbLb0EES1B_IbLb1EEEEDaS17_S18_EUlS17_E_NS1_11comp_targetILNS1_3genE3ELNS1_11target_archE908ELNS1_3gpuE7ELNS1_3repE0EEENS1_30default_config_static_selectorELNS0_4arch9wavefront6targetE1EEEvT1_,"axG",@progbits,_ZN7rocprim17ROCPRIM_400000_NS6detail17trampoline_kernelINS0_14default_configENS1_25partition_config_selectorILNS1_17partition_subalgoE8ElNS0_10empty_typeEbEEZZNS1_14partition_implILS5_8ELb0ES3_jPlPS6_PKS6_NS0_5tupleIJS9_S6_EEENSD_IJSA_SA_EEENS0_18inequality_wrapperIZN2at6native12_GLOBAL__N_124unique_dim_cuda_templateIhEESt5tupleIJNSH_6TensorESM_SM_EERKSM_lbbbEUlllE0_EEPmJS6_EEE10hipError_tPvRmT3_T4_T5_T6_T7_T9_mT8_P12ihipStream_tbDpT10_ENKUlT_T0_E_clISt17integral_constantIbLb0EES1B_IbLb1EEEEDaS17_S18_EUlS17_E_NS1_11comp_targetILNS1_3genE3ELNS1_11target_archE908ELNS1_3gpuE7ELNS1_3repE0EEENS1_30default_config_static_selectorELNS0_4arch9wavefront6targetE1EEEvT1_,comdat
	.globl	_ZN7rocprim17ROCPRIM_400000_NS6detail17trampoline_kernelINS0_14default_configENS1_25partition_config_selectorILNS1_17partition_subalgoE8ElNS0_10empty_typeEbEEZZNS1_14partition_implILS5_8ELb0ES3_jPlPS6_PKS6_NS0_5tupleIJS9_S6_EEENSD_IJSA_SA_EEENS0_18inequality_wrapperIZN2at6native12_GLOBAL__N_124unique_dim_cuda_templateIhEESt5tupleIJNSH_6TensorESM_SM_EERKSM_lbbbEUlllE0_EEPmJS6_EEE10hipError_tPvRmT3_T4_T5_T6_T7_T9_mT8_P12ihipStream_tbDpT10_ENKUlT_T0_E_clISt17integral_constantIbLb0EES1B_IbLb1EEEEDaS17_S18_EUlS17_E_NS1_11comp_targetILNS1_3genE3ELNS1_11target_archE908ELNS1_3gpuE7ELNS1_3repE0EEENS1_30default_config_static_selectorELNS0_4arch9wavefront6targetE1EEEvT1_ ; -- Begin function _ZN7rocprim17ROCPRIM_400000_NS6detail17trampoline_kernelINS0_14default_configENS1_25partition_config_selectorILNS1_17partition_subalgoE8ElNS0_10empty_typeEbEEZZNS1_14partition_implILS5_8ELb0ES3_jPlPS6_PKS6_NS0_5tupleIJS9_S6_EEENSD_IJSA_SA_EEENS0_18inequality_wrapperIZN2at6native12_GLOBAL__N_124unique_dim_cuda_templateIhEESt5tupleIJNSH_6TensorESM_SM_EERKSM_lbbbEUlllE0_EEPmJS6_EEE10hipError_tPvRmT3_T4_T5_T6_T7_T9_mT8_P12ihipStream_tbDpT10_ENKUlT_T0_E_clISt17integral_constantIbLb0EES1B_IbLb1EEEEDaS17_S18_EUlS17_E_NS1_11comp_targetILNS1_3genE3ELNS1_11target_archE908ELNS1_3gpuE7ELNS1_3repE0EEENS1_30default_config_static_selectorELNS0_4arch9wavefront6targetE1EEEvT1_
	.p2align	8
	.type	_ZN7rocprim17ROCPRIM_400000_NS6detail17trampoline_kernelINS0_14default_configENS1_25partition_config_selectorILNS1_17partition_subalgoE8ElNS0_10empty_typeEbEEZZNS1_14partition_implILS5_8ELb0ES3_jPlPS6_PKS6_NS0_5tupleIJS9_S6_EEENSD_IJSA_SA_EEENS0_18inequality_wrapperIZN2at6native12_GLOBAL__N_124unique_dim_cuda_templateIhEESt5tupleIJNSH_6TensorESM_SM_EERKSM_lbbbEUlllE0_EEPmJS6_EEE10hipError_tPvRmT3_T4_T5_T6_T7_T9_mT8_P12ihipStream_tbDpT10_ENKUlT_T0_E_clISt17integral_constantIbLb0EES1B_IbLb1EEEEDaS17_S18_EUlS17_E_NS1_11comp_targetILNS1_3genE3ELNS1_11target_archE908ELNS1_3gpuE7ELNS1_3repE0EEENS1_30default_config_static_selectorELNS0_4arch9wavefront6targetE1EEEvT1_,@function
_ZN7rocprim17ROCPRIM_400000_NS6detail17trampoline_kernelINS0_14default_configENS1_25partition_config_selectorILNS1_17partition_subalgoE8ElNS0_10empty_typeEbEEZZNS1_14partition_implILS5_8ELb0ES3_jPlPS6_PKS6_NS0_5tupleIJS9_S6_EEENSD_IJSA_SA_EEENS0_18inequality_wrapperIZN2at6native12_GLOBAL__N_124unique_dim_cuda_templateIhEESt5tupleIJNSH_6TensorESM_SM_EERKSM_lbbbEUlllE0_EEPmJS6_EEE10hipError_tPvRmT3_T4_T5_T6_T7_T9_mT8_P12ihipStream_tbDpT10_ENKUlT_T0_E_clISt17integral_constantIbLb0EES1B_IbLb1EEEEDaS17_S18_EUlS17_E_NS1_11comp_targetILNS1_3genE3ELNS1_11target_archE908ELNS1_3gpuE7ELNS1_3repE0EEENS1_30default_config_static_selectorELNS0_4arch9wavefront6targetE1EEEvT1_: ; @_ZN7rocprim17ROCPRIM_400000_NS6detail17trampoline_kernelINS0_14default_configENS1_25partition_config_selectorILNS1_17partition_subalgoE8ElNS0_10empty_typeEbEEZZNS1_14partition_implILS5_8ELb0ES3_jPlPS6_PKS6_NS0_5tupleIJS9_S6_EEENSD_IJSA_SA_EEENS0_18inequality_wrapperIZN2at6native12_GLOBAL__N_124unique_dim_cuda_templateIhEESt5tupleIJNSH_6TensorESM_SM_EERKSM_lbbbEUlllE0_EEPmJS6_EEE10hipError_tPvRmT3_T4_T5_T6_T7_T9_mT8_P12ihipStream_tbDpT10_ENKUlT_T0_E_clISt17integral_constantIbLb0EES1B_IbLb1EEEEDaS17_S18_EUlS17_E_NS1_11comp_targetILNS1_3genE3ELNS1_11target_archE908ELNS1_3gpuE7ELNS1_3repE0EEENS1_30default_config_static_selectorELNS0_4arch9wavefront6targetE1EEEvT1_
; %bb.0:
	.section	.rodata,"a",@progbits
	.p2align	6, 0x0
	.amdhsa_kernel _ZN7rocprim17ROCPRIM_400000_NS6detail17trampoline_kernelINS0_14default_configENS1_25partition_config_selectorILNS1_17partition_subalgoE8ElNS0_10empty_typeEbEEZZNS1_14partition_implILS5_8ELb0ES3_jPlPS6_PKS6_NS0_5tupleIJS9_S6_EEENSD_IJSA_SA_EEENS0_18inequality_wrapperIZN2at6native12_GLOBAL__N_124unique_dim_cuda_templateIhEESt5tupleIJNSH_6TensorESM_SM_EERKSM_lbbbEUlllE0_EEPmJS6_EEE10hipError_tPvRmT3_T4_T5_T6_T7_T9_mT8_P12ihipStream_tbDpT10_ENKUlT_T0_E_clISt17integral_constantIbLb0EES1B_IbLb1EEEEDaS17_S18_EUlS17_E_NS1_11comp_targetILNS1_3genE3ELNS1_11target_archE908ELNS1_3gpuE7ELNS1_3repE0EEENS1_30default_config_static_selectorELNS0_4arch9wavefront6targetE1EEEvT1_
		.amdhsa_group_segment_fixed_size 0
		.amdhsa_private_segment_fixed_size 0
		.amdhsa_kernarg_size 136
		.amdhsa_user_sgpr_count 6
		.amdhsa_user_sgpr_private_segment_buffer 1
		.amdhsa_user_sgpr_dispatch_ptr 0
		.amdhsa_user_sgpr_queue_ptr 0
		.amdhsa_user_sgpr_kernarg_segment_ptr 1
		.amdhsa_user_sgpr_dispatch_id 0
		.amdhsa_user_sgpr_flat_scratch_init 0
		.amdhsa_user_sgpr_kernarg_preload_length 0
		.amdhsa_user_sgpr_kernarg_preload_offset 0
		.amdhsa_user_sgpr_private_segment_size 0
		.amdhsa_uses_dynamic_stack 0
		.amdhsa_system_sgpr_private_segment_wavefront_offset 0
		.amdhsa_system_sgpr_workgroup_id_x 1
		.amdhsa_system_sgpr_workgroup_id_y 0
		.amdhsa_system_sgpr_workgroup_id_z 0
		.amdhsa_system_sgpr_workgroup_info 0
		.amdhsa_system_vgpr_workitem_id 0
		.amdhsa_next_free_vgpr 1
		.amdhsa_next_free_sgpr 0
		.amdhsa_accum_offset 4
		.amdhsa_reserve_vcc 0
		.amdhsa_reserve_flat_scratch 0
		.amdhsa_float_round_mode_32 0
		.amdhsa_float_round_mode_16_64 0
		.amdhsa_float_denorm_mode_32 3
		.amdhsa_float_denorm_mode_16_64 3
		.amdhsa_dx10_clamp 1
		.amdhsa_ieee_mode 1
		.amdhsa_fp16_overflow 0
		.amdhsa_tg_split 0
		.amdhsa_exception_fp_ieee_invalid_op 0
		.amdhsa_exception_fp_denorm_src 0
		.amdhsa_exception_fp_ieee_div_zero 0
		.amdhsa_exception_fp_ieee_overflow 0
		.amdhsa_exception_fp_ieee_underflow 0
		.amdhsa_exception_fp_ieee_inexact 0
		.amdhsa_exception_int_div_zero 0
	.end_amdhsa_kernel
	.section	.text._ZN7rocprim17ROCPRIM_400000_NS6detail17trampoline_kernelINS0_14default_configENS1_25partition_config_selectorILNS1_17partition_subalgoE8ElNS0_10empty_typeEbEEZZNS1_14partition_implILS5_8ELb0ES3_jPlPS6_PKS6_NS0_5tupleIJS9_S6_EEENSD_IJSA_SA_EEENS0_18inequality_wrapperIZN2at6native12_GLOBAL__N_124unique_dim_cuda_templateIhEESt5tupleIJNSH_6TensorESM_SM_EERKSM_lbbbEUlllE0_EEPmJS6_EEE10hipError_tPvRmT3_T4_T5_T6_T7_T9_mT8_P12ihipStream_tbDpT10_ENKUlT_T0_E_clISt17integral_constantIbLb0EES1B_IbLb1EEEEDaS17_S18_EUlS17_E_NS1_11comp_targetILNS1_3genE3ELNS1_11target_archE908ELNS1_3gpuE7ELNS1_3repE0EEENS1_30default_config_static_selectorELNS0_4arch9wavefront6targetE1EEEvT1_,"axG",@progbits,_ZN7rocprim17ROCPRIM_400000_NS6detail17trampoline_kernelINS0_14default_configENS1_25partition_config_selectorILNS1_17partition_subalgoE8ElNS0_10empty_typeEbEEZZNS1_14partition_implILS5_8ELb0ES3_jPlPS6_PKS6_NS0_5tupleIJS9_S6_EEENSD_IJSA_SA_EEENS0_18inequality_wrapperIZN2at6native12_GLOBAL__N_124unique_dim_cuda_templateIhEESt5tupleIJNSH_6TensorESM_SM_EERKSM_lbbbEUlllE0_EEPmJS6_EEE10hipError_tPvRmT3_T4_T5_T6_T7_T9_mT8_P12ihipStream_tbDpT10_ENKUlT_T0_E_clISt17integral_constantIbLb0EES1B_IbLb1EEEEDaS17_S18_EUlS17_E_NS1_11comp_targetILNS1_3genE3ELNS1_11target_archE908ELNS1_3gpuE7ELNS1_3repE0EEENS1_30default_config_static_selectorELNS0_4arch9wavefront6targetE1EEEvT1_,comdat
.Lfunc_end199:
	.size	_ZN7rocprim17ROCPRIM_400000_NS6detail17trampoline_kernelINS0_14default_configENS1_25partition_config_selectorILNS1_17partition_subalgoE8ElNS0_10empty_typeEbEEZZNS1_14partition_implILS5_8ELb0ES3_jPlPS6_PKS6_NS0_5tupleIJS9_S6_EEENSD_IJSA_SA_EEENS0_18inequality_wrapperIZN2at6native12_GLOBAL__N_124unique_dim_cuda_templateIhEESt5tupleIJNSH_6TensorESM_SM_EERKSM_lbbbEUlllE0_EEPmJS6_EEE10hipError_tPvRmT3_T4_T5_T6_T7_T9_mT8_P12ihipStream_tbDpT10_ENKUlT_T0_E_clISt17integral_constantIbLb0EES1B_IbLb1EEEEDaS17_S18_EUlS17_E_NS1_11comp_targetILNS1_3genE3ELNS1_11target_archE908ELNS1_3gpuE7ELNS1_3repE0EEENS1_30default_config_static_selectorELNS0_4arch9wavefront6targetE1EEEvT1_, .Lfunc_end199-_ZN7rocprim17ROCPRIM_400000_NS6detail17trampoline_kernelINS0_14default_configENS1_25partition_config_selectorILNS1_17partition_subalgoE8ElNS0_10empty_typeEbEEZZNS1_14partition_implILS5_8ELb0ES3_jPlPS6_PKS6_NS0_5tupleIJS9_S6_EEENSD_IJSA_SA_EEENS0_18inequality_wrapperIZN2at6native12_GLOBAL__N_124unique_dim_cuda_templateIhEESt5tupleIJNSH_6TensorESM_SM_EERKSM_lbbbEUlllE0_EEPmJS6_EEE10hipError_tPvRmT3_T4_T5_T6_T7_T9_mT8_P12ihipStream_tbDpT10_ENKUlT_T0_E_clISt17integral_constantIbLb0EES1B_IbLb1EEEEDaS17_S18_EUlS17_E_NS1_11comp_targetILNS1_3genE3ELNS1_11target_archE908ELNS1_3gpuE7ELNS1_3repE0EEENS1_30default_config_static_selectorELNS0_4arch9wavefront6targetE1EEEvT1_
                                        ; -- End function
	.section	.AMDGPU.csdata,"",@progbits
; Kernel info:
; codeLenInByte = 0
; NumSgprs: 4
; NumVgprs: 0
; NumAgprs: 0
; TotalNumVgprs: 0
; ScratchSize: 0
; MemoryBound: 0
; FloatMode: 240
; IeeeMode: 1
; LDSByteSize: 0 bytes/workgroup (compile time only)
; SGPRBlocks: 0
; VGPRBlocks: 0
; NumSGPRsForWavesPerEU: 4
; NumVGPRsForWavesPerEU: 1
; AccumOffset: 4
; Occupancy: 8
; WaveLimiterHint : 0
; COMPUTE_PGM_RSRC2:SCRATCH_EN: 0
; COMPUTE_PGM_RSRC2:USER_SGPR: 6
; COMPUTE_PGM_RSRC2:TRAP_HANDLER: 0
; COMPUTE_PGM_RSRC2:TGID_X_EN: 1
; COMPUTE_PGM_RSRC2:TGID_Y_EN: 0
; COMPUTE_PGM_RSRC2:TGID_Z_EN: 0
; COMPUTE_PGM_RSRC2:TIDIG_COMP_CNT: 0
; COMPUTE_PGM_RSRC3_GFX90A:ACCUM_OFFSET: 0
; COMPUTE_PGM_RSRC3_GFX90A:TG_SPLIT: 0
	.section	.text._ZN7rocprim17ROCPRIM_400000_NS6detail17trampoline_kernelINS0_14default_configENS1_25partition_config_selectorILNS1_17partition_subalgoE8ElNS0_10empty_typeEbEEZZNS1_14partition_implILS5_8ELb0ES3_jPlPS6_PKS6_NS0_5tupleIJS9_S6_EEENSD_IJSA_SA_EEENS0_18inequality_wrapperIZN2at6native12_GLOBAL__N_124unique_dim_cuda_templateIhEESt5tupleIJNSH_6TensorESM_SM_EERKSM_lbbbEUlllE0_EEPmJS6_EEE10hipError_tPvRmT3_T4_T5_T6_T7_T9_mT8_P12ihipStream_tbDpT10_ENKUlT_T0_E_clISt17integral_constantIbLb0EES1B_IbLb1EEEEDaS17_S18_EUlS17_E_NS1_11comp_targetILNS1_3genE2ELNS1_11target_archE906ELNS1_3gpuE6ELNS1_3repE0EEENS1_30default_config_static_selectorELNS0_4arch9wavefront6targetE1EEEvT1_,"axG",@progbits,_ZN7rocprim17ROCPRIM_400000_NS6detail17trampoline_kernelINS0_14default_configENS1_25partition_config_selectorILNS1_17partition_subalgoE8ElNS0_10empty_typeEbEEZZNS1_14partition_implILS5_8ELb0ES3_jPlPS6_PKS6_NS0_5tupleIJS9_S6_EEENSD_IJSA_SA_EEENS0_18inequality_wrapperIZN2at6native12_GLOBAL__N_124unique_dim_cuda_templateIhEESt5tupleIJNSH_6TensorESM_SM_EERKSM_lbbbEUlllE0_EEPmJS6_EEE10hipError_tPvRmT3_T4_T5_T6_T7_T9_mT8_P12ihipStream_tbDpT10_ENKUlT_T0_E_clISt17integral_constantIbLb0EES1B_IbLb1EEEEDaS17_S18_EUlS17_E_NS1_11comp_targetILNS1_3genE2ELNS1_11target_archE906ELNS1_3gpuE6ELNS1_3repE0EEENS1_30default_config_static_selectorELNS0_4arch9wavefront6targetE1EEEvT1_,comdat
	.globl	_ZN7rocprim17ROCPRIM_400000_NS6detail17trampoline_kernelINS0_14default_configENS1_25partition_config_selectorILNS1_17partition_subalgoE8ElNS0_10empty_typeEbEEZZNS1_14partition_implILS5_8ELb0ES3_jPlPS6_PKS6_NS0_5tupleIJS9_S6_EEENSD_IJSA_SA_EEENS0_18inequality_wrapperIZN2at6native12_GLOBAL__N_124unique_dim_cuda_templateIhEESt5tupleIJNSH_6TensorESM_SM_EERKSM_lbbbEUlllE0_EEPmJS6_EEE10hipError_tPvRmT3_T4_T5_T6_T7_T9_mT8_P12ihipStream_tbDpT10_ENKUlT_T0_E_clISt17integral_constantIbLb0EES1B_IbLb1EEEEDaS17_S18_EUlS17_E_NS1_11comp_targetILNS1_3genE2ELNS1_11target_archE906ELNS1_3gpuE6ELNS1_3repE0EEENS1_30default_config_static_selectorELNS0_4arch9wavefront6targetE1EEEvT1_ ; -- Begin function _ZN7rocprim17ROCPRIM_400000_NS6detail17trampoline_kernelINS0_14default_configENS1_25partition_config_selectorILNS1_17partition_subalgoE8ElNS0_10empty_typeEbEEZZNS1_14partition_implILS5_8ELb0ES3_jPlPS6_PKS6_NS0_5tupleIJS9_S6_EEENSD_IJSA_SA_EEENS0_18inequality_wrapperIZN2at6native12_GLOBAL__N_124unique_dim_cuda_templateIhEESt5tupleIJNSH_6TensorESM_SM_EERKSM_lbbbEUlllE0_EEPmJS6_EEE10hipError_tPvRmT3_T4_T5_T6_T7_T9_mT8_P12ihipStream_tbDpT10_ENKUlT_T0_E_clISt17integral_constantIbLb0EES1B_IbLb1EEEEDaS17_S18_EUlS17_E_NS1_11comp_targetILNS1_3genE2ELNS1_11target_archE906ELNS1_3gpuE6ELNS1_3repE0EEENS1_30default_config_static_selectorELNS0_4arch9wavefront6targetE1EEEvT1_
	.p2align	8
	.type	_ZN7rocprim17ROCPRIM_400000_NS6detail17trampoline_kernelINS0_14default_configENS1_25partition_config_selectorILNS1_17partition_subalgoE8ElNS0_10empty_typeEbEEZZNS1_14partition_implILS5_8ELb0ES3_jPlPS6_PKS6_NS0_5tupleIJS9_S6_EEENSD_IJSA_SA_EEENS0_18inequality_wrapperIZN2at6native12_GLOBAL__N_124unique_dim_cuda_templateIhEESt5tupleIJNSH_6TensorESM_SM_EERKSM_lbbbEUlllE0_EEPmJS6_EEE10hipError_tPvRmT3_T4_T5_T6_T7_T9_mT8_P12ihipStream_tbDpT10_ENKUlT_T0_E_clISt17integral_constantIbLb0EES1B_IbLb1EEEEDaS17_S18_EUlS17_E_NS1_11comp_targetILNS1_3genE2ELNS1_11target_archE906ELNS1_3gpuE6ELNS1_3repE0EEENS1_30default_config_static_selectorELNS0_4arch9wavefront6targetE1EEEvT1_,@function
_ZN7rocprim17ROCPRIM_400000_NS6detail17trampoline_kernelINS0_14default_configENS1_25partition_config_selectorILNS1_17partition_subalgoE8ElNS0_10empty_typeEbEEZZNS1_14partition_implILS5_8ELb0ES3_jPlPS6_PKS6_NS0_5tupleIJS9_S6_EEENSD_IJSA_SA_EEENS0_18inequality_wrapperIZN2at6native12_GLOBAL__N_124unique_dim_cuda_templateIhEESt5tupleIJNSH_6TensorESM_SM_EERKSM_lbbbEUlllE0_EEPmJS6_EEE10hipError_tPvRmT3_T4_T5_T6_T7_T9_mT8_P12ihipStream_tbDpT10_ENKUlT_T0_E_clISt17integral_constantIbLb0EES1B_IbLb1EEEEDaS17_S18_EUlS17_E_NS1_11comp_targetILNS1_3genE2ELNS1_11target_archE906ELNS1_3gpuE6ELNS1_3repE0EEENS1_30default_config_static_selectorELNS0_4arch9wavefront6targetE1EEEvT1_: ; @_ZN7rocprim17ROCPRIM_400000_NS6detail17trampoline_kernelINS0_14default_configENS1_25partition_config_selectorILNS1_17partition_subalgoE8ElNS0_10empty_typeEbEEZZNS1_14partition_implILS5_8ELb0ES3_jPlPS6_PKS6_NS0_5tupleIJS9_S6_EEENSD_IJSA_SA_EEENS0_18inequality_wrapperIZN2at6native12_GLOBAL__N_124unique_dim_cuda_templateIhEESt5tupleIJNSH_6TensorESM_SM_EERKSM_lbbbEUlllE0_EEPmJS6_EEE10hipError_tPvRmT3_T4_T5_T6_T7_T9_mT8_P12ihipStream_tbDpT10_ENKUlT_T0_E_clISt17integral_constantIbLb0EES1B_IbLb1EEEEDaS17_S18_EUlS17_E_NS1_11comp_targetILNS1_3genE2ELNS1_11target_archE906ELNS1_3gpuE6ELNS1_3repE0EEENS1_30default_config_static_selectorELNS0_4arch9wavefront6targetE1EEEvT1_
; %bb.0:
	.section	.rodata,"a",@progbits
	.p2align	6, 0x0
	.amdhsa_kernel _ZN7rocprim17ROCPRIM_400000_NS6detail17trampoline_kernelINS0_14default_configENS1_25partition_config_selectorILNS1_17partition_subalgoE8ElNS0_10empty_typeEbEEZZNS1_14partition_implILS5_8ELb0ES3_jPlPS6_PKS6_NS0_5tupleIJS9_S6_EEENSD_IJSA_SA_EEENS0_18inequality_wrapperIZN2at6native12_GLOBAL__N_124unique_dim_cuda_templateIhEESt5tupleIJNSH_6TensorESM_SM_EERKSM_lbbbEUlllE0_EEPmJS6_EEE10hipError_tPvRmT3_T4_T5_T6_T7_T9_mT8_P12ihipStream_tbDpT10_ENKUlT_T0_E_clISt17integral_constantIbLb0EES1B_IbLb1EEEEDaS17_S18_EUlS17_E_NS1_11comp_targetILNS1_3genE2ELNS1_11target_archE906ELNS1_3gpuE6ELNS1_3repE0EEENS1_30default_config_static_selectorELNS0_4arch9wavefront6targetE1EEEvT1_
		.amdhsa_group_segment_fixed_size 0
		.amdhsa_private_segment_fixed_size 0
		.amdhsa_kernarg_size 136
		.amdhsa_user_sgpr_count 6
		.amdhsa_user_sgpr_private_segment_buffer 1
		.amdhsa_user_sgpr_dispatch_ptr 0
		.amdhsa_user_sgpr_queue_ptr 0
		.amdhsa_user_sgpr_kernarg_segment_ptr 1
		.amdhsa_user_sgpr_dispatch_id 0
		.amdhsa_user_sgpr_flat_scratch_init 0
		.amdhsa_user_sgpr_kernarg_preload_length 0
		.amdhsa_user_sgpr_kernarg_preload_offset 0
		.amdhsa_user_sgpr_private_segment_size 0
		.amdhsa_uses_dynamic_stack 0
		.amdhsa_system_sgpr_private_segment_wavefront_offset 0
		.amdhsa_system_sgpr_workgroup_id_x 1
		.amdhsa_system_sgpr_workgroup_id_y 0
		.amdhsa_system_sgpr_workgroup_id_z 0
		.amdhsa_system_sgpr_workgroup_info 0
		.amdhsa_system_vgpr_workitem_id 0
		.amdhsa_next_free_vgpr 1
		.amdhsa_next_free_sgpr 0
		.amdhsa_accum_offset 4
		.amdhsa_reserve_vcc 0
		.amdhsa_reserve_flat_scratch 0
		.amdhsa_float_round_mode_32 0
		.amdhsa_float_round_mode_16_64 0
		.amdhsa_float_denorm_mode_32 3
		.amdhsa_float_denorm_mode_16_64 3
		.amdhsa_dx10_clamp 1
		.amdhsa_ieee_mode 1
		.amdhsa_fp16_overflow 0
		.amdhsa_tg_split 0
		.amdhsa_exception_fp_ieee_invalid_op 0
		.amdhsa_exception_fp_denorm_src 0
		.amdhsa_exception_fp_ieee_div_zero 0
		.amdhsa_exception_fp_ieee_overflow 0
		.amdhsa_exception_fp_ieee_underflow 0
		.amdhsa_exception_fp_ieee_inexact 0
		.amdhsa_exception_int_div_zero 0
	.end_amdhsa_kernel
	.section	.text._ZN7rocprim17ROCPRIM_400000_NS6detail17trampoline_kernelINS0_14default_configENS1_25partition_config_selectorILNS1_17partition_subalgoE8ElNS0_10empty_typeEbEEZZNS1_14partition_implILS5_8ELb0ES3_jPlPS6_PKS6_NS0_5tupleIJS9_S6_EEENSD_IJSA_SA_EEENS0_18inequality_wrapperIZN2at6native12_GLOBAL__N_124unique_dim_cuda_templateIhEESt5tupleIJNSH_6TensorESM_SM_EERKSM_lbbbEUlllE0_EEPmJS6_EEE10hipError_tPvRmT3_T4_T5_T6_T7_T9_mT8_P12ihipStream_tbDpT10_ENKUlT_T0_E_clISt17integral_constantIbLb0EES1B_IbLb1EEEEDaS17_S18_EUlS17_E_NS1_11comp_targetILNS1_3genE2ELNS1_11target_archE906ELNS1_3gpuE6ELNS1_3repE0EEENS1_30default_config_static_selectorELNS0_4arch9wavefront6targetE1EEEvT1_,"axG",@progbits,_ZN7rocprim17ROCPRIM_400000_NS6detail17trampoline_kernelINS0_14default_configENS1_25partition_config_selectorILNS1_17partition_subalgoE8ElNS0_10empty_typeEbEEZZNS1_14partition_implILS5_8ELb0ES3_jPlPS6_PKS6_NS0_5tupleIJS9_S6_EEENSD_IJSA_SA_EEENS0_18inequality_wrapperIZN2at6native12_GLOBAL__N_124unique_dim_cuda_templateIhEESt5tupleIJNSH_6TensorESM_SM_EERKSM_lbbbEUlllE0_EEPmJS6_EEE10hipError_tPvRmT3_T4_T5_T6_T7_T9_mT8_P12ihipStream_tbDpT10_ENKUlT_T0_E_clISt17integral_constantIbLb0EES1B_IbLb1EEEEDaS17_S18_EUlS17_E_NS1_11comp_targetILNS1_3genE2ELNS1_11target_archE906ELNS1_3gpuE6ELNS1_3repE0EEENS1_30default_config_static_selectorELNS0_4arch9wavefront6targetE1EEEvT1_,comdat
.Lfunc_end200:
	.size	_ZN7rocprim17ROCPRIM_400000_NS6detail17trampoline_kernelINS0_14default_configENS1_25partition_config_selectorILNS1_17partition_subalgoE8ElNS0_10empty_typeEbEEZZNS1_14partition_implILS5_8ELb0ES3_jPlPS6_PKS6_NS0_5tupleIJS9_S6_EEENSD_IJSA_SA_EEENS0_18inequality_wrapperIZN2at6native12_GLOBAL__N_124unique_dim_cuda_templateIhEESt5tupleIJNSH_6TensorESM_SM_EERKSM_lbbbEUlllE0_EEPmJS6_EEE10hipError_tPvRmT3_T4_T5_T6_T7_T9_mT8_P12ihipStream_tbDpT10_ENKUlT_T0_E_clISt17integral_constantIbLb0EES1B_IbLb1EEEEDaS17_S18_EUlS17_E_NS1_11comp_targetILNS1_3genE2ELNS1_11target_archE906ELNS1_3gpuE6ELNS1_3repE0EEENS1_30default_config_static_selectorELNS0_4arch9wavefront6targetE1EEEvT1_, .Lfunc_end200-_ZN7rocprim17ROCPRIM_400000_NS6detail17trampoline_kernelINS0_14default_configENS1_25partition_config_selectorILNS1_17partition_subalgoE8ElNS0_10empty_typeEbEEZZNS1_14partition_implILS5_8ELb0ES3_jPlPS6_PKS6_NS0_5tupleIJS9_S6_EEENSD_IJSA_SA_EEENS0_18inequality_wrapperIZN2at6native12_GLOBAL__N_124unique_dim_cuda_templateIhEESt5tupleIJNSH_6TensorESM_SM_EERKSM_lbbbEUlllE0_EEPmJS6_EEE10hipError_tPvRmT3_T4_T5_T6_T7_T9_mT8_P12ihipStream_tbDpT10_ENKUlT_T0_E_clISt17integral_constantIbLb0EES1B_IbLb1EEEEDaS17_S18_EUlS17_E_NS1_11comp_targetILNS1_3genE2ELNS1_11target_archE906ELNS1_3gpuE6ELNS1_3repE0EEENS1_30default_config_static_selectorELNS0_4arch9wavefront6targetE1EEEvT1_
                                        ; -- End function
	.section	.AMDGPU.csdata,"",@progbits
; Kernel info:
; codeLenInByte = 0
; NumSgprs: 4
; NumVgprs: 0
; NumAgprs: 0
; TotalNumVgprs: 0
; ScratchSize: 0
; MemoryBound: 0
; FloatMode: 240
; IeeeMode: 1
; LDSByteSize: 0 bytes/workgroup (compile time only)
; SGPRBlocks: 0
; VGPRBlocks: 0
; NumSGPRsForWavesPerEU: 4
; NumVGPRsForWavesPerEU: 1
; AccumOffset: 4
; Occupancy: 8
; WaveLimiterHint : 0
; COMPUTE_PGM_RSRC2:SCRATCH_EN: 0
; COMPUTE_PGM_RSRC2:USER_SGPR: 6
; COMPUTE_PGM_RSRC2:TRAP_HANDLER: 0
; COMPUTE_PGM_RSRC2:TGID_X_EN: 1
; COMPUTE_PGM_RSRC2:TGID_Y_EN: 0
; COMPUTE_PGM_RSRC2:TGID_Z_EN: 0
; COMPUTE_PGM_RSRC2:TIDIG_COMP_CNT: 0
; COMPUTE_PGM_RSRC3_GFX90A:ACCUM_OFFSET: 0
; COMPUTE_PGM_RSRC3_GFX90A:TG_SPLIT: 0
	.section	.text._ZN7rocprim17ROCPRIM_400000_NS6detail17trampoline_kernelINS0_14default_configENS1_25partition_config_selectorILNS1_17partition_subalgoE8ElNS0_10empty_typeEbEEZZNS1_14partition_implILS5_8ELb0ES3_jPlPS6_PKS6_NS0_5tupleIJS9_S6_EEENSD_IJSA_SA_EEENS0_18inequality_wrapperIZN2at6native12_GLOBAL__N_124unique_dim_cuda_templateIhEESt5tupleIJNSH_6TensorESM_SM_EERKSM_lbbbEUlllE0_EEPmJS6_EEE10hipError_tPvRmT3_T4_T5_T6_T7_T9_mT8_P12ihipStream_tbDpT10_ENKUlT_T0_E_clISt17integral_constantIbLb0EES1B_IbLb1EEEEDaS17_S18_EUlS17_E_NS1_11comp_targetILNS1_3genE10ELNS1_11target_archE1200ELNS1_3gpuE4ELNS1_3repE0EEENS1_30default_config_static_selectorELNS0_4arch9wavefront6targetE1EEEvT1_,"axG",@progbits,_ZN7rocprim17ROCPRIM_400000_NS6detail17trampoline_kernelINS0_14default_configENS1_25partition_config_selectorILNS1_17partition_subalgoE8ElNS0_10empty_typeEbEEZZNS1_14partition_implILS5_8ELb0ES3_jPlPS6_PKS6_NS0_5tupleIJS9_S6_EEENSD_IJSA_SA_EEENS0_18inequality_wrapperIZN2at6native12_GLOBAL__N_124unique_dim_cuda_templateIhEESt5tupleIJNSH_6TensorESM_SM_EERKSM_lbbbEUlllE0_EEPmJS6_EEE10hipError_tPvRmT3_T4_T5_T6_T7_T9_mT8_P12ihipStream_tbDpT10_ENKUlT_T0_E_clISt17integral_constantIbLb0EES1B_IbLb1EEEEDaS17_S18_EUlS17_E_NS1_11comp_targetILNS1_3genE10ELNS1_11target_archE1200ELNS1_3gpuE4ELNS1_3repE0EEENS1_30default_config_static_selectorELNS0_4arch9wavefront6targetE1EEEvT1_,comdat
	.globl	_ZN7rocprim17ROCPRIM_400000_NS6detail17trampoline_kernelINS0_14default_configENS1_25partition_config_selectorILNS1_17partition_subalgoE8ElNS0_10empty_typeEbEEZZNS1_14partition_implILS5_8ELb0ES3_jPlPS6_PKS6_NS0_5tupleIJS9_S6_EEENSD_IJSA_SA_EEENS0_18inequality_wrapperIZN2at6native12_GLOBAL__N_124unique_dim_cuda_templateIhEESt5tupleIJNSH_6TensorESM_SM_EERKSM_lbbbEUlllE0_EEPmJS6_EEE10hipError_tPvRmT3_T4_T5_T6_T7_T9_mT8_P12ihipStream_tbDpT10_ENKUlT_T0_E_clISt17integral_constantIbLb0EES1B_IbLb1EEEEDaS17_S18_EUlS17_E_NS1_11comp_targetILNS1_3genE10ELNS1_11target_archE1200ELNS1_3gpuE4ELNS1_3repE0EEENS1_30default_config_static_selectorELNS0_4arch9wavefront6targetE1EEEvT1_ ; -- Begin function _ZN7rocprim17ROCPRIM_400000_NS6detail17trampoline_kernelINS0_14default_configENS1_25partition_config_selectorILNS1_17partition_subalgoE8ElNS0_10empty_typeEbEEZZNS1_14partition_implILS5_8ELb0ES3_jPlPS6_PKS6_NS0_5tupleIJS9_S6_EEENSD_IJSA_SA_EEENS0_18inequality_wrapperIZN2at6native12_GLOBAL__N_124unique_dim_cuda_templateIhEESt5tupleIJNSH_6TensorESM_SM_EERKSM_lbbbEUlllE0_EEPmJS6_EEE10hipError_tPvRmT3_T4_T5_T6_T7_T9_mT8_P12ihipStream_tbDpT10_ENKUlT_T0_E_clISt17integral_constantIbLb0EES1B_IbLb1EEEEDaS17_S18_EUlS17_E_NS1_11comp_targetILNS1_3genE10ELNS1_11target_archE1200ELNS1_3gpuE4ELNS1_3repE0EEENS1_30default_config_static_selectorELNS0_4arch9wavefront6targetE1EEEvT1_
	.p2align	8
	.type	_ZN7rocprim17ROCPRIM_400000_NS6detail17trampoline_kernelINS0_14default_configENS1_25partition_config_selectorILNS1_17partition_subalgoE8ElNS0_10empty_typeEbEEZZNS1_14partition_implILS5_8ELb0ES3_jPlPS6_PKS6_NS0_5tupleIJS9_S6_EEENSD_IJSA_SA_EEENS0_18inequality_wrapperIZN2at6native12_GLOBAL__N_124unique_dim_cuda_templateIhEESt5tupleIJNSH_6TensorESM_SM_EERKSM_lbbbEUlllE0_EEPmJS6_EEE10hipError_tPvRmT3_T4_T5_T6_T7_T9_mT8_P12ihipStream_tbDpT10_ENKUlT_T0_E_clISt17integral_constantIbLb0EES1B_IbLb1EEEEDaS17_S18_EUlS17_E_NS1_11comp_targetILNS1_3genE10ELNS1_11target_archE1200ELNS1_3gpuE4ELNS1_3repE0EEENS1_30default_config_static_selectorELNS0_4arch9wavefront6targetE1EEEvT1_,@function
_ZN7rocprim17ROCPRIM_400000_NS6detail17trampoline_kernelINS0_14default_configENS1_25partition_config_selectorILNS1_17partition_subalgoE8ElNS0_10empty_typeEbEEZZNS1_14partition_implILS5_8ELb0ES3_jPlPS6_PKS6_NS0_5tupleIJS9_S6_EEENSD_IJSA_SA_EEENS0_18inequality_wrapperIZN2at6native12_GLOBAL__N_124unique_dim_cuda_templateIhEESt5tupleIJNSH_6TensorESM_SM_EERKSM_lbbbEUlllE0_EEPmJS6_EEE10hipError_tPvRmT3_T4_T5_T6_T7_T9_mT8_P12ihipStream_tbDpT10_ENKUlT_T0_E_clISt17integral_constantIbLb0EES1B_IbLb1EEEEDaS17_S18_EUlS17_E_NS1_11comp_targetILNS1_3genE10ELNS1_11target_archE1200ELNS1_3gpuE4ELNS1_3repE0EEENS1_30default_config_static_selectorELNS0_4arch9wavefront6targetE1EEEvT1_: ; @_ZN7rocprim17ROCPRIM_400000_NS6detail17trampoline_kernelINS0_14default_configENS1_25partition_config_selectorILNS1_17partition_subalgoE8ElNS0_10empty_typeEbEEZZNS1_14partition_implILS5_8ELb0ES3_jPlPS6_PKS6_NS0_5tupleIJS9_S6_EEENSD_IJSA_SA_EEENS0_18inequality_wrapperIZN2at6native12_GLOBAL__N_124unique_dim_cuda_templateIhEESt5tupleIJNSH_6TensorESM_SM_EERKSM_lbbbEUlllE0_EEPmJS6_EEE10hipError_tPvRmT3_T4_T5_T6_T7_T9_mT8_P12ihipStream_tbDpT10_ENKUlT_T0_E_clISt17integral_constantIbLb0EES1B_IbLb1EEEEDaS17_S18_EUlS17_E_NS1_11comp_targetILNS1_3genE10ELNS1_11target_archE1200ELNS1_3gpuE4ELNS1_3repE0EEENS1_30default_config_static_selectorELNS0_4arch9wavefront6targetE1EEEvT1_
; %bb.0:
	.section	.rodata,"a",@progbits
	.p2align	6, 0x0
	.amdhsa_kernel _ZN7rocprim17ROCPRIM_400000_NS6detail17trampoline_kernelINS0_14default_configENS1_25partition_config_selectorILNS1_17partition_subalgoE8ElNS0_10empty_typeEbEEZZNS1_14partition_implILS5_8ELb0ES3_jPlPS6_PKS6_NS0_5tupleIJS9_S6_EEENSD_IJSA_SA_EEENS0_18inequality_wrapperIZN2at6native12_GLOBAL__N_124unique_dim_cuda_templateIhEESt5tupleIJNSH_6TensorESM_SM_EERKSM_lbbbEUlllE0_EEPmJS6_EEE10hipError_tPvRmT3_T4_T5_T6_T7_T9_mT8_P12ihipStream_tbDpT10_ENKUlT_T0_E_clISt17integral_constantIbLb0EES1B_IbLb1EEEEDaS17_S18_EUlS17_E_NS1_11comp_targetILNS1_3genE10ELNS1_11target_archE1200ELNS1_3gpuE4ELNS1_3repE0EEENS1_30default_config_static_selectorELNS0_4arch9wavefront6targetE1EEEvT1_
		.amdhsa_group_segment_fixed_size 0
		.amdhsa_private_segment_fixed_size 0
		.amdhsa_kernarg_size 136
		.amdhsa_user_sgpr_count 6
		.amdhsa_user_sgpr_private_segment_buffer 1
		.amdhsa_user_sgpr_dispatch_ptr 0
		.amdhsa_user_sgpr_queue_ptr 0
		.amdhsa_user_sgpr_kernarg_segment_ptr 1
		.amdhsa_user_sgpr_dispatch_id 0
		.amdhsa_user_sgpr_flat_scratch_init 0
		.amdhsa_user_sgpr_kernarg_preload_length 0
		.amdhsa_user_sgpr_kernarg_preload_offset 0
		.amdhsa_user_sgpr_private_segment_size 0
		.amdhsa_uses_dynamic_stack 0
		.amdhsa_system_sgpr_private_segment_wavefront_offset 0
		.amdhsa_system_sgpr_workgroup_id_x 1
		.amdhsa_system_sgpr_workgroup_id_y 0
		.amdhsa_system_sgpr_workgroup_id_z 0
		.amdhsa_system_sgpr_workgroup_info 0
		.amdhsa_system_vgpr_workitem_id 0
		.amdhsa_next_free_vgpr 1
		.amdhsa_next_free_sgpr 0
		.amdhsa_accum_offset 4
		.amdhsa_reserve_vcc 0
		.amdhsa_reserve_flat_scratch 0
		.amdhsa_float_round_mode_32 0
		.amdhsa_float_round_mode_16_64 0
		.amdhsa_float_denorm_mode_32 3
		.amdhsa_float_denorm_mode_16_64 3
		.amdhsa_dx10_clamp 1
		.amdhsa_ieee_mode 1
		.amdhsa_fp16_overflow 0
		.amdhsa_tg_split 0
		.amdhsa_exception_fp_ieee_invalid_op 0
		.amdhsa_exception_fp_denorm_src 0
		.amdhsa_exception_fp_ieee_div_zero 0
		.amdhsa_exception_fp_ieee_overflow 0
		.amdhsa_exception_fp_ieee_underflow 0
		.amdhsa_exception_fp_ieee_inexact 0
		.amdhsa_exception_int_div_zero 0
	.end_amdhsa_kernel
	.section	.text._ZN7rocprim17ROCPRIM_400000_NS6detail17trampoline_kernelINS0_14default_configENS1_25partition_config_selectorILNS1_17partition_subalgoE8ElNS0_10empty_typeEbEEZZNS1_14partition_implILS5_8ELb0ES3_jPlPS6_PKS6_NS0_5tupleIJS9_S6_EEENSD_IJSA_SA_EEENS0_18inequality_wrapperIZN2at6native12_GLOBAL__N_124unique_dim_cuda_templateIhEESt5tupleIJNSH_6TensorESM_SM_EERKSM_lbbbEUlllE0_EEPmJS6_EEE10hipError_tPvRmT3_T4_T5_T6_T7_T9_mT8_P12ihipStream_tbDpT10_ENKUlT_T0_E_clISt17integral_constantIbLb0EES1B_IbLb1EEEEDaS17_S18_EUlS17_E_NS1_11comp_targetILNS1_3genE10ELNS1_11target_archE1200ELNS1_3gpuE4ELNS1_3repE0EEENS1_30default_config_static_selectorELNS0_4arch9wavefront6targetE1EEEvT1_,"axG",@progbits,_ZN7rocprim17ROCPRIM_400000_NS6detail17trampoline_kernelINS0_14default_configENS1_25partition_config_selectorILNS1_17partition_subalgoE8ElNS0_10empty_typeEbEEZZNS1_14partition_implILS5_8ELb0ES3_jPlPS6_PKS6_NS0_5tupleIJS9_S6_EEENSD_IJSA_SA_EEENS0_18inequality_wrapperIZN2at6native12_GLOBAL__N_124unique_dim_cuda_templateIhEESt5tupleIJNSH_6TensorESM_SM_EERKSM_lbbbEUlllE0_EEPmJS6_EEE10hipError_tPvRmT3_T4_T5_T6_T7_T9_mT8_P12ihipStream_tbDpT10_ENKUlT_T0_E_clISt17integral_constantIbLb0EES1B_IbLb1EEEEDaS17_S18_EUlS17_E_NS1_11comp_targetILNS1_3genE10ELNS1_11target_archE1200ELNS1_3gpuE4ELNS1_3repE0EEENS1_30default_config_static_selectorELNS0_4arch9wavefront6targetE1EEEvT1_,comdat
.Lfunc_end201:
	.size	_ZN7rocprim17ROCPRIM_400000_NS6detail17trampoline_kernelINS0_14default_configENS1_25partition_config_selectorILNS1_17partition_subalgoE8ElNS0_10empty_typeEbEEZZNS1_14partition_implILS5_8ELb0ES3_jPlPS6_PKS6_NS0_5tupleIJS9_S6_EEENSD_IJSA_SA_EEENS0_18inequality_wrapperIZN2at6native12_GLOBAL__N_124unique_dim_cuda_templateIhEESt5tupleIJNSH_6TensorESM_SM_EERKSM_lbbbEUlllE0_EEPmJS6_EEE10hipError_tPvRmT3_T4_T5_T6_T7_T9_mT8_P12ihipStream_tbDpT10_ENKUlT_T0_E_clISt17integral_constantIbLb0EES1B_IbLb1EEEEDaS17_S18_EUlS17_E_NS1_11comp_targetILNS1_3genE10ELNS1_11target_archE1200ELNS1_3gpuE4ELNS1_3repE0EEENS1_30default_config_static_selectorELNS0_4arch9wavefront6targetE1EEEvT1_, .Lfunc_end201-_ZN7rocprim17ROCPRIM_400000_NS6detail17trampoline_kernelINS0_14default_configENS1_25partition_config_selectorILNS1_17partition_subalgoE8ElNS0_10empty_typeEbEEZZNS1_14partition_implILS5_8ELb0ES3_jPlPS6_PKS6_NS0_5tupleIJS9_S6_EEENSD_IJSA_SA_EEENS0_18inequality_wrapperIZN2at6native12_GLOBAL__N_124unique_dim_cuda_templateIhEESt5tupleIJNSH_6TensorESM_SM_EERKSM_lbbbEUlllE0_EEPmJS6_EEE10hipError_tPvRmT3_T4_T5_T6_T7_T9_mT8_P12ihipStream_tbDpT10_ENKUlT_T0_E_clISt17integral_constantIbLb0EES1B_IbLb1EEEEDaS17_S18_EUlS17_E_NS1_11comp_targetILNS1_3genE10ELNS1_11target_archE1200ELNS1_3gpuE4ELNS1_3repE0EEENS1_30default_config_static_selectorELNS0_4arch9wavefront6targetE1EEEvT1_
                                        ; -- End function
	.section	.AMDGPU.csdata,"",@progbits
; Kernel info:
; codeLenInByte = 0
; NumSgprs: 4
; NumVgprs: 0
; NumAgprs: 0
; TotalNumVgprs: 0
; ScratchSize: 0
; MemoryBound: 0
; FloatMode: 240
; IeeeMode: 1
; LDSByteSize: 0 bytes/workgroup (compile time only)
; SGPRBlocks: 0
; VGPRBlocks: 0
; NumSGPRsForWavesPerEU: 4
; NumVGPRsForWavesPerEU: 1
; AccumOffset: 4
; Occupancy: 8
; WaveLimiterHint : 0
; COMPUTE_PGM_RSRC2:SCRATCH_EN: 0
; COMPUTE_PGM_RSRC2:USER_SGPR: 6
; COMPUTE_PGM_RSRC2:TRAP_HANDLER: 0
; COMPUTE_PGM_RSRC2:TGID_X_EN: 1
; COMPUTE_PGM_RSRC2:TGID_Y_EN: 0
; COMPUTE_PGM_RSRC2:TGID_Z_EN: 0
; COMPUTE_PGM_RSRC2:TIDIG_COMP_CNT: 0
; COMPUTE_PGM_RSRC3_GFX90A:ACCUM_OFFSET: 0
; COMPUTE_PGM_RSRC3_GFX90A:TG_SPLIT: 0
	.section	.text._ZN7rocprim17ROCPRIM_400000_NS6detail17trampoline_kernelINS0_14default_configENS1_25partition_config_selectorILNS1_17partition_subalgoE8ElNS0_10empty_typeEbEEZZNS1_14partition_implILS5_8ELb0ES3_jPlPS6_PKS6_NS0_5tupleIJS9_S6_EEENSD_IJSA_SA_EEENS0_18inequality_wrapperIZN2at6native12_GLOBAL__N_124unique_dim_cuda_templateIhEESt5tupleIJNSH_6TensorESM_SM_EERKSM_lbbbEUlllE0_EEPmJS6_EEE10hipError_tPvRmT3_T4_T5_T6_T7_T9_mT8_P12ihipStream_tbDpT10_ENKUlT_T0_E_clISt17integral_constantIbLb0EES1B_IbLb1EEEEDaS17_S18_EUlS17_E_NS1_11comp_targetILNS1_3genE9ELNS1_11target_archE1100ELNS1_3gpuE3ELNS1_3repE0EEENS1_30default_config_static_selectorELNS0_4arch9wavefront6targetE1EEEvT1_,"axG",@progbits,_ZN7rocprim17ROCPRIM_400000_NS6detail17trampoline_kernelINS0_14default_configENS1_25partition_config_selectorILNS1_17partition_subalgoE8ElNS0_10empty_typeEbEEZZNS1_14partition_implILS5_8ELb0ES3_jPlPS6_PKS6_NS0_5tupleIJS9_S6_EEENSD_IJSA_SA_EEENS0_18inequality_wrapperIZN2at6native12_GLOBAL__N_124unique_dim_cuda_templateIhEESt5tupleIJNSH_6TensorESM_SM_EERKSM_lbbbEUlllE0_EEPmJS6_EEE10hipError_tPvRmT3_T4_T5_T6_T7_T9_mT8_P12ihipStream_tbDpT10_ENKUlT_T0_E_clISt17integral_constantIbLb0EES1B_IbLb1EEEEDaS17_S18_EUlS17_E_NS1_11comp_targetILNS1_3genE9ELNS1_11target_archE1100ELNS1_3gpuE3ELNS1_3repE0EEENS1_30default_config_static_selectorELNS0_4arch9wavefront6targetE1EEEvT1_,comdat
	.globl	_ZN7rocprim17ROCPRIM_400000_NS6detail17trampoline_kernelINS0_14default_configENS1_25partition_config_selectorILNS1_17partition_subalgoE8ElNS0_10empty_typeEbEEZZNS1_14partition_implILS5_8ELb0ES3_jPlPS6_PKS6_NS0_5tupleIJS9_S6_EEENSD_IJSA_SA_EEENS0_18inequality_wrapperIZN2at6native12_GLOBAL__N_124unique_dim_cuda_templateIhEESt5tupleIJNSH_6TensorESM_SM_EERKSM_lbbbEUlllE0_EEPmJS6_EEE10hipError_tPvRmT3_T4_T5_T6_T7_T9_mT8_P12ihipStream_tbDpT10_ENKUlT_T0_E_clISt17integral_constantIbLb0EES1B_IbLb1EEEEDaS17_S18_EUlS17_E_NS1_11comp_targetILNS1_3genE9ELNS1_11target_archE1100ELNS1_3gpuE3ELNS1_3repE0EEENS1_30default_config_static_selectorELNS0_4arch9wavefront6targetE1EEEvT1_ ; -- Begin function _ZN7rocprim17ROCPRIM_400000_NS6detail17trampoline_kernelINS0_14default_configENS1_25partition_config_selectorILNS1_17partition_subalgoE8ElNS0_10empty_typeEbEEZZNS1_14partition_implILS5_8ELb0ES3_jPlPS6_PKS6_NS0_5tupleIJS9_S6_EEENSD_IJSA_SA_EEENS0_18inequality_wrapperIZN2at6native12_GLOBAL__N_124unique_dim_cuda_templateIhEESt5tupleIJNSH_6TensorESM_SM_EERKSM_lbbbEUlllE0_EEPmJS6_EEE10hipError_tPvRmT3_T4_T5_T6_T7_T9_mT8_P12ihipStream_tbDpT10_ENKUlT_T0_E_clISt17integral_constantIbLb0EES1B_IbLb1EEEEDaS17_S18_EUlS17_E_NS1_11comp_targetILNS1_3genE9ELNS1_11target_archE1100ELNS1_3gpuE3ELNS1_3repE0EEENS1_30default_config_static_selectorELNS0_4arch9wavefront6targetE1EEEvT1_
	.p2align	8
	.type	_ZN7rocprim17ROCPRIM_400000_NS6detail17trampoline_kernelINS0_14default_configENS1_25partition_config_selectorILNS1_17partition_subalgoE8ElNS0_10empty_typeEbEEZZNS1_14partition_implILS5_8ELb0ES3_jPlPS6_PKS6_NS0_5tupleIJS9_S6_EEENSD_IJSA_SA_EEENS0_18inequality_wrapperIZN2at6native12_GLOBAL__N_124unique_dim_cuda_templateIhEESt5tupleIJNSH_6TensorESM_SM_EERKSM_lbbbEUlllE0_EEPmJS6_EEE10hipError_tPvRmT3_T4_T5_T6_T7_T9_mT8_P12ihipStream_tbDpT10_ENKUlT_T0_E_clISt17integral_constantIbLb0EES1B_IbLb1EEEEDaS17_S18_EUlS17_E_NS1_11comp_targetILNS1_3genE9ELNS1_11target_archE1100ELNS1_3gpuE3ELNS1_3repE0EEENS1_30default_config_static_selectorELNS0_4arch9wavefront6targetE1EEEvT1_,@function
_ZN7rocprim17ROCPRIM_400000_NS6detail17trampoline_kernelINS0_14default_configENS1_25partition_config_selectorILNS1_17partition_subalgoE8ElNS0_10empty_typeEbEEZZNS1_14partition_implILS5_8ELb0ES3_jPlPS6_PKS6_NS0_5tupleIJS9_S6_EEENSD_IJSA_SA_EEENS0_18inequality_wrapperIZN2at6native12_GLOBAL__N_124unique_dim_cuda_templateIhEESt5tupleIJNSH_6TensorESM_SM_EERKSM_lbbbEUlllE0_EEPmJS6_EEE10hipError_tPvRmT3_T4_T5_T6_T7_T9_mT8_P12ihipStream_tbDpT10_ENKUlT_T0_E_clISt17integral_constantIbLb0EES1B_IbLb1EEEEDaS17_S18_EUlS17_E_NS1_11comp_targetILNS1_3genE9ELNS1_11target_archE1100ELNS1_3gpuE3ELNS1_3repE0EEENS1_30default_config_static_selectorELNS0_4arch9wavefront6targetE1EEEvT1_: ; @_ZN7rocprim17ROCPRIM_400000_NS6detail17trampoline_kernelINS0_14default_configENS1_25partition_config_selectorILNS1_17partition_subalgoE8ElNS0_10empty_typeEbEEZZNS1_14partition_implILS5_8ELb0ES3_jPlPS6_PKS6_NS0_5tupleIJS9_S6_EEENSD_IJSA_SA_EEENS0_18inequality_wrapperIZN2at6native12_GLOBAL__N_124unique_dim_cuda_templateIhEESt5tupleIJNSH_6TensorESM_SM_EERKSM_lbbbEUlllE0_EEPmJS6_EEE10hipError_tPvRmT3_T4_T5_T6_T7_T9_mT8_P12ihipStream_tbDpT10_ENKUlT_T0_E_clISt17integral_constantIbLb0EES1B_IbLb1EEEEDaS17_S18_EUlS17_E_NS1_11comp_targetILNS1_3genE9ELNS1_11target_archE1100ELNS1_3gpuE3ELNS1_3repE0EEENS1_30default_config_static_selectorELNS0_4arch9wavefront6targetE1EEEvT1_
; %bb.0:
	.section	.rodata,"a",@progbits
	.p2align	6, 0x0
	.amdhsa_kernel _ZN7rocprim17ROCPRIM_400000_NS6detail17trampoline_kernelINS0_14default_configENS1_25partition_config_selectorILNS1_17partition_subalgoE8ElNS0_10empty_typeEbEEZZNS1_14partition_implILS5_8ELb0ES3_jPlPS6_PKS6_NS0_5tupleIJS9_S6_EEENSD_IJSA_SA_EEENS0_18inequality_wrapperIZN2at6native12_GLOBAL__N_124unique_dim_cuda_templateIhEESt5tupleIJNSH_6TensorESM_SM_EERKSM_lbbbEUlllE0_EEPmJS6_EEE10hipError_tPvRmT3_T4_T5_T6_T7_T9_mT8_P12ihipStream_tbDpT10_ENKUlT_T0_E_clISt17integral_constantIbLb0EES1B_IbLb1EEEEDaS17_S18_EUlS17_E_NS1_11comp_targetILNS1_3genE9ELNS1_11target_archE1100ELNS1_3gpuE3ELNS1_3repE0EEENS1_30default_config_static_selectorELNS0_4arch9wavefront6targetE1EEEvT1_
		.amdhsa_group_segment_fixed_size 0
		.amdhsa_private_segment_fixed_size 0
		.amdhsa_kernarg_size 136
		.amdhsa_user_sgpr_count 6
		.amdhsa_user_sgpr_private_segment_buffer 1
		.amdhsa_user_sgpr_dispatch_ptr 0
		.amdhsa_user_sgpr_queue_ptr 0
		.amdhsa_user_sgpr_kernarg_segment_ptr 1
		.amdhsa_user_sgpr_dispatch_id 0
		.amdhsa_user_sgpr_flat_scratch_init 0
		.amdhsa_user_sgpr_kernarg_preload_length 0
		.amdhsa_user_sgpr_kernarg_preload_offset 0
		.amdhsa_user_sgpr_private_segment_size 0
		.amdhsa_uses_dynamic_stack 0
		.amdhsa_system_sgpr_private_segment_wavefront_offset 0
		.amdhsa_system_sgpr_workgroup_id_x 1
		.amdhsa_system_sgpr_workgroup_id_y 0
		.amdhsa_system_sgpr_workgroup_id_z 0
		.amdhsa_system_sgpr_workgroup_info 0
		.amdhsa_system_vgpr_workitem_id 0
		.amdhsa_next_free_vgpr 1
		.amdhsa_next_free_sgpr 0
		.amdhsa_accum_offset 4
		.amdhsa_reserve_vcc 0
		.amdhsa_reserve_flat_scratch 0
		.amdhsa_float_round_mode_32 0
		.amdhsa_float_round_mode_16_64 0
		.amdhsa_float_denorm_mode_32 3
		.amdhsa_float_denorm_mode_16_64 3
		.amdhsa_dx10_clamp 1
		.amdhsa_ieee_mode 1
		.amdhsa_fp16_overflow 0
		.amdhsa_tg_split 0
		.amdhsa_exception_fp_ieee_invalid_op 0
		.amdhsa_exception_fp_denorm_src 0
		.amdhsa_exception_fp_ieee_div_zero 0
		.amdhsa_exception_fp_ieee_overflow 0
		.amdhsa_exception_fp_ieee_underflow 0
		.amdhsa_exception_fp_ieee_inexact 0
		.amdhsa_exception_int_div_zero 0
	.end_amdhsa_kernel
	.section	.text._ZN7rocprim17ROCPRIM_400000_NS6detail17trampoline_kernelINS0_14default_configENS1_25partition_config_selectorILNS1_17partition_subalgoE8ElNS0_10empty_typeEbEEZZNS1_14partition_implILS5_8ELb0ES3_jPlPS6_PKS6_NS0_5tupleIJS9_S6_EEENSD_IJSA_SA_EEENS0_18inequality_wrapperIZN2at6native12_GLOBAL__N_124unique_dim_cuda_templateIhEESt5tupleIJNSH_6TensorESM_SM_EERKSM_lbbbEUlllE0_EEPmJS6_EEE10hipError_tPvRmT3_T4_T5_T6_T7_T9_mT8_P12ihipStream_tbDpT10_ENKUlT_T0_E_clISt17integral_constantIbLb0EES1B_IbLb1EEEEDaS17_S18_EUlS17_E_NS1_11comp_targetILNS1_3genE9ELNS1_11target_archE1100ELNS1_3gpuE3ELNS1_3repE0EEENS1_30default_config_static_selectorELNS0_4arch9wavefront6targetE1EEEvT1_,"axG",@progbits,_ZN7rocprim17ROCPRIM_400000_NS6detail17trampoline_kernelINS0_14default_configENS1_25partition_config_selectorILNS1_17partition_subalgoE8ElNS0_10empty_typeEbEEZZNS1_14partition_implILS5_8ELb0ES3_jPlPS6_PKS6_NS0_5tupleIJS9_S6_EEENSD_IJSA_SA_EEENS0_18inequality_wrapperIZN2at6native12_GLOBAL__N_124unique_dim_cuda_templateIhEESt5tupleIJNSH_6TensorESM_SM_EERKSM_lbbbEUlllE0_EEPmJS6_EEE10hipError_tPvRmT3_T4_T5_T6_T7_T9_mT8_P12ihipStream_tbDpT10_ENKUlT_T0_E_clISt17integral_constantIbLb0EES1B_IbLb1EEEEDaS17_S18_EUlS17_E_NS1_11comp_targetILNS1_3genE9ELNS1_11target_archE1100ELNS1_3gpuE3ELNS1_3repE0EEENS1_30default_config_static_selectorELNS0_4arch9wavefront6targetE1EEEvT1_,comdat
.Lfunc_end202:
	.size	_ZN7rocprim17ROCPRIM_400000_NS6detail17trampoline_kernelINS0_14default_configENS1_25partition_config_selectorILNS1_17partition_subalgoE8ElNS0_10empty_typeEbEEZZNS1_14partition_implILS5_8ELb0ES3_jPlPS6_PKS6_NS0_5tupleIJS9_S6_EEENSD_IJSA_SA_EEENS0_18inequality_wrapperIZN2at6native12_GLOBAL__N_124unique_dim_cuda_templateIhEESt5tupleIJNSH_6TensorESM_SM_EERKSM_lbbbEUlllE0_EEPmJS6_EEE10hipError_tPvRmT3_T4_T5_T6_T7_T9_mT8_P12ihipStream_tbDpT10_ENKUlT_T0_E_clISt17integral_constantIbLb0EES1B_IbLb1EEEEDaS17_S18_EUlS17_E_NS1_11comp_targetILNS1_3genE9ELNS1_11target_archE1100ELNS1_3gpuE3ELNS1_3repE0EEENS1_30default_config_static_selectorELNS0_4arch9wavefront6targetE1EEEvT1_, .Lfunc_end202-_ZN7rocprim17ROCPRIM_400000_NS6detail17trampoline_kernelINS0_14default_configENS1_25partition_config_selectorILNS1_17partition_subalgoE8ElNS0_10empty_typeEbEEZZNS1_14partition_implILS5_8ELb0ES3_jPlPS6_PKS6_NS0_5tupleIJS9_S6_EEENSD_IJSA_SA_EEENS0_18inequality_wrapperIZN2at6native12_GLOBAL__N_124unique_dim_cuda_templateIhEESt5tupleIJNSH_6TensorESM_SM_EERKSM_lbbbEUlllE0_EEPmJS6_EEE10hipError_tPvRmT3_T4_T5_T6_T7_T9_mT8_P12ihipStream_tbDpT10_ENKUlT_T0_E_clISt17integral_constantIbLb0EES1B_IbLb1EEEEDaS17_S18_EUlS17_E_NS1_11comp_targetILNS1_3genE9ELNS1_11target_archE1100ELNS1_3gpuE3ELNS1_3repE0EEENS1_30default_config_static_selectorELNS0_4arch9wavefront6targetE1EEEvT1_
                                        ; -- End function
	.section	.AMDGPU.csdata,"",@progbits
; Kernel info:
; codeLenInByte = 0
; NumSgprs: 4
; NumVgprs: 0
; NumAgprs: 0
; TotalNumVgprs: 0
; ScratchSize: 0
; MemoryBound: 0
; FloatMode: 240
; IeeeMode: 1
; LDSByteSize: 0 bytes/workgroup (compile time only)
; SGPRBlocks: 0
; VGPRBlocks: 0
; NumSGPRsForWavesPerEU: 4
; NumVGPRsForWavesPerEU: 1
; AccumOffset: 4
; Occupancy: 8
; WaveLimiterHint : 0
; COMPUTE_PGM_RSRC2:SCRATCH_EN: 0
; COMPUTE_PGM_RSRC2:USER_SGPR: 6
; COMPUTE_PGM_RSRC2:TRAP_HANDLER: 0
; COMPUTE_PGM_RSRC2:TGID_X_EN: 1
; COMPUTE_PGM_RSRC2:TGID_Y_EN: 0
; COMPUTE_PGM_RSRC2:TGID_Z_EN: 0
; COMPUTE_PGM_RSRC2:TIDIG_COMP_CNT: 0
; COMPUTE_PGM_RSRC3_GFX90A:ACCUM_OFFSET: 0
; COMPUTE_PGM_RSRC3_GFX90A:TG_SPLIT: 0
	.section	.text._ZN7rocprim17ROCPRIM_400000_NS6detail17trampoline_kernelINS0_14default_configENS1_25partition_config_selectorILNS1_17partition_subalgoE8ElNS0_10empty_typeEbEEZZNS1_14partition_implILS5_8ELb0ES3_jPlPS6_PKS6_NS0_5tupleIJS9_S6_EEENSD_IJSA_SA_EEENS0_18inequality_wrapperIZN2at6native12_GLOBAL__N_124unique_dim_cuda_templateIhEESt5tupleIJNSH_6TensorESM_SM_EERKSM_lbbbEUlllE0_EEPmJS6_EEE10hipError_tPvRmT3_T4_T5_T6_T7_T9_mT8_P12ihipStream_tbDpT10_ENKUlT_T0_E_clISt17integral_constantIbLb0EES1B_IbLb1EEEEDaS17_S18_EUlS17_E_NS1_11comp_targetILNS1_3genE8ELNS1_11target_archE1030ELNS1_3gpuE2ELNS1_3repE0EEENS1_30default_config_static_selectorELNS0_4arch9wavefront6targetE1EEEvT1_,"axG",@progbits,_ZN7rocprim17ROCPRIM_400000_NS6detail17trampoline_kernelINS0_14default_configENS1_25partition_config_selectorILNS1_17partition_subalgoE8ElNS0_10empty_typeEbEEZZNS1_14partition_implILS5_8ELb0ES3_jPlPS6_PKS6_NS0_5tupleIJS9_S6_EEENSD_IJSA_SA_EEENS0_18inequality_wrapperIZN2at6native12_GLOBAL__N_124unique_dim_cuda_templateIhEESt5tupleIJNSH_6TensorESM_SM_EERKSM_lbbbEUlllE0_EEPmJS6_EEE10hipError_tPvRmT3_T4_T5_T6_T7_T9_mT8_P12ihipStream_tbDpT10_ENKUlT_T0_E_clISt17integral_constantIbLb0EES1B_IbLb1EEEEDaS17_S18_EUlS17_E_NS1_11comp_targetILNS1_3genE8ELNS1_11target_archE1030ELNS1_3gpuE2ELNS1_3repE0EEENS1_30default_config_static_selectorELNS0_4arch9wavefront6targetE1EEEvT1_,comdat
	.globl	_ZN7rocprim17ROCPRIM_400000_NS6detail17trampoline_kernelINS0_14default_configENS1_25partition_config_selectorILNS1_17partition_subalgoE8ElNS0_10empty_typeEbEEZZNS1_14partition_implILS5_8ELb0ES3_jPlPS6_PKS6_NS0_5tupleIJS9_S6_EEENSD_IJSA_SA_EEENS0_18inequality_wrapperIZN2at6native12_GLOBAL__N_124unique_dim_cuda_templateIhEESt5tupleIJNSH_6TensorESM_SM_EERKSM_lbbbEUlllE0_EEPmJS6_EEE10hipError_tPvRmT3_T4_T5_T6_T7_T9_mT8_P12ihipStream_tbDpT10_ENKUlT_T0_E_clISt17integral_constantIbLb0EES1B_IbLb1EEEEDaS17_S18_EUlS17_E_NS1_11comp_targetILNS1_3genE8ELNS1_11target_archE1030ELNS1_3gpuE2ELNS1_3repE0EEENS1_30default_config_static_selectorELNS0_4arch9wavefront6targetE1EEEvT1_ ; -- Begin function _ZN7rocprim17ROCPRIM_400000_NS6detail17trampoline_kernelINS0_14default_configENS1_25partition_config_selectorILNS1_17partition_subalgoE8ElNS0_10empty_typeEbEEZZNS1_14partition_implILS5_8ELb0ES3_jPlPS6_PKS6_NS0_5tupleIJS9_S6_EEENSD_IJSA_SA_EEENS0_18inequality_wrapperIZN2at6native12_GLOBAL__N_124unique_dim_cuda_templateIhEESt5tupleIJNSH_6TensorESM_SM_EERKSM_lbbbEUlllE0_EEPmJS6_EEE10hipError_tPvRmT3_T4_T5_T6_T7_T9_mT8_P12ihipStream_tbDpT10_ENKUlT_T0_E_clISt17integral_constantIbLb0EES1B_IbLb1EEEEDaS17_S18_EUlS17_E_NS1_11comp_targetILNS1_3genE8ELNS1_11target_archE1030ELNS1_3gpuE2ELNS1_3repE0EEENS1_30default_config_static_selectorELNS0_4arch9wavefront6targetE1EEEvT1_
	.p2align	8
	.type	_ZN7rocprim17ROCPRIM_400000_NS6detail17trampoline_kernelINS0_14default_configENS1_25partition_config_selectorILNS1_17partition_subalgoE8ElNS0_10empty_typeEbEEZZNS1_14partition_implILS5_8ELb0ES3_jPlPS6_PKS6_NS0_5tupleIJS9_S6_EEENSD_IJSA_SA_EEENS0_18inequality_wrapperIZN2at6native12_GLOBAL__N_124unique_dim_cuda_templateIhEESt5tupleIJNSH_6TensorESM_SM_EERKSM_lbbbEUlllE0_EEPmJS6_EEE10hipError_tPvRmT3_T4_T5_T6_T7_T9_mT8_P12ihipStream_tbDpT10_ENKUlT_T0_E_clISt17integral_constantIbLb0EES1B_IbLb1EEEEDaS17_S18_EUlS17_E_NS1_11comp_targetILNS1_3genE8ELNS1_11target_archE1030ELNS1_3gpuE2ELNS1_3repE0EEENS1_30default_config_static_selectorELNS0_4arch9wavefront6targetE1EEEvT1_,@function
_ZN7rocprim17ROCPRIM_400000_NS6detail17trampoline_kernelINS0_14default_configENS1_25partition_config_selectorILNS1_17partition_subalgoE8ElNS0_10empty_typeEbEEZZNS1_14partition_implILS5_8ELb0ES3_jPlPS6_PKS6_NS0_5tupleIJS9_S6_EEENSD_IJSA_SA_EEENS0_18inequality_wrapperIZN2at6native12_GLOBAL__N_124unique_dim_cuda_templateIhEESt5tupleIJNSH_6TensorESM_SM_EERKSM_lbbbEUlllE0_EEPmJS6_EEE10hipError_tPvRmT3_T4_T5_T6_T7_T9_mT8_P12ihipStream_tbDpT10_ENKUlT_T0_E_clISt17integral_constantIbLb0EES1B_IbLb1EEEEDaS17_S18_EUlS17_E_NS1_11comp_targetILNS1_3genE8ELNS1_11target_archE1030ELNS1_3gpuE2ELNS1_3repE0EEENS1_30default_config_static_selectorELNS0_4arch9wavefront6targetE1EEEvT1_: ; @_ZN7rocprim17ROCPRIM_400000_NS6detail17trampoline_kernelINS0_14default_configENS1_25partition_config_selectorILNS1_17partition_subalgoE8ElNS0_10empty_typeEbEEZZNS1_14partition_implILS5_8ELb0ES3_jPlPS6_PKS6_NS0_5tupleIJS9_S6_EEENSD_IJSA_SA_EEENS0_18inequality_wrapperIZN2at6native12_GLOBAL__N_124unique_dim_cuda_templateIhEESt5tupleIJNSH_6TensorESM_SM_EERKSM_lbbbEUlllE0_EEPmJS6_EEE10hipError_tPvRmT3_T4_T5_T6_T7_T9_mT8_P12ihipStream_tbDpT10_ENKUlT_T0_E_clISt17integral_constantIbLb0EES1B_IbLb1EEEEDaS17_S18_EUlS17_E_NS1_11comp_targetILNS1_3genE8ELNS1_11target_archE1030ELNS1_3gpuE2ELNS1_3repE0EEENS1_30default_config_static_selectorELNS0_4arch9wavefront6targetE1EEEvT1_
; %bb.0:
	.section	.rodata,"a",@progbits
	.p2align	6, 0x0
	.amdhsa_kernel _ZN7rocprim17ROCPRIM_400000_NS6detail17trampoline_kernelINS0_14default_configENS1_25partition_config_selectorILNS1_17partition_subalgoE8ElNS0_10empty_typeEbEEZZNS1_14partition_implILS5_8ELb0ES3_jPlPS6_PKS6_NS0_5tupleIJS9_S6_EEENSD_IJSA_SA_EEENS0_18inequality_wrapperIZN2at6native12_GLOBAL__N_124unique_dim_cuda_templateIhEESt5tupleIJNSH_6TensorESM_SM_EERKSM_lbbbEUlllE0_EEPmJS6_EEE10hipError_tPvRmT3_T4_T5_T6_T7_T9_mT8_P12ihipStream_tbDpT10_ENKUlT_T0_E_clISt17integral_constantIbLb0EES1B_IbLb1EEEEDaS17_S18_EUlS17_E_NS1_11comp_targetILNS1_3genE8ELNS1_11target_archE1030ELNS1_3gpuE2ELNS1_3repE0EEENS1_30default_config_static_selectorELNS0_4arch9wavefront6targetE1EEEvT1_
		.amdhsa_group_segment_fixed_size 0
		.amdhsa_private_segment_fixed_size 0
		.amdhsa_kernarg_size 136
		.amdhsa_user_sgpr_count 6
		.amdhsa_user_sgpr_private_segment_buffer 1
		.amdhsa_user_sgpr_dispatch_ptr 0
		.amdhsa_user_sgpr_queue_ptr 0
		.amdhsa_user_sgpr_kernarg_segment_ptr 1
		.amdhsa_user_sgpr_dispatch_id 0
		.amdhsa_user_sgpr_flat_scratch_init 0
		.amdhsa_user_sgpr_kernarg_preload_length 0
		.amdhsa_user_sgpr_kernarg_preload_offset 0
		.amdhsa_user_sgpr_private_segment_size 0
		.amdhsa_uses_dynamic_stack 0
		.amdhsa_system_sgpr_private_segment_wavefront_offset 0
		.amdhsa_system_sgpr_workgroup_id_x 1
		.amdhsa_system_sgpr_workgroup_id_y 0
		.amdhsa_system_sgpr_workgroup_id_z 0
		.amdhsa_system_sgpr_workgroup_info 0
		.amdhsa_system_vgpr_workitem_id 0
		.amdhsa_next_free_vgpr 1
		.amdhsa_next_free_sgpr 0
		.amdhsa_accum_offset 4
		.amdhsa_reserve_vcc 0
		.amdhsa_reserve_flat_scratch 0
		.amdhsa_float_round_mode_32 0
		.amdhsa_float_round_mode_16_64 0
		.amdhsa_float_denorm_mode_32 3
		.amdhsa_float_denorm_mode_16_64 3
		.amdhsa_dx10_clamp 1
		.amdhsa_ieee_mode 1
		.amdhsa_fp16_overflow 0
		.amdhsa_tg_split 0
		.amdhsa_exception_fp_ieee_invalid_op 0
		.amdhsa_exception_fp_denorm_src 0
		.amdhsa_exception_fp_ieee_div_zero 0
		.amdhsa_exception_fp_ieee_overflow 0
		.amdhsa_exception_fp_ieee_underflow 0
		.amdhsa_exception_fp_ieee_inexact 0
		.amdhsa_exception_int_div_zero 0
	.end_amdhsa_kernel
	.section	.text._ZN7rocprim17ROCPRIM_400000_NS6detail17trampoline_kernelINS0_14default_configENS1_25partition_config_selectorILNS1_17partition_subalgoE8ElNS0_10empty_typeEbEEZZNS1_14partition_implILS5_8ELb0ES3_jPlPS6_PKS6_NS0_5tupleIJS9_S6_EEENSD_IJSA_SA_EEENS0_18inequality_wrapperIZN2at6native12_GLOBAL__N_124unique_dim_cuda_templateIhEESt5tupleIJNSH_6TensorESM_SM_EERKSM_lbbbEUlllE0_EEPmJS6_EEE10hipError_tPvRmT3_T4_T5_T6_T7_T9_mT8_P12ihipStream_tbDpT10_ENKUlT_T0_E_clISt17integral_constantIbLb0EES1B_IbLb1EEEEDaS17_S18_EUlS17_E_NS1_11comp_targetILNS1_3genE8ELNS1_11target_archE1030ELNS1_3gpuE2ELNS1_3repE0EEENS1_30default_config_static_selectorELNS0_4arch9wavefront6targetE1EEEvT1_,"axG",@progbits,_ZN7rocprim17ROCPRIM_400000_NS6detail17trampoline_kernelINS0_14default_configENS1_25partition_config_selectorILNS1_17partition_subalgoE8ElNS0_10empty_typeEbEEZZNS1_14partition_implILS5_8ELb0ES3_jPlPS6_PKS6_NS0_5tupleIJS9_S6_EEENSD_IJSA_SA_EEENS0_18inequality_wrapperIZN2at6native12_GLOBAL__N_124unique_dim_cuda_templateIhEESt5tupleIJNSH_6TensorESM_SM_EERKSM_lbbbEUlllE0_EEPmJS6_EEE10hipError_tPvRmT3_T4_T5_T6_T7_T9_mT8_P12ihipStream_tbDpT10_ENKUlT_T0_E_clISt17integral_constantIbLb0EES1B_IbLb1EEEEDaS17_S18_EUlS17_E_NS1_11comp_targetILNS1_3genE8ELNS1_11target_archE1030ELNS1_3gpuE2ELNS1_3repE0EEENS1_30default_config_static_selectorELNS0_4arch9wavefront6targetE1EEEvT1_,comdat
.Lfunc_end203:
	.size	_ZN7rocprim17ROCPRIM_400000_NS6detail17trampoline_kernelINS0_14default_configENS1_25partition_config_selectorILNS1_17partition_subalgoE8ElNS0_10empty_typeEbEEZZNS1_14partition_implILS5_8ELb0ES3_jPlPS6_PKS6_NS0_5tupleIJS9_S6_EEENSD_IJSA_SA_EEENS0_18inequality_wrapperIZN2at6native12_GLOBAL__N_124unique_dim_cuda_templateIhEESt5tupleIJNSH_6TensorESM_SM_EERKSM_lbbbEUlllE0_EEPmJS6_EEE10hipError_tPvRmT3_T4_T5_T6_T7_T9_mT8_P12ihipStream_tbDpT10_ENKUlT_T0_E_clISt17integral_constantIbLb0EES1B_IbLb1EEEEDaS17_S18_EUlS17_E_NS1_11comp_targetILNS1_3genE8ELNS1_11target_archE1030ELNS1_3gpuE2ELNS1_3repE0EEENS1_30default_config_static_selectorELNS0_4arch9wavefront6targetE1EEEvT1_, .Lfunc_end203-_ZN7rocprim17ROCPRIM_400000_NS6detail17trampoline_kernelINS0_14default_configENS1_25partition_config_selectorILNS1_17partition_subalgoE8ElNS0_10empty_typeEbEEZZNS1_14partition_implILS5_8ELb0ES3_jPlPS6_PKS6_NS0_5tupleIJS9_S6_EEENSD_IJSA_SA_EEENS0_18inequality_wrapperIZN2at6native12_GLOBAL__N_124unique_dim_cuda_templateIhEESt5tupleIJNSH_6TensorESM_SM_EERKSM_lbbbEUlllE0_EEPmJS6_EEE10hipError_tPvRmT3_T4_T5_T6_T7_T9_mT8_P12ihipStream_tbDpT10_ENKUlT_T0_E_clISt17integral_constantIbLb0EES1B_IbLb1EEEEDaS17_S18_EUlS17_E_NS1_11comp_targetILNS1_3genE8ELNS1_11target_archE1030ELNS1_3gpuE2ELNS1_3repE0EEENS1_30default_config_static_selectorELNS0_4arch9wavefront6targetE1EEEvT1_
                                        ; -- End function
	.section	.AMDGPU.csdata,"",@progbits
; Kernel info:
; codeLenInByte = 0
; NumSgprs: 4
; NumVgprs: 0
; NumAgprs: 0
; TotalNumVgprs: 0
; ScratchSize: 0
; MemoryBound: 0
; FloatMode: 240
; IeeeMode: 1
; LDSByteSize: 0 bytes/workgroup (compile time only)
; SGPRBlocks: 0
; VGPRBlocks: 0
; NumSGPRsForWavesPerEU: 4
; NumVGPRsForWavesPerEU: 1
; AccumOffset: 4
; Occupancy: 8
; WaveLimiterHint : 0
; COMPUTE_PGM_RSRC2:SCRATCH_EN: 0
; COMPUTE_PGM_RSRC2:USER_SGPR: 6
; COMPUTE_PGM_RSRC2:TRAP_HANDLER: 0
; COMPUTE_PGM_RSRC2:TGID_X_EN: 1
; COMPUTE_PGM_RSRC2:TGID_Y_EN: 0
; COMPUTE_PGM_RSRC2:TGID_Z_EN: 0
; COMPUTE_PGM_RSRC2:TIDIG_COMP_CNT: 0
; COMPUTE_PGM_RSRC3_GFX90A:ACCUM_OFFSET: 0
; COMPUTE_PGM_RSRC3_GFX90A:TG_SPLIT: 0
	.section	.text._ZN7rocprim17ROCPRIM_400000_NS6detail17trampoline_kernelINS0_14default_configENS1_25partition_config_selectorILNS1_17partition_subalgoE9EllbEEZZNS1_14partition_implILS5_9ELb0ES3_jPlS8_PNS0_10empty_typeENS0_5tupleIJS8_S9_EEENSB_IJS8_SA_EEENS0_18inequality_wrapperIZN2at6native12_GLOBAL__N_124unique_dim_cuda_templateIhEESt5tupleIJNSF_6TensorESK_SK_EERKSK_lbbbEUlllE0_EEPmJS9_EEE10hipError_tPvRmT3_T4_T5_T6_T7_T9_mT8_P12ihipStream_tbDpT10_ENKUlT_T0_E_clISt17integral_constantIbLb0EES1A_EEDaS15_S16_EUlS15_E_NS1_11comp_targetILNS1_3genE0ELNS1_11target_archE4294967295ELNS1_3gpuE0ELNS1_3repE0EEENS1_30default_config_static_selectorELNS0_4arch9wavefront6targetE1EEEvT1_,"axG",@progbits,_ZN7rocprim17ROCPRIM_400000_NS6detail17trampoline_kernelINS0_14default_configENS1_25partition_config_selectorILNS1_17partition_subalgoE9EllbEEZZNS1_14partition_implILS5_9ELb0ES3_jPlS8_PNS0_10empty_typeENS0_5tupleIJS8_S9_EEENSB_IJS8_SA_EEENS0_18inequality_wrapperIZN2at6native12_GLOBAL__N_124unique_dim_cuda_templateIhEESt5tupleIJNSF_6TensorESK_SK_EERKSK_lbbbEUlllE0_EEPmJS9_EEE10hipError_tPvRmT3_T4_T5_T6_T7_T9_mT8_P12ihipStream_tbDpT10_ENKUlT_T0_E_clISt17integral_constantIbLb0EES1A_EEDaS15_S16_EUlS15_E_NS1_11comp_targetILNS1_3genE0ELNS1_11target_archE4294967295ELNS1_3gpuE0ELNS1_3repE0EEENS1_30default_config_static_selectorELNS0_4arch9wavefront6targetE1EEEvT1_,comdat
	.globl	_ZN7rocprim17ROCPRIM_400000_NS6detail17trampoline_kernelINS0_14default_configENS1_25partition_config_selectorILNS1_17partition_subalgoE9EllbEEZZNS1_14partition_implILS5_9ELb0ES3_jPlS8_PNS0_10empty_typeENS0_5tupleIJS8_S9_EEENSB_IJS8_SA_EEENS0_18inequality_wrapperIZN2at6native12_GLOBAL__N_124unique_dim_cuda_templateIhEESt5tupleIJNSF_6TensorESK_SK_EERKSK_lbbbEUlllE0_EEPmJS9_EEE10hipError_tPvRmT3_T4_T5_T6_T7_T9_mT8_P12ihipStream_tbDpT10_ENKUlT_T0_E_clISt17integral_constantIbLb0EES1A_EEDaS15_S16_EUlS15_E_NS1_11comp_targetILNS1_3genE0ELNS1_11target_archE4294967295ELNS1_3gpuE0ELNS1_3repE0EEENS1_30default_config_static_selectorELNS0_4arch9wavefront6targetE1EEEvT1_ ; -- Begin function _ZN7rocprim17ROCPRIM_400000_NS6detail17trampoline_kernelINS0_14default_configENS1_25partition_config_selectorILNS1_17partition_subalgoE9EllbEEZZNS1_14partition_implILS5_9ELb0ES3_jPlS8_PNS0_10empty_typeENS0_5tupleIJS8_S9_EEENSB_IJS8_SA_EEENS0_18inequality_wrapperIZN2at6native12_GLOBAL__N_124unique_dim_cuda_templateIhEESt5tupleIJNSF_6TensorESK_SK_EERKSK_lbbbEUlllE0_EEPmJS9_EEE10hipError_tPvRmT3_T4_T5_T6_T7_T9_mT8_P12ihipStream_tbDpT10_ENKUlT_T0_E_clISt17integral_constantIbLb0EES1A_EEDaS15_S16_EUlS15_E_NS1_11comp_targetILNS1_3genE0ELNS1_11target_archE4294967295ELNS1_3gpuE0ELNS1_3repE0EEENS1_30default_config_static_selectorELNS0_4arch9wavefront6targetE1EEEvT1_
	.p2align	8
	.type	_ZN7rocprim17ROCPRIM_400000_NS6detail17trampoline_kernelINS0_14default_configENS1_25partition_config_selectorILNS1_17partition_subalgoE9EllbEEZZNS1_14partition_implILS5_9ELb0ES3_jPlS8_PNS0_10empty_typeENS0_5tupleIJS8_S9_EEENSB_IJS8_SA_EEENS0_18inequality_wrapperIZN2at6native12_GLOBAL__N_124unique_dim_cuda_templateIhEESt5tupleIJNSF_6TensorESK_SK_EERKSK_lbbbEUlllE0_EEPmJS9_EEE10hipError_tPvRmT3_T4_T5_T6_T7_T9_mT8_P12ihipStream_tbDpT10_ENKUlT_T0_E_clISt17integral_constantIbLb0EES1A_EEDaS15_S16_EUlS15_E_NS1_11comp_targetILNS1_3genE0ELNS1_11target_archE4294967295ELNS1_3gpuE0ELNS1_3repE0EEENS1_30default_config_static_selectorELNS0_4arch9wavefront6targetE1EEEvT1_,@function
_ZN7rocprim17ROCPRIM_400000_NS6detail17trampoline_kernelINS0_14default_configENS1_25partition_config_selectorILNS1_17partition_subalgoE9EllbEEZZNS1_14partition_implILS5_9ELb0ES3_jPlS8_PNS0_10empty_typeENS0_5tupleIJS8_S9_EEENSB_IJS8_SA_EEENS0_18inequality_wrapperIZN2at6native12_GLOBAL__N_124unique_dim_cuda_templateIhEESt5tupleIJNSF_6TensorESK_SK_EERKSK_lbbbEUlllE0_EEPmJS9_EEE10hipError_tPvRmT3_T4_T5_T6_T7_T9_mT8_P12ihipStream_tbDpT10_ENKUlT_T0_E_clISt17integral_constantIbLb0EES1A_EEDaS15_S16_EUlS15_E_NS1_11comp_targetILNS1_3genE0ELNS1_11target_archE4294967295ELNS1_3gpuE0ELNS1_3repE0EEENS1_30default_config_static_selectorELNS0_4arch9wavefront6targetE1EEEvT1_: ; @_ZN7rocprim17ROCPRIM_400000_NS6detail17trampoline_kernelINS0_14default_configENS1_25partition_config_selectorILNS1_17partition_subalgoE9EllbEEZZNS1_14partition_implILS5_9ELb0ES3_jPlS8_PNS0_10empty_typeENS0_5tupleIJS8_S9_EEENSB_IJS8_SA_EEENS0_18inequality_wrapperIZN2at6native12_GLOBAL__N_124unique_dim_cuda_templateIhEESt5tupleIJNSF_6TensorESK_SK_EERKSK_lbbbEUlllE0_EEPmJS9_EEE10hipError_tPvRmT3_T4_T5_T6_T7_T9_mT8_P12ihipStream_tbDpT10_ENKUlT_T0_E_clISt17integral_constantIbLb0EES1A_EEDaS15_S16_EUlS15_E_NS1_11comp_targetILNS1_3genE0ELNS1_11target_archE4294967295ELNS1_3gpuE0ELNS1_3repE0EEENS1_30default_config_static_selectorELNS0_4arch9wavefront6targetE1EEEvT1_
; %bb.0:
	.section	.rodata,"a",@progbits
	.p2align	6, 0x0
	.amdhsa_kernel _ZN7rocprim17ROCPRIM_400000_NS6detail17trampoline_kernelINS0_14default_configENS1_25partition_config_selectorILNS1_17partition_subalgoE9EllbEEZZNS1_14partition_implILS5_9ELb0ES3_jPlS8_PNS0_10empty_typeENS0_5tupleIJS8_S9_EEENSB_IJS8_SA_EEENS0_18inequality_wrapperIZN2at6native12_GLOBAL__N_124unique_dim_cuda_templateIhEESt5tupleIJNSF_6TensorESK_SK_EERKSK_lbbbEUlllE0_EEPmJS9_EEE10hipError_tPvRmT3_T4_T5_T6_T7_T9_mT8_P12ihipStream_tbDpT10_ENKUlT_T0_E_clISt17integral_constantIbLb0EES1A_EEDaS15_S16_EUlS15_E_NS1_11comp_targetILNS1_3genE0ELNS1_11target_archE4294967295ELNS1_3gpuE0ELNS1_3repE0EEENS1_30default_config_static_selectorELNS0_4arch9wavefront6targetE1EEEvT1_
		.amdhsa_group_segment_fixed_size 0
		.amdhsa_private_segment_fixed_size 0
		.amdhsa_kernarg_size 120
		.amdhsa_user_sgpr_count 6
		.amdhsa_user_sgpr_private_segment_buffer 1
		.amdhsa_user_sgpr_dispatch_ptr 0
		.amdhsa_user_sgpr_queue_ptr 0
		.amdhsa_user_sgpr_kernarg_segment_ptr 1
		.amdhsa_user_sgpr_dispatch_id 0
		.amdhsa_user_sgpr_flat_scratch_init 0
		.amdhsa_user_sgpr_kernarg_preload_length 0
		.amdhsa_user_sgpr_kernarg_preload_offset 0
		.amdhsa_user_sgpr_private_segment_size 0
		.amdhsa_uses_dynamic_stack 0
		.amdhsa_system_sgpr_private_segment_wavefront_offset 0
		.amdhsa_system_sgpr_workgroup_id_x 1
		.amdhsa_system_sgpr_workgroup_id_y 0
		.amdhsa_system_sgpr_workgroup_id_z 0
		.amdhsa_system_sgpr_workgroup_info 0
		.amdhsa_system_vgpr_workitem_id 0
		.amdhsa_next_free_vgpr 1
		.amdhsa_next_free_sgpr 0
		.amdhsa_accum_offset 4
		.amdhsa_reserve_vcc 0
		.amdhsa_reserve_flat_scratch 0
		.amdhsa_float_round_mode_32 0
		.amdhsa_float_round_mode_16_64 0
		.amdhsa_float_denorm_mode_32 3
		.amdhsa_float_denorm_mode_16_64 3
		.amdhsa_dx10_clamp 1
		.amdhsa_ieee_mode 1
		.amdhsa_fp16_overflow 0
		.amdhsa_tg_split 0
		.amdhsa_exception_fp_ieee_invalid_op 0
		.amdhsa_exception_fp_denorm_src 0
		.amdhsa_exception_fp_ieee_div_zero 0
		.amdhsa_exception_fp_ieee_overflow 0
		.amdhsa_exception_fp_ieee_underflow 0
		.amdhsa_exception_fp_ieee_inexact 0
		.amdhsa_exception_int_div_zero 0
	.end_amdhsa_kernel
	.section	.text._ZN7rocprim17ROCPRIM_400000_NS6detail17trampoline_kernelINS0_14default_configENS1_25partition_config_selectorILNS1_17partition_subalgoE9EllbEEZZNS1_14partition_implILS5_9ELb0ES3_jPlS8_PNS0_10empty_typeENS0_5tupleIJS8_S9_EEENSB_IJS8_SA_EEENS0_18inequality_wrapperIZN2at6native12_GLOBAL__N_124unique_dim_cuda_templateIhEESt5tupleIJNSF_6TensorESK_SK_EERKSK_lbbbEUlllE0_EEPmJS9_EEE10hipError_tPvRmT3_T4_T5_T6_T7_T9_mT8_P12ihipStream_tbDpT10_ENKUlT_T0_E_clISt17integral_constantIbLb0EES1A_EEDaS15_S16_EUlS15_E_NS1_11comp_targetILNS1_3genE0ELNS1_11target_archE4294967295ELNS1_3gpuE0ELNS1_3repE0EEENS1_30default_config_static_selectorELNS0_4arch9wavefront6targetE1EEEvT1_,"axG",@progbits,_ZN7rocprim17ROCPRIM_400000_NS6detail17trampoline_kernelINS0_14default_configENS1_25partition_config_selectorILNS1_17partition_subalgoE9EllbEEZZNS1_14partition_implILS5_9ELb0ES3_jPlS8_PNS0_10empty_typeENS0_5tupleIJS8_S9_EEENSB_IJS8_SA_EEENS0_18inequality_wrapperIZN2at6native12_GLOBAL__N_124unique_dim_cuda_templateIhEESt5tupleIJNSF_6TensorESK_SK_EERKSK_lbbbEUlllE0_EEPmJS9_EEE10hipError_tPvRmT3_T4_T5_T6_T7_T9_mT8_P12ihipStream_tbDpT10_ENKUlT_T0_E_clISt17integral_constantIbLb0EES1A_EEDaS15_S16_EUlS15_E_NS1_11comp_targetILNS1_3genE0ELNS1_11target_archE4294967295ELNS1_3gpuE0ELNS1_3repE0EEENS1_30default_config_static_selectorELNS0_4arch9wavefront6targetE1EEEvT1_,comdat
.Lfunc_end204:
	.size	_ZN7rocprim17ROCPRIM_400000_NS6detail17trampoline_kernelINS0_14default_configENS1_25partition_config_selectorILNS1_17partition_subalgoE9EllbEEZZNS1_14partition_implILS5_9ELb0ES3_jPlS8_PNS0_10empty_typeENS0_5tupleIJS8_S9_EEENSB_IJS8_SA_EEENS0_18inequality_wrapperIZN2at6native12_GLOBAL__N_124unique_dim_cuda_templateIhEESt5tupleIJNSF_6TensorESK_SK_EERKSK_lbbbEUlllE0_EEPmJS9_EEE10hipError_tPvRmT3_T4_T5_T6_T7_T9_mT8_P12ihipStream_tbDpT10_ENKUlT_T0_E_clISt17integral_constantIbLb0EES1A_EEDaS15_S16_EUlS15_E_NS1_11comp_targetILNS1_3genE0ELNS1_11target_archE4294967295ELNS1_3gpuE0ELNS1_3repE0EEENS1_30default_config_static_selectorELNS0_4arch9wavefront6targetE1EEEvT1_, .Lfunc_end204-_ZN7rocprim17ROCPRIM_400000_NS6detail17trampoline_kernelINS0_14default_configENS1_25partition_config_selectorILNS1_17partition_subalgoE9EllbEEZZNS1_14partition_implILS5_9ELb0ES3_jPlS8_PNS0_10empty_typeENS0_5tupleIJS8_S9_EEENSB_IJS8_SA_EEENS0_18inequality_wrapperIZN2at6native12_GLOBAL__N_124unique_dim_cuda_templateIhEESt5tupleIJNSF_6TensorESK_SK_EERKSK_lbbbEUlllE0_EEPmJS9_EEE10hipError_tPvRmT3_T4_T5_T6_T7_T9_mT8_P12ihipStream_tbDpT10_ENKUlT_T0_E_clISt17integral_constantIbLb0EES1A_EEDaS15_S16_EUlS15_E_NS1_11comp_targetILNS1_3genE0ELNS1_11target_archE4294967295ELNS1_3gpuE0ELNS1_3repE0EEENS1_30default_config_static_selectorELNS0_4arch9wavefront6targetE1EEEvT1_
                                        ; -- End function
	.section	.AMDGPU.csdata,"",@progbits
; Kernel info:
; codeLenInByte = 0
; NumSgprs: 4
; NumVgprs: 0
; NumAgprs: 0
; TotalNumVgprs: 0
; ScratchSize: 0
; MemoryBound: 0
; FloatMode: 240
; IeeeMode: 1
; LDSByteSize: 0 bytes/workgroup (compile time only)
; SGPRBlocks: 0
; VGPRBlocks: 0
; NumSGPRsForWavesPerEU: 4
; NumVGPRsForWavesPerEU: 1
; AccumOffset: 4
; Occupancy: 8
; WaveLimiterHint : 0
; COMPUTE_PGM_RSRC2:SCRATCH_EN: 0
; COMPUTE_PGM_RSRC2:USER_SGPR: 6
; COMPUTE_PGM_RSRC2:TRAP_HANDLER: 0
; COMPUTE_PGM_RSRC2:TGID_X_EN: 1
; COMPUTE_PGM_RSRC2:TGID_Y_EN: 0
; COMPUTE_PGM_RSRC2:TGID_Z_EN: 0
; COMPUTE_PGM_RSRC2:TIDIG_COMP_CNT: 0
; COMPUTE_PGM_RSRC3_GFX90A:ACCUM_OFFSET: 0
; COMPUTE_PGM_RSRC3_GFX90A:TG_SPLIT: 0
	.section	.text._ZN7rocprim17ROCPRIM_400000_NS6detail17trampoline_kernelINS0_14default_configENS1_25partition_config_selectorILNS1_17partition_subalgoE9EllbEEZZNS1_14partition_implILS5_9ELb0ES3_jPlS8_PNS0_10empty_typeENS0_5tupleIJS8_S9_EEENSB_IJS8_SA_EEENS0_18inequality_wrapperIZN2at6native12_GLOBAL__N_124unique_dim_cuda_templateIhEESt5tupleIJNSF_6TensorESK_SK_EERKSK_lbbbEUlllE0_EEPmJS9_EEE10hipError_tPvRmT3_T4_T5_T6_T7_T9_mT8_P12ihipStream_tbDpT10_ENKUlT_T0_E_clISt17integral_constantIbLb0EES1A_EEDaS15_S16_EUlS15_E_NS1_11comp_targetILNS1_3genE5ELNS1_11target_archE942ELNS1_3gpuE9ELNS1_3repE0EEENS1_30default_config_static_selectorELNS0_4arch9wavefront6targetE1EEEvT1_,"axG",@progbits,_ZN7rocprim17ROCPRIM_400000_NS6detail17trampoline_kernelINS0_14default_configENS1_25partition_config_selectorILNS1_17partition_subalgoE9EllbEEZZNS1_14partition_implILS5_9ELb0ES3_jPlS8_PNS0_10empty_typeENS0_5tupleIJS8_S9_EEENSB_IJS8_SA_EEENS0_18inequality_wrapperIZN2at6native12_GLOBAL__N_124unique_dim_cuda_templateIhEESt5tupleIJNSF_6TensorESK_SK_EERKSK_lbbbEUlllE0_EEPmJS9_EEE10hipError_tPvRmT3_T4_T5_T6_T7_T9_mT8_P12ihipStream_tbDpT10_ENKUlT_T0_E_clISt17integral_constantIbLb0EES1A_EEDaS15_S16_EUlS15_E_NS1_11comp_targetILNS1_3genE5ELNS1_11target_archE942ELNS1_3gpuE9ELNS1_3repE0EEENS1_30default_config_static_selectorELNS0_4arch9wavefront6targetE1EEEvT1_,comdat
	.globl	_ZN7rocprim17ROCPRIM_400000_NS6detail17trampoline_kernelINS0_14default_configENS1_25partition_config_selectorILNS1_17partition_subalgoE9EllbEEZZNS1_14partition_implILS5_9ELb0ES3_jPlS8_PNS0_10empty_typeENS0_5tupleIJS8_S9_EEENSB_IJS8_SA_EEENS0_18inequality_wrapperIZN2at6native12_GLOBAL__N_124unique_dim_cuda_templateIhEESt5tupleIJNSF_6TensorESK_SK_EERKSK_lbbbEUlllE0_EEPmJS9_EEE10hipError_tPvRmT3_T4_T5_T6_T7_T9_mT8_P12ihipStream_tbDpT10_ENKUlT_T0_E_clISt17integral_constantIbLb0EES1A_EEDaS15_S16_EUlS15_E_NS1_11comp_targetILNS1_3genE5ELNS1_11target_archE942ELNS1_3gpuE9ELNS1_3repE0EEENS1_30default_config_static_selectorELNS0_4arch9wavefront6targetE1EEEvT1_ ; -- Begin function _ZN7rocprim17ROCPRIM_400000_NS6detail17trampoline_kernelINS0_14default_configENS1_25partition_config_selectorILNS1_17partition_subalgoE9EllbEEZZNS1_14partition_implILS5_9ELb0ES3_jPlS8_PNS0_10empty_typeENS0_5tupleIJS8_S9_EEENSB_IJS8_SA_EEENS0_18inequality_wrapperIZN2at6native12_GLOBAL__N_124unique_dim_cuda_templateIhEESt5tupleIJNSF_6TensorESK_SK_EERKSK_lbbbEUlllE0_EEPmJS9_EEE10hipError_tPvRmT3_T4_T5_T6_T7_T9_mT8_P12ihipStream_tbDpT10_ENKUlT_T0_E_clISt17integral_constantIbLb0EES1A_EEDaS15_S16_EUlS15_E_NS1_11comp_targetILNS1_3genE5ELNS1_11target_archE942ELNS1_3gpuE9ELNS1_3repE0EEENS1_30default_config_static_selectorELNS0_4arch9wavefront6targetE1EEEvT1_
	.p2align	8
	.type	_ZN7rocprim17ROCPRIM_400000_NS6detail17trampoline_kernelINS0_14default_configENS1_25partition_config_selectorILNS1_17partition_subalgoE9EllbEEZZNS1_14partition_implILS5_9ELb0ES3_jPlS8_PNS0_10empty_typeENS0_5tupleIJS8_S9_EEENSB_IJS8_SA_EEENS0_18inequality_wrapperIZN2at6native12_GLOBAL__N_124unique_dim_cuda_templateIhEESt5tupleIJNSF_6TensorESK_SK_EERKSK_lbbbEUlllE0_EEPmJS9_EEE10hipError_tPvRmT3_T4_T5_T6_T7_T9_mT8_P12ihipStream_tbDpT10_ENKUlT_T0_E_clISt17integral_constantIbLb0EES1A_EEDaS15_S16_EUlS15_E_NS1_11comp_targetILNS1_3genE5ELNS1_11target_archE942ELNS1_3gpuE9ELNS1_3repE0EEENS1_30default_config_static_selectorELNS0_4arch9wavefront6targetE1EEEvT1_,@function
_ZN7rocprim17ROCPRIM_400000_NS6detail17trampoline_kernelINS0_14default_configENS1_25partition_config_selectorILNS1_17partition_subalgoE9EllbEEZZNS1_14partition_implILS5_9ELb0ES3_jPlS8_PNS0_10empty_typeENS0_5tupleIJS8_S9_EEENSB_IJS8_SA_EEENS0_18inequality_wrapperIZN2at6native12_GLOBAL__N_124unique_dim_cuda_templateIhEESt5tupleIJNSF_6TensorESK_SK_EERKSK_lbbbEUlllE0_EEPmJS9_EEE10hipError_tPvRmT3_T4_T5_T6_T7_T9_mT8_P12ihipStream_tbDpT10_ENKUlT_T0_E_clISt17integral_constantIbLb0EES1A_EEDaS15_S16_EUlS15_E_NS1_11comp_targetILNS1_3genE5ELNS1_11target_archE942ELNS1_3gpuE9ELNS1_3repE0EEENS1_30default_config_static_selectorELNS0_4arch9wavefront6targetE1EEEvT1_: ; @_ZN7rocprim17ROCPRIM_400000_NS6detail17trampoline_kernelINS0_14default_configENS1_25partition_config_selectorILNS1_17partition_subalgoE9EllbEEZZNS1_14partition_implILS5_9ELb0ES3_jPlS8_PNS0_10empty_typeENS0_5tupleIJS8_S9_EEENSB_IJS8_SA_EEENS0_18inequality_wrapperIZN2at6native12_GLOBAL__N_124unique_dim_cuda_templateIhEESt5tupleIJNSF_6TensorESK_SK_EERKSK_lbbbEUlllE0_EEPmJS9_EEE10hipError_tPvRmT3_T4_T5_T6_T7_T9_mT8_P12ihipStream_tbDpT10_ENKUlT_T0_E_clISt17integral_constantIbLb0EES1A_EEDaS15_S16_EUlS15_E_NS1_11comp_targetILNS1_3genE5ELNS1_11target_archE942ELNS1_3gpuE9ELNS1_3repE0EEENS1_30default_config_static_selectorELNS0_4arch9wavefront6targetE1EEEvT1_
; %bb.0:
	.section	.rodata,"a",@progbits
	.p2align	6, 0x0
	.amdhsa_kernel _ZN7rocprim17ROCPRIM_400000_NS6detail17trampoline_kernelINS0_14default_configENS1_25partition_config_selectorILNS1_17partition_subalgoE9EllbEEZZNS1_14partition_implILS5_9ELb0ES3_jPlS8_PNS0_10empty_typeENS0_5tupleIJS8_S9_EEENSB_IJS8_SA_EEENS0_18inequality_wrapperIZN2at6native12_GLOBAL__N_124unique_dim_cuda_templateIhEESt5tupleIJNSF_6TensorESK_SK_EERKSK_lbbbEUlllE0_EEPmJS9_EEE10hipError_tPvRmT3_T4_T5_T6_T7_T9_mT8_P12ihipStream_tbDpT10_ENKUlT_T0_E_clISt17integral_constantIbLb0EES1A_EEDaS15_S16_EUlS15_E_NS1_11comp_targetILNS1_3genE5ELNS1_11target_archE942ELNS1_3gpuE9ELNS1_3repE0EEENS1_30default_config_static_selectorELNS0_4arch9wavefront6targetE1EEEvT1_
		.amdhsa_group_segment_fixed_size 0
		.amdhsa_private_segment_fixed_size 0
		.amdhsa_kernarg_size 120
		.amdhsa_user_sgpr_count 6
		.amdhsa_user_sgpr_private_segment_buffer 1
		.amdhsa_user_sgpr_dispatch_ptr 0
		.amdhsa_user_sgpr_queue_ptr 0
		.amdhsa_user_sgpr_kernarg_segment_ptr 1
		.amdhsa_user_sgpr_dispatch_id 0
		.amdhsa_user_sgpr_flat_scratch_init 0
		.amdhsa_user_sgpr_kernarg_preload_length 0
		.amdhsa_user_sgpr_kernarg_preload_offset 0
		.amdhsa_user_sgpr_private_segment_size 0
		.amdhsa_uses_dynamic_stack 0
		.amdhsa_system_sgpr_private_segment_wavefront_offset 0
		.amdhsa_system_sgpr_workgroup_id_x 1
		.amdhsa_system_sgpr_workgroup_id_y 0
		.amdhsa_system_sgpr_workgroup_id_z 0
		.amdhsa_system_sgpr_workgroup_info 0
		.amdhsa_system_vgpr_workitem_id 0
		.amdhsa_next_free_vgpr 1
		.amdhsa_next_free_sgpr 0
		.amdhsa_accum_offset 4
		.amdhsa_reserve_vcc 0
		.amdhsa_reserve_flat_scratch 0
		.amdhsa_float_round_mode_32 0
		.amdhsa_float_round_mode_16_64 0
		.amdhsa_float_denorm_mode_32 3
		.amdhsa_float_denorm_mode_16_64 3
		.amdhsa_dx10_clamp 1
		.amdhsa_ieee_mode 1
		.amdhsa_fp16_overflow 0
		.amdhsa_tg_split 0
		.amdhsa_exception_fp_ieee_invalid_op 0
		.amdhsa_exception_fp_denorm_src 0
		.amdhsa_exception_fp_ieee_div_zero 0
		.amdhsa_exception_fp_ieee_overflow 0
		.amdhsa_exception_fp_ieee_underflow 0
		.amdhsa_exception_fp_ieee_inexact 0
		.amdhsa_exception_int_div_zero 0
	.end_amdhsa_kernel
	.section	.text._ZN7rocprim17ROCPRIM_400000_NS6detail17trampoline_kernelINS0_14default_configENS1_25partition_config_selectorILNS1_17partition_subalgoE9EllbEEZZNS1_14partition_implILS5_9ELb0ES3_jPlS8_PNS0_10empty_typeENS0_5tupleIJS8_S9_EEENSB_IJS8_SA_EEENS0_18inequality_wrapperIZN2at6native12_GLOBAL__N_124unique_dim_cuda_templateIhEESt5tupleIJNSF_6TensorESK_SK_EERKSK_lbbbEUlllE0_EEPmJS9_EEE10hipError_tPvRmT3_T4_T5_T6_T7_T9_mT8_P12ihipStream_tbDpT10_ENKUlT_T0_E_clISt17integral_constantIbLb0EES1A_EEDaS15_S16_EUlS15_E_NS1_11comp_targetILNS1_3genE5ELNS1_11target_archE942ELNS1_3gpuE9ELNS1_3repE0EEENS1_30default_config_static_selectorELNS0_4arch9wavefront6targetE1EEEvT1_,"axG",@progbits,_ZN7rocprim17ROCPRIM_400000_NS6detail17trampoline_kernelINS0_14default_configENS1_25partition_config_selectorILNS1_17partition_subalgoE9EllbEEZZNS1_14partition_implILS5_9ELb0ES3_jPlS8_PNS0_10empty_typeENS0_5tupleIJS8_S9_EEENSB_IJS8_SA_EEENS0_18inequality_wrapperIZN2at6native12_GLOBAL__N_124unique_dim_cuda_templateIhEESt5tupleIJNSF_6TensorESK_SK_EERKSK_lbbbEUlllE0_EEPmJS9_EEE10hipError_tPvRmT3_T4_T5_T6_T7_T9_mT8_P12ihipStream_tbDpT10_ENKUlT_T0_E_clISt17integral_constantIbLb0EES1A_EEDaS15_S16_EUlS15_E_NS1_11comp_targetILNS1_3genE5ELNS1_11target_archE942ELNS1_3gpuE9ELNS1_3repE0EEENS1_30default_config_static_selectorELNS0_4arch9wavefront6targetE1EEEvT1_,comdat
.Lfunc_end205:
	.size	_ZN7rocprim17ROCPRIM_400000_NS6detail17trampoline_kernelINS0_14default_configENS1_25partition_config_selectorILNS1_17partition_subalgoE9EllbEEZZNS1_14partition_implILS5_9ELb0ES3_jPlS8_PNS0_10empty_typeENS0_5tupleIJS8_S9_EEENSB_IJS8_SA_EEENS0_18inequality_wrapperIZN2at6native12_GLOBAL__N_124unique_dim_cuda_templateIhEESt5tupleIJNSF_6TensorESK_SK_EERKSK_lbbbEUlllE0_EEPmJS9_EEE10hipError_tPvRmT3_T4_T5_T6_T7_T9_mT8_P12ihipStream_tbDpT10_ENKUlT_T0_E_clISt17integral_constantIbLb0EES1A_EEDaS15_S16_EUlS15_E_NS1_11comp_targetILNS1_3genE5ELNS1_11target_archE942ELNS1_3gpuE9ELNS1_3repE0EEENS1_30default_config_static_selectorELNS0_4arch9wavefront6targetE1EEEvT1_, .Lfunc_end205-_ZN7rocprim17ROCPRIM_400000_NS6detail17trampoline_kernelINS0_14default_configENS1_25partition_config_selectorILNS1_17partition_subalgoE9EllbEEZZNS1_14partition_implILS5_9ELb0ES3_jPlS8_PNS0_10empty_typeENS0_5tupleIJS8_S9_EEENSB_IJS8_SA_EEENS0_18inequality_wrapperIZN2at6native12_GLOBAL__N_124unique_dim_cuda_templateIhEESt5tupleIJNSF_6TensorESK_SK_EERKSK_lbbbEUlllE0_EEPmJS9_EEE10hipError_tPvRmT3_T4_T5_T6_T7_T9_mT8_P12ihipStream_tbDpT10_ENKUlT_T0_E_clISt17integral_constantIbLb0EES1A_EEDaS15_S16_EUlS15_E_NS1_11comp_targetILNS1_3genE5ELNS1_11target_archE942ELNS1_3gpuE9ELNS1_3repE0EEENS1_30default_config_static_selectorELNS0_4arch9wavefront6targetE1EEEvT1_
                                        ; -- End function
	.section	.AMDGPU.csdata,"",@progbits
; Kernel info:
; codeLenInByte = 0
; NumSgprs: 4
; NumVgprs: 0
; NumAgprs: 0
; TotalNumVgprs: 0
; ScratchSize: 0
; MemoryBound: 0
; FloatMode: 240
; IeeeMode: 1
; LDSByteSize: 0 bytes/workgroup (compile time only)
; SGPRBlocks: 0
; VGPRBlocks: 0
; NumSGPRsForWavesPerEU: 4
; NumVGPRsForWavesPerEU: 1
; AccumOffset: 4
; Occupancy: 8
; WaveLimiterHint : 0
; COMPUTE_PGM_RSRC2:SCRATCH_EN: 0
; COMPUTE_PGM_RSRC2:USER_SGPR: 6
; COMPUTE_PGM_RSRC2:TRAP_HANDLER: 0
; COMPUTE_PGM_RSRC2:TGID_X_EN: 1
; COMPUTE_PGM_RSRC2:TGID_Y_EN: 0
; COMPUTE_PGM_RSRC2:TGID_Z_EN: 0
; COMPUTE_PGM_RSRC2:TIDIG_COMP_CNT: 0
; COMPUTE_PGM_RSRC3_GFX90A:ACCUM_OFFSET: 0
; COMPUTE_PGM_RSRC3_GFX90A:TG_SPLIT: 0
	.section	.text._ZN7rocprim17ROCPRIM_400000_NS6detail17trampoline_kernelINS0_14default_configENS1_25partition_config_selectorILNS1_17partition_subalgoE9EllbEEZZNS1_14partition_implILS5_9ELb0ES3_jPlS8_PNS0_10empty_typeENS0_5tupleIJS8_S9_EEENSB_IJS8_SA_EEENS0_18inequality_wrapperIZN2at6native12_GLOBAL__N_124unique_dim_cuda_templateIhEESt5tupleIJNSF_6TensorESK_SK_EERKSK_lbbbEUlllE0_EEPmJS9_EEE10hipError_tPvRmT3_T4_T5_T6_T7_T9_mT8_P12ihipStream_tbDpT10_ENKUlT_T0_E_clISt17integral_constantIbLb0EES1A_EEDaS15_S16_EUlS15_E_NS1_11comp_targetILNS1_3genE4ELNS1_11target_archE910ELNS1_3gpuE8ELNS1_3repE0EEENS1_30default_config_static_selectorELNS0_4arch9wavefront6targetE1EEEvT1_,"axG",@progbits,_ZN7rocprim17ROCPRIM_400000_NS6detail17trampoline_kernelINS0_14default_configENS1_25partition_config_selectorILNS1_17partition_subalgoE9EllbEEZZNS1_14partition_implILS5_9ELb0ES3_jPlS8_PNS0_10empty_typeENS0_5tupleIJS8_S9_EEENSB_IJS8_SA_EEENS0_18inequality_wrapperIZN2at6native12_GLOBAL__N_124unique_dim_cuda_templateIhEESt5tupleIJNSF_6TensorESK_SK_EERKSK_lbbbEUlllE0_EEPmJS9_EEE10hipError_tPvRmT3_T4_T5_T6_T7_T9_mT8_P12ihipStream_tbDpT10_ENKUlT_T0_E_clISt17integral_constantIbLb0EES1A_EEDaS15_S16_EUlS15_E_NS1_11comp_targetILNS1_3genE4ELNS1_11target_archE910ELNS1_3gpuE8ELNS1_3repE0EEENS1_30default_config_static_selectorELNS0_4arch9wavefront6targetE1EEEvT1_,comdat
	.globl	_ZN7rocprim17ROCPRIM_400000_NS6detail17trampoline_kernelINS0_14default_configENS1_25partition_config_selectorILNS1_17partition_subalgoE9EllbEEZZNS1_14partition_implILS5_9ELb0ES3_jPlS8_PNS0_10empty_typeENS0_5tupleIJS8_S9_EEENSB_IJS8_SA_EEENS0_18inequality_wrapperIZN2at6native12_GLOBAL__N_124unique_dim_cuda_templateIhEESt5tupleIJNSF_6TensorESK_SK_EERKSK_lbbbEUlllE0_EEPmJS9_EEE10hipError_tPvRmT3_T4_T5_T6_T7_T9_mT8_P12ihipStream_tbDpT10_ENKUlT_T0_E_clISt17integral_constantIbLb0EES1A_EEDaS15_S16_EUlS15_E_NS1_11comp_targetILNS1_3genE4ELNS1_11target_archE910ELNS1_3gpuE8ELNS1_3repE0EEENS1_30default_config_static_selectorELNS0_4arch9wavefront6targetE1EEEvT1_ ; -- Begin function _ZN7rocprim17ROCPRIM_400000_NS6detail17trampoline_kernelINS0_14default_configENS1_25partition_config_selectorILNS1_17partition_subalgoE9EllbEEZZNS1_14partition_implILS5_9ELb0ES3_jPlS8_PNS0_10empty_typeENS0_5tupleIJS8_S9_EEENSB_IJS8_SA_EEENS0_18inequality_wrapperIZN2at6native12_GLOBAL__N_124unique_dim_cuda_templateIhEESt5tupleIJNSF_6TensorESK_SK_EERKSK_lbbbEUlllE0_EEPmJS9_EEE10hipError_tPvRmT3_T4_T5_T6_T7_T9_mT8_P12ihipStream_tbDpT10_ENKUlT_T0_E_clISt17integral_constantIbLb0EES1A_EEDaS15_S16_EUlS15_E_NS1_11comp_targetILNS1_3genE4ELNS1_11target_archE910ELNS1_3gpuE8ELNS1_3repE0EEENS1_30default_config_static_selectorELNS0_4arch9wavefront6targetE1EEEvT1_
	.p2align	8
	.type	_ZN7rocprim17ROCPRIM_400000_NS6detail17trampoline_kernelINS0_14default_configENS1_25partition_config_selectorILNS1_17partition_subalgoE9EllbEEZZNS1_14partition_implILS5_9ELb0ES3_jPlS8_PNS0_10empty_typeENS0_5tupleIJS8_S9_EEENSB_IJS8_SA_EEENS0_18inequality_wrapperIZN2at6native12_GLOBAL__N_124unique_dim_cuda_templateIhEESt5tupleIJNSF_6TensorESK_SK_EERKSK_lbbbEUlllE0_EEPmJS9_EEE10hipError_tPvRmT3_T4_T5_T6_T7_T9_mT8_P12ihipStream_tbDpT10_ENKUlT_T0_E_clISt17integral_constantIbLb0EES1A_EEDaS15_S16_EUlS15_E_NS1_11comp_targetILNS1_3genE4ELNS1_11target_archE910ELNS1_3gpuE8ELNS1_3repE0EEENS1_30default_config_static_selectorELNS0_4arch9wavefront6targetE1EEEvT1_,@function
_ZN7rocprim17ROCPRIM_400000_NS6detail17trampoline_kernelINS0_14default_configENS1_25partition_config_selectorILNS1_17partition_subalgoE9EllbEEZZNS1_14partition_implILS5_9ELb0ES3_jPlS8_PNS0_10empty_typeENS0_5tupleIJS8_S9_EEENSB_IJS8_SA_EEENS0_18inequality_wrapperIZN2at6native12_GLOBAL__N_124unique_dim_cuda_templateIhEESt5tupleIJNSF_6TensorESK_SK_EERKSK_lbbbEUlllE0_EEPmJS9_EEE10hipError_tPvRmT3_T4_T5_T6_T7_T9_mT8_P12ihipStream_tbDpT10_ENKUlT_T0_E_clISt17integral_constantIbLb0EES1A_EEDaS15_S16_EUlS15_E_NS1_11comp_targetILNS1_3genE4ELNS1_11target_archE910ELNS1_3gpuE8ELNS1_3repE0EEENS1_30default_config_static_selectorELNS0_4arch9wavefront6targetE1EEEvT1_: ; @_ZN7rocprim17ROCPRIM_400000_NS6detail17trampoline_kernelINS0_14default_configENS1_25partition_config_selectorILNS1_17partition_subalgoE9EllbEEZZNS1_14partition_implILS5_9ELb0ES3_jPlS8_PNS0_10empty_typeENS0_5tupleIJS8_S9_EEENSB_IJS8_SA_EEENS0_18inequality_wrapperIZN2at6native12_GLOBAL__N_124unique_dim_cuda_templateIhEESt5tupleIJNSF_6TensorESK_SK_EERKSK_lbbbEUlllE0_EEPmJS9_EEE10hipError_tPvRmT3_T4_T5_T6_T7_T9_mT8_P12ihipStream_tbDpT10_ENKUlT_T0_E_clISt17integral_constantIbLb0EES1A_EEDaS15_S16_EUlS15_E_NS1_11comp_targetILNS1_3genE4ELNS1_11target_archE910ELNS1_3gpuE8ELNS1_3repE0EEENS1_30default_config_static_selectorELNS0_4arch9wavefront6targetE1EEEvT1_
; %bb.0:
	s_load_dwordx8 s[20:27], s[4:5], 0x40
	s_load_dwordx4 s[0:3], s[4:5], 0x8
	s_load_dwordx2 s[10:11], s[4:5], 0x18
	s_load_dword s8, s[4:5], 0x70
	s_mov_b32 s13, 0
	s_waitcnt lgkmcnt(0)
	v_mov_b32_e32 v2, s24
	s_lshl_b64 s[14:15], s[2:3], 3
	s_add_u32 s18, s0, s14
	s_addc_u32 s19, s1, s15
	s_add_i32 s9, s8, -1
	s_lshl_b32 s0, s9, 9
	s_add_i32 s0, s2, s0
	s_lshl_b32 s12, s6, 9
	s_sub_i32 s7, s24, s0
	s_lshl_b32 s0, s8, 9
	s_add_u32 s0, s2, s0
	s_addc_u32 s1, s3, 0
	v_mov_b32_e32 v3, s25
	s_cmp_eq_u32 s6, s9
	s_load_dwordx2 s[22:23], s[22:23], 0x0
	v_cmp_ge_u64_e32 vcc, s[0:1], v[2:3]
	s_cselect_b64 s[24:25], -1, 0
	s_and_b64 s[8:9], s[24:25], vcc
	s_xor_b64 s[34:35], s[8:9], -1
	s_lshl_b64 s[16:17], s[12:13], 3
	s_add_u32 s12, s18, s16
	s_mov_b64 s[0:1], -1
	s_addc_u32 s13, s19, s17
	s_and_b64 vcc, exec, s[34:35]
	v_lshrrev_b32_e32 v18, 2, v0
	s_cbranch_vccz .LBB206_2
; %bb.1:
	v_lshlrev_b32_e32 v1, 3, v0
	global_load_dwordx2 v[2:3], v1, s[12:13]
	global_load_dwordx2 v[4:5], v1, s[12:13] offset:1024
	global_load_dwordx2 v[6:7], v1, s[12:13] offset:2048
	;; [unrolled: 1-line block ×3, first 2 shown]
	v_or_b32_e32 v11, 0x80, v0
	v_or_b32_e32 v12, 0x100, v0
	;; [unrolled: 1-line block ×3, first 2 shown]
	v_and_b32_e32 v10, 24, v18
	v_lshrrev_b32_e32 v11, 2, v11
	v_lshrrev_b32_e32 v12, 2, v12
	;; [unrolled: 1-line block ×3, first 2 shown]
	v_add_u32_e32 v10, v10, v1
	v_and_b32_e32 v11, 56, v11
	v_and_b32_e32 v12, 0x58, v12
	;; [unrolled: 1-line block ×3, first 2 shown]
	v_add_u32_e32 v11, v11, v1
	v_add_u32_e32 v12, v12, v1
	;; [unrolled: 1-line block ×3, first 2 shown]
	s_mov_b64 s[0:1], 0
	s_waitcnt vmcnt(3)
	ds_write_b64 v10, v[2:3]
	s_waitcnt vmcnt(2)
	ds_write_b64 v11, v[4:5] offset:1024
	s_waitcnt vmcnt(1)
	ds_write_b64 v12, v[6:7] offset:2048
	;; [unrolled: 2-line block ×3, first 2 shown]
	s_waitcnt lgkmcnt(0)
	s_barrier
.LBB206_2:
	s_load_dwordx4 s[28:31], s[4:5], 0x60
	s_andn2_b64 vcc, exec, s[0:1]
	v_cmp_gt_u32_e64 s[0:1], s7, v0
	s_cbranch_vccnz .LBB206_12
; %bb.3:
                                        ; implicit-def: $vgpr2_vgpr3_vgpr4_vgpr5_vgpr6_vgpr7_vgpr8_vgpr9
	s_and_saveexec_b64 s[18:19], s[0:1]
	s_cbranch_execz .LBB206_5
; %bb.4:
	v_lshlrev_b32_e32 v1, 3, v0
	global_load_dwordx2 v[2:3], v1, s[12:13]
.LBB206_5:
	s_or_b64 exec, exec, s[18:19]
	v_or_b32_e32 v1, 0x80, v0
	v_cmp_gt_u32_e32 vcc, s7, v1
	s_and_saveexec_b64 s[0:1], vcc
	s_cbranch_execz .LBB206_7
; %bb.6:
	v_lshlrev_b32_e32 v4, 3, v0
	global_load_dwordx2 v[4:5], v4, s[12:13] offset:1024
.LBB206_7:
	s_or_b64 exec, exec, s[0:1]
	v_or_b32_e32 v10, 0x100, v0
	v_cmp_gt_u32_e32 vcc, s7, v10
	s_and_saveexec_b64 s[0:1], vcc
	s_cbranch_execz .LBB206_9
; %bb.8:
	v_lshlrev_b32_e32 v6, 3, v0
	global_load_dwordx2 v[6:7], v6, s[12:13] offset:2048
.LBB206_9:
	;; [unrolled: 9-line block ×3, first 2 shown]
	s_or_b64 exec, exec, s[0:1]
	v_lshrrev_b32_e32 v1, 2, v1
	v_lshlrev_b32_e32 v13, 3, v0
	v_and_b32_e32 v1, 56, v1
	v_add_u32_e32 v1, v1, v13
	s_waitcnt vmcnt(0)
	ds_write_b64 v1, v[4:5] offset:1024
	v_lshrrev_b32_e32 v1, 2, v10
	v_and_b32_e32 v1, 0x78, v1
	v_add_u32_e32 v1, v1, v13
	ds_write_b64 v1, v[6:7] offset:2048
	v_lshrrev_b32_e32 v1, 2, v11
	v_and_b32_e32 v12, 24, v18
	v_and_b32_e32 v1, 0x78, v1
	v_add_u32_e32 v12, v12, v13
	v_add_u32_e32 v1, v1, v13
	ds_write_b64 v12, v[2:3]
	ds_write_b64 v1, v[8:9] offset:3072
	s_waitcnt lgkmcnt(0)
	s_barrier
.LBB206_12:
	v_lshlrev_b32_e32 v1, 2, v0
	v_lshrrev_b32_e32 v2, 3, v0
	v_add_lshl_u32 v19, v2, v1, 3
	s_waitcnt lgkmcnt(0)
	ds_read2_b64 v[14:17], v19 offset1:1
	ds_read2_b64 v[10:13], v19 offset0:2 offset1:3
	s_add_u32 s0, s10, s14
	s_addc_u32 s1, s11, s15
	s_add_u32 s0, s0, s16
	s_addc_u32 s1, s1, s17
	s_mov_b64 s[10:11], -1
	s_and_b64 vcc, exec, s[34:35]
	s_waitcnt lgkmcnt(0)
	s_barrier
	s_cbranch_vccz .LBB206_14
; %bb.13:
	v_lshlrev_b32_e32 v20, 3, v0
	global_load_dwordx2 v[2:3], v20, s[0:1]
	global_load_dwordx2 v[4:5], v20, s[0:1] offset:1024
	global_load_dwordx2 v[6:7], v20, s[0:1] offset:2048
	;; [unrolled: 1-line block ×3, first 2 shown]
	v_or_b32_e32 v22, 0x80, v0
	v_or_b32_e32 v23, 0x100, v0
	;; [unrolled: 1-line block ×3, first 2 shown]
	v_and_b32_e32 v21, 24, v18
	v_lshrrev_b32_e32 v22, 2, v22
	v_lshrrev_b32_e32 v23, 2, v23
	;; [unrolled: 1-line block ×3, first 2 shown]
	v_add_u32_e32 v21, v21, v20
	v_and_b32_e32 v22, 56, v22
	v_and_b32_e32 v23, 0x58, v23
	;; [unrolled: 1-line block ×3, first 2 shown]
	v_add_u32_e32 v22, v22, v20
	v_add_u32_e32 v23, v23, v20
	v_add_u32_e32 v20, v24, v20
	s_mov_b64 s[10:11], 0
	s_waitcnt vmcnt(3)
	ds_write_b64 v21, v[2:3]
	s_waitcnt vmcnt(2)
	ds_write_b64 v22, v[4:5] offset:1024
	s_waitcnt vmcnt(1)
	ds_write_b64 v23, v[6:7] offset:2048
	;; [unrolled: 2-line block ×3, first 2 shown]
	s_waitcnt lgkmcnt(0)
	s_barrier
.LBB206_14:
	s_andn2_b64 vcc, exec, s[10:11]
	s_cbranch_vccnz .LBB206_24
; %bb.15:
	v_cmp_gt_u32_e32 vcc, s7, v0
                                        ; implicit-def: $vgpr2_vgpr3
	s_and_saveexec_b64 s[10:11], vcc
	s_cbranch_execz .LBB206_17
; %bb.16:
	v_lshlrev_b32_e32 v2, 3, v0
	global_load_dwordx2 v[2:3], v2, s[0:1]
.LBB206_17:
	s_or_b64 exec, exec, s[10:11]
	v_or_b32_e32 v20, 0x80, v0
	v_cmp_gt_u32_e32 vcc, s7, v20
                                        ; implicit-def: $vgpr4_vgpr5
	s_and_saveexec_b64 s[10:11], vcc
	s_cbranch_execz .LBB206_19
; %bb.18:
	v_lshlrev_b32_e32 v4, 3, v0
	global_load_dwordx2 v[4:5], v4, s[0:1] offset:1024
.LBB206_19:
	s_or_b64 exec, exec, s[10:11]
	v_or_b32_e32 v21, 0x100, v0
	v_cmp_gt_u32_e32 vcc, s7, v21
                                        ; implicit-def: $vgpr6_vgpr7
	s_and_saveexec_b64 s[10:11], vcc
	s_cbranch_execz .LBB206_21
; %bb.20:
	v_lshlrev_b32_e32 v6, 3, v0
	global_load_dwordx2 v[6:7], v6, s[0:1] offset:2048
.LBB206_21:
	s_or_b64 exec, exec, s[10:11]
	v_or_b32_e32 v22, 0x180, v0
	v_cmp_gt_u32_e32 vcc, s7, v22
                                        ; implicit-def: $vgpr8_vgpr9
	s_and_saveexec_b64 s[10:11], vcc
	s_cbranch_execz .LBB206_23
; %bb.22:
	v_lshlrev_b32_e32 v8, 3, v0
	global_load_dwordx2 v[8:9], v8, s[0:1] offset:3072
.LBB206_23:
	s_or_b64 exec, exec, s[10:11]
	v_and_b32_e32 v18, 24, v18
	v_lshlrev_b32_e32 v23, 3, v0
	v_add_u32_e32 v18, v18, v23
	s_waitcnt vmcnt(0)
	ds_write_b64 v18, v[2:3]
	v_lshrrev_b32_e32 v2, 2, v20
	v_and_b32_e32 v2, 56, v2
	v_add_u32_e32 v2, v2, v23
	ds_write_b64 v2, v[4:5] offset:1024
	v_lshrrev_b32_e32 v2, 2, v21
	v_and_b32_e32 v2, 0x78, v2
	v_add_u32_e32 v2, v2, v23
	ds_write_b64 v2, v[6:7] offset:2048
	;; [unrolled: 4-line block ×3, first 2 shown]
	s_waitcnt lgkmcnt(0)
	s_barrier
.LBB206_24:
	ds_read2_b64 v[6:9], v19 offset1:1
	ds_read2_b64 v[2:5], v19 offset0:2 offset1:3
	s_cmp_lg_u32 s6, 0
	s_cselect_b64 s[16:17], -1, 0
	s_cmp_lg_u64 s[2:3], 0
	s_cselect_b64 s[0:1], -1, 0
	s_or_b64 s[0:1], s[16:17], s[0:1]
	s_mov_b64 s[10:11], 0
	s_and_b64 vcc, exec, s[0:1]
	v_cmp_gt_i64_e64 s[0:1], s[26:27], 0
	s_waitcnt lgkmcnt(0)
	s_barrier
	s_cbranch_vccz .LBB206_33
; %bb.25:
	s_add_u32 s2, s12, -8
	s_addc_u32 s3, s13, -1
	s_load_dwordx2 s[2:3], s[2:3], 0x0
	v_cndmask_b32_e64 v18, 0, 1, s[0:1]
	v_lshlrev_b32_e32 v26, 3, v0
	s_and_b64 vcc, exec, s[34:35]
	v_cmp_ne_u32_e64 s[0:1], 1, v18
	ds_write_b64 v26, v[12:13]
	s_cbranch_vccz .LBB206_34
; %bb.26:
	v_mul_lo_u32 v20, v11, s26
	v_mul_lo_u32 v21, v10, s27
	v_mad_u64_u32 v[18:19], s[12:13], v10, s26, 0
	s_and_b64 vcc, exec, s[0:1]
	v_add3_u32 v19, v19, v21, v20
	s_cbranch_vccnz .LBB206_37
; %bb.27:
	v_mov_b32_e32 v21, s29
	v_add_co_u32_e32 v20, vcc, s28, v18
	v_pk_mov_b32 v[22:23], s[28:29], s[28:29] op_sel:[0,1]
	v_addc_co_u32_e32 v21, vcc, v21, v19, vcc
	v_mad_u64_u32 v[22:23], s[10:11], v12, s26, v[22:23]
	v_mul_lo_u32 v24, v12, s27
	v_mul_lo_u32 v25, v13, s26
	v_add3_u32 v23, v25, v23, v24
	global_load_ubyte v24, v[20:21], off
	global_load_ubyte v25, v[22:23], off
	s_mov_b64 s[10:11], -1
	s_waitcnt vmcnt(0)
	v_cmp_eq_u16_e32 vcc, v24, v25
	s_and_saveexec_b64 s[12:13], vcc
	s_cbranch_execz .LBB206_36
; %bb.28:
	s_mov_b64 s[18:19], 1
	s_mov_b64 s[10:11], 0
                                        ; implicit-def: $sgpr14_sgpr15
	s_branch .LBB206_31
.LBB206_29:                             ;   in Loop: Header=BB206_31 Depth=1
	v_mov_b32_e32 v27, s19
	v_add_co_u32_e32 v24, vcc, s18, v20
	v_addc_co_u32_e32 v25, vcc, v21, v27, vcc
	v_add_co_u32_e32 v28, vcc, s18, v22
	v_addc_co_u32_e32 v29, vcc, v23, v27, vcc
	global_load_ubyte v27, v[24:25], off
	global_load_ubyte v30, v[28:29], off
	s_add_u32 s36, s18, 1
	s_addc_u32 s37, s19, 0
	s_andn2_b64 s[14:15], s[14:15], exec
	s_waitcnt vmcnt(0)
	v_cmp_ne_u16_e32 vcc, v27, v30
	s_and_b64 s[38:39], vcc, exec
	s_or_b64 s[14:15], s[14:15], s[38:39]
.LBB206_30:                             ;   in Loop: Header=BB206_31 Depth=1
	s_and_b64 s[38:39], exec, s[14:15]
	s_or_b64 s[10:11], s[38:39], s[10:11]
	v_pk_mov_b32 v[24:25], s[18:19], s[18:19] op_sel:[0,1]
	s_mov_b64 s[18:19], s[36:37]
	s_andn2_b64 exec, exec, s[10:11]
	s_cbranch_execz .LBB206_35
.LBB206_31:                             ; =>This Inner Loop Header: Depth=1
	s_or_b64 s[14:15], s[14:15], exec
	s_cmp_eq_u64 s[26:27], s[18:19]
	s_cbranch_scc0 .LBB206_29
; %bb.32:                               ;   in Loop: Header=BB206_31 Depth=1
                                        ; implicit-def: $sgpr36_sgpr37
	s_mov_b64 s[18:19], s[26:27]
	s_branch .LBB206_30
.LBB206_33:
                                        ; implicit-def: $sgpr12_sgpr13
                                        ; implicit-def: $vgpr28
	s_branch .LBB206_115
.LBB206_34:
                                        ; implicit-def: $sgpr12_sgpr13
                                        ; implicit-def: $vgpr28
	s_cbranch_execnz .LBB206_67
	s_branch .LBB206_114
.LBB206_35:
	s_or_b64 exec, exec, s[10:11]
	v_cmp_gt_i64_e32 vcc, s[26:27], v[24:25]
	s_orn2_b64 s[10:11], vcc, exec
.LBB206_36:
	s_or_b64 exec, exec, s[12:13]
.LBB206_37:
	v_mul_lo_u32 v22, v17, s26
	v_mul_lo_u32 v23, v16, s27
	v_mad_u64_u32 v[20:21], s[12:13], v16, s26, 0
	v_add3_u32 v21, v21, v23, v22
	s_mov_b64 s[12:13], 0
	s_and_b64 vcc, exec, s[0:1]
	s_mov_b64 s[14:15], 0
	s_cbranch_vccnz .LBB206_46
; %bb.38:
	v_mov_b32_e32 v23, s29
	v_add_co_u32_e32 v22, vcc, s28, v20
	v_addc_co_u32_e32 v23, vcc, v23, v21, vcc
	v_mov_b32_e32 v24, s29
	v_add_co_u32_e32 v18, vcc, s28, v18
	v_addc_co_u32_e32 v19, vcc, v24, v19, vcc
	global_load_ubyte v24, v[22:23], off
	global_load_ubyte v25, v[18:19], off
	s_mov_b64 s[14:15], -1
	s_waitcnt vmcnt(0)
	v_cmp_eq_u16_e32 vcc, v24, v25
	s_and_saveexec_b64 s[18:19], vcc
	s_cbranch_execz .LBB206_45
; %bb.39:
	s_mov_b64 s[38:39], 1
	s_mov_b64 s[14:15], 0
                                        ; implicit-def: $sgpr36_sgpr37
	s_branch .LBB206_42
.LBB206_40:                             ;   in Loop: Header=BB206_42 Depth=1
	v_mov_b32_e32 v27, s39
	v_add_co_u32_e32 v24, vcc, s38, v22
	v_addc_co_u32_e32 v25, vcc, v23, v27, vcc
	v_add_co_u32_e32 v28, vcc, s38, v18
	v_addc_co_u32_e32 v29, vcc, v19, v27, vcc
	global_load_ubyte v27, v[24:25], off
	global_load_ubyte v30, v[28:29], off
	s_add_u32 s40, s38, 1
	s_addc_u32 s41, s39, 0
	s_andn2_b64 s[36:37], s[36:37], exec
	s_waitcnt vmcnt(0)
	v_cmp_ne_u16_e32 vcc, v27, v30
	s_and_b64 s[42:43], vcc, exec
	s_or_b64 s[36:37], s[36:37], s[42:43]
.LBB206_41:                             ;   in Loop: Header=BB206_42 Depth=1
	s_and_b64 s[42:43], exec, s[36:37]
	s_or_b64 s[14:15], s[42:43], s[14:15]
	v_pk_mov_b32 v[24:25], s[38:39], s[38:39] op_sel:[0,1]
	s_mov_b64 s[38:39], s[40:41]
	s_andn2_b64 exec, exec, s[14:15]
	s_cbranch_execz .LBB206_44
.LBB206_42:                             ; =>This Inner Loop Header: Depth=1
	s_or_b64 s[36:37], s[36:37], exec
	s_cmp_eq_u64 s[26:27], s[38:39]
	s_cbranch_scc0 .LBB206_40
; %bb.43:                               ;   in Loop: Header=BB206_42 Depth=1
                                        ; implicit-def: $sgpr40_sgpr41
	s_mov_b64 s[38:39], s[26:27]
	s_branch .LBB206_41
.LBB206_44:
	s_or_b64 exec, exec, s[14:15]
	v_cmp_gt_i64_e32 vcc, s[26:27], v[24:25]
	s_orn2_b64 s[14:15], vcc, exec
.LBB206_45:
	s_or_b64 exec, exec, s[18:19]
.LBB206_46:
	v_mul_lo_u32 v22, v15, s26
	v_mul_lo_u32 v23, v14, s27
	v_mad_u64_u32 v[18:19], s[18:19], v14, s26, 0
	s_and_b64 vcc, exec, s[0:1]
	v_add3_u32 v19, v19, v23, v22
	s_cbranch_vccnz .LBB206_55
; %bb.47:
	v_mov_b32_e32 v23, s29
	v_add_co_u32_e32 v22, vcc, s28, v18
	v_addc_co_u32_e32 v23, vcc, v23, v19, vcc
	v_mov_b32_e32 v24, s29
	v_add_co_u32_e32 v20, vcc, s28, v20
	v_addc_co_u32_e32 v21, vcc, v24, v21, vcc
	global_load_ubyte v24, v[22:23], off
	global_load_ubyte v25, v[20:21], off
	s_mov_b64 s[12:13], -1
	s_waitcnt vmcnt(0)
	v_cmp_eq_u16_e32 vcc, v24, v25
	s_and_saveexec_b64 s[18:19], vcc
	s_cbranch_execz .LBB206_54
; %bb.48:
	s_mov_b64 s[38:39], 1
	s_mov_b64 s[12:13], 0
                                        ; implicit-def: $sgpr36_sgpr37
	s_branch .LBB206_51
.LBB206_49:                             ;   in Loop: Header=BB206_51 Depth=1
	v_mov_b32_e32 v27, s39
	v_add_co_u32_e32 v24, vcc, s38, v22
	v_addc_co_u32_e32 v25, vcc, v23, v27, vcc
	v_add_co_u32_e32 v28, vcc, s38, v20
	v_addc_co_u32_e32 v29, vcc, v21, v27, vcc
	global_load_ubyte v27, v[24:25], off
	global_load_ubyte v30, v[28:29], off
	s_add_u32 s40, s38, 1
	s_addc_u32 s41, s39, 0
	s_andn2_b64 s[36:37], s[36:37], exec
	s_waitcnt vmcnt(0)
	v_cmp_ne_u16_e32 vcc, v27, v30
	s_and_b64 s[42:43], vcc, exec
	s_or_b64 s[36:37], s[36:37], s[42:43]
.LBB206_50:                             ;   in Loop: Header=BB206_51 Depth=1
	s_and_b64 s[42:43], exec, s[36:37]
	s_or_b64 s[12:13], s[42:43], s[12:13]
	v_pk_mov_b32 v[24:25], s[38:39], s[38:39] op_sel:[0,1]
	s_mov_b64 s[38:39], s[40:41]
	s_andn2_b64 exec, exec, s[12:13]
	s_cbranch_execz .LBB206_53
.LBB206_51:                             ; =>This Inner Loop Header: Depth=1
	s_or_b64 s[36:37], s[36:37], exec
	s_cmp_eq_u64 s[26:27], s[38:39]
	s_cbranch_scc0 .LBB206_49
; %bb.52:                               ;   in Loop: Header=BB206_51 Depth=1
                                        ; implicit-def: $sgpr40_sgpr41
	s_mov_b64 s[38:39], s[26:27]
	s_branch .LBB206_50
.LBB206_53:
	s_or_b64 exec, exec, s[12:13]
	v_cmp_gt_i64_e32 vcc, s[26:27], v[24:25]
	s_orn2_b64 s[12:13], vcc, exec
.LBB206_54:
	s_or_b64 exec, exec, s[18:19]
.LBB206_55:
	v_cmp_ne_u32_e32 vcc, 0, v0
	s_waitcnt lgkmcnt(0)
	v_pk_mov_b32 v[22:23], s[2:3], s[2:3] op_sel:[0,1]
	s_barrier
	s_and_saveexec_b64 s[18:19], vcc
	s_cbranch_execz .LBB206_57
; %bb.56:
	v_add_u32_e32 v20, -8, v26
	ds_read_b64 v[22:23], v20
.LBB206_57:
	s_or_b64 exec, exec, s[18:19]
	v_cndmask_b32_e64 v21, 0, 1, s[10:11]
	v_cndmask_b32_e64 v20, 0, 1, s[14:15]
	;; [unrolled: 1-line block ×3, first 2 shown]
	v_lshlrev_b16_e32 v21, 8, v21
	v_lshlrev_b16_e32 v24, 8, v24
	v_or_b32_sdwa v25, v20, v21 dst_sel:WORD_1 dst_unused:UNUSED_PAD src0_sel:DWORD src1_sel:DWORD
	s_mov_b64 s[10:11], 0
	s_and_b64 vcc, exec, s[0:1]
	s_mov_b64 s[12:13], 0
	s_cbranch_vccnz .LBB206_66
; %bb.58:
	v_pk_mov_b32 v[20:21], s[28:29], s[28:29] op_sel:[0,1]
	s_waitcnt lgkmcnt(0)
	v_mad_u64_u32 v[20:21], s[12:13], v22, s26, v[20:21]
	v_mul_lo_u32 v22, v22, s27
	v_mul_lo_u32 v23, v23, s26
	v_add3_u32 v21, v23, v21, v22
	v_mov_b32_e32 v22, s29
	v_add_co_u32_e32 v18, vcc, s28, v18
	v_addc_co_u32_e32 v19, vcc, v22, v19, vcc
	global_load_ubyte v22, v[20:21], off
	global_load_ubyte v23, v[18:19], off
	s_mov_b64 s[12:13], -1
	s_waitcnt vmcnt(0)
	v_cmp_eq_u16_e32 vcc, v22, v23
	s_and_saveexec_b64 s[14:15], vcc
	s_cbranch_execz .LBB206_65
; %bb.59:
	s_mov_b64 s[36:37], 1
	s_mov_b64 s[12:13], 0
                                        ; implicit-def: $sgpr18_sgpr19
	s_branch .LBB206_62
.LBB206_60:                             ;   in Loop: Header=BB206_62 Depth=1
	v_mov_b32_e32 v27, s37
	v_add_co_u32_e32 v22, vcc, s36, v20
	v_addc_co_u32_e32 v23, vcc, v21, v27, vcc
	v_add_co_u32_e32 v28, vcc, s36, v18
	v_addc_co_u32_e32 v29, vcc, v19, v27, vcc
	global_load_ubyte v27, v[22:23], off
	global_load_ubyte v30, v[28:29], off
	s_add_u32 s38, s36, 1
	s_addc_u32 s39, s37, 0
	s_andn2_b64 s[18:19], s[18:19], exec
	s_waitcnt vmcnt(0)
	v_cmp_ne_u16_e32 vcc, v27, v30
	s_and_b64 s[40:41], vcc, exec
	s_or_b64 s[18:19], s[18:19], s[40:41]
.LBB206_61:                             ;   in Loop: Header=BB206_62 Depth=1
	s_and_b64 s[40:41], exec, s[18:19]
	s_or_b64 s[12:13], s[40:41], s[12:13]
	v_pk_mov_b32 v[22:23], s[36:37], s[36:37] op_sel:[0,1]
	s_mov_b64 s[36:37], s[38:39]
	s_andn2_b64 exec, exec, s[12:13]
	s_cbranch_execz .LBB206_64
.LBB206_62:                             ; =>This Inner Loop Header: Depth=1
	s_or_b64 s[18:19], s[18:19], exec
	s_cmp_eq_u64 s[26:27], s[36:37]
	s_cbranch_scc0 .LBB206_60
; %bb.63:                               ;   in Loop: Header=BB206_62 Depth=1
                                        ; implicit-def: $sgpr38_sgpr39
	s_mov_b64 s[36:37], s[26:27]
	s_branch .LBB206_61
.LBB206_64:
	s_or_b64 exec, exec, s[12:13]
	v_cmp_gt_i64_e32 vcc, s[26:27], v[22:23]
	s_orn2_b64 s[12:13], vcc, exec
.LBB206_65:
	s_or_b64 exec, exec, s[14:15]
.LBB206_66:
	v_or_b32_e32 v28, v24, v25
	s_and_b64 vcc, exec, s[10:11]
	s_cbranch_vccz .LBB206_114
.LBB206_67:
	v_or_b32_e32 v18, 3, v1
	v_cmp_gt_u32_e32 vcc, s7, v18
	s_mov_b64 s[12:13], 0
	s_mov_b64 s[10:11], 0
	s_and_saveexec_b64 s[14:15], vcc
	s_cbranch_execz .LBB206_78
; %bb.68:
	s_and_b64 vcc, exec, s[0:1]
	s_mov_b64 s[18:19], 0
	s_cbranch_vccnz .LBB206_77
; %bb.69:
	v_pk_mov_b32 v[20:21], s[28:29], s[28:29] op_sel:[0,1]
	v_mad_u64_u32 v[18:19], s[10:11], v10, s26, v[20:21]
	s_waitcnt lgkmcnt(0)
	v_mul_lo_u32 v22, v10, s27
	v_mul_lo_u32 v23, v11, s26
	v_add3_u32 v19, v23, v19, v22
	v_mad_u64_u32 v[20:21], s[10:11], v12, s26, v[20:21]
	v_mul_lo_u32 v22, v12, s27
	v_mul_lo_u32 v23, v13, s26
	v_add3_u32 v21, v23, v21, v22
	global_load_ubyte v22, v[18:19], off
	global_load_ubyte v23, v[20:21], off
	s_mov_b64 s[18:19], -1
	s_waitcnt vmcnt(0)
	v_cmp_eq_u16_e32 vcc, v22, v23
	s_and_saveexec_b64 s[10:11], vcc
	s_cbranch_execz .LBB206_76
; %bb.70:
	s_mov_b64 s[38:39], 1
	s_mov_b64 s[18:19], 0
                                        ; implicit-def: $sgpr36_sgpr37
	s_branch .LBB206_73
.LBB206_71:                             ;   in Loop: Header=BB206_73 Depth=1
	v_mov_b32_e32 v25, s39
	v_add_co_u32_e32 v22, vcc, s38, v18
	v_addc_co_u32_e32 v23, vcc, v19, v25, vcc
	v_add_co_u32_e32 v24, vcc, s38, v20
	v_addc_co_u32_e32 v25, vcc, v21, v25, vcc
	global_load_ubyte v27, v[22:23], off
	global_load_ubyte v28, v[24:25], off
	s_add_u32 s40, s38, 1
	s_addc_u32 s41, s39, 0
	s_andn2_b64 s[36:37], s[36:37], exec
	s_waitcnt vmcnt(0)
	v_cmp_ne_u16_e32 vcc, v27, v28
	s_and_b64 s[42:43], vcc, exec
	s_or_b64 s[36:37], s[36:37], s[42:43]
.LBB206_72:                             ;   in Loop: Header=BB206_73 Depth=1
	s_and_b64 s[42:43], exec, s[36:37]
	s_or_b64 s[18:19], s[42:43], s[18:19]
	v_pk_mov_b32 v[22:23], s[38:39], s[38:39] op_sel:[0,1]
	s_mov_b64 s[38:39], s[40:41]
	s_andn2_b64 exec, exec, s[18:19]
	s_cbranch_execz .LBB206_75
.LBB206_73:                             ; =>This Inner Loop Header: Depth=1
	s_or_b64 s[36:37], s[36:37], exec
	s_cmp_eq_u64 s[26:27], s[38:39]
	s_cbranch_scc0 .LBB206_71
; %bb.74:                               ;   in Loop: Header=BB206_73 Depth=1
                                        ; implicit-def: $sgpr40_sgpr41
	s_mov_b64 s[38:39], s[26:27]
	s_branch .LBB206_72
.LBB206_75:
	s_or_b64 exec, exec, s[18:19]
	v_cmp_gt_i64_e32 vcc, s[26:27], v[22:23]
	s_orn2_b64 s[18:19], vcc, exec
.LBB206_76:
	s_or_b64 exec, exec, s[10:11]
.LBB206_77:
	s_and_b64 s[10:11], s[18:19], exec
.LBB206_78:
	s_or_b64 exec, exec, s[14:15]
	v_or_b32_e32 v18, 2, v1
	v_cmp_gt_u32_e32 vcc, s7, v18
	s_and_saveexec_b64 s[14:15], vcc
	s_cbranch_execz .LBB206_89
; %bb.79:
	s_and_b64 vcc, exec, s[0:1]
	s_mov_b64 s[18:19], 0
	s_cbranch_vccnz .LBB206_88
; %bb.80:
	v_pk_mov_b32 v[20:21], s[28:29], s[28:29] op_sel:[0,1]
	v_mad_u64_u32 v[18:19], s[12:13], v16, s26, v[20:21]
	s_waitcnt lgkmcnt(0)
	v_mul_lo_u32 v22, v16, s27
	v_mul_lo_u32 v23, v17, s26
	v_add3_u32 v19, v23, v19, v22
	v_mad_u64_u32 v[20:21], s[12:13], v10, s26, v[20:21]
	v_mul_lo_u32 v22, v10, s27
	v_mul_lo_u32 v23, v11, s26
	v_add3_u32 v21, v23, v21, v22
	global_load_ubyte v22, v[18:19], off
	global_load_ubyte v23, v[20:21], off
	s_mov_b64 s[18:19], -1
	s_waitcnt vmcnt(0)
	v_cmp_eq_u16_e32 vcc, v22, v23
	s_and_saveexec_b64 s[12:13], vcc
	s_cbranch_execz .LBB206_87
; %bb.81:
	s_mov_b64 s[38:39], 1
	s_mov_b64 s[18:19], 0
                                        ; implicit-def: $sgpr36_sgpr37
	s_branch .LBB206_84
.LBB206_82:                             ;   in Loop: Header=BB206_84 Depth=1
	v_mov_b32_e32 v25, s39
	v_add_co_u32_e32 v22, vcc, s38, v18
	v_addc_co_u32_e32 v23, vcc, v19, v25, vcc
	v_add_co_u32_e32 v24, vcc, s38, v20
	v_addc_co_u32_e32 v25, vcc, v21, v25, vcc
	global_load_ubyte v27, v[22:23], off
	global_load_ubyte v28, v[24:25], off
	s_add_u32 s40, s38, 1
	s_addc_u32 s41, s39, 0
	s_andn2_b64 s[36:37], s[36:37], exec
	s_waitcnt vmcnt(0)
	v_cmp_ne_u16_e32 vcc, v27, v28
	s_and_b64 s[42:43], vcc, exec
	s_or_b64 s[36:37], s[36:37], s[42:43]
.LBB206_83:                             ;   in Loop: Header=BB206_84 Depth=1
	s_and_b64 s[42:43], exec, s[36:37]
	s_or_b64 s[18:19], s[42:43], s[18:19]
	v_pk_mov_b32 v[22:23], s[38:39], s[38:39] op_sel:[0,1]
	s_mov_b64 s[38:39], s[40:41]
	s_andn2_b64 exec, exec, s[18:19]
	s_cbranch_execz .LBB206_86
.LBB206_84:                             ; =>This Inner Loop Header: Depth=1
	s_or_b64 s[36:37], s[36:37], exec
	s_cmp_eq_u64 s[26:27], s[38:39]
	s_cbranch_scc0 .LBB206_82
; %bb.85:                               ;   in Loop: Header=BB206_84 Depth=1
                                        ; implicit-def: $sgpr40_sgpr41
	s_mov_b64 s[38:39], s[26:27]
	s_branch .LBB206_83
.LBB206_86:
	s_or_b64 exec, exec, s[18:19]
	v_cmp_gt_i64_e32 vcc, s[26:27], v[22:23]
	s_orn2_b64 s[18:19], vcc, exec
.LBB206_87:
	s_or_b64 exec, exec, s[12:13]
.LBB206_88:
	s_and_b64 s[12:13], s[18:19], exec
.LBB206_89:
	s_or_b64 exec, exec, s[14:15]
	v_or_b32_e32 v18, 1, v1
	v_cmp_gt_u32_e32 vcc, s7, v18
	s_mov_b64 s[18:19], 0
	s_and_saveexec_b64 s[14:15], vcc
	s_cbranch_execz .LBB206_100
; %bb.90:
	s_and_b64 vcc, exec, s[0:1]
	s_mov_b64 s[36:37], 0
	s_cbranch_vccnz .LBB206_99
; %bb.91:
	v_pk_mov_b32 v[20:21], s[28:29], s[28:29] op_sel:[0,1]
	v_mad_u64_u32 v[18:19], s[18:19], v14, s26, v[20:21]
	s_waitcnt lgkmcnt(0)
	v_mul_lo_u32 v22, v14, s27
	v_mul_lo_u32 v23, v15, s26
	v_add3_u32 v19, v23, v19, v22
	v_mad_u64_u32 v[20:21], s[18:19], v16, s26, v[20:21]
	v_mul_lo_u32 v22, v16, s27
	v_mul_lo_u32 v23, v17, s26
	v_add3_u32 v21, v23, v21, v22
	global_load_ubyte v22, v[18:19], off
	global_load_ubyte v23, v[20:21], off
	s_mov_b64 s[36:37], -1
	s_waitcnt vmcnt(0)
	v_cmp_eq_u16_e32 vcc, v22, v23
	s_and_saveexec_b64 s[18:19], vcc
	s_cbranch_execz .LBB206_98
; %bb.92:
	s_mov_b64 s[40:41], 1
	s_mov_b64 s[36:37], 0
                                        ; implicit-def: $sgpr38_sgpr39
	s_branch .LBB206_95
.LBB206_93:                             ;   in Loop: Header=BB206_95 Depth=1
	v_mov_b32_e32 v25, s41
	v_add_co_u32_e32 v22, vcc, s40, v18
	v_addc_co_u32_e32 v23, vcc, v19, v25, vcc
	v_add_co_u32_e32 v24, vcc, s40, v20
	v_addc_co_u32_e32 v25, vcc, v21, v25, vcc
	global_load_ubyte v27, v[22:23], off
	global_load_ubyte v28, v[24:25], off
	s_add_u32 s42, s40, 1
	s_addc_u32 s43, s41, 0
	s_andn2_b64 s[38:39], s[38:39], exec
	s_waitcnt vmcnt(0)
	v_cmp_ne_u16_e32 vcc, v27, v28
	s_and_b64 s[44:45], vcc, exec
	s_or_b64 s[38:39], s[38:39], s[44:45]
.LBB206_94:                             ;   in Loop: Header=BB206_95 Depth=1
	s_and_b64 s[44:45], exec, s[38:39]
	s_or_b64 s[36:37], s[44:45], s[36:37]
	v_pk_mov_b32 v[22:23], s[40:41], s[40:41] op_sel:[0,1]
	s_mov_b64 s[40:41], s[42:43]
	s_andn2_b64 exec, exec, s[36:37]
	s_cbranch_execz .LBB206_97
.LBB206_95:                             ; =>This Inner Loop Header: Depth=1
	s_or_b64 s[38:39], s[38:39], exec
	s_cmp_eq_u64 s[26:27], s[40:41]
	s_cbranch_scc0 .LBB206_93
; %bb.96:                               ;   in Loop: Header=BB206_95 Depth=1
                                        ; implicit-def: $sgpr42_sgpr43
	s_mov_b64 s[40:41], s[26:27]
	s_branch .LBB206_94
.LBB206_97:
	s_or_b64 exec, exec, s[36:37]
	v_cmp_gt_i64_e32 vcc, s[26:27], v[22:23]
	s_orn2_b64 s[36:37], vcc, exec
.LBB206_98:
	s_or_b64 exec, exec, s[18:19]
.LBB206_99:
	s_and_b64 s[18:19], s[36:37], exec
.LBB206_100:
	s_or_b64 exec, exec, s[14:15]
	v_cmp_ne_u32_e32 vcc, 0, v0
	s_waitcnt lgkmcnt(0)
	v_pk_mov_b32 v[20:21], s[2:3], s[2:3] op_sel:[0,1]
	s_barrier
	s_and_saveexec_b64 s[2:3], vcc
	s_cbranch_execz .LBB206_102
; %bb.101:
	v_add_u32_e32 v18, -8, v26
	ds_read_b64 v[20:21], v18
.LBB206_102:
	s_or_b64 exec, exec, s[2:3]
	v_cndmask_b32_e64 v19, 0, 1, s[10:11]
	v_cndmask_b32_e64 v18, 0, 1, s[12:13]
	;; [unrolled: 1-line block ×3, first 2 shown]
	v_lshlrev_b16_e32 v19, 8, v19
	v_lshlrev_b16_e32 v24, 8, v22
	v_or_b32_sdwa v25, v18, v19 dst_sel:WORD_1 dst_unused:UNUSED_PAD src0_sel:DWORD src1_sel:DWORD
	v_cmp_gt_u32_e32 vcc, s7, v1
	s_mov_b64 s[12:13], 0
	s_and_saveexec_b64 s[2:3], vcc
	s_cbranch_execz .LBB206_113
; %bb.103:
	s_and_b64 vcc, exec, s[0:1]
	s_mov_b64 s[10:11], 0
	s_cbranch_vccnz .LBB206_112
; %bb.104:
	v_pk_mov_b32 v[22:23], s[28:29], s[28:29] op_sel:[0,1]
	s_waitcnt lgkmcnt(0)
	v_mad_u64_u32 v[18:19], s[0:1], v20, s26, v[22:23]
	v_mul_lo_u32 v20, v20, s27
	v_mul_lo_u32 v21, v21, s26
	v_add3_u32 v19, v21, v19, v20
	v_mad_u64_u32 v[20:21], s[0:1], v14, s26, v[22:23]
	v_mul_lo_u32 v22, v14, s27
	v_mul_lo_u32 v23, v15, s26
	v_add3_u32 v21, v23, v21, v22
	global_load_ubyte v22, v[18:19], off
	global_load_ubyte v23, v[20:21], off
	s_mov_b64 s[10:11], -1
	s_waitcnt vmcnt(0)
	v_cmp_eq_u16_e32 vcc, v22, v23
	s_and_saveexec_b64 s[0:1], vcc
	s_cbranch_execz .LBB206_111
; %bb.105:
	s_mov_b64 s[14:15], 1
	s_mov_b64 s[10:11], 0
                                        ; implicit-def: $sgpr12_sgpr13
	s_branch .LBB206_108
.LBB206_106:                            ;   in Loop: Header=BB206_108 Depth=1
	v_mov_b32_e32 v27, s15
	v_add_co_u32_e32 v22, vcc, s14, v18
	v_addc_co_u32_e32 v23, vcc, v19, v27, vcc
	v_add_co_u32_e32 v26, vcc, s14, v20
	v_addc_co_u32_e32 v27, vcc, v21, v27, vcc
	global_load_ubyte v28, v[22:23], off
	global_load_ubyte v29, v[26:27], off
	s_add_u32 s18, s14, 1
	s_addc_u32 s19, s15, 0
	s_andn2_b64 s[12:13], s[12:13], exec
	s_waitcnt vmcnt(0)
	v_cmp_ne_u16_e32 vcc, v28, v29
	s_and_b64 s[36:37], vcc, exec
	s_or_b64 s[12:13], s[12:13], s[36:37]
.LBB206_107:                            ;   in Loop: Header=BB206_108 Depth=1
	s_and_b64 s[36:37], exec, s[12:13]
	s_or_b64 s[10:11], s[36:37], s[10:11]
	v_pk_mov_b32 v[22:23], s[14:15], s[14:15] op_sel:[0,1]
	s_mov_b64 s[14:15], s[18:19]
	s_andn2_b64 exec, exec, s[10:11]
	s_cbranch_execz .LBB206_110
.LBB206_108:                            ; =>This Inner Loop Header: Depth=1
	s_or_b64 s[12:13], s[12:13], exec
	s_cmp_eq_u64 s[26:27], s[14:15]
	s_cbranch_scc0 .LBB206_106
; %bb.109:                              ;   in Loop: Header=BB206_108 Depth=1
                                        ; implicit-def: $sgpr18_sgpr19
	s_mov_b64 s[14:15], s[26:27]
	s_branch .LBB206_107
.LBB206_110:
	s_or_b64 exec, exec, s[10:11]
	v_cmp_gt_i64_e32 vcc, s[26:27], v[22:23]
	s_orn2_b64 s[10:11], vcc, exec
.LBB206_111:
	s_or_b64 exec, exec, s[0:1]
.LBB206_112:
	s_and_b64 s[12:13], s[10:11], exec
.LBB206_113:
	s_or_b64 exec, exec, s[2:3]
	v_or_b32_e32 v28, v24, v25
.LBB206_114:
	s_mov_b64 s[10:11], -1
	s_cbranch_execnz .LBB206_203
.LBB206_115:
	v_lshlrev_b32_e32 v26, 3, v0
	s_mov_b64 s[12:13], 0
	s_waitcnt lgkmcnt(0)
	v_cmp_gt_i64_e64 s[2:3], s[26:27], 0
	s_and_b64 vcc, exec, s[34:35]
	ds_write_b64 v26, v[12:13]
	s_cbranch_vccz .LBB206_123
; %bb.116:
	v_mul_lo_u32 v20, v11, s26
	v_mul_lo_u32 v21, v10, s27
	v_mad_u64_u32 v[18:19], s[0:1], v10, s26, 0
	v_cndmask_b32_e64 v22, 0, 1, s[2:3]
	v_cmp_ne_u32_e64 s[0:1], 1, v22
	s_andn2_b64 vcc, exec, s[2:3]
	v_add3_u32 v19, v19, v21, v20
	s_cbranch_vccnz .LBB206_126
; %bb.117:
	v_mov_b32_e32 v21, s29
	v_add_co_u32_e32 v20, vcc, s28, v18
	v_pk_mov_b32 v[22:23], s[28:29], s[28:29] op_sel:[0,1]
	v_addc_co_u32_e32 v21, vcc, v21, v19, vcc
	v_mad_u64_u32 v[22:23], s[12:13], v12, s26, v[22:23]
	v_mul_lo_u32 v24, v12, s27
	v_mul_lo_u32 v25, v13, s26
	v_add3_u32 v23, v25, v23, v24
	global_load_ubyte v24, v[20:21], off
	global_load_ubyte v25, v[22:23], off
	s_mov_b64 s[12:13], -1
	s_waitcnt vmcnt(0)
	v_cmp_eq_u16_e32 vcc, v24, v25
	s_and_saveexec_b64 s[14:15], vcc
	s_cbranch_execz .LBB206_125
; %bb.118:
	s_mov_b64 s[36:37], 1
	s_mov_b64 s[12:13], 0
                                        ; implicit-def: $sgpr18_sgpr19
	s_branch .LBB206_121
.LBB206_119:                            ;   in Loop: Header=BB206_121 Depth=1
	v_mov_b32_e32 v27, s37
	v_add_co_u32_e32 v24, vcc, s36, v20
	v_addc_co_u32_e32 v25, vcc, v21, v27, vcc
	v_add_co_u32_e32 v28, vcc, s36, v22
	v_addc_co_u32_e32 v29, vcc, v23, v27, vcc
	global_load_ubyte v27, v[24:25], off
	global_load_ubyte v30, v[28:29], off
	s_add_u32 s38, s36, 1
	s_addc_u32 s39, s37, 0
	s_andn2_b64 s[18:19], s[18:19], exec
	s_waitcnt vmcnt(0)
	v_cmp_ne_u16_e32 vcc, v27, v30
	s_and_b64 s[40:41], vcc, exec
	s_or_b64 s[18:19], s[18:19], s[40:41]
.LBB206_120:                            ;   in Loop: Header=BB206_121 Depth=1
	s_and_b64 s[40:41], exec, s[18:19]
	s_or_b64 s[12:13], s[40:41], s[12:13]
	v_pk_mov_b32 v[24:25], s[36:37], s[36:37] op_sel:[0,1]
	s_mov_b64 s[36:37], s[38:39]
	s_andn2_b64 exec, exec, s[12:13]
	s_cbranch_execz .LBB206_124
.LBB206_121:                            ; =>This Inner Loop Header: Depth=1
	s_or_b64 s[18:19], s[18:19], exec
	s_cmp_eq_u64 s[26:27], s[36:37]
	s_cbranch_scc0 .LBB206_119
; %bb.122:                              ;   in Loop: Header=BB206_121 Depth=1
                                        ; implicit-def: $sgpr38_sgpr39
	s_mov_b64 s[36:37], s[26:27]
	s_branch .LBB206_120
.LBB206_123:
                                        ; implicit-def: $sgpr12_sgpr13
                                        ; implicit-def: $vgpr28
	s_cbranch_execnz .LBB206_156
	s_branch .LBB206_203
.LBB206_124:
	s_or_b64 exec, exec, s[12:13]
	v_cmp_gt_i64_e32 vcc, s[26:27], v[24:25]
	s_orn2_b64 s[12:13], vcc, exec
.LBB206_125:
	s_or_b64 exec, exec, s[14:15]
.LBB206_126:
	v_mul_lo_u32 v22, v17, s26
	v_mul_lo_u32 v23, v16, s27
	v_mad_u64_u32 v[20:21], s[14:15], v16, s26, 0
	v_add3_u32 v21, v21, v23, v22
	s_mov_b64 s[14:15], 0
	s_and_b64 vcc, exec, s[0:1]
	s_mov_b64 s[18:19], 0
	s_cbranch_vccnz .LBB206_135
; %bb.127:
	v_mov_b32_e32 v23, s29
	v_add_co_u32_e32 v22, vcc, s28, v20
	v_addc_co_u32_e32 v23, vcc, v23, v21, vcc
	v_mov_b32_e32 v24, s29
	v_add_co_u32_e32 v18, vcc, s28, v18
	v_addc_co_u32_e32 v19, vcc, v24, v19, vcc
	global_load_ubyte v24, v[22:23], off
	global_load_ubyte v25, v[18:19], off
	s_mov_b64 s[18:19], -1
	s_waitcnt vmcnt(0)
	v_cmp_eq_u16_e32 vcc, v24, v25
	s_and_saveexec_b64 s[36:37], vcc
	s_cbranch_execz .LBB206_134
; %bb.128:
	s_mov_b64 s[40:41], 1
	s_mov_b64 s[18:19], 0
                                        ; implicit-def: $sgpr38_sgpr39
	s_branch .LBB206_131
.LBB206_129:                            ;   in Loop: Header=BB206_131 Depth=1
	v_mov_b32_e32 v27, s41
	v_add_co_u32_e32 v24, vcc, s40, v22
	v_addc_co_u32_e32 v25, vcc, v23, v27, vcc
	v_add_co_u32_e32 v28, vcc, s40, v18
	v_addc_co_u32_e32 v29, vcc, v19, v27, vcc
	global_load_ubyte v27, v[24:25], off
	global_load_ubyte v30, v[28:29], off
	s_add_u32 s42, s40, 1
	s_addc_u32 s43, s41, 0
	s_andn2_b64 s[38:39], s[38:39], exec
	s_waitcnt vmcnt(0)
	v_cmp_ne_u16_e32 vcc, v27, v30
	s_and_b64 s[44:45], vcc, exec
	s_or_b64 s[38:39], s[38:39], s[44:45]
.LBB206_130:                            ;   in Loop: Header=BB206_131 Depth=1
	s_and_b64 s[44:45], exec, s[38:39]
	s_or_b64 s[18:19], s[44:45], s[18:19]
	v_pk_mov_b32 v[24:25], s[40:41], s[40:41] op_sel:[0,1]
	s_mov_b64 s[40:41], s[42:43]
	s_andn2_b64 exec, exec, s[18:19]
	s_cbranch_execz .LBB206_133
.LBB206_131:                            ; =>This Inner Loop Header: Depth=1
	s_or_b64 s[38:39], s[38:39], exec
	s_cmp_eq_u64 s[26:27], s[40:41]
	s_cbranch_scc0 .LBB206_129
; %bb.132:                              ;   in Loop: Header=BB206_131 Depth=1
                                        ; implicit-def: $sgpr42_sgpr43
	s_mov_b64 s[40:41], s[26:27]
	s_branch .LBB206_130
.LBB206_133:
	s_or_b64 exec, exec, s[18:19]
	v_cmp_gt_i64_e32 vcc, s[26:27], v[24:25]
	s_orn2_b64 s[18:19], vcc, exec
.LBB206_134:
	s_or_b64 exec, exec, s[36:37]
.LBB206_135:
	v_mul_lo_u32 v22, v15, s26
	v_mul_lo_u32 v23, v14, s27
	v_mad_u64_u32 v[18:19], s[36:37], v14, s26, 0
	s_and_b64 vcc, exec, s[0:1]
	v_add3_u32 v19, v19, v23, v22
	s_cbranch_vccnz .LBB206_144
; %bb.136:
	v_mov_b32_e32 v23, s29
	v_add_co_u32_e32 v22, vcc, s28, v18
	v_addc_co_u32_e32 v23, vcc, v23, v19, vcc
	v_mov_b32_e32 v24, s29
	v_add_co_u32_e32 v20, vcc, s28, v20
	v_addc_co_u32_e32 v21, vcc, v24, v21, vcc
	global_load_ubyte v24, v[22:23], off
	global_load_ubyte v25, v[20:21], off
	s_mov_b64 s[14:15], -1
	s_waitcnt vmcnt(0)
	v_cmp_eq_u16_e32 vcc, v24, v25
	s_and_saveexec_b64 s[36:37], vcc
	s_cbranch_execz .LBB206_143
; %bb.137:
	s_mov_b64 s[40:41], 1
	s_mov_b64 s[14:15], 0
                                        ; implicit-def: $sgpr38_sgpr39
	s_branch .LBB206_140
.LBB206_138:                            ;   in Loop: Header=BB206_140 Depth=1
	v_mov_b32_e32 v27, s41
	v_add_co_u32_e32 v24, vcc, s40, v22
	v_addc_co_u32_e32 v25, vcc, v23, v27, vcc
	v_add_co_u32_e32 v28, vcc, s40, v20
	v_addc_co_u32_e32 v29, vcc, v21, v27, vcc
	global_load_ubyte v27, v[24:25], off
	global_load_ubyte v30, v[28:29], off
	s_add_u32 s42, s40, 1
	s_addc_u32 s43, s41, 0
	s_andn2_b64 s[38:39], s[38:39], exec
	s_waitcnt vmcnt(0)
	v_cmp_ne_u16_e32 vcc, v27, v30
	s_and_b64 s[44:45], vcc, exec
	s_or_b64 s[38:39], s[38:39], s[44:45]
.LBB206_139:                            ;   in Loop: Header=BB206_140 Depth=1
	s_and_b64 s[44:45], exec, s[38:39]
	s_or_b64 s[14:15], s[44:45], s[14:15]
	v_pk_mov_b32 v[24:25], s[40:41], s[40:41] op_sel:[0,1]
	s_mov_b64 s[40:41], s[42:43]
	s_andn2_b64 exec, exec, s[14:15]
	s_cbranch_execz .LBB206_142
.LBB206_140:                            ; =>This Inner Loop Header: Depth=1
	s_or_b64 s[38:39], s[38:39], exec
	s_cmp_eq_u64 s[26:27], s[40:41]
	s_cbranch_scc0 .LBB206_138
; %bb.141:                              ;   in Loop: Header=BB206_140 Depth=1
                                        ; implicit-def: $sgpr42_sgpr43
	s_mov_b64 s[40:41], s[26:27]
	s_branch .LBB206_139
.LBB206_142:
	s_or_b64 exec, exec, s[14:15]
	v_cmp_gt_i64_e32 vcc, s[26:27], v[24:25]
	s_orn2_b64 s[14:15], vcc, exec
.LBB206_143:
	s_or_b64 exec, exec, s[36:37]
.LBB206_144:
	v_cndmask_b32_e64 v21, 0, 1, s[12:13]
	v_cndmask_b32_e64 v22, 0, 1, s[14:15]
	;; [unrolled: 1-line block ×3, first 2 shown]
	v_lshlrev_b16_e32 v22, 8, v22
	v_lshlrev_b16_e32 v21, 8, v21
	v_or_b32_e32 v22, 1, v22
	v_or_b32_sdwa v20, v20, v21 dst_sel:WORD_1 dst_unused:UNUSED_PAD src0_sel:DWORD src1_sel:DWORD
	v_or_b32_sdwa v28, v22, v20 dst_sel:DWORD dst_unused:UNUSED_PAD src0_sel:WORD_0 src1_sel:DWORD
	v_cmp_ne_u32_e32 vcc, 0, v0
	s_waitcnt lgkmcnt(0)
	s_barrier
	s_waitcnt lgkmcnt(0)
                                        ; implicit-def: $sgpr12_sgpr13
	s_and_saveexec_b64 s[14:15], vcc
	s_xor_b64 s[14:15], exec, s[14:15]
	s_cbranch_execz .LBB206_155
; %bb.145:
	s_and_b64 vcc, exec, s[0:1]
	s_mov_b64 s[12:13], 0
	s_cbranch_vccnz .LBB206_154
; %bb.146:
	v_add_u32_e32 v20, -8, v26
	ds_read_b64 v[20:21], v20
	v_pk_mov_b32 v[22:23], s[28:29], s[28:29] op_sel:[0,1]
	v_add_co_u32_e32 v18, vcc, s28, v18
	s_mov_b64 s[12:13], -1
	s_waitcnt lgkmcnt(0)
	v_mul_lo_u32 v24, v20, s27
	v_mul_lo_u32 v25, v21, s26
	v_mad_u64_u32 v[20:21], s[0:1], v20, s26, v[22:23]
	v_mov_b32_e32 v22, s29
	v_addc_co_u32_e32 v19, vcc, v22, v19, vcc
	v_add3_u32 v21, v25, v21, v24
	global_load_ubyte v22, v[18:19], off
	global_load_ubyte v23, v[20:21], off
	s_waitcnt vmcnt(0)
	v_cmp_eq_u16_e32 vcc, v23, v22
	s_and_saveexec_b64 s[0:1], vcc
	s_cbranch_execz .LBB206_153
; %bb.147:
	s_mov_b64 s[36:37], 1
	s_mov_b64 s[12:13], 0
                                        ; implicit-def: $sgpr18_sgpr19
	s_branch .LBB206_150
.LBB206_148:                            ;   in Loop: Header=BB206_150 Depth=1
	v_mov_b32_e32 v25, s37
	v_add_co_u32_e32 v22, vcc, s36, v20
	v_addc_co_u32_e32 v23, vcc, v21, v25, vcc
	v_add_co_u32_e32 v24, vcc, s36, v18
	v_addc_co_u32_e32 v25, vcc, v19, v25, vcc
	global_load_ubyte v27, v[22:23], off
	global_load_ubyte v29, v[24:25], off
	s_add_u32 s38, s36, 1
	s_addc_u32 s39, s37, 0
	s_andn2_b64 s[18:19], s[18:19], exec
	s_waitcnt vmcnt(0)
	v_cmp_ne_u16_e32 vcc, v27, v29
	s_and_b64 s[40:41], vcc, exec
	s_or_b64 s[18:19], s[18:19], s[40:41]
.LBB206_149:                            ;   in Loop: Header=BB206_150 Depth=1
	s_and_b64 s[40:41], exec, s[18:19]
	s_or_b64 s[12:13], s[40:41], s[12:13]
	v_pk_mov_b32 v[22:23], s[36:37], s[36:37] op_sel:[0,1]
	s_mov_b64 s[36:37], s[38:39]
	s_andn2_b64 exec, exec, s[12:13]
	s_cbranch_execz .LBB206_152
.LBB206_150:                            ; =>This Inner Loop Header: Depth=1
	s_or_b64 s[18:19], s[18:19], exec
	s_cmp_eq_u64 s[26:27], s[36:37]
	s_cbranch_scc0 .LBB206_148
; %bb.151:                              ;   in Loop: Header=BB206_150 Depth=1
                                        ; implicit-def: $sgpr38_sgpr39
	s_mov_b64 s[36:37], s[26:27]
	s_branch .LBB206_149
.LBB206_152:
	s_or_b64 exec, exec, s[12:13]
	v_cmp_gt_i64_e32 vcc, s[26:27], v[22:23]
	s_orn2_b64 s[12:13], vcc, exec
.LBB206_153:
	s_or_b64 exec, exec, s[0:1]
.LBB206_154:
	s_and_b64 s[12:13], s[12:13], exec
	s_or_b64 s[10:11], s[10:11], exec
.LBB206_155:
	s_or_b64 exec, exec, s[14:15]
	s_branch .LBB206_203
.LBB206_156:
	v_or_b32_e32 v18, 3, v1
	v_cmp_gt_u32_e32 vcc, s7, v18
	s_mov_b64 s[12:13], 0
	s_mov_b64 s[0:1], 0
	s_and_saveexec_b64 s[14:15], vcc
	s_cbranch_execz .LBB206_167
; %bb.157:
	s_andn2_b64 vcc, exec, s[2:3]
	s_mov_b64 s[18:19], 0
	s_cbranch_vccnz .LBB206_166
; %bb.158:
	v_pk_mov_b32 v[20:21], s[28:29], s[28:29] op_sel:[0,1]
	v_mad_u64_u32 v[18:19], s[0:1], v10, s26, v[20:21]
	v_mul_lo_u32 v22, v10, s27
	v_mul_lo_u32 v23, v11, s26
	v_add3_u32 v19, v23, v19, v22
	v_mad_u64_u32 v[20:21], s[0:1], v12, s26, v[20:21]
	v_mul_lo_u32 v22, v12, s27
	v_mul_lo_u32 v23, v13, s26
	v_add3_u32 v21, v23, v21, v22
	global_load_ubyte v22, v[18:19], off
	global_load_ubyte v23, v[20:21], off
	s_mov_b64 s[18:19], -1
	s_waitcnt vmcnt(0)
	v_cmp_eq_u16_e32 vcc, v22, v23
	s_and_saveexec_b64 s[0:1], vcc
	s_cbranch_execz .LBB206_165
; %bb.159:
	s_mov_b64 s[38:39], 1
	s_mov_b64 s[18:19], 0
                                        ; implicit-def: $sgpr36_sgpr37
	s_branch .LBB206_162
.LBB206_160:                            ;   in Loop: Header=BB206_162 Depth=1
	v_mov_b32_e32 v25, s39
	v_add_co_u32_e32 v22, vcc, s38, v18
	v_addc_co_u32_e32 v23, vcc, v19, v25, vcc
	v_add_co_u32_e32 v24, vcc, s38, v20
	v_addc_co_u32_e32 v25, vcc, v21, v25, vcc
	global_load_ubyte v27, v[22:23], off
	global_load_ubyte v28, v[24:25], off
	s_add_u32 s40, s38, 1
	s_addc_u32 s41, s39, 0
	s_andn2_b64 s[36:37], s[36:37], exec
	s_waitcnt vmcnt(0)
	v_cmp_ne_u16_e32 vcc, v27, v28
	s_and_b64 s[42:43], vcc, exec
	s_or_b64 s[36:37], s[36:37], s[42:43]
.LBB206_161:                            ;   in Loop: Header=BB206_162 Depth=1
	s_and_b64 s[42:43], exec, s[36:37]
	s_or_b64 s[18:19], s[42:43], s[18:19]
	v_pk_mov_b32 v[22:23], s[38:39], s[38:39] op_sel:[0,1]
	s_mov_b64 s[38:39], s[40:41]
	s_andn2_b64 exec, exec, s[18:19]
	s_cbranch_execz .LBB206_164
.LBB206_162:                            ; =>This Inner Loop Header: Depth=1
	s_or_b64 s[36:37], s[36:37], exec
	s_cmp_eq_u64 s[26:27], s[38:39]
	s_cbranch_scc0 .LBB206_160
; %bb.163:                              ;   in Loop: Header=BB206_162 Depth=1
                                        ; implicit-def: $sgpr40_sgpr41
	s_mov_b64 s[38:39], s[26:27]
	s_branch .LBB206_161
.LBB206_164:
	s_or_b64 exec, exec, s[18:19]
	v_cmp_gt_i64_e32 vcc, s[26:27], v[22:23]
	s_orn2_b64 s[18:19], vcc, exec
.LBB206_165:
	s_or_b64 exec, exec, s[0:1]
.LBB206_166:
	s_and_b64 s[0:1], s[18:19], exec
.LBB206_167:
	s_or_b64 exec, exec, s[14:15]
	v_or_b32_e32 v18, 2, v1
	v_cmp_gt_u32_e32 vcc, s7, v18
	s_and_saveexec_b64 s[14:15], vcc
	s_cbranch_execz .LBB206_178
; %bb.168:
	s_andn2_b64 vcc, exec, s[2:3]
	s_mov_b64 s[18:19], 0
	s_cbranch_vccnz .LBB206_177
; %bb.169:
	v_pk_mov_b32 v[20:21], s[28:29], s[28:29] op_sel:[0,1]
	v_mad_u64_u32 v[18:19], s[12:13], v16, s26, v[20:21]
	v_mul_lo_u32 v22, v16, s27
	v_mul_lo_u32 v23, v17, s26
	v_add3_u32 v19, v23, v19, v22
	v_mad_u64_u32 v[20:21], s[12:13], v10, s26, v[20:21]
	v_mul_lo_u32 v22, v10, s27
	v_mul_lo_u32 v23, v11, s26
	v_add3_u32 v21, v23, v21, v22
	global_load_ubyte v22, v[18:19], off
	global_load_ubyte v23, v[20:21], off
	s_mov_b64 s[18:19], -1
	s_waitcnt vmcnt(0)
	v_cmp_eq_u16_e32 vcc, v22, v23
	s_and_saveexec_b64 s[12:13], vcc
	s_cbranch_execz .LBB206_176
; %bb.170:
	s_mov_b64 s[38:39], 1
	s_mov_b64 s[18:19], 0
                                        ; implicit-def: $sgpr36_sgpr37
	s_branch .LBB206_173
.LBB206_171:                            ;   in Loop: Header=BB206_173 Depth=1
	v_mov_b32_e32 v25, s39
	v_add_co_u32_e32 v22, vcc, s38, v18
	v_addc_co_u32_e32 v23, vcc, v19, v25, vcc
	v_add_co_u32_e32 v24, vcc, s38, v20
	v_addc_co_u32_e32 v25, vcc, v21, v25, vcc
	global_load_ubyte v27, v[22:23], off
	global_load_ubyte v28, v[24:25], off
	s_add_u32 s40, s38, 1
	s_addc_u32 s41, s39, 0
	s_andn2_b64 s[36:37], s[36:37], exec
	s_waitcnt vmcnt(0)
	v_cmp_ne_u16_e32 vcc, v27, v28
	s_and_b64 s[42:43], vcc, exec
	s_or_b64 s[36:37], s[36:37], s[42:43]
.LBB206_172:                            ;   in Loop: Header=BB206_173 Depth=1
	s_and_b64 s[42:43], exec, s[36:37]
	s_or_b64 s[18:19], s[42:43], s[18:19]
	v_pk_mov_b32 v[22:23], s[38:39], s[38:39] op_sel:[0,1]
	s_mov_b64 s[38:39], s[40:41]
	s_andn2_b64 exec, exec, s[18:19]
	s_cbranch_execz .LBB206_175
.LBB206_173:                            ; =>This Inner Loop Header: Depth=1
	s_or_b64 s[36:37], s[36:37], exec
	s_cmp_eq_u64 s[26:27], s[38:39]
	s_cbranch_scc0 .LBB206_171
; %bb.174:                              ;   in Loop: Header=BB206_173 Depth=1
                                        ; implicit-def: $sgpr40_sgpr41
	s_mov_b64 s[38:39], s[26:27]
	s_branch .LBB206_172
.LBB206_175:
	s_or_b64 exec, exec, s[18:19]
	v_cmp_gt_i64_e32 vcc, s[26:27], v[22:23]
	s_orn2_b64 s[18:19], vcc, exec
.LBB206_176:
	s_or_b64 exec, exec, s[12:13]
.LBB206_177:
	s_and_b64 s[12:13], s[18:19], exec
.LBB206_178:
	s_or_b64 exec, exec, s[14:15]
	v_or_b32_e32 v18, 1, v1
	v_cmp_gt_u32_e32 vcc, s7, v18
	s_mov_b64 s[18:19], 0
	s_and_saveexec_b64 s[14:15], vcc
	s_cbranch_execz .LBB206_189
; %bb.179:
	s_andn2_b64 vcc, exec, s[2:3]
	s_mov_b64 s[36:37], 0
	s_cbranch_vccnz .LBB206_188
; %bb.180:
	v_pk_mov_b32 v[20:21], s[28:29], s[28:29] op_sel:[0,1]
	v_mad_u64_u32 v[18:19], s[18:19], v14, s26, v[20:21]
	v_mul_lo_u32 v22, v14, s27
	v_mul_lo_u32 v23, v15, s26
	v_add3_u32 v19, v23, v19, v22
	v_mad_u64_u32 v[20:21], s[18:19], v16, s26, v[20:21]
	v_mul_lo_u32 v22, v16, s27
	v_mul_lo_u32 v23, v17, s26
	v_add3_u32 v21, v23, v21, v22
	global_load_ubyte v22, v[18:19], off
	global_load_ubyte v23, v[20:21], off
	s_mov_b64 s[36:37], -1
	s_waitcnt vmcnt(0)
	v_cmp_eq_u16_e32 vcc, v22, v23
	s_and_saveexec_b64 s[18:19], vcc
	s_cbranch_execz .LBB206_187
; %bb.181:
	s_mov_b64 s[40:41], 1
	s_mov_b64 s[36:37], 0
                                        ; implicit-def: $sgpr38_sgpr39
	s_branch .LBB206_184
.LBB206_182:                            ;   in Loop: Header=BB206_184 Depth=1
	v_mov_b32_e32 v25, s41
	v_add_co_u32_e32 v22, vcc, s40, v18
	v_addc_co_u32_e32 v23, vcc, v19, v25, vcc
	v_add_co_u32_e32 v24, vcc, s40, v20
	v_addc_co_u32_e32 v25, vcc, v21, v25, vcc
	global_load_ubyte v27, v[22:23], off
	global_load_ubyte v28, v[24:25], off
	s_add_u32 s42, s40, 1
	s_addc_u32 s43, s41, 0
	s_andn2_b64 s[38:39], s[38:39], exec
	s_waitcnt vmcnt(0)
	v_cmp_ne_u16_e32 vcc, v27, v28
	s_and_b64 s[44:45], vcc, exec
	s_or_b64 s[38:39], s[38:39], s[44:45]
.LBB206_183:                            ;   in Loop: Header=BB206_184 Depth=1
	s_and_b64 s[44:45], exec, s[38:39]
	s_or_b64 s[36:37], s[44:45], s[36:37]
	v_pk_mov_b32 v[22:23], s[40:41], s[40:41] op_sel:[0,1]
	s_mov_b64 s[40:41], s[42:43]
	s_andn2_b64 exec, exec, s[36:37]
	s_cbranch_execz .LBB206_186
.LBB206_184:                            ; =>This Inner Loop Header: Depth=1
	s_or_b64 s[38:39], s[38:39], exec
	s_cmp_eq_u64 s[26:27], s[40:41]
	s_cbranch_scc0 .LBB206_182
; %bb.185:                              ;   in Loop: Header=BB206_184 Depth=1
                                        ; implicit-def: $sgpr42_sgpr43
	s_mov_b64 s[40:41], s[26:27]
	s_branch .LBB206_183
.LBB206_186:
	s_or_b64 exec, exec, s[36:37]
	v_cmp_gt_i64_e32 vcc, s[26:27], v[22:23]
	s_orn2_b64 s[36:37], vcc, exec
.LBB206_187:
	s_or_b64 exec, exec, s[18:19]
.LBB206_188:
	s_and_b64 s[18:19], s[36:37], exec
.LBB206_189:
	s_or_b64 exec, exec, s[14:15]
	v_cndmask_b32_e64 v19, 0, 1, s[0:1]
	v_cndmask_b32_e64 v20, 0, 1, s[18:19]
	;; [unrolled: 1-line block ×3, first 2 shown]
	v_lshlrev_b16_e32 v20, 8, v20
	v_lshlrev_b16_e32 v19, 8, v19
	v_or_b32_e32 v20, 1, v20
	v_or_b32_sdwa v18, v18, v19 dst_sel:WORD_1 dst_unused:UNUSED_PAD src0_sel:DWORD src1_sel:DWORD
	v_or_b32_sdwa v28, v20, v18 dst_sel:DWORD dst_unused:UNUSED_PAD src0_sel:WORD_0 src1_sel:DWORD
	v_cmp_ne_u32_e32 vcc, 0, v0
	s_waitcnt lgkmcnt(0)
	s_barrier
	s_waitcnt lgkmcnt(0)
                                        ; implicit-def: $sgpr12_sgpr13
	s_and_saveexec_b64 s[0:1], vcc
	s_cbranch_execz .LBB206_202
; %bb.190:
	v_cmp_gt_u32_e32 vcc, s7, v1
	s_mov_b64 s[14:15], 0
	s_and_saveexec_b64 s[12:13], vcc
	s_cbranch_execz .LBB206_201
; %bb.191:
	s_andn2_b64 vcc, exec, s[2:3]
	s_cbranch_vccnz .LBB206_200
; %bb.192:
	v_add_u32_e32 v18, -8, v26
	ds_read_b64 v[18:19], v18
	v_pk_mov_b32 v[20:21], s[28:29], s[28:29] op_sel:[0,1]
	s_mov_b64 s[14:15], -1
	s_waitcnt lgkmcnt(0)
	v_mul_lo_u32 v22, v18, s27
	v_mul_lo_u32 v23, v19, s26
	v_mad_u64_u32 v[18:19], s[2:3], v18, s26, v[20:21]
	v_add3_u32 v19, v23, v19, v22
	v_mad_u64_u32 v[20:21], s[2:3], v14, s26, v[20:21]
	v_mul_lo_u32 v22, v14, s27
	v_mul_lo_u32 v23, v15, s26
	v_add3_u32 v21, v23, v21, v22
	global_load_ubyte v22, v[18:19], off
	global_load_ubyte v23, v[20:21], off
	s_waitcnt vmcnt(0)
	v_cmp_eq_u16_e32 vcc, v22, v23
	s_and_saveexec_b64 s[2:3], vcc
	s_cbranch_execz .LBB206_199
; %bb.193:
	s_mov_b64 s[28:29], 1
	s_mov_b64 s[14:15], 0
                                        ; implicit-def: $sgpr18_sgpr19
	s_branch .LBB206_196
.LBB206_194:                            ;   in Loop: Header=BB206_196 Depth=1
	v_mov_b32_e32 v25, s29
	v_add_co_u32_e32 v22, vcc, s28, v18
	v_addc_co_u32_e32 v23, vcc, v19, v25, vcc
	v_add_co_u32_e32 v24, vcc, s28, v20
	v_addc_co_u32_e32 v25, vcc, v21, v25, vcc
	global_load_ubyte v26, v[22:23], off
	global_load_ubyte v27, v[24:25], off
	s_add_u32 s36, s28, 1
	s_addc_u32 s37, s29, 0
	s_andn2_b64 s[18:19], s[18:19], exec
	s_waitcnt vmcnt(0)
	v_cmp_ne_u16_e32 vcc, v26, v27
	s_and_b64 s[38:39], vcc, exec
	s_or_b64 s[18:19], s[18:19], s[38:39]
.LBB206_195:                            ;   in Loop: Header=BB206_196 Depth=1
	s_and_b64 s[38:39], exec, s[18:19]
	s_or_b64 s[14:15], s[38:39], s[14:15]
	v_pk_mov_b32 v[22:23], s[28:29], s[28:29] op_sel:[0,1]
	s_mov_b64 s[28:29], s[36:37]
	s_andn2_b64 exec, exec, s[14:15]
	s_cbranch_execz .LBB206_198
.LBB206_196:                            ; =>This Inner Loop Header: Depth=1
	s_or_b64 s[18:19], s[18:19], exec
	s_cmp_eq_u64 s[26:27], s[28:29]
	s_cbranch_scc0 .LBB206_194
; %bb.197:                              ;   in Loop: Header=BB206_196 Depth=1
                                        ; implicit-def: $sgpr36_sgpr37
	s_mov_b64 s[28:29], s[26:27]
	s_branch .LBB206_195
.LBB206_198:
	s_or_b64 exec, exec, s[14:15]
	v_cmp_gt_i64_e32 vcc, s[26:27], v[22:23]
	s_orn2_b64 s[14:15], vcc, exec
.LBB206_199:
	s_or_b64 exec, exec, s[2:3]
.LBB206_200:
	s_and_b64 s[14:15], s[14:15], exec
.LBB206_201:
	s_or_b64 exec, exec, s[12:13]
	s_and_b64 s[12:13], s[14:15], exec
	s_or_b64 s[10:11], s[10:11], exec
.LBB206_202:
	s_or_b64 exec, exec, s[0:1]
.LBB206_203:
	s_and_saveexec_b64 s[0:1], s[10:11]
	s_cbranch_execz .LBB206_205
; %bb.204:
	v_and_b32_e32 v18, 0xffffff00, v28
	v_cndmask_b32_e64 v19, 0, 1, s[12:13]
	v_or_b32_e32 v18, v19, v18
	v_and_b32_e32 v18, 0xffff, v18
	s_waitcnt lgkmcnt(0)
	s_mov_b32 s2, 0xffff0000
	v_and_or_b32 v28, v28, s2, v18
.LBB206_205:
	s_or_b64 exec, exec, s[0:1]
	s_andn2_b64 vcc, exec, s[8:9]
	s_cbranch_vccnz .LBB206_207
; %bb.206:
	v_cmp_gt_u32_e32 vcc, s7, v1
	v_cndmask_b32_e32 v18, 0, v28, vcc
	v_or_b32_e32 v19, 1, v1
	v_and_b32_e32 v18, 0xff, v18
	v_cmp_gt_u32_e32 vcc, s7, v19
	v_cndmask_b32_e32 v18, v18, v28, vcc
	v_or_b32_e32 v19, 2, v1
	v_and_b32_e32 v18, 0xffff, v18
	;; [unrolled: 4-line block ×3, first 2 shown]
	v_cmp_gt_u32_e32 vcc, s7, v19
	v_cndmask_b32_e32 v28, v18, v28, vcc
.LBB206_207:
	v_bfe_u32 v30, v28, 16, 8
	v_lshrrev_b32_e32 v29, 24, v28
	v_add_u32_sdwa v18, v28, v28 dst_sel:DWORD dst_unused:UNUSED_PAD src0_sel:BYTE_1 src1_sel:BYTE_0
	v_add3_u32 v33, v18, v30, v29
	v_mbcnt_lo_u32_b32 v18, -1, 0
	v_mbcnt_hi_u32_b32 v31, -1, v18
	v_and_b32_e32 v18, 15, v31
	v_cmp_eq_u32_e64 s[14:15], 0, v18
	v_cmp_lt_u32_e64 s[12:13], 1, v18
	v_cmp_lt_u32_e64 s[10:11], 3, v18
	;; [unrolled: 1-line block ×3, first 2 shown]
	v_and_b32_e32 v18, 16, v31
	v_cmp_eq_u32_e64 s[18:19], 0, v18
	v_or_b32_e32 v18, 63, v0
	v_cmp_lt_u32_e64 s[0:1], 31, v31
	v_lshrrev_b32_e32 v32, 6, v0
	s_waitcnt lgkmcnt(0)
	v_cmp_eq_u32_e64 s[2:3], v18, v0
	s_and_b64 vcc, exec, s[16:17]
	s_barrier
	s_cbranch_vccz .LBB206_234
; %bb.208:
	v_mov_b32_dpp v18, v33 row_shr:1 row_mask:0xf bank_mask:0xf
	v_cndmask_b32_e64 v18, v18, 0, s[14:15]
	v_add_u32_e32 v18, v18, v33
	s_nop 1
	v_mov_b32_dpp v19, v18 row_shr:2 row_mask:0xf bank_mask:0xf
	v_cndmask_b32_e64 v19, 0, v19, s[12:13]
	v_add_u32_e32 v18, v18, v19
	s_nop 1
	;; [unrolled: 4-line block ×4, first 2 shown]
	v_mov_b32_dpp v19, v18 row_bcast:15 row_mask:0xf bank_mask:0xf
	v_cndmask_b32_e64 v19, v19, 0, s[18:19]
	v_add_u32_e32 v18, v18, v19
	s_nop 1
	v_mov_b32_dpp v19, v18 row_bcast:31 row_mask:0xf bank_mask:0xf
	v_cndmask_b32_e64 v19, 0, v19, s[0:1]
	v_add_u32_e32 v18, v18, v19
	s_and_saveexec_b64 s[16:17], s[2:3]
	s_cbranch_execz .LBB206_210
; %bb.209:
	v_lshlrev_b32_e32 v19, 2, v32
	ds_write_b32 v19, v18
.LBB206_210:
	s_or_b64 exec, exec, s[16:17]
	v_cmp_gt_u32_e32 vcc, 2, v0
	s_waitcnt lgkmcnt(0)
	s_barrier
	s_and_saveexec_b64 s[16:17], vcc
	s_cbranch_execz .LBB206_212
; %bb.211:
	ds_read_b32 v19, v1
	v_bfe_i32 v20, v31, 0, 1
	s_waitcnt lgkmcnt(0)
	v_mov_b32_dpp v21, v19 row_shr:1 row_mask:0xf bank_mask:0xf
	v_and_b32_e32 v20, v20, v21
	v_add_u32_e32 v19, v20, v19
	ds_write_b32 v1, v19
.LBB206_212:
	s_or_b64 exec, exec, s[16:17]
	v_cmp_gt_u32_e32 vcc, 64, v0
	v_cmp_lt_u32_e64 s[16:17], 63, v0
	s_waitcnt lgkmcnt(0)
	s_barrier
	s_waitcnt lgkmcnt(0)
                                        ; implicit-def: $vgpr34
	s_and_saveexec_b64 s[26:27], s[16:17]
	s_cbranch_execz .LBB206_214
; %bb.213:
	v_lshl_add_u32 v19, v32, 2, -4
	ds_read_b32 v34, v19
	s_waitcnt lgkmcnt(0)
	v_add_u32_e32 v18, v34, v18
.LBB206_214:
	s_or_b64 exec, exec, s[26:27]
	v_add_u32_e32 v19, -1, v31
	v_and_b32_e32 v20, 64, v31
	v_cmp_lt_i32_e64 s[16:17], v19, v20
	v_cndmask_b32_e64 v19, v19, v31, s[16:17]
	v_lshlrev_b32_e32 v19, 2, v19
	ds_bpermute_b32 v35, v19, v18
	v_cmp_eq_u32_e64 s[16:17], 0, v31
	s_and_saveexec_b64 s[26:27], vcc
	s_cbranch_execz .LBB206_233
; %bb.215:
	v_mov_b32_e32 v25, 0
	ds_read_b32 v18, v25 offset:4
	s_and_saveexec_b64 s[28:29], s[16:17]
	s_cbranch_execz .LBB206_217
; %bb.216:
	s_add_i32 s36, s6, 64
	s_mov_b32 s37, 0
	s_lshl_b64 s[36:37], s[36:37], 3
	s_add_u32 s36, s30, s36
	v_mov_b32_e32 v19, 1
	s_addc_u32 s37, s31, s37
	s_waitcnt lgkmcnt(0)
	global_store_dwordx2 v25, v[18:19], s[36:37]
.LBB206_217:
	s_or_b64 exec, exec, s[28:29]
	v_xad_u32 v20, v31, -1, s6
	v_add_u32_e32 v24, 64, v20
	v_lshlrev_b64 v[22:23], 3, v[24:25]
	v_mov_b32_e32 v19, s31
	v_add_co_u32_e32 v26, vcc, s30, v22
	v_addc_co_u32_e32 v27, vcc, v19, v23, vcc
	global_load_dwordx2 v[22:23], v[26:27], off glc
	s_waitcnt vmcnt(0)
	v_cmp_eq_u16_sdwa s[36:37], v23, v25 src0_sel:BYTE_0 src1_sel:DWORD
	s_and_saveexec_b64 s[28:29], s[36:37]
	s_cbranch_execz .LBB206_221
; %bb.218:
	s_mov_b64 s[36:37], 0
	v_mov_b32_e32 v19, 0
.LBB206_219:                            ; =>This Inner Loop Header: Depth=1
	global_load_dwordx2 v[22:23], v[26:27], off glc
	s_waitcnt vmcnt(0)
	v_cmp_ne_u16_sdwa s[38:39], v23, v19 src0_sel:BYTE_0 src1_sel:DWORD
	s_or_b64 s[36:37], s[38:39], s[36:37]
	s_andn2_b64 exec, exec, s[36:37]
	s_cbranch_execnz .LBB206_219
; %bb.220:
	s_or_b64 exec, exec, s[36:37]
.LBB206_221:
	s_or_b64 exec, exec, s[28:29]
	v_and_b32_e32 v36, 63, v31
	v_mov_b32_e32 v19, 2
	v_cmp_ne_u32_e32 vcc, 63, v36
	v_cmp_eq_u16_sdwa s[28:29], v23, v19 src0_sel:BYTE_0 src1_sel:DWORD
	v_lshlrev_b64 v[24:25], v31, -1
	v_addc_co_u32_e32 v27, vcc, 0, v31, vcc
	v_and_b32_e32 v21, s29, v25
	v_lshlrev_b32_e32 v37, 2, v27
	v_or_b32_e32 v21, 0x80000000, v21
	ds_bpermute_b32 v27, v37, v22
	v_and_b32_e32 v26, s28, v24
	v_ffbl_b32_e32 v21, v21
	v_add_u32_e32 v21, 32, v21
	v_ffbl_b32_e32 v26, v26
	v_min_u32_e32 v21, v26, v21
	v_cmp_lt_u32_e32 vcc, v36, v21
	s_waitcnt lgkmcnt(0)
	v_cndmask_b32_e32 v26, 0, v27, vcc
	v_cmp_gt_u32_e32 vcc, 62, v36
	v_add_u32_e32 v22, v26, v22
	v_cndmask_b32_e64 v26, 0, 1, vcc
	v_lshlrev_b32_e32 v26, 1, v26
	v_add_lshl_u32 v38, v26, v31, 2
	ds_bpermute_b32 v26, v38, v22
	v_add_u32_e32 v39, 2, v36
	v_cmp_le_u32_e32 vcc, v39, v21
	v_add_u32_e32 v41, 4, v36
	v_add_u32_e32 v43, 8, v36
	s_waitcnt lgkmcnt(0)
	v_cndmask_b32_e32 v26, 0, v26, vcc
	v_cmp_gt_u32_e32 vcc, 60, v36
	v_add_u32_e32 v22, v22, v26
	v_cndmask_b32_e64 v26, 0, 1, vcc
	v_lshlrev_b32_e32 v26, 2, v26
	v_add_lshl_u32 v40, v26, v31, 2
	ds_bpermute_b32 v26, v40, v22
	v_cmp_le_u32_e32 vcc, v41, v21
	v_add_u32_e32 v46, 16, v36
	v_add_u32_e32 v48, 32, v36
	s_waitcnt lgkmcnt(0)
	v_cndmask_b32_e32 v26, 0, v26, vcc
	v_cmp_gt_u32_e32 vcc, 56, v36
	v_add_u32_e32 v22, v22, v26
	v_cndmask_b32_e64 v26, 0, 1, vcc
	v_lshlrev_b32_e32 v26, 3, v26
	v_add_lshl_u32 v42, v26, v31, 2
	ds_bpermute_b32 v26, v42, v22
	v_cmp_le_u32_e32 vcc, v43, v21
	s_waitcnt lgkmcnt(0)
	v_cndmask_b32_e32 v26, 0, v26, vcc
	v_cmp_gt_u32_e32 vcc, 48, v36
	v_add_u32_e32 v22, v22, v26
	v_cndmask_b32_e64 v26, 0, 1, vcc
	v_lshlrev_b32_e32 v26, 4, v26
	v_add_lshl_u32 v45, v26, v31, 2
	ds_bpermute_b32 v26, v45, v22
	v_cmp_le_u32_e32 vcc, v46, v21
	s_waitcnt lgkmcnt(0)
	v_cndmask_b32_e32 v26, 0, v26, vcc
	v_cmp_gt_u32_e32 vcc, 32, v36
	v_add_u32_e32 v22, v22, v26
	v_cndmask_b32_e64 v26, 0, 1, vcc
	v_lshlrev_b32_e32 v26, 5, v26
	v_add_lshl_u32 v47, v26, v31, 2
	ds_bpermute_b32 v26, v47, v22
	v_cmp_le_u32_e32 vcc, v48, v21
	s_waitcnt lgkmcnt(0)
	v_cndmask_b32_e32 v21, 0, v26, vcc
	v_add_u32_e32 v22, v22, v21
	v_mov_b32_e32 v21, 0
	s_branch .LBB206_223
.LBB206_222:                            ;   in Loop: Header=BB206_223 Depth=1
	s_or_b64 exec, exec, s[28:29]
	v_cmp_eq_u16_sdwa s[28:29], v23, v19 src0_sel:BYTE_0 src1_sel:DWORD
	v_and_b32_e32 v26, s29, v25
	v_or_b32_e32 v26, 0x80000000, v26
	ds_bpermute_b32 v49, v37, v22
	v_and_b32_e32 v27, s28, v24
	v_ffbl_b32_e32 v26, v26
	v_add_u32_e32 v26, 32, v26
	v_ffbl_b32_e32 v27, v27
	v_min_u32_e32 v26, v27, v26
	v_cmp_lt_u32_e32 vcc, v36, v26
	s_waitcnt lgkmcnt(0)
	v_cndmask_b32_e32 v27, 0, v49, vcc
	v_add_u32_e32 v22, v27, v22
	ds_bpermute_b32 v27, v38, v22
	v_cmp_le_u32_e32 vcc, v39, v26
	v_subrev_u32_e32 v20, 64, v20
	s_waitcnt lgkmcnt(0)
	v_cndmask_b32_e32 v27, 0, v27, vcc
	v_add_u32_e32 v22, v22, v27
	ds_bpermute_b32 v27, v40, v22
	v_cmp_le_u32_e32 vcc, v41, v26
	s_waitcnt lgkmcnt(0)
	v_cndmask_b32_e32 v27, 0, v27, vcc
	v_add_u32_e32 v22, v22, v27
	ds_bpermute_b32 v27, v42, v22
	v_cmp_le_u32_e32 vcc, v43, v26
	;; [unrolled: 5-line block ×4, first 2 shown]
	s_waitcnt lgkmcnt(0)
	v_cndmask_b32_e32 v26, 0, v27, vcc
	v_add3_u32 v22, v26, v44, v22
.LBB206_223:                            ; =>This Loop Header: Depth=1
                                        ;     Child Loop BB206_226 Depth 2
	v_cmp_ne_u16_sdwa s[28:29], v23, v19 src0_sel:BYTE_0 src1_sel:DWORD
	v_cndmask_b32_e64 v23, 0, 1, s[28:29]
	;;#ASMSTART
	;;#ASMEND
	v_cmp_ne_u32_e32 vcc, 0, v23
	s_cmp_lg_u64 vcc, exec
	v_mov_b32_e32 v44, v22
	s_cbranch_scc1 .LBB206_228
; %bb.224:                              ;   in Loop: Header=BB206_223 Depth=1
	v_lshlrev_b64 v[22:23], 3, v[20:21]
	v_mov_b32_e32 v27, s31
	v_add_co_u32_e32 v26, vcc, s30, v22
	v_addc_co_u32_e32 v27, vcc, v27, v23, vcc
	global_load_dwordx2 v[22:23], v[26:27], off glc
	s_waitcnt vmcnt(0)
	v_cmp_eq_u16_sdwa s[36:37], v23, v21 src0_sel:BYTE_0 src1_sel:DWORD
	s_and_saveexec_b64 s[28:29], s[36:37]
	s_cbranch_execz .LBB206_222
; %bb.225:                              ;   in Loop: Header=BB206_223 Depth=1
	s_mov_b64 s[36:37], 0
.LBB206_226:                            ;   Parent Loop BB206_223 Depth=1
                                        ; =>  This Inner Loop Header: Depth=2
	global_load_dwordx2 v[22:23], v[26:27], off glc
	s_waitcnt vmcnt(0)
	v_cmp_ne_u16_sdwa s[38:39], v23, v21 src0_sel:BYTE_0 src1_sel:DWORD
	s_or_b64 s[36:37], s[38:39], s[36:37]
	s_andn2_b64 exec, exec, s[36:37]
	s_cbranch_execnz .LBB206_226
; %bb.227:                              ;   in Loop: Header=BB206_223 Depth=1
	s_or_b64 exec, exec, s[36:37]
	s_branch .LBB206_222
.LBB206_228:                            ;   in Loop: Header=BB206_223 Depth=1
                                        ; implicit-def: $vgpr22
                                        ; implicit-def: $vgpr23
	s_cbranch_execz .LBB206_223
; %bb.229:
	s_and_saveexec_b64 s[28:29], s[16:17]
	s_cbranch_execz .LBB206_231
; %bb.230:
	s_add_i32 s6, s6, 64
	s_mov_b32 s7, 0
	s_lshl_b64 s[6:7], s[6:7], 3
	s_add_u32 s6, s30, s6
	v_add_u32_e32 v20, v44, v18
	v_mov_b32_e32 v21, 2
	s_addc_u32 s7, s31, s7
	v_mov_b32_e32 v19, 0
	global_store_dwordx2 v19, v[20:21], s[6:7]
	s_movk_i32 s6, 0x1000
	v_add_u32_e64 v19, s6, 0
	ds_write2_b32 v19, v18, v44 offset0:32 offset1:34
.LBB206_231:
	s_or_b64 exec, exec, s[28:29]
	v_cmp_eq_u32_e32 vcc, 0, v0
	s_and_b64 exec, exec, vcc
	s_cbranch_execz .LBB206_233
; %bb.232:
	v_mov_b32_e32 v18, 0
	ds_write_b32 v18, v44 offset:4
.LBB206_233:
	s_or_b64 exec, exec, s[26:27]
	v_mov_b32_e32 v19, 0
	s_waitcnt lgkmcnt(0)
	s_barrier
	ds_read_b32 v19, v19 offset:4
	s_movk_i32 s6, 0x1000
	v_add_u32_e64 v20, s6, 0
	v_cndmask_b32_e64 v18, v35, v34, s[16:17]
	v_cmp_ne_u32_e32 vcc, 0, v0
	s_waitcnt lgkmcnt(0)
	s_barrier
	ds_read2_b32 v[26:27], v20 offset0:32 offset1:34
	v_cndmask_b32_e32 v18, 0, v18, vcc
	v_add_u32_e32 v24, v19, v18
	v_add_u32_sdwa v22, v24, v28 dst_sel:DWORD dst_unused:UNUSED_PAD src0_sel:DWORD src1_sel:BYTE_0
	v_add_u32_sdwa v20, v22, v28 dst_sel:DWORD dst_unused:UNUSED_PAD src0_sel:DWORD src1_sel:BYTE_1
	v_add_u32_e32 v18, v20, v30
	s_waitcnt lgkmcnt(0)
	v_readfirstlane_b32 s26, v26
	v_readfirstlane_b32 s16, v27
	s_branch .LBB206_244
.LBB206_234:
                                        ; implicit-def: $vgpr18
                                        ; implicit-def: $vgpr20
                                        ; implicit-def: $vgpr22
                                        ; implicit-def: $vgpr24
                                        ; implicit-def: $sgpr16
                                        ; implicit-def: $sgpr26
	s_cbranch_execz .LBB206_244
; %bb.235:
	s_nop 0
	v_mov_b32_dpp v18, v33 row_shr:1 row_mask:0xf bank_mask:0xf
	v_cndmask_b32_e64 v18, v18, 0, s[14:15]
	v_add_u32_e32 v18, v18, v33
	s_nop 1
	v_mov_b32_dpp v19, v18 row_shr:2 row_mask:0xf bank_mask:0xf
	v_cndmask_b32_e64 v19, 0, v19, s[12:13]
	v_add_u32_e32 v18, v18, v19
	;; [unrolled: 4-line block ×4, first 2 shown]
	s_nop 1
	v_mov_b32_dpp v19, v18 row_bcast:15 row_mask:0xf bank_mask:0xf
	v_cndmask_b32_e64 v19, v19, 0, s[18:19]
	v_add_u32_e32 v18, v18, v19
	s_nop 1
	v_mov_b32_dpp v19, v18 row_bcast:31 row_mask:0xf bank_mask:0xf
	v_cndmask_b32_e64 v19, 0, v19, s[0:1]
	v_add_u32_e32 v18, v18, v19
	s_and_saveexec_b64 s[0:1], s[2:3]
	s_cbranch_execz .LBB206_237
; %bb.236:
	v_lshlrev_b32_e32 v19, 2, v32
	ds_write_b32 v19, v18
.LBB206_237:
	s_or_b64 exec, exec, s[0:1]
	v_cmp_gt_u32_e32 vcc, 2, v0
	s_waitcnt lgkmcnt(0)
	s_barrier
	s_and_saveexec_b64 s[0:1], vcc
	s_cbranch_execz .LBB206_239
; %bb.238:
	ds_read_b32 v19, v1
	v_bfe_i32 v20, v31, 0, 1
	s_waitcnt lgkmcnt(0)
	v_mov_b32_dpp v21, v19 row_shr:1 row_mask:0xf bank_mask:0xf
	v_and_b32_e32 v20, v20, v21
	v_add_u32_e32 v19, v20, v19
	ds_write_b32 v1, v19
.LBB206_239:
	s_or_b64 exec, exec, s[0:1]
	v_cmp_lt_u32_e32 vcc, 63, v0
	v_mov_b32_e32 v19, 0
	v_mov_b32_e32 v1, 0
	s_waitcnt lgkmcnt(0)
	s_barrier
	s_and_saveexec_b64 s[0:1], vcc
	s_cbranch_execz .LBB206_241
; %bb.240:
	v_lshl_add_u32 v1, v32, 2, -4
	ds_read_b32 v1, v1
.LBB206_241:
	s_or_b64 exec, exec, s[0:1]
	v_add_u32_e32 v20, -1, v31
	v_and_b32_e32 v21, 64, v31
	v_cmp_lt_i32_e32 vcc, v20, v21
	v_cndmask_b32_e32 v20, v20, v31, vcc
	s_waitcnt lgkmcnt(0)
	v_add_u32_e32 v18, v1, v18
	v_lshlrev_b32_e32 v20, 2, v20
	ds_read_b32 v19, v19 offset:4
	ds_bpermute_b32 v18, v20, v18
	s_mov_b32 s16, 0
	v_cmp_eq_u32_e32 vcc, 0, v0
	s_waitcnt lgkmcnt(1)
	v_readfirstlane_b32 s26, v19
	s_and_saveexec_b64 s[0:1], vcc
	s_cbranch_execz .LBB206_243
; %bb.242:
	v_mov_b32_e32 v19, 0
	v_mov_b32_e32 v20, s26
	;; [unrolled: 1-line block ×3, first 2 shown]
	global_store_dwordx2 v19, v[20:21], s[30:31] offset:512
.LBB206_243:
	s_or_b64 exec, exec, s[0:1]
	v_cmp_eq_u32_e64 s[0:1], 0, v31
	s_waitcnt lgkmcnt(0)
	v_cndmask_b32_e64 v1, v18, v1, s[0:1]
	v_cndmask_b32_e64 v24, v1, 0, vcc
	v_add_u32_sdwa v22, v24, v28 dst_sel:DWORD dst_unused:UNUSED_PAD src0_sel:DWORD src1_sel:BYTE_0
	v_add_u32_sdwa v20, v22, v28 dst_sel:DWORD dst_unused:UNUSED_PAD src0_sel:DWORD src1_sel:BYTE_1
	v_add_u32_e32 v18, v20, v30
	s_barrier
.LBB206_244:
	s_load_dwordx4 s[4:7], s[4:5], 0x28
	s_cmpk_lt_u32 s26, 0x81
	s_cselect_b64 s[2:3], -1, 0
	v_lshrrev_b32_e32 v1, 8, v28
	s_mov_b64 s[0:1], -1
	s_and_b64 vcc, exec, s[2:3]
	s_cbranch_vccz .LBB206_258
; %bb.245:
	s_add_i32 s8, s16, s26
	v_cmp_gt_u32_e32 vcc, s8, v24
	s_or_b64 s[10:11], s[34:35], vcc
	s_and_saveexec_b64 s[0:1], s[10:11]
	s_cbranch_execz .LBB206_248
; %bb.246:
	v_and_b32_e32 v19, 1, v28
	v_cmp_eq_u32_e32 vcc, 1, v19
	s_and_b64 exec, exec, vcc
	s_cbranch_execz .LBB206_248
; %bb.247:
	s_lshl_b64 s[10:11], s[22:23], 3
	s_waitcnt lgkmcnt(0)
	s_add_u32 s9, s4, s10
	v_mov_b32_e32 v25, 0
	s_addc_u32 s10, s5, s11
	v_lshlrev_b64 v[26:27], 3, v[24:25]
	v_mov_b32_e32 v19, s10
	v_add_co_u32_e32 v26, vcc, s9, v26
	v_addc_co_u32_e32 v27, vcc, v19, v27, vcc
	global_store_dwordx2 v[26:27], v[14:15], off
.LBB206_248:
	s_or_b64 exec, exec, s[0:1]
	v_cmp_gt_u32_e32 vcc, s8, v22
	s_or_b64 s[10:11], s[34:35], vcc
	s_and_saveexec_b64 s[0:1], s[10:11]
	s_cbranch_execz .LBB206_251
; %bb.249:
	v_and_b32_e32 v19, 1, v1
	v_cmp_eq_u32_e32 vcc, 1, v19
	s_and_b64 exec, exec, vcc
	s_cbranch_execz .LBB206_251
; %bb.250:
	s_lshl_b64 s[10:11], s[22:23], 3
	s_waitcnt lgkmcnt(0)
	s_add_u32 s9, s4, s10
	v_mov_b32_e32 v23, 0
	s_addc_u32 s10, s5, s11
	v_lshlrev_b64 v[26:27], 3, v[22:23]
	v_mov_b32_e32 v19, s10
	v_add_co_u32_e32 v26, vcc, s9, v26
	v_addc_co_u32_e32 v27, vcc, v19, v27, vcc
	global_store_dwordx2 v[26:27], v[16:17], off
.LBB206_251:
	s_or_b64 exec, exec, s[0:1]
	v_cmp_gt_u32_e32 vcc, s8, v20
	s_or_b64 s[10:11], s[34:35], vcc
	s_and_saveexec_b64 s[0:1], s[10:11]
	s_cbranch_execz .LBB206_254
; %bb.252:
	v_mov_b32_e32 v19, 1
	v_and_b32_sdwa v19, v19, v28 dst_sel:DWORD dst_unused:UNUSED_PAD src0_sel:DWORD src1_sel:WORD_1
	v_cmp_eq_u32_e32 vcc, 1, v19
	s_and_b64 exec, exec, vcc
	s_cbranch_execz .LBB206_254
; %bb.253:
	s_lshl_b64 s[10:11], s[22:23], 3
	s_waitcnt lgkmcnt(0)
	s_add_u32 s9, s4, s10
	v_mov_b32_e32 v21, 0
	s_addc_u32 s10, s5, s11
	v_lshlrev_b64 v[26:27], 3, v[20:21]
	v_mov_b32_e32 v19, s10
	v_add_co_u32_e32 v26, vcc, s9, v26
	v_addc_co_u32_e32 v27, vcc, v19, v27, vcc
	global_store_dwordx2 v[26:27], v[10:11], off
.LBB206_254:
	s_or_b64 exec, exec, s[0:1]
	v_cmp_gt_u32_e32 vcc, s8, v18
	s_or_b64 s[8:9], s[34:35], vcc
	s_and_saveexec_b64 s[0:1], s[8:9]
	s_cbranch_execz .LBB206_257
; %bb.255:
	v_and_b32_e32 v19, 1, v29
	v_cmp_eq_u32_e32 vcc, 1, v19
	s_and_b64 exec, exec, vcc
	s_cbranch_execz .LBB206_257
; %bb.256:
	s_lshl_b64 s[8:9], s[22:23], 3
	s_waitcnt lgkmcnt(0)
	s_add_u32 s8, s4, s8
	v_mov_b32_e32 v19, 0
	s_addc_u32 s9, s5, s9
	v_lshlrev_b64 v[26:27], 3, v[18:19]
	v_mov_b32_e32 v19, s9
	v_add_co_u32_e32 v26, vcc, s8, v26
	v_addc_co_u32_e32 v27, vcc, v19, v27, vcc
	global_store_dwordx2 v[26:27], v[12:13], off
.LBB206_257:
	s_or_b64 exec, exec, s[0:1]
	s_mov_b64 s[0:1], 0
.LBB206_258:
	v_and_b32_e32 v26, 1, v28
	s_and_b64 vcc, exec, s[0:1]
	v_cmp_eq_u32_e64 s[0:1], 1, v26
	s_cbranch_vccz .LBB206_271
; %bb.259:
	s_and_saveexec_b64 s[8:9], s[0:1]
	s_cbranch_execz .LBB206_261
; %bb.260:
	v_subrev_u32_e32 v19, s16, v24
	v_lshlrev_b32_e32 v19, 3, v19
	ds_write_b64 v19, v[14:15]
.LBB206_261:
	s_or_b64 exec, exec, s[8:9]
	v_and_b32_e32 v14, 1, v1
	v_cmp_eq_u32_e32 vcc, 1, v14
	s_and_saveexec_b64 s[0:1], vcc
	s_cbranch_execz .LBB206_263
; %bb.262:
	v_subrev_u32_e32 v14, s16, v22
	v_lshlrev_b32_e32 v14, 3, v14
	ds_write_b64 v14, v[16:17]
.LBB206_263:
	s_or_b64 exec, exec, s[0:1]
	v_mov_b32_e32 v14, 1
	v_and_b32_sdwa v14, v14, v28 dst_sel:DWORD dst_unused:UNUSED_PAD src0_sel:DWORD src1_sel:WORD_1
	v_cmp_eq_u32_e32 vcc, 1, v14
	s_and_saveexec_b64 s[0:1], vcc
	s_cbranch_execz .LBB206_265
; %bb.264:
	v_subrev_u32_e32 v14, s16, v20
	v_lshlrev_b32_e32 v14, 3, v14
	ds_write_b64 v14, v[10:11]
.LBB206_265:
	s_or_b64 exec, exec, s[0:1]
	v_and_b32_e32 v10, 1, v29
	v_cmp_eq_u32_e32 vcc, 1, v10
	s_and_saveexec_b64 s[0:1], vcc
	s_cbranch_execz .LBB206_267
; %bb.266:
	v_subrev_u32_e32 v10, s16, v18
	v_lshlrev_b32_e32 v10, 3, v10
	ds_write_b64 v10, v[12:13]
.LBB206_267:
	s_or_b64 exec, exec, s[0:1]
	v_cmp_gt_u32_e32 vcc, s26, v0
	s_waitcnt lgkmcnt(0)
	s_barrier
	s_and_saveexec_b64 s[0:1], vcc
	s_cbranch_execz .LBB206_270
; %bb.268:
	s_mov_b32 s17, 0
	s_lshl_b64 s[8:9], s[16:17], 3
	s_add_u32 s8, s4, s8
	s_addc_u32 s9, s5, s9
	s_lshl_b64 s[4:5], s[22:23], 3
	s_add_u32 s8, s8, s4
	s_addc_u32 s9, s9, s5
	v_lshlrev_b32_e32 v12, 3, v0
	s_mov_b64 s[4:5], 0
	v_mov_b32_e32 v11, 0
	v_mov_b32_e32 v13, s9
	;; [unrolled: 1-line block ×3, first 2 shown]
.LBB206_269:                            ; =>This Inner Loop Header: Depth=1
	ds_read_b64 v[14:15], v12
	v_lshlrev_b64 v[16:17], 3, v[10:11]
	v_add_co_u32_e32 v16, vcc, s8, v16
	v_add_u32_e32 v10, 0x80, v10
	v_addc_co_u32_e32 v17, vcc, v13, v17, vcc
	v_cmp_le_u32_e32 vcc, s26, v10
	v_add_u32_e32 v12, 0x400, v12
	s_or_b64 s[4:5], vcc, s[4:5]
	s_waitcnt lgkmcnt(0)
	global_store_dwordx2 v[16:17], v[14:15], off
	s_andn2_b64 exec, exec, s[4:5]
	s_cbranch_execnz .LBB206_269
.LBB206_270:
	s_or_b64 exec, exec, s[0:1]
.LBB206_271:
	s_mov_b64 s[0:1], -1
	s_and_b64 vcc, exec, s[2:3]
	s_waitcnt lgkmcnt(0)
	s_barrier
	s_cbranch_vccnz .LBB206_275
; %bb.272:
	s_and_b64 vcc, exec, s[0:1]
	s_cbranch_vccnz .LBB206_288
.LBB206_273:
	v_cmp_eq_u32_e32 vcc, 0, v0
	s_and_b64 s[0:1], vcc, s[24:25]
	s_and_saveexec_b64 s[2:3], s[0:1]
	s_cbranch_execnz .LBB206_300
.LBB206_274:
	s_endpgm
.LBB206_275:
	s_add_i32 s2, s16, s26
	v_cmp_gt_u32_e32 vcc, s2, v24
	s_or_b64 s[4:5], s[34:35], vcc
	s_and_saveexec_b64 s[0:1], s[4:5]
	s_cbranch_execz .LBB206_278
; %bb.276:
	v_cmp_eq_u32_e32 vcc, 1, v26
	s_and_b64 exec, exec, vcc
	s_cbranch_execz .LBB206_278
; %bb.277:
	s_lshl_b64 s[4:5], s[22:23], 3
	s_add_u32 s3, s6, s4
	v_mov_b32_e32 v25, 0
	s_addc_u32 s4, s7, s5
	v_lshlrev_b64 v[10:11], 3, v[24:25]
	v_mov_b32_e32 v12, s4
	v_add_co_u32_e32 v10, vcc, s3, v10
	v_addc_co_u32_e32 v11, vcc, v12, v11, vcc
	global_store_dwordx2 v[10:11], v[6:7], off
.LBB206_278:
	s_or_b64 exec, exec, s[0:1]
	v_cmp_gt_u32_e32 vcc, s2, v22
	s_or_b64 s[4:5], s[34:35], vcc
	s_and_saveexec_b64 s[0:1], s[4:5]
	s_cbranch_execz .LBB206_281
; %bb.279:
	v_and_b32_e32 v10, 1, v1
	v_cmp_eq_u32_e32 vcc, 1, v10
	s_and_b64 exec, exec, vcc
	s_cbranch_execz .LBB206_281
; %bb.280:
	s_lshl_b64 s[4:5], s[22:23], 3
	s_add_u32 s3, s6, s4
	v_mov_b32_e32 v23, 0
	s_addc_u32 s4, s7, s5
	v_lshlrev_b64 v[10:11], 3, v[22:23]
	v_mov_b32_e32 v12, s4
	v_add_co_u32_e32 v10, vcc, s3, v10
	v_addc_co_u32_e32 v11, vcc, v12, v11, vcc
	global_store_dwordx2 v[10:11], v[8:9], off
.LBB206_281:
	s_or_b64 exec, exec, s[0:1]
	v_cmp_gt_u32_e32 vcc, s2, v20
	s_or_b64 s[4:5], s[34:35], vcc
	s_and_saveexec_b64 s[0:1], s[4:5]
	s_cbranch_execz .LBB206_284
; %bb.282:
	v_mov_b32_e32 v10, 1
	v_and_b32_sdwa v10, v10, v28 dst_sel:DWORD dst_unused:UNUSED_PAD src0_sel:DWORD src1_sel:WORD_1
	v_cmp_eq_u32_e32 vcc, 1, v10
	s_and_b64 exec, exec, vcc
	s_cbranch_execz .LBB206_284
; %bb.283:
	s_lshl_b64 s[4:5], s[22:23], 3
	s_add_u32 s3, s6, s4
	v_mov_b32_e32 v21, 0
	s_addc_u32 s4, s7, s5
	v_lshlrev_b64 v[10:11], 3, v[20:21]
	v_mov_b32_e32 v12, s4
	v_add_co_u32_e32 v10, vcc, s3, v10
	v_addc_co_u32_e32 v11, vcc, v12, v11, vcc
	global_store_dwordx2 v[10:11], v[2:3], off
.LBB206_284:
	s_or_b64 exec, exec, s[0:1]
	v_cmp_gt_u32_e32 vcc, s2, v18
	s_or_b64 s[2:3], s[34:35], vcc
	s_and_saveexec_b64 s[0:1], s[2:3]
	s_cbranch_execz .LBB206_287
; %bb.285:
	v_and_b32_e32 v10, 1, v29
	v_cmp_eq_u32_e32 vcc, 1, v10
	s_and_b64 exec, exec, vcc
	s_cbranch_execz .LBB206_287
; %bb.286:
	s_lshl_b64 s[2:3], s[22:23], 3
	s_add_u32 s2, s6, s2
	v_mov_b32_e32 v19, 0
	s_addc_u32 s3, s7, s3
	v_lshlrev_b64 v[10:11], 3, v[18:19]
	v_mov_b32_e32 v12, s3
	v_add_co_u32_e32 v10, vcc, s2, v10
	v_addc_co_u32_e32 v11, vcc, v12, v11, vcc
	global_store_dwordx2 v[10:11], v[4:5], off
.LBB206_287:
	s_or_b64 exec, exec, s[0:1]
	s_branch .LBB206_273
.LBB206_288:
	v_cmp_eq_u32_e32 vcc, 1, v26
	s_and_saveexec_b64 s[0:1], vcc
	s_cbranch_execz .LBB206_290
; %bb.289:
	v_subrev_u32_e32 v10, s16, v24
	v_lshlrev_b32_e32 v10, 3, v10
	ds_write_b64 v10, v[6:7]
.LBB206_290:
	s_or_b64 exec, exec, s[0:1]
	v_and_b32_e32 v1, 1, v1
	v_cmp_eq_u32_e32 vcc, 1, v1
	s_and_saveexec_b64 s[0:1], vcc
	s_cbranch_execz .LBB206_292
; %bb.291:
	v_subrev_u32_e32 v1, s16, v22
	v_lshlrev_b32_e32 v1, 3, v1
	ds_write_b64 v1, v[8:9]
.LBB206_292:
	s_or_b64 exec, exec, s[0:1]
	v_mov_b32_e32 v1, 1
	v_and_b32_sdwa v1, v1, v28 dst_sel:DWORD dst_unused:UNUSED_PAD src0_sel:DWORD src1_sel:WORD_1
	v_cmp_eq_u32_e32 vcc, 1, v1
	s_and_saveexec_b64 s[0:1], vcc
	s_cbranch_execz .LBB206_294
; %bb.293:
	v_subrev_u32_e32 v1, s16, v20
	v_lshlrev_b32_e32 v1, 3, v1
	ds_write_b64 v1, v[2:3]
.LBB206_294:
	s_or_b64 exec, exec, s[0:1]
	v_and_b32_e32 v1, 1, v29
	v_cmp_eq_u32_e32 vcc, 1, v1
	s_and_saveexec_b64 s[0:1], vcc
	s_cbranch_execz .LBB206_296
; %bb.295:
	v_subrev_u32_e32 v1, s16, v18
	v_lshlrev_b32_e32 v1, 3, v1
	ds_write_b64 v1, v[4:5]
.LBB206_296:
	s_or_b64 exec, exec, s[0:1]
	v_cmp_gt_u32_e32 vcc, s26, v0
	s_waitcnt lgkmcnt(0)
	s_barrier
	s_and_saveexec_b64 s[0:1], vcc
	s_cbranch_execz .LBB206_299
; %bb.297:
	s_mov_b32 s17, 0
	s_lshl_b64 s[2:3], s[16:17], 3
	s_add_u32 s4, s6, s2
	s_addc_u32 s5, s7, s3
	s_lshl_b64 s[2:3], s[22:23], 3
	s_add_u32 s4, s4, s2
	s_addc_u32 s5, s5, s3
	v_lshlrev_b32_e32 v1, 3, v0
	s_mov_b64 s[2:3], 0
	v_mov_b32_e32 v3, 0
	v_mov_b32_e32 v4, s5
	;; [unrolled: 1-line block ×3, first 2 shown]
.LBB206_298:                            ; =>This Inner Loop Header: Depth=1
	ds_read_b64 v[6:7], v1
	v_lshlrev_b64 v[8:9], 3, v[2:3]
	v_add_co_u32_e32 v8, vcc, s4, v8
	v_add_u32_e32 v2, 0x80, v2
	v_addc_co_u32_e32 v9, vcc, v4, v9, vcc
	v_cmp_le_u32_e32 vcc, s26, v2
	v_add_u32_e32 v1, 0x400, v1
	s_or_b64 s[2:3], vcc, s[2:3]
	s_waitcnt lgkmcnt(0)
	global_store_dwordx2 v[8:9], v[6:7], off
	s_andn2_b64 exec, exec, s[2:3]
	s_cbranch_execnz .LBB206_298
.LBB206_299:
	s_or_b64 exec, exec, s[0:1]
	v_cmp_eq_u32_e32 vcc, 0, v0
	s_and_b64 s[0:1], vcc, s[24:25]
	s_and_saveexec_b64 s[2:3], s[0:1]
	s_cbranch_execz .LBB206_274
.LBB206_300:
	s_add_u32 s0, s22, s26
	s_addc_u32 s1, s23, 0
	s_add_u32 s0, s0, s16
	s_addc_u32 s1, s1, 0
	v_mov_b32_e32 v2, 0
	v_pk_mov_b32 v[0:1], s[0:1], s[0:1] op_sel:[0,1]
	global_store_dwordx2 v2, v[0:1], s[20:21]
	s_endpgm
	.section	.rodata,"a",@progbits
	.p2align	6, 0x0
	.amdhsa_kernel _ZN7rocprim17ROCPRIM_400000_NS6detail17trampoline_kernelINS0_14default_configENS1_25partition_config_selectorILNS1_17partition_subalgoE9EllbEEZZNS1_14partition_implILS5_9ELb0ES3_jPlS8_PNS0_10empty_typeENS0_5tupleIJS8_S9_EEENSB_IJS8_SA_EEENS0_18inequality_wrapperIZN2at6native12_GLOBAL__N_124unique_dim_cuda_templateIhEESt5tupleIJNSF_6TensorESK_SK_EERKSK_lbbbEUlllE0_EEPmJS9_EEE10hipError_tPvRmT3_T4_T5_T6_T7_T9_mT8_P12ihipStream_tbDpT10_ENKUlT_T0_E_clISt17integral_constantIbLb0EES1A_EEDaS15_S16_EUlS15_E_NS1_11comp_targetILNS1_3genE4ELNS1_11target_archE910ELNS1_3gpuE8ELNS1_3repE0EEENS1_30default_config_static_selectorELNS0_4arch9wavefront6targetE1EEEvT1_
		.amdhsa_group_segment_fixed_size 4236
		.amdhsa_private_segment_fixed_size 0
		.amdhsa_kernarg_size 120
		.amdhsa_user_sgpr_count 6
		.amdhsa_user_sgpr_private_segment_buffer 1
		.amdhsa_user_sgpr_dispatch_ptr 0
		.amdhsa_user_sgpr_queue_ptr 0
		.amdhsa_user_sgpr_kernarg_segment_ptr 1
		.amdhsa_user_sgpr_dispatch_id 0
		.amdhsa_user_sgpr_flat_scratch_init 0
		.amdhsa_user_sgpr_kernarg_preload_length 0
		.amdhsa_user_sgpr_kernarg_preload_offset 0
		.amdhsa_user_sgpr_private_segment_size 0
		.amdhsa_uses_dynamic_stack 0
		.amdhsa_system_sgpr_private_segment_wavefront_offset 0
		.amdhsa_system_sgpr_workgroup_id_x 1
		.amdhsa_system_sgpr_workgroup_id_y 0
		.amdhsa_system_sgpr_workgroup_id_z 0
		.amdhsa_system_sgpr_workgroup_info 0
		.amdhsa_system_vgpr_workitem_id 0
		.amdhsa_next_free_vgpr 50
		.amdhsa_next_free_sgpr 46
		.amdhsa_accum_offset 52
		.amdhsa_reserve_vcc 1
		.amdhsa_reserve_flat_scratch 0
		.amdhsa_float_round_mode_32 0
		.amdhsa_float_round_mode_16_64 0
		.amdhsa_float_denorm_mode_32 3
		.amdhsa_float_denorm_mode_16_64 3
		.amdhsa_dx10_clamp 1
		.amdhsa_ieee_mode 1
		.amdhsa_fp16_overflow 0
		.amdhsa_tg_split 0
		.amdhsa_exception_fp_ieee_invalid_op 0
		.amdhsa_exception_fp_denorm_src 0
		.amdhsa_exception_fp_ieee_div_zero 0
		.amdhsa_exception_fp_ieee_overflow 0
		.amdhsa_exception_fp_ieee_underflow 0
		.amdhsa_exception_fp_ieee_inexact 0
		.amdhsa_exception_int_div_zero 0
	.end_amdhsa_kernel
	.section	.text._ZN7rocprim17ROCPRIM_400000_NS6detail17trampoline_kernelINS0_14default_configENS1_25partition_config_selectorILNS1_17partition_subalgoE9EllbEEZZNS1_14partition_implILS5_9ELb0ES3_jPlS8_PNS0_10empty_typeENS0_5tupleIJS8_S9_EEENSB_IJS8_SA_EEENS0_18inequality_wrapperIZN2at6native12_GLOBAL__N_124unique_dim_cuda_templateIhEESt5tupleIJNSF_6TensorESK_SK_EERKSK_lbbbEUlllE0_EEPmJS9_EEE10hipError_tPvRmT3_T4_T5_T6_T7_T9_mT8_P12ihipStream_tbDpT10_ENKUlT_T0_E_clISt17integral_constantIbLb0EES1A_EEDaS15_S16_EUlS15_E_NS1_11comp_targetILNS1_3genE4ELNS1_11target_archE910ELNS1_3gpuE8ELNS1_3repE0EEENS1_30default_config_static_selectorELNS0_4arch9wavefront6targetE1EEEvT1_,"axG",@progbits,_ZN7rocprim17ROCPRIM_400000_NS6detail17trampoline_kernelINS0_14default_configENS1_25partition_config_selectorILNS1_17partition_subalgoE9EllbEEZZNS1_14partition_implILS5_9ELb0ES3_jPlS8_PNS0_10empty_typeENS0_5tupleIJS8_S9_EEENSB_IJS8_SA_EEENS0_18inequality_wrapperIZN2at6native12_GLOBAL__N_124unique_dim_cuda_templateIhEESt5tupleIJNSF_6TensorESK_SK_EERKSK_lbbbEUlllE0_EEPmJS9_EEE10hipError_tPvRmT3_T4_T5_T6_T7_T9_mT8_P12ihipStream_tbDpT10_ENKUlT_T0_E_clISt17integral_constantIbLb0EES1A_EEDaS15_S16_EUlS15_E_NS1_11comp_targetILNS1_3genE4ELNS1_11target_archE910ELNS1_3gpuE8ELNS1_3repE0EEENS1_30default_config_static_selectorELNS0_4arch9wavefront6targetE1EEEvT1_,comdat
.Lfunc_end206:
	.size	_ZN7rocprim17ROCPRIM_400000_NS6detail17trampoline_kernelINS0_14default_configENS1_25partition_config_selectorILNS1_17partition_subalgoE9EllbEEZZNS1_14partition_implILS5_9ELb0ES3_jPlS8_PNS0_10empty_typeENS0_5tupleIJS8_S9_EEENSB_IJS8_SA_EEENS0_18inequality_wrapperIZN2at6native12_GLOBAL__N_124unique_dim_cuda_templateIhEESt5tupleIJNSF_6TensorESK_SK_EERKSK_lbbbEUlllE0_EEPmJS9_EEE10hipError_tPvRmT3_T4_T5_T6_T7_T9_mT8_P12ihipStream_tbDpT10_ENKUlT_T0_E_clISt17integral_constantIbLb0EES1A_EEDaS15_S16_EUlS15_E_NS1_11comp_targetILNS1_3genE4ELNS1_11target_archE910ELNS1_3gpuE8ELNS1_3repE0EEENS1_30default_config_static_selectorELNS0_4arch9wavefront6targetE1EEEvT1_, .Lfunc_end206-_ZN7rocprim17ROCPRIM_400000_NS6detail17trampoline_kernelINS0_14default_configENS1_25partition_config_selectorILNS1_17partition_subalgoE9EllbEEZZNS1_14partition_implILS5_9ELb0ES3_jPlS8_PNS0_10empty_typeENS0_5tupleIJS8_S9_EEENSB_IJS8_SA_EEENS0_18inequality_wrapperIZN2at6native12_GLOBAL__N_124unique_dim_cuda_templateIhEESt5tupleIJNSF_6TensorESK_SK_EERKSK_lbbbEUlllE0_EEPmJS9_EEE10hipError_tPvRmT3_T4_T5_T6_T7_T9_mT8_P12ihipStream_tbDpT10_ENKUlT_T0_E_clISt17integral_constantIbLb0EES1A_EEDaS15_S16_EUlS15_E_NS1_11comp_targetILNS1_3genE4ELNS1_11target_archE910ELNS1_3gpuE8ELNS1_3repE0EEENS1_30default_config_static_selectorELNS0_4arch9wavefront6targetE1EEEvT1_
                                        ; -- End function
	.section	.AMDGPU.csdata,"",@progbits
; Kernel info:
; codeLenInByte = 9480
; NumSgprs: 50
; NumVgprs: 50
; NumAgprs: 0
; TotalNumVgprs: 50
; ScratchSize: 0
; MemoryBound: 0
; FloatMode: 240
; IeeeMode: 1
; LDSByteSize: 4236 bytes/workgroup (compile time only)
; SGPRBlocks: 6
; VGPRBlocks: 6
; NumSGPRsForWavesPerEU: 50
; NumVGPRsForWavesPerEU: 50
; AccumOffset: 52
; Occupancy: 8
; WaveLimiterHint : 1
; COMPUTE_PGM_RSRC2:SCRATCH_EN: 0
; COMPUTE_PGM_RSRC2:USER_SGPR: 6
; COMPUTE_PGM_RSRC2:TRAP_HANDLER: 0
; COMPUTE_PGM_RSRC2:TGID_X_EN: 1
; COMPUTE_PGM_RSRC2:TGID_Y_EN: 0
; COMPUTE_PGM_RSRC2:TGID_Z_EN: 0
; COMPUTE_PGM_RSRC2:TIDIG_COMP_CNT: 0
; COMPUTE_PGM_RSRC3_GFX90A:ACCUM_OFFSET: 12
; COMPUTE_PGM_RSRC3_GFX90A:TG_SPLIT: 0
	.section	.text._ZN7rocprim17ROCPRIM_400000_NS6detail17trampoline_kernelINS0_14default_configENS1_25partition_config_selectorILNS1_17partition_subalgoE9EllbEEZZNS1_14partition_implILS5_9ELb0ES3_jPlS8_PNS0_10empty_typeENS0_5tupleIJS8_S9_EEENSB_IJS8_SA_EEENS0_18inequality_wrapperIZN2at6native12_GLOBAL__N_124unique_dim_cuda_templateIhEESt5tupleIJNSF_6TensorESK_SK_EERKSK_lbbbEUlllE0_EEPmJS9_EEE10hipError_tPvRmT3_T4_T5_T6_T7_T9_mT8_P12ihipStream_tbDpT10_ENKUlT_T0_E_clISt17integral_constantIbLb0EES1A_EEDaS15_S16_EUlS15_E_NS1_11comp_targetILNS1_3genE3ELNS1_11target_archE908ELNS1_3gpuE7ELNS1_3repE0EEENS1_30default_config_static_selectorELNS0_4arch9wavefront6targetE1EEEvT1_,"axG",@progbits,_ZN7rocprim17ROCPRIM_400000_NS6detail17trampoline_kernelINS0_14default_configENS1_25partition_config_selectorILNS1_17partition_subalgoE9EllbEEZZNS1_14partition_implILS5_9ELb0ES3_jPlS8_PNS0_10empty_typeENS0_5tupleIJS8_S9_EEENSB_IJS8_SA_EEENS0_18inequality_wrapperIZN2at6native12_GLOBAL__N_124unique_dim_cuda_templateIhEESt5tupleIJNSF_6TensorESK_SK_EERKSK_lbbbEUlllE0_EEPmJS9_EEE10hipError_tPvRmT3_T4_T5_T6_T7_T9_mT8_P12ihipStream_tbDpT10_ENKUlT_T0_E_clISt17integral_constantIbLb0EES1A_EEDaS15_S16_EUlS15_E_NS1_11comp_targetILNS1_3genE3ELNS1_11target_archE908ELNS1_3gpuE7ELNS1_3repE0EEENS1_30default_config_static_selectorELNS0_4arch9wavefront6targetE1EEEvT1_,comdat
	.globl	_ZN7rocprim17ROCPRIM_400000_NS6detail17trampoline_kernelINS0_14default_configENS1_25partition_config_selectorILNS1_17partition_subalgoE9EllbEEZZNS1_14partition_implILS5_9ELb0ES3_jPlS8_PNS0_10empty_typeENS0_5tupleIJS8_S9_EEENSB_IJS8_SA_EEENS0_18inequality_wrapperIZN2at6native12_GLOBAL__N_124unique_dim_cuda_templateIhEESt5tupleIJNSF_6TensorESK_SK_EERKSK_lbbbEUlllE0_EEPmJS9_EEE10hipError_tPvRmT3_T4_T5_T6_T7_T9_mT8_P12ihipStream_tbDpT10_ENKUlT_T0_E_clISt17integral_constantIbLb0EES1A_EEDaS15_S16_EUlS15_E_NS1_11comp_targetILNS1_3genE3ELNS1_11target_archE908ELNS1_3gpuE7ELNS1_3repE0EEENS1_30default_config_static_selectorELNS0_4arch9wavefront6targetE1EEEvT1_ ; -- Begin function _ZN7rocprim17ROCPRIM_400000_NS6detail17trampoline_kernelINS0_14default_configENS1_25partition_config_selectorILNS1_17partition_subalgoE9EllbEEZZNS1_14partition_implILS5_9ELb0ES3_jPlS8_PNS0_10empty_typeENS0_5tupleIJS8_S9_EEENSB_IJS8_SA_EEENS0_18inequality_wrapperIZN2at6native12_GLOBAL__N_124unique_dim_cuda_templateIhEESt5tupleIJNSF_6TensorESK_SK_EERKSK_lbbbEUlllE0_EEPmJS9_EEE10hipError_tPvRmT3_T4_T5_T6_T7_T9_mT8_P12ihipStream_tbDpT10_ENKUlT_T0_E_clISt17integral_constantIbLb0EES1A_EEDaS15_S16_EUlS15_E_NS1_11comp_targetILNS1_3genE3ELNS1_11target_archE908ELNS1_3gpuE7ELNS1_3repE0EEENS1_30default_config_static_selectorELNS0_4arch9wavefront6targetE1EEEvT1_
	.p2align	8
	.type	_ZN7rocprim17ROCPRIM_400000_NS6detail17trampoline_kernelINS0_14default_configENS1_25partition_config_selectorILNS1_17partition_subalgoE9EllbEEZZNS1_14partition_implILS5_9ELb0ES3_jPlS8_PNS0_10empty_typeENS0_5tupleIJS8_S9_EEENSB_IJS8_SA_EEENS0_18inequality_wrapperIZN2at6native12_GLOBAL__N_124unique_dim_cuda_templateIhEESt5tupleIJNSF_6TensorESK_SK_EERKSK_lbbbEUlllE0_EEPmJS9_EEE10hipError_tPvRmT3_T4_T5_T6_T7_T9_mT8_P12ihipStream_tbDpT10_ENKUlT_T0_E_clISt17integral_constantIbLb0EES1A_EEDaS15_S16_EUlS15_E_NS1_11comp_targetILNS1_3genE3ELNS1_11target_archE908ELNS1_3gpuE7ELNS1_3repE0EEENS1_30default_config_static_selectorELNS0_4arch9wavefront6targetE1EEEvT1_,@function
_ZN7rocprim17ROCPRIM_400000_NS6detail17trampoline_kernelINS0_14default_configENS1_25partition_config_selectorILNS1_17partition_subalgoE9EllbEEZZNS1_14partition_implILS5_9ELb0ES3_jPlS8_PNS0_10empty_typeENS0_5tupleIJS8_S9_EEENSB_IJS8_SA_EEENS0_18inequality_wrapperIZN2at6native12_GLOBAL__N_124unique_dim_cuda_templateIhEESt5tupleIJNSF_6TensorESK_SK_EERKSK_lbbbEUlllE0_EEPmJS9_EEE10hipError_tPvRmT3_T4_T5_T6_T7_T9_mT8_P12ihipStream_tbDpT10_ENKUlT_T0_E_clISt17integral_constantIbLb0EES1A_EEDaS15_S16_EUlS15_E_NS1_11comp_targetILNS1_3genE3ELNS1_11target_archE908ELNS1_3gpuE7ELNS1_3repE0EEENS1_30default_config_static_selectorELNS0_4arch9wavefront6targetE1EEEvT1_: ; @_ZN7rocprim17ROCPRIM_400000_NS6detail17trampoline_kernelINS0_14default_configENS1_25partition_config_selectorILNS1_17partition_subalgoE9EllbEEZZNS1_14partition_implILS5_9ELb0ES3_jPlS8_PNS0_10empty_typeENS0_5tupleIJS8_S9_EEENSB_IJS8_SA_EEENS0_18inequality_wrapperIZN2at6native12_GLOBAL__N_124unique_dim_cuda_templateIhEESt5tupleIJNSF_6TensorESK_SK_EERKSK_lbbbEUlllE0_EEPmJS9_EEE10hipError_tPvRmT3_T4_T5_T6_T7_T9_mT8_P12ihipStream_tbDpT10_ENKUlT_T0_E_clISt17integral_constantIbLb0EES1A_EEDaS15_S16_EUlS15_E_NS1_11comp_targetILNS1_3genE3ELNS1_11target_archE908ELNS1_3gpuE7ELNS1_3repE0EEENS1_30default_config_static_selectorELNS0_4arch9wavefront6targetE1EEEvT1_
; %bb.0:
	.section	.rodata,"a",@progbits
	.p2align	6, 0x0
	.amdhsa_kernel _ZN7rocprim17ROCPRIM_400000_NS6detail17trampoline_kernelINS0_14default_configENS1_25partition_config_selectorILNS1_17partition_subalgoE9EllbEEZZNS1_14partition_implILS5_9ELb0ES3_jPlS8_PNS0_10empty_typeENS0_5tupleIJS8_S9_EEENSB_IJS8_SA_EEENS0_18inequality_wrapperIZN2at6native12_GLOBAL__N_124unique_dim_cuda_templateIhEESt5tupleIJNSF_6TensorESK_SK_EERKSK_lbbbEUlllE0_EEPmJS9_EEE10hipError_tPvRmT3_T4_T5_T6_T7_T9_mT8_P12ihipStream_tbDpT10_ENKUlT_T0_E_clISt17integral_constantIbLb0EES1A_EEDaS15_S16_EUlS15_E_NS1_11comp_targetILNS1_3genE3ELNS1_11target_archE908ELNS1_3gpuE7ELNS1_3repE0EEENS1_30default_config_static_selectorELNS0_4arch9wavefront6targetE1EEEvT1_
		.amdhsa_group_segment_fixed_size 0
		.amdhsa_private_segment_fixed_size 0
		.amdhsa_kernarg_size 120
		.amdhsa_user_sgpr_count 6
		.amdhsa_user_sgpr_private_segment_buffer 1
		.amdhsa_user_sgpr_dispatch_ptr 0
		.amdhsa_user_sgpr_queue_ptr 0
		.amdhsa_user_sgpr_kernarg_segment_ptr 1
		.amdhsa_user_sgpr_dispatch_id 0
		.amdhsa_user_sgpr_flat_scratch_init 0
		.amdhsa_user_sgpr_kernarg_preload_length 0
		.amdhsa_user_sgpr_kernarg_preload_offset 0
		.amdhsa_user_sgpr_private_segment_size 0
		.amdhsa_uses_dynamic_stack 0
		.amdhsa_system_sgpr_private_segment_wavefront_offset 0
		.amdhsa_system_sgpr_workgroup_id_x 1
		.amdhsa_system_sgpr_workgroup_id_y 0
		.amdhsa_system_sgpr_workgroup_id_z 0
		.amdhsa_system_sgpr_workgroup_info 0
		.amdhsa_system_vgpr_workitem_id 0
		.amdhsa_next_free_vgpr 1
		.amdhsa_next_free_sgpr 0
		.amdhsa_accum_offset 4
		.amdhsa_reserve_vcc 0
		.amdhsa_reserve_flat_scratch 0
		.amdhsa_float_round_mode_32 0
		.amdhsa_float_round_mode_16_64 0
		.amdhsa_float_denorm_mode_32 3
		.amdhsa_float_denorm_mode_16_64 3
		.amdhsa_dx10_clamp 1
		.amdhsa_ieee_mode 1
		.amdhsa_fp16_overflow 0
		.amdhsa_tg_split 0
		.amdhsa_exception_fp_ieee_invalid_op 0
		.amdhsa_exception_fp_denorm_src 0
		.amdhsa_exception_fp_ieee_div_zero 0
		.amdhsa_exception_fp_ieee_overflow 0
		.amdhsa_exception_fp_ieee_underflow 0
		.amdhsa_exception_fp_ieee_inexact 0
		.amdhsa_exception_int_div_zero 0
	.end_amdhsa_kernel
	.section	.text._ZN7rocprim17ROCPRIM_400000_NS6detail17trampoline_kernelINS0_14default_configENS1_25partition_config_selectorILNS1_17partition_subalgoE9EllbEEZZNS1_14partition_implILS5_9ELb0ES3_jPlS8_PNS0_10empty_typeENS0_5tupleIJS8_S9_EEENSB_IJS8_SA_EEENS0_18inequality_wrapperIZN2at6native12_GLOBAL__N_124unique_dim_cuda_templateIhEESt5tupleIJNSF_6TensorESK_SK_EERKSK_lbbbEUlllE0_EEPmJS9_EEE10hipError_tPvRmT3_T4_T5_T6_T7_T9_mT8_P12ihipStream_tbDpT10_ENKUlT_T0_E_clISt17integral_constantIbLb0EES1A_EEDaS15_S16_EUlS15_E_NS1_11comp_targetILNS1_3genE3ELNS1_11target_archE908ELNS1_3gpuE7ELNS1_3repE0EEENS1_30default_config_static_selectorELNS0_4arch9wavefront6targetE1EEEvT1_,"axG",@progbits,_ZN7rocprim17ROCPRIM_400000_NS6detail17trampoline_kernelINS0_14default_configENS1_25partition_config_selectorILNS1_17partition_subalgoE9EllbEEZZNS1_14partition_implILS5_9ELb0ES3_jPlS8_PNS0_10empty_typeENS0_5tupleIJS8_S9_EEENSB_IJS8_SA_EEENS0_18inequality_wrapperIZN2at6native12_GLOBAL__N_124unique_dim_cuda_templateIhEESt5tupleIJNSF_6TensorESK_SK_EERKSK_lbbbEUlllE0_EEPmJS9_EEE10hipError_tPvRmT3_T4_T5_T6_T7_T9_mT8_P12ihipStream_tbDpT10_ENKUlT_T0_E_clISt17integral_constantIbLb0EES1A_EEDaS15_S16_EUlS15_E_NS1_11comp_targetILNS1_3genE3ELNS1_11target_archE908ELNS1_3gpuE7ELNS1_3repE0EEENS1_30default_config_static_selectorELNS0_4arch9wavefront6targetE1EEEvT1_,comdat
.Lfunc_end207:
	.size	_ZN7rocprim17ROCPRIM_400000_NS6detail17trampoline_kernelINS0_14default_configENS1_25partition_config_selectorILNS1_17partition_subalgoE9EllbEEZZNS1_14partition_implILS5_9ELb0ES3_jPlS8_PNS0_10empty_typeENS0_5tupleIJS8_S9_EEENSB_IJS8_SA_EEENS0_18inequality_wrapperIZN2at6native12_GLOBAL__N_124unique_dim_cuda_templateIhEESt5tupleIJNSF_6TensorESK_SK_EERKSK_lbbbEUlllE0_EEPmJS9_EEE10hipError_tPvRmT3_T4_T5_T6_T7_T9_mT8_P12ihipStream_tbDpT10_ENKUlT_T0_E_clISt17integral_constantIbLb0EES1A_EEDaS15_S16_EUlS15_E_NS1_11comp_targetILNS1_3genE3ELNS1_11target_archE908ELNS1_3gpuE7ELNS1_3repE0EEENS1_30default_config_static_selectorELNS0_4arch9wavefront6targetE1EEEvT1_, .Lfunc_end207-_ZN7rocprim17ROCPRIM_400000_NS6detail17trampoline_kernelINS0_14default_configENS1_25partition_config_selectorILNS1_17partition_subalgoE9EllbEEZZNS1_14partition_implILS5_9ELb0ES3_jPlS8_PNS0_10empty_typeENS0_5tupleIJS8_S9_EEENSB_IJS8_SA_EEENS0_18inequality_wrapperIZN2at6native12_GLOBAL__N_124unique_dim_cuda_templateIhEESt5tupleIJNSF_6TensorESK_SK_EERKSK_lbbbEUlllE0_EEPmJS9_EEE10hipError_tPvRmT3_T4_T5_T6_T7_T9_mT8_P12ihipStream_tbDpT10_ENKUlT_T0_E_clISt17integral_constantIbLb0EES1A_EEDaS15_S16_EUlS15_E_NS1_11comp_targetILNS1_3genE3ELNS1_11target_archE908ELNS1_3gpuE7ELNS1_3repE0EEENS1_30default_config_static_selectorELNS0_4arch9wavefront6targetE1EEEvT1_
                                        ; -- End function
	.section	.AMDGPU.csdata,"",@progbits
; Kernel info:
; codeLenInByte = 0
; NumSgprs: 4
; NumVgprs: 0
; NumAgprs: 0
; TotalNumVgprs: 0
; ScratchSize: 0
; MemoryBound: 0
; FloatMode: 240
; IeeeMode: 1
; LDSByteSize: 0 bytes/workgroup (compile time only)
; SGPRBlocks: 0
; VGPRBlocks: 0
; NumSGPRsForWavesPerEU: 4
; NumVGPRsForWavesPerEU: 1
; AccumOffset: 4
; Occupancy: 8
; WaveLimiterHint : 0
; COMPUTE_PGM_RSRC2:SCRATCH_EN: 0
; COMPUTE_PGM_RSRC2:USER_SGPR: 6
; COMPUTE_PGM_RSRC2:TRAP_HANDLER: 0
; COMPUTE_PGM_RSRC2:TGID_X_EN: 1
; COMPUTE_PGM_RSRC2:TGID_Y_EN: 0
; COMPUTE_PGM_RSRC2:TGID_Z_EN: 0
; COMPUTE_PGM_RSRC2:TIDIG_COMP_CNT: 0
; COMPUTE_PGM_RSRC3_GFX90A:ACCUM_OFFSET: 0
; COMPUTE_PGM_RSRC3_GFX90A:TG_SPLIT: 0
	.section	.text._ZN7rocprim17ROCPRIM_400000_NS6detail17trampoline_kernelINS0_14default_configENS1_25partition_config_selectorILNS1_17partition_subalgoE9EllbEEZZNS1_14partition_implILS5_9ELb0ES3_jPlS8_PNS0_10empty_typeENS0_5tupleIJS8_S9_EEENSB_IJS8_SA_EEENS0_18inequality_wrapperIZN2at6native12_GLOBAL__N_124unique_dim_cuda_templateIhEESt5tupleIJNSF_6TensorESK_SK_EERKSK_lbbbEUlllE0_EEPmJS9_EEE10hipError_tPvRmT3_T4_T5_T6_T7_T9_mT8_P12ihipStream_tbDpT10_ENKUlT_T0_E_clISt17integral_constantIbLb0EES1A_EEDaS15_S16_EUlS15_E_NS1_11comp_targetILNS1_3genE2ELNS1_11target_archE906ELNS1_3gpuE6ELNS1_3repE0EEENS1_30default_config_static_selectorELNS0_4arch9wavefront6targetE1EEEvT1_,"axG",@progbits,_ZN7rocprim17ROCPRIM_400000_NS6detail17trampoline_kernelINS0_14default_configENS1_25partition_config_selectorILNS1_17partition_subalgoE9EllbEEZZNS1_14partition_implILS5_9ELb0ES3_jPlS8_PNS0_10empty_typeENS0_5tupleIJS8_S9_EEENSB_IJS8_SA_EEENS0_18inequality_wrapperIZN2at6native12_GLOBAL__N_124unique_dim_cuda_templateIhEESt5tupleIJNSF_6TensorESK_SK_EERKSK_lbbbEUlllE0_EEPmJS9_EEE10hipError_tPvRmT3_T4_T5_T6_T7_T9_mT8_P12ihipStream_tbDpT10_ENKUlT_T0_E_clISt17integral_constantIbLb0EES1A_EEDaS15_S16_EUlS15_E_NS1_11comp_targetILNS1_3genE2ELNS1_11target_archE906ELNS1_3gpuE6ELNS1_3repE0EEENS1_30default_config_static_selectorELNS0_4arch9wavefront6targetE1EEEvT1_,comdat
	.globl	_ZN7rocprim17ROCPRIM_400000_NS6detail17trampoline_kernelINS0_14default_configENS1_25partition_config_selectorILNS1_17partition_subalgoE9EllbEEZZNS1_14partition_implILS5_9ELb0ES3_jPlS8_PNS0_10empty_typeENS0_5tupleIJS8_S9_EEENSB_IJS8_SA_EEENS0_18inequality_wrapperIZN2at6native12_GLOBAL__N_124unique_dim_cuda_templateIhEESt5tupleIJNSF_6TensorESK_SK_EERKSK_lbbbEUlllE0_EEPmJS9_EEE10hipError_tPvRmT3_T4_T5_T6_T7_T9_mT8_P12ihipStream_tbDpT10_ENKUlT_T0_E_clISt17integral_constantIbLb0EES1A_EEDaS15_S16_EUlS15_E_NS1_11comp_targetILNS1_3genE2ELNS1_11target_archE906ELNS1_3gpuE6ELNS1_3repE0EEENS1_30default_config_static_selectorELNS0_4arch9wavefront6targetE1EEEvT1_ ; -- Begin function _ZN7rocprim17ROCPRIM_400000_NS6detail17trampoline_kernelINS0_14default_configENS1_25partition_config_selectorILNS1_17partition_subalgoE9EllbEEZZNS1_14partition_implILS5_9ELb0ES3_jPlS8_PNS0_10empty_typeENS0_5tupleIJS8_S9_EEENSB_IJS8_SA_EEENS0_18inequality_wrapperIZN2at6native12_GLOBAL__N_124unique_dim_cuda_templateIhEESt5tupleIJNSF_6TensorESK_SK_EERKSK_lbbbEUlllE0_EEPmJS9_EEE10hipError_tPvRmT3_T4_T5_T6_T7_T9_mT8_P12ihipStream_tbDpT10_ENKUlT_T0_E_clISt17integral_constantIbLb0EES1A_EEDaS15_S16_EUlS15_E_NS1_11comp_targetILNS1_3genE2ELNS1_11target_archE906ELNS1_3gpuE6ELNS1_3repE0EEENS1_30default_config_static_selectorELNS0_4arch9wavefront6targetE1EEEvT1_
	.p2align	8
	.type	_ZN7rocprim17ROCPRIM_400000_NS6detail17trampoline_kernelINS0_14default_configENS1_25partition_config_selectorILNS1_17partition_subalgoE9EllbEEZZNS1_14partition_implILS5_9ELb0ES3_jPlS8_PNS0_10empty_typeENS0_5tupleIJS8_S9_EEENSB_IJS8_SA_EEENS0_18inequality_wrapperIZN2at6native12_GLOBAL__N_124unique_dim_cuda_templateIhEESt5tupleIJNSF_6TensorESK_SK_EERKSK_lbbbEUlllE0_EEPmJS9_EEE10hipError_tPvRmT3_T4_T5_T6_T7_T9_mT8_P12ihipStream_tbDpT10_ENKUlT_T0_E_clISt17integral_constantIbLb0EES1A_EEDaS15_S16_EUlS15_E_NS1_11comp_targetILNS1_3genE2ELNS1_11target_archE906ELNS1_3gpuE6ELNS1_3repE0EEENS1_30default_config_static_selectorELNS0_4arch9wavefront6targetE1EEEvT1_,@function
_ZN7rocprim17ROCPRIM_400000_NS6detail17trampoline_kernelINS0_14default_configENS1_25partition_config_selectorILNS1_17partition_subalgoE9EllbEEZZNS1_14partition_implILS5_9ELb0ES3_jPlS8_PNS0_10empty_typeENS0_5tupleIJS8_S9_EEENSB_IJS8_SA_EEENS0_18inequality_wrapperIZN2at6native12_GLOBAL__N_124unique_dim_cuda_templateIhEESt5tupleIJNSF_6TensorESK_SK_EERKSK_lbbbEUlllE0_EEPmJS9_EEE10hipError_tPvRmT3_T4_T5_T6_T7_T9_mT8_P12ihipStream_tbDpT10_ENKUlT_T0_E_clISt17integral_constantIbLb0EES1A_EEDaS15_S16_EUlS15_E_NS1_11comp_targetILNS1_3genE2ELNS1_11target_archE906ELNS1_3gpuE6ELNS1_3repE0EEENS1_30default_config_static_selectorELNS0_4arch9wavefront6targetE1EEEvT1_: ; @_ZN7rocprim17ROCPRIM_400000_NS6detail17trampoline_kernelINS0_14default_configENS1_25partition_config_selectorILNS1_17partition_subalgoE9EllbEEZZNS1_14partition_implILS5_9ELb0ES3_jPlS8_PNS0_10empty_typeENS0_5tupleIJS8_S9_EEENSB_IJS8_SA_EEENS0_18inequality_wrapperIZN2at6native12_GLOBAL__N_124unique_dim_cuda_templateIhEESt5tupleIJNSF_6TensorESK_SK_EERKSK_lbbbEUlllE0_EEPmJS9_EEE10hipError_tPvRmT3_T4_T5_T6_T7_T9_mT8_P12ihipStream_tbDpT10_ENKUlT_T0_E_clISt17integral_constantIbLb0EES1A_EEDaS15_S16_EUlS15_E_NS1_11comp_targetILNS1_3genE2ELNS1_11target_archE906ELNS1_3gpuE6ELNS1_3repE0EEENS1_30default_config_static_selectorELNS0_4arch9wavefront6targetE1EEEvT1_
; %bb.0:
	.section	.rodata,"a",@progbits
	.p2align	6, 0x0
	.amdhsa_kernel _ZN7rocprim17ROCPRIM_400000_NS6detail17trampoline_kernelINS0_14default_configENS1_25partition_config_selectorILNS1_17partition_subalgoE9EllbEEZZNS1_14partition_implILS5_9ELb0ES3_jPlS8_PNS0_10empty_typeENS0_5tupleIJS8_S9_EEENSB_IJS8_SA_EEENS0_18inequality_wrapperIZN2at6native12_GLOBAL__N_124unique_dim_cuda_templateIhEESt5tupleIJNSF_6TensorESK_SK_EERKSK_lbbbEUlllE0_EEPmJS9_EEE10hipError_tPvRmT3_T4_T5_T6_T7_T9_mT8_P12ihipStream_tbDpT10_ENKUlT_T0_E_clISt17integral_constantIbLb0EES1A_EEDaS15_S16_EUlS15_E_NS1_11comp_targetILNS1_3genE2ELNS1_11target_archE906ELNS1_3gpuE6ELNS1_3repE0EEENS1_30default_config_static_selectorELNS0_4arch9wavefront6targetE1EEEvT1_
		.amdhsa_group_segment_fixed_size 0
		.amdhsa_private_segment_fixed_size 0
		.amdhsa_kernarg_size 120
		.amdhsa_user_sgpr_count 6
		.amdhsa_user_sgpr_private_segment_buffer 1
		.amdhsa_user_sgpr_dispatch_ptr 0
		.amdhsa_user_sgpr_queue_ptr 0
		.amdhsa_user_sgpr_kernarg_segment_ptr 1
		.amdhsa_user_sgpr_dispatch_id 0
		.amdhsa_user_sgpr_flat_scratch_init 0
		.amdhsa_user_sgpr_kernarg_preload_length 0
		.amdhsa_user_sgpr_kernarg_preload_offset 0
		.amdhsa_user_sgpr_private_segment_size 0
		.amdhsa_uses_dynamic_stack 0
		.amdhsa_system_sgpr_private_segment_wavefront_offset 0
		.amdhsa_system_sgpr_workgroup_id_x 1
		.amdhsa_system_sgpr_workgroup_id_y 0
		.amdhsa_system_sgpr_workgroup_id_z 0
		.amdhsa_system_sgpr_workgroup_info 0
		.amdhsa_system_vgpr_workitem_id 0
		.amdhsa_next_free_vgpr 1
		.amdhsa_next_free_sgpr 0
		.amdhsa_accum_offset 4
		.amdhsa_reserve_vcc 0
		.amdhsa_reserve_flat_scratch 0
		.amdhsa_float_round_mode_32 0
		.amdhsa_float_round_mode_16_64 0
		.amdhsa_float_denorm_mode_32 3
		.amdhsa_float_denorm_mode_16_64 3
		.amdhsa_dx10_clamp 1
		.amdhsa_ieee_mode 1
		.amdhsa_fp16_overflow 0
		.amdhsa_tg_split 0
		.amdhsa_exception_fp_ieee_invalid_op 0
		.amdhsa_exception_fp_denorm_src 0
		.amdhsa_exception_fp_ieee_div_zero 0
		.amdhsa_exception_fp_ieee_overflow 0
		.amdhsa_exception_fp_ieee_underflow 0
		.amdhsa_exception_fp_ieee_inexact 0
		.amdhsa_exception_int_div_zero 0
	.end_amdhsa_kernel
	.section	.text._ZN7rocprim17ROCPRIM_400000_NS6detail17trampoline_kernelINS0_14default_configENS1_25partition_config_selectorILNS1_17partition_subalgoE9EllbEEZZNS1_14partition_implILS5_9ELb0ES3_jPlS8_PNS0_10empty_typeENS0_5tupleIJS8_S9_EEENSB_IJS8_SA_EEENS0_18inequality_wrapperIZN2at6native12_GLOBAL__N_124unique_dim_cuda_templateIhEESt5tupleIJNSF_6TensorESK_SK_EERKSK_lbbbEUlllE0_EEPmJS9_EEE10hipError_tPvRmT3_T4_T5_T6_T7_T9_mT8_P12ihipStream_tbDpT10_ENKUlT_T0_E_clISt17integral_constantIbLb0EES1A_EEDaS15_S16_EUlS15_E_NS1_11comp_targetILNS1_3genE2ELNS1_11target_archE906ELNS1_3gpuE6ELNS1_3repE0EEENS1_30default_config_static_selectorELNS0_4arch9wavefront6targetE1EEEvT1_,"axG",@progbits,_ZN7rocprim17ROCPRIM_400000_NS6detail17trampoline_kernelINS0_14default_configENS1_25partition_config_selectorILNS1_17partition_subalgoE9EllbEEZZNS1_14partition_implILS5_9ELb0ES3_jPlS8_PNS0_10empty_typeENS0_5tupleIJS8_S9_EEENSB_IJS8_SA_EEENS0_18inequality_wrapperIZN2at6native12_GLOBAL__N_124unique_dim_cuda_templateIhEESt5tupleIJNSF_6TensorESK_SK_EERKSK_lbbbEUlllE0_EEPmJS9_EEE10hipError_tPvRmT3_T4_T5_T6_T7_T9_mT8_P12ihipStream_tbDpT10_ENKUlT_T0_E_clISt17integral_constantIbLb0EES1A_EEDaS15_S16_EUlS15_E_NS1_11comp_targetILNS1_3genE2ELNS1_11target_archE906ELNS1_3gpuE6ELNS1_3repE0EEENS1_30default_config_static_selectorELNS0_4arch9wavefront6targetE1EEEvT1_,comdat
.Lfunc_end208:
	.size	_ZN7rocprim17ROCPRIM_400000_NS6detail17trampoline_kernelINS0_14default_configENS1_25partition_config_selectorILNS1_17partition_subalgoE9EllbEEZZNS1_14partition_implILS5_9ELb0ES3_jPlS8_PNS0_10empty_typeENS0_5tupleIJS8_S9_EEENSB_IJS8_SA_EEENS0_18inequality_wrapperIZN2at6native12_GLOBAL__N_124unique_dim_cuda_templateIhEESt5tupleIJNSF_6TensorESK_SK_EERKSK_lbbbEUlllE0_EEPmJS9_EEE10hipError_tPvRmT3_T4_T5_T6_T7_T9_mT8_P12ihipStream_tbDpT10_ENKUlT_T0_E_clISt17integral_constantIbLb0EES1A_EEDaS15_S16_EUlS15_E_NS1_11comp_targetILNS1_3genE2ELNS1_11target_archE906ELNS1_3gpuE6ELNS1_3repE0EEENS1_30default_config_static_selectorELNS0_4arch9wavefront6targetE1EEEvT1_, .Lfunc_end208-_ZN7rocprim17ROCPRIM_400000_NS6detail17trampoline_kernelINS0_14default_configENS1_25partition_config_selectorILNS1_17partition_subalgoE9EllbEEZZNS1_14partition_implILS5_9ELb0ES3_jPlS8_PNS0_10empty_typeENS0_5tupleIJS8_S9_EEENSB_IJS8_SA_EEENS0_18inequality_wrapperIZN2at6native12_GLOBAL__N_124unique_dim_cuda_templateIhEESt5tupleIJNSF_6TensorESK_SK_EERKSK_lbbbEUlllE0_EEPmJS9_EEE10hipError_tPvRmT3_T4_T5_T6_T7_T9_mT8_P12ihipStream_tbDpT10_ENKUlT_T0_E_clISt17integral_constantIbLb0EES1A_EEDaS15_S16_EUlS15_E_NS1_11comp_targetILNS1_3genE2ELNS1_11target_archE906ELNS1_3gpuE6ELNS1_3repE0EEENS1_30default_config_static_selectorELNS0_4arch9wavefront6targetE1EEEvT1_
                                        ; -- End function
	.section	.AMDGPU.csdata,"",@progbits
; Kernel info:
; codeLenInByte = 0
; NumSgprs: 4
; NumVgprs: 0
; NumAgprs: 0
; TotalNumVgprs: 0
; ScratchSize: 0
; MemoryBound: 0
; FloatMode: 240
; IeeeMode: 1
; LDSByteSize: 0 bytes/workgroup (compile time only)
; SGPRBlocks: 0
; VGPRBlocks: 0
; NumSGPRsForWavesPerEU: 4
; NumVGPRsForWavesPerEU: 1
; AccumOffset: 4
; Occupancy: 8
; WaveLimiterHint : 0
; COMPUTE_PGM_RSRC2:SCRATCH_EN: 0
; COMPUTE_PGM_RSRC2:USER_SGPR: 6
; COMPUTE_PGM_RSRC2:TRAP_HANDLER: 0
; COMPUTE_PGM_RSRC2:TGID_X_EN: 1
; COMPUTE_PGM_RSRC2:TGID_Y_EN: 0
; COMPUTE_PGM_RSRC2:TGID_Z_EN: 0
; COMPUTE_PGM_RSRC2:TIDIG_COMP_CNT: 0
; COMPUTE_PGM_RSRC3_GFX90A:ACCUM_OFFSET: 0
; COMPUTE_PGM_RSRC3_GFX90A:TG_SPLIT: 0
	.section	.text._ZN7rocprim17ROCPRIM_400000_NS6detail17trampoline_kernelINS0_14default_configENS1_25partition_config_selectorILNS1_17partition_subalgoE9EllbEEZZNS1_14partition_implILS5_9ELb0ES3_jPlS8_PNS0_10empty_typeENS0_5tupleIJS8_S9_EEENSB_IJS8_SA_EEENS0_18inequality_wrapperIZN2at6native12_GLOBAL__N_124unique_dim_cuda_templateIhEESt5tupleIJNSF_6TensorESK_SK_EERKSK_lbbbEUlllE0_EEPmJS9_EEE10hipError_tPvRmT3_T4_T5_T6_T7_T9_mT8_P12ihipStream_tbDpT10_ENKUlT_T0_E_clISt17integral_constantIbLb0EES1A_EEDaS15_S16_EUlS15_E_NS1_11comp_targetILNS1_3genE10ELNS1_11target_archE1200ELNS1_3gpuE4ELNS1_3repE0EEENS1_30default_config_static_selectorELNS0_4arch9wavefront6targetE1EEEvT1_,"axG",@progbits,_ZN7rocprim17ROCPRIM_400000_NS6detail17trampoline_kernelINS0_14default_configENS1_25partition_config_selectorILNS1_17partition_subalgoE9EllbEEZZNS1_14partition_implILS5_9ELb0ES3_jPlS8_PNS0_10empty_typeENS0_5tupleIJS8_S9_EEENSB_IJS8_SA_EEENS0_18inequality_wrapperIZN2at6native12_GLOBAL__N_124unique_dim_cuda_templateIhEESt5tupleIJNSF_6TensorESK_SK_EERKSK_lbbbEUlllE0_EEPmJS9_EEE10hipError_tPvRmT3_T4_T5_T6_T7_T9_mT8_P12ihipStream_tbDpT10_ENKUlT_T0_E_clISt17integral_constantIbLb0EES1A_EEDaS15_S16_EUlS15_E_NS1_11comp_targetILNS1_3genE10ELNS1_11target_archE1200ELNS1_3gpuE4ELNS1_3repE0EEENS1_30default_config_static_selectorELNS0_4arch9wavefront6targetE1EEEvT1_,comdat
	.globl	_ZN7rocprim17ROCPRIM_400000_NS6detail17trampoline_kernelINS0_14default_configENS1_25partition_config_selectorILNS1_17partition_subalgoE9EllbEEZZNS1_14partition_implILS5_9ELb0ES3_jPlS8_PNS0_10empty_typeENS0_5tupleIJS8_S9_EEENSB_IJS8_SA_EEENS0_18inequality_wrapperIZN2at6native12_GLOBAL__N_124unique_dim_cuda_templateIhEESt5tupleIJNSF_6TensorESK_SK_EERKSK_lbbbEUlllE0_EEPmJS9_EEE10hipError_tPvRmT3_T4_T5_T6_T7_T9_mT8_P12ihipStream_tbDpT10_ENKUlT_T0_E_clISt17integral_constantIbLb0EES1A_EEDaS15_S16_EUlS15_E_NS1_11comp_targetILNS1_3genE10ELNS1_11target_archE1200ELNS1_3gpuE4ELNS1_3repE0EEENS1_30default_config_static_selectorELNS0_4arch9wavefront6targetE1EEEvT1_ ; -- Begin function _ZN7rocprim17ROCPRIM_400000_NS6detail17trampoline_kernelINS0_14default_configENS1_25partition_config_selectorILNS1_17partition_subalgoE9EllbEEZZNS1_14partition_implILS5_9ELb0ES3_jPlS8_PNS0_10empty_typeENS0_5tupleIJS8_S9_EEENSB_IJS8_SA_EEENS0_18inequality_wrapperIZN2at6native12_GLOBAL__N_124unique_dim_cuda_templateIhEESt5tupleIJNSF_6TensorESK_SK_EERKSK_lbbbEUlllE0_EEPmJS9_EEE10hipError_tPvRmT3_T4_T5_T6_T7_T9_mT8_P12ihipStream_tbDpT10_ENKUlT_T0_E_clISt17integral_constantIbLb0EES1A_EEDaS15_S16_EUlS15_E_NS1_11comp_targetILNS1_3genE10ELNS1_11target_archE1200ELNS1_3gpuE4ELNS1_3repE0EEENS1_30default_config_static_selectorELNS0_4arch9wavefront6targetE1EEEvT1_
	.p2align	8
	.type	_ZN7rocprim17ROCPRIM_400000_NS6detail17trampoline_kernelINS0_14default_configENS1_25partition_config_selectorILNS1_17partition_subalgoE9EllbEEZZNS1_14partition_implILS5_9ELb0ES3_jPlS8_PNS0_10empty_typeENS0_5tupleIJS8_S9_EEENSB_IJS8_SA_EEENS0_18inequality_wrapperIZN2at6native12_GLOBAL__N_124unique_dim_cuda_templateIhEESt5tupleIJNSF_6TensorESK_SK_EERKSK_lbbbEUlllE0_EEPmJS9_EEE10hipError_tPvRmT3_T4_T5_T6_T7_T9_mT8_P12ihipStream_tbDpT10_ENKUlT_T0_E_clISt17integral_constantIbLb0EES1A_EEDaS15_S16_EUlS15_E_NS1_11comp_targetILNS1_3genE10ELNS1_11target_archE1200ELNS1_3gpuE4ELNS1_3repE0EEENS1_30default_config_static_selectorELNS0_4arch9wavefront6targetE1EEEvT1_,@function
_ZN7rocprim17ROCPRIM_400000_NS6detail17trampoline_kernelINS0_14default_configENS1_25partition_config_selectorILNS1_17partition_subalgoE9EllbEEZZNS1_14partition_implILS5_9ELb0ES3_jPlS8_PNS0_10empty_typeENS0_5tupleIJS8_S9_EEENSB_IJS8_SA_EEENS0_18inequality_wrapperIZN2at6native12_GLOBAL__N_124unique_dim_cuda_templateIhEESt5tupleIJNSF_6TensorESK_SK_EERKSK_lbbbEUlllE0_EEPmJS9_EEE10hipError_tPvRmT3_T4_T5_T6_T7_T9_mT8_P12ihipStream_tbDpT10_ENKUlT_T0_E_clISt17integral_constantIbLb0EES1A_EEDaS15_S16_EUlS15_E_NS1_11comp_targetILNS1_3genE10ELNS1_11target_archE1200ELNS1_3gpuE4ELNS1_3repE0EEENS1_30default_config_static_selectorELNS0_4arch9wavefront6targetE1EEEvT1_: ; @_ZN7rocprim17ROCPRIM_400000_NS6detail17trampoline_kernelINS0_14default_configENS1_25partition_config_selectorILNS1_17partition_subalgoE9EllbEEZZNS1_14partition_implILS5_9ELb0ES3_jPlS8_PNS0_10empty_typeENS0_5tupleIJS8_S9_EEENSB_IJS8_SA_EEENS0_18inequality_wrapperIZN2at6native12_GLOBAL__N_124unique_dim_cuda_templateIhEESt5tupleIJNSF_6TensorESK_SK_EERKSK_lbbbEUlllE0_EEPmJS9_EEE10hipError_tPvRmT3_T4_T5_T6_T7_T9_mT8_P12ihipStream_tbDpT10_ENKUlT_T0_E_clISt17integral_constantIbLb0EES1A_EEDaS15_S16_EUlS15_E_NS1_11comp_targetILNS1_3genE10ELNS1_11target_archE1200ELNS1_3gpuE4ELNS1_3repE0EEENS1_30default_config_static_selectorELNS0_4arch9wavefront6targetE1EEEvT1_
; %bb.0:
	.section	.rodata,"a",@progbits
	.p2align	6, 0x0
	.amdhsa_kernel _ZN7rocprim17ROCPRIM_400000_NS6detail17trampoline_kernelINS0_14default_configENS1_25partition_config_selectorILNS1_17partition_subalgoE9EllbEEZZNS1_14partition_implILS5_9ELb0ES3_jPlS8_PNS0_10empty_typeENS0_5tupleIJS8_S9_EEENSB_IJS8_SA_EEENS0_18inequality_wrapperIZN2at6native12_GLOBAL__N_124unique_dim_cuda_templateIhEESt5tupleIJNSF_6TensorESK_SK_EERKSK_lbbbEUlllE0_EEPmJS9_EEE10hipError_tPvRmT3_T4_T5_T6_T7_T9_mT8_P12ihipStream_tbDpT10_ENKUlT_T0_E_clISt17integral_constantIbLb0EES1A_EEDaS15_S16_EUlS15_E_NS1_11comp_targetILNS1_3genE10ELNS1_11target_archE1200ELNS1_3gpuE4ELNS1_3repE0EEENS1_30default_config_static_selectorELNS0_4arch9wavefront6targetE1EEEvT1_
		.amdhsa_group_segment_fixed_size 0
		.amdhsa_private_segment_fixed_size 0
		.amdhsa_kernarg_size 120
		.amdhsa_user_sgpr_count 6
		.amdhsa_user_sgpr_private_segment_buffer 1
		.amdhsa_user_sgpr_dispatch_ptr 0
		.amdhsa_user_sgpr_queue_ptr 0
		.amdhsa_user_sgpr_kernarg_segment_ptr 1
		.amdhsa_user_sgpr_dispatch_id 0
		.amdhsa_user_sgpr_flat_scratch_init 0
		.amdhsa_user_sgpr_kernarg_preload_length 0
		.amdhsa_user_sgpr_kernarg_preload_offset 0
		.amdhsa_user_sgpr_private_segment_size 0
		.amdhsa_uses_dynamic_stack 0
		.amdhsa_system_sgpr_private_segment_wavefront_offset 0
		.amdhsa_system_sgpr_workgroup_id_x 1
		.amdhsa_system_sgpr_workgroup_id_y 0
		.amdhsa_system_sgpr_workgroup_id_z 0
		.amdhsa_system_sgpr_workgroup_info 0
		.amdhsa_system_vgpr_workitem_id 0
		.amdhsa_next_free_vgpr 1
		.amdhsa_next_free_sgpr 0
		.amdhsa_accum_offset 4
		.amdhsa_reserve_vcc 0
		.amdhsa_reserve_flat_scratch 0
		.amdhsa_float_round_mode_32 0
		.amdhsa_float_round_mode_16_64 0
		.amdhsa_float_denorm_mode_32 3
		.amdhsa_float_denorm_mode_16_64 3
		.amdhsa_dx10_clamp 1
		.amdhsa_ieee_mode 1
		.amdhsa_fp16_overflow 0
		.amdhsa_tg_split 0
		.amdhsa_exception_fp_ieee_invalid_op 0
		.amdhsa_exception_fp_denorm_src 0
		.amdhsa_exception_fp_ieee_div_zero 0
		.amdhsa_exception_fp_ieee_overflow 0
		.amdhsa_exception_fp_ieee_underflow 0
		.amdhsa_exception_fp_ieee_inexact 0
		.amdhsa_exception_int_div_zero 0
	.end_amdhsa_kernel
	.section	.text._ZN7rocprim17ROCPRIM_400000_NS6detail17trampoline_kernelINS0_14default_configENS1_25partition_config_selectorILNS1_17partition_subalgoE9EllbEEZZNS1_14partition_implILS5_9ELb0ES3_jPlS8_PNS0_10empty_typeENS0_5tupleIJS8_S9_EEENSB_IJS8_SA_EEENS0_18inequality_wrapperIZN2at6native12_GLOBAL__N_124unique_dim_cuda_templateIhEESt5tupleIJNSF_6TensorESK_SK_EERKSK_lbbbEUlllE0_EEPmJS9_EEE10hipError_tPvRmT3_T4_T5_T6_T7_T9_mT8_P12ihipStream_tbDpT10_ENKUlT_T0_E_clISt17integral_constantIbLb0EES1A_EEDaS15_S16_EUlS15_E_NS1_11comp_targetILNS1_3genE10ELNS1_11target_archE1200ELNS1_3gpuE4ELNS1_3repE0EEENS1_30default_config_static_selectorELNS0_4arch9wavefront6targetE1EEEvT1_,"axG",@progbits,_ZN7rocprim17ROCPRIM_400000_NS6detail17trampoline_kernelINS0_14default_configENS1_25partition_config_selectorILNS1_17partition_subalgoE9EllbEEZZNS1_14partition_implILS5_9ELb0ES3_jPlS8_PNS0_10empty_typeENS0_5tupleIJS8_S9_EEENSB_IJS8_SA_EEENS0_18inequality_wrapperIZN2at6native12_GLOBAL__N_124unique_dim_cuda_templateIhEESt5tupleIJNSF_6TensorESK_SK_EERKSK_lbbbEUlllE0_EEPmJS9_EEE10hipError_tPvRmT3_T4_T5_T6_T7_T9_mT8_P12ihipStream_tbDpT10_ENKUlT_T0_E_clISt17integral_constantIbLb0EES1A_EEDaS15_S16_EUlS15_E_NS1_11comp_targetILNS1_3genE10ELNS1_11target_archE1200ELNS1_3gpuE4ELNS1_3repE0EEENS1_30default_config_static_selectorELNS0_4arch9wavefront6targetE1EEEvT1_,comdat
.Lfunc_end209:
	.size	_ZN7rocprim17ROCPRIM_400000_NS6detail17trampoline_kernelINS0_14default_configENS1_25partition_config_selectorILNS1_17partition_subalgoE9EllbEEZZNS1_14partition_implILS5_9ELb0ES3_jPlS8_PNS0_10empty_typeENS0_5tupleIJS8_S9_EEENSB_IJS8_SA_EEENS0_18inequality_wrapperIZN2at6native12_GLOBAL__N_124unique_dim_cuda_templateIhEESt5tupleIJNSF_6TensorESK_SK_EERKSK_lbbbEUlllE0_EEPmJS9_EEE10hipError_tPvRmT3_T4_T5_T6_T7_T9_mT8_P12ihipStream_tbDpT10_ENKUlT_T0_E_clISt17integral_constantIbLb0EES1A_EEDaS15_S16_EUlS15_E_NS1_11comp_targetILNS1_3genE10ELNS1_11target_archE1200ELNS1_3gpuE4ELNS1_3repE0EEENS1_30default_config_static_selectorELNS0_4arch9wavefront6targetE1EEEvT1_, .Lfunc_end209-_ZN7rocprim17ROCPRIM_400000_NS6detail17trampoline_kernelINS0_14default_configENS1_25partition_config_selectorILNS1_17partition_subalgoE9EllbEEZZNS1_14partition_implILS5_9ELb0ES3_jPlS8_PNS0_10empty_typeENS0_5tupleIJS8_S9_EEENSB_IJS8_SA_EEENS0_18inequality_wrapperIZN2at6native12_GLOBAL__N_124unique_dim_cuda_templateIhEESt5tupleIJNSF_6TensorESK_SK_EERKSK_lbbbEUlllE0_EEPmJS9_EEE10hipError_tPvRmT3_T4_T5_T6_T7_T9_mT8_P12ihipStream_tbDpT10_ENKUlT_T0_E_clISt17integral_constantIbLb0EES1A_EEDaS15_S16_EUlS15_E_NS1_11comp_targetILNS1_3genE10ELNS1_11target_archE1200ELNS1_3gpuE4ELNS1_3repE0EEENS1_30default_config_static_selectorELNS0_4arch9wavefront6targetE1EEEvT1_
                                        ; -- End function
	.section	.AMDGPU.csdata,"",@progbits
; Kernel info:
; codeLenInByte = 0
; NumSgprs: 4
; NumVgprs: 0
; NumAgprs: 0
; TotalNumVgprs: 0
; ScratchSize: 0
; MemoryBound: 0
; FloatMode: 240
; IeeeMode: 1
; LDSByteSize: 0 bytes/workgroup (compile time only)
; SGPRBlocks: 0
; VGPRBlocks: 0
; NumSGPRsForWavesPerEU: 4
; NumVGPRsForWavesPerEU: 1
; AccumOffset: 4
; Occupancy: 8
; WaveLimiterHint : 0
; COMPUTE_PGM_RSRC2:SCRATCH_EN: 0
; COMPUTE_PGM_RSRC2:USER_SGPR: 6
; COMPUTE_PGM_RSRC2:TRAP_HANDLER: 0
; COMPUTE_PGM_RSRC2:TGID_X_EN: 1
; COMPUTE_PGM_RSRC2:TGID_Y_EN: 0
; COMPUTE_PGM_RSRC2:TGID_Z_EN: 0
; COMPUTE_PGM_RSRC2:TIDIG_COMP_CNT: 0
; COMPUTE_PGM_RSRC3_GFX90A:ACCUM_OFFSET: 0
; COMPUTE_PGM_RSRC3_GFX90A:TG_SPLIT: 0
	.section	.text._ZN7rocprim17ROCPRIM_400000_NS6detail17trampoline_kernelINS0_14default_configENS1_25partition_config_selectorILNS1_17partition_subalgoE9EllbEEZZNS1_14partition_implILS5_9ELb0ES3_jPlS8_PNS0_10empty_typeENS0_5tupleIJS8_S9_EEENSB_IJS8_SA_EEENS0_18inequality_wrapperIZN2at6native12_GLOBAL__N_124unique_dim_cuda_templateIhEESt5tupleIJNSF_6TensorESK_SK_EERKSK_lbbbEUlllE0_EEPmJS9_EEE10hipError_tPvRmT3_T4_T5_T6_T7_T9_mT8_P12ihipStream_tbDpT10_ENKUlT_T0_E_clISt17integral_constantIbLb0EES1A_EEDaS15_S16_EUlS15_E_NS1_11comp_targetILNS1_3genE9ELNS1_11target_archE1100ELNS1_3gpuE3ELNS1_3repE0EEENS1_30default_config_static_selectorELNS0_4arch9wavefront6targetE1EEEvT1_,"axG",@progbits,_ZN7rocprim17ROCPRIM_400000_NS6detail17trampoline_kernelINS0_14default_configENS1_25partition_config_selectorILNS1_17partition_subalgoE9EllbEEZZNS1_14partition_implILS5_9ELb0ES3_jPlS8_PNS0_10empty_typeENS0_5tupleIJS8_S9_EEENSB_IJS8_SA_EEENS0_18inequality_wrapperIZN2at6native12_GLOBAL__N_124unique_dim_cuda_templateIhEESt5tupleIJNSF_6TensorESK_SK_EERKSK_lbbbEUlllE0_EEPmJS9_EEE10hipError_tPvRmT3_T4_T5_T6_T7_T9_mT8_P12ihipStream_tbDpT10_ENKUlT_T0_E_clISt17integral_constantIbLb0EES1A_EEDaS15_S16_EUlS15_E_NS1_11comp_targetILNS1_3genE9ELNS1_11target_archE1100ELNS1_3gpuE3ELNS1_3repE0EEENS1_30default_config_static_selectorELNS0_4arch9wavefront6targetE1EEEvT1_,comdat
	.globl	_ZN7rocprim17ROCPRIM_400000_NS6detail17trampoline_kernelINS0_14default_configENS1_25partition_config_selectorILNS1_17partition_subalgoE9EllbEEZZNS1_14partition_implILS5_9ELb0ES3_jPlS8_PNS0_10empty_typeENS0_5tupleIJS8_S9_EEENSB_IJS8_SA_EEENS0_18inequality_wrapperIZN2at6native12_GLOBAL__N_124unique_dim_cuda_templateIhEESt5tupleIJNSF_6TensorESK_SK_EERKSK_lbbbEUlllE0_EEPmJS9_EEE10hipError_tPvRmT3_T4_T5_T6_T7_T9_mT8_P12ihipStream_tbDpT10_ENKUlT_T0_E_clISt17integral_constantIbLb0EES1A_EEDaS15_S16_EUlS15_E_NS1_11comp_targetILNS1_3genE9ELNS1_11target_archE1100ELNS1_3gpuE3ELNS1_3repE0EEENS1_30default_config_static_selectorELNS0_4arch9wavefront6targetE1EEEvT1_ ; -- Begin function _ZN7rocprim17ROCPRIM_400000_NS6detail17trampoline_kernelINS0_14default_configENS1_25partition_config_selectorILNS1_17partition_subalgoE9EllbEEZZNS1_14partition_implILS5_9ELb0ES3_jPlS8_PNS0_10empty_typeENS0_5tupleIJS8_S9_EEENSB_IJS8_SA_EEENS0_18inequality_wrapperIZN2at6native12_GLOBAL__N_124unique_dim_cuda_templateIhEESt5tupleIJNSF_6TensorESK_SK_EERKSK_lbbbEUlllE0_EEPmJS9_EEE10hipError_tPvRmT3_T4_T5_T6_T7_T9_mT8_P12ihipStream_tbDpT10_ENKUlT_T0_E_clISt17integral_constantIbLb0EES1A_EEDaS15_S16_EUlS15_E_NS1_11comp_targetILNS1_3genE9ELNS1_11target_archE1100ELNS1_3gpuE3ELNS1_3repE0EEENS1_30default_config_static_selectorELNS0_4arch9wavefront6targetE1EEEvT1_
	.p2align	8
	.type	_ZN7rocprim17ROCPRIM_400000_NS6detail17trampoline_kernelINS0_14default_configENS1_25partition_config_selectorILNS1_17partition_subalgoE9EllbEEZZNS1_14partition_implILS5_9ELb0ES3_jPlS8_PNS0_10empty_typeENS0_5tupleIJS8_S9_EEENSB_IJS8_SA_EEENS0_18inequality_wrapperIZN2at6native12_GLOBAL__N_124unique_dim_cuda_templateIhEESt5tupleIJNSF_6TensorESK_SK_EERKSK_lbbbEUlllE0_EEPmJS9_EEE10hipError_tPvRmT3_T4_T5_T6_T7_T9_mT8_P12ihipStream_tbDpT10_ENKUlT_T0_E_clISt17integral_constantIbLb0EES1A_EEDaS15_S16_EUlS15_E_NS1_11comp_targetILNS1_3genE9ELNS1_11target_archE1100ELNS1_3gpuE3ELNS1_3repE0EEENS1_30default_config_static_selectorELNS0_4arch9wavefront6targetE1EEEvT1_,@function
_ZN7rocprim17ROCPRIM_400000_NS6detail17trampoline_kernelINS0_14default_configENS1_25partition_config_selectorILNS1_17partition_subalgoE9EllbEEZZNS1_14partition_implILS5_9ELb0ES3_jPlS8_PNS0_10empty_typeENS0_5tupleIJS8_S9_EEENSB_IJS8_SA_EEENS0_18inequality_wrapperIZN2at6native12_GLOBAL__N_124unique_dim_cuda_templateIhEESt5tupleIJNSF_6TensorESK_SK_EERKSK_lbbbEUlllE0_EEPmJS9_EEE10hipError_tPvRmT3_T4_T5_T6_T7_T9_mT8_P12ihipStream_tbDpT10_ENKUlT_T0_E_clISt17integral_constantIbLb0EES1A_EEDaS15_S16_EUlS15_E_NS1_11comp_targetILNS1_3genE9ELNS1_11target_archE1100ELNS1_3gpuE3ELNS1_3repE0EEENS1_30default_config_static_selectorELNS0_4arch9wavefront6targetE1EEEvT1_: ; @_ZN7rocprim17ROCPRIM_400000_NS6detail17trampoline_kernelINS0_14default_configENS1_25partition_config_selectorILNS1_17partition_subalgoE9EllbEEZZNS1_14partition_implILS5_9ELb0ES3_jPlS8_PNS0_10empty_typeENS0_5tupleIJS8_S9_EEENSB_IJS8_SA_EEENS0_18inequality_wrapperIZN2at6native12_GLOBAL__N_124unique_dim_cuda_templateIhEESt5tupleIJNSF_6TensorESK_SK_EERKSK_lbbbEUlllE0_EEPmJS9_EEE10hipError_tPvRmT3_T4_T5_T6_T7_T9_mT8_P12ihipStream_tbDpT10_ENKUlT_T0_E_clISt17integral_constantIbLb0EES1A_EEDaS15_S16_EUlS15_E_NS1_11comp_targetILNS1_3genE9ELNS1_11target_archE1100ELNS1_3gpuE3ELNS1_3repE0EEENS1_30default_config_static_selectorELNS0_4arch9wavefront6targetE1EEEvT1_
; %bb.0:
	.section	.rodata,"a",@progbits
	.p2align	6, 0x0
	.amdhsa_kernel _ZN7rocprim17ROCPRIM_400000_NS6detail17trampoline_kernelINS0_14default_configENS1_25partition_config_selectorILNS1_17partition_subalgoE9EllbEEZZNS1_14partition_implILS5_9ELb0ES3_jPlS8_PNS0_10empty_typeENS0_5tupleIJS8_S9_EEENSB_IJS8_SA_EEENS0_18inequality_wrapperIZN2at6native12_GLOBAL__N_124unique_dim_cuda_templateIhEESt5tupleIJNSF_6TensorESK_SK_EERKSK_lbbbEUlllE0_EEPmJS9_EEE10hipError_tPvRmT3_T4_T5_T6_T7_T9_mT8_P12ihipStream_tbDpT10_ENKUlT_T0_E_clISt17integral_constantIbLb0EES1A_EEDaS15_S16_EUlS15_E_NS1_11comp_targetILNS1_3genE9ELNS1_11target_archE1100ELNS1_3gpuE3ELNS1_3repE0EEENS1_30default_config_static_selectorELNS0_4arch9wavefront6targetE1EEEvT1_
		.amdhsa_group_segment_fixed_size 0
		.amdhsa_private_segment_fixed_size 0
		.amdhsa_kernarg_size 120
		.amdhsa_user_sgpr_count 6
		.amdhsa_user_sgpr_private_segment_buffer 1
		.amdhsa_user_sgpr_dispatch_ptr 0
		.amdhsa_user_sgpr_queue_ptr 0
		.amdhsa_user_sgpr_kernarg_segment_ptr 1
		.amdhsa_user_sgpr_dispatch_id 0
		.amdhsa_user_sgpr_flat_scratch_init 0
		.amdhsa_user_sgpr_kernarg_preload_length 0
		.amdhsa_user_sgpr_kernarg_preload_offset 0
		.amdhsa_user_sgpr_private_segment_size 0
		.amdhsa_uses_dynamic_stack 0
		.amdhsa_system_sgpr_private_segment_wavefront_offset 0
		.amdhsa_system_sgpr_workgroup_id_x 1
		.amdhsa_system_sgpr_workgroup_id_y 0
		.amdhsa_system_sgpr_workgroup_id_z 0
		.amdhsa_system_sgpr_workgroup_info 0
		.amdhsa_system_vgpr_workitem_id 0
		.amdhsa_next_free_vgpr 1
		.amdhsa_next_free_sgpr 0
		.amdhsa_accum_offset 4
		.amdhsa_reserve_vcc 0
		.amdhsa_reserve_flat_scratch 0
		.amdhsa_float_round_mode_32 0
		.amdhsa_float_round_mode_16_64 0
		.amdhsa_float_denorm_mode_32 3
		.amdhsa_float_denorm_mode_16_64 3
		.amdhsa_dx10_clamp 1
		.amdhsa_ieee_mode 1
		.amdhsa_fp16_overflow 0
		.amdhsa_tg_split 0
		.amdhsa_exception_fp_ieee_invalid_op 0
		.amdhsa_exception_fp_denorm_src 0
		.amdhsa_exception_fp_ieee_div_zero 0
		.amdhsa_exception_fp_ieee_overflow 0
		.amdhsa_exception_fp_ieee_underflow 0
		.amdhsa_exception_fp_ieee_inexact 0
		.amdhsa_exception_int_div_zero 0
	.end_amdhsa_kernel
	.section	.text._ZN7rocprim17ROCPRIM_400000_NS6detail17trampoline_kernelINS0_14default_configENS1_25partition_config_selectorILNS1_17partition_subalgoE9EllbEEZZNS1_14partition_implILS5_9ELb0ES3_jPlS8_PNS0_10empty_typeENS0_5tupleIJS8_S9_EEENSB_IJS8_SA_EEENS0_18inequality_wrapperIZN2at6native12_GLOBAL__N_124unique_dim_cuda_templateIhEESt5tupleIJNSF_6TensorESK_SK_EERKSK_lbbbEUlllE0_EEPmJS9_EEE10hipError_tPvRmT3_T4_T5_T6_T7_T9_mT8_P12ihipStream_tbDpT10_ENKUlT_T0_E_clISt17integral_constantIbLb0EES1A_EEDaS15_S16_EUlS15_E_NS1_11comp_targetILNS1_3genE9ELNS1_11target_archE1100ELNS1_3gpuE3ELNS1_3repE0EEENS1_30default_config_static_selectorELNS0_4arch9wavefront6targetE1EEEvT1_,"axG",@progbits,_ZN7rocprim17ROCPRIM_400000_NS6detail17trampoline_kernelINS0_14default_configENS1_25partition_config_selectorILNS1_17partition_subalgoE9EllbEEZZNS1_14partition_implILS5_9ELb0ES3_jPlS8_PNS0_10empty_typeENS0_5tupleIJS8_S9_EEENSB_IJS8_SA_EEENS0_18inequality_wrapperIZN2at6native12_GLOBAL__N_124unique_dim_cuda_templateIhEESt5tupleIJNSF_6TensorESK_SK_EERKSK_lbbbEUlllE0_EEPmJS9_EEE10hipError_tPvRmT3_T4_T5_T6_T7_T9_mT8_P12ihipStream_tbDpT10_ENKUlT_T0_E_clISt17integral_constantIbLb0EES1A_EEDaS15_S16_EUlS15_E_NS1_11comp_targetILNS1_3genE9ELNS1_11target_archE1100ELNS1_3gpuE3ELNS1_3repE0EEENS1_30default_config_static_selectorELNS0_4arch9wavefront6targetE1EEEvT1_,comdat
.Lfunc_end210:
	.size	_ZN7rocprim17ROCPRIM_400000_NS6detail17trampoline_kernelINS0_14default_configENS1_25partition_config_selectorILNS1_17partition_subalgoE9EllbEEZZNS1_14partition_implILS5_9ELb0ES3_jPlS8_PNS0_10empty_typeENS0_5tupleIJS8_S9_EEENSB_IJS8_SA_EEENS0_18inequality_wrapperIZN2at6native12_GLOBAL__N_124unique_dim_cuda_templateIhEESt5tupleIJNSF_6TensorESK_SK_EERKSK_lbbbEUlllE0_EEPmJS9_EEE10hipError_tPvRmT3_T4_T5_T6_T7_T9_mT8_P12ihipStream_tbDpT10_ENKUlT_T0_E_clISt17integral_constantIbLb0EES1A_EEDaS15_S16_EUlS15_E_NS1_11comp_targetILNS1_3genE9ELNS1_11target_archE1100ELNS1_3gpuE3ELNS1_3repE0EEENS1_30default_config_static_selectorELNS0_4arch9wavefront6targetE1EEEvT1_, .Lfunc_end210-_ZN7rocprim17ROCPRIM_400000_NS6detail17trampoline_kernelINS0_14default_configENS1_25partition_config_selectorILNS1_17partition_subalgoE9EllbEEZZNS1_14partition_implILS5_9ELb0ES3_jPlS8_PNS0_10empty_typeENS0_5tupleIJS8_S9_EEENSB_IJS8_SA_EEENS0_18inequality_wrapperIZN2at6native12_GLOBAL__N_124unique_dim_cuda_templateIhEESt5tupleIJNSF_6TensorESK_SK_EERKSK_lbbbEUlllE0_EEPmJS9_EEE10hipError_tPvRmT3_T4_T5_T6_T7_T9_mT8_P12ihipStream_tbDpT10_ENKUlT_T0_E_clISt17integral_constantIbLb0EES1A_EEDaS15_S16_EUlS15_E_NS1_11comp_targetILNS1_3genE9ELNS1_11target_archE1100ELNS1_3gpuE3ELNS1_3repE0EEENS1_30default_config_static_selectorELNS0_4arch9wavefront6targetE1EEEvT1_
                                        ; -- End function
	.section	.AMDGPU.csdata,"",@progbits
; Kernel info:
; codeLenInByte = 0
; NumSgprs: 4
; NumVgprs: 0
; NumAgprs: 0
; TotalNumVgprs: 0
; ScratchSize: 0
; MemoryBound: 0
; FloatMode: 240
; IeeeMode: 1
; LDSByteSize: 0 bytes/workgroup (compile time only)
; SGPRBlocks: 0
; VGPRBlocks: 0
; NumSGPRsForWavesPerEU: 4
; NumVGPRsForWavesPerEU: 1
; AccumOffset: 4
; Occupancy: 8
; WaveLimiterHint : 0
; COMPUTE_PGM_RSRC2:SCRATCH_EN: 0
; COMPUTE_PGM_RSRC2:USER_SGPR: 6
; COMPUTE_PGM_RSRC2:TRAP_HANDLER: 0
; COMPUTE_PGM_RSRC2:TGID_X_EN: 1
; COMPUTE_PGM_RSRC2:TGID_Y_EN: 0
; COMPUTE_PGM_RSRC2:TGID_Z_EN: 0
; COMPUTE_PGM_RSRC2:TIDIG_COMP_CNT: 0
; COMPUTE_PGM_RSRC3_GFX90A:ACCUM_OFFSET: 0
; COMPUTE_PGM_RSRC3_GFX90A:TG_SPLIT: 0
	.section	.text._ZN7rocprim17ROCPRIM_400000_NS6detail17trampoline_kernelINS0_14default_configENS1_25partition_config_selectorILNS1_17partition_subalgoE9EllbEEZZNS1_14partition_implILS5_9ELb0ES3_jPlS8_PNS0_10empty_typeENS0_5tupleIJS8_S9_EEENSB_IJS8_SA_EEENS0_18inequality_wrapperIZN2at6native12_GLOBAL__N_124unique_dim_cuda_templateIhEESt5tupleIJNSF_6TensorESK_SK_EERKSK_lbbbEUlllE0_EEPmJS9_EEE10hipError_tPvRmT3_T4_T5_T6_T7_T9_mT8_P12ihipStream_tbDpT10_ENKUlT_T0_E_clISt17integral_constantIbLb0EES1A_EEDaS15_S16_EUlS15_E_NS1_11comp_targetILNS1_3genE8ELNS1_11target_archE1030ELNS1_3gpuE2ELNS1_3repE0EEENS1_30default_config_static_selectorELNS0_4arch9wavefront6targetE1EEEvT1_,"axG",@progbits,_ZN7rocprim17ROCPRIM_400000_NS6detail17trampoline_kernelINS0_14default_configENS1_25partition_config_selectorILNS1_17partition_subalgoE9EllbEEZZNS1_14partition_implILS5_9ELb0ES3_jPlS8_PNS0_10empty_typeENS0_5tupleIJS8_S9_EEENSB_IJS8_SA_EEENS0_18inequality_wrapperIZN2at6native12_GLOBAL__N_124unique_dim_cuda_templateIhEESt5tupleIJNSF_6TensorESK_SK_EERKSK_lbbbEUlllE0_EEPmJS9_EEE10hipError_tPvRmT3_T4_T5_T6_T7_T9_mT8_P12ihipStream_tbDpT10_ENKUlT_T0_E_clISt17integral_constantIbLb0EES1A_EEDaS15_S16_EUlS15_E_NS1_11comp_targetILNS1_3genE8ELNS1_11target_archE1030ELNS1_3gpuE2ELNS1_3repE0EEENS1_30default_config_static_selectorELNS0_4arch9wavefront6targetE1EEEvT1_,comdat
	.globl	_ZN7rocprim17ROCPRIM_400000_NS6detail17trampoline_kernelINS0_14default_configENS1_25partition_config_selectorILNS1_17partition_subalgoE9EllbEEZZNS1_14partition_implILS5_9ELb0ES3_jPlS8_PNS0_10empty_typeENS0_5tupleIJS8_S9_EEENSB_IJS8_SA_EEENS0_18inequality_wrapperIZN2at6native12_GLOBAL__N_124unique_dim_cuda_templateIhEESt5tupleIJNSF_6TensorESK_SK_EERKSK_lbbbEUlllE0_EEPmJS9_EEE10hipError_tPvRmT3_T4_T5_T6_T7_T9_mT8_P12ihipStream_tbDpT10_ENKUlT_T0_E_clISt17integral_constantIbLb0EES1A_EEDaS15_S16_EUlS15_E_NS1_11comp_targetILNS1_3genE8ELNS1_11target_archE1030ELNS1_3gpuE2ELNS1_3repE0EEENS1_30default_config_static_selectorELNS0_4arch9wavefront6targetE1EEEvT1_ ; -- Begin function _ZN7rocprim17ROCPRIM_400000_NS6detail17trampoline_kernelINS0_14default_configENS1_25partition_config_selectorILNS1_17partition_subalgoE9EllbEEZZNS1_14partition_implILS5_9ELb0ES3_jPlS8_PNS0_10empty_typeENS0_5tupleIJS8_S9_EEENSB_IJS8_SA_EEENS0_18inequality_wrapperIZN2at6native12_GLOBAL__N_124unique_dim_cuda_templateIhEESt5tupleIJNSF_6TensorESK_SK_EERKSK_lbbbEUlllE0_EEPmJS9_EEE10hipError_tPvRmT3_T4_T5_T6_T7_T9_mT8_P12ihipStream_tbDpT10_ENKUlT_T0_E_clISt17integral_constantIbLb0EES1A_EEDaS15_S16_EUlS15_E_NS1_11comp_targetILNS1_3genE8ELNS1_11target_archE1030ELNS1_3gpuE2ELNS1_3repE0EEENS1_30default_config_static_selectorELNS0_4arch9wavefront6targetE1EEEvT1_
	.p2align	8
	.type	_ZN7rocprim17ROCPRIM_400000_NS6detail17trampoline_kernelINS0_14default_configENS1_25partition_config_selectorILNS1_17partition_subalgoE9EllbEEZZNS1_14partition_implILS5_9ELb0ES3_jPlS8_PNS0_10empty_typeENS0_5tupleIJS8_S9_EEENSB_IJS8_SA_EEENS0_18inequality_wrapperIZN2at6native12_GLOBAL__N_124unique_dim_cuda_templateIhEESt5tupleIJNSF_6TensorESK_SK_EERKSK_lbbbEUlllE0_EEPmJS9_EEE10hipError_tPvRmT3_T4_T5_T6_T7_T9_mT8_P12ihipStream_tbDpT10_ENKUlT_T0_E_clISt17integral_constantIbLb0EES1A_EEDaS15_S16_EUlS15_E_NS1_11comp_targetILNS1_3genE8ELNS1_11target_archE1030ELNS1_3gpuE2ELNS1_3repE0EEENS1_30default_config_static_selectorELNS0_4arch9wavefront6targetE1EEEvT1_,@function
_ZN7rocprim17ROCPRIM_400000_NS6detail17trampoline_kernelINS0_14default_configENS1_25partition_config_selectorILNS1_17partition_subalgoE9EllbEEZZNS1_14partition_implILS5_9ELb0ES3_jPlS8_PNS0_10empty_typeENS0_5tupleIJS8_S9_EEENSB_IJS8_SA_EEENS0_18inequality_wrapperIZN2at6native12_GLOBAL__N_124unique_dim_cuda_templateIhEESt5tupleIJNSF_6TensorESK_SK_EERKSK_lbbbEUlllE0_EEPmJS9_EEE10hipError_tPvRmT3_T4_T5_T6_T7_T9_mT8_P12ihipStream_tbDpT10_ENKUlT_T0_E_clISt17integral_constantIbLb0EES1A_EEDaS15_S16_EUlS15_E_NS1_11comp_targetILNS1_3genE8ELNS1_11target_archE1030ELNS1_3gpuE2ELNS1_3repE0EEENS1_30default_config_static_selectorELNS0_4arch9wavefront6targetE1EEEvT1_: ; @_ZN7rocprim17ROCPRIM_400000_NS6detail17trampoline_kernelINS0_14default_configENS1_25partition_config_selectorILNS1_17partition_subalgoE9EllbEEZZNS1_14partition_implILS5_9ELb0ES3_jPlS8_PNS0_10empty_typeENS0_5tupleIJS8_S9_EEENSB_IJS8_SA_EEENS0_18inequality_wrapperIZN2at6native12_GLOBAL__N_124unique_dim_cuda_templateIhEESt5tupleIJNSF_6TensorESK_SK_EERKSK_lbbbEUlllE0_EEPmJS9_EEE10hipError_tPvRmT3_T4_T5_T6_T7_T9_mT8_P12ihipStream_tbDpT10_ENKUlT_T0_E_clISt17integral_constantIbLb0EES1A_EEDaS15_S16_EUlS15_E_NS1_11comp_targetILNS1_3genE8ELNS1_11target_archE1030ELNS1_3gpuE2ELNS1_3repE0EEENS1_30default_config_static_selectorELNS0_4arch9wavefront6targetE1EEEvT1_
; %bb.0:
	.section	.rodata,"a",@progbits
	.p2align	6, 0x0
	.amdhsa_kernel _ZN7rocprim17ROCPRIM_400000_NS6detail17trampoline_kernelINS0_14default_configENS1_25partition_config_selectorILNS1_17partition_subalgoE9EllbEEZZNS1_14partition_implILS5_9ELb0ES3_jPlS8_PNS0_10empty_typeENS0_5tupleIJS8_S9_EEENSB_IJS8_SA_EEENS0_18inequality_wrapperIZN2at6native12_GLOBAL__N_124unique_dim_cuda_templateIhEESt5tupleIJNSF_6TensorESK_SK_EERKSK_lbbbEUlllE0_EEPmJS9_EEE10hipError_tPvRmT3_T4_T5_T6_T7_T9_mT8_P12ihipStream_tbDpT10_ENKUlT_T0_E_clISt17integral_constantIbLb0EES1A_EEDaS15_S16_EUlS15_E_NS1_11comp_targetILNS1_3genE8ELNS1_11target_archE1030ELNS1_3gpuE2ELNS1_3repE0EEENS1_30default_config_static_selectorELNS0_4arch9wavefront6targetE1EEEvT1_
		.amdhsa_group_segment_fixed_size 0
		.amdhsa_private_segment_fixed_size 0
		.amdhsa_kernarg_size 120
		.amdhsa_user_sgpr_count 6
		.amdhsa_user_sgpr_private_segment_buffer 1
		.amdhsa_user_sgpr_dispatch_ptr 0
		.amdhsa_user_sgpr_queue_ptr 0
		.amdhsa_user_sgpr_kernarg_segment_ptr 1
		.amdhsa_user_sgpr_dispatch_id 0
		.amdhsa_user_sgpr_flat_scratch_init 0
		.amdhsa_user_sgpr_kernarg_preload_length 0
		.amdhsa_user_sgpr_kernarg_preload_offset 0
		.amdhsa_user_sgpr_private_segment_size 0
		.amdhsa_uses_dynamic_stack 0
		.amdhsa_system_sgpr_private_segment_wavefront_offset 0
		.amdhsa_system_sgpr_workgroup_id_x 1
		.amdhsa_system_sgpr_workgroup_id_y 0
		.amdhsa_system_sgpr_workgroup_id_z 0
		.amdhsa_system_sgpr_workgroup_info 0
		.amdhsa_system_vgpr_workitem_id 0
		.amdhsa_next_free_vgpr 1
		.amdhsa_next_free_sgpr 0
		.amdhsa_accum_offset 4
		.amdhsa_reserve_vcc 0
		.amdhsa_reserve_flat_scratch 0
		.amdhsa_float_round_mode_32 0
		.amdhsa_float_round_mode_16_64 0
		.amdhsa_float_denorm_mode_32 3
		.amdhsa_float_denorm_mode_16_64 3
		.amdhsa_dx10_clamp 1
		.amdhsa_ieee_mode 1
		.amdhsa_fp16_overflow 0
		.amdhsa_tg_split 0
		.amdhsa_exception_fp_ieee_invalid_op 0
		.amdhsa_exception_fp_denorm_src 0
		.amdhsa_exception_fp_ieee_div_zero 0
		.amdhsa_exception_fp_ieee_overflow 0
		.amdhsa_exception_fp_ieee_underflow 0
		.amdhsa_exception_fp_ieee_inexact 0
		.amdhsa_exception_int_div_zero 0
	.end_amdhsa_kernel
	.section	.text._ZN7rocprim17ROCPRIM_400000_NS6detail17trampoline_kernelINS0_14default_configENS1_25partition_config_selectorILNS1_17partition_subalgoE9EllbEEZZNS1_14partition_implILS5_9ELb0ES3_jPlS8_PNS0_10empty_typeENS0_5tupleIJS8_S9_EEENSB_IJS8_SA_EEENS0_18inequality_wrapperIZN2at6native12_GLOBAL__N_124unique_dim_cuda_templateIhEESt5tupleIJNSF_6TensorESK_SK_EERKSK_lbbbEUlllE0_EEPmJS9_EEE10hipError_tPvRmT3_T4_T5_T6_T7_T9_mT8_P12ihipStream_tbDpT10_ENKUlT_T0_E_clISt17integral_constantIbLb0EES1A_EEDaS15_S16_EUlS15_E_NS1_11comp_targetILNS1_3genE8ELNS1_11target_archE1030ELNS1_3gpuE2ELNS1_3repE0EEENS1_30default_config_static_selectorELNS0_4arch9wavefront6targetE1EEEvT1_,"axG",@progbits,_ZN7rocprim17ROCPRIM_400000_NS6detail17trampoline_kernelINS0_14default_configENS1_25partition_config_selectorILNS1_17partition_subalgoE9EllbEEZZNS1_14partition_implILS5_9ELb0ES3_jPlS8_PNS0_10empty_typeENS0_5tupleIJS8_S9_EEENSB_IJS8_SA_EEENS0_18inequality_wrapperIZN2at6native12_GLOBAL__N_124unique_dim_cuda_templateIhEESt5tupleIJNSF_6TensorESK_SK_EERKSK_lbbbEUlllE0_EEPmJS9_EEE10hipError_tPvRmT3_T4_T5_T6_T7_T9_mT8_P12ihipStream_tbDpT10_ENKUlT_T0_E_clISt17integral_constantIbLb0EES1A_EEDaS15_S16_EUlS15_E_NS1_11comp_targetILNS1_3genE8ELNS1_11target_archE1030ELNS1_3gpuE2ELNS1_3repE0EEENS1_30default_config_static_selectorELNS0_4arch9wavefront6targetE1EEEvT1_,comdat
.Lfunc_end211:
	.size	_ZN7rocprim17ROCPRIM_400000_NS6detail17trampoline_kernelINS0_14default_configENS1_25partition_config_selectorILNS1_17partition_subalgoE9EllbEEZZNS1_14partition_implILS5_9ELb0ES3_jPlS8_PNS0_10empty_typeENS0_5tupleIJS8_S9_EEENSB_IJS8_SA_EEENS0_18inequality_wrapperIZN2at6native12_GLOBAL__N_124unique_dim_cuda_templateIhEESt5tupleIJNSF_6TensorESK_SK_EERKSK_lbbbEUlllE0_EEPmJS9_EEE10hipError_tPvRmT3_T4_T5_T6_T7_T9_mT8_P12ihipStream_tbDpT10_ENKUlT_T0_E_clISt17integral_constantIbLb0EES1A_EEDaS15_S16_EUlS15_E_NS1_11comp_targetILNS1_3genE8ELNS1_11target_archE1030ELNS1_3gpuE2ELNS1_3repE0EEENS1_30default_config_static_selectorELNS0_4arch9wavefront6targetE1EEEvT1_, .Lfunc_end211-_ZN7rocprim17ROCPRIM_400000_NS6detail17trampoline_kernelINS0_14default_configENS1_25partition_config_selectorILNS1_17partition_subalgoE9EllbEEZZNS1_14partition_implILS5_9ELb0ES3_jPlS8_PNS0_10empty_typeENS0_5tupleIJS8_S9_EEENSB_IJS8_SA_EEENS0_18inequality_wrapperIZN2at6native12_GLOBAL__N_124unique_dim_cuda_templateIhEESt5tupleIJNSF_6TensorESK_SK_EERKSK_lbbbEUlllE0_EEPmJS9_EEE10hipError_tPvRmT3_T4_T5_T6_T7_T9_mT8_P12ihipStream_tbDpT10_ENKUlT_T0_E_clISt17integral_constantIbLb0EES1A_EEDaS15_S16_EUlS15_E_NS1_11comp_targetILNS1_3genE8ELNS1_11target_archE1030ELNS1_3gpuE2ELNS1_3repE0EEENS1_30default_config_static_selectorELNS0_4arch9wavefront6targetE1EEEvT1_
                                        ; -- End function
	.section	.AMDGPU.csdata,"",@progbits
; Kernel info:
; codeLenInByte = 0
; NumSgprs: 4
; NumVgprs: 0
; NumAgprs: 0
; TotalNumVgprs: 0
; ScratchSize: 0
; MemoryBound: 0
; FloatMode: 240
; IeeeMode: 1
; LDSByteSize: 0 bytes/workgroup (compile time only)
; SGPRBlocks: 0
; VGPRBlocks: 0
; NumSGPRsForWavesPerEU: 4
; NumVGPRsForWavesPerEU: 1
; AccumOffset: 4
; Occupancy: 8
; WaveLimiterHint : 0
; COMPUTE_PGM_RSRC2:SCRATCH_EN: 0
; COMPUTE_PGM_RSRC2:USER_SGPR: 6
; COMPUTE_PGM_RSRC2:TRAP_HANDLER: 0
; COMPUTE_PGM_RSRC2:TGID_X_EN: 1
; COMPUTE_PGM_RSRC2:TGID_Y_EN: 0
; COMPUTE_PGM_RSRC2:TGID_Z_EN: 0
; COMPUTE_PGM_RSRC2:TIDIG_COMP_CNT: 0
; COMPUTE_PGM_RSRC3_GFX90A:ACCUM_OFFSET: 0
; COMPUTE_PGM_RSRC3_GFX90A:TG_SPLIT: 0
	.section	.text._ZN7rocprim17ROCPRIM_400000_NS6detail17trampoline_kernelINS0_14default_configENS1_25partition_config_selectorILNS1_17partition_subalgoE9EllbEEZZNS1_14partition_implILS5_9ELb0ES3_jPlS8_PNS0_10empty_typeENS0_5tupleIJS8_S9_EEENSB_IJS8_SA_EEENS0_18inequality_wrapperIZN2at6native12_GLOBAL__N_124unique_dim_cuda_templateIhEESt5tupleIJNSF_6TensorESK_SK_EERKSK_lbbbEUlllE0_EEPmJS9_EEE10hipError_tPvRmT3_T4_T5_T6_T7_T9_mT8_P12ihipStream_tbDpT10_ENKUlT_T0_E_clISt17integral_constantIbLb1EES1A_EEDaS15_S16_EUlS15_E_NS1_11comp_targetILNS1_3genE0ELNS1_11target_archE4294967295ELNS1_3gpuE0ELNS1_3repE0EEENS1_30default_config_static_selectorELNS0_4arch9wavefront6targetE1EEEvT1_,"axG",@progbits,_ZN7rocprim17ROCPRIM_400000_NS6detail17trampoline_kernelINS0_14default_configENS1_25partition_config_selectorILNS1_17partition_subalgoE9EllbEEZZNS1_14partition_implILS5_9ELb0ES3_jPlS8_PNS0_10empty_typeENS0_5tupleIJS8_S9_EEENSB_IJS8_SA_EEENS0_18inequality_wrapperIZN2at6native12_GLOBAL__N_124unique_dim_cuda_templateIhEESt5tupleIJNSF_6TensorESK_SK_EERKSK_lbbbEUlllE0_EEPmJS9_EEE10hipError_tPvRmT3_T4_T5_T6_T7_T9_mT8_P12ihipStream_tbDpT10_ENKUlT_T0_E_clISt17integral_constantIbLb1EES1A_EEDaS15_S16_EUlS15_E_NS1_11comp_targetILNS1_3genE0ELNS1_11target_archE4294967295ELNS1_3gpuE0ELNS1_3repE0EEENS1_30default_config_static_selectorELNS0_4arch9wavefront6targetE1EEEvT1_,comdat
	.globl	_ZN7rocprim17ROCPRIM_400000_NS6detail17trampoline_kernelINS0_14default_configENS1_25partition_config_selectorILNS1_17partition_subalgoE9EllbEEZZNS1_14partition_implILS5_9ELb0ES3_jPlS8_PNS0_10empty_typeENS0_5tupleIJS8_S9_EEENSB_IJS8_SA_EEENS0_18inequality_wrapperIZN2at6native12_GLOBAL__N_124unique_dim_cuda_templateIhEESt5tupleIJNSF_6TensorESK_SK_EERKSK_lbbbEUlllE0_EEPmJS9_EEE10hipError_tPvRmT3_T4_T5_T6_T7_T9_mT8_P12ihipStream_tbDpT10_ENKUlT_T0_E_clISt17integral_constantIbLb1EES1A_EEDaS15_S16_EUlS15_E_NS1_11comp_targetILNS1_3genE0ELNS1_11target_archE4294967295ELNS1_3gpuE0ELNS1_3repE0EEENS1_30default_config_static_selectorELNS0_4arch9wavefront6targetE1EEEvT1_ ; -- Begin function _ZN7rocprim17ROCPRIM_400000_NS6detail17trampoline_kernelINS0_14default_configENS1_25partition_config_selectorILNS1_17partition_subalgoE9EllbEEZZNS1_14partition_implILS5_9ELb0ES3_jPlS8_PNS0_10empty_typeENS0_5tupleIJS8_S9_EEENSB_IJS8_SA_EEENS0_18inequality_wrapperIZN2at6native12_GLOBAL__N_124unique_dim_cuda_templateIhEESt5tupleIJNSF_6TensorESK_SK_EERKSK_lbbbEUlllE0_EEPmJS9_EEE10hipError_tPvRmT3_T4_T5_T6_T7_T9_mT8_P12ihipStream_tbDpT10_ENKUlT_T0_E_clISt17integral_constantIbLb1EES1A_EEDaS15_S16_EUlS15_E_NS1_11comp_targetILNS1_3genE0ELNS1_11target_archE4294967295ELNS1_3gpuE0ELNS1_3repE0EEENS1_30default_config_static_selectorELNS0_4arch9wavefront6targetE1EEEvT1_
	.p2align	8
	.type	_ZN7rocprim17ROCPRIM_400000_NS6detail17trampoline_kernelINS0_14default_configENS1_25partition_config_selectorILNS1_17partition_subalgoE9EllbEEZZNS1_14partition_implILS5_9ELb0ES3_jPlS8_PNS0_10empty_typeENS0_5tupleIJS8_S9_EEENSB_IJS8_SA_EEENS0_18inequality_wrapperIZN2at6native12_GLOBAL__N_124unique_dim_cuda_templateIhEESt5tupleIJNSF_6TensorESK_SK_EERKSK_lbbbEUlllE0_EEPmJS9_EEE10hipError_tPvRmT3_T4_T5_T6_T7_T9_mT8_P12ihipStream_tbDpT10_ENKUlT_T0_E_clISt17integral_constantIbLb1EES1A_EEDaS15_S16_EUlS15_E_NS1_11comp_targetILNS1_3genE0ELNS1_11target_archE4294967295ELNS1_3gpuE0ELNS1_3repE0EEENS1_30default_config_static_selectorELNS0_4arch9wavefront6targetE1EEEvT1_,@function
_ZN7rocprim17ROCPRIM_400000_NS6detail17trampoline_kernelINS0_14default_configENS1_25partition_config_selectorILNS1_17partition_subalgoE9EllbEEZZNS1_14partition_implILS5_9ELb0ES3_jPlS8_PNS0_10empty_typeENS0_5tupleIJS8_S9_EEENSB_IJS8_SA_EEENS0_18inequality_wrapperIZN2at6native12_GLOBAL__N_124unique_dim_cuda_templateIhEESt5tupleIJNSF_6TensorESK_SK_EERKSK_lbbbEUlllE0_EEPmJS9_EEE10hipError_tPvRmT3_T4_T5_T6_T7_T9_mT8_P12ihipStream_tbDpT10_ENKUlT_T0_E_clISt17integral_constantIbLb1EES1A_EEDaS15_S16_EUlS15_E_NS1_11comp_targetILNS1_3genE0ELNS1_11target_archE4294967295ELNS1_3gpuE0ELNS1_3repE0EEENS1_30default_config_static_selectorELNS0_4arch9wavefront6targetE1EEEvT1_: ; @_ZN7rocprim17ROCPRIM_400000_NS6detail17trampoline_kernelINS0_14default_configENS1_25partition_config_selectorILNS1_17partition_subalgoE9EllbEEZZNS1_14partition_implILS5_9ELb0ES3_jPlS8_PNS0_10empty_typeENS0_5tupleIJS8_S9_EEENSB_IJS8_SA_EEENS0_18inequality_wrapperIZN2at6native12_GLOBAL__N_124unique_dim_cuda_templateIhEESt5tupleIJNSF_6TensorESK_SK_EERKSK_lbbbEUlllE0_EEPmJS9_EEE10hipError_tPvRmT3_T4_T5_T6_T7_T9_mT8_P12ihipStream_tbDpT10_ENKUlT_T0_E_clISt17integral_constantIbLb1EES1A_EEDaS15_S16_EUlS15_E_NS1_11comp_targetILNS1_3genE0ELNS1_11target_archE4294967295ELNS1_3gpuE0ELNS1_3repE0EEENS1_30default_config_static_selectorELNS0_4arch9wavefront6targetE1EEEvT1_
; %bb.0:
	.section	.rodata,"a",@progbits
	.p2align	6, 0x0
	.amdhsa_kernel _ZN7rocprim17ROCPRIM_400000_NS6detail17trampoline_kernelINS0_14default_configENS1_25partition_config_selectorILNS1_17partition_subalgoE9EllbEEZZNS1_14partition_implILS5_9ELb0ES3_jPlS8_PNS0_10empty_typeENS0_5tupleIJS8_S9_EEENSB_IJS8_SA_EEENS0_18inequality_wrapperIZN2at6native12_GLOBAL__N_124unique_dim_cuda_templateIhEESt5tupleIJNSF_6TensorESK_SK_EERKSK_lbbbEUlllE0_EEPmJS9_EEE10hipError_tPvRmT3_T4_T5_T6_T7_T9_mT8_P12ihipStream_tbDpT10_ENKUlT_T0_E_clISt17integral_constantIbLb1EES1A_EEDaS15_S16_EUlS15_E_NS1_11comp_targetILNS1_3genE0ELNS1_11target_archE4294967295ELNS1_3gpuE0ELNS1_3repE0EEENS1_30default_config_static_selectorELNS0_4arch9wavefront6targetE1EEEvT1_
		.amdhsa_group_segment_fixed_size 0
		.amdhsa_private_segment_fixed_size 0
		.amdhsa_kernarg_size 136
		.amdhsa_user_sgpr_count 6
		.amdhsa_user_sgpr_private_segment_buffer 1
		.amdhsa_user_sgpr_dispatch_ptr 0
		.amdhsa_user_sgpr_queue_ptr 0
		.amdhsa_user_sgpr_kernarg_segment_ptr 1
		.amdhsa_user_sgpr_dispatch_id 0
		.amdhsa_user_sgpr_flat_scratch_init 0
		.amdhsa_user_sgpr_kernarg_preload_length 0
		.amdhsa_user_sgpr_kernarg_preload_offset 0
		.amdhsa_user_sgpr_private_segment_size 0
		.amdhsa_uses_dynamic_stack 0
		.amdhsa_system_sgpr_private_segment_wavefront_offset 0
		.amdhsa_system_sgpr_workgroup_id_x 1
		.amdhsa_system_sgpr_workgroup_id_y 0
		.amdhsa_system_sgpr_workgroup_id_z 0
		.amdhsa_system_sgpr_workgroup_info 0
		.amdhsa_system_vgpr_workitem_id 0
		.amdhsa_next_free_vgpr 1
		.amdhsa_next_free_sgpr 0
		.amdhsa_accum_offset 4
		.amdhsa_reserve_vcc 0
		.amdhsa_reserve_flat_scratch 0
		.amdhsa_float_round_mode_32 0
		.amdhsa_float_round_mode_16_64 0
		.amdhsa_float_denorm_mode_32 3
		.amdhsa_float_denorm_mode_16_64 3
		.amdhsa_dx10_clamp 1
		.amdhsa_ieee_mode 1
		.amdhsa_fp16_overflow 0
		.amdhsa_tg_split 0
		.amdhsa_exception_fp_ieee_invalid_op 0
		.amdhsa_exception_fp_denorm_src 0
		.amdhsa_exception_fp_ieee_div_zero 0
		.amdhsa_exception_fp_ieee_overflow 0
		.amdhsa_exception_fp_ieee_underflow 0
		.amdhsa_exception_fp_ieee_inexact 0
		.amdhsa_exception_int_div_zero 0
	.end_amdhsa_kernel
	.section	.text._ZN7rocprim17ROCPRIM_400000_NS6detail17trampoline_kernelINS0_14default_configENS1_25partition_config_selectorILNS1_17partition_subalgoE9EllbEEZZNS1_14partition_implILS5_9ELb0ES3_jPlS8_PNS0_10empty_typeENS0_5tupleIJS8_S9_EEENSB_IJS8_SA_EEENS0_18inequality_wrapperIZN2at6native12_GLOBAL__N_124unique_dim_cuda_templateIhEESt5tupleIJNSF_6TensorESK_SK_EERKSK_lbbbEUlllE0_EEPmJS9_EEE10hipError_tPvRmT3_T4_T5_T6_T7_T9_mT8_P12ihipStream_tbDpT10_ENKUlT_T0_E_clISt17integral_constantIbLb1EES1A_EEDaS15_S16_EUlS15_E_NS1_11comp_targetILNS1_3genE0ELNS1_11target_archE4294967295ELNS1_3gpuE0ELNS1_3repE0EEENS1_30default_config_static_selectorELNS0_4arch9wavefront6targetE1EEEvT1_,"axG",@progbits,_ZN7rocprim17ROCPRIM_400000_NS6detail17trampoline_kernelINS0_14default_configENS1_25partition_config_selectorILNS1_17partition_subalgoE9EllbEEZZNS1_14partition_implILS5_9ELb0ES3_jPlS8_PNS0_10empty_typeENS0_5tupleIJS8_S9_EEENSB_IJS8_SA_EEENS0_18inequality_wrapperIZN2at6native12_GLOBAL__N_124unique_dim_cuda_templateIhEESt5tupleIJNSF_6TensorESK_SK_EERKSK_lbbbEUlllE0_EEPmJS9_EEE10hipError_tPvRmT3_T4_T5_T6_T7_T9_mT8_P12ihipStream_tbDpT10_ENKUlT_T0_E_clISt17integral_constantIbLb1EES1A_EEDaS15_S16_EUlS15_E_NS1_11comp_targetILNS1_3genE0ELNS1_11target_archE4294967295ELNS1_3gpuE0ELNS1_3repE0EEENS1_30default_config_static_selectorELNS0_4arch9wavefront6targetE1EEEvT1_,comdat
.Lfunc_end212:
	.size	_ZN7rocprim17ROCPRIM_400000_NS6detail17trampoline_kernelINS0_14default_configENS1_25partition_config_selectorILNS1_17partition_subalgoE9EllbEEZZNS1_14partition_implILS5_9ELb0ES3_jPlS8_PNS0_10empty_typeENS0_5tupleIJS8_S9_EEENSB_IJS8_SA_EEENS0_18inequality_wrapperIZN2at6native12_GLOBAL__N_124unique_dim_cuda_templateIhEESt5tupleIJNSF_6TensorESK_SK_EERKSK_lbbbEUlllE0_EEPmJS9_EEE10hipError_tPvRmT3_T4_T5_T6_T7_T9_mT8_P12ihipStream_tbDpT10_ENKUlT_T0_E_clISt17integral_constantIbLb1EES1A_EEDaS15_S16_EUlS15_E_NS1_11comp_targetILNS1_3genE0ELNS1_11target_archE4294967295ELNS1_3gpuE0ELNS1_3repE0EEENS1_30default_config_static_selectorELNS0_4arch9wavefront6targetE1EEEvT1_, .Lfunc_end212-_ZN7rocprim17ROCPRIM_400000_NS6detail17trampoline_kernelINS0_14default_configENS1_25partition_config_selectorILNS1_17partition_subalgoE9EllbEEZZNS1_14partition_implILS5_9ELb0ES3_jPlS8_PNS0_10empty_typeENS0_5tupleIJS8_S9_EEENSB_IJS8_SA_EEENS0_18inequality_wrapperIZN2at6native12_GLOBAL__N_124unique_dim_cuda_templateIhEESt5tupleIJNSF_6TensorESK_SK_EERKSK_lbbbEUlllE0_EEPmJS9_EEE10hipError_tPvRmT3_T4_T5_T6_T7_T9_mT8_P12ihipStream_tbDpT10_ENKUlT_T0_E_clISt17integral_constantIbLb1EES1A_EEDaS15_S16_EUlS15_E_NS1_11comp_targetILNS1_3genE0ELNS1_11target_archE4294967295ELNS1_3gpuE0ELNS1_3repE0EEENS1_30default_config_static_selectorELNS0_4arch9wavefront6targetE1EEEvT1_
                                        ; -- End function
	.section	.AMDGPU.csdata,"",@progbits
; Kernel info:
; codeLenInByte = 0
; NumSgprs: 4
; NumVgprs: 0
; NumAgprs: 0
; TotalNumVgprs: 0
; ScratchSize: 0
; MemoryBound: 0
; FloatMode: 240
; IeeeMode: 1
; LDSByteSize: 0 bytes/workgroup (compile time only)
; SGPRBlocks: 0
; VGPRBlocks: 0
; NumSGPRsForWavesPerEU: 4
; NumVGPRsForWavesPerEU: 1
; AccumOffset: 4
; Occupancy: 8
; WaveLimiterHint : 0
; COMPUTE_PGM_RSRC2:SCRATCH_EN: 0
; COMPUTE_PGM_RSRC2:USER_SGPR: 6
; COMPUTE_PGM_RSRC2:TRAP_HANDLER: 0
; COMPUTE_PGM_RSRC2:TGID_X_EN: 1
; COMPUTE_PGM_RSRC2:TGID_Y_EN: 0
; COMPUTE_PGM_RSRC2:TGID_Z_EN: 0
; COMPUTE_PGM_RSRC2:TIDIG_COMP_CNT: 0
; COMPUTE_PGM_RSRC3_GFX90A:ACCUM_OFFSET: 0
; COMPUTE_PGM_RSRC3_GFX90A:TG_SPLIT: 0
	.section	.text._ZN7rocprim17ROCPRIM_400000_NS6detail17trampoline_kernelINS0_14default_configENS1_25partition_config_selectorILNS1_17partition_subalgoE9EllbEEZZNS1_14partition_implILS5_9ELb0ES3_jPlS8_PNS0_10empty_typeENS0_5tupleIJS8_S9_EEENSB_IJS8_SA_EEENS0_18inequality_wrapperIZN2at6native12_GLOBAL__N_124unique_dim_cuda_templateIhEESt5tupleIJNSF_6TensorESK_SK_EERKSK_lbbbEUlllE0_EEPmJS9_EEE10hipError_tPvRmT3_T4_T5_T6_T7_T9_mT8_P12ihipStream_tbDpT10_ENKUlT_T0_E_clISt17integral_constantIbLb1EES1A_EEDaS15_S16_EUlS15_E_NS1_11comp_targetILNS1_3genE5ELNS1_11target_archE942ELNS1_3gpuE9ELNS1_3repE0EEENS1_30default_config_static_selectorELNS0_4arch9wavefront6targetE1EEEvT1_,"axG",@progbits,_ZN7rocprim17ROCPRIM_400000_NS6detail17trampoline_kernelINS0_14default_configENS1_25partition_config_selectorILNS1_17partition_subalgoE9EllbEEZZNS1_14partition_implILS5_9ELb0ES3_jPlS8_PNS0_10empty_typeENS0_5tupleIJS8_S9_EEENSB_IJS8_SA_EEENS0_18inequality_wrapperIZN2at6native12_GLOBAL__N_124unique_dim_cuda_templateIhEESt5tupleIJNSF_6TensorESK_SK_EERKSK_lbbbEUlllE0_EEPmJS9_EEE10hipError_tPvRmT3_T4_T5_T6_T7_T9_mT8_P12ihipStream_tbDpT10_ENKUlT_T0_E_clISt17integral_constantIbLb1EES1A_EEDaS15_S16_EUlS15_E_NS1_11comp_targetILNS1_3genE5ELNS1_11target_archE942ELNS1_3gpuE9ELNS1_3repE0EEENS1_30default_config_static_selectorELNS0_4arch9wavefront6targetE1EEEvT1_,comdat
	.globl	_ZN7rocprim17ROCPRIM_400000_NS6detail17trampoline_kernelINS0_14default_configENS1_25partition_config_selectorILNS1_17partition_subalgoE9EllbEEZZNS1_14partition_implILS5_9ELb0ES3_jPlS8_PNS0_10empty_typeENS0_5tupleIJS8_S9_EEENSB_IJS8_SA_EEENS0_18inequality_wrapperIZN2at6native12_GLOBAL__N_124unique_dim_cuda_templateIhEESt5tupleIJNSF_6TensorESK_SK_EERKSK_lbbbEUlllE0_EEPmJS9_EEE10hipError_tPvRmT3_T4_T5_T6_T7_T9_mT8_P12ihipStream_tbDpT10_ENKUlT_T0_E_clISt17integral_constantIbLb1EES1A_EEDaS15_S16_EUlS15_E_NS1_11comp_targetILNS1_3genE5ELNS1_11target_archE942ELNS1_3gpuE9ELNS1_3repE0EEENS1_30default_config_static_selectorELNS0_4arch9wavefront6targetE1EEEvT1_ ; -- Begin function _ZN7rocprim17ROCPRIM_400000_NS6detail17trampoline_kernelINS0_14default_configENS1_25partition_config_selectorILNS1_17partition_subalgoE9EllbEEZZNS1_14partition_implILS5_9ELb0ES3_jPlS8_PNS0_10empty_typeENS0_5tupleIJS8_S9_EEENSB_IJS8_SA_EEENS0_18inequality_wrapperIZN2at6native12_GLOBAL__N_124unique_dim_cuda_templateIhEESt5tupleIJNSF_6TensorESK_SK_EERKSK_lbbbEUlllE0_EEPmJS9_EEE10hipError_tPvRmT3_T4_T5_T6_T7_T9_mT8_P12ihipStream_tbDpT10_ENKUlT_T0_E_clISt17integral_constantIbLb1EES1A_EEDaS15_S16_EUlS15_E_NS1_11comp_targetILNS1_3genE5ELNS1_11target_archE942ELNS1_3gpuE9ELNS1_3repE0EEENS1_30default_config_static_selectorELNS0_4arch9wavefront6targetE1EEEvT1_
	.p2align	8
	.type	_ZN7rocprim17ROCPRIM_400000_NS6detail17trampoline_kernelINS0_14default_configENS1_25partition_config_selectorILNS1_17partition_subalgoE9EllbEEZZNS1_14partition_implILS5_9ELb0ES3_jPlS8_PNS0_10empty_typeENS0_5tupleIJS8_S9_EEENSB_IJS8_SA_EEENS0_18inequality_wrapperIZN2at6native12_GLOBAL__N_124unique_dim_cuda_templateIhEESt5tupleIJNSF_6TensorESK_SK_EERKSK_lbbbEUlllE0_EEPmJS9_EEE10hipError_tPvRmT3_T4_T5_T6_T7_T9_mT8_P12ihipStream_tbDpT10_ENKUlT_T0_E_clISt17integral_constantIbLb1EES1A_EEDaS15_S16_EUlS15_E_NS1_11comp_targetILNS1_3genE5ELNS1_11target_archE942ELNS1_3gpuE9ELNS1_3repE0EEENS1_30default_config_static_selectorELNS0_4arch9wavefront6targetE1EEEvT1_,@function
_ZN7rocprim17ROCPRIM_400000_NS6detail17trampoline_kernelINS0_14default_configENS1_25partition_config_selectorILNS1_17partition_subalgoE9EllbEEZZNS1_14partition_implILS5_9ELb0ES3_jPlS8_PNS0_10empty_typeENS0_5tupleIJS8_S9_EEENSB_IJS8_SA_EEENS0_18inequality_wrapperIZN2at6native12_GLOBAL__N_124unique_dim_cuda_templateIhEESt5tupleIJNSF_6TensorESK_SK_EERKSK_lbbbEUlllE0_EEPmJS9_EEE10hipError_tPvRmT3_T4_T5_T6_T7_T9_mT8_P12ihipStream_tbDpT10_ENKUlT_T0_E_clISt17integral_constantIbLb1EES1A_EEDaS15_S16_EUlS15_E_NS1_11comp_targetILNS1_3genE5ELNS1_11target_archE942ELNS1_3gpuE9ELNS1_3repE0EEENS1_30default_config_static_selectorELNS0_4arch9wavefront6targetE1EEEvT1_: ; @_ZN7rocprim17ROCPRIM_400000_NS6detail17trampoline_kernelINS0_14default_configENS1_25partition_config_selectorILNS1_17partition_subalgoE9EllbEEZZNS1_14partition_implILS5_9ELb0ES3_jPlS8_PNS0_10empty_typeENS0_5tupleIJS8_S9_EEENSB_IJS8_SA_EEENS0_18inequality_wrapperIZN2at6native12_GLOBAL__N_124unique_dim_cuda_templateIhEESt5tupleIJNSF_6TensorESK_SK_EERKSK_lbbbEUlllE0_EEPmJS9_EEE10hipError_tPvRmT3_T4_T5_T6_T7_T9_mT8_P12ihipStream_tbDpT10_ENKUlT_T0_E_clISt17integral_constantIbLb1EES1A_EEDaS15_S16_EUlS15_E_NS1_11comp_targetILNS1_3genE5ELNS1_11target_archE942ELNS1_3gpuE9ELNS1_3repE0EEENS1_30default_config_static_selectorELNS0_4arch9wavefront6targetE1EEEvT1_
; %bb.0:
	.section	.rodata,"a",@progbits
	.p2align	6, 0x0
	.amdhsa_kernel _ZN7rocprim17ROCPRIM_400000_NS6detail17trampoline_kernelINS0_14default_configENS1_25partition_config_selectorILNS1_17partition_subalgoE9EllbEEZZNS1_14partition_implILS5_9ELb0ES3_jPlS8_PNS0_10empty_typeENS0_5tupleIJS8_S9_EEENSB_IJS8_SA_EEENS0_18inequality_wrapperIZN2at6native12_GLOBAL__N_124unique_dim_cuda_templateIhEESt5tupleIJNSF_6TensorESK_SK_EERKSK_lbbbEUlllE0_EEPmJS9_EEE10hipError_tPvRmT3_T4_T5_T6_T7_T9_mT8_P12ihipStream_tbDpT10_ENKUlT_T0_E_clISt17integral_constantIbLb1EES1A_EEDaS15_S16_EUlS15_E_NS1_11comp_targetILNS1_3genE5ELNS1_11target_archE942ELNS1_3gpuE9ELNS1_3repE0EEENS1_30default_config_static_selectorELNS0_4arch9wavefront6targetE1EEEvT1_
		.amdhsa_group_segment_fixed_size 0
		.amdhsa_private_segment_fixed_size 0
		.amdhsa_kernarg_size 136
		.amdhsa_user_sgpr_count 6
		.amdhsa_user_sgpr_private_segment_buffer 1
		.amdhsa_user_sgpr_dispatch_ptr 0
		.amdhsa_user_sgpr_queue_ptr 0
		.amdhsa_user_sgpr_kernarg_segment_ptr 1
		.amdhsa_user_sgpr_dispatch_id 0
		.amdhsa_user_sgpr_flat_scratch_init 0
		.amdhsa_user_sgpr_kernarg_preload_length 0
		.amdhsa_user_sgpr_kernarg_preload_offset 0
		.amdhsa_user_sgpr_private_segment_size 0
		.amdhsa_uses_dynamic_stack 0
		.amdhsa_system_sgpr_private_segment_wavefront_offset 0
		.amdhsa_system_sgpr_workgroup_id_x 1
		.amdhsa_system_sgpr_workgroup_id_y 0
		.amdhsa_system_sgpr_workgroup_id_z 0
		.amdhsa_system_sgpr_workgroup_info 0
		.amdhsa_system_vgpr_workitem_id 0
		.amdhsa_next_free_vgpr 1
		.amdhsa_next_free_sgpr 0
		.amdhsa_accum_offset 4
		.amdhsa_reserve_vcc 0
		.amdhsa_reserve_flat_scratch 0
		.amdhsa_float_round_mode_32 0
		.amdhsa_float_round_mode_16_64 0
		.amdhsa_float_denorm_mode_32 3
		.amdhsa_float_denorm_mode_16_64 3
		.amdhsa_dx10_clamp 1
		.amdhsa_ieee_mode 1
		.amdhsa_fp16_overflow 0
		.amdhsa_tg_split 0
		.amdhsa_exception_fp_ieee_invalid_op 0
		.amdhsa_exception_fp_denorm_src 0
		.amdhsa_exception_fp_ieee_div_zero 0
		.amdhsa_exception_fp_ieee_overflow 0
		.amdhsa_exception_fp_ieee_underflow 0
		.amdhsa_exception_fp_ieee_inexact 0
		.amdhsa_exception_int_div_zero 0
	.end_amdhsa_kernel
	.section	.text._ZN7rocprim17ROCPRIM_400000_NS6detail17trampoline_kernelINS0_14default_configENS1_25partition_config_selectorILNS1_17partition_subalgoE9EllbEEZZNS1_14partition_implILS5_9ELb0ES3_jPlS8_PNS0_10empty_typeENS0_5tupleIJS8_S9_EEENSB_IJS8_SA_EEENS0_18inequality_wrapperIZN2at6native12_GLOBAL__N_124unique_dim_cuda_templateIhEESt5tupleIJNSF_6TensorESK_SK_EERKSK_lbbbEUlllE0_EEPmJS9_EEE10hipError_tPvRmT3_T4_T5_T6_T7_T9_mT8_P12ihipStream_tbDpT10_ENKUlT_T0_E_clISt17integral_constantIbLb1EES1A_EEDaS15_S16_EUlS15_E_NS1_11comp_targetILNS1_3genE5ELNS1_11target_archE942ELNS1_3gpuE9ELNS1_3repE0EEENS1_30default_config_static_selectorELNS0_4arch9wavefront6targetE1EEEvT1_,"axG",@progbits,_ZN7rocprim17ROCPRIM_400000_NS6detail17trampoline_kernelINS0_14default_configENS1_25partition_config_selectorILNS1_17partition_subalgoE9EllbEEZZNS1_14partition_implILS5_9ELb0ES3_jPlS8_PNS0_10empty_typeENS0_5tupleIJS8_S9_EEENSB_IJS8_SA_EEENS0_18inequality_wrapperIZN2at6native12_GLOBAL__N_124unique_dim_cuda_templateIhEESt5tupleIJNSF_6TensorESK_SK_EERKSK_lbbbEUlllE0_EEPmJS9_EEE10hipError_tPvRmT3_T4_T5_T6_T7_T9_mT8_P12ihipStream_tbDpT10_ENKUlT_T0_E_clISt17integral_constantIbLb1EES1A_EEDaS15_S16_EUlS15_E_NS1_11comp_targetILNS1_3genE5ELNS1_11target_archE942ELNS1_3gpuE9ELNS1_3repE0EEENS1_30default_config_static_selectorELNS0_4arch9wavefront6targetE1EEEvT1_,comdat
.Lfunc_end213:
	.size	_ZN7rocprim17ROCPRIM_400000_NS6detail17trampoline_kernelINS0_14default_configENS1_25partition_config_selectorILNS1_17partition_subalgoE9EllbEEZZNS1_14partition_implILS5_9ELb0ES3_jPlS8_PNS0_10empty_typeENS0_5tupleIJS8_S9_EEENSB_IJS8_SA_EEENS0_18inequality_wrapperIZN2at6native12_GLOBAL__N_124unique_dim_cuda_templateIhEESt5tupleIJNSF_6TensorESK_SK_EERKSK_lbbbEUlllE0_EEPmJS9_EEE10hipError_tPvRmT3_T4_T5_T6_T7_T9_mT8_P12ihipStream_tbDpT10_ENKUlT_T0_E_clISt17integral_constantIbLb1EES1A_EEDaS15_S16_EUlS15_E_NS1_11comp_targetILNS1_3genE5ELNS1_11target_archE942ELNS1_3gpuE9ELNS1_3repE0EEENS1_30default_config_static_selectorELNS0_4arch9wavefront6targetE1EEEvT1_, .Lfunc_end213-_ZN7rocprim17ROCPRIM_400000_NS6detail17trampoline_kernelINS0_14default_configENS1_25partition_config_selectorILNS1_17partition_subalgoE9EllbEEZZNS1_14partition_implILS5_9ELb0ES3_jPlS8_PNS0_10empty_typeENS0_5tupleIJS8_S9_EEENSB_IJS8_SA_EEENS0_18inequality_wrapperIZN2at6native12_GLOBAL__N_124unique_dim_cuda_templateIhEESt5tupleIJNSF_6TensorESK_SK_EERKSK_lbbbEUlllE0_EEPmJS9_EEE10hipError_tPvRmT3_T4_T5_T6_T7_T9_mT8_P12ihipStream_tbDpT10_ENKUlT_T0_E_clISt17integral_constantIbLb1EES1A_EEDaS15_S16_EUlS15_E_NS1_11comp_targetILNS1_3genE5ELNS1_11target_archE942ELNS1_3gpuE9ELNS1_3repE0EEENS1_30default_config_static_selectorELNS0_4arch9wavefront6targetE1EEEvT1_
                                        ; -- End function
	.section	.AMDGPU.csdata,"",@progbits
; Kernel info:
; codeLenInByte = 0
; NumSgprs: 4
; NumVgprs: 0
; NumAgprs: 0
; TotalNumVgprs: 0
; ScratchSize: 0
; MemoryBound: 0
; FloatMode: 240
; IeeeMode: 1
; LDSByteSize: 0 bytes/workgroup (compile time only)
; SGPRBlocks: 0
; VGPRBlocks: 0
; NumSGPRsForWavesPerEU: 4
; NumVGPRsForWavesPerEU: 1
; AccumOffset: 4
; Occupancy: 8
; WaveLimiterHint : 0
; COMPUTE_PGM_RSRC2:SCRATCH_EN: 0
; COMPUTE_PGM_RSRC2:USER_SGPR: 6
; COMPUTE_PGM_RSRC2:TRAP_HANDLER: 0
; COMPUTE_PGM_RSRC2:TGID_X_EN: 1
; COMPUTE_PGM_RSRC2:TGID_Y_EN: 0
; COMPUTE_PGM_RSRC2:TGID_Z_EN: 0
; COMPUTE_PGM_RSRC2:TIDIG_COMP_CNT: 0
; COMPUTE_PGM_RSRC3_GFX90A:ACCUM_OFFSET: 0
; COMPUTE_PGM_RSRC3_GFX90A:TG_SPLIT: 0
	.section	.text._ZN7rocprim17ROCPRIM_400000_NS6detail17trampoline_kernelINS0_14default_configENS1_25partition_config_selectorILNS1_17partition_subalgoE9EllbEEZZNS1_14partition_implILS5_9ELb0ES3_jPlS8_PNS0_10empty_typeENS0_5tupleIJS8_S9_EEENSB_IJS8_SA_EEENS0_18inequality_wrapperIZN2at6native12_GLOBAL__N_124unique_dim_cuda_templateIhEESt5tupleIJNSF_6TensorESK_SK_EERKSK_lbbbEUlllE0_EEPmJS9_EEE10hipError_tPvRmT3_T4_T5_T6_T7_T9_mT8_P12ihipStream_tbDpT10_ENKUlT_T0_E_clISt17integral_constantIbLb1EES1A_EEDaS15_S16_EUlS15_E_NS1_11comp_targetILNS1_3genE4ELNS1_11target_archE910ELNS1_3gpuE8ELNS1_3repE0EEENS1_30default_config_static_selectorELNS0_4arch9wavefront6targetE1EEEvT1_,"axG",@progbits,_ZN7rocprim17ROCPRIM_400000_NS6detail17trampoline_kernelINS0_14default_configENS1_25partition_config_selectorILNS1_17partition_subalgoE9EllbEEZZNS1_14partition_implILS5_9ELb0ES3_jPlS8_PNS0_10empty_typeENS0_5tupleIJS8_S9_EEENSB_IJS8_SA_EEENS0_18inequality_wrapperIZN2at6native12_GLOBAL__N_124unique_dim_cuda_templateIhEESt5tupleIJNSF_6TensorESK_SK_EERKSK_lbbbEUlllE0_EEPmJS9_EEE10hipError_tPvRmT3_T4_T5_T6_T7_T9_mT8_P12ihipStream_tbDpT10_ENKUlT_T0_E_clISt17integral_constantIbLb1EES1A_EEDaS15_S16_EUlS15_E_NS1_11comp_targetILNS1_3genE4ELNS1_11target_archE910ELNS1_3gpuE8ELNS1_3repE0EEENS1_30default_config_static_selectorELNS0_4arch9wavefront6targetE1EEEvT1_,comdat
	.globl	_ZN7rocprim17ROCPRIM_400000_NS6detail17trampoline_kernelINS0_14default_configENS1_25partition_config_selectorILNS1_17partition_subalgoE9EllbEEZZNS1_14partition_implILS5_9ELb0ES3_jPlS8_PNS0_10empty_typeENS0_5tupleIJS8_S9_EEENSB_IJS8_SA_EEENS0_18inequality_wrapperIZN2at6native12_GLOBAL__N_124unique_dim_cuda_templateIhEESt5tupleIJNSF_6TensorESK_SK_EERKSK_lbbbEUlllE0_EEPmJS9_EEE10hipError_tPvRmT3_T4_T5_T6_T7_T9_mT8_P12ihipStream_tbDpT10_ENKUlT_T0_E_clISt17integral_constantIbLb1EES1A_EEDaS15_S16_EUlS15_E_NS1_11comp_targetILNS1_3genE4ELNS1_11target_archE910ELNS1_3gpuE8ELNS1_3repE0EEENS1_30default_config_static_selectorELNS0_4arch9wavefront6targetE1EEEvT1_ ; -- Begin function _ZN7rocprim17ROCPRIM_400000_NS6detail17trampoline_kernelINS0_14default_configENS1_25partition_config_selectorILNS1_17partition_subalgoE9EllbEEZZNS1_14partition_implILS5_9ELb0ES3_jPlS8_PNS0_10empty_typeENS0_5tupleIJS8_S9_EEENSB_IJS8_SA_EEENS0_18inequality_wrapperIZN2at6native12_GLOBAL__N_124unique_dim_cuda_templateIhEESt5tupleIJNSF_6TensorESK_SK_EERKSK_lbbbEUlllE0_EEPmJS9_EEE10hipError_tPvRmT3_T4_T5_T6_T7_T9_mT8_P12ihipStream_tbDpT10_ENKUlT_T0_E_clISt17integral_constantIbLb1EES1A_EEDaS15_S16_EUlS15_E_NS1_11comp_targetILNS1_3genE4ELNS1_11target_archE910ELNS1_3gpuE8ELNS1_3repE0EEENS1_30default_config_static_selectorELNS0_4arch9wavefront6targetE1EEEvT1_
	.p2align	8
	.type	_ZN7rocprim17ROCPRIM_400000_NS6detail17trampoline_kernelINS0_14default_configENS1_25partition_config_selectorILNS1_17partition_subalgoE9EllbEEZZNS1_14partition_implILS5_9ELb0ES3_jPlS8_PNS0_10empty_typeENS0_5tupleIJS8_S9_EEENSB_IJS8_SA_EEENS0_18inequality_wrapperIZN2at6native12_GLOBAL__N_124unique_dim_cuda_templateIhEESt5tupleIJNSF_6TensorESK_SK_EERKSK_lbbbEUlllE0_EEPmJS9_EEE10hipError_tPvRmT3_T4_T5_T6_T7_T9_mT8_P12ihipStream_tbDpT10_ENKUlT_T0_E_clISt17integral_constantIbLb1EES1A_EEDaS15_S16_EUlS15_E_NS1_11comp_targetILNS1_3genE4ELNS1_11target_archE910ELNS1_3gpuE8ELNS1_3repE0EEENS1_30default_config_static_selectorELNS0_4arch9wavefront6targetE1EEEvT1_,@function
_ZN7rocprim17ROCPRIM_400000_NS6detail17trampoline_kernelINS0_14default_configENS1_25partition_config_selectorILNS1_17partition_subalgoE9EllbEEZZNS1_14partition_implILS5_9ELb0ES3_jPlS8_PNS0_10empty_typeENS0_5tupleIJS8_S9_EEENSB_IJS8_SA_EEENS0_18inequality_wrapperIZN2at6native12_GLOBAL__N_124unique_dim_cuda_templateIhEESt5tupleIJNSF_6TensorESK_SK_EERKSK_lbbbEUlllE0_EEPmJS9_EEE10hipError_tPvRmT3_T4_T5_T6_T7_T9_mT8_P12ihipStream_tbDpT10_ENKUlT_T0_E_clISt17integral_constantIbLb1EES1A_EEDaS15_S16_EUlS15_E_NS1_11comp_targetILNS1_3genE4ELNS1_11target_archE910ELNS1_3gpuE8ELNS1_3repE0EEENS1_30default_config_static_selectorELNS0_4arch9wavefront6targetE1EEEvT1_: ; @_ZN7rocprim17ROCPRIM_400000_NS6detail17trampoline_kernelINS0_14default_configENS1_25partition_config_selectorILNS1_17partition_subalgoE9EllbEEZZNS1_14partition_implILS5_9ELb0ES3_jPlS8_PNS0_10empty_typeENS0_5tupleIJS8_S9_EEENSB_IJS8_SA_EEENS0_18inequality_wrapperIZN2at6native12_GLOBAL__N_124unique_dim_cuda_templateIhEESt5tupleIJNSF_6TensorESK_SK_EERKSK_lbbbEUlllE0_EEPmJS9_EEE10hipError_tPvRmT3_T4_T5_T6_T7_T9_mT8_P12ihipStream_tbDpT10_ENKUlT_T0_E_clISt17integral_constantIbLb1EES1A_EEDaS15_S16_EUlS15_E_NS1_11comp_targetILNS1_3genE4ELNS1_11target_archE910ELNS1_3gpuE8ELNS1_3repE0EEENS1_30default_config_static_selectorELNS0_4arch9wavefront6targetE1EEEvT1_
; %bb.0:
	s_load_dwordx4 s[8:11], s[4:5], 0x8
	s_load_dwordx2 s[14:15], s[4:5], 0x18
	s_load_dwordx8 s[20:27], s[4:5], 0x40
	s_load_dwordx4 s[16:19], s[4:5], 0x60
	v_cmp_ne_u32_e64 s[2:3], 0, v0
	v_cmp_eq_u32_e64 s[0:1], 0, v0
	s_and_saveexec_b64 s[6:7], s[0:1]
	s_cbranch_execz .LBB214_4
; %bb.1:
	s_mov_b64 s[28:29], exec
	v_mbcnt_lo_u32_b32 v1, s28, 0
	v_mbcnt_hi_u32_b32 v1, s29, v1
	v_cmp_eq_u32_e32 vcc, 0, v1
                                        ; implicit-def: $vgpr2
	s_and_saveexec_b64 s[12:13], vcc
	s_cbranch_execz .LBB214_3
; %bb.2:
	s_load_dwordx2 s[30:31], s[4:5], 0x78
	s_bcnt1_i32_b64 s28, s[28:29]
	v_mov_b32_e32 v2, 0
	v_mov_b32_e32 v3, s28
	s_waitcnt lgkmcnt(0)
	global_atomic_add v2, v2, v3, s[30:31] glc
.LBB214_3:
	s_or_b64 exec, exec, s[12:13]
	s_waitcnt vmcnt(0)
	v_readfirstlane_b32 s12, v2
	v_add_u32_e32 v1, s12, v1
	v_mov_b32_e32 v2, 0
	ds_write_b32 v2, v1
.LBB214_4:
	s_or_b64 exec, exec, s[6:7]
	v_mov_b32_e32 v1, 0
	s_load_dwordx4 s[28:31], s[4:5], 0x28
	s_load_dword s6, s[4:5], 0x70
	s_waitcnt lgkmcnt(0)
	s_barrier
	ds_read_b32 v6, v1
	s_waitcnt lgkmcnt(0)
	s_barrier
	global_load_dwordx2 v[2:3], v1, s[22:23]
	s_lshl_b64 s[36:37], s[10:11], 3
	s_add_u32 s12, s8, s36
	s_addc_u32 s13, s9, s37
	s_add_i32 s22, s6, -1
	s_lshl_b32 s8, s6, 9
	s_lshl_b32 s6, s22, 9
	s_add_i32 s6, s10, s6
	v_readfirstlane_b32 s33, v6
	s_sub_i32 s48, s24, s6
	s_lshl_b32 s6, s33, 9
	s_add_u32 s8, s10, s8
	s_addc_u32 s9, s11, 0
	v_mov_b32_e32 v4, s24
	v_mov_b32_e32 v5, s25
	s_cmp_eq_u32 s33, s22
	s_mov_b32 s7, 0
	v_cmp_ge_u64_e32 vcc, s[8:9], v[4:5]
	s_cselect_b64 s[24:25], -1, 0
	s_lshl_b64 s[8:9], s[6:7], 3
	s_and_b64 s[6:7], vcc, s[24:25]
	s_xor_b64 s[34:35], s[6:7], -1
	s_add_u32 s12, s12, s8
	s_mov_b64 s[4:5], -1
	v_lshrrev_b32_e32 v18, 2, v0
	s_addc_u32 s13, s13, s9
	s_and_b64 vcc, exec, s[34:35]
	s_waitcnt vmcnt(0)
	v_readfirstlane_b32 s22, v2
	v_readfirstlane_b32 s23, v3
	s_cbranch_vccz .LBB214_6
; %bb.5:
	v_lshlrev_b32_e32 v1, 3, v0
	global_load_dwordx2 v[2:3], v1, s[12:13]
	global_load_dwordx2 v[4:5], v1, s[12:13] offset:1024
	global_load_dwordx2 v[6:7], v1, s[12:13] offset:2048
	;; [unrolled: 1-line block ×3, first 2 shown]
	v_or_b32_e32 v11, 0x80, v0
	v_or_b32_e32 v12, 0x100, v0
	;; [unrolled: 1-line block ×3, first 2 shown]
	v_and_b32_e32 v10, 24, v18
	v_lshrrev_b32_e32 v11, 2, v11
	v_lshrrev_b32_e32 v12, 2, v12
	;; [unrolled: 1-line block ×3, first 2 shown]
	v_add_u32_e32 v10, v10, v1
	v_and_b32_e32 v11, 56, v11
	v_and_b32_e32 v12, 0x58, v12
	;; [unrolled: 1-line block ×3, first 2 shown]
	v_add_u32_e32 v11, v11, v1
	v_add_u32_e32 v12, v12, v1
	;; [unrolled: 1-line block ×3, first 2 shown]
	s_mov_b64 s[4:5], 0
	s_waitcnt vmcnt(3)
	ds_write_b64 v10, v[2:3]
	s_waitcnt vmcnt(2)
	ds_write_b64 v11, v[4:5] offset:1024
	s_waitcnt vmcnt(1)
	ds_write_b64 v12, v[6:7] offset:2048
	;; [unrolled: 2-line block ×3, first 2 shown]
	s_waitcnt lgkmcnt(0)
	s_barrier
.LBB214_6:
	s_andn2_b64 vcc, exec, s[4:5]
	v_cmp_gt_u32_e64 s[4:5], s48, v0
	s_cbranch_vccnz .LBB214_16
; %bb.7:
                                        ; implicit-def: $vgpr2_vgpr3_vgpr4_vgpr5_vgpr6_vgpr7_vgpr8_vgpr9
	s_and_saveexec_b64 s[38:39], s[4:5]
	s_cbranch_execz .LBB214_9
; %bb.8:
	v_lshlrev_b32_e32 v1, 3, v0
	global_load_dwordx2 v[2:3], v1, s[12:13]
.LBB214_9:
	s_or_b64 exec, exec, s[38:39]
	v_or_b32_e32 v1, 0x80, v0
	v_cmp_gt_u32_e32 vcc, s48, v1
	s_and_saveexec_b64 s[4:5], vcc
	s_cbranch_execz .LBB214_11
; %bb.10:
	v_lshlrev_b32_e32 v4, 3, v0
	global_load_dwordx2 v[4:5], v4, s[12:13] offset:1024
.LBB214_11:
	s_or_b64 exec, exec, s[4:5]
	v_or_b32_e32 v10, 0x100, v0
	v_cmp_gt_u32_e32 vcc, s48, v10
	s_and_saveexec_b64 s[4:5], vcc
	s_cbranch_execz .LBB214_13
; %bb.12:
	v_lshlrev_b32_e32 v6, 3, v0
	global_load_dwordx2 v[6:7], v6, s[12:13] offset:2048
.LBB214_13:
	;; [unrolled: 9-line block ×3, first 2 shown]
	s_or_b64 exec, exec, s[4:5]
	v_lshrrev_b32_e32 v1, 2, v1
	v_lshlrev_b32_e32 v13, 3, v0
	v_and_b32_e32 v1, 56, v1
	v_add_u32_e32 v1, v1, v13
	s_waitcnt vmcnt(0)
	ds_write_b64 v1, v[4:5] offset:1024
	v_lshrrev_b32_e32 v1, 2, v10
	v_and_b32_e32 v1, 0x78, v1
	v_add_u32_e32 v1, v1, v13
	ds_write_b64 v1, v[6:7] offset:2048
	v_lshrrev_b32_e32 v1, 2, v11
	v_and_b32_e32 v12, 24, v18
	v_and_b32_e32 v1, 0x78, v1
	v_add_u32_e32 v12, v12, v13
	v_add_u32_e32 v1, v1, v13
	ds_write_b64 v12, v[2:3]
	ds_write_b64 v1, v[8:9] offset:3072
	s_waitcnt lgkmcnt(0)
	s_barrier
.LBB214_16:
	v_lshlrev_b32_e32 v1, 2, v0
	v_lshrrev_b32_e32 v2, 3, v0
	v_add_lshl_u32 v19, v2, v1, 3
	ds_read2_b64 v[14:17], v19 offset1:1
	ds_read2_b64 v[10:13], v19 offset0:2 offset1:3
	s_add_u32 s4, s14, s36
	s_addc_u32 s5, s15, s37
	s_add_u32 s4, s4, s8
	s_addc_u32 s5, s5, s9
	s_mov_b64 s[8:9], -1
	s_and_b64 vcc, exec, s[34:35]
	s_waitcnt lgkmcnt(0)
	s_barrier
	s_cbranch_vccz .LBB214_18
; %bb.17:
	v_lshlrev_b32_e32 v20, 3, v0
	global_load_dwordx2 v[2:3], v20, s[4:5]
	global_load_dwordx2 v[4:5], v20, s[4:5] offset:1024
	global_load_dwordx2 v[6:7], v20, s[4:5] offset:2048
	;; [unrolled: 1-line block ×3, first 2 shown]
	v_or_b32_e32 v22, 0x80, v0
	v_or_b32_e32 v23, 0x100, v0
	;; [unrolled: 1-line block ×3, first 2 shown]
	v_and_b32_e32 v21, 24, v18
	v_lshrrev_b32_e32 v22, 2, v22
	v_lshrrev_b32_e32 v23, 2, v23
	;; [unrolled: 1-line block ×3, first 2 shown]
	v_add_u32_e32 v21, v21, v20
	v_and_b32_e32 v22, 56, v22
	v_and_b32_e32 v23, 0x58, v23
	;; [unrolled: 1-line block ×3, first 2 shown]
	v_add_u32_e32 v22, v22, v20
	v_add_u32_e32 v23, v23, v20
	;; [unrolled: 1-line block ×3, first 2 shown]
	s_mov_b64 s[8:9], 0
	s_waitcnt vmcnt(3)
	ds_write_b64 v21, v[2:3]
	s_waitcnt vmcnt(2)
	ds_write_b64 v22, v[4:5] offset:1024
	s_waitcnt vmcnt(1)
	ds_write_b64 v23, v[6:7] offset:2048
	;; [unrolled: 2-line block ×3, first 2 shown]
	s_waitcnt lgkmcnt(0)
	s_barrier
.LBB214_18:
	s_andn2_b64 vcc, exec, s[8:9]
	s_cbranch_vccnz .LBB214_28
; %bb.19:
	v_cmp_gt_u32_e32 vcc, s48, v0
                                        ; implicit-def: $vgpr2_vgpr3
	s_and_saveexec_b64 s[8:9], vcc
	s_cbranch_execz .LBB214_21
; %bb.20:
	v_lshlrev_b32_e32 v2, 3, v0
	global_load_dwordx2 v[2:3], v2, s[4:5]
.LBB214_21:
	s_or_b64 exec, exec, s[8:9]
	v_or_b32_e32 v20, 0x80, v0
	v_cmp_gt_u32_e32 vcc, s48, v20
                                        ; implicit-def: $vgpr4_vgpr5
	s_and_saveexec_b64 s[8:9], vcc
	s_cbranch_execz .LBB214_23
; %bb.22:
	v_lshlrev_b32_e32 v4, 3, v0
	global_load_dwordx2 v[4:5], v4, s[4:5] offset:1024
.LBB214_23:
	s_or_b64 exec, exec, s[8:9]
	v_or_b32_e32 v21, 0x100, v0
	v_cmp_gt_u32_e32 vcc, s48, v21
                                        ; implicit-def: $vgpr6_vgpr7
	s_and_saveexec_b64 s[8:9], vcc
	s_cbranch_execz .LBB214_25
; %bb.24:
	v_lshlrev_b32_e32 v6, 3, v0
	global_load_dwordx2 v[6:7], v6, s[4:5] offset:2048
.LBB214_25:
	s_or_b64 exec, exec, s[8:9]
	v_or_b32_e32 v22, 0x180, v0
	v_cmp_gt_u32_e32 vcc, s48, v22
                                        ; implicit-def: $vgpr8_vgpr9
	s_and_saveexec_b64 s[8:9], vcc
	s_cbranch_execz .LBB214_27
; %bb.26:
	v_lshlrev_b32_e32 v8, 3, v0
	global_load_dwordx2 v[8:9], v8, s[4:5] offset:3072
.LBB214_27:
	s_or_b64 exec, exec, s[8:9]
	v_and_b32_e32 v18, 24, v18
	v_lshlrev_b32_e32 v23, 3, v0
	v_add_u32_e32 v18, v18, v23
	s_waitcnt vmcnt(0)
	ds_write_b64 v18, v[2:3]
	v_lshrrev_b32_e32 v2, 2, v20
	v_and_b32_e32 v2, 56, v2
	v_add_u32_e32 v2, v2, v23
	ds_write_b64 v2, v[4:5] offset:1024
	v_lshrrev_b32_e32 v2, 2, v21
	v_and_b32_e32 v2, 0x78, v2
	v_add_u32_e32 v2, v2, v23
	ds_write_b64 v2, v[6:7] offset:2048
	;; [unrolled: 4-line block ×3, first 2 shown]
	s_waitcnt lgkmcnt(0)
	s_barrier
.LBB214_28:
	ds_read2_b64 v[6:9], v19 offset1:1
	ds_read2_b64 v[2:5], v19 offset0:2 offset1:3
	s_cmp_lg_u32 s33, 0
	s_cselect_b64 s[36:37], -1, 0
	s_cmp_lg_u64 s[10:11], 0
	s_cselect_b64 s[4:5], -1, 0
	s_or_b64 s[4:5], s[4:5], s[36:37]
	s_mov_b64 s[8:9], 0
	s_and_b64 vcc, exec, s[4:5]
	v_cmp_gt_i64_e64 s[4:5], s[26:27], 0
	s_waitcnt lgkmcnt(0)
	s_barrier
	s_cbranch_vccz .LBB214_37
; %bb.29:
	v_mov_b32_e32 v18, 0
	global_load_dwordx2 v[18:19], v18, s[12:13] offset:-8
	v_cndmask_b32_e64 v20, 0, 1, s[4:5]
	v_lshlrev_b32_e32 v29, 3, v0
	s_and_b64 vcc, exec, s[34:35]
	v_cmp_ne_u32_e64 s[4:5], 1, v20
	ds_write_b64 v29, v[12:13]
	s_cbranch_vccz .LBB214_38
; %bb.30:
	v_mul_lo_u32 v22, v11, s26
	v_mul_lo_u32 v23, v10, s27
	v_mad_u64_u32 v[20:21], s[10:11], v10, s26, 0
	s_and_b64 vcc, exec, s[4:5]
	v_add3_u32 v21, v21, v23, v22
	s_cbranch_vccnz .LBB214_41
; %bb.31:
	v_mov_b32_e32 v23, s17
	v_add_co_u32_e32 v22, vcc, s16, v20
	v_pk_mov_b32 v[24:25], s[16:17], s[16:17] op_sel:[0,1]
	v_addc_co_u32_e32 v23, vcc, v23, v21, vcc
	v_mad_u64_u32 v[24:25], s[8:9], v12, s26, v[24:25]
	v_mul_lo_u32 v26, v12, s27
	v_mul_lo_u32 v27, v13, s26
	v_add3_u32 v25, v27, v25, v26
	global_load_ubyte v26, v[22:23], off
	global_load_ubyte v27, v[24:25], off
	s_mov_b64 s[8:9], -1
	s_waitcnt vmcnt(0)
	v_cmp_eq_u16_e32 vcc, v26, v27
	s_and_saveexec_b64 s[10:11], vcc
	s_cbranch_execz .LBB214_40
; %bb.32:
	s_mov_b64 s[14:15], 1
	s_mov_b64 s[8:9], 0
                                        ; implicit-def: $sgpr12_sgpr13
	s_branch .LBB214_35
.LBB214_33:                             ;   in Loop: Header=BB214_35 Depth=1
	v_mov_b32_e32 v28, s15
	v_add_co_u32_e32 v26, vcc, s14, v22
	v_addc_co_u32_e32 v27, vcc, v23, v28, vcc
	v_add_co_u32_e32 v30, vcc, s14, v24
	v_addc_co_u32_e32 v31, vcc, v25, v28, vcc
	global_load_ubyte v28, v[26:27], off
	global_load_ubyte v32, v[30:31], off
	s_add_u32 s38, s14, 1
	s_addc_u32 s39, s15, 0
	s_andn2_b64 s[12:13], s[12:13], exec
	s_waitcnt vmcnt(0)
	v_cmp_ne_u16_e32 vcc, v28, v32
	s_and_b64 s[40:41], vcc, exec
	s_or_b64 s[12:13], s[12:13], s[40:41]
.LBB214_34:                             ;   in Loop: Header=BB214_35 Depth=1
	s_and_b64 s[40:41], exec, s[12:13]
	s_or_b64 s[8:9], s[40:41], s[8:9]
	v_pk_mov_b32 v[26:27], s[14:15], s[14:15] op_sel:[0,1]
	s_mov_b64 s[14:15], s[38:39]
	s_andn2_b64 exec, exec, s[8:9]
	s_cbranch_execz .LBB214_39
.LBB214_35:                             ; =>This Inner Loop Header: Depth=1
	s_or_b64 s[12:13], s[12:13], exec
	s_cmp_eq_u64 s[26:27], s[14:15]
	s_cbranch_scc0 .LBB214_33
; %bb.36:                               ;   in Loop: Header=BB214_35 Depth=1
                                        ; implicit-def: $sgpr38_sgpr39
	s_mov_b64 s[14:15], s[26:27]
	s_branch .LBB214_34
.LBB214_37:
                                        ; implicit-def: $sgpr12_sgpr13
                                        ; implicit-def: $vgpr28
	s_branch .LBB214_119
.LBB214_38:
                                        ; implicit-def: $sgpr12_sgpr13
                                        ; implicit-def: $vgpr28
	s_cbranch_execnz .LBB214_71
	s_branch .LBB214_118
.LBB214_39:
	s_or_b64 exec, exec, s[8:9]
	v_cmp_gt_i64_e32 vcc, s[26:27], v[26:27]
	s_orn2_b64 s[8:9], vcc, exec
.LBB214_40:
	s_or_b64 exec, exec, s[10:11]
.LBB214_41:
	v_mul_lo_u32 v24, v17, s26
	v_mul_lo_u32 v25, v16, s27
	v_mad_u64_u32 v[22:23], s[10:11], v16, s26, 0
	v_add3_u32 v23, v23, v25, v24
	s_mov_b64 s[10:11], 0
	s_and_b64 vcc, exec, s[4:5]
	s_mov_b64 s[12:13], 0
	s_cbranch_vccnz .LBB214_50
; %bb.42:
	v_mov_b32_e32 v25, s17
	v_add_co_u32_e32 v24, vcc, s16, v22
	v_addc_co_u32_e32 v25, vcc, v25, v23, vcc
	v_mov_b32_e32 v26, s17
	v_add_co_u32_e32 v20, vcc, s16, v20
	v_addc_co_u32_e32 v21, vcc, v26, v21, vcc
	global_load_ubyte v26, v[24:25], off
	global_load_ubyte v27, v[20:21], off
	s_mov_b64 s[12:13], -1
	s_waitcnt vmcnt(0)
	v_cmp_eq_u16_e32 vcc, v26, v27
	s_and_saveexec_b64 s[14:15], vcc
	s_cbranch_execz .LBB214_49
; %bb.43:
	s_mov_b64 s[40:41], 1
	s_mov_b64 s[12:13], 0
                                        ; implicit-def: $sgpr38_sgpr39
	s_branch .LBB214_46
.LBB214_44:                             ;   in Loop: Header=BB214_46 Depth=1
	v_mov_b32_e32 v28, s41
	v_add_co_u32_e32 v26, vcc, s40, v24
	v_addc_co_u32_e32 v27, vcc, v25, v28, vcc
	v_add_co_u32_e32 v30, vcc, s40, v20
	v_addc_co_u32_e32 v31, vcc, v21, v28, vcc
	global_load_ubyte v28, v[26:27], off
	global_load_ubyte v32, v[30:31], off
	s_add_u32 s42, s40, 1
	s_addc_u32 s43, s41, 0
	s_andn2_b64 s[38:39], s[38:39], exec
	s_waitcnt vmcnt(0)
	v_cmp_ne_u16_e32 vcc, v28, v32
	s_and_b64 s[44:45], vcc, exec
	s_or_b64 s[38:39], s[38:39], s[44:45]
.LBB214_45:                             ;   in Loop: Header=BB214_46 Depth=1
	s_and_b64 s[44:45], exec, s[38:39]
	s_or_b64 s[12:13], s[44:45], s[12:13]
	v_pk_mov_b32 v[26:27], s[40:41], s[40:41] op_sel:[0,1]
	s_mov_b64 s[40:41], s[42:43]
	s_andn2_b64 exec, exec, s[12:13]
	s_cbranch_execz .LBB214_48
.LBB214_46:                             ; =>This Inner Loop Header: Depth=1
	s_or_b64 s[38:39], s[38:39], exec
	s_cmp_eq_u64 s[26:27], s[40:41]
	s_cbranch_scc0 .LBB214_44
; %bb.47:                               ;   in Loop: Header=BB214_46 Depth=1
                                        ; implicit-def: $sgpr42_sgpr43
	s_mov_b64 s[40:41], s[26:27]
	s_branch .LBB214_45
.LBB214_48:
	s_or_b64 exec, exec, s[12:13]
	v_cmp_gt_i64_e32 vcc, s[26:27], v[26:27]
	s_orn2_b64 s[12:13], vcc, exec
.LBB214_49:
	s_or_b64 exec, exec, s[14:15]
.LBB214_50:
	v_mul_lo_u32 v24, v15, s26
	v_mul_lo_u32 v25, v14, s27
	v_mad_u64_u32 v[20:21], s[14:15], v14, s26, 0
	s_and_b64 vcc, exec, s[4:5]
	v_add3_u32 v21, v21, v25, v24
	s_cbranch_vccnz .LBB214_59
; %bb.51:
	v_mov_b32_e32 v25, s17
	v_add_co_u32_e32 v24, vcc, s16, v20
	v_addc_co_u32_e32 v25, vcc, v25, v21, vcc
	v_mov_b32_e32 v26, s17
	v_add_co_u32_e32 v22, vcc, s16, v22
	v_addc_co_u32_e32 v23, vcc, v26, v23, vcc
	global_load_ubyte v26, v[24:25], off
	global_load_ubyte v27, v[22:23], off
	s_mov_b64 s[10:11], -1
	s_waitcnt vmcnt(0)
	v_cmp_eq_u16_e32 vcc, v26, v27
	s_and_saveexec_b64 s[14:15], vcc
	s_cbranch_execz .LBB214_58
; %bb.52:
	s_mov_b64 s[40:41], 1
	s_mov_b64 s[10:11], 0
                                        ; implicit-def: $sgpr38_sgpr39
	s_branch .LBB214_55
.LBB214_53:                             ;   in Loop: Header=BB214_55 Depth=1
	v_mov_b32_e32 v28, s41
	v_add_co_u32_e32 v26, vcc, s40, v24
	v_addc_co_u32_e32 v27, vcc, v25, v28, vcc
	v_add_co_u32_e32 v30, vcc, s40, v22
	v_addc_co_u32_e32 v31, vcc, v23, v28, vcc
	global_load_ubyte v28, v[26:27], off
	global_load_ubyte v32, v[30:31], off
	s_add_u32 s42, s40, 1
	s_addc_u32 s43, s41, 0
	s_andn2_b64 s[38:39], s[38:39], exec
	s_waitcnt vmcnt(0)
	v_cmp_ne_u16_e32 vcc, v28, v32
	s_and_b64 s[44:45], vcc, exec
	s_or_b64 s[38:39], s[38:39], s[44:45]
.LBB214_54:                             ;   in Loop: Header=BB214_55 Depth=1
	s_and_b64 s[44:45], exec, s[38:39]
	s_or_b64 s[10:11], s[44:45], s[10:11]
	v_pk_mov_b32 v[26:27], s[40:41], s[40:41] op_sel:[0,1]
	s_mov_b64 s[40:41], s[42:43]
	s_andn2_b64 exec, exec, s[10:11]
	s_cbranch_execz .LBB214_57
.LBB214_55:                             ; =>This Inner Loop Header: Depth=1
	s_or_b64 s[38:39], s[38:39], exec
	s_cmp_eq_u64 s[26:27], s[40:41]
	s_cbranch_scc0 .LBB214_53
; %bb.56:                               ;   in Loop: Header=BB214_55 Depth=1
                                        ; implicit-def: $sgpr42_sgpr43
	s_mov_b64 s[40:41], s[26:27]
	s_branch .LBB214_54
.LBB214_57:
	s_or_b64 exec, exec, s[10:11]
	v_cmp_gt_i64_e32 vcc, s[26:27], v[26:27]
	s_orn2_b64 s[10:11], vcc, exec
.LBB214_58:
	s_or_b64 exec, exec, s[14:15]
.LBB214_59:
	s_waitcnt vmcnt(0)
	v_pk_mov_b32 v[24:25], v[18:19], v[18:19] op_sel:[0,1]
	s_waitcnt lgkmcnt(0)
	s_barrier
	s_and_saveexec_b64 s[14:15], s[2:3]
	s_cbranch_execz .LBB214_61
; %bb.60:
	v_add_u32_e32 v22, -8, v29
	ds_read_b64 v[24:25], v22
.LBB214_61:
	s_or_b64 exec, exec, s[14:15]
	v_cndmask_b32_e64 v23, 0, 1, s[8:9]
	v_cndmask_b32_e64 v22, 0, 1, s[12:13]
	;; [unrolled: 1-line block ×3, first 2 shown]
	v_lshlrev_b16_e32 v23, 8, v23
	v_lshlrev_b16_e32 v26, 8, v26
	v_or_b32_sdwa v27, v22, v23 dst_sel:WORD_1 dst_unused:UNUSED_PAD src0_sel:DWORD src1_sel:DWORD
	s_mov_b64 s[8:9], 0
	s_and_b64 vcc, exec, s[4:5]
	s_mov_b64 s[12:13], 0
	s_cbranch_vccnz .LBB214_70
; %bb.62:
	v_pk_mov_b32 v[22:23], s[16:17], s[16:17] op_sel:[0,1]
	s_waitcnt lgkmcnt(0)
	v_mad_u64_u32 v[22:23], s[10:11], v24, s26, v[22:23]
	v_mul_lo_u32 v24, v24, s27
	v_mul_lo_u32 v25, v25, s26
	v_add3_u32 v23, v25, v23, v24
	v_mov_b32_e32 v24, s17
	v_add_co_u32_e32 v20, vcc, s16, v20
	v_addc_co_u32_e32 v21, vcc, v24, v21, vcc
	global_load_ubyte v24, v[22:23], off
	global_load_ubyte v25, v[20:21], off
	s_mov_b64 s[12:13], -1
	s_waitcnt vmcnt(0)
	v_cmp_eq_u16_e32 vcc, v24, v25
	s_and_saveexec_b64 s[10:11], vcc
	s_cbranch_execz .LBB214_69
; %bb.63:
	s_mov_b64 s[38:39], 1
	s_mov_b64 s[12:13], 0
                                        ; implicit-def: $sgpr14_sgpr15
	s_branch .LBB214_66
.LBB214_64:                             ;   in Loop: Header=BB214_66 Depth=1
	v_mov_b32_e32 v28, s39
	v_add_co_u32_e32 v24, vcc, s38, v22
	v_addc_co_u32_e32 v25, vcc, v23, v28, vcc
	v_add_co_u32_e32 v30, vcc, s38, v20
	v_addc_co_u32_e32 v31, vcc, v21, v28, vcc
	global_load_ubyte v28, v[24:25], off
	global_load_ubyte v32, v[30:31], off
	s_add_u32 s40, s38, 1
	s_addc_u32 s41, s39, 0
	s_andn2_b64 s[14:15], s[14:15], exec
	s_waitcnt vmcnt(0)
	v_cmp_ne_u16_e32 vcc, v28, v32
	s_and_b64 s[42:43], vcc, exec
	s_or_b64 s[14:15], s[14:15], s[42:43]
.LBB214_65:                             ;   in Loop: Header=BB214_66 Depth=1
	s_and_b64 s[42:43], exec, s[14:15]
	s_or_b64 s[12:13], s[42:43], s[12:13]
	v_pk_mov_b32 v[24:25], s[38:39], s[38:39] op_sel:[0,1]
	s_mov_b64 s[38:39], s[40:41]
	s_andn2_b64 exec, exec, s[12:13]
	s_cbranch_execz .LBB214_68
.LBB214_66:                             ; =>This Inner Loop Header: Depth=1
	s_or_b64 s[14:15], s[14:15], exec
	s_cmp_eq_u64 s[26:27], s[38:39]
	s_cbranch_scc0 .LBB214_64
; %bb.67:                               ;   in Loop: Header=BB214_66 Depth=1
                                        ; implicit-def: $sgpr40_sgpr41
	s_mov_b64 s[38:39], s[26:27]
	s_branch .LBB214_65
.LBB214_68:
	s_or_b64 exec, exec, s[12:13]
	v_cmp_gt_i64_e32 vcc, s[26:27], v[24:25]
	s_orn2_b64 s[12:13], vcc, exec
.LBB214_69:
	s_or_b64 exec, exec, s[10:11]
.LBB214_70:
	v_or_b32_e32 v28, v26, v27
	s_and_b64 vcc, exec, s[8:9]
	s_cbranch_vccz .LBB214_118
.LBB214_71:
	v_or_b32_e32 v20, 3, v1
	v_cmp_gt_u32_e32 vcc, s48, v20
	s_mov_b64 s[10:11], 0
	s_mov_b64 s[8:9], 0
	s_and_saveexec_b64 s[12:13], vcc
	s_cbranch_execz .LBB214_82
; %bb.72:
	s_and_b64 vcc, exec, s[4:5]
	s_mov_b64 s[14:15], 0
	s_cbranch_vccnz .LBB214_81
; %bb.73:
	v_pk_mov_b32 v[22:23], s[16:17], s[16:17] op_sel:[0,1]
	v_mad_u64_u32 v[20:21], s[8:9], v10, s26, v[22:23]
	s_waitcnt lgkmcnt(0)
	v_mul_lo_u32 v24, v10, s27
	v_mul_lo_u32 v25, v11, s26
	v_add3_u32 v21, v25, v21, v24
	v_mad_u64_u32 v[22:23], s[8:9], v12, s26, v[22:23]
	v_mul_lo_u32 v24, v12, s27
	v_mul_lo_u32 v25, v13, s26
	v_add3_u32 v23, v25, v23, v24
	global_load_ubyte v24, v[20:21], off
	global_load_ubyte v25, v[22:23], off
	s_mov_b64 s[14:15], -1
	s_waitcnt vmcnt(0)
	v_cmp_eq_u16_e32 vcc, v24, v25
	s_and_saveexec_b64 s[8:9], vcc
	s_cbranch_execz .LBB214_80
; %bb.74:
	s_mov_b64 s[40:41], 1
	s_mov_b64 s[14:15], 0
                                        ; implicit-def: $sgpr38_sgpr39
	s_branch .LBB214_77
.LBB214_75:                             ;   in Loop: Header=BB214_77 Depth=1
	v_mov_b32_e32 v27, s41
	v_add_co_u32_e32 v24, vcc, s40, v20
	v_addc_co_u32_e32 v25, vcc, v21, v27, vcc
	v_add_co_u32_e32 v26, vcc, s40, v22
	v_addc_co_u32_e32 v27, vcc, v23, v27, vcc
	global_load_ubyte v28, v[24:25], off
	global_load_ubyte v30, v[26:27], off
	s_add_u32 s42, s40, 1
	s_addc_u32 s43, s41, 0
	s_andn2_b64 s[38:39], s[38:39], exec
	s_waitcnt vmcnt(0)
	v_cmp_ne_u16_e32 vcc, v28, v30
	s_and_b64 s[44:45], vcc, exec
	s_or_b64 s[38:39], s[38:39], s[44:45]
.LBB214_76:                             ;   in Loop: Header=BB214_77 Depth=1
	s_and_b64 s[44:45], exec, s[38:39]
	s_or_b64 s[14:15], s[44:45], s[14:15]
	v_pk_mov_b32 v[24:25], s[40:41], s[40:41] op_sel:[0,1]
	s_mov_b64 s[40:41], s[42:43]
	s_andn2_b64 exec, exec, s[14:15]
	s_cbranch_execz .LBB214_79
.LBB214_77:                             ; =>This Inner Loop Header: Depth=1
	s_or_b64 s[38:39], s[38:39], exec
	s_cmp_eq_u64 s[26:27], s[40:41]
	s_cbranch_scc0 .LBB214_75
; %bb.78:                               ;   in Loop: Header=BB214_77 Depth=1
                                        ; implicit-def: $sgpr42_sgpr43
	s_mov_b64 s[40:41], s[26:27]
	s_branch .LBB214_76
.LBB214_79:
	s_or_b64 exec, exec, s[14:15]
	v_cmp_gt_i64_e32 vcc, s[26:27], v[24:25]
	s_orn2_b64 s[14:15], vcc, exec
.LBB214_80:
	s_or_b64 exec, exec, s[8:9]
.LBB214_81:
	s_and_b64 s[8:9], s[14:15], exec
.LBB214_82:
	s_or_b64 exec, exec, s[12:13]
	v_or_b32_e32 v20, 2, v1
	v_cmp_gt_u32_e32 vcc, s48, v20
	s_and_saveexec_b64 s[12:13], vcc
	s_cbranch_execz .LBB214_93
; %bb.83:
	s_and_b64 vcc, exec, s[4:5]
	s_mov_b64 s[14:15], 0
	s_cbranch_vccnz .LBB214_92
; %bb.84:
	v_pk_mov_b32 v[22:23], s[16:17], s[16:17] op_sel:[0,1]
	v_mad_u64_u32 v[20:21], s[10:11], v16, s26, v[22:23]
	s_waitcnt lgkmcnt(0)
	v_mul_lo_u32 v24, v16, s27
	v_mul_lo_u32 v25, v17, s26
	v_add3_u32 v21, v25, v21, v24
	v_mad_u64_u32 v[22:23], s[10:11], v10, s26, v[22:23]
	v_mul_lo_u32 v24, v10, s27
	v_mul_lo_u32 v25, v11, s26
	v_add3_u32 v23, v25, v23, v24
	global_load_ubyte v24, v[20:21], off
	global_load_ubyte v25, v[22:23], off
	s_mov_b64 s[14:15], -1
	s_waitcnt vmcnt(0)
	v_cmp_eq_u16_e32 vcc, v24, v25
	s_and_saveexec_b64 s[10:11], vcc
	s_cbranch_execz .LBB214_91
; %bb.85:
	s_mov_b64 s[40:41], 1
	s_mov_b64 s[14:15], 0
                                        ; implicit-def: $sgpr38_sgpr39
	s_branch .LBB214_88
.LBB214_86:                             ;   in Loop: Header=BB214_88 Depth=1
	v_mov_b32_e32 v27, s41
	v_add_co_u32_e32 v24, vcc, s40, v20
	v_addc_co_u32_e32 v25, vcc, v21, v27, vcc
	v_add_co_u32_e32 v26, vcc, s40, v22
	v_addc_co_u32_e32 v27, vcc, v23, v27, vcc
	global_load_ubyte v28, v[24:25], off
	global_load_ubyte v30, v[26:27], off
	s_add_u32 s42, s40, 1
	s_addc_u32 s43, s41, 0
	s_andn2_b64 s[38:39], s[38:39], exec
	s_waitcnt vmcnt(0)
	v_cmp_ne_u16_e32 vcc, v28, v30
	s_and_b64 s[44:45], vcc, exec
	s_or_b64 s[38:39], s[38:39], s[44:45]
.LBB214_87:                             ;   in Loop: Header=BB214_88 Depth=1
	s_and_b64 s[44:45], exec, s[38:39]
	s_or_b64 s[14:15], s[44:45], s[14:15]
	v_pk_mov_b32 v[24:25], s[40:41], s[40:41] op_sel:[0,1]
	s_mov_b64 s[40:41], s[42:43]
	s_andn2_b64 exec, exec, s[14:15]
	s_cbranch_execz .LBB214_90
.LBB214_88:                             ; =>This Inner Loop Header: Depth=1
	s_or_b64 s[38:39], s[38:39], exec
	s_cmp_eq_u64 s[26:27], s[40:41]
	s_cbranch_scc0 .LBB214_86
; %bb.89:                               ;   in Loop: Header=BB214_88 Depth=1
                                        ; implicit-def: $sgpr42_sgpr43
	s_mov_b64 s[40:41], s[26:27]
	s_branch .LBB214_87
.LBB214_90:
	s_or_b64 exec, exec, s[14:15]
	v_cmp_gt_i64_e32 vcc, s[26:27], v[24:25]
	s_orn2_b64 s[14:15], vcc, exec
.LBB214_91:
	s_or_b64 exec, exec, s[10:11]
.LBB214_92:
	s_and_b64 s[10:11], s[14:15], exec
.LBB214_93:
	s_or_b64 exec, exec, s[12:13]
	v_or_b32_e32 v20, 1, v1
	v_cmp_gt_u32_e32 vcc, s48, v20
	s_mov_b64 s[14:15], 0
	s_and_saveexec_b64 s[12:13], vcc
	s_cbranch_execz .LBB214_104
; %bb.94:
	s_and_b64 vcc, exec, s[4:5]
	s_mov_b64 s[38:39], 0
	s_cbranch_vccnz .LBB214_103
; %bb.95:
	v_pk_mov_b32 v[22:23], s[16:17], s[16:17] op_sel:[0,1]
	v_mad_u64_u32 v[20:21], s[14:15], v14, s26, v[22:23]
	s_waitcnt lgkmcnt(0)
	v_mul_lo_u32 v24, v14, s27
	v_mul_lo_u32 v25, v15, s26
	v_add3_u32 v21, v25, v21, v24
	v_mad_u64_u32 v[22:23], s[14:15], v16, s26, v[22:23]
	v_mul_lo_u32 v24, v16, s27
	v_mul_lo_u32 v25, v17, s26
	v_add3_u32 v23, v25, v23, v24
	global_load_ubyte v24, v[20:21], off
	global_load_ubyte v25, v[22:23], off
	s_mov_b64 s[38:39], -1
	s_waitcnt vmcnt(0)
	v_cmp_eq_u16_e32 vcc, v24, v25
	s_and_saveexec_b64 s[14:15], vcc
	s_cbranch_execz .LBB214_102
; %bb.96:
	s_mov_b64 s[42:43], 1
	s_mov_b64 s[38:39], 0
                                        ; implicit-def: $sgpr40_sgpr41
	s_branch .LBB214_99
.LBB214_97:                             ;   in Loop: Header=BB214_99 Depth=1
	v_mov_b32_e32 v27, s43
	v_add_co_u32_e32 v24, vcc, s42, v20
	v_addc_co_u32_e32 v25, vcc, v21, v27, vcc
	v_add_co_u32_e32 v26, vcc, s42, v22
	v_addc_co_u32_e32 v27, vcc, v23, v27, vcc
	global_load_ubyte v28, v[24:25], off
	global_load_ubyte v30, v[26:27], off
	s_add_u32 s44, s42, 1
	s_addc_u32 s45, s43, 0
	s_andn2_b64 s[40:41], s[40:41], exec
	s_waitcnt vmcnt(0)
	v_cmp_ne_u16_e32 vcc, v28, v30
	s_and_b64 s[46:47], vcc, exec
	s_or_b64 s[40:41], s[40:41], s[46:47]
.LBB214_98:                             ;   in Loop: Header=BB214_99 Depth=1
	s_and_b64 s[46:47], exec, s[40:41]
	s_or_b64 s[38:39], s[46:47], s[38:39]
	v_pk_mov_b32 v[24:25], s[42:43], s[42:43] op_sel:[0,1]
	s_mov_b64 s[42:43], s[44:45]
	s_andn2_b64 exec, exec, s[38:39]
	s_cbranch_execz .LBB214_101
.LBB214_99:                             ; =>This Inner Loop Header: Depth=1
	s_or_b64 s[40:41], s[40:41], exec
	s_cmp_eq_u64 s[26:27], s[42:43]
	s_cbranch_scc0 .LBB214_97
; %bb.100:                              ;   in Loop: Header=BB214_99 Depth=1
                                        ; implicit-def: $sgpr44_sgpr45
	s_mov_b64 s[42:43], s[26:27]
	s_branch .LBB214_98
.LBB214_101:
	s_or_b64 exec, exec, s[38:39]
	v_cmp_gt_i64_e32 vcc, s[26:27], v[24:25]
	s_orn2_b64 s[38:39], vcc, exec
.LBB214_102:
	s_or_b64 exec, exec, s[14:15]
.LBB214_103:
	s_and_b64 s[14:15], s[38:39], exec
.LBB214_104:
	s_or_b64 exec, exec, s[12:13]
	s_waitcnt lgkmcnt(0)
	s_barrier
	s_and_saveexec_b64 s[12:13], s[2:3]
	s_cbranch_execz .LBB214_106
; %bb.105:
	s_waitcnt vmcnt(0)
	v_add_u32_e32 v18, -8, v29
	ds_read_b64 v[18:19], v18
.LBB214_106:
	s_or_b64 exec, exec, s[12:13]
	v_cndmask_b32_e64 v21, 0, 1, s[8:9]
	v_cndmask_b32_e64 v20, 0, 1, s[10:11]
	;; [unrolled: 1-line block ×3, first 2 shown]
	v_lshlrev_b16_e32 v21, 8, v21
	v_lshlrev_b16_e32 v24, 8, v22
	v_or_b32_sdwa v25, v20, v21 dst_sel:WORD_1 dst_unused:UNUSED_PAD src0_sel:DWORD src1_sel:DWORD
	v_cmp_gt_u32_e32 vcc, s48, v1
	s_mov_b64 s[12:13], 0
	s_and_saveexec_b64 s[8:9], vcc
	s_cbranch_execz .LBB214_117
; %bb.107:
	s_and_b64 vcc, exec, s[4:5]
	s_mov_b64 s[10:11], 0
	s_cbranch_vccnz .LBB214_116
; %bb.108:
	v_pk_mov_b32 v[22:23], s[16:17], s[16:17] op_sel:[0,1]
	s_waitcnt vmcnt(0) lgkmcnt(0)
	v_mad_u64_u32 v[20:21], s[4:5], v18, s26, v[22:23]
	v_mul_lo_u32 v18, v18, s27
	v_mul_lo_u32 v19, v19, s26
	v_add3_u32 v21, v19, v21, v18
	v_mad_u64_u32 v[18:19], s[4:5], v14, s26, v[22:23]
	v_mul_lo_u32 v22, v14, s27
	v_mul_lo_u32 v23, v15, s26
	v_add3_u32 v19, v23, v19, v22
	global_load_ubyte v22, v[20:21], off
	global_load_ubyte v23, v[18:19], off
	s_mov_b64 s[10:11], -1
	s_waitcnt vmcnt(0)
	v_cmp_eq_u16_e32 vcc, v22, v23
	s_and_saveexec_b64 s[4:5], vcc
	s_cbranch_execz .LBB214_115
; %bb.109:
	s_mov_b64 s[14:15], 1
	s_mov_b64 s[10:11], 0
                                        ; implicit-def: $sgpr12_sgpr13
	s_branch .LBB214_112
.LBB214_110:                            ;   in Loop: Header=BB214_112 Depth=1
	v_mov_b32_e32 v27, s15
	v_add_co_u32_e32 v22, vcc, s14, v20
	v_addc_co_u32_e32 v23, vcc, v21, v27, vcc
	v_add_co_u32_e32 v26, vcc, s14, v18
	v_addc_co_u32_e32 v27, vcc, v19, v27, vcc
	global_load_ubyte v28, v[22:23], off
	global_load_ubyte v29, v[26:27], off
	s_add_u32 s38, s14, 1
	s_addc_u32 s39, s15, 0
	s_andn2_b64 s[12:13], s[12:13], exec
	s_waitcnt vmcnt(0)
	v_cmp_ne_u16_e32 vcc, v28, v29
	s_and_b64 s[40:41], vcc, exec
	s_or_b64 s[12:13], s[12:13], s[40:41]
.LBB214_111:                            ;   in Loop: Header=BB214_112 Depth=1
	s_and_b64 s[40:41], exec, s[12:13]
	s_or_b64 s[10:11], s[40:41], s[10:11]
	v_pk_mov_b32 v[22:23], s[14:15], s[14:15] op_sel:[0,1]
	s_mov_b64 s[14:15], s[38:39]
	s_andn2_b64 exec, exec, s[10:11]
	s_cbranch_execz .LBB214_114
.LBB214_112:                            ; =>This Inner Loop Header: Depth=1
	s_or_b64 s[12:13], s[12:13], exec
	s_cmp_eq_u64 s[26:27], s[14:15]
	s_cbranch_scc0 .LBB214_110
; %bb.113:                              ;   in Loop: Header=BB214_112 Depth=1
                                        ; implicit-def: $sgpr38_sgpr39
	s_mov_b64 s[14:15], s[26:27]
	s_branch .LBB214_111
.LBB214_114:
	s_or_b64 exec, exec, s[10:11]
	v_cmp_gt_i64_e32 vcc, s[26:27], v[22:23]
	s_orn2_b64 s[10:11], vcc, exec
.LBB214_115:
	s_or_b64 exec, exec, s[4:5]
.LBB214_116:
	s_and_b64 s[12:13], s[10:11], exec
.LBB214_117:
	s_or_b64 exec, exec, s[8:9]
	v_or_b32_e32 v28, v24, v25
.LBB214_118:
	s_mov_b64 s[8:9], -1
	s_cbranch_execnz .LBB214_207
.LBB214_119:
	v_lshlrev_b32_e32 v26, 3, v0
	s_mov_b64 s[12:13], 0
	v_cmp_gt_i64_e64 s[10:11], s[26:27], 0
	s_and_b64 vcc, exec, s[34:35]
	ds_write_b64 v26, v[12:13]
	s_cbranch_vccz .LBB214_127
; %bb.120:
	v_mul_lo_u32 v20, v11, s26
	v_mul_lo_u32 v21, v10, s27
	s_waitcnt vmcnt(0) lgkmcnt(1)
	v_mad_u64_u32 v[18:19], s[4:5], v10, s26, 0
	v_cndmask_b32_e64 v22, 0, 1, s[10:11]
	v_cmp_ne_u32_e64 s[4:5], 1, v22
	s_andn2_b64 vcc, exec, s[10:11]
	v_add3_u32 v19, v19, v21, v20
	s_cbranch_vccnz .LBB214_130
; %bb.121:
	v_mov_b32_e32 v21, s17
	v_add_co_u32_e32 v20, vcc, s16, v18
	v_pk_mov_b32 v[22:23], s[16:17], s[16:17] op_sel:[0,1]
	v_addc_co_u32_e32 v21, vcc, v21, v19, vcc
	v_mad_u64_u32 v[22:23], s[12:13], v12, s26, v[22:23]
	v_mul_lo_u32 v24, v12, s27
	v_mul_lo_u32 v25, v13, s26
	v_add3_u32 v23, v25, v23, v24
	global_load_ubyte v24, v[20:21], off
	global_load_ubyte v25, v[22:23], off
	s_mov_b64 s[12:13], -1
	s_waitcnt vmcnt(0)
	v_cmp_eq_u16_e32 vcc, v24, v25
	s_and_saveexec_b64 s[14:15], vcc
	s_cbranch_execz .LBB214_129
; %bb.122:
	s_mov_b64 s[40:41], 1
	s_mov_b64 s[12:13], 0
                                        ; implicit-def: $sgpr38_sgpr39
	s_branch .LBB214_125
.LBB214_123:                            ;   in Loop: Header=BB214_125 Depth=1
	v_mov_b32_e32 v27, s41
	v_add_co_u32_e32 v24, vcc, s40, v20
	v_addc_co_u32_e32 v25, vcc, v21, v27, vcc
	v_add_co_u32_e32 v28, vcc, s40, v22
	v_addc_co_u32_e32 v29, vcc, v23, v27, vcc
	global_load_ubyte v27, v[24:25], off
	global_load_ubyte v30, v[28:29], off
	s_add_u32 s42, s40, 1
	s_addc_u32 s43, s41, 0
	s_andn2_b64 s[38:39], s[38:39], exec
	s_waitcnt vmcnt(0)
	v_cmp_ne_u16_e32 vcc, v27, v30
	s_and_b64 s[44:45], vcc, exec
	s_or_b64 s[38:39], s[38:39], s[44:45]
.LBB214_124:                            ;   in Loop: Header=BB214_125 Depth=1
	s_and_b64 s[44:45], exec, s[38:39]
	s_or_b64 s[12:13], s[44:45], s[12:13]
	v_pk_mov_b32 v[24:25], s[40:41], s[40:41] op_sel:[0,1]
	s_mov_b64 s[40:41], s[42:43]
	s_andn2_b64 exec, exec, s[12:13]
	s_cbranch_execz .LBB214_128
.LBB214_125:                            ; =>This Inner Loop Header: Depth=1
	s_or_b64 s[38:39], s[38:39], exec
	s_cmp_eq_u64 s[26:27], s[40:41]
	s_cbranch_scc0 .LBB214_123
; %bb.126:                              ;   in Loop: Header=BB214_125 Depth=1
                                        ; implicit-def: $sgpr42_sgpr43
	s_mov_b64 s[40:41], s[26:27]
	s_branch .LBB214_124
.LBB214_127:
                                        ; implicit-def: $sgpr12_sgpr13
                                        ; implicit-def: $vgpr28
	s_cbranch_execnz .LBB214_160
	s_branch .LBB214_207
.LBB214_128:
	s_or_b64 exec, exec, s[12:13]
	v_cmp_gt_i64_e32 vcc, s[26:27], v[24:25]
	s_orn2_b64 s[12:13], vcc, exec
.LBB214_129:
	s_or_b64 exec, exec, s[14:15]
.LBB214_130:
	v_mul_lo_u32 v22, v17, s26
	v_mul_lo_u32 v23, v16, s27
	v_mad_u64_u32 v[20:21], s[14:15], v16, s26, 0
	v_add3_u32 v21, v21, v23, v22
	s_mov_b64 s[14:15], 0
	s_and_b64 vcc, exec, s[4:5]
	s_mov_b64 s[38:39], 0
	s_cbranch_vccnz .LBB214_139
; %bb.131:
	v_mov_b32_e32 v23, s17
	v_add_co_u32_e32 v22, vcc, s16, v20
	v_addc_co_u32_e32 v23, vcc, v23, v21, vcc
	v_mov_b32_e32 v24, s17
	v_add_co_u32_e32 v18, vcc, s16, v18
	v_addc_co_u32_e32 v19, vcc, v24, v19, vcc
	global_load_ubyte v24, v[22:23], off
	global_load_ubyte v25, v[18:19], off
	s_mov_b64 s[38:39], -1
	s_waitcnt vmcnt(0)
	v_cmp_eq_u16_e32 vcc, v24, v25
	s_and_saveexec_b64 s[40:41], vcc
	s_cbranch_execz .LBB214_138
; %bb.132:
	s_mov_b64 s[44:45], 1
	s_mov_b64 s[38:39], 0
                                        ; implicit-def: $sgpr42_sgpr43
	s_branch .LBB214_135
.LBB214_133:                            ;   in Loop: Header=BB214_135 Depth=1
	v_mov_b32_e32 v27, s45
	v_add_co_u32_e32 v24, vcc, s44, v22
	v_addc_co_u32_e32 v25, vcc, v23, v27, vcc
	v_add_co_u32_e32 v28, vcc, s44, v18
	v_addc_co_u32_e32 v29, vcc, v19, v27, vcc
	global_load_ubyte v27, v[24:25], off
	global_load_ubyte v30, v[28:29], off
	s_add_u32 s46, s44, 1
	s_addc_u32 s47, s45, 0
	s_andn2_b64 s[42:43], s[42:43], exec
	s_waitcnt vmcnt(0)
	v_cmp_ne_u16_e32 vcc, v27, v30
	s_and_b64 s[50:51], vcc, exec
	s_or_b64 s[42:43], s[42:43], s[50:51]
.LBB214_134:                            ;   in Loop: Header=BB214_135 Depth=1
	s_and_b64 s[50:51], exec, s[42:43]
	s_or_b64 s[38:39], s[50:51], s[38:39]
	v_pk_mov_b32 v[24:25], s[44:45], s[44:45] op_sel:[0,1]
	s_mov_b64 s[44:45], s[46:47]
	s_andn2_b64 exec, exec, s[38:39]
	s_cbranch_execz .LBB214_137
.LBB214_135:                            ; =>This Inner Loop Header: Depth=1
	s_or_b64 s[42:43], s[42:43], exec
	s_cmp_eq_u64 s[26:27], s[44:45]
	s_cbranch_scc0 .LBB214_133
; %bb.136:                              ;   in Loop: Header=BB214_135 Depth=1
                                        ; implicit-def: $sgpr46_sgpr47
	s_mov_b64 s[44:45], s[26:27]
	s_branch .LBB214_134
.LBB214_137:
	s_or_b64 exec, exec, s[38:39]
	v_cmp_gt_i64_e32 vcc, s[26:27], v[24:25]
	s_orn2_b64 s[38:39], vcc, exec
.LBB214_138:
	s_or_b64 exec, exec, s[40:41]
.LBB214_139:
	v_mul_lo_u32 v22, v15, s26
	v_mul_lo_u32 v23, v14, s27
	v_mad_u64_u32 v[18:19], s[40:41], v14, s26, 0
	s_and_b64 vcc, exec, s[4:5]
	v_add3_u32 v19, v19, v23, v22
	s_cbranch_vccnz .LBB214_148
; %bb.140:
	v_mov_b32_e32 v23, s17
	v_add_co_u32_e32 v22, vcc, s16, v18
	v_addc_co_u32_e32 v23, vcc, v23, v19, vcc
	v_mov_b32_e32 v24, s17
	v_add_co_u32_e32 v20, vcc, s16, v20
	v_addc_co_u32_e32 v21, vcc, v24, v21, vcc
	global_load_ubyte v24, v[22:23], off
	global_load_ubyte v25, v[20:21], off
	s_mov_b64 s[14:15], -1
	s_waitcnt vmcnt(0)
	v_cmp_eq_u16_e32 vcc, v24, v25
	s_and_saveexec_b64 s[40:41], vcc
	s_cbranch_execz .LBB214_147
; %bb.141:
	s_mov_b64 s[44:45], 1
	s_mov_b64 s[14:15], 0
                                        ; implicit-def: $sgpr42_sgpr43
	s_branch .LBB214_144
.LBB214_142:                            ;   in Loop: Header=BB214_144 Depth=1
	v_mov_b32_e32 v27, s45
	v_add_co_u32_e32 v24, vcc, s44, v22
	v_addc_co_u32_e32 v25, vcc, v23, v27, vcc
	v_add_co_u32_e32 v28, vcc, s44, v20
	v_addc_co_u32_e32 v29, vcc, v21, v27, vcc
	global_load_ubyte v27, v[24:25], off
	global_load_ubyte v30, v[28:29], off
	s_add_u32 s46, s44, 1
	s_addc_u32 s47, s45, 0
	s_andn2_b64 s[42:43], s[42:43], exec
	s_waitcnt vmcnt(0)
	v_cmp_ne_u16_e32 vcc, v27, v30
	s_and_b64 s[50:51], vcc, exec
	s_or_b64 s[42:43], s[42:43], s[50:51]
.LBB214_143:                            ;   in Loop: Header=BB214_144 Depth=1
	s_and_b64 s[50:51], exec, s[42:43]
	s_or_b64 s[14:15], s[50:51], s[14:15]
	v_pk_mov_b32 v[24:25], s[44:45], s[44:45] op_sel:[0,1]
	s_mov_b64 s[44:45], s[46:47]
	s_andn2_b64 exec, exec, s[14:15]
	s_cbranch_execz .LBB214_146
.LBB214_144:                            ; =>This Inner Loop Header: Depth=1
	s_or_b64 s[42:43], s[42:43], exec
	s_cmp_eq_u64 s[26:27], s[44:45]
	s_cbranch_scc0 .LBB214_142
; %bb.145:                              ;   in Loop: Header=BB214_144 Depth=1
                                        ; implicit-def: $sgpr46_sgpr47
	s_mov_b64 s[44:45], s[26:27]
	s_branch .LBB214_143
.LBB214_146:
	s_or_b64 exec, exec, s[14:15]
	v_cmp_gt_i64_e32 vcc, s[26:27], v[24:25]
	s_orn2_b64 s[14:15], vcc, exec
.LBB214_147:
	s_or_b64 exec, exec, s[40:41]
.LBB214_148:
	v_cndmask_b32_e64 v21, 0, 1, s[12:13]
	v_cndmask_b32_e64 v22, 0, 1, s[14:15]
	;; [unrolled: 1-line block ×3, first 2 shown]
	v_lshlrev_b16_e32 v22, 8, v22
	v_lshlrev_b16_e32 v21, 8, v21
	v_or_b32_e32 v22, 1, v22
	v_or_b32_sdwa v20, v20, v21 dst_sel:WORD_1 dst_unused:UNUSED_PAD src0_sel:DWORD src1_sel:DWORD
	v_or_b32_sdwa v28, v22, v20 dst_sel:DWORD dst_unused:UNUSED_PAD src0_sel:WORD_0 src1_sel:DWORD
	s_waitcnt lgkmcnt(0)
	s_barrier
	s_waitcnt lgkmcnt(0)
                                        ; implicit-def: $sgpr12_sgpr13
	s_and_saveexec_b64 s[14:15], s[2:3]
	s_xor_b64 s[14:15], exec, s[14:15]
	s_cbranch_execz .LBB214_159
; %bb.149:
	s_and_b64 vcc, exec, s[4:5]
	s_mov_b64 s[12:13], 0
	s_cbranch_vccnz .LBB214_158
; %bb.150:
	v_add_u32_e32 v20, -8, v26
	ds_read_b64 v[20:21], v20
	v_pk_mov_b32 v[22:23], s[16:17], s[16:17] op_sel:[0,1]
	v_add_co_u32_e32 v18, vcc, s16, v18
	s_mov_b64 s[12:13], -1
	s_waitcnt lgkmcnt(0)
	v_mul_lo_u32 v24, v20, s27
	v_mul_lo_u32 v25, v21, s26
	v_mad_u64_u32 v[20:21], s[4:5], v20, s26, v[22:23]
	v_mov_b32_e32 v22, s17
	v_addc_co_u32_e32 v19, vcc, v22, v19, vcc
	v_add3_u32 v21, v25, v21, v24
	global_load_ubyte v22, v[18:19], off
	global_load_ubyte v23, v[20:21], off
	s_waitcnt vmcnt(0)
	v_cmp_eq_u16_e32 vcc, v23, v22
	s_and_saveexec_b64 s[4:5], vcc
	s_cbranch_execz .LBB214_157
; %bb.151:
	s_mov_b64 s[40:41], 1
	s_mov_b64 s[12:13], 0
                                        ; implicit-def: $sgpr38_sgpr39
	s_branch .LBB214_154
.LBB214_152:                            ;   in Loop: Header=BB214_154 Depth=1
	v_mov_b32_e32 v25, s41
	v_add_co_u32_e32 v22, vcc, s40, v20
	v_addc_co_u32_e32 v23, vcc, v21, v25, vcc
	v_add_co_u32_e32 v24, vcc, s40, v18
	v_addc_co_u32_e32 v25, vcc, v19, v25, vcc
	global_load_ubyte v27, v[22:23], off
	global_load_ubyte v29, v[24:25], off
	s_add_u32 s42, s40, 1
	s_addc_u32 s43, s41, 0
	s_andn2_b64 s[38:39], s[38:39], exec
	s_waitcnt vmcnt(0)
	v_cmp_ne_u16_e32 vcc, v27, v29
	s_and_b64 s[44:45], vcc, exec
	s_or_b64 s[38:39], s[38:39], s[44:45]
.LBB214_153:                            ;   in Loop: Header=BB214_154 Depth=1
	s_and_b64 s[44:45], exec, s[38:39]
	s_or_b64 s[12:13], s[44:45], s[12:13]
	v_pk_mov_b32 v[22:23], s[40:41], s[40:41] op_sel:[0,1]
	s_mov_b64 s[40:41], s[42:43]
	s_andn2_b64 exec, exec, s[12:13]
	s_cbranch_execz .LBB214_156
.LBB214_154:                            ; =>This Inner Loop Header: Depth=1
	s_or_b64 s[38:39], s[38:39], exec
	s_cmp_eq_u64 s[26:27], s[40:41]
	s_cbranch_scc0 .LBB214_152
; %bb.155:                              ;   in Loop: Header=BB214_154 Depth=1
                                        ; implicit-def: $sgpr42_sgpr43
	s_mov_b64 s[40:41], s[26:27]
	s_branch .LBB214_153
.LBB214_156:
	s_or_b64 exec, exec, s[12:13]
	v_cmp_gt_i64_e32 vcc, s[26:27], v[22:23]
	s_orn2_b64 s[12:13], vcc, exec
.LBB214_157:
	s_or_b64 exec, exec, s[4:5]
.LBB214_158:
	s_and_b64 s[12:13], s[12:13], exec
	s_or_b64 s[8:9], s[8:9], exec
.LBB214_159:
	s_or_b64 exec, exec, s[14:15]
	s_branch .LBB214_207
.LBB214_160:
	s_waitcnt vmcnt(0) lgkmcnt(1)
	v_or_b32_e32 v18, 3, v1
	v_cmp_gt_u32_e32 vcc, s48, v18
	s_mov_b64 s[12:13], 0
	s_mov_b64 s[4:5], 0
	s_and_saveexec_b64 s[14:15], vcc
	s_cbranch_execz .LBB214_171
; %bb.161:
	s_andn2_b64 vcc, exec, s[10:11]
	s_mov_b64 s[38:39], 0
	s_cbranch_vccnz .LBB214_170
; %bb.162:
	v_pk_mov_b32 v[20:21], s[16:17], s[16:17] op_sel:[0,1]
	v_mad_u64_u32 v[18:19], s[4:5], v10, s26, v[20:21]
	v_mul_lo_u32 v22, v10, s27
	v_mul_lo_u32 v23, v11, s26
	v_add3_u32 v19, v23, v19, v22
	v_mad_u64_u32 v[20:21], s[4:5], v12, s26, v[20:21]
	v_mul_lo_u32 v22, v12, s27
	v_mul_lo_u32 v23, v13, s26
	v_add3_u32 v21, v23, v21, v22
	global_load_ubyte v22, v[18:19], off
	global_load_ubyte v23, v[20:21], off
	s_mov_b64 s[38:39], -1
	s_waitcnt vmcnt(0)
	v_cmp_eq_u16_e32 vcc, v22, v23
	s_and_saveexec_b64 s[4:5], vcc
	s_cbranch_execz .LBB214_169
; %bb.163:
	s_mov_b64 s[42:43], 1
	s_mov_b64 s[38:39], 0
                                        ; implicit-def: $sgpr40_sgpr41
	s_branch .LBB214_166
.LBB214_164:                            ;   in Loop: Header=BB214_166 Depth=1
	v_mov_b32_e32 v25, s43
	v_add_co_u32_e32 v22, vcc, s42, v18
	v_addc_co_u32_e32 v23, vcc, v19, v25, vcc
	v_add_co_u32_e32 v24, vcc, s42, v20
	v_addc_co_u32_e32 v25, vcc, v21, v25, vcc
	global_load_ubyte v27, v[22:23], off
	global_load_ubyte v28, v[24:25], off
	s_add_u32 s44, s42, 1
	s_addc_u32 s45, s43, 0
	s_andn2_b64 s[40:41], s[40:41], exec
	s_waitcnt vmcnt(0)
	v_cmp_ne_u16_e32 vcc, v27, v28
	s_and_b64 s[46:47], vcc, exec
	s_or_b64 s[40:41], s[40:41], s[46:47]
.LBB214_165:                            ;   in Loop: Header=BB214_166 Depth=1
	s_and_b64 s[46:47], exec, s[40:41]
	s_or_b64 s[38:39], s[46:47], s[38:39]
	v_pk_mov_b32 v[22:23], s[42:43], s[42:43] op_sel:[0,1]
	s_mov_b64 s[42:43], s[44:45]
	s_andn2_b64 exec, exec, s[38:39]
	s_cbranch_execz .LBB214_168
.LBB214_166:                            ; =>This Inner Loop Header: Depth=1
	s_or_b64 s[40:41], s[40:41], exec
	s_cmp_eq_u64 s[26:27], s[42:43]
	s_cbranch_scc0 .LBB214_164
; %bb.167:                              ;   in Loop: Header=BB214_166 Depth=1
                                        ; implicit-def: $sgpr44_sgpr45
	s_mov_b64 s[42:43], s[26:27]
	s_branch .LBB214_165
.LBB214_168:
	s_or_b64 exec, exec, s[38:39]
	v_cmp_gt_i64_e32 vcc, s[26:27], v[22:23]
	s_orn2_b64 s[38:39], vcc, exec
.LBB214_169:
	s_or_b64 exec, exec, s[4:5]
.LBB214_170:
	s_and_b64 s[4:5], s[38:39], exec
.LBB214_171:
	s_or_b64 exec, exec, s[14:15]
	v_or_b32_e32 v18, 2, v1
	v_cmp_gt_u32_e32 vcc, s48, v18
	s_and_saveexec_b64 s[14:15], vcc
	s_cbranch_execz .LBB214_182
; %bb.172:
	s_andn2_b64 vcc, exec, s[10:11]
	s_mov_b64 s[38:39], 0
	s_cbranch_vccnz .LBB214_181
; %bb.173:
	v_pk_mov_b32 v[20:21], s[16:17], s[16:17] op_sel:[0,1]
	v_mad_u64_u32 v[18:19], s[12:13], v16, s26, v[20:21]
	v_mul_lo_u32 v22, v16, s27
	v_mul_lo_u32 v23, v17, s26
	v_add3_u32 v19, v23, v19, v22
	v_mad_u64_u32 v[20:21], s[12:13], v10, s26, v[20:21]
	v_mul_lo_u32 v22, v10, s27
	v_mul_lo_u32 v23, v11, s26
	v_add3_u32 v21, v23, v21, v22
	global_load_ubyte v22, v[18:19], off
	global_load_ubyte v23, v[20:21], off
	s_mov_b64 s[38:39], -1
	s_waitcnt vmcnt(0)
	v_cmp_eq_u16_e32 vcc, v22, v23
	s_and_saveexec_b64 s[12:13], vcc
	s_cbranch_execz .LBB214_180
; %bb.174:
	s_mov_b64 s[42:43], 1
	s_mov_b64 s[38:39], 0
                                        ; implicit-def: $sgpr40_sgpr41
	s_branch .LBB214_177
.LBB214_175:                            ;   in Loop: Header=BB214_177 Depth=1
	v_mov_b32_e32 v25, s43
	v_add_co_u32_e32 v22, vcc, s42, v18
	v_addc_co_u32_e32 v23, vcc, v19, v25, vcc
	v_add_co_u32_e32 v24, vcc, s42, v20
	v_addc_co_u32_e32 v25, vcc, v21, v25, vcc
	global_load_ubyte v27, v[22:23], off
	global_load_ubyte v28, v[24:25], off
	s_add_u32 s44, s42, 1
	s_addc_u32 s45, s43, 0
	s_andn2_b64 s[40:41], s[40:41], exec
	s_waitcnt vmcnt(0)
	v_cmp_ne_u16_e32 vcc, v27, v28
	s_and_b64 s[46:47], vcc, exec
	s_or_b64 s[40:41], s[40:41], s[46:47]
.LBB214_176:                            ;   in Loop: Header=BB214_177 Depth=1
	s_and_b64 s[46:47], exec, s[40:41]
	s_or_b64 s[38:39], s[46:47], s[38:39]
	v_pk_mov_b32 v[22:23], s[42:43], s[42:43] op_sel:[0,1]
	s_mov_b64 s[42:43], s[44:45]
	s_andn2_b64 exec, exec, s[38:39]
	s_cbranch_execz .LBB214_179
.LBB214_177:                            ; =>This Inner Loop Header: Depth=1
	s_or_b64 s[40:41], s[40:41], exec
	s_cmp_eq_u64 s[26:27], s[42:43]
	s_cbranch_scc0 .LBB214_175
; %bb.178:                              ;   in Loop: Header=BB214_177 Depth=1
                                        ; implicit-def: $sgpr44_sgpr45
	s_mov_b64 s[42:43], s[26:27]
	s_branch .LBB214_176
.LBB214_179:
	s_or_b64 exec, exec, s[38:39]
	v_cmp_gt_i64_e32 vcc, s[26:27], v[22:23]
	s_orn2_b64 s[38:39], vcc, exec
.LBB214_180:
	s_or_b64 exec, exec, s[12:13]
.LBB214_181:
	s_and_b64 s[12:13], s[38:39], exec
.LBB214_182:
	s_or_b64 exec, exec, s[14:15]
	v_or_b32_e32 v18, 1, v1
	v_cmp_gt_u32_e32 vcc, s48, v18
	s_mov_b64 s[38:39], 0
	s_and_saveexec_b64 s[14:15], vcc
	s_cbranch_execz .LBB214_193
; %bb.183:
	s_andn2_b64 vcc, exec, s[10:11]
	s_mov_b64 s[40:41], 0
	s_cbranch_vccnz .LBB214_192
; %bb.184:
	v_pk_mov_b32 v[20:21], s[16:17], s[16:17] op_sel:[0,1]
	v_mad_u64_u32 v[18:19], s[38:39], v14, s26, v[20:21]
	v_mul_lo_u32 v22, v14, s27
	v_mul_lo_u32 v23, v15, s26
	v_add3_u32 v19, v23, v19, v22
	v_mad_u64_u32 v[20:21], s[38:39], v16, s26, v[20:21]
	v_mul_lo_u32 v22, v16, s27
	v_mul_lo_u32 v23, v17, s26
	v_add3_u32 v21, v23, v21, v22
	global_load_ubyte v22, v[18:19], off
	global_load_ubyte v23, v[20:21], off
	s_mov_b64 s[40:41], -1
	s_waitcnt vmcnt(0)
	v_cmp_eq_u16_e32 vcc, v22, v23
	s_and_saveexec_b64 s[38:39], vcc
	s_cbranch_execz .LBB214_191
; %bb.185:
	s_mov_b64 s[44:45], 1
	s_mov_b64 s[40:41], 0
                                        ; implicit-def: $sgpr42_sgpr43
	s_branch .LBB214_188
.LBB214_186:                            ;   in Loop: Header=BB214_188 Depth=1
	v_mov_b32_e32 v25, s45
	v_add_co_u32_e32 v22, vcc, s44, v18
	v_addc_co_u32_e32 v23, vcc, v19, v25, vcc
	v_add_co_u32_e32 v24, vcc, s44, v20
	v_addc_co_u32_e32 v25, vcc, v21, v25, vcc
	global_load_ubyte v27, v[22:23], off
	global_load_ubyte v28, v[24:25], off
	s_add_u32 s46, s44, 1
	s_addc_u32 s47, s45, 0
	s_andn2_b64 s[42:43], s[42:43], exec
	s_waitcnt vmcnt(0)
	v_cmp_ne_u16_e32 vcc, v27, v28
	s_and_b64 s[50:51], vcc, exec
	s_or_b64 s[42:43], s[42:43], s[50:51]
.LBB214_187:                            ;   in Loop: Header=BB214_188 Depth=1
	s_and_b64 s[50:51], exec, s[42:43]
	s_or_b64 s[40:41], s[50:51], s[40:41]
	v_pk_mov_b32 v[22:23], s[44:45], s[44:45] op_sel:[0,1]
	s_mov_b64 s[44:45], s[46:47]
	s_andn2_b64 exec, exec, s[40:41]
	s_cbranch_execz .LBB214_190
.LBB214_188:                            ; =>This Inner Loop Header: Depth=1
	s_or_b64 s[42:43], s[42:43], exec
	s_cmp_eq_u64 s[26:27], s[44:45]
	s_cbranch_scc0 .LBB214_186
; %bb.189:                              ;   in Loop: Header=BB214_188 Depth=1
                                        ; implicit-def: $sgpr46_sgpr47
	s_mov_b64 s[44:45], s[26:27]
	s_branch .LBB214_187
.LBB214_190:
	s_or_b64 exec, exec, s[40:41]
	v_cmp_gt_i64_e32 vcc, s[26:27], v[22:23]
	s_orn2_b64 s[40:41], vcc, exec
.LBB214_191:
	s_or_b64 exec, exec, s[38:39]
.LBB214_192:
	s_and_b64 s[38:39], s[40:41], exec
.LBB214_193:
	s_or_b64 exec, exec, s[14:15]
	v_cndmask_b32_e64 v19, 0, 1, s[4:5]
	v_cndmask_b32_e64 v20, 0, 1, s[38:39]
	;; [unrolled: 1-line block ×3, first 2 shown]
	v_lshlrev_b16_e32 v20, 8, v20
	v_lshlrev_b16_e32 v19, 8, v19
	v_or_b32_e32 v20, 1, v20
	v_or_b32_sdwa v18, v18, v19 dst_sel:WORD_1 dst_unused:UNUSED_PAD src0_sel:DWORD src1_sel:DWORD
	v_or_b32_sdwa v28, v20, v18 dst_sel:DWORD dst_unused:UNUSED_PAD src0_sel:WORD_0 src1_sel:DWORD
	s_waitcnt lgkmcnt(0)
	s_barrier
	s_waitcnt lgkmcnt(0)
                                        ; implicit-def: $sgpr12_sgpr13
	s_and_saveexec_b64 s[4:5], s[2:3]
	s_cbranch_execz .LBB214_206
; %bb.194:
	v_cmp_gt_u32_e32 vcc, s48, v1
	s_mov_b64 s[12:13], 0
	s_and_saveexec_b64 s[2:3], vcc
	s_cbranch_execz .LBB214_205
; %bb.195:
	s_andn2_b64 vcc, exec, s[10:11]
	s_cbranch_vccnz .LBB214_204
; %bb.196:
	v_add_u32_e32 v18, -8, v26
	ds_read_b64 v[18:19], v18
	v_pk_mov_b32 v[20:21], s[16:17], s[16:17] op_sel:[0,1]
	s_mov_b64 s[12:13], -1
	s_waitcnt lgkmcnt(0)
	v_mul_lo_u32 v22, v18, s27
	v_mul_lo_u32 v23, v19, s26
	v_mad_u64_u32 v[18:19], s[10:11], v18, s26, v[20:21]
	v_add3_u32 v19, v23, v19, v22
	v_mad_u64_u32 v[20:21], s[10:11], v14, s26, v[20:21]
	v_mul_lo_u32 v22, v14, s27
	v_mul_lo_u32 v23, v15, s26
	v_add3_u32 v21, v23, v21, v22
	global_load_ubyte v22, v[18:19], off
	global_load_ubyte v23, v[20:21], off
	s_waitcnt vmcnt(0)
	v_cmp_eq_u16_e32 vcc, v22, v23
	s_and_saveexec_b64 s[10:11], vcc
	s_cbranch_execz .LBB214_203
; %bb.197:
	s_mov_b64 s[16:17], 1
	s_mov_b64 s[12:13], 0
                                        ; implicit-def: $sgpr14_sgpr15
	s_branch .LBB214_200
.LBB214_198:                            ;   in Loop: Header=BB214_200 Depth=1
	v_mov_b32_e32 v25, s17
	v_add_co_u32_e32 v22, vcc, s16, v18
	v_addc_co_u32_e32 v23, vcc, v19, v25, vcc
	v_add_co_u32_e32 v24, vcc, s16, v20
	v_addc_co_u32_e32 v25, vcc, v21, v25, vcc
	global_load_ubyte v26, v[22:23], off
	global_load_ubyte v27, v[24:25], off
	s_add_u32 s38, s16, 1
	s_addc_u32 s39, s17, 0
	s_andn2_b64 s[14:15], s[14:15], exec
	s_waitcnt vmcnt(0)
	v_cmp_ne_u16_e32 vcc, v26, v27
	s_and_b64 s[40:41], vcc, exec
	s_or_b64 s[14:15], s[14:15], s[40:41]
.LBB214_199:                            ;   in Loop: Header=BB214_200 Depth=1
	s_and_b64 s[40:41], exec, s[14:15]
	s_or_b64 s[12:13], s[40:41], s[12:13]
	v_pk_mov_b32 v[22:23], s[16:17], s[16:17] op_sel:[0,1]
	s_mov_b64 s[16:17], s[38:39]
	s_andn2_b64 exec, exec, s[12:13]
	s_cbranch_execz .LBB214_202
.LBB214_200:                            ; =>This Inner Loop Header: Depth=1
	s_or_b64 s[14:15], s[14:15], exec
	s_cmp_eq_u64 s[26:27], s[16:17]
	s_cbranch_scc0 .LBB214_198
; %bb.201:                              ;   in Loop: Header=BB214_200 Depth=1
                                        ; implicit-def: $sgpr38_sgpr39
	s_mov_b64 s[16:17], s[26:27]
	s_branch .LBB214_199
.LBB214_202:
	s_or_b64 exec, exec, s[12:13]
	v_cmp_gt_i64_e32 vcc, s[26:27], v[22:23]
	s_orn2_b64 s[12:13], vcc, exec
.LBB214_203:
	s_or_b64 exec, exec, s[10:11]
.LBB214_204:
	s_and_b64 s[12:13], s[12:13], exec
.LBB214_205:
	s_or_b64 exec, exec, s[2:3]
	s_and_b64 s[12:13], s[12:13], exec
	s_or_b64 s[8:9], s[8:9], exec
.LBB214_206:
	s_or_b64 exec, exec, s[4:5]
.LBB214_207:
	s_and_saveexec_b64 s[2:3], s[8:9]
	s_cbranch_execz .LBB214_209
; %bb.208:
	s_waitcnt vmcnt(0) lgkmcnt(0)
	v_and_b32_e32 v18, 0xffffff00, v28
	v_cndmask_b32_e64 v19, 0, 1, s[12:13]
	v_or_b32_e32 v18, v19, v18
	v_and_b32_e32 v18, 0xffff, v18
	s_mov_b32 s4, 0xffff0000
	v_and_or_b32 v28, v28, s4, v18
.LBB214_209:
	s_or_b64 exec, exec, s[2:3]
	s_andn2_b64 vcc, exec, s[6:7]
	s_cbranch_vccnz .LBB214_211
; %bb.210:
	v_cmp_gt_u32_e32 vcc, s48, v1
	s_waitcnt vmcnt(0) lgkmcnt(0)
	v_cndmask_b32_e32 v18, 0, v28, vcc
	v_or_b32_e32 v19, 1, v1
	v_and_b32_e32 v18, 0xff, v18
	v_cmp_gt_u32_e32 vcc, s48, v19
	v_cndmask_b32_e32 v18, v18, v28, vcc
	v_or_b32_e32 v19, 2, v1
	v_and_b32_e32 v18, 0xffff, v18
	v_cmp_gt_u32_e32 vcc, s48, v19
	;; [unrolled: 4-line block ×3, first 2 shown]
	v_cndmask_b32_e32 v28, v18, v28, vcc
.LBB214_211:
	v_bfe_u32 v30, v28, 16, 8
	v_lshrrev_b32_e32 v29, 24, v28
	s_waitcnt vmcnt(0) lgkmcnt(0)
	v_add_u32_sdwa v18, v28, v28 dst_sel:DWORD dst_unused:UNUSED_PAD src0_sel:BYTE_1 src1_sel:BYTE_0
	v_add3_u32 v33, v18, v30, v29
	v_mbcnt_lo_u32_b32 v18, -1, 0
	v_mbcnt_hi_u32_b32 v31, -1, v18
	v_and_b32_e32 v18, 15, v31
	v_cmp_eq_u32_e64 s[14:15], 0, v18
	v_cmp_lt_u32_e64 s[12:13], 1, v18
	v_cmp_lt_u32_e64 s[10:11], 3, v18
	;; [unrolled: 1-line block ×3, first 2 shown]
	v_and_b32_e32 v18, 16, v31
	v_cmp_eq_u32_e64 s[6:7], 0, v18
	v_or_b32_e32 v18, 63, v0
	v_cmp_lt_u32_e64 s[2:3], 31, v31
	v_lshrrev_b32_e32 v32, 6, v0
	v_cmp_eq_u32_e64 s[4:5], v18, v0
	s_and_b64 vcc, exec, s[36:37]
	s_barrier
	s_cbranch_vccz .LBB214_242
; %bb.212:
	v_mov_b32_dpp v18, v33 row_shr:1 row_mask:0xf bank_mask:0xf
	v_cndmask_b32_e64 v18, v18, 0, s[14:15]
	v_add_u32_e32 v18, v18, v33
	s_nop 1
	v_mov_b32_dpp v19, v18 row_shr:2 row_mask:0xf bank_mask:0xf
	v_cndmask_b32_e64 v19, 0, v19, s[12:13]
	v_add_u32_e32 v18, v18, v19
	s_nop 1
	;; [unrolled: 4-line block ×4, first 2 shown]
	v_mov_b32_dpp v19, v18 row_bcast:15 row_mask:0xf bank_mask:0xf
	v_cndmask_b32_e64 v19, v19, 0, s[6:7]
	v_add_u32_e32 v18, v18, v19
	s_nop 1
	v_mov_b32_dpp v19, v18 row_bcast:31 row_mask:0xf bank_mask:0xf
	v_cndmask_b32_e64 v19, 0, v19, s[2:3]
	v_add_u32_e32 v18, v18, v19
	s_and_saveexec_b64 s[16:17], s[4:5]
	s_cbranch_execz .LBB214_214
; %bb.213:
	v_lshlrev_b32_e32 v19, 2, v32
	ds_write_b32 v19, v18
.LBB214_214:
	s_or_b64 exec, exec, s[16:17]
	v_cmp_gt_u32_e32 vcc, 2, v0
	s_waitcnt lgkmcnt(0)
	s_barrier
	s_and_saveexec_b64 s[16:17], vcc
	s_cbranch_execz .LBB214_216
; %bb.215:
	ds_read_b32 v19, v1
	v_bfe_i32 v20, v31, 0, 1
	s_waitcnt lgkmcnt(0)
	v_mov_b32_dpp v21, v19 row_shr:1 row_mask:0xf bank_mask:0xf
	v_and_b32_e32 v20, v20, v21
	v_add_u32_e32 v19, v20, v19
	ds_write_b32 v1, v19
.LBB214_216:
	s_or_b64 exec, exec, s[16:17]
	v_cmp_gt_u32_e32 vcc, 64, v0
	v_cmp_lt_u32_e64 s[16:17], 63, v0
	s_waitcnt lgkmcnt(0)
	s_barrier
	s_waitcnt lgkmcnt(0)
                                        ; implicit-def: $vgpr34
	s_and_saveexec_b64 s[26:27], s[16:17]
	s_cbranch_execz .LBB214_218
; %bb.217:
	v_lshl_add_u32 v19, v32, 2, -4
	ds_read_b32 v34, v19
	s_waitcnt lgkmcnt(0)
	v_add_u32_e32 v18, v34, v18
.LBB214_218:
	s_or_b64 exec, exec, s[26:27]
	v_add_u32_e32 v19, -1, v31
	v_and_b32_e32 v20, 64, v31
	v_cmp_lt_i32_e64 s[16:17], v19, v20
	v_cndmask_b32_e64 v19, v19, v31, s[16:17]
	v_lshlrev_b32_e32 v19, 2, v19
	ds_bpermute_b32 v35, v19, v18
	v_cmp_eq_u32_e64 s[16:17], 0, v31
	s_and_saveexec_b64 s[26:27], vcc
	s_cbranch_execz .LBB214_241
; %bb.219:
	v_mov_b32_e32 v27, 0
	ds_read_b32 v18, v27 offset:4
	s_and_saveexec_b64 s[36:37], s[16:17]
	s_cbranch_execz .LBB214_221
; %bb.220:
	s_add_i32 s38, s33, 64
	s_mov_b32 s39, 0
	s_lshl_b64 s[38:39], s[38:39], 3
	s_add_u32 s38, s18, s38
	v_mov_b32_e32 v19, 1
	s_addc_u32 s39, s19, s39
	s_waitcnt lgkmcnt(0)
	global_store_dwordx2 v27, v[18:19], s[38:39]
.LBB214_221:
	s_or_b64 exec, exec, s[36:37]
	v_xad_u32 v20, v31, -1, s33
	v_add_u32_e32 v26, 64, v20
	v_lshlrev_b64 v[22:23], 3, v[26:27]
	v_mov_b32_e32 v19, s19
	v_add_co_u32_e32 v22, vcc, s18, v22
	v_addc_co_u32_e32 v23, vcc, v19, v23, vcc
	global_load_dwordx2 v[24:25], v[22:23], off glc
	s_waitcnt vmcnt(0)
	v_cmp_eq_u16_sdwa s[38:39], v25, v27 src0_sel:BYTE_0 src1_sel:DWORD
	s_and_saveexec_b64 s[36:37], s[38:39]
	s_cbranch_execz .LBB214_227
; %bb.222:
	s_mov_b32 s40, 1
	s_mov_b64 s[38:39], 0
	v_mov_b32_e32 v19, 0
.LBB214_223:                            ; =>This Loop Header: Depth=1
                                        ;     Child Loop BB214_224 Depth 2
	s_max_u32 s41, s40, 1
.LBB214_224:                            ;   Parent Loop BB214_223 Depth=1
                                        ; =>  This Inner Loop Header: Depth=2
	s_add_i32 s41, s41, -1
	s_cmp_eq_u32 s41, 0
	s_sleep 1
	s_cbranch_scc0 .LBB214_224
; %bb.225:                              ;   in Loop: Header=BB214_223 Depth=1
	global_load_dwordx2 v[24:25], v[22:23], off glc
	s_cmp_lt_u32 s40, 32
	s_cselect_b64 s[42:43], -1, 0
	s_cmp_lg_u64 s[42:43], 0
	s_addc_u32 s40, s40, 0
	s_waitcnt vmcnt(0)
	v_cmp_ne_u16_sdwa s[42:43], v25, v19 src0_sel:BYTE_0 src1_sel:DWORD
	s_or_b64 s[38:39], s[42:43], s[38:39]
	s_andn2_b64 exec, exec, s[38:39]
	s_cbranch_execnz .LBB214_223
; %bb.226:
	s_or_b64 exec, exec, s[38:39]
.LBB214_227:
	s_or_b64 exec, exec, s[36:37]
	v_and_b32_e32 v36, 63, v31
	v_mov_b32_e32 v19, 2
	v_cmp_ne_u32_e32 vcc, 63, v36
	v_cmp_eq_u16_sdwa s[36:37], v25, v19 src0_sel:BYTE_0 src1_sel:DWORD
	v_lshlrev_b64 v[22:23], v31, -1
	v_addc_co_u32_e32 v27, vcc, 0, v31, vcc
	v_and_b32_e32 v21, s37, v23
	v_lshlrev_b32_e32 v37, 2, v27
	v_or_b32_e32 v21, 0x80000000, v21
	ds_bpermute_b32 v27, v37, v24
	v_and_b32_e32 v26, s36, v22
	v_ffbl_b32_e32 v21, v21
	v_add_u32_e32 v21, 32, v21
	v_ffbl_b32_e32 v26, v26
	v_min_u32_e32 v21, v26, v21
	v_cmp_lt_u32_e32 vcc, v36, v21
	s_waitcnt lgkmcnt(0)
	v_cndmask_b32_e32 v26, 0, v27, vcc
	v_cmp_gt_u32_e32 vcc, 62, v36
	v_add_u32_e32 v24, v26, v24
	v_cndmask_b32_e64 v26, 0, 1, vcc
	v_lshlrev_b32_e32 v26, 1, v26
	v_add_lshl_u32 v38, v26, v31, 2
	ds_bpermute_b32 v26, v38, v24
	v_add_u32_e32 v39, 2, v36
	v_cmp_le_u32_e32 vcc, v39, v21
	v_add_u32_e32 v41, 4, v36
	v_add_u32_e32 v43, 8, v36
	s_waitcnt lgkmcnt(0)
	v_cndmask_b32_e32 v26, 0, v26, vcc
	v_cmp_gt_u32_e32 vcc, 60, v36
	v_add_u32_e32 v24, v24, v26
	v_cndmask_b32_e64 v26, 0, 1, vcc
	v_lshlrev_b32_e32 v26, 2, v26
	v_add_lshl_u32 v40, v26, v31, 2
	ds_bpermute_b32 v26, v40, v24
	v_cmp_le_u32_e32 vcc, v41, v21
	v_add_u32_e32 v46, 16, v36
	v_add_u32_e32 v48, 32, v36
	s_waitcnt lgkmcnt(0)
	v_cndmask_b32_e32 v26, 0, v26, vcc
	v_cmp_gt_u32_e32 vcc, 56, v36
	v_add_u32_e32 v24, v24, v26
	v_cndmask_b32_e64 v26, 0, 1, vcc
	v_lshlrev_b32_e32 v26, 3, v26
	v_add_lshl_u32 v42, v26, v31, 2
	ds_bpermute_b32 v26, v42, v24
	v_cmp_le_u32_e32 vcc, v43, v21
	s_waitcnt lgkmcnt(0)
	v_cndmask_b32_e32 v26, 0, v26, vcc
	v_cmp_gt_u32_e32 vcc, 48, v36
	v_add_u32_e32 v24, v24, v26
	v_cndmask_b32_e64 v26, 0, 1, vcc
	v_lshlrev_b32_e32 v26, 4, v26
	v_add_lshl_u32 v45, v26, v31, 2
	ds_bpermute_b32 v26, v45, v24
	v_cmp_le_u32_e32 vcc, v46, v21
	;; [unrolled: 9-line block ×3, first 2 shown]
	s_waitcnt lgkmcnt(0)
	v_cndmask_b32_e32 v21, 0, v26, vcc
	v_add_u32_e32 v24, v24, v21
	v_mov_b32_e32 v21, 0
	s_branch .LBB214_229
.LBB214_228:                            ;   in Loop: Header=BB214_229 Depth=1
	s_or_b64 exec, exec, s[36:37]
	v_cmp_eq_u16_sdwa s[36:37], v25, v19 src0_sel:BYTE_0 src1_sel:DWORD
	v_and_b32_e32 v26, s37, v23
	v_or_b32_e32 v26, 0x80000000, v26
	ds_bpermute_b32 v49, v37, v24
	v_and_b32_e32 v27, s36, v22
	v_ffbl_b32_e32 v26, v26
	v_add_u32_e32 v26, 32, v26
	v_ffbl_b32_e32 v27, v27
	v_min_u32_e32 v26, v27, v26
	v_cmp_lt_u32_e32 vcc, v36, v26
	s_waitcnt lgkmcnt(0)
	v_cndmask_b32_e32 v27, 0, v49, vcc
	v_add_u32_e32 v24, v27, v24
	ds_bpermute_b32 v27, v38, v24
	v_cmp_le_u32_e32 vcc, v39, v26
	v_subrev_u32_e32 v20, 64, v20
	s_waitcnt lgkmcnt(0)
	v_cndmask_b32_e32 v27, 0, v27, vcc
	v_add_u32_e32 v24, v24, v27
	ds_bpermute_b32 v27, v40, v24
	v_cmp_le_u32_e32 vcc, v41, v26
	s_waitcnt lgkmcnt(0)
	v_cndmask_b32_e32 v27, 0, v27, vcc
	v_add_u32_e32 v24, v24, v27
	ds_bpermute_b32 v27, v42, v24
	v_cmp_le_u32_e32 vcc, v43, v26
	;; [unrolled: 5-line block ×4, first 2 shown]
	s_waitcnt lgkmcnt(0)
	v_cndmask_b32_e32 v26, 0, v27, vcc
	v_add3_u32 v24, v26, v44, v24
.LBB214_229:                            ; =>This Loop Header: Depth=1
                                        ;     Child Loop BB214_232 Depth 2
                                        ;       Child Loop BB214_233 Depth 3
	v_cmp_ne_u16_sdwa s[36:37], v25, v19 src0_sel:BYTE_0 src1_sel:DWORD
	v_cndmask_b32_e64 v25, 0, 1, s[36:37]
	;;#ASMSTART
	;;#ASMEND
	v_cmp_ne_u32_e32 vcc, 0, v25
	s_cmp_lg_u64 vcc, exec
	v_mov_b32_e32 v44, v24
	s_cbranch_scc1 .LBB214_236
; %bb.230:                              ;   in Loop: Header=BB214_229 Depth=1
	v_lshlrev_b64 v[24:25], 3, v[20:21]
	v_mov_b32_e32 v27, s19
	v_add_co_u32_e32 v26, vcc, s18, v24
	v_addc_co_u32_e32 v27, vcc, v27, v25, vcc
	global_load_dwordx2 v[24:25], v[26:27], off glc
	s_waitcnt vmcnt(0)
	v_cmp_eq_u16_sdwa s[38:39], v25, v21 src0_sel:BYTE_0 src1_sel:DWORD
	s_and_saveexec_b64 s[36:37], s[38:39]
	s_cbranch_execz .LBB214_228
; %bb.231:                              ;   in Loop: Header=BB214_229 Depth=1
	s_mov_b32 s40, 1
	s_mov_b64 s[38:39], 0
.LBB214_232:                            ;   Parent Loop BB214_229 Depth=1
                                        ; =>  This Loop Header: Depth=2
                                        ;       Child Loop BB214_233 Depth 3
	s_max_u32 s41, s40, 1
.LBB214_233:                            ;   Parent Loop BB214_229 Depth=1
                                        ;     Parent Loop BB214_232 Depth=2
                                        ; =>    This Inner Loop Header: Depth=3
	s_add_i32 s41, s41, -1
	s_cmp_eq_u32 s41, 0
	s_sleep 1
	s_cbranch_scc0 .LBB214_233
; %bb.234:                              ;   in Loop: Header=BB214_232 Depth=2
	global_load_dwordx2 v[24:25], v[26:27], off glc
	s_cmp_lt_u32 s40, 32
	s_cselect_b64 s[42:43], -1, 0
	s_cmp_lg_u64 s[42:43], 0
	s_addc_u32 s40, s40, 0
	s_waitcnt vmcnt(0)
	v_cmp_ne_u16_sdwa s[42:43], v25, v21 src0_sel:BYTE_0 src1_sel:DWORD
	s_or_b64 s[38:39], s[42:43], s[38:39]
	s_andn2_b64 exec, exec, s[38:39]
	s_cbranch_execnz .LBB214_232
; %bb.235:                              ;   in Loop: Header=BB214_229 Depth=1
	s_or_b64 exec, exec, s[38:39]
	s_branch .LBB214_228
.LBB214_236:                            ;   in Loop: Header=BB214_229 Depth=1
                                        ; implicit-def: $vgpr24
                                        ; implicit-def: $vgpr25
	s_cbranch_execz .LBB214_229
; %bb.237:
	s_and_saveexec_b64 s[36:37], s[16:17]
	s_cbranch_execz .LBB214_239
; %bb.238:
	s_add_i32 s38, s33, 64
	s_mov_b32 s39, 0
	s_lshl_b64 s[38:39], s[38:39], 3
	s_add_u32 s38, s18, s38
	v_add_u32_e32 v20, v44, v18
	v_mov_b32_e32 v21, 2
	s_addc_u32 s39, s19, s39
	v_mov_b32_e32 v19, 0
	s_movk_i32 s33, 0x1000
	global_store_dwordx2 v19, v[20:21], s[38:39]
	v_add_u32_e64 v19, s33, 0
	ds_write2_b32 v19, v18, v44 offset0:32 offset1:34
.LBB214_239:
	s_or_b64 exec, exec, s[36:37]
	s_and_b64 exec, exec, s[0:1]
	s_cbranch_execz .LBB214_241
; %bb.240:
	v_mov_b32_e32 v18, 0
	ds_write_b32 v18, v44 offset:4
.LBB214_241:
	s_or_b64 exec, exec, s[26:27]
	v_mov_b32_e32 v19, 0
	s_waitcnt lgkmcnt(0)
	s_barrier
	ds_read_b32 v19, v19 offset:4
	v_cndmask_b32_e64 v18, v35, v34, s[16:17]
	s_movk_i32 s16, 0x1000
	v_add_u32_e64 v20, s16, 0
	s_waitcnt lgkmcnt(0)
	s_barrier
	ds_read2_b32 v[26:27], v20 offset0:32 offset1:34
	v_cndmask_b32_e64 v18, v18, 0, s[0:1]
	v_add_u32_e32 v24, v19, v18
	v_add_u32_sdwa v22, v24, v28 dst_sel:DWORD dst_unused:UNUSED_PAD src0_sel:DWORD src1_sel:BYTE_0
	v_add_u32_sdwa v20, v22, v28 dst_sel:DWORD dst_unused:UNUSED_PAD src0_sel:DWORD src1_sel:BYTE_1
	v_add_u32_e32 v18, v20, v30
	s_waitcnt lgkmcnt(0)
	v_readfirstlane_b32 s33, v26
	v_readfirstlane_b32 s16, v27
	s_branch .LBB214_252
.LBB214_242:
                                        ; implicit-def: $vgpr18
                                        ; implicit-def: $vgpr20
                                        ; implicit-def: $vgpr22
                                        ; implicit-def: $vgpr24
                                        ; implicit-def: $sgpr16
                                        ; implicit-def: $sgpr33
	s_cbranch_execz .LBB214_252
; %bb.243:
	s_nop 0
	v_mov_b32_dpp v18, v33 row_shr:1 row_mask:0xf bank_mask:0xf
	v_cndmask_b32_e64 v18, v18, 0, s[14:15]
	v_add_u32_e32 v18, v18, v33
	s_nop 1
	v_mov_b32_dpp v19, v18 row_shr:2 row_mask:0xf bank_mask:0xf
	v_cndmask_b32_e64 v19, 0, v19, s[12:13]
	v_add_u32_e32 v18, v18, v19
	;; [unrolled: 4-line block ×4, first 2 shown]
	s_nop 1
	v_mov_b32_dpp v19, v18 row_bcast:15 row_mask:0xf bank_mask:0xf
	v_cndmask_b32_e64 v19, v19, 0, s[6:7]
	v_add_u32_e32 v18, v18, v19
	s_nop 1
	v_mov_b32_dpp v19, v18 row_bcast:31 row_mask:0xf bank_mask:0xf
	v_cndmask_b32_e64 v19, 0, v19, s[2:3]
	v_add_u32_e32 v18, v18, v19
	s_and_saveexec_b64 s[2:3], s[4:5]
	s_cbranch_execz .LBB214_245
; %bb.244:
	v_lshlrev_b32_e32 v19, 2, v32
	ds_write_b32 v19, v18
.LBB214_245:
	s_or_b64 exec, exec, s[2:3]
	v_cmp_gt_u32_e32 vcc, 2, v0
	s_waitcnt lgkmcnt(0)
	s_barrier
	s_and_saveexec_b64 s[2:3], vcc
	s_cbranch_execz .LBB214_247
; %bb.246:
	ds_read_b32 v19, v1
	v_bfe_i32 v20, v31, 0, 1
	s_waitcnt lgkmcnt(0)
	v_mov_b32_dpp v21, v19 row_shr:1 row_mask:0xf bank_mask:0xf
	v_and_b32_e32 v20, v20, v21
	v_add_u32_e32 v19, v20, v19
	ds_write_b32 v1, v19
.LBB214_247:
	s_or_b64 exec, exec, s[2:3]
	v_cmp_lt_u32_e32 vcc, 63, v0
	v_mov_b32_e32 v19, 0
	v_mov_b32_e32 v1, 0
	s_waitcnt lgkmcnt(0)
	s_barrier
	s_and_saveexec_b64 s[2:3], vcc
	s_cbranch_execz .LBB214_249
; %bb.248:
	v_lshl_add_u32 v1, v32, 2, -4
	ds_read_b32 v1, v1
.LBB214_249:
	s_or_b64 exec, exec, s[2:3]
	v_add_u32_e32 v20, -1, v31
	v_and_b32_e32 v21, 64, v31
	v_cmp_lt_i32_e32 vcc, v20, v21
	v_cndmask_b32_e32 v20, v20, v31, vcc
	s_waitcnt lgkmcnt(0)
	v_add_u32_e32 v18, v1, v18
	v_lshlrev_b32_e32 v20, 2, v20
	ds_read_b32 v19, v19 offset:4
	ds_bpermute_b32 v18, v20, v18
	s_waitcnt lgkmcnt(1)
	v_readfirstlane_b32 s33, v19
	s_and_saveexec_b64 s[2:3], s[0:1]
	s_cbranch_execz .LBB214_251
; %bb.250:
	v_mov_b32_e32 v19, 0
	v_mov_b32_e32 v20, s33
	;; [unrolled: 1-line block ×3, first 2 shown]
	global_store_dwordx2 v19, v[20:21], s[18:19] offset:512
.LBB214_251:
	s_or_b64 exec, exec, s[2:3]
	v_cmp_eq_u32_e32 vcc, 0, v31
	s_waitcnt lgkmcnt(0)
	v_cndmask_b32_e32 v1, v18, v1, vcc
	v_cndmask_b32_e64 v24, v1, 0, s[0:1]
	v_add_u32_sdwa v22, v24, v28 dst_sel:DWORD dst_unused:UNUSED_PAD src0_sel:DWORD src1_sel:BYTE_0
	v_add_u32_sdwa v20, v22, v28 dst_sel:DWORD dst_unused:UNUSED_PAD src0_sel:DWORD src1_sel:BYTE_1
	s_mov_b32 s16, 0
	v_add_u32_e32 v18, v20, v30
	s_barrier
.LBB214_252:
	s_cmpk_lt_u32 s33, 0x81
	s_cselect_b64 s[4:5], -1, 0
	v_lshrrev_b32_e32 v1, 8, v28
	s_mov_b64 s[2:3], -1
	s_and_b64 vcc, exec, s[4:5]
	s_cbranch_vccz .LBB214_266
; %bb.253:
	s_add_i32 s6, s16, s33
	v_cmp_gt_u32_e32 vcc, s6, v24
	s_or_b64 s[8:9], s[34:35], vcc
	s_and_saveexec_b64 s[2:3], s[8:9]
	s_cbranch_execz .LBB214_256
; %bb.254:
	v_and_b32_e32 v19, 1, v28
	v_cmp_eq_u32_e32 vcc, 1, v19
	s_and_b64 exec, exec, vcc
	s_cbranch_execz .LBB214_256
; %bb.255:
	s_lshl_b64 s[8:9], s[22:23], 3
	s_add_u32 s7, s28, s8
	v_mov_b32_e32 v25, 0
	s_addc_u32 s8, s29, s9
	v_lshlrev_b64 v[26:27], 3, v[24:25]
	v_mov_b32_e32 v19, s8
	v_add_co_u32_e32 v26, vcc, s7, v26
	v_addc_co_u32_e32 v27, vcc, v19, v27, vcc
	global_store_dwordx2 v[26:27], v[14:15], off
.LBB214_256:
	s_or_b64 exec, exec, s[2:3]
	v_cmp_gt_u32_e32 vcc, s6, v22
	s_or_b64 s[8:9], s[34:35], vcc
	s_and_saveexec_b64 s[2:3], s[8:9]
	s_cbranch_execz .LBB214_259
; %bb.257:
	v_and_b32_e32 v19, 1, v1
	v_cmp_eq_u32_e32 vcc, 1, v19
	s_and_b64 exec, exec, vcc
	s_cbranch_execz .LBB214_259
; %bb.258:
	s_lshl_b64 s[8:9], s[22:23], 3
	s_add_u32 s7, s28, s8
	v_mov_b32_e32 v23, 0
	s_addc_u32 s8, s29, s9
	v_lshlrev_b64 v[26:27], 3, v[22:23]
	v_mov_b32_e32 v19, s8
	v_add_co_u32_e32 v26, vcc, s7, v26
	v_addc_co_u32_e32 v27, vcc, v19, v27, vcc
	global_store_dwordx2 v[26:27], v[16:17], off
.LBB214_259:
	s_or_b64 exec, exec, s[2:3]
	v_cmp_gt_u32_e32 vcc, s6, v20
	s_or_b64 s[8:9], s[34:35], vcc
	s_and_saveexec_b64 s[2:3], s[8:9]
	s_cbranch_execz .LBB214_262
; %bb.260:
	v_mov_b32_e32 v19, 1
	v_and_b32_sdwa v19, v19, v28 dst_sel:DWORD dst_unused:UNUSED_PAD src0_sel:DWORD src1_sel:WORD_1
	v_cmp_eq_u32_e32 vcc, 1, v19
	s_and_b64 exec, exec, vcc
	s_cbranch_execz .LBB214_262
; %bb.261:
	s_lshl_b64 s[8:9], s[22:23], 3
	s_add_u32 s7, s28, s8
	v_mov_b32_e32 v21, 0
	s_addc_u32 s8, s29, s9
	v_lshlrev_b64 v[26:27], 3, v[20:21]
	v_mov_b32_e32 v19, s8
	v_add_co_u32_e32 v26, vcc, s7, v26
	v_addc_co_u32_e32 v27, vcc, v19, v27, vcc
	global_store_dwordx2 v[26:27], v[10:11], off
.LBB214_262:
	s_or_b64 exec, exec, s[2:3]
	v_cmp_gt_u32_e32 vcc, s6, v18
	s_or_b64 s[6:7], s[34:35], vcc
	s_and_saveexec_b64 s[2:3], s[6:7]
	s_cbranch_execz .LBB214_265
; %bb.263:
	v_and_b32_e32 v19, 1, v29
	v_cmp_eq_u32_e32 vcc, 1, v19
	s_and_b64 exec, exec, vcc
	s_cbranch_execz .LBB214_265
; %bb.264:
	s_lshl_b64 s[6:7], s[22:23], 3
	s_add_u32 s6, s28, s6
	v_mov_b32_e32 v19, 0
	s_addc_u32 s7, s29, s7
	v_lshlrev_b64 v[26:27], 3, v[18:19]
	v_mov_b32_e32 v19, s7
	v_add_co_u32_e32 v26, vcc, s6, v26
	v_addc_co_u32_e32 v27, vcc, v19, v27, vcc
	global_store_dwordx2 v[26:27], v[12:13], off
.LBB214_265:
	s_or_b64 exec, exec, s[2:3]
	s_mov_b64 s[2:3], 0
.LBB214_266:
	v_and_b32_e32 v26, 1, v28
	s_and_b64 vcc, exec, s[2:3]
	v_cmp_eq_u32_e64 s[2:3], 1, v26
	s_cbranch_vccz .LBB214_279
; %bb.267:
	s_and_saveexec_b64 s[6:7], s[2:3]
	s_cbranch_execz .LBB214_269
; %bb.268:
	v_subrev_u32_e32 v19, s16, v24
	v_lshlrev_b32_e32 v19, 3, v19
	ds_write_b64 v19, v[14:15]
.LBB214_269:
	s_or_b64 exec, exec, s[6:7]
	v_and_b32_e32 v14, 1, v1
	v_cmp_eq_u32_e32 vcc, 1, v14
	s_and_saveexec_b64 s[2:3], vcc
	s_cbranch_execz .LBB214_271
; %bb.270:
	v_subrev_u32_e32 v14, s16, v22
	v_lshlrev_b32_e32 v14, 3, v14
	ds_write_b64 v14, v[16:17]
.LBB214_271:
	s_or_b64 exec, exec, s[2:3]
	v_mov_b32_e32 v14, 1
	v_and_b32_sdwa v14, v14, v28 dst_sel:DWORD dst_unused:UNUSED_PAD src0_sel:DWORD src1_sel:WORD_1
	v_cmp_eq_u32_e32 vcc, 1, v14
	s_and_saveexec_b64 s[2:3], vcc
	s_cbranch_execz .LBB214_273
; %bb.272:
	v_subrev_u32_e32 v14, s16, v20
	v_lshlrev_b32_e32 v14, 3, v14
	ds_write_b64 v14, v[10:11]
.LBB214_273:
	s_or_b64 exec, exec, s[2:3]
	v_and_b32_e32 v10, 1, v29
	v_cmp_eq_u32_e32 vcc, 1, v10
	s_and_saveexec_b64 s[2:3], vcc
	s_cbranch_execz .LBB214_275
; %bb.274:
	v_subrev_u32_e32 v10, s16, v18
	v_lshlrev_b32_e32 v10, 3, v10
	ds_write_b64 v10, v[12:13]
.LBB214_275:
	s_or_b64 exec, exec, s[2:3]
	v_cmp_gt_u32_e32 vcc, s33, v0
	s_waitcnt lgkmcnt(0)
	s_barrier
	s_and_saveexec_b64 s[2:3], vcc
	s_cbranch_execz .LBB214_278
; %bb.276:
	s_mov_b32 s17, 0
	s_lshl_b64 s[6:7], s[16:17], 3
	s_add_u32 s8, s28, s6
	s_addc_u32 s9, s29, s7
	s_lshl_b64 s[6:7], s[22:23], 3
	s_add_u32 s8, s8, s6
	s_addc_u32 s9, s9, s7
	v_lshlrev_b32_e32 v12, 3, v0
	s_mov_b64 s[6:7], 0
	v_mov_b32_e32 v11, 0
	v_mov_b32_e32 v13, s9
	v_mov_b32_e32 v10, v0
.LBB214_277:                            ; =>This Inner Loop Header: Depth=1
	ds_read_b64 v[14:15], v12
	v_lshlrev_b64 v[16:17], 3, v[10:11]
	v_add_co_u32_e32 v16, vcc, s8, v16
	v_add_u32_e32 v10, 0x80, v10
	v_addc_co_u32_e32 v17, vcc, v13, v17, vcc
	v_cmp_le_u32_e32 vcc, s33, v10
	v_add_u32_e32 v12, 0x400, v12
	s_or_b64 s[6:7], vcc, s[6:7]
	s_waitcnt lgkmcnt(0)
	global_store_dwordx2 v[16:17], v[14:15], off
	s_andn2_b64 exec, exec, s[6:7]
	s_cbranch_execnz .LBB214_277
.LBB214_278:
	s_or_b64 exec, exec, s[2:3]
.LBB214_279:
	s_mov_b64 s[2:3], -1
	s_and_b64 vcc, exec, s[4:5]
	s_barrier
	s_cbranch_vccnz .LBB214_283
; %bb.280:
	s_and_b64 vcc, exec, s[2:3]
	s_cbranch_vccnz .LBB214_296
.LBB214_281:
	s_and_b64 s[0:1], s[0:1], s[24:25]
	s_and_saveexec_b64 s[2:3], s[0:1]
	s_cbranch_execnz .LBB214_308
.LBB214_282:
	s_endpgm
.LBB214_283:
	s_add_i32 s4, s16, s33
	v_cmp_gt_u32_e32 vcc, s4, v24
	s_or_b64 s[6:7], s[34:35], vcc
	s_and_saveexec_b64 s[2:3], s[6:7]
	s_cbranch_execz .LBB214_286
; %bb.284:
	v_cmp_eq_u32_e32 vcc, 1, v26
	s_and_b64 exec, exec, vcc
	s_cbranch_execz .LBB214_286
; %bb.285:
	s_lshl_b64 s[6:7], s[22:23], 3
	s_add_u32 s5, s30, s6
	v_mov_b32_e32 v25, 0
	s_addc_u32 s6, s31, s7
	v_lshlrev_b64 v[10:11], 3, v[24:25]
	v_mov_b32_e32 v12, s6
	v_add_co_u32_e32 v10, vcc, s5, v10
	v_addc_co_u32_e32 v11, vcc, v12, v11, vcc
	global_store_dwordx2 v[10:11], v[6:7], off
.LBB214_286:
	s_or_b64 exec, exec, s[2:3]
	v_cmp_gt_u32_e32 vcc, s4, v22
	s_or_b64 s[6:7], s[34:35], vcc
	s_and_saveexec_b64 s[2:3], s[6:7]
	s_cbranch_execz .LBB214_289
; %bb.287:
	v_and_b32_e32 v10, 1, v1
	v_cmp_eq_u32_e32 vcc, 1, v10
	s_and_b64 exec, exec, vcc
	s_cbranch_execz .LBB214_289
; %bb.288:
	s_lshl_b64 s[6:7], s[22:23], 3
	s_add_u32 s5, s30, s6
	v_mov_b32_e32 v23, 0
	s_addc_u32 s6, s31, s7
	v_lshlrev_b64 v[10:11], 3, v[22:23]
	v_mov_b32_e32 v12, s6
	v_add_co_u32_e32 v10, vcc, s5, v10
	v_addc_co_u32_e32 v11, vcc, v12, v11, vcc
	global_store_dwordx2 v[10:11], v[8:9], off
.LBB214_289:
	s_or_b64 exec, exec, s[2:3]
	v_cmp_gt_u32_e32 vcc, s4, v20
	s_or_b64 s[6:7], s[34:35], vcc
	s_and_saveexec_b64 s[2:3], s[6:7]
	s_cbranch_execz .LBB214_292
; %bb.290:
	v_mov_b32_e32 v10, 1
	v_and_b32_sdwa v10, v10, v28 dst_sel:DWORD dst_unused:UNUSED_PAD src0_sel:DWORD src1_sel:WORD_1
	v_cmp_eq_u32_e32 vcc, 1, v10
	s_and_b64 exec, exec, vcc
	s_cbranch_execz .LBB214_292
; %bb.291:
	s_lshl_b64 s[6:7], s[22:23], 3
	s_add_u32 s5, s30, s6
	v_mov_b32_e32 v21, 0
	s_addc_u32 s6, s31, s7
	v_lshlrev_b64 v[10:11], 3, v[20:21]
	v_mov_b32_e32 v12, s6
	v_add_co_u32_e32 v10, vcc, s5, v10
	v_addc_co_u32_e32 v11, vcc, v12, v11, vcc
	global_store_dwordx2 v[10:11], v[2:3], off
.LBB214_292:
	s_or_b64 exec, exec, s[2:3]
	v_cmp_gt_u32_e32 vcc, s4, v18
	s_or_b64 s[4:5], s[34:35], vcc
	s_and_saveexec_b64 s[2:3], s[4:5]
	s_cbranch_execz .LBB214_295
; %bb.293:
	v_and_b32_e32 v10, 1, v29
	v_cmp_eq_u32_e32 vcc, 1, v10
	s_and_b64 exec, exec, vcc
	s_cbranch_execz .LBB214_295
; %bb.294:
	s_lshl_b64 s[4:5], s[22:23], 3
	s_add_u32 s4, s30, s4
	v_mov_b32_e32 v19, 0
	s_addc_u32 s5, s31, s5
	v_lshlrev_b64 v[10:11], 3, v[18:19]
	v_mov_b32_e32 v12, s5
	v_add_co_u32_e32 v10, vcc, s4, v10
	v_addc_co_u32_e32 v11, vcc, v12, v11, vcc
	global_store_dwordx2 v[10:11], v[4:5], off
.LBB214_295:
	s_or_b64 exec, exec, s[2:3]
	s_branch .LBB214_281
.LBB214_296:
	v_cmp_eq_u32_e32 vcc, 1, v26
	s_and_saveexec_b64 s[2:3], vcc
	s_cbranch_execz .LBB214_298
; %bb.297:
	v_subrev_u32_e32 v10, s16, v24
	v_lshlrev_b32_e32 v10, 3, v10
	ds_write_b64 v10, v[6:7]
.LBB214_298:
	s_or_b64 exec, exec, s[2:3]
	v_and_b32_e32 v1, 1, v1
	v_cmp_eq_u32_e32 vcc, 1, v1
	s_and_saveexec_b64 s[2:3], vcc
	s_cbranch_execz .LBB214_300
; %bb.299:
	v_subrev_u32_e32 v1, s16, v22
	v_lshlrev_b32_e32 v1, 3, v1
	ds_write_b64 v1, v[8:9]
.LBB214_300:
	s_or_b64 exec, exec, s[2:3]
	v_mov_b32_e32 v1, 1
	v_and_b32_sdwa v1, v1, v28 dst_sel:DWORD dst_unused:UNUSED_PAD src0_sel:DWORD src1_sel:WORD_1
	v_cmp_eq_u32_e32 vcc, 1, v1
	s_and_saveexec_b64 s[2:3], vcc
	s_cbranch_execz .LBB214_302
; %bb.301:
	v_subrev_u32_e32 v1, s16, v20
	v_lshlrev_b32_e32 v1, 3, v1
	ds_write_b64 v1, v[2:3]
.LBB214_302:
	s_or_b64 exec, exec, s[2:3]
	v_and_b32_e32 v1, 1, v29
	v_cmp_eq_u32_e32 vcc, 1, v1
	s_and_saveexec_b64 s[2:3], vcc
	s_cbranch_execz .LBB214_304
; %bb.303:
	v_subrev_u32_e32 v1, s16, v18
	v_lshlrev_b32_e32 v1, 3, v1
	ds_write_b64 v1, v[4:5]
.LBB214_304:
	s_or_b64 exec, exec, s[2:3]
	v_cmp_gt_u32_e32 vcc, s33, v0
	s_waitcnt lgkmcnt(0)
	s_barrier
	s_and_saveexec_b64 s[2:3], vcc
	s_cbranch_execz .LBB214_307
; %bb.305:
	s_mov_b32 s17, 0
	s_lshl_b64 s[4:5], s[16:17], 3
	s_add_u32 s6, s30, s4
	s_addc_u32 s7, s31, s5
	s_lshl_b64 s[4:5], s[22:23], 3
	s_add_u32 s6, s6, s4
	s_addc_u32 s7, s7, s5
	v_lshlrev_b32_e32 v2, 3, v0
	s_mov_b64 s[4:5], 0
	v_mov_b32_e32 v1, 0
	v_mov_b32_e32 v3, s7
.LBB214_306:                            ; =>This Inner Loop Header: Depth=1
	ds_read_b64 v[4:5], v2
	v_lshlrev_b64 v[6:7], 3, v[0:1]
	v_add_co_u32_e32 v6, vcc, s6, v6
	v_add_u32_e32 v0, 0x80, v0
	v_addc_co_u32_e32 v7, vcc, v3, v7, vcc
	v_cmp_le_u32_e32 vcc, s33, v0
	v_add_u32_e32 v2, 0x400, v2
	s_or_b64 s[4:5], vcc, s[4:5]
	s_waitcnt lgkmcnt(0)
	global_store_dwordx2 v[6:7], v[4:5], off
	s_andn2_b64 exec, exec, s[4:5]
	s_cbranch_execnz .LBB214_306
.LBB214_307:
	s_or_b64 exec, exec, s[2:3]
	s_and_b64 s[0:1], s[0:1], s[24:25]
	s_and_saveexec_b64 s[2:3], s[0:1]
	s_cbranch_execz .LBB214_282
.LBB214_308:
	s_add_u32 s0, s22, s33
	s_addc_u32 s1, s23, 0
	s_add_u32 s0, s0, s16
	s_addc_u32 s1, s1, 0
	v_mov_b32_e32 v2, 0
	v_pk_mov_b32 v[0:1], s[0:1], s[0:1] op_sel:[0,1]
	global_store_dwordx2 v2, v[0:1], s[20:21]
	s_endpgm
	.section	.rodata,"a",@progbits
	.p2align	6, 0x0
	.amdhsa_kernel _ZN7rocprim17ROCPRIM_400000_NS6detail17trampoline_kernelINS0_14default_configENS1_25partition_config_selectorILNS1_17partition_subalgoE9EllbEEZZNS1_14partition_implILS5_9ELb0ES3_jPlS8_PNS0_10empty_typeENS0_5tupleIJS8_S9_EEENSB_IJS8_SA_EEENS0_18inequality_wrapperIZN2at6native12_GLOBAL__N_124unique_dim_cuda_templateIhEESt5tupleIJNSF_6TensorESK_SK_EERKSK_lbbbEUlllE0_EEPmJS9_EEE10hipError_tPvRmT3_T4_T5_T6_T7_T9_mT8_P12ihipStream_tbDpT10_ENKUlT_T0_E_clISt17integral_constantIbLb1EES1A_EEDaS15_S16_EUlS15_E_NS1_11comp_targetILNS1_3genE4ELNS1_11target_archE910ELNS1_3gpuE8ELNS1_3repE0EEENS1_30default_config_static_selectorELNS0_4arch9wavefront6targetE1EEEvT1_
		.amdhsa_group_segment_fixed_size 4236
		.amdhsa_private_segment_fixed_size 0
		.amdhsa_kernarg_size 136
		.amdhsa_user_sgpr_count 6
		.amdhsa_user_sgpr_private_segment_buffer 1
		.amdhsa_user_sgpr_dispatch_ptr 0
		.amdhsa_user_sgpr_queue_ptr 0
		.amdhsa_user_sgpr_kernarg_segment_ptr 1
		.amdhsa_user_sgpr_dispatch_id 0
		.amdhsa_user_sgpr_flat_scratch_init 0
		.amdhsa_user_sgpr_kernarg_preload_length 0
		.amdhsa_user_sgpr_kernarg_preload_offset 0
		.amdhsa_user_sgpr_private_segment_size 0
		.amdhsa_uses_dynamic_stack 0
		.amdhsa_system_sgpr_private_segment_wavefront_offset 0
		.amdhsa_system_sgpr_workgroup_id_x 1
		.amdhsa_system_sgpr_workgroup_id_y 0
		.amdhsa_system_sgpr_workgroup_id_z 0
		.amdhsa_system_sgpr_workgroup_info 0
		.amdhsa_system_vgpr_workitem_id 0
		.amdhsa_next_free_vgpr 50
		.amdhsa_next_free_sgpr 52
		.amdhsa_accum_offset 52
		.amdhsa_reserve_vcc 1
		.amdhsa_reserve_flat_scratch 0
		.amdhsa_float_round_mode_32 0
		.amdhsa_float_round_mode_16_64 0
		.amdhsa_float_denorm_mode_32 3
		.amdhsa_float_denorm_mode_16_64 3
		.amdhsa_dx10_clamp 1
		.amdhsa_ieee_mode 1
		.amdhsa_fp16_overflow 0
		.amdhsa_tg_split 0
		.amdhsa_exception_fp_ieee_invalid_op 0
		.amdhsa_exception_fp_denorm_src 0
		.amdhsa_exception_fp_ieee_div_zero 0
		.amdhsa_exception_fp_ieee_overflow 0
		.amdhsa_exception_fp_ieee_underflow 0
		.amdhsa_exception_fp_ieee_inexact 0
		.amdhsa_exception_int_div_zero 0
	.end_amdhsa_kernel
	.section	.text._ZN7rocprim17ROCPRIM_400000_NS6detail17trampoline_kernelINS0_14default_configENS1_25partition_config_selectorILNS1_17partition_subalgoE9EllbEEZZNS1_14partition_implILS5_9ELb0ES3_jPlS8_PNS0_10empty_typeENS0_5tupleIJS8_S9_EEENSB_IJS8_SA_EEENS0_18inequality_wrapperIZN2at6native12_GLOBAL__N_124unique_dim_cuda_templateIhEESt5tupleIJNSF_6TensorESK_SK_EERKSK_lbbbEUlllE0_EEPmJS9_EEE10hipError_tPvRmT3_T4_T5_T6_T7_T9_mT8_P12ihipStream_tbDpT10_ENKUlT_T0_E_clISt17integral_constantIbLb1EES1A_EEDaS15_S16_EUlS15_E_NS1_11comp_targetILNS1_3genE4ELNS1_11target_archE910ELNS1_3gpuE8ELNS1_3repE0EEENS1_30default_config_static_selectorELNS0_4arch9wavefront6targetE1EEEvT1_,"axG",@progbits,_ZN7rocprim17ROCPRIM_400000_NS6detail17trampoline_kernelINS0_14default_configENS1_25partition_config_selectorILNS1_17partition_subalgoE9EllbEEZZNS1_14partition_implILS5_9ELb0ES3_jPlS8_PNS0_10empty_typeENS0_5tupleIJS8_S9_EEENSB_IJS8_SA_EEENS0_18inequality_wrapperIZN2at6native12_GLOBAL__N_124unique_dim_cuda_templateIhEESt5tupleIJNSF_6TensorESK_SK_EERKSK_lbbbEUlllE0_EEPmJS9_EEE10hipError_tPvRmT3_T4_T5_T6_T7_T9_mT8_P12ihipStream_tbDpT10_ENKUlT_T0_E_clISt17integral_constantIbLb1EES1A_EEDaS15_S16_EUlS15_E_NS1_11comp_targetILNS1_3genE4ELNS1_11target_archE910ELNS1_3gpuE8ELNS1_3repE0EEENS1_30default_config_static_selectorELNS0_4arch9wavefront6targetE1EEEvT1_,comdat
.Lfunc_end214:
	.size	_ZN7rocprim17ROCPRIM_400000_NS6detail17trampoline_kernelINS0_14default_configENS1_25partition_config_selectorILNS1_17partition_subalgoE9EllbEEZZNS1_14partition_implILS5_9ELb0ES3_jPlS8_PNS0_10empty_typeENS0_5tupleIJS8_S9_EEENSB_IJS8_SA_EEENS0_18inequality_wrapperIZN2at6native12_GLOBAL__N_124unique_dim_cuda_templateIhEESt5tupleIJNSF_6TensorESK_SK_EERKSK_lbbbEUlllE0_EEPmJS9_EEE10hipError_tPvRmT3_T4_T5_T6_T7_T9_mT8_P12ihipStream_tbDpT10_ENKUlT_T0_E_clISt17integral_constantIbLb1EES1A_EEDaS15_S16_EUlS15_E_NS1_11comp_targetILNS1_3genE4ELNS1_11target_archE910ELNS1_3gpuE8ELNS1_3repE0EEENS1_30default_config_static_selectorELNS0_4arch9wavefront6targetE1EEEvT1_, .Lfunc_end214-_ZN7rocprim17ROCPRIM_400000_NS6detail17trampoline_kernelINS0_14default_configENS1_25partition_config_selectorILNS1_17partition_subalgoE9EllbEEZZNS1_14partition_implILS5_9ELb0ES3_jPlS8_PNS0_10empty_typeENS0_5tupleIJS8_S9_EEENSB_IJS8_SA_EEENS0_18inequality_wrapperIZN2at6native12_GLOBAL__N_124unique_dim_cuda_templateIhEESt5tupleIJNSF_6TensorESK_SK_EERKSK_lbbbEUlllE0_EEPmJS9_EEE10hipError_tPvRmT3_T4_T5_T6_T7_T9_mT8_P12ihipStream_tbDpT10_ENKUlT_T0_E_clISt17integral_constantIbLb1EES1A_EEDaS15_S16_EUlS15_E_NS1_11comp_targetILNS1_3genE4ELNS1_11target_archE910ELNS1_3gpuE8ELNS1_3repE0EEENS1_30default_config_static_selectorELNS0_4arch9wavefront6targetE1EEEvT1_
                                        ; -- End function
	.section	.AMDGPU.csdata,"",@progbits
; Kernel info:
; codeLenInByte = 9656
; NumSgprs: 56
; NumVgprs: 50
; NumAgprs: 0
; TotalNumVgprs: 50
; ScratchSize: 0
; MemoryBound: 0
; FloatMode: 240
; IeeeMode: 1
; LDSByteSize: 4236 bytes/workgroup (compile time only)
; SGPRBlocks: 6
; VGPRBlocks: 6
; NumSGPRsForWavesPerEU: 56
; NumVGPRsForWavesPerEU: 50
; AccumOffset: 52
; Occupancy: 8
; WaveLimiterHint : 1
; COMPUTE_PGM_RSRC2:SCRATCH_EN: 0
; COMPUTE_PGM_RSRC2:USER_SGPR: 6
; COMPUTE_PGM_RSRC2:TRAP_HANDLER: 0
; COMPUTE_PGM_RSRC2:TGID_X_EN: 1
; COMPUTE_PGM_RSRC2:TGID_Y_EN: 0
; COMPUTE_PGM_RSRC2:TGID_Z_EN: 0
; COMPUTE_PGM_RSRC2:TIDIG_COMP_CNT: 0
; COMPUTE_PGM_RSRC3_GFX90A:ACCUM_OFFSET: 12
; COMPUTE_PGM_RSRC3_GFX90A:TG_SPLIT: 0
	.section	.text._ZN7rocprim17ROCPRIM_400000_NS6detail17trampoline_kernelINS0_14default_configENS1_25partition_config_selectorILNS1_17partition_subalgoE9EllbEEZZNS1_14partition_implILS5_9ELb0ES3_jPlS8_PNS0_10empty_typeENS0_5tupleIJS8_S9_EEENSB_IJS8_SA_EEENS0_18inequality_wrapperIZN2at6native12_GLOBAL__N_124unique_dim_cuda_templateIhEESt5tupleIJNSF_6TensorESK_SK_EERKSK_lbbbEUlllE0_EEPmJS9_EEE10hipError_tPvRmT3_T4_T5_T6_T7_T9_mT8_P12ihipStream_tbDpT10_ENKUlT_T0_E_clISt17integral_constantIbLb1EES1A_EEDaS15_S16_EUlS15_E_NS1_11comp_targetILNS1_3genE3ELNS1_11target_archE908ELNS1_3gpuE7ELNS1_3repE0EEENS1_30default_config_static_selectorELNS0_4arch9wavefront6targetE1EEEvT1_,"axG",@progbits,_ZN7rocprim17ROCPRIM_400000_NS6detail17trampoline_kernelINS0_14default_configENS1_25partition_config_selectorILNS1_17partition_subalgoE9EllbEEZZNS1_14partition_implILS5_9ELb0ES3_jPlS8_PNS0_10empty_typeENS0_5tupleIJS8_S9_EEENSB_IJS8_SA_EEENS0_18inequality_wrapperIZN2at6native12_GLOBAL__N_124unique_dim_cuda_templateIhEESt5tupleIJNSF_6TensorESK_SK_EERKSK_lbbbEUlllE0_EEPmJS9_EEE10hipError_tPvRmT3_T4_T5_T6_T7_T9_mT8_P12ihipStream_tbDpT10_ENKUlT_T0_E_clISt17integral_constantIbLb1EES1A_EEDaS15_S16_EUlS15_E_NS1_11comp_targetILNS1_3genE3ELNS1_11target_archE908ELNS1_3gpuE7ELNS1_3repE0EEENS1_30default_config_static_selectorELNS0_4arch9wavefront6targetE1EEEvT1_,comdat
	.globl	_ZN7rocprim17ROCPRIM_400000_NS6detail17trampoline_kernelINS0_14default_configENS1_25partition_config_selectorILNS1_17partition_subalgoE9EllbEEZZNS1_14partition_implILS5_9ELb0ES3_jPlS8_PNS0_10empty_typeENS0_5tupleIJS8_S9_EEENSB_IJS8_SA_EEENS0_18inequality_wrapperIZN2at6native12_GLOBAL__N_124unique_dim_cuda_templateIhEESt5tupleIJNSF_6TensorESK_SK_EERKSK_lbbbEUlllE0_EEPmJS9_EEE10hipError_tPvRmT3_T4_T5_T6_T7_T9_mT8_P12ihipStream_tbDpT10_ENKUlT_T0_E_clISt17integral_constantIbLb1EES1A_EEDaS15_S16_EUlS15_E_NS1_11comp_targetILNS1_3genE3ELNS1_11target_archE908ELNS1_3gpuE7ELNS1_3repE0EEENS1_30default_config_static_selectorELNS0_4arch9wavefront6targetE1EEEvT1_ ; -- Begin function _ZN7rocprim17ROCPRIM_400000_NS6detail17trampoline_kernelINS0_14default_configENS1_25partition_config_selectorILNS1_17partition_subalgoE9EllbEEZZNS1_14partition_implILS5_9ELb0ES3_jPlS8_PNS0_10empty_typeENS0_5tupleIJS8_S9_EEENSB_IJS8_SA_EEENS0_18inequality_wrapperIZN2at6native12_GLOBAL__N_124unique_dim_cuda_templateIhEESt5tupleIJNSF_6TensorESK_SK_EERKSK_lbbbEUlllE0_EEPmJS9_EEE10hipError_tPvRmT3_T4_T5_T6_T7_T9_mT8_P12ihipStream_tbDpT10_ENKUlT_T0_E_clISt17integral_constantIbLb1EES1A_EEDaS15_S16_EUlS15_E_NS1_11comp_targetILNS1_3genE3ELNS1_11target_archE908ELNS1_3gpuE7ELNS1_3repE0EEENS1_30default_config_static_selectorELNS0_4arch9wavefront6targetE1EEEvT1_
	.p2align	8
	.type	_ZN7rocprim17ROCPRIM_400000_NS6detail17trampoline_kernelINS0_14default_configENS1_25partition_config_selectorILNS1_17partition_subalgoE9EllbEEZZNS1_14partition_implILS5_9ELb0ES3_jPlS8_PNS0_10empty_typeENS0_5tupleIJS8_S9_EEENSB_IJS8_SA_EEENS0_18inequality_wrapperIZN2at6native12_GLOBAL__N_124unique_dim_cuda_templateIhEESt5tupleIJNSF_6TensorESK_SK_EERKSK_lbbbEUlllE0_EEPmJS9_EEE10hipError_tPvRmT3_T4_T5_T6_T7_T9_mT8_P12ihipStream_tbDpT10_ENKUlT_T0_E_clISt17integral_constantIbLb1EES1A_EEDaS15_S16_EUlS15_E_NS1_11comp_targetILNS1_3genE3ELNS1_11target_archE908ELNS1_3gpuE7ELNS1_3repE0EEENS1_30default_config_static_selectorELNS0_4arch9wavefront6targetE1EEEvT1_,@function
_ZN7rocprim17ROCPRIM_400000_NS6detail17trampoline_kernelINS0_14default_configENS1_25partition_config_selectorILNS1_17partition_subalgoE9EllbEEZZNS1_14partition_implILS5_9ELb0ES3_jPlS8_PNS0_10empty_typeENS0_5tupleIJS8_S9_EEENSB_IJS8_SA_EEENS0_18inequality_wrapperIZN2at6native12_GLOBAL__N_124unique_dim_cuda_templateIhEESt5tupleIJNSF_6TensorESK_SK_EERKSK_lbbbEUlllE0_EEPmJS9_EEE10hipError_tPvRmT3_T4_T5_T6_T7_T9_mT8_P12ihipStream_tbDpT10_ENKUlT_T0_E_clISt17integral_constantIbLb1EES1A_EEDaS15_S16_EUlS15_E_NS1_11comp_targetILNS1_3genE3ELNS1_11target_archE908ELNS1_3gpuE7ELNS1_3repE0EEENS1_30default_config_static_selectorELNS0_4arch9wavefront6targetE1EEEvT1_: ; @_ZN7rocprim17ROCPRIM_400000_NS6detail17trampoline_kernelINS0_14default_configENS1_25partition_config_selectorILNS1_17partition_subalgoE9EllbEEZZNS1_14partition_implILS5_9ELb0ES3_jPlS8_PNS0_10empty_typeENS0_5tupleIJS8_S9_EEENSB_IJS8_SA_EEENS0_18inequality_wrapperIZN2at6native12_GLOBAL__N_124unique_dim_cuda_templateIhEESt5tupleIJNSF_6TensorESK_SK_EERKSK_lbbbEUlllE0_EEPmJS9_EEE10hipError_tPvRmT3_T4_T5_T6_T7_T9_mT8_P12ihipStream_tbDpT10_ENKUlT_T0_E_clISt17integral_constantIbLb1EES1A_EEDaS15_S16_EUlS15_E_NS1_11comp_targetILNS1_3genE3ELNS1_11target_archE908ELNS1_3gpuE7ELNS1_3repE0EEENS1_30default_config_static_selectorELNS0_4arch9wavefront6targetE1EEEvT1_
; %bb.0:
	.section	.rodata,"a",@progbits
	.p2align	6, 0x0
	.amdhsa_kernel _ZN7rocprim17ROCPRIM_400000_NS6detail17trampoline_kernelINS0_14default_configENS1_25partition_config_selectorILNS1_17partition_subalgoE9EllbEEZZNS1_14partition_implILS5_9ELb0ES3_jPlS8_PNS0_10empty_typeENS0_5tupleIJS8_S9_EEENSB_IJS8_SA_EEENS0_18inequality_wrapperIZN2at6native12_GLOBAL__N_124unique_dim_cuda_templateIhEESt5tupleIJNSF_6TensorESK_SK_EERKSK_lbbbEUlllE0_EEPmJS9_EEE10hipError_tPvRmT3_T4_T5_T6_T7_T9_mT8_P12ihipStream_tbDpT10_ENKUlT_T0_E_clISt17integral_constantIbLb1EES1A_EEDaS15_S16_EUlS15_E_NS1_11comp_targetILNS1_3genE3ELNS1_11target_archE908ELNS1_3gpuE7ELNS1_3repE0EEENS1_30default_config_static_selectorELNS0_4arch9wavefront6targetE1EEEvT1_
		.amdhsa_group_segment_fixed_size 0
		.amdhsa_private_segment_fixed_size 0
		.amdhsa_kernarg_size 136
		.amdhsa_user_sgpr_count 6
		.amdhsa_user_sgpr_private_segment_buffer 1
		.amdhsa_user_sgpr_dispatch_ptr 0
		.amdhsa_user_sgpr_queue_ptr 0
		.amdhsa_user_sgpr_kernarg_segment_ptr 1
		.amdhsa_user_sgpr_dispatch_id 0
		.amdhsa_user_sgpr_flat_scratch_init 0
		.amdhsa_user_sgpr_kernarg_preload_length 0
		.amdhsa_user_sgpr_kernarg_preload_offset 0
		.amdhsa_user_sgpr_private_segment_size 0
		.amdhsa_uses_dynamic_stack 0
		.amdhsa_system_sgpr_private_segment_wavefront_offset 0
		.amdhsa_system_sgpr_workgroup_id_x 1
		.amdhsa_system_sgpr_workgroup_id_y 0
		.amdhsa_system_sgpr_workgroup_id_z 0
		.amdhsa_system_sgpr_workgroup_info 0
		.amdhsa_system_vgpr_workitem_id 0
		.amdhsa_next_free_vgpr 1
		.amdhsa_next_free_sgpr 0
		.amdhsa_accum_offset 4
		.amdhsa_reserve_vcc 0
		.amdhsa_reserve_flat_scratch 0
		.amdhsa_float_round_mode_32 0
		.amdhsa_float_round_mode_16_64 0
		.amdhsa_float_denorm_mode_32 3
		.amdhsa_float_denorm_mode_16_64 3
		.amdhsa_dx10_clamp 1
		.amdhsa_ieee_mode 1
		.amdhsa_fp16_overflow 0
		.amdhsa_tg_split 0
		.amdhsa_exception_fp_ieee_invalid_op 0
		.amdhsa_exception_fp_denorm_src 0
		.amdhsa_exception_fp_ieee_div_zero 0
		.amdhsa_exception_fp_ieee_overflow 0
		.amdhsa_exception_fp_ieee_underflow 0
		.amdhsa_exception_fp_ieee_inexact 0
		.amdhsa_exception_int_div_zero 0
	.end_amdhsa_kernel
	.section	.text._ZN7rocprim17ROCPRIM_400000_NS6detail17trampoline_kernelINS0_14default_configENS1_25partition_config_selectorILNS1_17partition_subalgoE9EllbEEZZNS1_14partition_implILS5_9ELb0ES3_jPlS8_PNS0_10empty_typeENS0_5tupleIJS8_S9_EEENSB_IJS8_SA_EEENS0_18inequality_wrapperIZN2at6native12_GLOBAL__N_124unique_dim_cuda_templateIhEESt5tupleIJNSF_6TensorESK_SK_EERKSK_lbbbEUlllE0_EEPmJS9_EEE10hipError_tPvRmT3_T4_T5_T6_T7_T9_mT8_P12ihipStream_tbDpT10_ENKUlT_T0_E_clISt17integral_constantIbLb1EES1A_EEDaS15_S16_EUlS15_E_NS1_11comp_targetILNS1_3genE3ELNS1_11target_archE908ELNS1_3gpuE7ELNS1_3repE0EEENS1_30default_config_static_selectorELNS0_4arch9wavefront6targetE1EEEvT1_,"axG",@progbits,_ZN7rocprim17ROCPRIM_400000_NS6detail17trampoline_kernelINS0_14default_configENS1_25partition_config_selectorILNS1_17partition_subalgoE9EllbEEZZNS1_14partition_implILS5_9ELb0ES3_jPlS8_PNS0_10empty_typeENS0_5tupleIJS8_S9_EEENSB_IJS8_SA_EEENS0_18inequality_wrapperIZN2at6native12_GLOBAL__N_124unique_dim_cuda_templateIhEESt5tupleIJNSF_6TensorESK_SK_EERKSK_lbbbEUlllE0_EEPmJS9_EEE10hipError_tPvRmT3_T4_T5_T6_T7_T9_mT8_P12ihipStream_tbDpT10_ENKUlT_T0_E_clISt17integral_constantIbLb1EES1A_EEDaS15_S16_EUlS15_E_NS1_11comp_targetILNS1_3genE3ELNS1_11target_archE908ELNS1_3gpuE7ELNS1_3repE0EEENS1_30default_config_static_selectorELNS0_4arch9wavefront6targetE1EEEvT1_,comdat
.Lfunc_end215:
	.size	_ZN7rocprim17ROCPRIM_400000_NS6detail17trampoline_kernelINS0_14default_configENS1_25partition_config_selectorILNS1_17partition_subalgoE9EllbEEZZNS1_14partition_implILS5_9ELb0ES3_jPlS8_PNS0_10empty_typeENS0_5tupleIJS8_S9_EEENSB_IJS8_SA_EEENS0_18inequality_wrapperIZN2at6native12_GLOBAL__N_124unique_dim_cuda_templateIhEESt5tupleIJNSF_6TensorESK_SK_EERKSK_lbbbEUlllE0_EEPmJS9_EEE10hipError_tPvRmT3_T4_T5_T6_T7_T9_mT8_P12ihipStream_tbDpT10_ENKUlT_T0_E_clISt17integral_constantIbLb1EES1A_EEDaS15_S16_EUlS15_E_NS1_11comp_targetILNS1_3genE3ELNS1_11target_archE908ELNS1_3gpuE7ELNS1_3repE0EEENS1_30default_config_static_selectorELNS0_4arch9wavefront6targetE1EEEvT1_, .Lfunc_end215-_ZN7rocprim17ROCPRIM_400000_NS6detail17trampoline_kernelINS0_14default_configENS1_25partition_config_selectorILNS1_17partition_subalgoE9EllbEEZZNS1_14partition_implILS5_9ELb0ES3_jPlS8_PNS0_10empty_typeENS0_5tupleIJS8_S9_EEENSB_IJS8_SA_EEENS0_18inequality_wrapperIZN2at6native12_GLOBAL__N_124unique_dim_cuda_templateIhEESt5tupleIJNSF_6TensorESK_SK_EERKSK_lbbbEUlllE0_EEPmJS9_EEE10hipError_tPvRmT3_T4_T5_T6_T7_T9_mT8_P12ihipStream_tbDpT10_ENKUlT_T0_E_clISt17integral_constantIbLb1EES1A_EEDaS15_S16_EUlS15_E_NS1_11comp_targetILNS1_3genE3ELNS1_11target_archE908ELNS1_3gpuE7ELNS1_3repE0EEENS1_30default_config_static_selectorELNS0_4arch9wavefront6targetE1EEEvT1_
                                        ; -- End function
	.section	.AMDGPU.csdata,"",@progbits
; Kernel info:
; codeLenInByte = 0
; NumSgprs: 4
; NumVgprs: 0
; NumAgprs: 0
; TotalNumVgprs: 0
; ScratchSize: 0
; MemoryBound: 0
; FloatMode: 240
; IeeeMode: 1
; LDSByteSize: 0 bytes/workgroup (compile time only)
; SGPRBlocks: 0
; VGPRBlocks: 0
; NumSGPRsForWavesPerEU: 4
; NumVGPRsForWavesPerEU: 1
; AccumOffset: 4
; Occupancy: 8
; WaveLimiterHint : 0
; COMPUTE_PGM_RSRC2:SCRATCH_EN: 0
; COMPUTE_PGM_RSRC2:USER_SGPR: 6
; COMPUTE_PGM_RSRC2:TRAP_HANDLER: 0
; COMPUTE_PGM_RSRC2:TGID_X_EN: 1
; COMPUTE_PGM_RSRC2:TGID_Y_EN: 0
; COMPUTE_PGM_RSRC2:TGID_Z_EN: 0
; COMPUTE_PGM_RSRC2:TIDIG_COMP_CNT: 0
; COMPUTE_PGM_RSRC3_GFX90A:ACCUM_OFFSET: 0
; COMPUTE_PGM_RSRC3_GFX90A:TG_SPLIT: 0
	.section	.text._ZN7rocprim17ROCPRIM_400000_NS6detail17trampoline_kernelINS0_14default_configENS1_25partition_config_selectorILNS1_17partition_subalgoE9EllbEEZZNS1_14partition_implILS5_9ELb0ES3_jPlS8_PNS0_10empty_typeENS0_5tupleIJS8_S9_EEENSB_IJS8_SA_EEENS0_18inequality_wrapperIZN2at6native12_GLOBAL__N_124unique_dim_cuda_templateIhEESt5tupleIJNSF_6TensorESK_SK_EERKSK_lbbbEUlllE0_EEPmJS9_EEE10hipError_tPvRmT3_T4_T5_T6_T7_T9_mT8_P12ihipStream_tbDpT10_ENKUlT_T0_E_clISt17integral_constantIbLb1EES1A_EEDaS15_S16_EUlS15_E_NS1_11comp_targetILNS1_3genE2ELNS1_11target_archE906ELNS1_3gpuE6ELNS1_3repE0EEENS1_30default_config_static_selectorELNS0_4arch9wavefront6targetE1EEEvT1_,"axG",@progbits,_ZN7rocprim17ROCPRIM_400000_NS6detail17trampoline_kernelINS0_14default_configENS1_25partition_config_selectorILNS1_17partition_subalgoE9EllbEEZZNS1_14partition_implILS5_9ELb0ES3_jPlS8_PNS0_10empty_typeENS0_5tupleIJS8_S9_EEENSB_IJS8_SA_EEENS0_18inequality_wrapperIZN2at6native12_GLOBAL__N_124unique_dim_cuda_templateIhEESt5tupleIJNSF_6TensorESK_SK_EERKSK_lbbbEUlllE0_EEPmJS9_EEE10hipError_tPvRmT3_T4_T5_T6_T7_T9_mT8_P12ihipStream_tbDpT10_ENKUlT_T0_E_clISt17integral_constantIbLb1EES1A_EEDaS15_S16_EUlS15_E_NS1_11comp_targetILNS1_3genE2ELNS1_11target_archE906ELNS1_3gpuE6ELNS1_3repE0EEENS1_30default_config_static_selectorELNS0_4arch9wavefront6targetE1EEEvT1_,comdat
	.globl	_ZN7rocprim17ROCPRIM_400000_NS6detail17trampoline_kernelINS0_14default_configENS1_25partition_config_selectorILNS1_17partition_subalgoE9EllbEEZZNS1_14partition_implILS5_9ELb0ES3_jPlS8_PNS0_10empty_typeENS0_5tupleIJS8_S9_EEENSB_IJS8_SA_EEENS0_18inequality_wrapperIZN2at6native12_GLOBAL__N_124unique_dim_cuda_templateIhEESt5tupleIJNSF_6TensorESK_SK_EERKSK_lbbbEUlllE0_EEPmJS9_EEE10hipError_tPvRmT3_T4_T5_T6_T7_T9_mT8_P12ihipStream_tbDpT10_ENKUlT_T0_E_clISt17integral_constantIbLb1EES1A_EEDaS15_S16_EUlS15_E_NS1_11comp_targetILNS1_3genE2ELNS1_11target_archE906ELNS1_3gpuE6ELNS1_3repE0EEENS1_30default_config_static_selectorELNS0_4arch9wavefront6targetE1EEEvT1_ ; -- Begin function _ZN7rocprim17ROCPRIM_400000_NS6detail17trampoline_kernelINS0_14default_configENS1_25partition_config_selectorILNS1_17partition_subalgoE9EllbEEZZNS1_14partition_implILS5_9ELb0ES3_jPlS8_PNS0_10empty_typeENS0_5tupleIJS8_S9_EEENSB_IJS8_SA_EEENS0_18inequality_wrapperIZN2at6native12_GLOBAL__N_124unique_dim_cuda_templateIhEESt5tupleIJNSF_6TensorESK_SK_EERKSK_lbbbEUlllE0_EEPmJS9_EEE10hipError_tPvRmT3_T4_T5_T6_T7_T9_mT8_P12ihipStream_tbDpT10_ENKUlT_T0_E_clISt17integral_constantIbLb1EES1A_EEDaS15_S16_EUlS15_E_NS1_11comp_targetILNS1_3genE2ELNS1_11target_archE906ELNS1_3gpuE6ELNS1_3repE0EEENS1_30default_config_static_selectorELNS0_4arch9wavefront6targetE1EEEvT1_
	.p2align	8
	.type	_ZN7rocprim17ROCPRIM_400000_NS6detail17trampoline_kernelINS0_14default_configENS1_25partition_config_selectorILNS1_17partition_subalgoE9EllbEEZZNS1_14partition_implILS5_9ELb0ES3_jPlS8_PNS0_10empty_typeENS0_5tupleIJS8_S9_EEENSB_IJS8_SA_EEENS0_18inequality_wrapperIZN2at6native12_GLOBAL__N_124unique_dim_cuda_templateIhEESt5tupleIJNSF_6TensorESK_SK_EERKSK_lbbbEUlllE0_EEPmJS9_EEE10hipError_tPvRmT3_T4_T5_T6_T7_T9_mT8_P12ihipStream_tbDpT10_ENKUlT_T0_E_clISt17integral_constantIbLb1EES1A_EEDaS15_S16_EUlS15_E_NS1_11comp_targetILNS1_3genE2ELNS1_11target_archE906ELNS1_3gpuE6ELNS1_3repE0EEENS1_30default_config_static_selectorELNS0_4arch9wavefront6targetE1EEEvT1_,@function
_ZN7rocprim17ROCPRIM_400000_NS6detail17trampoline_kernelINS0_14default_configENS1_25partition_config_selectorILNS1_17partition_subalgoE9EllbEEZZNS1_14partition_implILS5_9ELb0ES3_jPlS8_PNS0_10empty_typeENS0_5tupleIJS8_S9_EEENSB_IJS8_SA_EEENS0_18inequality_wrapperIZN2at6native12_GLOBAL__N_124unique_dim_cuda_templateIhEESt5tupleIJNSF_6TensorESK_SK_EERKSK_lbbbEUlllE0_EEPmJS9_EEE10hipError_tPvRmT3_T4_T5_T6_T7_T9_mT8_P12ihipStream_tbDpT10_ENKUlT_T0_E_clISt17integral_constantIbLb1EES1A_EEDaS15_S16_EUlS15_E_NS1_11comp_targetILNS1_3genE2ELNS1_11target_archE906ELNS1_3gpuE6ELNS1_3repE0EEENS1_30default_config_static_selectorELNS0_4arch9wavefront6targetE1EEEvT1_: ; @_ZN7rocprim17ROCPRIM_400000_NS6detail17trampoline_kernelINS0_14default_configENS1_25partition_config_selectorILNS1_17partition_subalgoE9EllbEEZZNS1_14partition_implILS5_9ELb0ES3_jPlS8_PNS0_10empty_typeENS0_5tupleIJS8_S9_EEENSB_IJS8_SA_EEENS0_18inequality_wrapperIZN2at6native12_GLOBAL__N_124unique_dim_cuda_templateIhEESt5tupleIJNSF_6TensorESK_SK_EERKSK_lbbbEUlllE0_EEPmJS9_EEE10hipError_tPvRmT3_T4_T5_T6_T7_T9_mT8_P12ihipStream_tbDpT10_ENKUlT_T0_E_clISt17integral_constantIbLb1EES1A_EEDaS15_S16_EUlS15_E_NS1_11comp_targetILNS1_3genE2ELNS1_11target_archE906ELNS1_3gpuE6ELNS1_3repE0EEENS1_30default_config_static_selectorELNS0_4arch9wavefront6targetE1EEEvT1_
; %bb.0:
	.section	.rodata,"a",@progbits
	.p2align	6, 0x0
	.amdhsa_kernel _ZN7rocprim17ROCPRIM_400000_NS6detail17trampoline_kernelINS0_14default_configENS1_25partition_config_selectorILNS1_17partition_subalgoE9EllbEEZZNS1_14partition_implILS5_9ELb0ES3_jPlS8_PNS0_10empty_typeENS0_5tupleIJS8_S9_EEENSB_IJS8_SA_EEENS0_18inequality_wrapperIZN2at6native12_GLOBAL__N_124unique_dim_cuda_templateIhEESt5tupleIJNSF_6TensorESK_SK_EERKSK_lbbbEUlllE0_EEPmJS9_EEE10hipError_tPvRmT3_T4_T5_T6_T7_T9_mT8_P12ihipStream_tbDpT10_ENKUlT_T0_E_clISt17integral_constantIbLb1EES1A_EEDaS15_S16_EUlS15_E_NS1_11comp_targetILNS1_3genE2ELNS1_11target_archE906ELNS1_3gpuE6ELNS1_3repE0EEENS1_30default_config_static_selectorELNS0_4arch9wavefront6targetE1EEEvT1_
		.amdhsa_group_segment_fixed_size 0
		.amdhsa_private_segment_fixed_size 0
		.amdhsa_kernarg_size 136
		.amdhsa_user_sgpr_count 6
		.amdhsa_user_sgpr_private_segment_buffer 1
		.amdhsa_user_sgpr_dispatch_ptr 0
		.amdhsa_user_sgpr_queue_ptr 0
		.amdhsa_user_sgpr_kernarg_segment_ptr 1
		.amdhsa_user_sgpr_dispatch_id 0
		.amdhsa_user_sgpr_flat_scratch_init 0
		.amdhsa_user_sgpr_kernarg_preload_length 0
		.amdhsa_user_sgpr_kernarg_preload_offset 0
		.amdhsa_user_sgpr_private_segment_size 0
		.amdhsa_uses_dynamic_stack 0
		.amdhsa_system_sgpr_private_segment_wavefront_offset 0
		.amdhsa_system_sgpr_workgroup_id_x 1
		.amdhsa_system_sgpr_workgroup_id_y 0
		.amdhsa_system_sgpr_workgroup_id_z 0
		.amdhsa_system_sgpr_workgroup_info 0
		.amdhsa_system_vgpr_workitem_id 0
		.amdhsa_next_free_vgpr 1
		.amdhsa_next_free_sgpr 0
		.amdhsa_accum_offset 4
		.amdhsa_reserve_vcc 0
		.amdhsa_reserve_flat_scratch 0
		.amdhsa_float_round_mode_32 0
		.amdhsa_float_round_mode_16_64 0
		.amdhsa_float_denorm_mode_32 3
		.amdhsa_float_denorm_mode_16_64 3
		.amdhsa_dx10_clamp 1
		.amdhsa_ieee_mode 1
		.amdhsa_fp16_overflow 0
		.amdhsa_tg_split 0
		.amdhsa_exception_fp_ieee_invalid_op 0
		.amdhsa_exception_fp_denorm_src 0
		.amdhsa_exception_fp_ieee_div_zero 0
		.amdhsa_exception_fp_ieee_overflow 0
		.amdhsa_exception_fp_ieee_underflow 0
		.amdhsa_exception_fp_ieee_inexact 0
		.amdhsa_exception_int_div_zero 0
	.end_amdhsa_kernel
	.section	.text._ZN7rocprim17ROCPRIM_400000_NS6detail17trampoline_kernelINS0_14default_configENS1_25partition_config_selectorILNS1_17partition_subalgoE9EllbEEZZNS1_14partition_implILS5_9ELb0ES3_jPlS8_PNS0_10empty_typeENS0_5tupleIJS8_S9_EEENSB_IJS8_SA_EEENS0_18inequality_wrapperIZN2at6native12_GLOBAL__N_124unique_dim_cuda_templateIhEESt5tupleIJNSF_6TensorESK_SK_EERKSK_lbbbEUlllE0_EEPmJS9_EEE10hipError_tPvRmT3_T4_T5_T6_T7_T9_mT8_P12ihipStream_tbDpT10_ENKUlT_T0_E_clISt17integral_constantIbLb1EES1A_EEDaS15_S16_EUlS15_E_NS1_11comp_targetILNS1_3genE2ELNS1_11target_archE906ELNS1_3gpuE6ELNS1_3repE0EEENS1_30default_config_static_selectorELNS0_4arch9wavefront6targetE1EEEvT1_,"axG",@progbits,_ZN7rocprim17ROCPRIM_400000_NS6detail17trampoline_kernelINS0_14default_configENS1_25partition_config_selectorILNS1_17partition_subalgoE9EllbEEZZNS1_14partition_implILS5_9ELb0ES3_jPlS8_PNS0_10empty_typeENS0_5tupleIJS8_S9_EEENSB_IJS8_SA_EEENS0_18inequality_wrapperIZN2at6native12_GLOBAL__N_124unique_dim_cuda_templateIhEESt5tupleIJNSF_6TensorESK_SK_EERKSK_lbbbEUlllE0_EEPmJS9_EEE10hipError_tPvRmT3_T4_T5_T6_T7_T9_mT8_P12ihipStream_tbDpT10_ENKUlT_T0_E_clISt17integral_constantIbLb1EES1A_EEDaS15_S16_EUlS15_E_NS1_11comp_targetILNS1_3genE2ELNS1_11target_archE906ELNS1_3gpuE6ELNS1_3repE0EEENS1_30default_config_static_selectorELNS0_4arch9wavefront6targetE1EEEvT1_,comdat
.Lfunc_end216:
	.size	_ZN7rocprim17ROCPRIM_400000_NS6detail17trampoline_kernelINS0_14default_configENS1_25partition_config_selectorILNS1_17partition_subalgoE9EllbEEZZNS1_14partition_implILS5_9ELb0ES3_jPlS8_PNS0_10empty_typeENS0_5tupleIJS8_S9_EEENSB_IJS8_SA_EEENS0_18inequality_wrapperIZN2at6native12_GLOBAL__N_124unique_dim_cuda_templateIhEESt5tupleIJNSF_6TensorESK_SK_EERKSK_lbbbEUlllE0_EEPmJS9_EEE10hipError_tPvRmT3_T4_T5_T6_T7_T9_mT8_P12ihipStream_tbDpT10_ENKUlT_T0_E_clISt17integral_constantIbLb1EES1A_EEDaS15_S16_EUlS15_E_NS1_11comp_targetILNS1_3genE2ELNS1_11target_archE906ELNS1_3gpuE6ELNS1_3repE0EEENS1_30default_config_static_selectorELNS0_4arch9wavefront6targetE1EEEvT1_, .Lfunc_end216-_ZN7rocprim17ROCPRIM_400000_NS6detail17trampoline_kernelINS0_14default_configENS1_25partition_config_selectorILNS1_17partition_subalgoE9EllbEEZZNS1_14partition_implILS5_9ELb0ES3_jPlS8_PNS0_10empty_typeENS0_5tupleIJS8_S9_EEENSB_IJS8_SA_EEENS0_18inequality_wrapperIZN2at6native12_GLOBAL__N_124unique_dim_cuda_templateIhEESt5tupleIJNSF_6TensorESK_SK_EERKSK_lbbbEUlllE0_EEPmJS9_EEE10hipError_tPvRmT3_T4_T5_T6_T7_T9_mT8_P12ihipStream_tbDpT10_ENKUlT_T0_E_clISt17integral_constantIbLb1EES1A_EEDaS15_S16_EUlS15_E_NS1_11comp_targetILNS1_3genE2ELNS1_11target_archE906ELNS1_3gpuE6ELNS1_3repE0EEENS1_30default_config_static_selectorELNS0_4arch9wavefront6targetE1EEEvT1_
                                        ; -- End function
	.section	.AMDGPU.csdata,"",@progbits
; Kernel info:
; codeLenInByte = 0
; NumSgprs: 4
; NumVgprs: 0
; NumAgprs: 0
; TotalNumVgprs: 0
; ScratchSize: 0
; MemoryBound: 0
; FloatMode: 240
; IeeeMode: 1
; LDSByteSize: 0 bytes/workgroup (compile time only)
; SGPRBlocks: 0
; VGPRBlocks: 0
; NumSGPRsForWavesPerEU: 4
; NumVGPRsForWavesPerEU: 1
; AccumOffset: 4
; Occupancy: 8
; WaveLimiterHint : 0
; COMPUTE_PGM_RSRC2:SCRATCH_EN: 0
; COMPUTE_PGM_RSRC2:USER_SGPR: 6
; COMPUTE_PGM_RSRC2:TRAP_HANDLER: 0
; COMPUTE_PGM_RSRC2:TGID_X_EN: 1
; COMPUTE_PGM_RSRC2:TGID_Y_EN: 0
; COMPUTE_PGM_RSRC2:TGID_Z_EN: 0
; COMPUTE_PGM_RSRC2:TIDIG_COMP_CNT: 0
; COMPUTE_PGM_RSRC3_GFX90A:ACCUM_OFFSET: 0
; COMPUTE_PGM_RSRC3_GFX90A:TG_SPLIT: 0
	.section	.text._ZN7rocprim17ROCPRIM_400000_NS6detail17trampoline_kernelINS0_14default_configENS1_25partition_config_selectorILNS1_17partition_subalgoE9EllbEEZZNS1_14partition_implILS5_9ELb0ES3_jPlS8_PNS0_10empty_typeENS0_5tupleIJS8_S9_EEENSB_IJS8_SA_EEENS0_18inequality_wrapperIZN2at6native12_GLOBAL__N_124unique_dim_cuda_templateIhEESt5tupleIJNSF_6TensorESK_SK_EERKSK_lbbbEUlllE0_EEPmJS9_EEE10hipError_tPvRmT3_T4_T5_T6_T7_T9_mT8_P12ihipStream_tbDpT10_ENKUlT_T0_E_clISt17integral_constantIbLb1EES1A_EEDaS15_S16_EUlS15_E_NS1_11comp_targetILNS1_3genE10ELNS1_11target_archE1200ELNS1_3gpuE4ELNS1_3repE0EEENS1_30default_config_static_selectorELNS0_4arch9wavefront6targetE1EEEvT1_,"axG",@progbits,_ZN7rocprim17ROCPRIM_400000_NS6detail17trampoline_kernelINS0_14default_configENS1_25partition_config_selectorILNS1_17partition_subalgoE9EllbEEZZNS1_14partition_implILS5_9ELb0ES3_jPlS8_PNS0_10empty_typeENS0_5tupleIJS8_S9_EEENSB_IJS8_SA_EEENS0_18inequality_wrapperIZN2at6native12_GLOBAL__N_124unique_dim_cuda_templateIhEESt5tupleIJNSF_6TensorESK_SK_EERKSK_lbbbEUlllE0_EEPmJS9_EEE10hipError_tPvRmT3_T4_T5_T6_T7_T9_mT8_P12ihipStream_tbDpT10_ENKUlT_T0_E_clISt17integral_constantIbLb1EES1A_EEDaS15_S16_EUlS15_E_NS1_11comp_targetILNS1_3genE10ELNS1_11target_archE1200ELNS1_3gpuE4ELNS1_3repE0EEENS1_30default_config_static_selectorELNS0_4arch9wavefront6targetE1EEEvT1_,comdat
	.globl	_ZN7rocprim17ROCPRIM_400000_NS6detail17trampoline_kernelINS0_14default_configENS1_25partition_config_selectorILNS1_17partition_subalgoE9EllbEEZZNS1_14partition_implILS5_9ELb0ES3_jPlS8_PNS0_10empty_typeENS0_5tupleIJS8_S9_EEENSB_IJS8_SA_EEENS0_18inequality_wrapperIZN2at6native12_GLOBAL__N_124unique_dim_cuda_templateIhEESt5tupleIJNSF_6TensorESK_SK_EERKSK_lbbbEUlllE0_EEPmJS9_EEE10hipError_tPvRmT3_T4_T5_T6_T7_T9_mT8_P12ihipStream_tbDpT10_ENKUlT_T0_E_clISt17integral_constantIbLb1EES1A_EEDaS15_S16_EUlS15_E_NS1_11comp_targetILNS1_3genE10ELNS1_11target_archE1200ELNS1_3gpuE4ELNS1_3repE0EEENS1_30default_config_static_selectorELNS0_4arch9wavefront6targetE1EEEvT1_ ; -- Begin function _ZN7rocprim17ROCPRIM_400000_NS6detail17trampoline_kernelINS0_14default_configENS1_25partition_config_selectorILNS1_17partition_subalgoE9EllbEEZZNS1_14partition_implILS5_9ELb0ES3_jPlS8_PNS0_10empty_typeENS0_5tupleIJS8_S9_EEENSB_IJS8_SA_EEENS0_18inequality_wrapperIZN2at6native12_GLOBAL__N_124unique_dim_cuda_templateIhEESt5tupleIJNSF_6TensorESK_SK_EERKSK_lbbbEUlllE0_EEPmJS9_EEE10hipError_tPvRmT3_T4_T5_T6_T7_T9_mT8_P12ihipStream_tbDpT10_ENKUlT_T0_E_clISt17integral_constantIbLb1EES1A_EEDaS15_S16_EUlS15_E_NS1_11comp_targetILNS1_3genE10ELNS1_11target_archE1200ELNS1_3gpuE4ELNS1_3repE0EEENS1_30default_config_static_selectorELNS0_4arch9wavefront6targetE1EEEvT1_
	.p2align	8
	.type	_ZN7rocprim17ROCPRIM_400000_NS6detail17trampoline_kernelINS0_14default_configENS1_25partition_config_selectorILNS1_17partition_subalgoE9EllbEEZZNS1_14partition_implILS5_9ELb0ES3_jPlS8_PNS0_10empty_typeENS0_5tupleIJS8_S9_EEENSB_IJS8_SA_EEENS0_18inequality_wrapperIZN2at6native12_GLOBAL__N_124unique_dim_cuda_templateIhEESt5tupleIJNSF_6TensorESK_SK_EERKSK_lbbbEUlllE0_EEPmJS9_EEE10hipError_tPvRmT3_T4_T5_T6_T7_T9_mT8_P12ihipStream_tbDpT10_ENKUlT_T0_E_clISt17integral_constantIbLb1EES1A_EEDaS15_S16_EUlS15_E_NS1_11comp_targetILNS1_3genE10ELNS1_11target_archE1200ELNS1_3gpuE4ELNS1_3repE0EEENS1_30default_config_static_selectorELNS0_4arch9wavefront6targetE1EEEvT1_,@function
_ZN7rocprim17ROCPRIM_400000_NS6detail17trampoline_kernelINS0_14default_configENS1_25partition_config_selectorILNS1_17partition_subalgoE9EllbEEZZNS1_14partition_implILS5_9ELb0ES3_jPlS8_PNS0_10empty_typeENS0_5tupleIJS8_S9_EEENSB_IJS8_SA_EEENS0_18inequality_wrapperIZN2at6native12_GLOBAL__N_124unique_dim_cuda_templateIhEESt5tupleIJNSF_6TensorESK_SK_EERKSK_lbbbEUlllE0_EEPmJS9_EEE10hipError_tPvRmT3_T4_T5_T6_T7_T9_mT8_P12ihipStream_tbDpT10_ENKUlT_T0_E_clISt17integral_constantIbLb1EES1A_EEDaS15_S16_EUlS15_E_NS1_11comp_targetILNS1_3genE10ELNS1_11target_archE1200ELNS1_3gpuE4ELNS1_3repE0EEENS1_30default_config_static_selectorELNS0_4arch9wavefront6targetE1EEEvT1_: ; @_ZN7rocprim17ROCPRIM_400000_NS6detail17trampoline_kernelINS0_14default_configENS1_25partition_config_selectorILNS1_17partition_subalgoE9EllbEEZZNS1_14partition_implILS5_9ELb0ES3_jPlS8_PNS0_10empty_typeENS0_5tupleIJS8_S9_EEENSB_IJS8_SA_EEENS0_18inequality_wrapperIZN2at6native12_GLOBAL__N_124unique_dim_cuda_templateIhEESt5tupleIJNSF_6TensorESK_SK_EERKSK_lbbbEUlllE0_EEPmJS9_EEE10hipError_tPvRmT3_T4_T5_T6_T7_T9_mT8_P12ihipStream_tbDpT10_ENKUlT_T0_E_clISt17integral_constantIbLb1EES1A_EEDaS15_S16_EUlS15_E_NS1_11comp_targetILNS1_3genE10ELNS1_11target_archE1200ELNS1_3gpuE4ELNS1_3repE0EEENS1_30default_config_static_selectorELNS0_4arch9wavefront6targetE1EEEvT1_
; %bb.0:
	.section	.rodata,"a",@progbits
	.p2align	6, 0x0
	.amdhsa_kernel _ZN7rocprim17ROCPRIM_400000_NS6detail17trampoline_kernelINS0_14default_configENS1_25partition_config_selectorILNS1_17partition_subalgoE9EllbEEZZNS1_14partition_implILS5_9ELb0ES3_jPlS8_PNS0_10empty_typeENS0_5tupleIJS8_S9_EEENSB_IJS8_SA_EEENS0_18inequality_wrapperIZN2at6native12_GLOBAL__N_124unique_dim_cuda_templateIhEESt5tupleIJNSF_6TensorESK_SK_EERKSK_lbbbEUlllE0_EEPmJS9_EEE10hipError_tPvRmT3_T4_T5_T6_T7_T9_mT8_P12ihipStream_tbDpT10_ENKUlT_T0_E_clISt17integral_constantIbLb1EES1A_EEDaS15_S16_EUlS15_E_NS1_11comp_targetILNS1_3genE10ELNS1_11target_archE1200ELNS1_3gpuE4ELNS1_3repE0EEENS1_30default_config_static_selectorELNS0_4arch9wavefront6targetE1EEEvT1_
		.amdhsa_group_segment_fixed_size 0
		.amdhsa_private_segment_fixed_size 0
		.amdhsa_kernarg_size 136
		.amdhsa_user_sgpr_count 6
		.amdhsa_user_sgpr_private_segment_buffer 1
		.amdhsa_user_sgpr_dispatch_ptr 0
		.amdhsa_user_sgpr_queue_ptr 0
		.amdhsa_user_sgpr_kernarg_segment_ptr 1
		.amdhsa_user_sgpr_dispatch_id 0
		.amdhsa_user_sgpr_flat_scratch_init 0
		.amdhsa_user_sgpr_kernarg_preload_length 0
		.amdhsa_user_sgpr_kernarg_preload_offset 0
		.amdhsa_user_sgpr_private_segment_size 0
		.amdhsa_uses_dynamic_stack 0
		.amdhsa_system_sgpr_private_segment_wavefront_offset 0
		.amdhsa_system_sgpr_workgroup_id_x 1
		.amdhsa_system_sgpr_workgroup_id_y 0
		.amdhsa_system_sgpr_workgroup_id_z 0
		.amdhsa_system_sgpr_workgroup_info 0
		.amdhsa_system_vgpr_workitem_id 0
		.amdhsa_next_free_vgpr 1
		.amdhsa_next_free_sgpr 0
		.amdhsa_accum_offset 4
		.amdhsa_reserve_vcc 0
		.amdhsa_reserve_flat_scratch 0
		.amdhsa_float_round_mode_32 0
		.amdhsa_float_round_mode_16_64 0
		.amdhsa_float_denorm_mode_32 3
		.amdhsa_float_denorm_mode_16_64 3
		.amdhsa_dx10_clamp 1
		.amdhsa_ieee_mode 1
		.amdhsa_fp16_overflow 0
		.amdhsa_tg_split 0
		.amdhsa_exception_fp_ieee_invalid_op 0
		.amdhsa_exception_fp_denorm_src 0
		.amdhsa_exception_fp_ieee_div_zero 0
		.amdhsa_exception_fp_ieee_overflow 0
		.amdhsa_exception_fp_ieee_underflow 0
		.amdhsa_exception_fp_ieee_inexact 0
		.amdhsa_exception_int_div_zero 0
	.end_amdhsa_kernel
	.section	.text._ZN7rocprim17ROCPRIM_400000_NS6detail17trampoline_kernelINS0_14default_configENS1_25partition_config_selectorILNS1_17partition_subalgoE9EllbEEZZNS1_14partition_implILS5_9ELb0ES3_jPlS8_PNS0_10empty_typeENS0_5tupleIJS8_S9_EEENSB_IJS8_SA_EEENS0_18inequality_wrapperIZN2at6native12_GLOBAL__N_124unique_dim_cuda_templateIhEESt5tupleIJNSF_6TensorESK_SK_EERKSK_lbbbEUlllE0_EEPmJS9_EEE10hipError_tPvRmT3_T4_T5_T6_T7_T9_mT8_P12ihipStream_tbDpT10_ENKUlT_T0_E_clISt17integral_constantIbLb1EES1A_EEDaS15_S16_EUlS15_E_NS1_11comp_targetILNS1_3genE10ELNS1_11target_archE1200ELNS1_3gpuE4ELNS1_3repE0EEENS1_30default_config_static_selectorELNS0_4arch9wavefront6targetE1EEEvT1_,"axG",@progbits,_ZN7rocprim17ROCPRIM_400000_NS6detail17trampoline_kernelINS0_14default_configENS1_25partition_config_selectorILNS1_17partition_subalgoE9EllbEEZZNS1_14partition_implILS5_9ELb0ES3_jPlS8_PNS0_10empty_typeENS0_5tupleIJS8_S9_EEENSB_IJS8_SA_EEENS0_18inequality_wrapperIZN2at6native12_GLOBAL__N_124unique_dim_cuda_templateIhEESt5tupleIJNSF_6TensorESK_SK_EERKSK_lbbbEUlllE0_EEPmJS9_EEE10hipError_tPvRmT3_T4_T5_T6_T7_T9_mT8_P12ihipStream_tbDpT10_ENKUlT_T0_E_clISt17integral_constantIbLb1EES1A_EEDaS15_S16_EUlS15_E_NS1_11comp_targetILNS1_3genE10ELNS1_11target_archE1200ELNS1_3gpuE4ELNS1_3repE0EEENS1_30default_config_static_selectorELNS0_4arch9wavefront6targetE1EEEvT1_,comdat
.Lfunc_end217:
	.size	_ZN7rocprim17ROCPRIM_400000_NS6detail17trampoline_kernelINS0_14default_configENS1_25partition_config_selectorILNS1_17partition_subalgoE9EllbEEZZNS1_14partition_implILS5_9ELb0ES3_jPlS8_PNS0_10empty_typeENS0_5tupleIJS8_S9_EEENSB_IJS8_SA_EEENS0_18inequality_wrapperIZN2at6native12_GLOBAL__N_124unique_dim_cuda_templateIhEESt5tupleIJNSF_6TensorESK_SK_EERKSK_lbbbEUlllE0_EEPmJS9_EEE10hipError_tPvRmT3_T4_T5_T6_T7_T9_mT8_P12ihipStream_tbDpT10_ENKUlT_T0_E_clISt17integral_constantIbLb1EES1A_EEDaS15_S16_EUlS15_E_NS1_11comp_targetILNS1_3genE10ELNS1_11target_archE1200ELNS1_3gpuE4ELNS1_3repE0EEENS1_30default_config_static_selectorELNS0_4arch9wavefront6targetE1EEEvT1_, .Lfunc_end217-_ZN7rocprim17ROCPRIM_400000_NS6detail17trampoline_kernelINS0_14default_configENS1_25partition_config_selectorILNS1_17partition_subalgoE9EllbEEZZNS1_14partition_implILS5_9ELb0ES3_jPlS8_PNS0_10empty_typeENS0_5tupleIJS8_S9_EEENSB_IJS8_SA_EEENS0_18inequality_wrapperIZN2at6native12_GLOBAL__N_124unique_dim_cuda_templateIhEESt5tupleIJNSF_6TensorESK_SK_EERKSK_lbbbEUlllE0_EEPmJS9_EEE10hipError_tPvRmT3_T4_T5_T6_T7_T9_mT8_P12ihipStream_tbDpT10_ENKUlT_T0_E_clISt17integral_constantIbLb1EES1A_EEDaS15_S16_EUlS15_E_NS1_11comp_targetILNS1_3genE10ELNS1_11target_archE1200ELNS1_3gpuE4ELNS1_3repE0EEENS1_30default_config_static_selectorELNS0_4arch9wavefront6targetE1EEEvT1_
                                        ; -- End function
	.section	.AMDGPU.csdata,"",@progbits
; Kernel info:
; codeLenInByte = 0
; NumSgprs: 4
; NumVgprs: 0
; NumAgprs: 0
; TotalNumVgprs: 0
; ScratchSize: 0
; MemoryBound: 0
; FloatMode: 240
; IeeeMode: 1
; LDSByteSize: 0 bytes/workgroup (compile time only)
; SGPRBlocks: 0
; VGPRBlocks: 0
; NumSGPRsForWavesPerEU: 4
; NumVGPRsForWavesPerEU: 1
; AccumOffset: 4
; Occupancy: 8
; WaveLimiterHint : 0
; COMPUTE_PGM_RSRC2:SCRATCH_EN: 0
; COMPUTE_PGM_RSRC2:USER_SGPR: 6
; COMPUTE_PGM_RSRC2:TRAP_HANDLER: 0
; COMPUTE_PGM_RSRC2:TGID_X_EN: 1
; COMPUTE_PGM_RSRC2:TGID_Y_EN: 0
; COMPUTE_PGM_RSRC2:TGID_Z_EN: 0
; COMPUTE_PGM_RSRC2:TIDIG_COMP_CNT: 0
; COMPUTE_PGM_RSRC3_GFX90A:ACCUM_OFFSET: 0
; COMPUTE_PGM_RSRC3_GFX90A:TG_SPLIT: 0
	.section	.text._ZN7rocprim17ROCPRIM_400000_NS6detail17trampoline_kernelINS0_14default_configENS1_25partition_config_selectorILNS1_17partition_subalgoE9EllbEEZZNS1_14partition_implILS5_9ELb0ES3_jPlS8_PNS0_10empty_typeENS0_5tupleIJS8_S9_EEENSB_IJS8_SA_EEENS0_18inequality_wrapperIZN2at6native12_GLOBAL__N_124unique_dim_cuda_templateIhEESt5tupleIJNSF_6TensorESK_SK_EERKSK_lbbbEUlllE0_EEPmJS9_EEE10hipError_tPvRmT3_T4_T5_T6_T7_T9_mT8_P12ihipStream_tbDpT10_ENKUlT_T0_E_clISt17integral_constantIbLb1EES1A_EEDaS15_S16_EUlS15_E_NS1_11comp_targetILNS1_3genE9ELNS1_11target_archE1100ELNS1_3gpuE3ELNS1_3repE0EEENS1_30default_config_static_selectorELNS0_4arch9wavefront6targetE1EEEvT1_,"axG",@progbits,_ZN7rocprim17ROCPRIM_400000_NS6detail17trampoline_kernelINS0_14default_configENS1_25partition_config_selectorILNS1_17partition_subalgoE9EllbEEZZNS1_14partition_implILS5_9ELb0ES3_jPlS8_PNS0_10empty_typeENS0_5tupleIJS8_S9_EEENSB_IJS8_SA_EEENS0_18inequality_wrapperIZN2at6native12_GLOBAL__N_124unique_dim_cuda_templateIhEESt5tupleIJNSF_6TensorESK_SK_EERKSK_lbbbEUlllE0_EEPmJS9_EEE10hipError_tPvRmT3_T4_T5_T6_T7_T9_mT8_P12ihipStream_tbDpT10_ENKUlT_T0_E_clISt17integral_constantIbLb1EES1A_EEDaS15_S16_EUlS15_E_NS1_11comp_targetILNS1_3genE9ELNS1_11target_archE1100ELNS1_3gpuE3ELNS1_3repE0EEENS1_30default_config_static_selectorELNS0_4arch9wavefront6targetE1EEEvT1_,comdat
	.globl	_ZN7rocprim17ROCPRIM_400000_NS6detail17trampoline_kernelINS0_14default_configENS1_25partition_config_selectorILNS1_17partition_subalgoE9EllbEEZZNS1_14partition_implILS5_9ELb0ES3_jPlS8_PNS0_10empty_typeENS0_5tupleIJS8_S9_EEENSB_IJS8_SA_EEENS0_18inequality_wrapperIZN2at6native12_GLOBAL__N_124unique_dim_cuda_templateIhEESt5tupleIJNSF_6TensorESK_SK_EERKSK_lbbbEUlllE0_EEPmJS9_EEE10hipError_tPvRmT3_T4_T5_T6_T7_T9_mT8_P12ihipStream_tbDpT10_ENKUlT_T0_E_clISt17integral_constantIbLb1EES1A_EEDaS15_S16_EUlS15_E_NS1_11comp_targetILNS1_3genE9ELNS1_11target_archE1100ELNS1_3gpuE3ELNS1_3repE0EEENS1_30default_config_static_selectorELNS0_4arch9wavefront6targetE1EEEvT1_ ; -- Begin function _ZN7rocprim17ROCPRIM_400000_NS6detail17trampoline_kernelINS0_14default_configENS1_25partition_config_selectorILNS1_17partition_subalgoE9EllbEEZZNS1_14partition_implILS5_9ELb0ES3_jPlS8_PNS0_10empty_typeENS0_5tupleIJS8_S9_EEENSB_IJS8_SA_EEENS0_18inequality_wrapperIZN2at6native12_GLOBAL__N_124unique_dim_cuda_templateIhEESt5tupleIJNSF_6TensorESK_SK_EERKSK_lbbbEUlllE0_EEPmJS9_EEE10hipError_tPvRmT3_T4_T5_T6_T7_T9_mT8_P12ihipStream_tbDpT10_ENKUlT_T0_E_clISt17integral_constantIbLb1EES1A_EEDaS15_S16_EUlS15_E_NS1_11comp_targetILNS1_3genE9ELNS1_11target_archE1100ELNS1_3gpuE3ELNS1_3repE0EEENS1_30default_config_static_selectorELNS0_4arch9wavefront6targetE1EEEvT1_
	.p2align	8
	.type	_ZN7rocprim17ROCPRIM_400000_NS6detail17trampoline_kernelINS0_14default_configENS1_25partition_config_selectorILNS1_17partition_subalgoE9EllbEEZZNS1_14partition_implILS5_9ELb0ES3_jPlS8_PNS0_10empty_typeENS0_5tupleIJS8_S9_EEENSB_IJS8_SA_EEENS0_18inequality_wrapperIZN2at6native12_GLOBAL__N_124unique_dim_cuda_templateIhEESt5tupleIJNSF_6TensorESK_SK_EERKSK_lbbbEUlllE0_EEPmJS9_EEE10hipError_tPvRmT3_T4_T5_T6_T7_T9_mT8_P12ihipStream_tbDpT10_ENKUlT_T0_E_clISt17integral_constantIbLb1EES1A_EEDaS15_S16_EUlS15_E_NS1_11comp_targetILNS1_3genE9ELNS1_11target_archE1100ELNS1_3gpuE3ELNS1_3repE0EEENS1_30default_config_static_selectorELNS0_4arch9wavefront6targetE1EEEvT1_,@function
_ZN7rocprim17ROCPRIM_400000_NS6detail17trampoline_kernelINS0_14default_configENS1_25partition_config_selectorILNS1_17partition_subalgoE9EllbEEZZNS1_14partition_implILS5_9ELb0ES3_jPlS8_PNS0_10empty_typeENS0_5tupleIJS8_S9_EEENSB_IJS8_SA_EEENS0_18inequality_wrapperIZN2at6native12_GLOBAL__N_124unique_dim_cuda_templateIhEESt5tupleIJNSF_6TensorESK_SK_EERKSK_lbbbEUlllE0_EEPmJS9_EEE10hipError_tPvRmT3_T4_T5_T6_T7_T9_mT8_P12ihipStream_tbDpT10_ENKUlT_T0_E_clISt17integral_constantIbLb1EES1A_EEDaS15_S16_EUlS15_E_NS1_11comp_targetILNS1_3genE9ELNS1_11target_archE1100ELNS1_3gpuE3ELNS1_3repE0EEENS1_30default_config_static_selectorELNS0_4arch9wavefront6targetE1EEEvT1_: ; @_ZN7rocprim17ROCPRIM_400000_NS6detail17trampoline_kernelINS0_14default_configENS1_25partition_config_selectorILNS1_17partition_subalgoE9EllbEEZZNS1_14partition_implILS5_9ELb0ES3_jPlS8_PNS0_10empty_typeENS0_5tupleIJS8_S9_EEENSB_IJS8_SA_EEENS0_18inequality_wrapperIZN2at6native12_GLOBAL__N_124unique_dim_cuda_templateIhEESt5tupleIJNSF_6TensorESK_SK_EERKSK_lbbbEUlllE0_EEPmJS9_EEE10hipError_tPvRmT3_T4_T5_T6_T7_T9_mT8_P12ihipStream_tbDpT10_ENKUlT_T0_E_clISt17integral_constantIbLb1EES1A_EEDaS15_S16_EUlS15_E_NS1_11comp_targetILNS1_3genE9ELNS1_11target_archE1100ELNS1_3gpuE3ELNS1_3repE0EEENS1_30default_config_static_selectorELNS0_4arch9wavefront6targetE1EEEvT1_
; %bb.0:
	.section	.rodata,"a",@progbits
	.p2align	6, 0x0
	.amdhsa_kernel _ZN7rocprim17ROCPRIM_400000_NS6detail17trampoline_kernelINS0_14default_configENS1_25partition_config_selectorILNS1_17partition_subalgoE9EllbEEZZNS1_14partition_implILS5_9ELb0ES3_jPlS8_PNS0_10empty_typeENS0_5tupleIJS8_S9_EEENSB_IJS8_SA_EEENS0_18inequality_wrapperIZN2at6native12_GLOBAL__N_124unique_dim_cuda_templateIhEESt5tupleIJNSF_6TensorESK_SK_EERKSK_lbbbEUlllE0_EEPmJS9_EEE10hipError_tPvRmT3_T4_T5_T6_T7_T9_mT8_P12ihipStream_tbDpT10_ENKUlT_T0_E_clISt17integral_constantIbLb1EES1A_EEDaS15_S16_EUlS15_E_NS1_11comp_targetILNS1_3genE9ELNS1_11target_archE1100ELNS1_3gpuE3ELNS1_3repE0EEENS1_30default_config_static_selectorELNS0_4arch9wavefront6targetE1EEEvT1_
		.amdhsa_group_segment_fixed_size 0
		.amdhsa_private_segment_fixed_size 0
		.amdhsa_kernarg_size 136
		.amdhsa_user_sgpr_count 6
		.amdhsa_user_sgpr_private_segment_buffer 1
		.amdhsa_user_sgpr_dispatch_ptr 0
		.amdhsa_user_sgpr_queue_ptr 0
		.amdhsa_user_sgpr_kernarg_segment_ptr 1
		.amdhsa_user_sgpr_dispatch_id 0
		.amdhsa_user_sgpr_flat_scratch_init 0
		.amdhsa_user_sgpr_kernarg_preload_length 0
		.amdhsa_user_sgpr_kernarg_preload_offset 0
		.amdhsa_user_sgpr_private_segment_size 0
		.amdhsa_uses_dynamic_stack 0
		.amdhsa_system_sgpr_private_segment_wavefront_offset 0
		.amdhsa_system_sgpr_workgroup_id_x 1
		.amdhsa_system_sgpr_workgroup_id_y 0
		.amdhsa_system_sgpr_workgroup_id_z 0
		.amdhsa_system_sgpr_workgroup_info 0
		.amdhsa_system_vgpr_workitem_id 0
		.amdhsa_next_free_vgpr 1
		.amdhsa_next_free_sgpr 0
		.amdhsa_accum_offset 4
		.amdhsa_reserve_vcc 0
		.amdhsa_reserve_flat_scratch 0
		.amdhsa_float_round_mode_32 0
		.amdhsa_float_round_mode_16_64 0
		.amdhsa_float_denorm_mode_32 3
		.amdhsa_float_denorm_mode_16_64 3
		.amdhsa_dx10_clamp 1
		.amdhsa_ieee_mode 1
		.amdhsa_fp16_overflow 0
		.amdhsa_tg_split 0
		.amdhsa_exception_fp_ieee_invalid_op 0
		.amdhsa_exception_fp_denorm_src 0
		.amdhsa_exception_fp_ieee_div_zero 0
		.amdhsa_exception_fp_ieee_overflow 0
		.amdhsa_exception_fp_ieee_underflow 0
		.amdhsa_exception_fp_ieee_inexact 0
		.amdhsa_exception_int_div_zero 0
	.end_amdhsa_kernel
	.section	.text._ZN7rocprim17ROCPRIM_400000_NS6detail17trampoline_kernelINS0_14default_configENS1_25partition_config_selectorILNS1_17partition_subalgoE9EllbEEZZNS1_14partition_implILS5_9ELb0ES3_jPlS8_PNS0_10empty_typeENS0_5tupleIJS8_S9_EEENSB_IJS8_SA_EEENS0_18inequality_wrapperIZN2at6native12_GLOBAL__N_124unique_dim_cuda_templateIhEESt5tupleIJNSF_6TensorESK_SK_EERKSK_lbbbEUlllE0_EEPmJS9_EEE10hipError_tPvRmT3_T4_T5_T6_T7_T9_mT8_P12ihipStream_tbDpT10_ENKUlT_T0_E_clISt17integral_constantIbLb1EES1A_EEDaS15_S16_EUlS15_E_NS1_11comp_targetILNS1_3genE9ELNS1_11target_archE1100ELNS1_3gpuE3ELNS1_3repE0EEENS1_30default_config_static_selectorELNS0_4arch9wavefront6targetE1EEEvT1_,"axG",@progbits,_ZN7rocprim17ROCPRIM_400000_NS6detail17trampoline_kernelINS0_14default_configENS1_25partition_config_selectorILNS1_17partition_subalgoE9EllbEEZZNS1_14partition_implILS5_9ELb0ES3_jPlS8_PNS0_10empty_typeENS0_5tupleIJS8_S9_EEENSB_IJS8_SA_EEENS0_18inequality_wrapperIZN2at6native12_GLOBAL__N_124unique_dim_cuda_templateIhEESt5tupleIJNSF_6TensorESK_SK_EERKSK_lbbbEUlllE0_EEPmJS9_EEE10hipError_tPvRmT3_T4_T5_T6_T7_T9_mT8_P12ihipStream_tbDpT10_ENKUlT_T0_E_clISt17integral_constantIbLb1EES1A_EEDaS15_S16_EUlS15_E_NS1_11comp_targetILNS1_3genE9ELNS1_11target_archE1100ELNS1_3gpuE3ELNS1_3repE0EEENS1_30default_config_static_selectorELNS0_4arch9wavefront6targetE1EEEvT1_,comdat
.Lfunc_end218:
	.size	_ZN7rocprim17ROCPRIM_400000_NS6detail17trampoline_kernelINS0_14default_configENS1_25partition_config_selectorILNS1_17partition_subalgoE9EllbEEZZNS1_14partition_implILS5_9ELb0ES3_jPlS8_PNS0_10empty_typeENS0_5tupleIJS8_S9_EEENSB_IJS8_SA_EEENS0_18inequality_wrapperIZN2at6native12_GLOBAL__N_124unique_dim_cuda_templateIhEESt5tupleIJNSF_6TensorESK_SK_EERKSK_lbbbEUlllE0_EEPmJS9_EEE10hipError_tPvRmT3_T4_T5_T6_T7_T9_mT8_P12ihipStream_tbDpT10_ENKUlT_T0_E_clISt17integral_constantIbLb1EES1A_EEDaS15_S16_EUlS15_E_NS1_11comp_targetILNS1_3genE9ELNS1_11target_archE1100ELNS1_3gpuE3ELNS1_3repE0EEENS1_30default_config_static_selectorELNS0_4arch9wavefront6targetE1EEEvT1_, .Lfunc_end218-_ZN7rocprim17ROCPRIM_400000_NS6detail17trampoline_kernelINS0_14default_configENS1_25partition_config_selectorILNS1_17partition_subalgoE9EllbEEZZNS1_14partition_implILS5_9ELb0ES3_jPlS8_PNS0_10empty_typeENS0_5tupleIJS8_S9_EEENSB_IJS8_SA_EEENS0_18inequality_wrapperIZN2at6native12_GLOBAL__N_124unique_dim_cuda_templateIhEESt5tupleIJNSF_6TensorESK_SK_EERKSK_lbbbEUlllE0_EEPmJS9_EEE10hipError_tPvRmT3_T4_T5_T6_T7_T9_mT8_P12ihipStream_tbDpT10_ENKUlT_T0_E_clISt17integral_constantIbLb1EES1A_EEDaS15_S16_EUlS15_E_NS1_11comp_targetILNS1_3genE9ELNS1_11target_archE1100ELNS1_3gpuE3ELNS1_3repE0EEENS1_30default_config_static_selectorELNS0_4arch9wavefront6targetE1EEEvT1_
                                        ; -- End function
	.section	.AMDGPU.csdata,"",@progbits
; Kernel info:
; codeLenInByte = 0
; NumSgprs: 4
; NumVgprs: 0
; NumAgprs: 0
; TotalNumVgprs: 0
; ScratchSize: 0
; MemoryBound: 0
; FloatMode: 240
; IeeeMode: 1
; LDSByteSize: 0 bytes/workgroup (compile time only)
; SGPRBlocks: 0
; VGPRBlocks: 0
; NumSGPRsForWavesPerEU: 4
; NumVGPRsForWavesPerEU: 1
; AccumOffset: 4
; Occupancy: 8
; WaveLimiterHint : 0
; COMPUTE_PGM_RSRC2:SCRATCH_EN: 0
; COMPUTE_PGM_RSRC2:USER_SGPR: 6
; COMPUTE_PGM_RSRC2:TRAP_HANDLER: 0
; COMPUTE_PGM_RSRC2:TGID_X_EN: 1
; COMPUTE_PGM_RSRC2:TGID_Y_EN: 0
; COMPUTE_PGM_RSRC2:TGID_Z_EN: 0
; COMPUTE_PGM_RSRC2:TIDIG_COMP_CNT: 0
; COMPUTE_PGM_RSRC3_GFX90A:ACCUM_OFFSET: 0
; COMPUTE_PGM_RSRC3_GFX90A:TG_SPLIT: 0
	.section	.text._ZN7rocprim17ROCPRIM_400000_NS6detail17trampoline_kernelINS0_14default_configENS1_25partition_config_selectorILNS1_17partition_subalgoE9EllbEEZZNS1_14partition_implILS5_9ELb0ES3_jPlS8_PNS0_10empty_typeENS0_5tupleIJS8_S9_EEENSB_IJS8_SA_EEENS0_18inequality_wrapperIZN2at6native12_GLOBAL__N_124unique_dim_cuda_templateIhEESt5tupleIJNSF_6TensorESK_SK_EERKSK_lbbbEUlllE0_EEPmJS9_EEE10hipError_tPvRmT3_T4_T5_T6_T7_T9_mT8_P12ihipStream_tbDpT10_ENKUlT_T0_E_clISt17integral_constantIbLb1EES1A_EEDaS15_S16_EUlS15_E_NS1_11comp_targetILNS1_3genE8ELNS1_11target_archE1030ELNS1_3gpuE2ELNS1_3repE0EEENS1_30default_config_static_selectorELNS0_4arch9wavefront6targetE1EEEvT1_,"axG",@progbits,_ZN7rocprim17ROCPRIM_400000_NS6detail17trampoline_kernelINS0_14default_configENS1_25partition_config_selectorILNS1_17partition_subalgoE9EllbEEZZNS1_14partition_implILS5_9ELb0ES3_jPlS8_PNS0_10empty_typeENS0_5tupleIJS8_S9_EEENSB_IJS8_SA_EEENS0_18inequality_wrapperIZN2at6native12_GLOBAL__N_124unique_dim_cuda_templateIhEESt5tupleIJNSF_6TensorESK_SK_EERKSK_lbbbEUlllE0_EEPmJS9_EEE10hipError_tPvRmT3_T4_T5_T6_T7_T9_mT8_P12ihipStream_tbDpT10_ENKUlT_T0_E_clISt17integral_constantIbLb1EES1A_EEDaS15_S16_EUlS15_E_NS1_11comp_targetILNS1_3genE8ELNS1_11target_archE1030ELNS1_3gpuE2ELNS1_3repE0EEENS1_30default_config_static_selectorELNS0_4arch9wavefront6targetE1EEEvT1_,comdat
	.globl	_ZN7rocprim17ROCPRIM_400000_NS6detail17trampoline_kernelINS0_14default_configENS1_25partition_config_selectorILNS1_17partition_subalgoE9EllbEEZZNS1_14partition_implILS5_9ELb0ES3_jPlS8_PNS0_10empty_typeENS0_5tupleIJS8_S9_EEENSB_IJS8_SA_EEENS0_18inequality_wrapperIZN2at6native12_GLOBAL__N_124unique_dim_cuda_templateIhEESt5tupleIJNSF_6TensorESK_SK_EERKSK_lbbbEUlllE0_EEPmJS9_EEE10hipError_tPvRmT3_T4_T5_T6_T7_T9_mT8_P12ihipStream_tbDpT10_ENKUlT_T0_E_clISt17integral_constantIbLb1EES1A_EEDaS15_S16_EUlS15_E_NS1_11comp_targetILNS1_3genE8ELNS1_11target_archE1030ELNS1_3gpuE2ELNS1_3repE0EEENS1_30default_config_static_selectorELNS0_4arch9wavefront6targetE1EEEvT1_ ; -- Begin function _ZN7rocprim17ROCPRIM_400000_NS6detail17trampoline_kernelINS0_14default_configENS1_25partition_config_selectorILNS1_17partition_subalgoE9EllbEEZZNS1_14partition_implILS5_9ELb0ES3_jPlS8_PNS0_10empty_typeENS0_5tupleIJS8_S9_EEENSB_IJS8_SA_EEENS0_18inequality_wrapperIZN2at6native12_GLOBAL__N_124unique_dim_cuda_templateIhEESt5tupleIJNSF_6TensorESK_SK_EERKSK_lbbbEUlllE0_EEPmJS9_EEE10hipError_tPvRmT3_T4_T5_T6_T7_T9_mT8_P12ihipStream_tbDpT10_ENKUlT_T0_E_clISt17integral_constantIbLb1EES1A_EEDaS15_S16_EUlS15_E_NS1_11comp_targetILNS1_3genE8ELNS1_11target_archE1030ELNS1_3gpuE2ELNS1_3repE0EEENS1_30default_config_static_selectorELNS0_4arch9wavefront6targetE1EEEvT1_
	.p2align	8
	.type	_ZN7rocprim17ROCPRIM_400000_NS6detail17trampoline_kernelINS0_14default_configENS1_25partition_config_selectorILNS1_17partition_subalgoE9EllbEEZZNS1_14partition_implILS5_9ELb0ES3_jPlS8_PNS0_10empty_typeENS0_5tupleIJS8_S9_EEENSB_IJS8_SA_EEENS0_18inequality_wrapperIZN2at6native12_GLOBAL__N_124unique_dim_cuda_templateIhEESt5tupleIJNSF_6TensorESK_SK_EERKSK_lbbbEUlllE0_EEPmJS9_EEE10hipError_tPvRmT3_T4_T5_T6_T7_T9_mT8_P12ihipStream_tbDpT10_ENKUlT_T0_E_clISt17integral_constantIbLb1EES1A_EEDaS15_S16_EUlS15_E_NS1_11comp_targetILNS1_3genE8ELNS1_11target_archE1030ELNS1_3gpuE2ELNS1_3repE0EEENS1_30default_config_static_selectorELNS0_4arch9wavefront6targetE1EEEvT1_,@function
_ZN7rocprim17ROCPRIM_400000_NS6detail17trampoline_kernelINS0_14default_configENS1_25partition_config_selectorILNS1_17partition_subalgoE9EllbEEZZNS1_14partition_implILS5_9ELb0ES3_jPlS8_PNS0_10empty_typeENS0_5tupleIJS8_S9_EEENSB_IJS8_SA_EEENS0_18inequality_wrapperIZN2at6native12_GLOBAL__N_124unique_dim_cuda_templateIhEESt5tupleIJNSF_6TensorESK_SK_EERKSK_lbbbEUlllE0_EEPmJS9_EEE10hipError_tPvRmT3_T4_T5_T6_T7_T9_mT8_P12ihipStream_tbDpT10_ENKUlT_T0_E_clISt17integral_constantIbLb1EES1A_EEDaS15_S16_EUlS15_E_NS1_11comp_targetILNS1_3genE8ELNS1_11target_archE1030ELNS1_3gpuE2ELNS1_3repE0EEENS1_30default_config_static_selectorELNS0_4arch9wavefront6targetE1EEEvT1_: ; @_ZN7rocprim17ROCPRIM_400000_NS6detail17trampoline_kernelINS0_14default_configENS1_25partition_config_selectorILNS1_17partition_subalgoE9EllbEEZZNS1_14partition_implILS5_9ELb0ES3_jPlS8_PNS0_10empty_typeENS0_5tupleIJS8_S9_EEENSB_IJS8_SA_EEENS0_18inequality_wrapperIZN2at6native12_GLOBAL__N_124unique_dim_cuda_templateIhEESt5tupleIJNSF_6TensorESK_SK_EERKSK_lbbbEUlllE0_EEPmJS9_EEE10hipError_tPvRmT3_T4_T5_T6_T7_T9_mT8_P12ihipStream_tbDpT10_ENKUlT_T0_E_clISt17integral_constantIbLb1EES1A_EEDaS15_S16_EUlS15_E_NS1_11comp_targetILNS1_3genE8ELNS1_11target_archE1030ELNS1_3gpuE2ELNS1_3repE0EEENS1_30default_config_static_selectorELNS0_4arch9wavefront6targetE1EEEvT1_
; %bb.0:
	.section	.rodata,"a",@progbits
	.p2align	6, 0x0
	.amdhsa_kernel _ZN7rocprim17ROCPRIM_400000_NS6detail17trampoline_kernelINS0_14default_configENS1_25partition_config_selectorILNS1_17partition_subalgoE9EllbEEZZNS1_14partition_implILS5_9ELb0ES3_jPlS8_PNS0_10empty_typeENS0_5tupleIJS8_S9_EEENSB_IJS8_SA_EEENS0_18inequality_wrapperIZN2at6native12_GLOBAL__N_124unique_dim_cuda_templateIhEESt5tupleIJNSF_6TensorESK_SK_EERKSK_lbbbEUlllE0_EEPmJS9_EEE10hipError_tPvRmT3_T4_T5_T6_T7_T9_mT8_P12ihipStream_tbDpT10_ENKUlT_T0_E_clISt17integral_constantIbLb1EES1A_EEDaS15_S16_EUlS15_E_NS1_11comp_targetILNS1_3genE8ELNS1_11target_archE1030ELNS1_3gpuE2ELNS1_3repE0EEENS1_30default_config_static_selectorELNS0_4arch9wavefront6targetE1EEEvT1_
		.amdhsa_group_segment_fixed_size 0
		.amdhsa_private_segment_fixed_size 0
		.amdhsa_kernarg_size 136
		.amdhsa_user_sgpr_count 6
		.amdhsa_user_sgpr_private_segment_buffer 1
		.amdhsa_user_sgpr_dispatch_ptr 0
		.amdhsa_user_sgpr_queue_ptr 0
		.amdhsa_user_sgpr_kernarg_segment_ptr 1
		.amdhsa_user_sgpr_dispatch_id 0
		.amdhsa_user_sgpr_flat_scratch_init 0
		.amdhsa_user_sgpr_kernarg_preload_length 0
		.amdhsa_user_sgpr_kernarg_preload_offset 0
		.amdhsa_user_sgpr_private_segment_size 0
		.amdhsa_uses_dynamic_stack 0
		.amdhsa_system_sgpr_private_segment_wavefront_offset 0
		.amdhsa_system_sgpr_workgroup_id_x 1
		.amdhsa_system_sgpr_workgroup_id_y 0
		.amdhsa_system_sgpr_workgroup_id_z 0
		.amdhsa_system_sgpr_workgroup_info 0
		.amdhsa_system_vgpr_workitem_id 0
		.amdhsa_next_free_vgpr 1
		.amdhsa_next_free_sgpr 0
		.amdhsa_accum_offset 4
		.amdhsa_reserve_vcc 0
		.amdhsa_reserve_flat_scratch 0
		.amdhsa_float_round_mode_32 0
		.amdhsa_float_round_mode_16_64 0
		.amdhsa_float_denorm_mode_32 3
		.amdhsa_float_denorm_mode_16_64 3
		.amdhsa_dx10_clamp 1
		.amdhsa_ieee_mode 1
		.amdhsa_fp16_overflow 0
		.amdhsa_tg_split 0
		.amdhsa_exception_fp_ieee_invalid_op 0
		.amdhsa_exception_fp_denorm_src 0
		.amdhsa_exception_fp_ieee_div_zero 0
		.amdhsa_exception_fp_ieee_overflow 0
		.amdhsa_exception_fp_ieee_underflow 0
		.amdhsa_exception_fp_ieee_inexact 0
		.amdhsa_exception_int_div_zero 0
	.end_amdhsa_kernel
	.section	.text._ZN7rocprim17ROCPRIM_400000_NS6detail17trampoline_kernelINS0_14default_configENS1_25partition_config_selectorILNS1_17partition_subalgoE9EllbEEZZNS1_14partition_implILS5_9ELb0ES3_jPlS8_PNS0_10empty_typeENS0_5tupleIJS8_S9_EEENSB_IJS8_SA_EEENS0_18inequality_wrapperIZN2at6native12_GLOBAL__N_124unique_dim_cuda_templateIhEESt5tupleIJNSF_6TensorESK_SK_EERKSK_lbbbEUlllE0_EEPmJS9_EEE10hipError_tPvRmT3_T4_T5_T6_T7_T9_mT8_P12ihipStream_tbDpT10_ENKUlT_T0_E_clISt17integral_constantIbLb1EES1A_EEDaS15_S16_EUlS15_E_NS1_11comp_targetILNS1_3genE8ELNS1_11target_archE1030ELNS1_3gpuE2ELNS1_3repE0EEENS1_30default_config_static_selectorELNS0_4arch9wavefront6targetE1EEEvT1_,"axG",@progbits,_ZN7rocprim17ROCPRIM_400000_NS6detail17trampoline_kernelINS0_14default_configENS1_25partition_config_selectorILNS1_17partition_subalgoE9EllbEEZZNS1_14partition_implILS5_9ELb0ES3_jPlS8_PNS0_10empty_typeENS0_5tupleIJS8_S9_EEENSB_IJS8_SA_EEENS0_18inequality_wrapperIZN2at6native12_GLOBAL__N_124unique_dim_cuda_templateIhEESt5tupleIJNSF_6TensorESK_SK_EERKSK_lbbbEUlllE0_EEPmJS9_EEE10hipError_tPvRmT3_T4_T5_T6_T7_T9_mT8_P12ihipStream_tbDpT10_ENKUlT_T0_E_clISt17integral_constantIbLb1EES1A_EEDaS15_S16_EUlS15_E_NS1_11comp_targetILNS1_3genE8ELNS1_11target_archE1030ELNS1_3gpuE2ELNS1_3repE0EEENS1_30default_config_static_selectorELNS0_4arch9wavefront6targetE1EEEvT1_,comdat
.Lfunc_end219:
	.size	_ZN7rocprim17ROCPRIM_400000_NS6detail17trampoline_kernelINS0_14default_configENS1_25partition_config_selectorILNS1_17partition_subalgoE9EllbEEZZNS1_14partition_implILS5_9ELb0ES3_jPlS8_PNS0_10empty_typeENS0_5tupleIJS8_S9_EEENSB_IJS8_SA_EEENS0_18inequality_wrapperIZN2at6native12_GLOBAL__N_124unique_dim_cuda_templateIhEESt5tupleIJNSF_6TensorESK_SK_EERKSK_lbbbEUlllE0_EEPmJS9_EEE10hipError_tPvRmT3_T4_T5_T6_T7_T9_mT8_P12ihipStream_tbDpT10_ENKUlT_T0_E_clISt17integral_constantIbLb1EES1A_EEDaS15_S16_EUlS15_E_NS1_11comp_targetILNS1_3genE8ELNS1_11target_archE1030ELNS1_3gpuE2ELNS1_3repE0EEENS1_30default_config_static_selectorELNS0_4arch9wavefront6targetE1EEEvT1_, .Lfunc_end219-_ZN7rocprim17ROCPRIM_400000_NS6detail17trampoline_kernelINS0_14default_configENS1_25partition_config_selectorILNS1_17partition_subalgoE9EllbEEZZNS1_14partition_implILS5_9ELb0ES3_jPlS8_PNS0_10empty_typeENS0_5tupleIJS8_S9_EEENSB_IJS8_SA_EEENS0_18inequality_wrapperIZN2at6native12_GLOBAL__N_124unique_dim_cuda_templateIhEESt5tupleIJNSF_6TensorESK_SK_EERKSK_lbbbEUlllE0_EEPmJS9_EEE10hipError_tPvRmT3_T4_T5_T6_T7_T9_mT8_P12ihipStream_tbDpT10_ENKUlT_T0_E_clISt17integral_constantIbLb1EES1A_EEDaS15_S16_EUlS15_E_NS1_11comp_targetILNS1_3genE8ELNS1_11target_archE1030ELNS1_3gpuE2ELNS1_3repE0EEENS1_30default_config_static_selectorELNS0_4arch9wavefront6targetE1EEEvT1_
                                        ; -- End function
	.section	.AMDGPU.csdata,"",@progbits
; Kernel info:
; codeLenInByte = 0
; NumSgprs: 4
; NumVgprs: 0
; NumAgprs: 0
; TotalNumVgprs: 0
; ScratchSize: 0
; MemoryBound: 0
; FloatMode: 240
; IeeeMode: 1
; LDSByteSize: 0 bytes/workgroup (compile time only)
; SGPRBlocks: 0
; VGPRBlocks: 0
; NumSGPRsForWavesPerEU: 4
; NumVGPRsForWavesPerEU: 1
; AccumOffset: 4
; Occupancy: 8
; WaveLimiterHint : 0
; COMPUTE_PGM_RSRC2:SCRATCH_EN: 0
; COMPUTE_PGM_RSRC2:USER_SGPR: 6
; COMPUTE_PGM_RSRC2:TRAP_HANDLER: 0
; COMPUTE_PGM_RSRC2:TGID_X_EN: 1
; COMPUTE_PGM_RSRC2:TGID_Y_EN: 0
; COMPUTE_PGM_RSRC2:TGID_Z_EN: 0
; COMPUTE_PGM_RSRC2:TIDIG_COMP_CNT: 0
; COMPUTE_PGM_RSRC3_GFX90A:ACCUM_OFFSET: 0
; COMPUTE_PGM_RSRC3_GFX90A:TG_SPLIT: 0
	.section	.text._ZN7rocprim17ROCPRIM_400000_NS6detail17trampoline_kernelINS0_14default_configENS1_25partition_config_selectorILNS1_17partition_subalgoE9EllbEEZZNS1_14partition_implILS5_9ELb0ES3_jPlS8_PNS0_10empty_typeENS0_5tupleIJS8_S9_EEENSB_IJS8_SA_EEENS0_18inequality_wrapperIZN2at6native12_GLOBAL__N_124unique_dim_cuda_templateIhEESt5tupleIJNSF_6TensorESK_SK_EERKSK_lbbbEUlllE0_EEPmJS9_EEE10hipError_tPvRmT3_T4_T5_T6_T7_T9_mT8_P12ihipStream_tbDpT10_ENKUlT_T0_E_clISt17integral_constantIbLb1EES19_IbLb0EEEEDaS15_S16_EUlS15_E_NS1_11comp_targetILNS1_3genE0ELNS1_11target_archE4294967295ELNS1_3gpuE0ELNS1_3repE0EEENS1_30default_config_static_selectorELNS0_4arch9wavefront6targetE1EEEvT1_,"axG",@progbits,_ZN7rocprim17ROCPRIM_400000_NS6detail17trampoline_kernelINS0_14default_configENS1_25partition_config_selectorILNS1_17partition_subalgoE9EllbEEZZNS1_14partition_implILS5_9ELb0ES3_jPlS8_PNS0_10empty_typeENS0_5tupleIJS8_S9_EEENSB_IJS8_SA_EEENS0_18inequality_wrapperIZN2at6native12_GLOBAL__N_124unique_dim_cuda_templateIhEESt5tupleIJNSF_6TensorESK_SK_EERKSK_lbbbEUlllE0_EEPmJS9_EEE10hipError_tPvRmT3_T4_T5_T6_T7_T9_mT8_P12ihipStream_tbDpT10_ENKUlT_T0_E_clISt17integral_constantIbLb1EES19_IbLb0EEEEDaS15_S16_EUlS15_E_NS1_11comp_targetILNS1_3genE0ELNS1_11target_archE4294967295ELNS1_3gpuE0ELNS1_3repE0EEENS1_30default_config_static_selectorELNS0_4arch9wavefront6targetE1EEEvT1_,comdat
	.globl	_ZN7rocprim17ROCPRIM_400000_NS6detail17trampoline_kernelINS0_14default_configENS1_25partition_config_selectorILNS1_17partition_subalgoE9EllbEEZZNS1_14partition_implILS5_9ELb0ES3_jPlS8_PNS0_10empty_typeENS0_5tupleIJS8_S9_EEENSB_IJS8_SA_EEENS0_18inequality_wrapperIZN2at6native12_GLOBAL__N_124unique_dim_cuda_templateIhEESt5tupleIJNSF_6TensorESK_SK_EERKSK_lbbbEUlllE0_EEPmJS9_EEE10hipError_tPvRmT3_T4_T5_T6_T7_T9_mT8_P12ihipStream_tbDpT10_ENKUlT_T0_E_clISt17integral_constantIbLb1EES19_IbLb0EEEEDaS15_S16_EUlS15_E_NS1_11comp_targetILNS1_3genE0ELNS1_11target_archE4294967295ELNS1_3gpuE0ELNS1_3repE0EEENS1_30default_config_static_selectorELNS0_4arch9wavefront6targetE1EEEvT1_ ; -- Begin function _ZN7rocprim17ROCPRIM_400000_NS6detail17trampoline_kernelINS0_14default_configENS1_25partition_config_selectorILNS1_17partition_subalgoE9EllbEEZZNS1_14partition_implILS5_9ELb0ES3_jPlS8_PNS0_10empty_typeENS0_5tupleIJS8_S9_EEENSB_IJS8_SA_EEENS0_18inequality_wrapperIZN2at6native12_GLOBAL__N_124unique_dim_cuda_templateIhEESt5tupleIJNSF_6TensorESK_SK_EERKSK_lbbbEUlllE0_EEPmJS9_EEE10hipError_tPvRmT3_T4_T5_T6_T7_T9_mT8_P12ihipStream_tbDpT10_ENKUlT_T0_E_clISt17integral_constantIbLb1EES19_IbLb0EEEEDaS15_S16_EUlS15_E_NS1_11comp_targetILNS1_3genE0ELNS1_11target_archE4294967295ELNS1_3gpuE0ELNS1_3repE0EEENS1_30default_config_static_selectorELNS0_4arch9wavefront6targetE1EEEvT1_
	.p2align	8
	.type	_ZN7rocprim17ROCPRIM_400000_NS6detail17trampoline_kernelINS0_14default_configENS1_25partition_config_selectorILNS1_17partition_subalgoE9EllbEEZZNS1_14partition_implILS5_9ELb0ES3_jPlS8_PNS0_10empty_typeENS0_5tupleIJS8_S9_EEENSB_IJS8_SA_EEENS0_18inequality_wrapperIZN2at6native12_GLOBAL__N_124unique_dim_cuda_templateIhEESt5tupleIJNSF_6TensorESK_SK_EERKSK_lbbbEUlllE0_EEPmJS9_EEE10hipError_tPvRmT3_T4_T5_T6_T7_T9_mT8_P12ihipStream_tbDpT10_ENKUlT_T0_E_clISt17integral_constantIbLb1EES19_IbLb0EEEEDaS15_S16_EUlS15_E_NS1_11comp_targetILNS1_3genE0ELNS1_11target_archE4294967295ELNS1_3gpuE0ELNS1_3repE0EEENS1_30default_config_static_selectorELNS0_4arch9wavefront6targetE1EEEvT1_,@function
_ZN7rocprim17ROCPRIM_400000_NS6detail17trampoline_kernelINS0_14default_configENS1_25partition_config_selectorILNS1_17partition_subalgoE9EllbEEZZNS1_14partition_implILS5_9ELb0ES3_jPlS8_PNS0_10empty_typeENS0_5tupleIJS8_S9_EEENSB_IJS8_SA_EEENS0_18inequality_wrapperIZN2at6native12_GLOBAL__N_124unique_dim_cuda_templateIhEESt5tupleIJNSF_6TensorESK_SK_EERKSK_lbbbEUlllE0_EEPmJS9_EEE10hipError_tPvRmT3_T4_T5_T6_T7_T9_mT8_P12ihipStream_tbDpT10_ENKUlT_T0_E_clISt17integral_constantIbLb1EES19_IbLb0EEEEDaS15_S16_EUlS15_E_NS1_11comp_targetILNS1_3genE0ELNS1_11target_archE4294967295ELNS1_3gpuE0ELNS1_3repE0EEENS1_30default_config_static_selectorELNS0_4arch9wavefront6targetE1EEEvT1_: ; @_ZN7rocprim17ROCPRIM_400000_NS6detail17trampoline_kernelINS0_14default_configENS1_25partition_config_selectorILNS1_17partition_subalgoE9EllbEEZZNS1_14partition_implILS5_9ELb0ES3_jPlS8_PNS0_10empty_typeENS0_5tupleIJS8_S9_EEENSB_IJS8_SA_EEENS0_18inequality_wrapperIZN2at6native12_GLOBAL__N_124unique_dim_cuda_templateIhEESt5tupleIJNSF_6TensorESK_SK_EERKSK_lbbbEUlllE0_EEPmJS9_EEE10hipError_tPvRmT3_T4_T5_T6_T7_T9_mT8_P12ihipStream_tbDpT10_ENKUlT_T0_E_clISt17integral_constantIbLb1EES19_IbLb0EEEEDaS15_S16_EUlS15_E_NS1_11comp_targetILNS1_3genE0ELNS1_11target_archE4294967295ELNS1_3gpuE0ELNS1_3repE0EEENS1_30default_config_static_selectorELNS0_4arch9wavefront6targetE1EEEvT1_
; %bb.0:
	.section	.rodata,"a",@progbits
	.p2align	6, 0x0
	.amdhsa_kernel _ZN7rocprim17ROCPRIM_400000_NS6detail17trampoline_kernelINS0_14default_configENS1_25partition_config_selectorILNS1_17partition_subalgoE9EllbEEZZNS1_14partition_implILS5_9ELb0ES3_jPlS8_PNS0_10empty_typeENS0_5tupleIJS8_S9_EEENSB_IJS8_SA_EEENS0_18inequality_wrapperIZN2at6native12_GLOBAL__N_124unique_dim_cuda_templateIhEESt5tupleIJNSF_6TensorESK_SK_EERKSK_lbbbEUlllE0_EEPmJS9_EEE10hipError_tPvRmT3_T4_T5_T6_T7_T9_mT8_P12ihipStream_tbDpT10_ENKUlT_T0_E_clISt17integral_constantIbLb1EES19_IbLb0EEEEDaS15_S16_EUlS15_E_NS1_11comp_targetILNS1_3genE0ELNS1_11target_archE4294967295ELNS1_3gpuE0ELNS1_3repE0EEENS1_30default_config_static_selectorELNS0_4arch9wavefront6targetE1EEEvT1_
		.amdhsa_group_segment_fixed_size 0
		.amdhsa_private_segment_fixed_size 0
		.amdhsa_kernarg_size 120
		.amdhsa_user_sgpr_count 6
		.amdhsa_user_sgpr_private_segment_buffer 1
		.amdhsa_user_sgpr_dispatch_ptr 0
		.amdhsa_user_sgpr_queue_ptr 0
		.amdhsa_user_sgpr_kernarg_segment_ptr 1
		.amdhsa_user_sgpr_dispatch_id 0
		.amdhsa_user_sgpr_flat_scratch_init 0
		.amdhsa_user_sgpr_kernarg_preload_length 0
		.amdhsa_user_sgpr_kernarg_preload_offset 0
		.amdhsa_user_sgpr_private_segment_size 0
		.amdhsa_uses_dynamic_stack 0
		.amdhsa_system_sgpr_private_segment_wavefront_offset 0
		.amdhsa_system_sgpr_workgroup_id_x 1
		.amdhsa_system_sgpr_workgroup_id_y 0
		.amdhsa_system_sgpr_workgroup_id_z 0
		.amdhsa_system_sgpr_workgroup_info 0
		.amdhsa_system_vgpr_workitem_id 0
		.amdhsa_next_free_vgpr 1
		.amdhsa_next_free_sgpr 0
		.amdhsa_accum_offset 4
		.amdhsa_reserve_vcc 0
		.amdhsa_reserve_flat_scratch 0
		.amdhsa_float_round_mode_32 0
		.amdhsa_float_round_mode_16_64 0
		.amdhsa_float_denorm_mode_32 3
		.amdhsa_float_denorm_mode_16_64 3
		.amdhsa_dx10_clamp 1
		.amdhsa_ieee_mode 1
		.amdhsa_fp16_overflow 0
		.amdhsa_tg_split 0
		.amdhsa_exception_fp_ieee_invalid_op 0
		.amdhsa_exception_fp_denorm_src 0
		.amdhsa_exception_fp_ieee_div_zero 0
		.amdhsa_exception_fp_ieee_overflow 0
		.amdhsa_exception_fp_ieee_underflow 0
		.amdhsa_exception_fp_ieee_inexact 0
		.amdhsa_exception_int_div_zero 0
	.end_amdhsa_kernel
	.section	.text._ZN7rocprim17ROCPRIM_400000_NS6detail17trampoline_kernelINS0_14default_configENS1_25partition_config_selectorILNS1_17partition_subalgoE9EllbEEZZNS1_14partition_implILS5_9ELb0ES3_jPlS8_PNS0_10empty_typeENS0_5tupleIJS8_S9_EEENSB_IJS8_SA_EEENS0_18inequality_wrapperIZN2at6native12_GLOBAL__N_124unique_dim_cuda_templateIhEESt5tupleIJNSF_6TensorESK_SK_EERKSK_lbbbEUlllE0_EEPmJS9_EEE10hipError_tPvRmT3_T4_T5_T6_T7_T9_mT8_P12ihipStream_tbDpT10_ENKUlT_T0_E_clISt17integral_constantIbLb1EES19_IbLb0EEEEDaS15_S16_EUlS15_E_NS1_11comp_targetILNS1_3genE0ELNS1_11target_archE4294967295ELNS1_3gpuE0ELNS1_3repE0EEENS1_30default_config_static_selectorELNS0_4arch9wavefront6targetE1EEEvT1_,"axG",@progbits,_ZN7rocprim17ROCPRIM_400000_NS6detail17trampoline_kernelINS0_14default_configENS1_25partition_config_selectorILNS1_17partition_subalgoE9EllbEEZZNS1_14partition_implILS5_9ELb0ES3_jPlS8_PNS0_10empty_typeENS0_5tupleIJS8_S9_EEENSB_IJS8_SA_EEENS0_18inequality_wrapperIZN2at6native12_GLOBAL__N_124unique_dim_cuda_templateIhEESt5tupleIJNSF_6TensorESK_SK_EERKSK_lbbbEUlllE0_EEPmJS9_EEE10hipError_tPvRmT3_T4_T5_T6_T7_T9_mT8_P12ihipStream_tbDpT10_ENKUlT_T0_E_clISt17integral_constantIbLb1EES19_IbLb0EEEEDaS15_S16_EUlS15_E_NS1_11comp_targetILNS1_3genE0ELNS1_11target_archE4294967295ELNS1_3gpuE0ELNS1_3repE0EEENS1_30default_config_static_selectorELNS0_4arch9wavefront6targetE1EEEvT1_,comdat
.Lfunc_end220:
	.size	_ZN7rocprim17ROCPRIM_400000_NS6detail17trampoline_kernelINS0_14default_configENS1_25partition_config_selectorILNS1_17partition_subalgoE9EllbEEZZNS1_14partition_implILS5_9ELb0ES3_jPlS8_PNS0_10empty_typeENS0_5tupleIJS8_S9_EEENSB_IJS8_SA_EEENS0_18inequality_wrapperIZN2at6native12_GLOBAL__N_124unique_dim_cuda_templateIhEESt5tupleIJNSF_6TensorESK_SK_EERKSK_lbbbEUlllE0_EEPmJS9_EEE10hipError_tPvRmT3_T4_T5_T6_T7_T9_mT8_P12ihipStream_tbDpT10_ENKUlT_T0_E_clISt17integral_constantIbLb1EES19_IbLb0EEEEDaS15_S16_EUlS15_E_NS1_11comp_targetILNS1_3genE0ELNS1_11target_archE4294967295ELNS1_3gpuE0ELNS1_3repE0EEENS1_30default_config_static_selectorELNS0_4arch9wavefront6targetE1EEEvT1_, .Lfunc_end220-_ZN7rocprim17ROCPRIM_400000_NS6detail17trampoline_kernelINS0_14default_configENS1_25partition_config_selectorILNS1_17partition_subalgoE9EllbEEZZNS1_14partition_implILS5_9ELb0ES3_jPlS8_PNS0_10empty_typeENS0_5tupleIJS8_S9_EEENSB_IJS8_SA_EEENS0_18inequality_wrapperIZN2at6native12_GLOBAL__N_124unique_dim_cuda_templateIhEESt5tupleIJNSF_6TensorESK_SK_EERKSK_lbbbEUlllE0_EEPmJS9_EEE10hipError_tPvRmT3_T4_T5_T6_T7_T9_mT8_P12ihipStream_tbDpT10_ENKUlT_T0_E_clISt17integral_constantIbLb1EES19_IbLb0EEEEDaS15_S16_EUlS15_E_NS1_11comp_targetILNS1_3genE0ELNS1_11target_archE4294967295ELNS1_3gpuE0ELNS1_3repE0EEENS1_30default_config_static_selectorELNS0_4arch9wavefront6targetE1EEEvT1_
                                        ; -- End function
	.section	.AMDGPU.csdata,"",@progbits
; Kernel info:
; codeLenInByte = 0
; NumSgprs: 4
; NumVgprs: 0
; NumAgprs: 0
; TotalNumVgprs: 0
; ScratchSize: 0
; MemoryBound: 0
; FloatMode: 240
; IeeeMode: 1
; LDSByteSize: 0 bytes/workgroup (compile time only)
; SGPRBlocks: 0
; VGPRBlocks: 0
; NumSGPRsForWavesPerEU: 4
; NumVGPRsForWavesPerEU: 1
; AccumOffset: 4
; Occupancy: 8
; WaveLimiterHint : 0
; COMPUTE_PGM_RSRC2:SCRATCH_EN: 0
; COMPUTE_PGM_RSRC2:USER_SGPR: 6
; COMPUTE_PGM_RSRC2:TRAP_HANDLER: 0
; COMPUTE_PGM_RSRC2:TGID_X_EN: 1
; COMPUTE_PGM_RSRC2:TGID_Y_EN: 0
; COMPUTE_PGM_RSRC2:TGID_Z_EN: 0
; COMPUTE_PGM_RSRC2:TIDIG_COMP_CNT: 0
; COMPUTE_PGM_RSRC3_GFX90A:ACCUM_OFFSET: 0
; COMPUTE_PGM_RSRC3_GFX90A:TG_SPLIT: 0
	.section	.text._ZN7rocprim17ROCPRIM_400000_NS6detail17trampoline_kernelINS0_14default_configENS1_25partition_config_selectorILNS1_17partition_subalgoE9EllbEEZZNS1_14partition_implILS5_9ELb0ES3_jPlS8_PNS0_10empty_typeENS0_5tupleIJS8_S9_EEENSB_IJS8_SA_EEENS0_18inequality_wrapperIZN2at6native12_GLOBAL__N_124unique_dim_cuda_templateIhEESt5tupleIJNSF_6TensorESK_SK_EERKSK_lbbbEUlllE0_EEPmJS9_EEE10hipError_tPvRmT3_T4_T5_T6_T7_T9_mT8_P12ihipStream_tbDpT10_ENKUlT_T0_E_clISt17integral_constantIbLb1EES19_IbLb0EEEEDaS15_S16_EUlS15_E_NS1_11comp_targetILNS1_3genE5ELNS1_11target_archE942ELNS1_3gpuE9ELNS1_3repE0EEENS1_30default_config_static_selectorELNS0_4arch9wavefront6targetE1EEEvT1_,"axG",@progbits,_ZN7rocprim17ROCPRIM_400000_NS6detail17trampoline_kernelINS0_14default_configENS1_25partition_config_selectorILNS1_17partition_subalgoE9EllbEEZZNS1_14partition_implILS5_9ELb0ES3_jPlS8_PNS0_10empty_typeENS0_5tupleIJS8_S9_EEENSB_IJS8_SA_EEENS0_18inequality_wrapperIZN2at6native12_GLOBAL__N_124unique_dim_cuda_templateIhEESt5tupleIJNSF_6TensorESK_SK_EERKSK_lbbbEUlllE0_EEPmJS9_EEE10hipError_tPvRmT3_T4_T5_T6_T7_T9_mT8_P12ihipStream_tbDpT10_ENKUlT_T0_E_clISt17integral_constantIbLb1EES19_IbLb0EEEEDaS15_S16_EUlS15_E_NS1_11comp_targetILNS1_3genE5ELNS1_11target_archE942ELNS1_3gpuE9ELNS1_3repE0EEENS1_30default_config_static_selectorELNS0_4arch9wavefront6targetE1EEEvT1_,comdat
	.globl	_ZN7rocprim17ROCPRIM_400000_NS6detail17trampoline_kernelINS0_14default_configENS1_25partition_config_selectorILNS1_17partition_subalgoE9EllbEEZZNS1_14partition_implILS5_9ELb0ES3_jPlS8_PNS0_10empty_typeENS0_5tupleIJS8_S9_EEENSB_IJS8_SA_EEENS0_18inequality_wrapperIZN2at6native12_GLOBAL__N_124unique_dim_cuda_templateIhEESt5tupleIJNSF_6TensorESK_SK_EERKSK_lbbbEUlllE0_EEPmJS9_EEE10hipError_tPvRmT3_T4_T5_T6_T7_T9_mT8_P12ihipStream_tbDpT10_ENKUlT_T0_E_clISt17integral_constantIbLb1EES19_IbLb0EEEEDaS15_S16_EUlS15_E_NS1_11comp_targetILNS1_3genE5ELNS1_11target_archE942ELNS1_3gpuE9ELNS1_3repE0EEENS1_30default_config_static_selectorELNS0_4arch9wavefront6targetE1EEEvT1_ ; -- Begin function _ZN7rocprim17ROCPRIM_400000_NS6detail17trampoline_kernelINS0_14default_configENS1_25partition_config_selectorILNS1_17partition_subalgoE9EllbEEZZNS1_14partition_implILS5_9ELb0ES3_jPlS8_PNS0_10empty_typeENS0_5tupleIJS8_S9_EEENSB_IJS8_SA_EEENS0_18inequality_wrapperIZN2at6native12_GLOBAL__N_124unique_dim_cuda_templateIhEESt5tupleIJNSF_6TensorESK_SK_EERKSK_lbbbEUlllE0_EEPmJS9_EEE10hipError_tPvRmT3_T4_T5_T6_T7_T9_mT8_P12ihipStream_tbDpT10_ENKUlT_T0_E_clISt17integral_constantIbLb1EES19_IbLb0EEEEDaS15_S16_EUlS15_E_NS1_11comp_targetILNS1_3genE5ELNS1_11target_archE942ELNS1_3gpuE9ELNS1_3repE0EEENS1_30default_config_static_selectorELNS0_4arch9wavefront6targetE1EEEvT1_
	.p2align	8
	.type	_ZN7rocprim17ROCPRIM_400000_NS6detail17trampoline_kernelINS0_14default_configENS1_25partition_config_selectorILNS1_17partition_subalgoE9EllbEEZZNS1_14partition_implILS5_9ELb0ES3_jPlS8_PNS0_10empty_typeENS0_5tupleIJS8_S9_EEENSB_IJS8_SA_EEENS0_18inequality_wrapperIZN2at6native12_GLOBAL__N_124unique_dim_cuda_templateIhEESt5tupleIJNSF_6TensorESK_SK_EERKSK_lbbbEUlllE0_EEPmJS9_EEE10hipError_tPvRmT3_T4_T5_T6_T7_T9_mT8_P12ihipStream_tbDpT10_ENKUlT_T0_E_clISt17integral_constantIbLb1EES19_IbLb0EEEEDaS15_S16_EUlS15_E_NS1_11comp_targetILNS1_3genE5ELNS1_11target_archE942ELNS1_3gpuE9ELNS1_3repE0EEENS1_30default_config_static_selectorELNS0_4arch9wavefront6targetE1EEEvT1_,@function
_ZN7rocprim17ROCPRIM_400000_NS6detail17trampoline_kernelINS0_14default_configENS1_25partition_config_selectorILNS1_17partition_subalgoE9EllbEEZZNS1_14partition_implILS5_9ELb0ES3_jPlS8_PNS0_10empty_typeENS0_5tupleIJS8_S9_EEENSB_IJS8_SA_EEENS0_18inequality_wrapperIZN2at6native12_GLOBAL__N_124unique_dim_cuda_templateIhEESt5tupleIJNSF_6TensorESK_SK_EERKSK_lbbbEUlllE0_EEPmJS9_EEE10hipError_tPvRmT3_T4_T5_T6_T7_T9_mT8_P12ihipStream_tbDpT10_ENKUlT_T0_E_clISt17integral_constantIbLb1EES19_IbLb0EEEEDaS15_S16_EUlS15_E_NS1_11comp_targetILNS1_3genE5ELNS1_11target_archE942ELNS1_3gpuE9ELNS1_3repE0EEENS1_30default_config_static_selectorELNS0_4arch9wavefront6targetE1EEEvT1_: ; @_ZN7rocprim17ROCPRIM_400000_NS6detail17trampoline_kernelINS0_14default_configENS1_25partition_config_selectorILNS1_17partition_subalgoE9EllbEEZZNS1_14partition_implILS5_9ELb0ES3_jPlS8_PNS0_10empty_typeENS0_5tupleIJS8_S9_EEENSB_IJS8_SA_EEENS0_18inequality_wrapperIZN2at6native12_GLOBAL__N_124unique_dim_cuda_templateIhEESt5tupleIJNSF_6TensorESK_SK_EERKSK_lbbbEUlllE0_EEPmJS9_EEE10hipError_tPvRmT3_T4_T5_T6_T7_T9_mT8_P12ihipStream_tbDpT10_ENKUlT_T0_E_clISt17integral_constantIbLb1EES19_IbLb0EEEEDaS15_S16_EUlS15_E_NS1_11comp_targetILNS1_3genE5ELNS1_11target_archE942ELNS1_3gpuE9ELNS1_3repE0EEENS1_30default_config_static_selectorELNS0_4arch9wavefront6targetE1EEEvT1_
; %bb.0:
	.section	.rodata,"a",@progbits
	.p2align	6, 0x0
	.amdhsa_kernel _ZN7rocprim17ROCPRIM_400000_NS6detail17trampoline_kernelINS0_14default_configENS1_25partition_config_selectorILNS1_17partition_subalgoE9EllbEEZZNS1_14partition_implILS5_9ELb0ES3_jPlS8_PNS0_10empty_typeENS0_5tupleIJS8_S9_EEENSB_IJS8_SA_EEENS0_18inequality_wrapperIZN2at6native12_GLOBAL__N_124unique_dim_cuda_templateIhEESt5tupleIJNSF_6TensorESK_SK_EERKSK_lbbbEUlllE0_EEPmJS9_EEE10hipError_tPvRmT3_T4_T5_T6_T7_T9_mT8_P12ihipStream_tbDpT10_ENKUlT_T0_E_clISt17integral_constantIbLb1EES19_IbLb0EEEEDaS15_S16_EUlS15_E_NS1_11comp_targetILNS1_3genE5ELNS1_11target_archE942ELNS1_3gpuE9ELNS1_3repE0EEENS1_30default_config_static_selectorELNS0_4arch9wavefront6targetE1EEEvT1_
		.amdhsa_group_segment_fixed_size 0
		.amdhsa_private_segment_fixed_size 0
		.amdhsa_kernarg_size 120
		.amdhsa_user_sgpr_count 6
		.amdhsa_user_sgpr_private_segment_buffer 1
		.amdhsa_user_sgpr_dispatch_ptr 0
		.amdhsa_user_sgpr_queue_ptr 0
		.amdhsa_user_sgpr_kernarg_segment_ptr 1
		.amdhsa_user_sgpr_dispatch_id 0
		.amdhsa_user_sgpr_flat_scratch_init 0
		.amdhsa_user_sgpr_kernarg_preload_length 0
		.amdhsa_user_sgpr_kernarg_preload_offset 0
		.amdhsa_user_sgpr_private_segment_size 0
		.amdhsa_uses_dynamic_stack 0
		.amdhsa_system_sgpr_private_segment_wavefront_offset 0
		.amdhsa_system_sgpr_workgroup_id_x 1
		.amdhsa_system_sgpr_workgroup_id_y 0
		.amdhsa_system_sgpr_workgroup_id_z 0
		.amdhsa_system_sgpr_workgroup_info 0
		.amdhsa_system_vgpr_workitem_id 0
		.amdhsa_next_free_vgpr 1
		.amdhsa_next_free_sgpr 0
		.amdhsa_accum_offset 4
		.amdhsa_reserve_vcc 0
		.amdhsa_reserve_flat_scratch 0
		.amdhsa_float_round_mode_32 0
		.amdhsa_float_round_mode_16_64 0
		.amdhsa_float_denorm_mode_32 3
		.amdhsa_float_denorm_mode_16_64 3
		.amdhsa_dx10_clamp 1
		.amdhsa_ieee_mode 1
		.amdhsa_fp16_overflow 0
		.amdhsa_tg_split 0
		.amdhsa_exception_fp_ieee_invalid_op 0
		.amdhsa_exception_fp_denorm_src 0
		.amdhsa_exception_fp_ieee_div_zero 0
		.amdhsa_exception_fp_ieee_overflow 0
		.amdhsa_exception_fp_ieee_underflow 0
		.amdhsa_exception_fp_ieee_inexact 0
		.amdhsa_exception_int_div_zero 0
	.end_amdhsa_kernel
	.section	.text._ZN7rocprim17ROCPRIM_400000_NS6detail17trampoline_kernelINS0_14default_configENS1_25partition_config_selectorILNS1_17partition_subalgoE9EllbEEZZNS1_14partition_implILS5_9ELb0ES3_jPlS8_PNS0_10empty_typeENS0_5tupleIJS8_S9_EEENSB_IJS8_SA_EEENS0_18inequality_wrapperIZN2at6native12_GLOBAL__N_124unique_dim_cuda_templateIhEESt5tupleIJNSF_6TensorESK_SK_EERKSK_lbbbEUlllE0_EEPmJS9_EEE10hipError_tPvRmT3_T4_T5_T6_T7_T9_mT8_P12ihipStream_tbDpT10_ENKUlT_T0_E_clISt17integral_constantIbLb1EES19_IbLb0EEEEDaS15_S16_EUlS15_E_NS1_11comp_targetILNS1_3genE5ELNS1_11target_archE942ELNS1_3gpuE9ELNS1_3repE0EEENS1_30default_config_static_selectorELNS0_4arch9wavefront6targetE1EEEvT1_,"axG",@progbits,_ZN7rocprim17ROCPRIM_400000_NS6detail17trampoline_kernelINS0_14default_configENS1_25partition_config_selectorILNS1_17partition_subalgoE9EllbEEZZNS1_14partition_implILS5_9ELb0ES3_jPlS8_PNS0_10empty_typeENS0_5tupleIJS8_S9_EEENSB_IJS8_SA_EEENS0_18inequality_wrapperIZN2at6native12_GLOBAL__N_124unique_dim_cuda_templateIhEESt5tupleIJNSF_6TensorESK_SK_EERKSK_lbbbEUlllE0_EEPmJS9_EEE10hipError_tPvRmT3_T4_T5_T6_T7_T9_mT8_P12ihipStream_tbDpT10_ENKUlT_T0_E_clISt17integral_constantIbLb1EES19_IbLb0EEEEDaS15_S16_EUlS15_E_NS1_11comp_targetILNS1_3genE5ELNS1_11target_archE942ELNS1_3gpuE9ELNS1_3repE0EEENS1_30default_config_static_selectorELNS0_4arch9wavefront6targetE1EEEvT1_,comdat
.Lfunc_end221:
	.size	_ZN7rocprim17ROCPRIM_400000_NS6detail17trampoline_kernelINS0_14default_configENS1_25partition_config_selectorILNS1_17partition_subalgoE9EllbEEZZNS1_14partition_implILS5_9ELb0ES3_jPlS8_PNS0_10empty_typeENS0_5tupleIJS8_S9_EEENSB_IJS8_SA_EEENS0_18inequality_wrapperIZN2at6native12_GLOBAL__N_124unique_dim_cuda_templateIhEESt5tupleIJNSF_6TensorESK_SK_EERKSK_lbbbEUlllE0_EEPmJS9_EEE10hipError_tPvRmT3_T4_T5_T6_T7_T9_mT8_P12ihipStream_tbDpT10_ENKUlT_T0_E_clISt17integral_constantIbLb1EES19_IbLb0EEEEDaS15_S16_EUlS15_E_NS1_11comp_targetILNS1_3genE5ELNS1_11target_archE942ELNS1_3gpuE9ELNS1_3repE0EEENS1_30default_config_static_selectorELNS0_4arch9wavefront6targetE1EEEvT1_, .Lfunc_end221-_ZN7rocprim17ROCPRIM_400000_NS6detail17trampoline_kernelINS0_14default_configENS1_25partition_config_selectorILNS1_17partition_subalgoE9EllbEEZZNS1_14partition_implILS5_9ELb0ES3_jPlS8_PNS0_10empty_typeENS0_5tupleIJS8_S9_EEENSB_IJS8_SA_EEENS0_18inequality_wrapperIZN2at6native12_GLOBAL__N_124unique_dim_cuda_templateIhEESt5tupleIJNSF_6TensorESK_SK_EERKSK_lbbbEUlllE0_EEPmJS9_EEE10hipError_tPvRmT3_T4_T5_T6_T7_T9_mT8_P12ihipStream_tbDpT10_ENKUlT_T0_E_clISt17integral_constantIbLb1EES19_IbLb0EEEEDaS15_S16_EUlS15_E_NS1_11comp_targetILNS1_3genE5ELNS1_11target_archE942ELNS1_3gpuE9ELNS1_3repE0EEENS1_30default_config_static_selectorELNS0_4arch9wavefront6targetE1EEEvT1_
                                        ; -- End function
	.section	.AMDGPU.csdata,"",@progbits
; Kernel info:
; codeLenInByte = 0
; NumSgprs: 4
; NumVgprs: 0
; NumAgprs: 0
; TotalNumVgprs: 0
; ScratchSize: 0
; MemoryBound: 0
; FloatMode: 240
; IeeeMode: 1
; LDSByteSize: 0 bytes/workgroup (compile time only)
; SGPRBlocks: 0
; VGPRBlocks: 0
; NumSGPRsForWavesPerEU: 4
; NumVGPRsForWavesPerEU: 1
; AccumOffset: 4
; Occupancy: 8
; WaveLimiterHint : 0
; COMPUTE_PGM_RSRC2:SCRATCH_EN: 0
; COMPUTE_PGM_RSRC2:USER_SGPR: 6
; COMPUTE_PGM_RSRC2:TRAP_HANDLER: 0
; COMPUTE_PGM_RSRC2:TGID_X_EN: 1
; COMPUTE_PGM_RSRC2:TGID_Y_EN: 0
; COMPUTE_PGM_RSRC2:TGID_Z_EN: 0
; COMPUTE_PGM_RSRC2:TIDIG_COMP_CNT: 0
; COMPUTE_PGM_RSRC3_GFX90A:ACCUM_OFFSET: 0
; COMPUTE_PGM_RSRC3_GFX90A:TG_SPLIT: 0
	.section	.text._ZN7rocprim17ROCPRIM_400000_NS6detail17trampoline_kernelINS0_14default_configENS1_25partition_config_selectorILNS1_17partition_subalgoE9EllbEEZZNS1_14partition_implILS5_9ELb0ES3_jPlS8_PNS0_10empty_typeENS0_5tupleIJS8_S9_EEENSB_IJS8_SA_EEENS0_18inequality_wrapperIZN2at6native12_GLOBAL__N_124unique_dim_cuda_templateIhEESt5tupleIJNSF_6TensorESK_SK_EERKSK_lbbbEUlllE0_EEPmJS9_EEE10hipError_tPvRmT3_T4_T5_T6_T7_T9_mT8_P12ihipStream_tbDpT10_ENKUlT_T0_E_clISt17integral_constantIbLb1EES19_IbLb0EEEEDaS15_S16_EUlS15_E_NS1_11comp_targetILNS1_3genE4ELNS1_11target_archE910ELNS1_3gpuE8ELNS1_3repE0EEENS1_30default_config_static_selectorELNS0_4arch9wavefront6targetE1EEEvT1_,"axG",@progbits,_ZN7rocprim17ROCPRIM_400000_NS6detail17trampoline_kernelINS0_14default_configENS1_25partition_config_selectorILNS1_17partition_subalgoE9EllbEEZZNS1_14partition_implILS5_9ELb0ES3_jPlS8_PNS0_10empty_typeENS0_5tupleIJS8_S9_EEENSB_IJS8_SA_EEENS0_18inequality_wrapperIZN2at6native12_GLOBAL__N_124unique_dim_cuda_templateIhEESt5tupleIJNSF_6TensorESK_SK_EERKSK_lbbbEUlllE0_EEPmJS9_EEE10hipError_tPvRmT3_T4_T5_T6_T7_T9_mT8_P12ihipStream_tbDpT10_ENKUlT_T0_E_clISt17integral_constantIbLb1EES19_IbLb0EEEEDaS15_S16_EUlS15_E_NS1_11comp_targetILNS1_3genE4ELNS1_11target_archE910ELNS1_3gpuE8ELNS1_3repE0EEENS1_30default_config_static_selectorELNS0_4arch9wavefront6targetE1EEEvT1_,comdat
	.globl	_ZN7rocprim17ROCPRIM_400000_NS6detail17trampoline_kernelINS0_14default_configENS1_25partition_config_selectorILNS1_17partition_subalgoE9EllbEEZZNS1_14partition_implILS5_9ELb0ES3_jPlS8_PNS0_10empty_typeENS0_5tupleIJS8_S9_EEENSB_IJS8_SA_EEENS0_18inequality_wrapperIZN2at6native12_GLOBAL__N_124unique_dim_cuda_templateIhEESt5tupleIJNSF_6TensorESK_SK_EERKSK_lbbbEUlllE0_EEPmJS9_EEE10hipError_tPvRmT3_T4_T5_T6_T7_T9_mT8_P12ihipStream_tbDpT10_ENKUlT_T0_E_clISt17integral_constantIbLb1EES19_IbLb0EEEEDaS15_S16_EUlS15_E_NS1_11comp_targetILNS1_3genE4ELNS1_11target_archE910ELNS1_3gpuE8ELNS1_3repE0EEENS1_30default_config_static_selectorELNS0_4arch9wavefront6targetE1EEEvT1_ ; -- Begin function _ZN7rocprim17ROCPRIM_400000_NS6detail17trampoline_kernelINS0_14default_configENS1_25partition_config_selectorILNS1_17partition_subalgoE9EllbEEZZNS1_14partition_implILS5_9ELb0ES3_jPlS8_PNS0_10empty_typeENS0_5tupleIJS8_S9_EEENSB_IJS8_SA_EEENS0_18inequality_wrapperIZN2at6native12_GLOBAL__N_124unique_dim_cuda_templateIhEESt5tupleIJNSF_6TensorESK_SK_EERKSK_lbbbEUlllE0_EEPmJS9_EEE10hipError_tPvRmT3_T4_T5_T6_T7_T9_mT8_P12ihipStream_tbDpT10_ENKUlT_T0_E_clISt17integral_constantIbLb1EES19_IbLb0EEEEDaS15_S16_EUlS15_E_NS1_11comp_targetILNS1_3genE4ELNS1_11target_archE910ELNS1_3gpuE8ELNS1_3repE0EEENS1_30default_config_static_selectorELNS0_4arch9wavefront6targetE1EEEvT1_
	.p2align	8
	.type	_ZN7rocprim17ROCPRIM_400000_NS6detail17trampoline_kernelINS0_14default_configENS1_25partition_config_selectorILNS1_17partition_subalgoE9EllbEEZZNS1_14partition_implILS5_9ELb0ES3_jPlS8_PNS0_10empty_typeENS0_5tupleIJS8_S9_EEENSB_IJS8_SA_EEENS0_18inequality_wrapperIZN2at6native12_GLOBAL__N_124unique_dim_cuda_templateIhEESt5tupleIJNSF_6TensorESK_SK_EERKSK_lbbbEUlllE0_EEPmJS9_EEE10hipError_tPvRmT3_T4_T5_T6_T7_T9_mT8_P12ihipStream_tbDpT10_ENKUlT_T0_E_clISt17integral_constantIbLb1EES19_IbLb0EEEEDaS15_S16_EUlS15_E_NS1_11comp_targetILNS1_3genE4ELNS1_11target_archE910ELNS1_3gpuE8ELNS1_3repE0EEENS1_30default_config_static_selectorELNS0_4arch9wavefront6targetE1EEEvT1_,@function
_ZN7rocprim17ROCPRIM_400000_NS6detail17trampoline_kernelINS0_14default_configENS1_25partition_config_selectorILNS1_17partition_subalgoE9EllbEEZZNS1_14partition_implILS5_9ELb0ES3_jPlS8_PNS0_10empty_typeENS0_5tupleIJS8_S9_EEENSB_IJS8_SA_EEENS0_18inequality_wrapperIZN2at6native12_GLOBAL__N_124unique_dim_cuda_templateIhEESt5tupleIJNSF_6TensorESK_SK_EERKSK_lbbbEUlllE0_EEPmJS9_EEE10hipError_tPvRmT3_T4_T5_T6_T7_T9_mT8_P12ihipStream_tbDpT10_ENKUlT_T0_E_clISt17integral_constantIbLb1EES19_IbLb0EEEEDaS15_S16_EUlS15_E_NS1_11comp_targetILNS1_3genE4ELNS1_11target_archE910ELNS1_3gpuE8ELNS1_3repE0EEENS1_30default_config_static_selectorELNS0_4arch9wavefront6targetE1EEEvT1_: ; @_ZN7rocprim17ROCPRIM_400000_NS6detail17trampoline_kernelINS0_14default_configENS1_25partition_config_selectorILNS1_17partition_subalgoE9EllbEEZZNS1_14partition_implILS5_9ELb0ES3_jPlS8_PNS0_10empty_typeENS0_5tupleIJS8_S9_EEENSB_IJS8_SA_EEENS0_18inequality_wrapperIZN2at6native12_GLOBAL__N_124unique_dim_cuda_templateIhEESt5tupleIJNSF_6TensorESK_SK_EERKSK_lbbbEUlllE0_EEPmJS9_EEE10hipError_tPvRmT3_T4_T5_T6_T7_T9_mT8_P12ihipStream_tbDpT10_ENKUlT_T0_E_clISt17integral_constantIbLb1EES19_IbLb0EEEEDaS15_S16_EUlS15_E_NS1_11comp_targetILNS1_3genE4ELNS1_11target_archE910ELNS1_3gpuE8ELNS1_3repE0EEENS1_30default_config_static_selectorELNS0_4arch9wavefront6targetE1EEEvT1_
; %bb.0:
	s_load_dwordx8 s[20:27], s[4:5], 0x40
	s_load_dwordx4 s[0:3], s[4:5], 0x8
	s_load_dwordx2 s[10:11], s[4:5], 0x18
	s_load_dword s8, s[4:5], 0x70
	s_mov_b32 s13, 0
	s_waitcnt lgkmcnt(0)
	v_mov_b32_e32 v2, s24
	s_lshl_b64 s[14:15], s[2:3], 3
	s_add_u32 s18, s0, s14
	s_addc_u32 s19, s1, s15
	s_add_i32 s9, s8, -1
	s_lshl_b32 s0, s9, 9
	s_add_i32 s0, s2, s0
	s_lshl_b32 s12, s6, 9
	s_sub_i32 s7, s24, s0
	s_lshl_b32 s0, s8, 9
	s_add_u32 s0, s2, s0
	s_addc_u32 s1, s3, 0
	v_mov_b32_e32 v3, s25
	s_cmp_eq_u32 s6, s9
	s_load_dwordx2 s[22:23], s[22:23], 0x0
	v_cmp_ge_u64_e32 vcc, s[0:1], v[2:3]
	s_cselect_b64 s[24:25], -1, 0
	s_and_b64 s[8:9], s[24:25], vcc
	s_xor_b64 s[34:35], s[8:9], -1
	s_lshl_b64 s[16:17], s[12:13], 3
	s_add_u32 s12, s18, s16
	s_mov_b64 s[0:1], -1
	s_addc_u32 s13, s19, s17
	s_and_b64 vcc, exec, s[34:35]
	v_lshrrev_b32_e32 v18, 2, v0
	s_cbranch_vccz .LBB222_2
; %bb.1:
	v_lshlrev_b32_e32 v1, 3, v0
	global_load_dwordx2 v[2:3], v1, s[12:13]
	global_load_dwordx2 v[4:5], v1, s[12:13] offset:1024
	global_load_dwordx2 v[6:7], v1, s[12:13] offset:2048
	;; [unrolled: 1-line block ×3, first 2 shown]
	v_or_b32_e32 v11, 0x80, v0
	v_or_b32_e32 v12, 0x100, v0
	;; [unrolled: 1-line block ×3, first 2 shown]
	v_and_b32_e32 v10, 24, v18
	v_lshrrev_b32_e32 v11, 2, v11
	v_lshrrev_b32_e32 v12, 2, v12
	;; [unrolled: 1-line block ×3, first 2 shown]
	v_add_u32_e32 v10, v10, v1
	v_and_b32_e32 v11, 56, v11
	v_and_b32_e32 v12, 0x58, v12
	;; [unrolled: 1-line block ×3, first 2 shown]
	v_add_u32_e32 v11, v11, v1
	v_add_u32_e32 v12, v12, v1
	;; [unrolled: 1-line block ×3, first 2 shown]
	s_mov_b64 s[0:1], 0
	s_waitcnt vmcnt(3)
	ds_write_b64 v10, v[2:3]
	s_waitcnt vmcnt(2)
	ds_write_b64 v11, v[4:5] offset:1024
	s_waitcnt vmcnt(1)
	ds_write_b64 v12, v[6:7] offset:2048
	;; [unrolled: 2-line block ×3, first 2 shown]
	s_waitcnt lgkmcnt(0)
	s_barrier
.LBB222_2:
	s_load_dwordx4 s[28:31], s[4:5], 0x60
	s_andn2_b64 vcc, exec, s[0:1]
	v_cmp_gt_u32_e64 s[0:1], s7, v0
	s_cbranch_vccnz .LBB222_12
; %bb.3:
                                        ; implicit-def: $vgpr2_vgpr3_vgpr4_vgpr5_vgpr6_vgpr7_vgpr8_vgpr9
	s_and_saveexec_b64 s[18:19], s[0:1]
	s_cbranch_execz .LBB222_5
; %bb.4:
	v_lshlrev_b32_e32 v1, 3, v0
	global_load_dwordx2 v[2:3], v1, s[12:13]
.LBB222_5:
	s_or_b64 exec, exec, s[18:19]
	v_or_b32_e32 v1, 0x80, v0
	v_cmp_gt_u32_e32 vcc, s7, v1
	s_and_saveexec_b64 s[0:1], vcc
	s_cbranch_execz .LBB222_7
; %bb.6:
	v_lshlrev_b32_e32 v4, 3, v0
	global_load_dwordx2 v[4:5], v4, s[12:13] offset:1024
.LBB222_7:
	s_or_b64 exec, exec, s[0:1]
	v_or_b32_e32 v10, 0x100, v0
	v_cmp_gt_u32_e32 vcc, s7, v10
	s_and_saveexec_b64 s[0:1], vcc
	s_cbranch_execz .LBB222_9
; %bb.8:
	v_lshlrev_b32_e32 v6, 3, v0
	global_load_dwordx2 v[6:7], v6, s[12:13] offset:2048
.LBB222_9:
	;; [unrolled: 9-line block ×3, first 2 shown]
	s_or_b64 exec, exec, s[0:1]
	v_lshrrev_b32_e32 v1, 2, v1
	v_lshlrev_b32_e32 v13, 3, v0
	v_and_b32_e32 v1, 56, v1
	v_add_u32_e32 v1, v1, v13
	s_waitcnt vmcnt(0)
	ds_write_b64 v1, v[4:5] offset:1024
	v_lshrrev_b32_e32 v1, 2, v10
	v_and_b32_e32 v1, 0x78, v1
	v_add_u32_e32 v1, v1, v13
	ds_write_b64 v1, v[6:7] offset:2048
	v_lshrrev_b32_e32 v1, 2, v11
	v_and_b32_e32 v12, 24, v18
	v_and_b32_e32 v1, 0x78, v1
	v_add_u32_e32 v12, v12, v13
	v_add_u32_e32 v1, v1, v13
	ds_write_b64 v12, v[2:3]
	ds_write_b64 v1, v[8:9] offset:3072
	s_waitcnt lgkmcnt(0)
	s_barrier
.LBB222_12:
	v_lshlrev_b32_e32 v1, 2, v0
	v_lshrrev_b32_e32 v2, 3, v0
	v_add_lshl_u32 v19, v2, v1, 3
	s_waitcnt lgkmcnt(0)
	ds_read2_b64 v[14:17], v19 offset1:1
	ds_read2_b64 v[10:13], v19 offset0:2 offset1:3
	s_add_u32 s0, s10, s14
	s_addc_u32 s1, s11, s15
	s_add_u32 s0, s0, s16
	s_addc_u32 s1, s1, s17
	s_mov_b64 s[10:11], -1
	s_and_b64 vcc, exec, s[34:35]
	s_waitcnt lgkmcnt(0)
	s_barrier
	s_cbranch_vccz .LBB222_14
; %bb.13:
	v_lshlrev_b32_e32 v20, 3, v0
	global_load_dwordx2 v[2:3], v20, s[0:1]
	global_load_dwordx2 v[4:5], v20, s[0:1] offset:1024
	global_load_dwordx2 v[6:7], v20, s[0:1] offset:2048
	;; [unrolled: 1-line block ×3, first 2 shown]
	v_or_b32_e32 v22, 0x80, v0
	v_or_b32_e32 v23, 0x100, v0
	;; [unrolled: 1-line block ×3, first 2 shown]
	v_and_b32_e32 v21, 24, v18
	v_lshrrev_b32_e32 v22, 2, v22
	v_lshrrev_b32_e32 v23, 2, v23
	v_lshrrev_b32_e32 v24, 2, v24
	v_add_u32_e32 v21, v21, v20
	v_and_b32_e32 v22, 56, v22
	v_and_b32_e32 v23, 0x58, v23
	v_and_b32_e32 v24, 0x78, v24
	v_add_u32_e32 v22, v22, v20
	v_add_u32_e32 v23, v23, v20
	;; [unrolled: 1-line block ×3, first 2 shown]
	s_mov_b64 s[10:11], 0
	s_waitcnt vmcnt(3)
	ds_write_b64 v21, v[2:3]
	s_waitcnt vmcnt(2)
	ds_write_b64 v22, v[4:5] offset:1024
	s_waitcnt vmcnt(1)
	ds_write_b64 v23, v[6:7] offset:2048
	;; [unrolled: 2-line block ×3, first 2 shown]
	s_waitcnt lgkmcnt(0)
	s_barrier
.LBB222_14:
	s_andn2_b64 vcc, exec, s[10:11]
	s_cbranch_vccnz .LBB222_24
; %bb.15:
	v_cmp_gt_u32_e32 vcc, s7, v0
                                        ; implicit-def: $vgpr2_vgpr3
	s_and_saveexec_b64 s[10:11], vcc
	s_cbranch_execz .LBB222_17
; %bb.16:
	v_lshlrev_b32_e32 v2, 3, v0
	global_load_dwordx2 v[2:3], v2, s[0:1]
.LBB222_17:
	s_or_b64 exec, exec, s[10:11]
	v_or_b32_e32 v20, 0x80, v0
	v_cmp_gt_u32_e32 vcc, s7, v20
                                        ; implicit-def: $vgpr4_vgpr5
	s_and_saveexec_b64 s[10:11], vcc
	s_cbranch_execz .LBB222_19
; %bb.18:
	v_lshlrev_b32_e32 v4, 3, v0
	global_load_dwordx2 v[4:5], v4, s[0:1] offset:1024
.LBB222_19:
	s_or_b64 exec, exec, s[10:11]
	v_or_b32_e32 v21, 0x100, v0
	v_cmp_gt_u32_e32 vcc, s7, v21
                                        ; implicit-def: $vgpr6_vgpr7
	s_and_saveexec_b64 s[10:11], vcc
	s_cbranch_execz .LBB222_21
; %bb.20:
	v_lshlrev_b32_e32 v6, 3, v0
	global_load_dwordx2 v[6:7], v6, s[0:1] offset:2048
.LBB222_21:
	s_or_b64 exec, exec, s[10:11]
	v_or_b32_e32 v22, 0x180, v0
	v_cmp_gt_u32_e32 vcc, s7, v22
                                        ; implicit-def: $vgpr8_vgpr9
	s_and_saveexec_b64 s[10:11], vcc
	s_cbranch_execz .LBB222_23
; %bb.22:
	v_lshlrev_b32_e32 v8, 3, v0
	global_load_dwordx2 v[8:9], v8, s[0:1] offset:3072
.LBB222_23:
	s_or_b64 exec, exec, s[10:11]
	v_and_b32_e32 v18, 24, v18
	v_lshlrev_b32_e32 v23, 3, v0
	v_add_u32_e32 v18, v18, v23
	s_waitcnt vmcnt(0)
	ds_write_b64 v18, v[2:3]
	v_lshrrev_b32_e32 v2, 2, v20
	v_and_b32_e32 v2, 56, v2
	v_add_u32_e32 v2, v2, v23
	ds_write_b64 v2, v[4:5] offset:1024
	v_lshrrev_b32_e32 v2, 2, v21
	v_and_b32_e32 v2, 0x78, v2
	v_add_u32_e32 v2, v2, v23
	ds_write_b64 v2, v[6:7] offset:2048
	;; [unrolled: 4-line block ×3, first 2 shown]
	s_waitcnt lgkmcnt(0)
	s_barrier
.LBB222_24:
	ds_read2_b64 v[6:9], v19 offset1:1
	ds_read2_b64 v[2:5], v19 offset0:2 offset1:3
	s_cmp_lg_u32 s6, 0
	s_cselect_b64 s[16:17], -1, 0
	s_cmp_lg_u64 s[2:3], 0
	s_cselect_b64 s[0:1], -1, 0
	s_or_b64 s[0:1], s[16:17], s[0:1]
	s_mov_b64 s[10:11], 0
	s_and_b64 vcc, exec, s[0:1]
	v_cmp_gt_i64_e64 s[0:1], s[26:27], 0
	s_waitcnt lgkmcnt(0)
	s_barrier
	s_cbranch_vccz .LBB222_33
; %bb.25:
	s_add_u32 s2, s12, -8
	s_addc_u32 s3, s13, -1
	s_load_dwordx2 s[2:3], s[2:3], 0x0
	v_cndmask_b32_e64 v18, 0, 1, s[0:1]
	v_lshlrev_b32_e32 v26, 3, v0
	s_and_b64 vcc, exec, s[34:35]
	v_cmp_ne_u32_e64 s[0:1], 1, v18
	ds_write_b64 v26, v[12:13]
	s_cbranch_vccz .LBB222_34
; %bb.26:
	v_mul_lo_u32 v20, v11, s26
	v_mul_lo_u32 v21, v10, s27
	v_mad_u64_u32 v[18:19], s[12:13], v10, s26, 0
	s_and_b64 vcc, exec, s[0:1]
	v_add3_u32 v19, v19, v21, v20
	s_cbranch_vccnz .LBB222_37
; %bb.27:
	v_mov_b32_e32 v21, s29
	v_add_co_u32_e32 v20, vcc, s28, v18
	v_pk_mov_b32 v[22:23], s[28:29], s[28:29] op_sel:[0,1]
	v_addc_co_u32_e32 v21, vcc, v21, v19, vcc
	v_mad_u64_u32 v[22:23], s[10:11], v12, s26, v[22:23]
	v_mul_lo_u32 v24, v12, s27
	v_mul_lo_u32 v25, v13, s26
	v_add3_u32 v23, v25, v23, v24
	global_load_ubyte v24, v[20:21], off
	global_load_ubyte v25, v[22:23], off
	s_mov_b64 s[10:11], -1
	s_waitcnt vmcnt(0)
	v_cmp_eq_u16_e32 vcc, v24, v25
	s_and_saveexec_b64 s[12:13], vcc
	s_cbranch_execz .LBB222_36
; %bb.28:
	s_mov_b64 s[18:19], 1
	s_mov_b64 s[10:11], 0
                                        ; implicit-def: $sgpr14_sgpr15
	s_branch .LBB222_31
.LBB222_29:                             ;   in Loop: Header=BB222_31 Depth=1
	v_mov_b32_e32 v27, s19
	v_add_co_u32_e32 v24, vcc, s18, v20
	v_addc_co_u32_e32 v25, vcc, v21, v27, vcc
	v_add_co_u32_e32 v28, vcc, s18, v22
	v_addc_co_u32_e32 v29, vcc, v23, v27, vcc
	global_load_ubyte v27, v[24:25], off
	global_load_ubyte v30, v[28:29], off
	s_add_u32 s36, s18, 1
	s_addc_u32 s37, s19, 0
	s_andn2_b64 s[14:15], s[14:15], exec
	s_waitcnt vmcnt(0)
	v_cmp_ne_u16_e32 vcc, v27, v30
	s_and_b64 s[38:39], vcc, exec
	s_or_b64 s[14:15], s[14:15], s[38:39]
.LBB222_30:                             ;   in Loop: Header=BB222_31 Depth=1
	s_and_b64 s[38:39], exec, s[14:15]
	s_or_b64 s[10:11], s[38:39], s[10:11]
	v_pk_mov_b32 v[24:25], s[18:19], s[18:19] op_sel:[0,1]
	s_mov_b64 s[18:19], s[36:37]
	s_andn2_b64 exec, exec, s[10:11]
	s_cbranch_execz .LBB222_35
.LBB222_31:                             ; =>This Inner Loop Header: Depth=1
	s_or_b64 s[14:15], s[14:15], exec
	s_cmp_eq_u64 s[26:27], s[18:19]
	s_cbranch_scc0 .LBB222_29
; %bb.32:                               ;   in Loop: Header=BB222_31 Depth=1
                                        ; implicit-def: $sgpr36_sgpr37
	s_mov_b64 s[18:19], s[26:27]
	s_branch .LBB222_30
.LBB222_33:
                                        ; implicit-def: $sgpr12_sgpr13
                                        ; implicit-def: $vgpr28
	s_branch .LBB222_115
.LBB222_34:
                                        ; implicit-def: $sgpr12_sgpr13
                                        ; implicit-def: $vgpr28
	s_cbranch_execnz .LBB222_67
	s_branch .LBB222_114
.LBB222_35:
	s_or_b64 exec, exec, s[10:11]
	v_cmp_gt_i64_e32 vcc, s[26:27], v[24:25]
	s_orn2_b64 s[10:11], vcc, exec
.LBB222_36:
	s_or_b64 exec, exec, s[12:13]
.LBB222_37:
	v_mul_lo_u32 v22, v17, s26
	v_mul_lo_u32 v23, v16, s27
	v_mad_u64_u32 v[20:21], s[12:13], v16, s26, 0
	v_add3_u32 v21, v21, v23, v22
	s_mov_b64 s[12:13], 0
	s_and_b64 vcc, exec, s[0:1]
	s_mov_b64 s[14:15], 0
	s_cbranch_vccnz .LBB222_46
; %bb.38:
	v_mov_b32_e32 v23, s29
	v_add_co_u32_e32 v22, vcc, s28, v20
	v_addc_co_u32_e32 v23, vcc, v23, v21, vcc
	v_mov_b32_e32 v24, s29
	v_add_co_u32_e32 v18, vcc, s28, v18
	v_addc_co_u32_e32 v19, vcc, v24, v19, vcc
	global_load_ubyte v24, v[22:23], off
	global_load_ubyte v25, v[18:19], off
	s_mov_b64 s[14:15], -1
	s_waitcnt vmcnt(0)
	v_cmp_eq_u16_e32 vcc, v24, v25
	s_and_saveexec_b64 s[18:19], vcc
	s_cbranch_execz .LBB222_45
; %bb.39:
	s_mov_b64 s[38:39], 1
	s_mov_b64 s[14:15], 0
                                        ; implicit-def: $sgpr36_sgpr37
	s_branch .LBB222_42
.LBB222_40:                             ;   in Loop: Header=BB222_42 Depth=1
	v_mov_b32_e32 v27, s39
	v_add_co_u32_e32 v24, vcc, s38, v22
	v_addc_co_u32_e32 v25, vcc, v23, v27, vcc
	v_add_co_u32_e32 v28, vcc, s38, v18
	v_addc_co_u32_e32 v29, vcc, v19, v27, vcc
	global_load_ubyte v27, v[24:25], off
	global_load_ubyte v30, v[28:29], off
	s_add_u32 s40, s38, 1
	s_addc_u32 s41, s39, 0
	s_andn2_b64 s[36:37], s[36:37], exec
	s_waitcnt vmcnt(0)
	v_cmp_ne_u16_e32 vcc, v27, v30
	s_and_b64 s[42:43], vcc, exec
	s_or_b64 s[36:37], s[36:37], s[42:43]
.LBB222_41:                             ;   in Loop: Header=BB222_42 Depth=1
	s_and_b64 s[42:43], exec, s[36:37]
	s_or_b64 s[14:15], s[42:43], s[14:15]
	v_pk_mov_b32 v[24:25], s[38:39], s[38:39] op_sel:[0,1]
	s_mov_b64 s[38:39], s[40:41]
	s_andn2_b64 exec, exec, s[14:15]
	s_cbranch_execz .LBB222_44
.LBB222_42:                             ; =>This Inner Loop Header: Depth=1
	s_or_b64 s[36:37], s[36:37], exec
	s_cmp_eq_u64 s[26:27], s[38:39]
	s_cbranch_scc0 .LBB222_40
; %bb.43:                               ;   in Loop: Header=BB222_42 Depth=1
                                        ; implicit-def: $sgpr40_sgpr41
	s_mov_b64 s[38:39], s[26:27]
	s_branch .LBB222_41
.LBB222_44:
	s_or_b64 exec, exec, s[14:15]
	v_cmp_gt_i64_e32 vcc, s[26:27], v[24:25]
	s_orn2_b64 s[14:15], vcc, exec
.LBB222_45:
	s_or_b64 exec, exec, s[18:19]
.LBB222_46:
	v_mul_lo_u32 v22, v15, s26
	v_mul_lo_u32 v23, v14, s27
	v_mad_u64_u32 v[18:19], s[18:19], v14, s26, 0
	s_and_b64 vcc, exec, s[0:1]
	v_add3_u32 v19, v19, v23, v22
	s_cbranch_vccnz .LBB222_55
; %bb.47:
	v_mov_b32_e32 v23, s29
	v_add_co_u32_e32 v22, vcc, s28, v18
	v_addc_co_u32_e32 v23, vcc, v23, v19, vcc
	v_mov_b32_e32 v24, s29
	v_add_co_u32_e32 v20, vcc, s28, v20
	v_addc_co_u32_e32 v21, vcc, v24, v21, vcc
	global_load_ubyte v24, v[22:23], off
	global_load_ubyte v25, v[20:21], off
	s_mov_b64 s[12:13], -1
	s_waitcnt vmcnt(0)
	v_cmp_eq_u16_e32 vcc, v24, v25
	s_and_saveexec_b64 s[18:19], vcc
	s_cbranch_execz .LBB222_54
; %bb.48:
	s_mov_b64 s[38:39], 1
	s_mov_b64 s[12:13], 0
                                        ; implicit-def: $sgpr36_sgpr37
	s_branch .LBB222_51
.LBB222_49:                             ;   in Loop: Header=BB222_51 Depth=1
	v_mov_b32_e32 v27, s39
	v_add_co_u32_e32 v24, vcc, s38, v22
	v_addc_co_u32_e32 v25, vcc, v23, v27, vcc
	v_add_co_u32_e32 v28, vcc, s38, v20
	v_addc_co_u32_e32 v29, vcc, v21, v27, vcc
	global_load_ubyte v27, v[24:25], off
	global_load_ubyte v30, v[28:29], off
	s_add_u32 s40, s38, 1
	s_addc_u32 s41, s39, 0
	s_andn2_b64 s[36:37], s[36:37], exec
	s_waitcnt vmcnt(0)
	v_cmp_ne_u16_e32 vcc, v27, v30
	s_and_b64 s[42:43], vcc, exec
	s_or_b64 s[36:37], s[36:37], s[42:43]
.LBB222_50:                             ;   in Loop: Header=BB222_51 Depth=1
	s_and_b64 s[42:43], exec, s[36:37]
	s_or_b64 s[12:13], s[42:43], s[12:13]
	v_pk_mov_b32 v[24:25], s[38:39], s[38:39] op_sel:[0,1]
	s_mov_b64 s[38:39], s[40:41]
	s_andn2_b64 exec, exec, s[12:13]
	s_cbranch_execz .LBB222_53
.LBB222_51:                             ; =>This Inner Loop Header: Depth=1
	s_or_b64 s[36:37], s[36:37], exec
	s_cmp_eq_u64 s[26:27], s[38:39]
	s_cbranch_scc0 .LBB222_49
; %bb.52:                               ;   in Loop: Header=BB222_51 Depth=1
                                        ; implicit-def: $sgpr40_sgpr41
	s_mov_b64 s[38:39], s[26:27]
	s_branch .LBB222_50
.LBB222_53:
	s_or_b64 exec, exec, s[12:13]
	v_cmp_gt_i64_e32 vcc, s[26:27], v[24:25]
	s_orn2_b64 s[12:13], vcc, exec
.LBB222_54:
	s_or_b64 exec, exec, s[18:19]
.LBB222_55:
	v_cmp_ne_u32_e32 vcc, 0, v0
	s_waitcnt lgkmcnt(0)
	v_pk_mov_b32 v[22:23], s[2:3], s[2:3] op_sel:[0,1]
	s_barrier
	s_and_saveexec_b64 s[18:19], vcc
	s_cbranch_execz .LBB222_57
; %bb.56:
	v_add_u32_e32 v20, -8, v26
	ds_read_b64 v[22:23], v20
.LBB222_57:
	s_or_b64 exec, exec, s[18:19]
	v_cndmask_b32_e64 v21, 0, 1, s[10:11]
	v_cndmask_b32_e64 v20, 0, 1, s[14:15]
	;; [unrolled: 1-line block ×3, first 2 shown]
	v_lshlrev_b16_e32 v21, 8, v21
	v_lshlrev_b16_e32 v24, 8, v24
	v_or_b32_sdwa v25, v20, v21 dst_sel:WORD_1 dst_unused:UNUSED_PAD src0_sel:DWORD src1_sel:DWORD
	s_mov_b64 s[10:11], 0
	s_and_b64 vcc, exec, s[0:1]
	s_mov_b64 s[12:13], 0
	s_cbranch_vccnz .LBB222_66
; %bb.58:
	v_pk_mov_b32 v[20:21], s[28:29], s[28:29] op_sel:[0,1]
	s_waitcnt lgkmcnt(0)
	v_mad_u64_u32 v[20:21], s[12:13], v22, s26, v[20:21]
	v_mul_lo_u32 v22, v22, s27
	v_mul_lo_u32 v23, v23, s26
	v_add3_u32 v21, v23, v21, v22
	v_mov_b32_e32 v22, s29
	v_add_co_u32_e32 v18, vcc, s28, v18
	v_addc_co_u32_e32 v19, vcc, v22, v19, vcc
	global_load_ubyte v22, v[20:21], off
	global_load_ubyte v23, v[18:19], off
	s_mov_b64 s[12:13], -1
	s_waitcnt vmcnt(0)
	v_cmp_eq_u16_e32 vcc, v22, v23
	s_and_saveexec_b64 s[14:15], vcc
	s_cbranch_execz .LBB222_65
; %bb.59:
	s_mov_b64 s[36:37], 1
	s_mov_b64 s[12:13], 0
                                        ; implicit-def: $sgpr18_sgpr19
	s_branch .LBB222_62
.LBB222_60:                             ;   in Loop: Header=BB222_62 Depth=1
	v_mov_b32_e32 v27, s37
	v_add_co_u32_e32 v22, vcc, s36, v20
	v_addc_co_u32_e32 v23, vcc, v21, v27, vcc
	v_add_co_u32_e32 v28, vcc, s36, v18
	v_addc_co_u32_e32 v29, vcc, v19, v27, vcc
	global_load_ubyte v27, v[22:23], off
	global_load_ubyte v30, v[28:29], off
	s_add_u32 s38, s36, 1
	s_addc_u32 s39, s37, 0
	s_andn2_b64 s[18:19], s[18:19], exec
	s_waitcnt vmcnt(0)
	v_cmp_ne_u16_e32 vcc, v27, v30
	s_and_b64 s[40:41], vcc, exec
	s_or_b64 s[18:19], s[18:19], s[40:41]
.LBB222_61:                             ;   in Loop: Header=BB222_62 Depth=1
	s_and_b64 s[40:41], exec, s[18:19]
	s_or_b64 s[12:13], s[40:41], s[12:13]
	v_pk_mov_b32 v[22:23], s[36:37], s[36:37] op_sel:[0,1]
	s_mov_b64 s[36:37], s[38:39]
	s_andn2_b64 exec, exec, s[12:13]
	s_cbranch_execz .LBB222_64
.LBB222_62:                             ; =>This Inner Loop Header: Depth=1
	s_or_b64 s[18:19], s[18:19], exec
	s_cmp_eq_u64 s[26:27], s[36:37]
	s_cbranch_scc0 .LBB222_60
; %bb.63:                               ;   in Loop: Header=BB222_62 Depth=1
                                        ; implicit-def: $sgpr38_sgpr39
	s_mov_b64 s[36:37], s[26:27]
	s_branch .LBB222_61
.LBB222_64:
	s_or_b64 exec, exec, s[12:13]
	v_cmp_gt_i64_e32 vcc, s[26:27], v[22:23]
	s_orn2_b64 s[12:13], vcc, exec
.LBB222_65:
	s_or_b64 exec, exec, s[14:15]
.LBB222_66:
	v_or_b32_e32 v28, v24, v25
	s_and_b64 vcc, exec, s[10:11]
	s_cbranch_vccz .LBB222_114
.LBB222_67:
	v_or_b32_e32 v18, 3, v1
	v_cmp_gt_u32_e32 vcc, s7, v18
	s_mov_b64 s[12:13], 0
	s_mov_b64 s[10:11], 0
	s_and_saveexec_b64 s[14:15], vcc
	s_cbranch_execz .LBB222_78
; %bb.68:
	s_and_b64 vcc, exec, s[0:1]
	s_mov_b64 s[18:19], 0
	s_cbranch_vccnz .LBB222_77
; %bb.69:
	v_pk_mov_b32 v[20:21], s[28:29], s[28:29] op_sel:[0,1]
	v_mad_u64_u32 v[18:19], s[10:11], v10, s26, v[20:21]
	s_waitcnt lgkmcnt(0)
	v_mul_lo_u32 v22, v10, s27
	v_mul_lo_u32 v23, v11, s26
	v_add3_u32 v19, v23, v19, v22
	v_mad_u64_u32 v[20:21], s[10:11], v12, s26, v[20:21]
	v_mul_lo_u32 v22, v12, s27
	v_mul_lo_u32 v23, v13, s26
	v_add3_u32 v21, v23, v21, v22
	global_load_ubyte v22, v[18:19], off
	global_load_ubyte v23, v[20:21], off
	s_mov_b64 s[18:19], -1
	s_waitcnt vmcnt(0)
	v_cmp_eq_u16_e32 vcc, v22, v23
	s_and_saveexec_b64 s[10:11], vcc
	s_cbranch_execz .LBB222_76
; %bb.70:
	s_mov_b64 s[38:39], 1
	s_mov_b64 s[18:19], 0
                                        ; implicit-def: $sgpr36_sgpr37
	s_branch .LBB222_73
.LBB222_71:                             ;   in Loop: Header=BB222_73 Depth=1
	v_mov_b32_e32 v25, s39
	v_add_co_u32_e32 v22, vcc, s38, v18
	v_addc_co_u32_e32 v23, vcc, v19, v25, vcc
	v_add_co_u32_e32 v24, vcc, s38, v20
	v_addc_co_u32_e32 v25, vcc, v21, v25, vcc
	global_load_ubyte v27, v[22:23], off
	global_load_ubyte v28, v[24:25], off
	s_add_u32 s40, s38, 1
	s_addc_u32 s41, s39, 0
	s_andn2_b64 s[36:37], s[36:37], exec
	s_waitcnt vmcnt(0)
	v_cmp_ne_u16_e32 vcc, v27, v28
	s_and_b64 s[42:43], vcc, exec
	s_or_b64 s[36:37], s[36:37], s[42:43]
.LBB222_72:                             ;   in Loop: Header=BB222_73 Depth=1
	s_and_b64 s[42:43], exec, s[36:37]
	s_or_b64 s[18:19], s[42:43], s[18:19]
	v_pk_mov_b32 v[22:23], s[38:39], s[38:39] op_sel:[0,1]
	s_mov_b64 s[38:39], s[40:41]
	s_andn2_b64 exec, exec, s[18:19]
	s_cbranch_execz .LBB222_75
.LBB222_73:                             ; =>This Inner Loop Header: Depth=1
	s_or_b64 s[36:37], s[36:37], exec
	s_cmp_eq_u64 s[26:27], s[38:39]
	s_cbranch_scc0 .LBB222_71
; %bb.74:                               ;   in Loop: Header=BB222_73 Depth=1
                                        ; implicit-def: $sgpr40_sgpr41
	s_mov_b64 s[38:39], s[26:27]
	s_branch .LBB222_72
.LBB222_75:
	s_or_b64 exec, exec, s[18:19]
	v_cmp_gt_i64_e32 vcc, s[26:27], v[22:23]
	s_orn2_b64 s[18:19], vcc, exec
.LBB222_76:
	s_or_b64 exec, exec, s[10:11]
.LBB222_77:
	s_and_b64 s[10:11], s[18:19], exec
.LBB222_78:
	s_or_b64 exec, exec, s[14:15]
	v_or_b32_e32 v18, 2, v1
	v_cmp_gt_u32_e32 vcc, s7, v18
	s_and_saveexec_b64 s[14:15], vcc
	s_cbranch_execz .LBB222_89
; %bb.79:
	s_and_b64 vcc, exec, s[0:1]
	s_mov_b64 s[18:19], 0
	s_cbranch_vccnz .LBB222_88
; %bb.80:
	v_pk_mov_b32 v[20:21], s[28:29], s[28:29] op_sel:[0,1]
	v_mad_u64_u32 v[18:19], s[12:13], v16, s26, v[20:21]
	s_waitcnt lgkmcnt(0)
	v_mul_lo_u32 v22, v16, s27
	v_mul_lo_u32 v23, v17, s26
	v_add3_u32 v19, v23, v19, v22
	v_mad_u64_u32 v[20:21], s[12:13], v10, s26, v[20:21]
	v_mul_lo_u32 v22, v10, s27
	v_mul_lo_u32 v23, v11, s26
	v_add3_u32 v21, v23, v21, v22
	global_load_ubyte v22, v[18:19], off
	global_load_ubyte v23, v[20:21], off
	s_mov_b64 s[18:19], -1
	s_waitcnt vmcnt(0)
	v_cmp_eq_u16_e32 vcc, v22, v23
	s_and_saveexec_b64 s[12:13], vcc
	s_cbranch_execz .LBB222_87
; %bb.81:
	s_mov_b64 s[38:39], 1
	s_mov_b64 s[18:19], 0
                                        ; implicit-def: $sgpr36_sgpr37
	s_branch .LBB222_84
.LBB222_82:                             ;   in Loop: Header=BB222_84 Depth=1
	v_mov_b32_e32 v25, s39
	v_add_co_u32_e32 v22, vcc, s38, v18
	v_addc_co_u32_e32 v23, vcc, v19, v25, vcc
	v_add_co_u32_e32 v24, vcc, s38, v20
	v_addc_co_u32_e32 v25, vcc, v21, v25, vcc
	global_load_ubyte v27, v[22:23], off
	global_load_ubyte v28, v[24:25], off
	s_add_u32 s40, s38, 1
	s_addc_u32 s41, s39, 0
	s_andn2_b64 s[36:37], s[36:37], exec
	s_waitcnt vmcnt(0)
	v_cmp_ne_u16_e32 vcc, v27, v28
	s_and_b64 s[42:43], vcc, exec
	s_or_b64 s[36:37], s[36:37], s[42:43]
.LBB222_83:                             ;   in Loop: Header=BB222_84 Depth=1
	s_and_b64 s[42:43], exec, s[36:37]
	s_or_b64 s[18:19], s[42:43], s[18:19]
	v_pk_mov_b32 v[22:23], s[38:39], s[38:39] op_sel:[0,1]
	s_mov_b64 s[38:39], s[40:41]
	s_andn2_b64 exec, exec, s[18:19]
	s_cbranch_execz .LBB222_86
.LBB222_84:                             ; =>This Inner Loop Header: Depth=1
	s_or_b64 s[36:37], s[36:37], exec
	s_cmp_eq_u64 s[26:27], s[38:39]
	s_cbranch_scc0 .LBB222_82
; %bb.85:                               ;   in Loop: Header=BB222_84 Depth=1
                                        ; implicit-def: $sgpr40_sgpr41
	s_mov_b64 s[38:39], s[26:27]
	s_branch .LBB222_83
.LBB222_86:
	s_or_b64 exec, exec, s[18:19]
	v_cmp_gt_i64_e32 vcc, s[26:27], v[22:23]
	s_orn2_b64 s[18:19], vcc, exec
.LBB222_87:
	s_or_b64 exec, exec, s[12:13]
.LBB222_88:
	s_and_b64 s[12:13], s[18:19], exec
.LBB222_89:
	s_or_b64 exec, exec, s[14:15]
	v_or_b32_e32 v18, 1, v1
	v_cmp_gt_u32_e32 vcc, s7, v18
	s_mov_b64 s[18:19], 0
	s_and_saveexec_b64 s[14:15], vcc
	s_cbranch_execz .LBB222_100
; %bb.90:
	s_and_b64 vcc, exec, s[0:1]
	s_mov_b64 s[36:37], 0
	s_cbranch_vccnz .LBB222_99
; %bb.91:
	v_pk_mov_b32 v[20:21], s[28:29], s[28:29] op_sel:[0,1]
	v_mad_u64_u32 v[18:19], s[18:19], v14, s26, v[20:21]
	s_waitcnt lgkmcnt(0)
	v_mul_lo_u32 v22, v14, s27
	v_mul_lo_u32 v23, v15, s26
	v_add3_u32 v19, v23, v19, v22
	v_mad_u64_u32 v[20:21], s[18:19], v16, s26, v[20:21]
	v_mul_lo_u32 v22, v16, s27
	v_mul_lo_u32 v23, v17, s26
	v_add3_u32 v21, v23, v21, v22
	global_load_ubyte v22, v[18:19], off
	global_load_ubyte v23, v[20:21], off
	s_mov_b64 s[36:37], -1
	s_waitcnt vmcnt(0)
	v_cmp_eq_u16_e32 vcc, v22, v23
	s_and_saveexec_b64 s[18:19], vcc
	s_cbranch_execz .LBB222_98
; %bb.92:
	s_mov_b64 s[40:41], 1
	s_mov_b64 s[36:37], 0
                                        ; implicit-def: $sgpr38_sgpr39
	s_branch .LBB222_95
.LBB222_93:                             ;   in Loop: Header=BB222_95 Depth=1
	v_mov_b32_e32 v25, s41
	v_add_co_u32_e32 v22, vcc, s40, v18
	v_addc_co_u32_e32 v23, vcc, v19, v25, vcc
	v_add_co_u32_e32 v24, vcc, s40, v20
	v_addc_co_u32_e32 v25, vcc, v21, v25, vcc
	global_load_ubyte v27, v[22:23], off
	global_load_ubyte v28, v[24:25], off
	s_add_u32 s42, s40, 1
	s_addc_u32 s43, s41, 0
	s_andn2_b64 s[38:39], s[38:39], exec
	s_waitcnt vmcnt(0)
	v_cmp_ne_u16_e32 vcc, v27, v28
	s_and_b64 s[44:45], vcc, exec
	s_or_b64 s[38:39], s[38:39], s[44:45]
.LBB222_94:                             ;   in Loop: Header=BB222_95 Depth=1
	s_and_b64 s[44:45], exec, s[38:39]
	s_or_b64 s[36:37], s[44:45], s[36:37]
	v_pk_mov_b32 v[22:23], s[40:41], s[40:41] op_sel:[0,1]
	s_mov_b64 s[40:41], s[42:43]
	s_andn2_b64 exec, exec, s[36:37]
	s_cbranch_execz .LBB222_97
.LBB222_95:                             ; =>This Inner Loop Header: Depth=1
	s_or_b64 s[38:39], s[38:39], exec
	s_cmp_eq_u64 s[26:27], s[40:41]
	s_cbranch_scc0 .LBB222_93
; %bb.96:                               ;   in Loop: Header=BB222_95 Depth=1
                                        ; implicit-def: $sgpr42_sgpr43
	s_mov_b64 s[40:41], s[26:27]
	s_branch .LBB222_94
.LBB222_97:
	s_or_b64 exec, exec, s[36:37]
	v_cmp_gt_i64_e32 vcc, s[26:27], v[22:23]
	s_orn2_b64 s[36:37], vcc, exec
.LBB222_98:
	s_or_b64 exec, exec, s[18:19]
.LBB222_99:
	s_and_b64 s[18:19], s[36:37], exec
.LBB222_100:
	s_or_b64 exec, exec, s[14:15]
	v_cmp_ne_u32_e32 vcc, 0, v0
	s_waitcnt lgkmcnt(0)
	v_pk_mov_b32 v[20:21], s[2:3], s[2:3] op_sel:[0,1]
	s_barrier
	s_and_saveexec_b64 s[2:3], vcc
	s_cbranch_execz .LBB222_102
; %bb.101:
	v_add_u32_e32 v18, -8, v26
	ds_read_b64 v[20:21], v18
.LBB222_102:
	s_or_b64 exec, exec, s[2:3]
	v_cndmask_b32_e64 v19, 0, 1, s[10:11]
	v_cndmask_b32_e64 v18, 0, 1, s[12:13]
	;; [unrolled: 1-line block ×3, first 2 shown]
	v_lshlrev_b16_e32 v19, 8, v19
	v_lshlrev_b16_e32 v24, 8, v22
	v_or_b32_sdwa v25, v18, v19 dst_sel:WORD_1 dst_unused:UNUSED_PAD src0_sel:DWORD src1_sel:DWORD
	v_cmp_gt_u32_e32 vcc, s7, v1
	s_mov_b64 s[12:13], 0
	s_and_saveexec_b64 s[2:3], vcc
	s_cbranch_execz .LBB222_113
; %bb.103:
	s_and_b64 vcc, exec, s[0:1]
	s_mov_b64 s[10:11], 0
	s_cbranch_vccnz .LBB222_112
; %bb.104:
	v_pk_mov_b32 v[22:23], s[28:29], s[28:29] op_sel:[0,1]
	s_waitcnt lgkmcnt(0)
	v_mad_u64_u32 v[18:19], s[0:1], v20, s26, v[22:23]
	v_mul_lo_u32 v20, v20, s27
	v_mul_lo_u32 v21, v21, s26
	v_add3_u32 v19, v21, v19, v20
	v_mad_u64_u32 v[20:21], s[0:1], v14, s26, v[22:23]
	v_mul_lo_u32 v22, v14, s27
	v_mul_lo_u32 v23, v15, s26
	v_add3_u32 v21, v23, v21, v22
	global_load_ubyte v22, v[18:19], off
	global_load_ubyte v23, v[20:21], off
	s_mov_b64 s[10:11], -1
	s_waitcnt vmcnt(0)
	v_cmp_eq_u16_e32 vcc, v22, v23
	s_and_saveexec_b64 s[0:1], vcc
	s_cbranch_execz .LBB222_111
; %bb.105:
	s_mov_b64 s[14:15], 1
	s_mov_b64 s[10:11], 0
                                        ; implicit-def: $sgpr12_sgpr13
	s_branch .LBB222_108
.LBB222_106:                            ;   in Loop: Header=BB222_108 Depth=1
	v_mov_b32_e32 v27, s15
	v_add_co_u32_e32 v22, vcc, s14, v18
	v_addc_co_u32_e32 v23, vcc, v19, v27, vcc
	v_add_co_u32_e32 v26, vcc, s14, v20
	v_addc_co_u32_e32 v27, vcc, v21, v27, vcc
	global_load_ubyte v28, v[22:23], off
	global_load_ubyte v29, v[26:27], off
	s_add_u32 s18, s14, 1
	s_addc_u32 s19, s15, 0
	s_andn2_b64 s[12:13], s[12:13], exec
	s_waitcnt vmcnt(0)
	v_cmp_ne_u16_e32 vcc, v28, v29
	s_and_b64 s[36:37], vcc, exec
	s_or_b64 s[12:13], s[12:13], s[36:37]
.LBB222_107:                            ;   in Loop: Header=BB222_108 Depth=1
	s_and_b64 s[36:37], exec, s[12:13]
	s_or_b64 s[10:11], s[36:37], s[10:11]
	v_pk_mov_b32 v[22:23], s[14:15], s[14:15] op_sel:[0,1]
	s_mov_b64 s[14:15], s[18:19]
	s_andn2_b64 exec, exec, s[10:11]
	s_cbranch_execz .LBB222_110
.LBB222_108:                            ; =>This Inner Loop Header: Depth=1
	s_or_b64 s[12:13], s[12:13], exec
	s_cmp_eq_u64 s[26:27], s[14:15]
	s_cbranch_scc0 .LBB222_106
; %bb.109:                              ;   in Loop: Header=BB222_108 Depth=1
                                        ; implicit-def: $sgpr18_sgpr19
	s_mov_b64 s[14:15], s[26:27]
	s_branch .LBB222_107
.LBB222_110:
	s_or_b64 exec, exec, s[10:11]
	v_cmp_gt_i64_e32 vcc, s[26:27], v[22:23]
	s_orn2_b64 s[10:11], vcc, exec
.LBB222_111:
	s_or_b64 exec, exec, s[0:1]
.LBB222_112:
	s_and_b64 s[12:13], s[10:11], exec
.LBB222_113:
	s_or_b64 exec, exec, s[2:3]
	v_or_b32_e32 v28, v24, v25
.LBB222_114:
	s_mov_b64 s[10:11], -1
	s_cbranch_execnz .LBB222_203
.LBB222_115:
	v_lshlrev_b32_e32 v26, 3, v0
	s_mov_b64 s[12:13], 0
	s_waitcnt lgkmcnt(0)
	v_cmp_gt_i64_e64 s[2:3], s[26:27], 0
	s_and_b64 vcc, exec, s[34:35]
	ds_write_b64 v26, v[12:13]
	s_cbranch_vccz .LBB222_123
; %bb.116:
	v_mul_lo_u32 v20, v11, s26
	v_mul_lo_u32 v21, v10, s27
	v_mad_u64_u32 v[18:19], s[0:1], v10, s26, 0
	v_cndmask_b32_e64 v22, 0, 1, s[2:3]
	v_cmp_ne_u32_e64 s[0:1], 1, v22
	s_andn2_b64 vcc, exec, s[2:3]
	v_add3_u32 v19, v19, v21, v20
	s_cbranch_vccnz .LBB222_126
; %bb.117:
	v_mov_b32_e32 v21, s29
	v_add_co_u32_e32 v20, vcc, s28, v18
	v_pk_mov_b32 v[22:23], s[28:29], s[28:29] op_sel:[0,1]
	v_addc_co_u32_e32 v21, vcc, v21, v19, vcc
	v_mad_u64_u32 v[22:23], s[12:13], v12, s26, v[22:23]
	v_mul_lo_u32 v24, v12, s27
	v_mul_lo_u32 v25, v13, s26
	v_add3_u32 v23, v25, v23, v24
	global_load_ubyte v24, v[20:21], off
	global_load_ubyte v25, v[22:23], off
	s_mov_b64 s[12:13], -1
	s_waitcnt vmcnt(0)
	v_cmp_eq_u16_e32 vcc, v24, v25
	s_and_saveexec_b64 s[14:15], vcc
	s_cbranch_execz .LBB222_125
; %bb.118:
	s_mov_b64 s[36:37], 1
	s_mov_b64 s[12:13], 0
                                        ; implicit-def: $sgpr18_sgpr19
	s_branch .LBB222_121
.LBB222_119:                            ;   in Loop: Header=BB222_121 Depth=1
	v_mov_b32_e32 v27, s37
	v_add_co_u32_e32 v24, vcc, s36, v20
	v_addc_co_u32_e32 v25, vcc, v21, v27, vcc
	v_add_co_u32_e32 v28, vcc, s36, v22
	v_addc_co_u32_e32 v29, vcc, v23, v27, vcc
	global_load_ubyte v27, v[24:25], off
	global_load_ubyte v30, v[28:29], off
	s_add_u32 s38, s36, 1
	s_addc_u32 s39, s37, 0
	s_andn2_b64 s[18:19], s[18:19], exec
	s_waitcnt vmcnt(0)
	v_cmp_ne_u16_e32 vcc, v27, v30
	s_and_b64 s[40:41], vcc, exec
	s_or_b64 s[18:19], s[18:19], s[40:41]
.LBB222_120:                            ;   in Loop: Header=BB222_121 Depth=1
	s_and_b64 s[40:41], exec, s[18:19]
	s_or_b64 s[12:13], s[40:41], s[12:13]
	v_pk_mov_b32 v[24:25], s[36:37], s[36:37] op_sel:[0,1]
	s_mov_b64 s[36:37], s[38:39]
	s_andn2_b64 exec, exec, s[12:13]
	s_cbranch_execz .LBB222_124
.LBB222_121:                            ; =>This Inner Loop Header: Depth=1
	s_or_b64 s[18:19], s[18:19], exec
	s_cmp_eq_u64 s[26:27], s[36:37]
	s_cbranch_scc0 .LBB222_119
; %bb.122:                              ;   in Loop: Header=BB222_121 Depth=1
                                        ; implicit-def: $sgpr38_sgpr39
	s_mov_b64 s[36:37], s[26:27]
	s_branch .LBB222_120
.LBB222_123:
                                        ; implicit-def: $sgpr12_sgpr13
                                        ; implicit-def: $vgpr28
	s_cbranch_execnz .LBB222_156
	s_branch .LBB222_203
.LBB222_124:
	s_or_b64 exec, exec, s[12:13]
	v_cmp_gt_i64_e32 vcc, s[26:27], v[24:25]
	s_orn2_b64 s[12:13], vcc, exec
.LBB222_125:
	s_or_b64 exec, exec, s[14:15]
.LBB222_126:
	v_mul_lo_u32 v22, v17, s26
	v_mul_lo_u32 v23, v16, s27
	v_mad_u64_u32 v[20:21], s[14:15], v16, s26, 0
	v_add3_u32 v21, v21, v23, v22
	s_mov_b64 s[14:15], 0
	s_and_b64 vcc, exec, s[0:1]
	s_mov_b64 s[18:19], 0
	s_cbranch_vccnz .LBB222_135
; %bb.127:
	v_mov_b32_e32 v23, s29
	v_add_co_u32_e32 v22, vcc, s28, v20
	v_addc_co_u32_e32 v23, vcc, v23, v21, vcc
	v_mov_b32_e32 v24, s29
	v_add_co_u32_e32 v18, vcc, s28, v18
	v_addc_co_u32_e32 v19, vcc, v24, v19, vcc
	global_load_ubyte v24, v[22:23], off
	global_load_ubyte v25, v[18:19], off
	s_mov_b64 s[18:19], -1
	s_waitcnt vmcnt(0)
	v_cmp_eq_u16_e32 vcc, v24, v25
	s_and_saveexec_b64 s[36:37], vcc
	s_cbranch_execz .LBB222_134
; %bb.128:
	s_mov_b64 s[40:41], 1
	s_mov_b64 s[18:19], 0
                                        ; implicit-def: $sgpr38_sgpr39
	s_branch .LBB222_131
.LBB222_129:                            ;   in Loop: Header=BB222_131 Depth=1
	v_mov_b32_e32 v27, s41
	v_add_co_u32_e32 v24, vcc, s40, v22
	v_addc_co_u32_e32 v25, vcc, v23, v27, vcc
	v_add_co_u32_e32 v28, vcc, s40, v18
	v_addc_co_u32_e32 v29, vcc, v19, v27, vcc
	global_load_ubyte v27, v[24:25], off
	global_load_ubyte v30, v[28:29], off
	s_add_u32 s42, s40, 1
	s_addc_u32 s43, s41, 0
	s_andn2_b64 s[38:39], s[38:39], exec
	s_waitcnt vmcnt(0)
	v_cmp_ne_u16_e32 vcc, v27, v30
	s_and_b64 s[44:45], vcc, exec
	s_or_b64 s[38:39], s[38:39], s[44:45]
.LBB222_130:                            ;   in Loop: Header=BB222_131 Depth=1
	s_and_b64 s[44:45], exec, s[38:39]
	s_or_b64 s[18:19], s[44:45], s[18:19]
	v_pk_mov_b32 v[24:25], s[40:41], s[40:41] op_sel:[0,1]
	s_mov_b64 s[40:41], s[42:43]
	s_andn2_b64 exec, exec, s[18:19]
	s_cbranch_execz .LBB222_133
.LBB222_131:                            ; =>This Inner Loop Header: Depth=1
	s_or_b64 s[38:39], s[38:39], exec
	s_cmp_eq_u64 s[26:27], s[40:41]
	s_cbranch_scc0 .LBB222_129
; %bb.132:                              ;   in Loop: Header=BB222_131 Depth=1
                                        ; implicit-def: $sgpr42_sgpr43
	s_mov_b64 s[40:41], s[26:27]
	s_branch .LBB222_130
.LBB222_133:
	s_or_b64 exec, exec, s[18:19]
	v_cmp_gt_i64_e32 vcc, s[26:27], v[24:25]
	s_orn2_b64 s[18:19], vcc, exec
.LBB222_134:
	s_or_b64 exec, exec, s[36:37]
.LBB222_135:
	v_mul_lo_u32 v22, v15, s26
	v_mul_lo_u32 v23, v14, s27
	v_mad_u64_u32 v[18:19], s[36:37], v14, s26, 0
	s_and_b64 vcc, exec, s[0:1]
	v_add3_u32 v19, v19, v23, v22
	s_cbranch_vccnz .LBB222_144
; %bb.136:
	v_mov_b32_e32 v23, s29
	v_add_co_u32_e32 v22, vcc, s28, v18
	v_addc_co_u32_e32 v23, vcc, v23, v19, vcc
	v_mov_b32_e32 v24, s29
	v_add_co_u32_e32 v20, vcc, s28, v20
	v_addc_co_u32_e32 v21, vcc, v24, v21, vcc
	global_load_ubyte v24, v[22:23], off
	global_load_ubyte v25, v[20:21], off
	s_mov_b64 s[14:15], -1
	s_waitcnt vmcnt(0)
	v_cmp_eq_u16_e32 vcc, v24, v25
	s_and_saveexec_b64 s[36:37], vcc
	s_cbranch_execz .LBB222_143
; %bb.137:
	s_mov_b64 s[40:41], 1
	s_mov_b64 s[14:15], 0
                                        ; implicit-def: $sgpr38_sgpr39
	s_branch .LBB222_140
.LBB222_138:                            ;   in Loop: Header=BB222_140 Depth=1
	v_mov_b32_e32 v27, s41
	v_add_co_u32_e32 v24, vcc, s40, v22
	v_addc_co_u32_e32 v25, vcc, v23, v27, vcc
	v_add_co_u32_e32 v28, vcc, s40, v20
	v_addc_co_u32_e32 v29, vcc, v21, v27, vcc
	global_load_ubyte v27, v[24:25], off
	global_load_ubyte v30, v[28:29], off
	s_add_u32 s42, s40, 1
	s_addc_u32 s43, s41, 0
	s_andn2_b64 s[38:39], s[38:39], exec
	s_waitcnt vmcnt(0)
	v_cmp_ne_u16_e32 vcc, v27, v30
	s_and_b64 s[44:45], vcc, exec
	s_or_b64 s[38:39], s[38:39], s[44:45]
.LBB222_139:                            ;   in Loop: Header=BB222_140 Depth=1
	s_and_b64 s[44:45], exec, s[38:39]
	s_or_b64 s[14:15], s[44:45], s[14:15]
	v_pk_mov_b32 v[24:25], s[40:41], s[40:41] op_sel:[0,1]
	s_mov_b64 s[40:41], s[42:43]
	s_andn2_b64 exec, exec, s[14:15]
	s_cbranch_execz .LBB222_142
.LBB222_140:                            ; =>This Inner Loop Header: Depth=1
	s_or_b64 s[38:39], s[38:39], exec
	s_cmp_eq_u64 s[26:27], s[40:41]
	s_cbranch_scc0 .LBB222_138
; %bb.141:                              ;   in Loop: Header=BB222_140 Depth=1
                                        ; implicit-def: $sgpr42_sgpr43
	s_mov_b64 s[40:41], s[26:27]
	s_branch .LBB222_139
.LBB222_142:
	s_or_b64 exec, exec, s[14:15]
	v_cmp_gt_i64_e32 vcc, s[26:27], v[24:25]
	s_orn2_b64 s[14:15], vcc, exec
.LBB222_143:
	s_or_b64 exec, exec, s[36:37]
.LBB222_144:
	v_cndmask_b32_e64 v21, 0, 1, s[12:13]
	v_cndmask_b32_e64 v22, 0, 1, s[14:15]
	;; [unrolled: 1-line block ×3, first 2 shown]
	v_lshlrev_b16_e32 v22, 8, v22
	v_lshlrev_b16_e32 v21, 8, v21
	v_or_b32_e32 v22, 1, v22
	v_or_b32_sdwa v20, v20, v21 dst_sel:WORD_1 dst_unused:UNUSED_PAD src0_sel:DWORD src1_sel:DWORD
	v_or_b32_sdwa v28, v22, v20 dst_sel:DWORD dst_unused:UNUSED_PAD src0_sel:WORD_0 src1_sel:DWORD
	v_cmp_ne_u32_e32 vcc, 0, v0
	s_waitcnt lgkmcnt(0)
	s_barrier
	s_waitcnt lgkmcnt(0)
                                        ; implicit-def: $sgpr12_sgpr13
	s_and_saveexec_b64 s[14:15], vcc
	s_xor_b64 s[14:15], exec, s[14:15]
	s_cbranch_execz .LBB222_155
; %bb.145:
	s_and_b64 vcc, exec, s[0:1]
	s_mov_b64 s[12:13], 0
	s_cbranch_vccnz .LBB222_154
; %bb.146:
	v_add_u32_e32 v20, -8, v26
	ds_read_b64 v[20:21], v20
	v_pk_mov_b32 v[22:23], s[28:29], s[28:29] op_sel:[0,1]
	v_add_co_u32_e32 v18, vcc, s28, v18
	s_mov_b64 s[12:13], -1
	s_waitcnt lgkmcnt(0)
	v_mul_lo_u32 v24, v20, s27
	v_mul_lo_u32 v25, v21, s26
	v_mad_u64_u32 v[20:21], s[0:1], v20, s26, v[22:23]
	v_mov_b32_e32 v22, s29
	v_addc_co_u32_e32 v19, vcc, v22, v19, vcc
	v_add3_u32 v21, v25, v21, v24
	global_load_ubyte v22, v[18:19], off
	global_load_ubyte v23, v[20:21], off
	s_waitcnt vmcnt(0)
	v_cmp_eq_u16_e32 vcc, v23, v22
	s_and_saveexec_b64 s[0:1], vcc
	s_cbranch_execz .LBB222_153
; %bb.147:
	s_mov_b64 s[36:37], 1
	s_mov_b64 s[12:13], 0
                                        ; implicit-def: $sgpr18_sgpr19
	s_branch .LBB222_150
.LBB222_148:                            ;   in Loop: Header=BB222_150 Depth=1
	v_mov_b32_e32 v25, s37
	v_add_co_u32_e32 v22, vcc, s36, v20
	v_addc_co_u32_e32 v23, vcc, v21, v25, vcc
	v_add_co_u32_e32 v24, vcc, s36, v18
	v_addc_co_u32_e32 v25, vcc, v19, v25, vcc
	global_load_ubyte v27, v[22:23], off
	global_load_ubyte v29, v[24:25], off
	s_add_u32 s38, s36, 1
	s_addc_u32 s39, s37, 0
	s_andn2_b64 s[18:19], s[18:19], exec
	s_waitcnt vmcnt(0)
	v_cmp_ne_u16_e32 vcc, v27, v29
	s_and_b64 s[40:41], vcc, exec
	s_or_b64 s[18:19], s[18:19], s[40:41]
.LBB222_149:                            ;   in Loop: Header=BB222_150 Depth=1
	s_and_b64 s[40:41], exec, s[18:19]
	s_or_b64 s[12:13], s[40:41], s[12:13]
	v_pk_mov_b32 v[22:23], s[36:37], s[36:37] op_sel:[0,1]
	s_mov_b64 s[36:37], s[38:39]
	s_andn2_b64 exec, exec, s[12:13]
	s_cbranch_execz .LBB222_152
.LBB222_150:                            ; =>This Inner Loop Header: Depth=1
	s_or_b64 s[18:19], s[18:19], exec
	s_cmp_eq_u64 s[26:27], s[36:37]
	s_cbranch_scc0 .LBB222_148
; %bb.151:                              ;   in Loop: Header=BB222_150 Depth=1
                                        ; implicit-def: $sgpr38_sgpr39
	s_mov_b64 s[36:37], s[26:27]
	s_branch .LBB222_149
.LBB222_152:
	s_or_b64 exec, exec, s[12:13]
	v_cmp_gt_i64_e32 vcc, s[26:27], v[22:23]
	s_orn2_b64 s[12:13], vcc, exec
.LBB222_153:
	s_or_b64 exec, exec, s[0:1]
.LBB222_154:
	s_and_b64 s[12:13], s[12:13], exec
	s_or_b64 s[10:11], s[10:11], exec
.LBB222_155:
	s_or_b64 exec, exec, s[14:15]
	s_branch .LBB222_203
.LBB222_156:
	v_or_b32_e32 v18, 3, v1
	v_cmp_gt_u32_e32 vcc, s7, v18
	s_mov_b64 s[12:13], 0
	s_mov_b64 s[0:1], 0
	s_and_saveexec_b64 s[14:15], vcc
	s_cbranch_execz .LBB222_167
; %bb.157:
	s_andn2_b64 vcc, exec, s[2:3]
	s_mov_b64 s[18:19], 0
	s_cbranch_vccnz .LBB222_166
; %bb.158:
	v_pk_mov_b32 v[20:21], s[28:29], s[28:29] op_sel:[0,1]
	v_mad_u64_u32 v[18:19], s[0:1], v10, s26, v[20:21]
	v_mul_lo_u32 v22, v10, s27
	v_mul_lo_u32 v23, v11, s26
	v_add3_u32 v19, v23, v19, v22
	v_mad_u64_u32 v[20:21], s[0:1], v12, s26, v[20:21]
	v_mul_lo_u32 v22, v12, s27
	v_mul_lo_u32 v23, v13, s26
	v_add3_u32 v21, v23, v21, v22
	global_load_ubyte v22, v[18:19], off
	global_load_ubyte v23, v[20:21], off
	s_mov_b64 s[18:19], -1
	s_waitcnt vmcnt(0)
	v_cmp_eq_u16_e32 vcc, v22, v23
	s_and_saveexec_b64 s[0:1], vcc
	s_cbranch_execz .LBB222_165
; %bb.159:
	s_mov_b64 s[38:39], 1
	s_mov_b64 s[18:19], 0
                                        ; implicit-def: $sgpr36_sgpr37
	s_branch .LBB222_162
.LBB222_160:                            ;   in Loop: Header=BB222_162 Depth=1
	v_mov_b32_e32 v25, s39
	v_add_co_u32_e32 v22, vcc, s38, v18
	v_addc_co_u32_e32 v23, vcc, v19, v25, vcc
	v_add_co_u32_e32 v24, vcc, s38, v20
	v_addc_co_u32_e32 v25, vcc, v21, v25, vcc
	global_load_ubyte v27, v[22:23], off
	global_load_ubyte v28, v[24:25], off
	s_add_u32 s40, s38, 1
	s_addc_u32 s41, s39, 0
	s_andn2_b64 s[36:37], s[36:37], exec
	s_waitcnt vmcnt(0)
	v_cmp_ne_u16_e32 vcc, v27, v28
	s_and_b64 s[42:43], vcc, exec
	s_or_b64 s[36:37], s[36:37], s[42:43]
.LBB222_161:                            ;   in Loop: Header=BB222_162 Depth=1
	s_and_b64 s[42:43], exec, s[36:37]
	s_or_b64 s[18:19], s[42:43], s[18:19]
	v_pk_mov_b32 v[22:23], s[38:39], s[38:39] op_sel:[0,1]
	s_mov_b64 s[38:39], s[40:41]
	s_andn2_b64 exec, exec, s[18:19]
	s_cbranch_execz .LBB222_164
.LBB222_162:                            ; =>This Inner Loop Header: Depth=1
	s_or_b64 s[36:37], s[36:37], exec
	s_cmp_eq_u64 s[26:27], s[38:39]
	s_cbranch_scc0 .LBB222_160
; %bb.163:                              ;   in Loop: Header=BB222_162 Depth=1
                                        ; implicit-def: $sgpr40_sgpr41
	s_mov_b64 s[38:39], s[26:27]
	s_branch .LBB222_161
.LBB222_164:
	s_or_b64 exec, exec, s[18:19]
	v_cmp_gt_i64_e32 vcc, s[26:27], v[22:23]
	s_orn2_b64 s[18:19], vcc, exec
.LBB222_165:
	s_or_b64 exec, exec, s[0:1]
.LBB222_166:
	s_and_b64 s[0:1], s[18:19], exec
.LBB222_167:
	s_or_b64 exec, exec, s[14:15]
	v_or_b32_e32 v18, 2, v1
	v_cmp_gt_u32_e32 vcc, s7, v18
	s_and_saveexec_b64 s[14:15], vcc
	s_cbranch_execz .LBB222_178
; %bb.168:
	s_andn2_b64 vcc, exec, s[2:3]
	s_mov_b64 s[18:19], 0
	s_cbranch_vccnz .LBB222_177
; %bb.169:
	v_pk_mov_b32 v[20:21], s[28:29], s[28:29] op_sel:[0,1]
	v_mad_u64_u32 v[18:19], s[12:13], v16, s26, v[20:21]
	v_mul_lo_u32 v22, v16, s27
	v_mul_lo_u32 v23, v17, s26
	v_add3_u32 v19, v23, v19, v22
	v_mad_u64_u32 v[20:21], s[12:13], v10, s26, v[20:21]
	v_mul_lo_u32 v22, v10, s27
	v_mul_lo_u32 v23, v11, s26
	v_add3_u32 v21, v23, v21, v22
	global_load_ubyte v22, v[18:19], off
	global_load_ubyte v23, v[20:21], off
	s_mov_b64 s[18:19], -1
	s_waitcnt vmcnt(0)
	v_cmp_eq_u16_e32 vcc, v22, v23
	s_and_saveexec_b64 s[12:13], vcc
	s_cbranch_execz .LBB222_176
; %bb.170:
	s_mov_b64 s[38:39], 1
	s_mov_b64 s[18:19], 0
                                        ; implicit-def: $sgpr36_sgpr37
	s_branch .LBB222_173
.LBB222_171:                            ;   in Loop: Header=BB222_173 Depth=1
	v_mov_b32_e32 v25, s39
	v_add_co_u32_e32 v22, vcc, s38, v18
	v_addc_co_u32_e32 v23, vcc, v19, v25, vcc
	v_add_co_u32_e32 v24, vcc, s38, v20
	v_addc_co_u32_e32 v25, vcc, v21, v25, vcc
	global_load_ubyte v27, v[22:23], off
	global_load_ubyte v28, v[24:25], off
	s_add_u32 s40, s38, 1
	s_addc_u32 s41, s39, 0
	s_andn2_b64 s[36:37], s[36:37], exec
	s_waitcnt vmcnt(0)
	v_cmp_ne_u16_e32 vcc, v27, v28
	s_and_b64 s[42:43], vcc, exec
	s_or_b64 s[36:37], s[36:37], s[42:43]
.LBB222_172:                            ;   in Loop: Header=BB222_173 Depth=1
	s_and_b64 s[42:43], exec, s[36:37]
	s_or_b64 s[18:19], s[42:43], s[18:19]
	v_pk_mov_b32 v[22:23], s[38:39], s[38:39] op_sel:[0,1]
	s_mov_b64 s[38:39], s[40:41]
	s_andn2_b64 exec, exec, s[18:19]
	s_cbranch_execz .LBB222_175
.LBB222_173:                            ; =>This Inner Loop Header: Depth=1
	s_or_b64 s[36:37], s[36:37], exec
	s_cmp_eq_u64 s[26:27], s[38:39]
	s_cbranch_scc0 .LBB222_171
; %bb.174:                              ;   in Loop: Header=BB222_173 Depth=1
                                        ; implicit-def: $sgpr40_sgpr41
	s_mov_b64 s[38:39], s[26:27]
	s_branch .LBB222_172
.LBB222_175:
	s_or_b64 exec, exec, s[18:19]
	v_cmp_gt_i64_e32 vcc, s[26:27], v[22:23]
	s_orn2_b64 s[18:19], vcc, exec
.LBB222_176:
	s_or_b64 exec, exec, s[12:13]
.LBB222_177:
	s_and_b64 s[12:13], s[18:19], exec
.LBB222_178:
	s_or_b64 exec, exec, s[14:15]
	v_or_b32_e32 v18, 1, v1
	v_cmp_gt_u32_e32 vcc, s7, v18
	s_mov_b64 s[18:19], 0
	s_and_saveexec_b64 s[14:15], vcc
	s_cbranch_execz .LBB222_189
; %bb.179:
	s_andn2_b64 vcc, exec, s[2:3]
	s_mov_b64 s[36:37], 0
	s_cbranch_vccnz .LBB222_188
; %bb.180:
	v_pk_mov_b32 v[20:21], s[28:29], s[28:29] op_sel:[0,1]
	v_mad_u64_u32 v[18:19], s[18:19], v14, s26, v[20:21]
	v_mul_lo_u32 v22, v14, s27
	v_mul_lo_u32 v23, v15, s26
	v_add3_u32 v19, v23, v19, v22
	v_mad_u64_u32 v[20:21], s[18:19], v16, s26, v[20:21]
	v_mul_lo_u32 v22, v16, s27
	v_mul_lo_u32 v23, v17, s26
	v_add3_u32 v21, v23, v21, v22
	global_load_ubyte v22, v[18:19], off
	global_load_ubyte v23, v[20:21], off
	s_mov_b64 s[36:37], -1
	s_waitcnt vmcnt(0)
	v_cmp_eq_u16_e32 vcc, v22, v23
	s_and_saveexec_b64 s[18:19], vcc
	s_cbranch_execz .LBB222_187
; %bb.181:
	s_mov_b64 s[40:41], 1
	s_mov_b64 s[36:37], 0
                                        ; implicit-def: $sgpr38_sgpr39
	s_branch .LBB222_184
.LBB222_182:                            ;   in Loop: Header=BB222_184 Depth=1
	v_mov_b32_e32 v25, s41
	v_add_co_u32_e32 v22, vcc, s40, v18
	v_addc_co_u32_e32 v23, vcc, v19, v25, vcc
	v_add_co_u32_e32 v24, vcc, s40, v20
	v_addc_co_u32_e32 v25, vcc, v21, v25, vcc
	global_load_ubyte v27, v[22:23], off
	global_load_ubyte v28, v[24:25], off
	s_add_u32 s42, s40, 1
	s_addc_u32 s43, s41, 0
	s_andn2_b64 s[38:39], s[38:39], exec
	s_waitcnt vmcnt(0)
	v_cmp_ne_u16_e32 vcc, v27, v28
	s_and_b64 s[44:45], vcc, exec
	s_or_b64 s[38:39], s[38:39], s[44:45]
.LBB222_183:                            ;   in Loop: Header=BB222_184 Depth=1
	s_and_b64 s[44:45], exec, s[38:39]
	s_or_b64 s[36:37], s[44:45], s[36:37]
	v_pk_mov_b32 v[22:23], s[40:41], s[40:41] op_sel:[0,1]
	s_mov_b64 s[40:41], s[42:43]
	s_andn2_b64 exec, exec, s[36:37]
	s_cbranch_execz .LBB222_186
.LBB222_184:                            ; =>This Inner Loop Header: Depth=1
	s_or_b64 s[38:39], s[38:39], exec
	s_cmp_eq_u64 s[26:27], s[40:41]
	s_cbranch_scc0 .LBB222_182
; %bb.185:                              ;   in Loop: Header=BB222_184 Depth=1
                                        ; implicit-def: $sgpr42_sgpr43
	s_mov_b64 s[40:41], s[26:27]
	s_branch .LBB222_183
.LBB222_186:
	s_or_b64 exec, exec, s[36:37]
	v_cmp_gt_i64_e32 vcc, s[26:27], v[22:23]
	s_orn2_b64 s[36:37], vcc, exec
.LBB222_187:
	s_or_b64 exec, exec, s[18:19]
.LBB222_188:
	s_and_b64 s[18:19], s[36:37], exec
.LBB222_189:
	s_or_b64 exec, exec, s[14:15]
	v_cndmask_b32_e64 v19, 0, 1, s[0:1]
	v_cndmask_b32_e64 v20, 0, 1, s[18:19]
	;; [unrolled: 1-line block ×3, first 2 shown]
	v_lshlrev_b16_e32 v20, 8, v20
	v_lshlrev_b16_e32 v19, 8, v19
	v_or_b32_e32 v20, 1, v20
	v_or_b32_sdwa v18, v18, v19 dst_sel:WORD_1 dst_unused:UNUSED_PAD src0_sel:DWORD src1_sel:DWORD
	v_or_b32_sdwa v28, v20, v18 dst_sel:DWORD dst_unused:UNUSED_PAD src0_sel:WORD_0 src1_sel:DWORD
	v_cmp_ne_u32_e32 vcc, 0, v0
	s_waitcnt lgkmcnt(0)
	s_barrier
	s_waitcnt lgkmcnt(0)
                                        ; implicit-def: $sgpr12_sgpr13
	s_and_saveexec_b64 s[0:1], vcc
	s_cbranch_execz .LBB222_202
; %bb.190:
	v_cmp_gt_u32_e32 vcc, s7, v1
	s_mov_b64 s[14:15], 0
	s_and_saveexec_b64 s[12:13], vcc
	s_cbranch_execz .LBB222_201
; %bb.191:
	s_andn2_b64 vcc, exec, s[2:3]
	s_cbranch_vccnz .LBB222_200
; %bb.192:
	v_add_u32_e32 v18, -8, v26
	ds_read_b64 v[18:19], v18
	v_pk_mov_b32 v[20:21], s[28:29], s[28:29] op_sel:[0,1]
	s_mov_b64 s[14:15], -1
	s_waitcnt lgkmcnt(0)
	v_mul_lo_u32 v22, v18, s27
	v_mul_lo_u32 v23, v19, s26
	v_mad_u64_u32 v[18:19], s[2:3], v18, s26, v[20:21]
	v_add3_u32 v19, v23, v19, v22
	v_mad_u64_u32 v[20:21], s[2:3], v14, s26, v[20:21]
	v_mul_lo_u32 v22, v14, s27
	v_mul_lo_u32 v23, v15, s26
	v_add3_u32 v21, v23, v21, v22
	global_load_ubyte v22, v[18:19], off
	global_load_ubyte v23, v[20:21], off
	s_waitcnt vmcnt(0)
	v_cmp_eq_u16_e32 vcc, v22, v23
	s_and_saveexec_b64 s[2:3], vcc
	s_cbranch_execz .LBB222_199
; %bb.193:
	s_mov_b64 s[28:29], 1
	s_mov_b64 s[14:15], 0
                                        ; implicit-def: $sgpr18_sgpr19
	s_branch .LBB222_196
.LBB222_194:                            ;   in Loop: Header=BB222_196 Depth=1
	v_mov_b32_e32 v25, s29
	v_add_co_u32_e32 v22, vcc, s28, v18
	v_addc_co_u32_e32 v23, vcc, v19, v25, vcc
	v_add_co_u32_e32 v24, vcc, s28, v20
	v_addc_co_u32_e32 v25, vcc, v21, v25, vcc
	global_load_ubyte v26, v[22:23], off
	global_load_ubyte v27, v[24:25], off
	s_add_u32 s36, s28, 1
	s_addc_u32 s37, s29, 0
	s_andn2_b64 s[18:19], s[18:19], exec
	s_waitcnt vmcnt(0)
	v_cmp_ne_u16_e32 vcc, v26, v27
	s_and_b64 s[38:39], vcc, exec
	s_or_b64 s[18:19], s[18:19], s[38:39]
.LBB222_195:                            ;   in Loop: Header=BB222_196 Depth=1
	s_and_b64 s[38:39], exec, s[18:19]
	s_or_b64 s[14:15], s[38:39], s[14:15]
	v_pk_mov_b32 v[22:23], s[28:29], s[28:29] op_sel:[0,1]
	s_mov_b64 s[28:29], s[36:37]
	s_andn2_b64 exec, exec, s[14:15]
	s_cbranch_execz .LBB222_198
.LBB222_196:                            ; =>This Inner Loop Header: Depth=1
	s_or_b64 s[18:19], s[18:19], exec
	s_cmp_eq_u64 s[26:27], s[28:29]
	s_cbranch_scc0 .LBB222_194
; %bb.197:                              ;   in Loop: Header=BB222_196 Depth=1
                                        ; implicit-def: $sgpr36_sgpr37
	s_mov_b64 s[28:29], s[26:27]
	s_branch .LBB222_195
.LBB222_198:
	s_or_b64 exec, exec, s[14:15]
	v_cmp_gt_i64_e32 vcc, s[26:27], v[22:23]
	s_orn2_b64 s[14:15], vcc, exec
.LBB222_199:
	s_or_b64 exec, exec, s[2:3]
.LBB222_200:
	s_and_b64 s[14:15], s[14:15], exec
.LBB222_201:
	s_or_b64 exec, exec, s[12:13]
	s_and_b64 s[12:13], s[14:15], exec
	s_or_b64 s[10:11], s[10:11], exec
.LBB222_202:
	s_or_b64 exec, exec, s[0:1]
.LBB222_203:
	s_and_saveexec_b64 s[0:1], s[10:11]
	s_cbranch_execz .LBB222_205
; %bb.204:
	v_and_b32_e32 v18, 0xffffff00, v28
	v_cndmask_b32_e64 v19, 0, 1, s[12:13]
	v_or_b32_e32 v18, v19, v18
	v_and_b32_e32 v18, 0xffff, v18
	s_waitcnt lgkmcnt(0)
	s_mov_b32 s2, 0xffff0000
	v_and_or_b32 v28, v28, s2, v18
.LBB222_205:
	s_or_b64 exec, exec, s[0:1]
	s_andn2_b64 vcc, exec, s[8:9]
	s_cbranch_vccnz .LBB222_207
; %bb.206:
	v_cmp_gt_u32_e32 vcc, s7, v1
	v_cndmask_b32_e32 v18, 0, v28, vcc
	v_or_b32_e32 v19, 1, v1
	v_and_b32_e32 v18, 0xff, v18
	v_cmp_gt_u32_e32 vcc, s7, v19
	v_cndmask_b32_e32 v18, v18, v28, vcc
	v_or_b32_e32 v19, 2, v1
	v_and_b32_e32 v18, 0xffff, v18
	;; [unrolled: 4-line block ×3, first 2 shown]
	v_cmp_gt_u32_e32 vcc, s7, v19
	v_cndmask_b32_e32 v28, v18, v28, vcc
.LBB222_207:
	v_bfe_u32 v30, v28, 16, 8
	v_lshrrev_b32_e32 v29, 24, v28
	v_add_u32_sdwa v18, v28, v28 dst_sel:DWORD dst_unused:UNUSED_PAD src0_sel:BYTE_1 src1_sel:BYTE_0
	v_add3_u32 v33, v18, v30, v29
	v_mbcnt_lo_u32_b32 v18, -1, 0
	v_mbcnt_hi_u32_b32 v31, -1, v18
	v_and_b32_e32 v18, 15, v31
	v_cmp_eq_u32_e64 s[14:15], 0, v18
	v_cmp_lt_u32_e64 s[12:13], 1, v18
	v_cmp_lt_u32_e64 s[10:11], 3, v18
	;; [unrolled: 1-line block ×3, first 2 shown]
	v_and_b32_e32 v18, 16, v31
	v_cmp_eq_u32_e64 s[18:19], 0, v18
	v_or_b32_e32 v18, 63, v0
	v_cmp_lt_u32_e64 s[0:1], 31, v31
	v_lshrrev_b32_e32 v32, 6, v0
	s_waitcnt lgkmcnt(0)
	v_cmp_eq_u32_e64 s[2:3], v18, v0
	s_and_b64 vcc, exec, s[16:17]
	s_barrier
	s_cbranch_vccz .LBB222_238
; %bb.208:
	v_mov_b32_dpp v18, v33 row_shr:1 row_mask:0xf bank_mask:0xf
	v_cndmask_b32_e64 v18, v18, 0, s[14:15]
	v_add_u32_e32 v18, v18, v33
	s_nop 1
	v_mov_b32_dpp v19, v18 row_shr:2 row_mask:0xf bank_mask:0xf
	v_cndmask_b32_e64 v19, 0, v19, s[12:13]
	v_add_u32_e32 v18, v18, v19
	s_nop 1
	;; [unrolled: 4-line block ×4, first 2 shown]
	v_mov_b32_dpp v19, v18 row_bcast:15 row_mask:0xf bank_mask:0xf
	v_cndmask_b32_e64 v19, v19, 0, s[18:19]
	v_add_u32_e32 v18, v18, v19
	s_nop 1
	v_mov_b32_dpp v19, v18 row_bcast:31 row_mask:0xf bank_mask:0xf
	v_cndmask_b32_e64 v19, 0, v19, s[0:1]
	v_add_u32_e32 v18, v18, v19
	s_and_saveexec_b64 s[16:17], s[2:3]
	s_cbranch_execz .LBB222_210
; %bb.209:
	v_lshlrev_b32_e32 v19, 2, v32
	ds_write_b32 v19, v18
.LBB222_210:
	s_or_b64 exec, exec, s[16:17]
	v_cmp_gt_u32_e32 vcc, 2, v0
	s_waitcnt lgkmcnt(0)
	s_barrier
	s_and_saveexec_b64 s[16:17], vcc
	s_cbranch_execz .LBB222_212
; %bb.211:
	ds_read_b32 v19, v1
	v_bfe_i32 v20, v31, 0, 1
	s_waitcnt lgkmcnt(0)
	v_mov_b32_dpp v21, v19 row_shr:1 row_mask:0xf bank_mask:0xf
	v_and_b32_e32 v20, v20, v21
	v_add_u32_e32 v19, v20, v19
	ds_write_b32 v1, v19
.LBB222_212:
	s_or_b64 exec, exec, s[16:17]
	v_cmp_gt_u32_e32 vcc, 64, v0
	v_cmp_lt_u32_e64 s[16:17], 63, v0
	s_waitcnt lgkmcnt(0)
	s_barrier
	s_waitcnt lgkmcnt(0)
                                        ; implicit-def: $vgpr34
	s_and_saveexec_b64 s[26:27], s[16:17]
	s_cbranch_execz .LBB222_214
; %bb.213:
	v_lshl_add_u32 v19, v32, 2, -4
	ds_read_b32 v34, v19
	s_waitcnt lgkmcnt(0)
	v_add_u32_e32 v18, v34, v18
.LBB222_214:
	s_or_b64 exec, exec, s[26:27]
	v_add_u32_e32 v19, -1, v31
	v_and_b32_e32 v20, 64, v31
	v_cmp_lt_i32_e64 s[16:17], v19, v20
	v_cndmask_b32_e64 v19, v19, v31, s[16:17]
	v_lshlrev_b32_e32 v19, 2, v19
	ds_bpermute_b32 v35, v19, v18
	v_cmp_eq_u32_e64 s[16:17], 0, v31
	s_and_saveexec_b64 s[26:27], vcc
	s_cbranch_execz .LBB222_237
; %bb.215:
	v_mov_b32_e32 v27, 0
	ds_read_b32 v18, v27 offset:4
	s_and_saveexec_b64 s[28:29], s[16:17]
	s_cbranch_execz .LBB222_217
; %bb.216:
	s_add_i32 s36, s6, 64
	s_mov_b32 s37, 0
	s_lshl_b64 s[36:37], s[36:37], 3
	s_add_u32 s36, s30, s36
	v_mov_b32_e32 v19, 1
	s_addc_u32 s37, s31, s37
	s_waitcnt lgkmcnt(0)
	global_store_dwordx2 v27, v[18:19], s[36:37]
.LBB222_217:
	s_or_b64 exec, exec, s[28:29]
	v_xad_u32 v20, v31, -1, s6
	v_add_u32_e32 v26, 64, v20
	v_lshlrev_b64 v[22:23], 3, v[26:27]
	v_mov_b32_e32 v19, s31
	v_add_co_u32_e32 v22, vcc, s30, v22
	v_addc_co_u32_e32 v23, vcc, v19, v23, vcc
	global_load_dwordx2 v[24:25], v[22:23], off glc
	s_waitcnt vmcnt(0)
	v_cmp_eq_u16_sdwa s[36:37], v25, v27 src0_sel:BYTE_0 src1_sel:DWORD
	s_and_saveexec_b64 s[28:29], s[36:37]
	s_cbranch_execz .LBB222_223
; %bb.218:
	s_mov_b32 s7, 1
	s_mov_b64 s[36:37], 0
	v_mov_b32_e32 v19, 0
.LBB222_219:                            ; =>This Loop Header: Depth=1
                                        ;     Child Loop BB222_220 Depth 2
	s_max_u32 s33, s7, 1
.LBB222_220:                            ;   Parent Loop BB222_219 Depth=1
                                        ; =>  This Inner Loop Header: Depth=2
	s_add_i32 s33, s33, -1
	s_cmp_eq_u32 s33, 0
	s_sleep 1
	s_cbranch_scc0 .LBB222_220
; %bb.221:                              ;   in Loop: Header=BB222_219 Depth=1
	global_load_dwordx2 v[24:25], v[22:23], off glc
	s_cmp_lt_u32 s7, 32
	s_cselect_b64 s[38:39], -1, 0
	s_cmp_lg_u64 s[38:39], 0
	s_addc_u32 s7, s7, 0
	s_waitcnt vmcnt(0)
	v_cmp_ne_u16_sdwa s[38:39], v25, v19 src0_sel:BYTE_0 src1_sel:DWORD
	s_or_b64 s[36:37], s[38:39], s[36:37]
	s_andn2_b64 exec, exec, s[36:37]
	s_cbranch_execnz .LBB222_219
; %bb.222:
	s_or_b64 exec, exec, s[36:37]
.LBB222_223:
	s_or_b64 exec, exec, s[28:29]
	v_and_b32_e32 v36, 63, v31
	v_mov_b32_e32 v19, 2
	v_cmp_ne_u32_e32 vcc, 63, v36
	v_cmp_eq_u16_sdwa s[28:29], v25, v19 src0_sel:BYTE_0 src1_sel:DWORD
	v_lshlrev_b64 v[22:23], v31, -1
	v_addc_co_u32_e32 v27, vcc, 0, v31, vcc
	v_and_b32_e32 v21, s29, v23
	v_lshlrev_b32_e32 v37, 2, v27
	v_or_b32_e32 v21, 0x80000000, v21
	ds_bpermute_b32 v27, v37, v24
	v_and_b32_e32 v26, s28, v22
	v_ffbl_b32_e32 v21, v21
	v_add_u32_e32 v21, 32, v21
	v_ffbl_b32_e32 v26, v26
	v_min_u32_e32 v21, v26, v21
	v_cmp_lt_u32_e32 vcc, v36, v21
	s_waitcnt lgkmcnt(0)
	v_cndmask_b32_e32 v26, 0, v27, vcc
	v_cmp_gt_u32_e32 vcc, 62, v36
	v_add_u32_e32 v24, v26, v24
	v_cndmask_b32_e64 v26, 0, 1, vcc
	v_lshlrev_b32_e32 v26, 1, v26
	v_add_lshl_u32 v38, v26, v31, 2
	ds_bpermute_b32 v26, v38, v24
	v_add_u32_e32 v39, 2, v36
	v_cmp_le_u32_e32 vcc, v39, v21
	v_add_u32_e32 v41, 4, v36
	v_add_u32_e32 v43, 8, v36
	s_waitcnt lgkmcnt(0)
	v_cndmask_b32_e32 v26, 0, v26, vcc
	v_cmp_gt_u32_e32 vcc, 60, v36
	v_add_u32_e32 v24, v24, v26
	v_cndmask_b32_e64 v26, 0, 1, vcc
	v_lshlrev_b32_e32 v26, 2, v26
	v_add_lshl_u32 v40, v26, v31, 2
	ds_bpermute_b32 v26, v40, v24
	v_cmp_le_u32_e32 vcc, v41, v21
	v_add_u32_e32 v46, 16, v36
	v_add_u32_e32 v48, 32, v36
	s_waitcnt lgkmcnt(0)
	v_cndmask_b32_e32 v26, 0, v26, vcc
	v_cmp_gt_u32_e32 vcc, 56, v36
	v_add_u32_e32 v24, v24, v26
	v_cndmask_b32_e64 v26, 0, 1, vcc
	v_lshlrev_b32_e32 v26, 3, v26
	v_add_lshl_u32 v42, v26, v31, 2
	ds_bpermute_b32 v26, v42, v24
	v_cmp_le_u32_e32 vcc, v43, v21
	s_waitcnt lgkmcnt(0)
	v_cndmask_b32_e32 v26, 0, v26, vcc
	v_cmp_gt_u32_e32 vcc, 48, v36
	v_add_u32_e32 v24, v24, v26
	v_cndmask_b32_e64 v26, 0, 1, vcc
	v_lshlrev_b32_e32 v26, 4, v26
	v_add_lshl_u32 v45, v26, v31, 2
	ds_bpermute_b32 v26, v45, v24
	v_cmp_le_u32_e32 vcc, v46, v21
	;; [unrolled: 9-line block ×3, first 2 shown]
	s_waitcnt lgkmcnt(0)
	v_cndmask_b32_e32 v21, 0, v26, vcc
	v_add_u32_e32 v24, v24, v21
	v_mov_b32_e32 v21, 0
	s_branch .LBB222_225
.LBB222_224:                            ;   in Loop: Header=BB222_225 Depth=1
	s_or_b64 exec, exec, s[28:29]
	v_cmp_eq_u16_sdwa s[28:29], v25, v19 src0_sel:BYTE_0 src1_sel:DWORD
	v_and_b32_e32 v26, s29, v23
	v_or_b32_e32 v26, 0x80000000, v26
	ds_bpermute_b32 v49, v37, v24
	v_and_b32_e32 v27, s28, v22
	v_ffbl_b32_e32 v26, v26
	v_add_u32_e32 v26, 32, v26
	v_ffbl_b32_e32 v27, v27
	v_min_u32_e32 v26, v27, v26
	v_cmp_lt_u32_e32 vcc, v36, v26
	s_waitcnt lgkmcnt(0)
	v_cndmask_b32_e32 v27, 0, v49, vcc
	v_add_u32_e32 v24, v27, v24
	ds_bpermute_b32 v27, v38, v24
	v_cmp_le_u32_e32 vcc, v39, v26
	v_subrev_u32_e32 v20, 64, v20
	s_waitcnt lgkmcnt(0)
	v_cndmask_b32_e32 v27, 0, v27, vcc
	v_add_u32_e32 v24, v24, v27
	ds_bpermute_b32 v27, v40, v24
	v_cmp_le_u32_e32 vcc, v41, v26
	s_waitcnt lgkmcnt(0)
	v_cndmask_b32_e32 v27, 0, v27, vcc
	v_add_u32_e32 v24, v24, v27
	ds_bpermute_b32 v27, v42, v24
	v_cmp_le_u32_e32 vcc, v43, v26
	;; [unrolled: 5-line block ×4, first 2 shown]
	s_waitcnt lgkmcnt(0)
	v_cndmask_b32_e32 v26, 0, v27, vcc
	v_add3_u32 v24, v26, v44, v24
.LBB222_225:                            ; =>This Loop Header: Depth=1
                                        ;     Child Loop BB222_228 Depth 2
                                        ;       Child Loop BB222_229 Depth 3
	v_cmp_ne_u16_sdwa s[28:29], v25, v19 src0_sel:BYTE_0 src1_sel:DWORD
	v_cndmask_b32_e64 v25, 0, 1, s[28:29]
	;;#ASMSTART
	;;#ASMEND
	v_cmp_ne_u32_e32 vcc, 0, v25
	s_cmp_lg_u64 vcc, exec
	v_mov_b32_e32 v44, v24
	s_cbranch_scc1 .LBB222_232
; %bb.226:                              ;   in Loop: Header=BB222_225 Depth=1
	v_lshlrev_b64 v[24:25], 3, v[20:21]
	v_mov_b32_e32 v27, s31
	v_add_co_u32_e32 v26, vcc, s30, v24
	v_addc_co_u32_e32 v27, vcc, v27, v25, vcc
	global_load_dwordx2 v[24:25], v[26:27], off glc
	s_waitcnt vmcnt(0)
	v_cmp_eq_u16_sdwa s[36:37], v25, v21 src0_sel:BYTE_0 src1_sel:DWORD
	s_and_saveexec_b64 s[28:29], s[36:37]
	s_cbranch_execz .LBB222_224
; %bb.227:                              ;   in Loop: Header=BB222_225 Depth=1
	s_mov_b32 s7, 1
	s_mov_b64 s[36:37], 0
.LBB222_228:                            ;   Parent Loop BB222_225 Depth=1
                                        ; =>  This Loop Header: Depth=2
                                        ;       Child Loop BB222_229 Depth 3
	s_max_u32 s33, s7, 1
.LBB222_229:                            ;   Parent Loop BB222_225 Depth=1
                                        ;     Parent Loop BB222_228 Depth=2
                                        ; =>    This Inner Loop Header: Depth=3
	s_add_i32 s33, s33, -1
	s_cmp_eq_u32 s33, 0
	s_sleep 1
	s_cbranch_scc0 .LBB222_229
; %bb.230:                              ;   in Loop: Header=BB222_228 Depth=2
	global_load_dwordx2 v[24:25], v[26:27], off glc
	s_cmp_lt_u32 s7, 32
	s_cselect_b64 s[38:39], -1, 0
	s_cmp_lg_u64 s[38:39], 0
	s_addc_u32 s7, s7, 0
	s_waitcnt vmcnt(0)
	v_cmp_ne_u16_sdwa s[38:39], v25, v21 src0_sel:BYTE_0 src1_sel:DWORD
	s_or_b64 s[36:37], s[38:39], s[36:37]
	s_andn2_b64 exec, exec, s[36:37]
	s_cbranch_execnz .LBB222_228
; %bb.231:                              ;   in Loop: Header=BB222_225 Depth=1
	s_or_b64 exec, exec, s[36:37]
	s_branch .LBB222_224
.LBB222_232:                            ;   in Loop: Header=BB222_225 Depth=1
                                        ; implicit-def: $vgpr24
                                        ; implicit-def: $vgpr25
	s_cbranch_execz .LBB222_225
; %bb.233:
	s_and_saveexec_b64 s[28:29], s[16:17]
	s_cbranch_execz .LBB222_235
; %bb.234:
	s_add_i32 s6, s6, 64
	s_mov_b32 s7, 0
	s_lshl_b64 s[6:7], s[6:7], 3
	s_add_u32 s6, s30, s6
	v_add_u32_e32 v20, v44, v18
	v_mov_b32_e32 v21, 2
	s_addc_u32 s7, s31, s7
	v_mov_b32_e32 v19, 0
	global_store_dwordx2 v19, v[20:21], s[6:7]
	s_movk_i32 s6, 0x1000
	v_add_u32_e64 v19, s6, 0
	ds_write2_b32 v19, v18, v44 offset0:32 offset1:34
.LBB222_235:
	s_or_b64 exec, exec, s[28:29]
	v_cmp_eq_u32_e32 vcc, 0, v0
	s_and_b64 exec, exec, vcc
	s_cbranch_execz .LBB222_237
; %bb.236:
	v_mov_b32_e32 v18, 0
	ds_write_b32 v18, v44 offset:4
.LBB222_237:
	s_or_b64 exec, exec, s[26:27]
	v_mov_b32_e32 v19, 0
	s_waitcnt lgkmcnt(0)
	s_barrier
	ds_read_b32 v19, v19 offset:4
	s_movk_i32 s6, 0x1000
	v_add_u32_e64 v20, s6, 0
	v_cndmask_b32_e64 v18, v35, v34, s[16:17]
	v_cmp_ne_u32_e32 vcc, 0, v0
	s_waitcnt lgkmcnt(0)
	s_barrier
	ds_read2_b32 v[26:27], v20 offset0:32 offset1:34
	v_cndmask_b32_e32 v18, 0, v18, vcc
	v_add_u32_e32 v24, v19, v18
	v_add_u32_sdwa v22, v24, v28 dst_sel:DWORD dst_unused:UNUSED_PAD src0_sel:DWORD src1_sel:BYTE_0
	v_add_u32_sdwa v20, v22, v28 dst_sel:DWORD dst_unused:UNUSED_PAD src0_sel:DWORD src1_sel:BYTE_1
	v_add_u32_e32 v18, v20, v30
	s_waitcnt lgkmcnt(0)
	v_readfirstlane_b32 s26, v26
	v_readfirstlane_b32 s16, v27
	s_branch .LBB222_248
.LBB222_238:
                                        ; implicit-def: $vgpr18
                                        ; implicit-def: $vgpr20
                                        ; implicit-def: $vgpr22
                                        ; implicit-def: $vgpr24
                                        ; implicit-def: $sgpr16
                                        ; implicit-def: $sgpr26
	s_cbranch_execz .LBB222_248
; %bb.239:
	s_nop 0
	v_mov_b32_dpp v18, v33 row_shr:1 row_mask:0xf bank_mask:0xf
	v_cndmask_b32_e64 v18, v18, 0, s[14:15]
	v_add_u32_e32 v18, v18, v33
	s_nop 1
	v_mov_b32_dpp v19, v18 row_shr:2 row_mask:0xf bank_mask:0xf
	v_cndmask_b32_e64 v19, 0, v19, s[12:13]
	v_add_u32_e32 v18, v18, v19
	;; [unrolled: 4-line block ×4, first 2 shown]
	s_nop 1
	v_mov_b32_dpp v19, v18 row_bcast:15 row_mask:0xf bank_mask:0xf
	v_cndmask_b32_e64 v19, v19, 0, s[18:19]
	v_add_u32_e32 v18, v18, v19
	s_nop 1
	v_mov_b32_dpp v19, v18 row_bcast:31 row_mask:0xf bank_mask:0xf
	v_cndmask_b32_e64 v19, 0, v19, s[0:1]
	v_add_u32_e32 v18, v18, v19
	s_and_saveexec_b64 s[0:1], s[2:3]
	s_cbranch_execz .LBB222_241
; %bb.240:
	v_lshlrev_b32_e32 v19, 2, v32
	ds_write_b32 v19, v18
.LBB222_241:
	s_or_b64 exec, exec, s[0:1]
	v_cmp_gt_u32_e32 vcc, 2, v0
	s_waitcnt lgkmcnt(0)
	s_barrier
	s_and_saveexec_b64 s[0:1], vcc
	s_cbranch_execz .LBB222_243
; %bb.242:
	ds_read_b32 v19, v1
	v_bfe_i32 v20, v31, 0, 1
	s_waitcnt lgkmcnt(0)
	v_mov_b32_dpp v21, v19 row_shr:1 row_mask:0xf bank_mask:0xf
	v_and_b32_e32 v20, v20, v21
	v_add_u32_e32 v19, v20, v19
	ds_write_b32 v1, v19
.LBB222_243:
	s_or_b64 exec, exec, s[0:1]
	v_cmp_lt_u32_e32 vcc, 63, v0
	v_mov_b32_e32 v19, 0
	v_mov_b32_e32 v1, 0
	s_waitcnt lgkmcnt(0)
	s_barrier
	s_and_saveexec_b64 s[0:1], vcc
	s_cbranch_execz .LBB222_245
; %bb.244:
	v_lshl_add_u32 v1, v32, 2, -4
	ds_read_b32 v1, v1
.LBB222_245:
	s_or_b64 exec, exec, s[0:1]
	v_add_u32_e32 v20, -1, v31
	v_and_b32_e32 v21, 64, v31
	v_cmp_lt_i32_e32 vcc, v20, v21
	v_cndmask_b32_e32 v20, v20, v31, vcc
	s_waitcnt lgkmcnt(0)
	v_add_u32_e32 v18, v1, v18
	v_lshlrev_b32_e32 v20, 2, v20
	ds_read_b32 v19, v19 offset:4
	ds_bpermute_b32 v18, v20, v18
	s_mov_b32 s16, 0
	v_cmp_eq_u32_e32 vcc, 0, v0
	s_waitcnt lgkmcnt(1)
	v_readfirstlane_b32 s26, v19
	s_and_saveexec_b64 s[0:1], vcc
	s_cbranch_execz .LBB222_247
; %bb.246:
	v_mov_b32_e32 v19, 0
	v_mov_b32_e32 v20, s26
	;; [unrolled: 1-line block ×3, first 2 shown]
	global_store_dwordx2 v19, v[20:21], s[30:31] offset:512
.LBB222_247:
	s_or_b64 exec, exec, s[0:1]
	v_cmp_eq_u32_e64 s[0:1], 0, v31
	s_waitcnt lgkmcnt(0)
	v_cndmask_b32_e64 v1, v18, v1, s[0:1]
	v_cndmask_b32_e64 v24, v1, 0, vcc
	v_add_u32_sdwa v22, v24, v28 dst_sel:DWORD dst_unused:UNUSED_PAD src0_sel:DWORD src1_sel:BYTE_0
	v_add_u32_sdwa v20, v22, v28 dst_sel:DWORD dst_unused:UNUSED_PAD src0_sel:DWORD src1_sel:BYTE_1
	v_add_u32_e32 v18, v20, v30
	s_barrier
.LBB222_248:
	s_load_dwordx4 s[4:7], s[4:5], 0x28
	s_cmpk_lt_u32 s26, 0x81
	s_cselect_b64 s[2:3], -1, 0
	v_lshrrev_b32_e32 v1, 8, v28
	s_mov_b64 s[0:1], -1
	s_and_b64 vcc, exec, s[2:3]
	s_cbranch_vccz .LBB222_262
; %bb.249:
	s_add_i32 s8, s16, s26
	v_cmp_gt_u32_e32 vcc, s8, v24
	s_or_b64 s[10:11], s[34:35], vcc
	s_and_saveexec_b64 s[0:1], s[10:11]
	s_cbranch_execz .LBB222_252
; %bb.250:
	v_and_b32_e32 v19, 1, v28
	v_cmp_eq_u32_e32 vcc, 1, v19
	s_and_b64 exec, exec, vcc
	s_cbranch_execz .LBB222_252
; %bb.251:
	s_lshl_b64 s[10:11], s[22:23], 3
	s_waitcnt lgkmcnt(0)
	s_add_u32 s9, s4, s10
	v_mov_b32_e32 v25, 0
	s_addc_u32 s10, s5, s11
	v_lshlrev_b64 v[26:27], 3, v[24:25]
	v_mov_b32_e32 v19, s10
	v_add_co_u32_e32 v26, vcc, s9, v26
	v_addc_co_u32_e32 v27, vcc, v19, v27, vcc
	global_store_dwordx2 v[26:27], v[14:15], off
.LBB222_252:
	s_or_b64 exec, exec, s[0:1]
	v_cmp_gt_u32_e32 vcc, s8, v22
	s_or_b64 s[10:11], s[34:35], vcc
	s_and_saveexec_b64 s[0:1], s[10:11]
	s_cbranch_execz .LBB222_255
; %bb.253:
	v_and_b32_e32 v19, 1, v1
	v_cmp_eq_u32_e32 vcc, 1, v19
	s_and_b64 exec, exec, vcc
	s_cbranch_execz .LBB222_255
; %bb.254:
	s_lshl_b64 s[10:11], s[22:23], 3
	s_waitcnt lgkmcnt(0)
	s_add_u32 s9, s4, s10
	v_mov_b32_e32 v23, 0
	s_addc_u32 s10, s5, s11
	v_lshlrev_b64 v[26:27], 3, v[22:23]
	v_mov_b32_e32 v19, s10
	v_add_co_u32_e32 v26, vcc, s9, v26
	v_addc_co_u32_e32 v27, vcc, v19, v27, vcc
	global_store_dwordx2 v[26:27], v[16:17], off
.LBB222_255:
	s_or_b64 exec, exec, s[0:1]
	v_cmp_gt_u32_e32 vcc, s8, v20
	s_or_b64 s[10:11], s[34:35], vcc
	s_and_saveexec_b64 s[0:1], s[10:11]
	s_cbranch_execz .LBB222_258
; %bb.256:
	v_mov_b32_e32 v19, 1
	v_and_b32_sdwa v19, v19, v28 dst_sel:DWORD dst_unused:UNUSED_PAD src0_sel:DWORD src1_sel:WORD_1
	v_cmp_eq_u32_e32 vcc, 1, v19
	s_and_b64 exec, exec, vcc
	s_cbranch_execz .LBB222_258
; %bb.257:
	s_lshl_b64 s[10:11], s[22:23], 3
	s_waitcnt lgkmcnt(0)
	s_add_u32 s9, s4, s10
	v_mov_b32_e32 v21, 0
	s_addc_u32 s10, s5, s11
	v_lshlrev_b64 v[26:27], 3, v[20:21]
	v_mov_b32_e32 v19, s10
	v_add_co_u32_e32 v26, vcc, s9, v26
	v_addc_co_u32_e32 v27, vcc, v19, v27, vcc
	global_store_dwordx2 v[26:27], v[10:11], off
.LBB222_258:
	s_or_b64 exec, exec, s[0:1]
	v_cmp_gt_u32_e32 vcc, s8, v18
	s_or_b64 s[8:9], s[34:35], vcc
	s_and_saveexec_b64 s[0:1], s[8:9]
	s_cbranch_execz .LBB222_261
; %bb.259:
	v_and_b32_e32 v19, 1, v29
	v_cmp_eq_u32_e32 vcc, 1, v19
	s_and_b64 exec, exec, vcc
	s_cbranch_execz .LBB222_261
; %bb.260:
	s_lshl_b64 s[8:9], s[22:23], 3
	s_waitcnt lgkmcnt(0)
	s_add_u32 s8, s4, s8
	v_mov_b32_e32 v19, 0
	s_addc_u32 s9, s5, s9
	v_lshlrev_b64 v[26:27], 3, v[18:19]
	v_mov_b32_e32 v19, s9
	v_add_co_u32_e32 v26, vcc, s8, v26
	v_addc_co_u32_e32 v27, vcc, v19, v27, vcc
	global_store_dwordx2 v[26:27], v[12:13], off
.LBB222_261:
	s_or_b64 exec, exec, s[0:1]
	s_mov_b64 s[0:1], 0
.LBB222_262:
	v_and_b32_e32 v26, 1, v28
	s_and_b64 vcc, exec, s[0:1]
	v_cmp_eq_u32_e64 s[0:1], 1, v26
	s_cbranch_vccz .LBB222_275
; %bb.263:
	s_and_saveexec_b64 s[8:9], s[0:1]
	s_cbranch_execz .LBB222_265
; %bb.264:
	v_subrev_u32_e32 v19, s16, v24
	v_lshlrev_b32_e32 v19, 3, v19
	ds_write_b64 v19, v[14:15]
.LBB222_265:
	s_or_b64 exec, exec, s[8:9]
	v_and_b32_e32 v14, 1, v1
	v_cmp_eq_u32_e32 vcc, 1, v14
	s_and_saveexec_b64 s[0:1], vcc
	s_cbranch_execz .LBB222_267
; %bb.266:
	v_subrev_u32_e32 v14, s16, v22
	v_lshlrev_b32_e32 v14, 3, v14
	ds_write_b64 v14, v[16:17]
.LBB222_267:
	s_or_b64 exec, exec, s[0:1]
	v_mov_b32_e32 v14, 1
	v_and_b32_sdwa v14, v14, v28 dst_sel:DWORD dst_unused:UNUSED_PAD src0_sel:DWORD src1_sel:WORD_1
	v_cmp_eq_u32_e32 vcc, 1, v14
	s_and_saveexec_b64 s[0:1], vcc
	s_cbranch_execz .LBB222_269
; %bb.268:
	v_subrev_u32_e32 v14, s16, v20
	v_lshlrev_b32_e32 v14, 3, v14
	ds_write_b64 v14, v[10:11]
.LBB222_269:
	s_or_b64 exec, exec, s[0:1]
	v_and_b32_e32 v10, 1, v29
	v_cmp_eq_u32_e32 vcc, 1, v10
	s_and_saveexec_b64 s[0:1], vcc
	s_cbranch_execz .LBB222_271
; %bb.270:
	v_subrev_u32_e32 v10, s16, v18
	v_lshlrev_b32_e32 v10, 3, v10
	ds_write_b64 v10, v[12:13]
.LBB222_271:
	s_or_b64 exec, exec, s[0:1]
	v_cmp_gt_u32_e32 vcc, s26, v0
	s_waitcnt lgkmcnt(0)
	s_barrier
	s_and_saveexec_b64 s[0:1], vcc
	s_cbranch_execz .LBB222_274
; %bb.272:
	s_mov_b32 s17, 0
	s_lshl_b64 s[8:9], s[16:17], 3
	s_add_u32 s8, s4, s8
	s_addc_u32 s9, s5, s9
	s_lshl_b64 s[4:5], s[22:23], 3
	s_add_u32 s8, s8, s4
	s_addc_u32 s9, s9, s5
	v_lshlrev_b32_e32 v12, 3, v0
	s_mov_b64 s[4:5], 0
	v_mov_b32_e32 v11, 0
	v_mov_b32_e32 v13, s9
	;; [unrolled: 1-line block ×3, first 2 shown]
.LBB222_273:                            ; =>This Inner Loop Header: Depth=1
	ds_read_b64 v[14:15], v12
	v_lshlrev_b64 v[16:17], 3, v[10:11]
	v_add_co_u32_e32 v16, vcc, s8, v16
	v_add_u32_e32 v10, 0x80, v10
	v_addc_co_u32_e32 v17, vcc, v13, v17, vcc
	v_cmp_le_u32_e32 vcc, s26, v10
	v_add_u32_e32 v12, 0x400, v12
	s_or_b64 s[4:5], vcc, s[4:5]
	s_waitcnt lgkmcnt(0)
	global_store_dwordx2 v[16:17], v[14:15], off
	s_andn2_b64 exec, exec, s[4:5]
	s_cbranch_execnz .LBB222_273
.LBB222_274:
	s_or_b64 exec, exec, s[0:1]
.LBB222_275:
	s_mov_b64 s[0:1], -1
	s_and_b64 vcc, exec, s[2:3]
	s_waitcnt lgkmcnt(0)
	s_barrier
	s_cbranch_vccnz .LBB222_279
; %bb.276:
	s_and_b64 vcc, exec, s[0:1]
	s_cbranch_vccnz .LBB222_292
.LBB222_277:
	v_cmp_eq_u32_e32 vcc, 0, v0
	s_and_b64 s[0:1], vcc, s[24:25]
	s_and_saveexec_b64 s[2:3], s[0:1]
	s_cbranch_execnz .LBB222_304
.LBB222_278:
	s_endpgm
.LBB222_279:
	s_add_i32 s2, s16, s26
	v_cmp_gt_u32_e32 vcc, s2, v24
	s_or_b64 s[4:5], s[34:35], vcc
	s_and_saveexec_b64 s[0:1], s[4:5]
	s_cbranch_execz .LBB222_282
; %bb.280:
	v_cmp_eq_u32_e32 vcc, 1, v26
	s_and_b64 exec, exec, vcc
	s_cbranch_execz .LBB222_282
; %bb.281:
	s_lshl_b64 s[4:5], s[22:23], 3
	s_add_u32 s3, s6, s4
	v_mov_b32_e32 v25, 0
	s_addc_u32 s4, s7, s5
	v_lshlrev_b64 v[10:11], 3, v[24:25]
	v_mov_b32_e32 v12, s4
	v_add_co_u32_e32 v10, vcc, s3, v10
	v_addc_co_u32_e32 v11, vcc, v12, v11, vcc
	global_store_dwordx2 v[10:11], v[6:7], off
.LBB222_282:
	s_or_b64 exec, exec, s[0:1]
	v_cmp_gt_u32_e32 vcc, s2, v22
	s_or_b64 s[4:5], s[34:35], vcc
	s_and_saveexec_b64 s[0:1], s[4:5]
	s_cbranch_execz .LBB222_285
; %bb.283:
	v_and_b32_e32 v10, 1, v1
	v_cmp_eq_u32_e32 vcc, 1, v10
	s_and_b64 exec, exec, vcc
	s_cbranch_execz .LBB222_285
; %bb.284:
	s_lshl_b64 s[4:5], s[22:23], 3
	s_add_u32 s3, s6, s4
	v_mov_b32_e32 v23, 0
	s_addc_u32 s4, s7, s5
	v_lshlrev_b64 v[10:11], 3, v[22:23]
	v_mov_b32_e32 v12, s4
	v_add_co_u32_e32 v10, vcc, s3, v10
	v_addc_co_u32_e32 v11, vcc, v12, v11, vcc
	global_store_dwordx2 v[10:11], v[8:9], off
.LBB222_285:
	s_or_b64 exec, exec, s[0:1]
	v_cmp_gt_u32_e32 vcc, s2, v20
	s_or_b64 s[4:5], s[34:35], vcc
	s_and_saveexec_b64 s[0:1], s[4:5]
	s_cbranch_execz .LBB222_288
; %bb.286:
	v_mov_b32_e32 v10, 1
	v_and_b32_sdwa v10, v10, v28 dst_sel:DWORD dst_unused:UNUSED_PAD src0_sel:DWORD src1_sel:WORD_1
	v_cmp_eq_u32_e32 vcc, 1, v10
	s_and_b64 exec, exec, vcc
	s_cbranch_execz .LBB222_288
; %bb.287:
	s_lshl_b64 s[4:5], s[22:23], 3
	s_add_u32 s3, s6, s4
	v_mov_b32_e32 v21, 0
	s_addc_u32 s4, s7, s5
	v_lshlrev_b64 v[10:11], 3, v[20:21]
	v_mov_b32_e32 v12, s4
	v_add_co_u32_e32 v10, vcc, s3, v10
	v_addc_co_u32_e32 v11, vcc, v12, v11, vcc
	global_store_dwordx2 v[10:11], v[2:3], off
.LBB222_288:
	s_or_b64 exec, exec, s[0:1]
	v_cmp_gt_u32_e32 vcc, s2, v18
	s_or_b64 s[2:3], s[34:35], vcc
	s_and_saveexec_b64 s[0:1], s[2:3]
	s_cbranch_execz .LBB222_291
; %bb.289:
	v_and_b32_e32 v10, 1, v29
	v_cmp_eq_u32_e32 vcc, 1, v10
	s_and_b64 exec, exec, vcc
	s_cbranch_execz .LBB222_291
; %bb.290:
	s_lshl_b64 s[2:3], s[22:23], 3
	s_add_u32 s2, s6, s2
	v_mov_b32_e32 v19, 0
	s_addc_u32 s3, s7, s3
	v_lshlrev_b64 v[10:11], 3, v[18:19]
	v_mov_b32_e32 v12, s3
	v_add_co_u32_e32 v10, vcc, s2, v10
	v_addc_co_u32_e32 v11, vcc, v12, v11, vcc
	global_store_dwordx2 v[10:11], v[4:5], off
.LBB222_291:
	s_or_b64 exec, exec, s[0:1]
	s_branch .LBB222_277
.LBB222_292:
	v_cmp_eq_u32_e32 vcc, 1, v26
	s_and_saveexec_b64 s[0:1], vcc
	s_cbranch_execz .LBB222_294
; %bb.293:
	v_subrev_u32_e32 v10, s16, v24
	v_lshlrev_b32_e32 v10, 3, v10
	ds_write_b64 v10, v[6:7]
.LBB222_294:
	s_or_b64 exec, exec, s[0:1]
	v_and_b32_e32 v1, 1, v1
	v_cmp_eq_u32_e32 vcc, 1, v1
	s_and_saveexec_b64 s[0:1], vcc
	s_cbranch_execz .LBB222_296
; %bb.295:
	v_subrev_u32_e32 v1, s16, v22
	v_lshlrev_b32_e32 v1, 3, v1
	ds_write_b64 v1, v[8:9]
.LBB222_296:
	s_or_b64 exec, exec, s[0:1]
	v_mov_b32_e32 v1, 1
	v_and_b32_sdwa v1, v1, v28 dst_sel:DWORD dst_unused:UNUSED_PAD src0_sel:DWORD src1_sel:WORD_1
	v_cmp_eq_u32_e32 vcc, 1, v1
	s_and_saveexec_b64 s[0:1], vcc
	s_cbranch_execz .LBB222_298
; %bb.297:
	v_subrev_u32_e32 v1, s16, v20
	v_lshlrev_b32_e32 v1, 3, v1
	ds_write_b64 v1, v[2:3]
.LBB222_298:
	s_or_b64 exec, exec, s[0:1]
	v_and_b32_e32 v1, 1, v29
	v_cmp_eq_u32_e32 vcc, 1, v1
	s_and_saveexec_b64 s[0:1], vcc
	s_cbranch_execz .LBB222_300
; %bb.299:
	v_subrev_u32_e32 v1, s16, v18
	v_lshlrev_b32_e32 v1, 3, v1
	ds_write_b64 v1, v[4:5]
.LBB222_300:
	s_or_b64 exec, exec, s[0:1]
	v_cmp_gt_u32_e32 vcc, s26, v0
	s_waitcnt lgkmcnt(0)
	s_barrier
	s_and_saveexec_b64 s[0:1], vcc
	s_cbranch_execz .LBB222_303
; %bb.301:
	s_mov_b32 s17, 0
	s_lshl_b64 s[2:3], s[16:17], 3
	s_add_u32 s4, s6, s2
	s_addc_u32 s5, s7, s3
	s_lshl_b64 s[2:3], s[22:23], 3
	s_add_u32 s4, s4, s2
	s_addc_u32 s5, s5, s3
	v_lshlrev_b32_e32 v1, 3, v0
	s_mov_b64 s[2:3], 0
	v_mov_b32_e32 v3, 0
	v_mov_b32_e32 v4, s5
	;; [unrolled: 1-line block ×3, first 2 shown]
.LBB222_302:                            ; =>This Inner Loop Header: Depth=1
	ds_read_b64 v[6:7], v1
	v_lshlrev_b64 v[8:9], 3, v[2:3]
	v_add_co_u32_e32 v8, vcc, s4, v8
	v_add_u32_e32 v2, 0x80, v2
	v_addc_co_u32_e32 v9, vcc, v4, v9, vcc
	v_cmp_le_u32_e32 vcc, s26, v2
	v_add_u32_e32 v1, 0x400, v1
	s_or_b64 s[2:3], vcc, s[2:3]
	s_waitcnt lgkmcnt(0)
	global_store_dwordx2 v[8:9], v[6:7], off
	s_andn2_b64 exec, exec, s[2:3]
	s_cbranch_execnz .LBB222_302
.LBB222_303:
	s_or_b64 exec, exec, s[0:1]
	v_cmp_eq_u32_e32 vcc, 0, v0
	s_and_b64 s[0:1], vcc, s[24:25]
	s_and_saveexec_b64 s[2:3], s[0:1]
	s_cbranch_execz .LBB222_278
.LBB222_304:
	s_add_u32 s0, s22, s26
	s_addc_u32 s1, s23, 0
	s_add_u32 s0, s0, s16
	s_addc_u32 s1, s1, 0
	v_mov_b32_e32 v2, 0
	v_pk_mov_b32 v[0:1], s[0:1], s[0:1] op_sel:[0,1]
	global_store_dwordx2 v2, v[0:1], s[20:21]
	s_endpgm
	.section	.rodata,"a",@progbits
	.p2align	6, 0x0
	.amdhsa_kernel _ZN7rocprim17ROCPRIM_400000_NS6detail17trampoline_kernelINS0_14default_configENS1_25partition_config_selectorILNS1_17partition_subalgoE9EllbEEZZNS1_14partition_implILS5_9ELb0ES3_jPlS8_PNS0_10empty_typeENS0_5tupleIJS8_S9_EEENSB_IJS8_SA_EEENS0_18inequality_wrapperIZN2at6native12_GLOBAL__N_124unique_dim_cuda_templateIhEESt5tupleIJNSF_6TensorESK_SK_EERKSK_lbbbEUlllE0_EEPmJS9_EEE10hipError_tPvRmT3_T4_T5_T6_T7_T9_mT8_P12ihipStream_tbDpT10_ENKUlT_T0_E_clISt17integral_constantIbLb1EES19_IbLb0EEEEDaS15_S16_EUlS15_E_NS1_11comp_targetILNS1_3genE4ELNS1_11target_archE910ELNS1_3gpuE8ELNS1_3repE0EEENS1_30default_config_static_selectorELNS0_4arch9wavefront6targetE1EEEvT1_
		.amdhsa_group_segment_fixed_size 4236
		.amdhsa_private_segment_fixed_size 0
		.amdhsa_kernarg_size 120
		.amdhsa_user_sgpr_count 6
		.amdhsa_user_sgpr_private_segment_buffer 1
		.amdhsa_user_sgpr_dispatch_ptr 0
		.amdhsa_user_sgpr_queue_ptr 0
		.amdhsa_user_sgpr_kernarg_segment_ptr 1
		.amdhsa_user_sgpr_dispatch_id 0
		.amdhsa_user_sgpr_flat_scratch_init 0
		.amdhsa_user_sgpr_kernarg_preload_length 0
		.amdhsa_user_sgpr_kernarg_preload_offset 0
		.amdhsa_user_sgpr_private_segment_size 0
		.amdhsa_uses_dynamic_stack 0
		.amdhsa_system_sgpr_private_segment_wavefront_offset 0
		.amdhsa_system_sgpr_workgroup_id_x 1
		.amdhsa_system_sgpr_workgroup_id_y 0
		.amdhsa_system_sgpr_workgroup_id_z 0
		.amdhsa_system_sgpr_workgroup_info 0
		.amdhsa_system_vgpr_workitem_id 0
		.amdhsa_next_free_vgpr 50
		.amdhsa_next_free_sgpr 46
		.amdhsa_accum_offset 52
		.amdhsa_reserve_vcc 1
		.amdhsa_reserve_flat_scratch 0
		.amdhsa_float_round_mode_32 0
		.amdhsa_float_round_mode_16_64 0
		.amdhsa_float_denorm_mode_32 3
		.amdhsa_float_denorm_mode_16_64 3
		.amdhsa_dx10_clamp 1
		.amdhsa_ieee_mode 1
		.amdhsa_fp16_overflow 0
		.amdhsa_tg_split 0
		.amdhsa_exception_fp_ieee_invalid_op 0
		.amdhsa_exception_fp_denorm_src 0
		.amdhsa_exception_fp_ieee_div_zero 0
		.amdhsa_exception_fp_ieee_overflow 0
		.amdhsa_exception_fp_ieee_underflow 0
		.amdhsa_exception_fp_ieee_inexact 0
		.amdhsa_exception_int_div_zero 0
	.end_amdhsa_kernel
	.section	.text._ZN7rocprim17ROCPRIM_400000_NS6detail17trampoline_kernelINS0_14default_configENS1_25partition_config_selectorILNS1_17partition_subalgoE9EllbEEZZNS1_14partition_implILS5_9ELb0ES3_jPlS8_PNS0_10empty_typeENS0_5tupleIJS8_S9_EEENSB_IJS8_SA_EEENS0_18inequality_wrapperIZN2at6native12_GLOBAL__N_124unique_dim_cuda_templateIhEESt5tupleIJNSF_6TensorESK_SK_EERKSK_lbbbEUlllE0_EEPmJS9_EEE10hipError_tPvRmT3_T4_T5_T6_T7_T9_mT8_P12ihipStream_tbDpT10_ENKUlT_T0_E_clISt17integral_constantIbLb1EES19_IbLb0EEEEDaS15_S16_EUlS15_E_NS1_11comp_targetILNS1_3genE4ELNS1_11target_archE910ELNS1_3gpuE8ELNS1_3repE0EEENS1_30default_config_static_selectorELNS0_4arch9wavefront6targetE1EEEvT1_,"axG",@progbits,_ZN7rocprim17ROCPRIM_400000_NS6detail17trampoline_kernelINS0_14default_configENS1_25partition_config_selectorILNS1_17partition_subalgoE9EllbEEZZNS1_14partition_implILS5_9ELb0ES3_jPlS8_PNS0_10empty_typeENS0_5tupleIJS8_S9_EEENSB_IJS8_SA_EEENS0_18inequality_wrapperIZN2at6native12_GLOBAL__N_124unique_dim_cuda_templateIhEESt5tupleIJNSF_6TensorESK_SK_EERKSK_lbbbEUlllE0_EEPmJS9_EEE10hipError_tPvRmT3_T4_T5_T6_T7_T9_mT8_P12ihipStream_tbDpT10_ENKUlT_T0_E_clISt17integral_constantIbLb1EES19_IbLb0EEEEDaS15_S16_EUlS15_E_NS1_11comp_targetILNS1_3genE4ELNS1_11target_archE910ELNS1_3gpuE8ELNS1_3repE0EEENS1_30default_config_static_selectorELNS0_4arch9wavefront6targetE1EEEvT1_,comdat
.Lfunc_end222:
	.size	_ZN7rocprim17ROCPRIM_400000_NS6detail17trampoline_kernelINS0_14default_configENS1_25partition_config_selectorILNS1_17partition_subalgoE9EllbEEZZNS1_14partition_implILS5_9ELb0ES3_jPlS8_PNS0_10empty_typeENS0_5tupleIJS8_S9_EEENSB_IJS8_SA_EEENS0_18inequality_wrapperIZN2at6native12_GLOBAL__N_124unique_dim_cuda_templateIhEESt5tupleIJNSF_6TensorESK_SK_EERKSK_lbbbEUlllE0_EEPmJS9_EEE10hipError_tPvRmT3_T4_T5_T6_T7_T9_mT8_P12ihipStream_tbDpT10_ENKUlT_T0_E_clISt17integral_constantIbLb1EES19_IbLb0EEEEDaS15_S16_EUlS15_E_NS1_11comp_targetILNS1_3genE4ELNS1_11target_archE910ELNS1_3gpuE8ELNS1_3repE0EEENS1_30default_config_static_selectorELNS0_4arch9wavefront6targetE1EEEvT1_, .Lfunc_end222-_ZN7rocprim17ROCPRIM_400000_NS6detail17trampoline_kernelINS0_14default_configENS1_25partition_config_selectorILNS1_17partition_subalgoE9EllbEEZZNS1_14partition_implILS5_9ELb0ES3_jPlS8_PNS0_10empty_typeENS0_5tupleIJS8_S9_EEENSB_IJS8_SA_EEENS0_18inequality_wrapperIZN2at6native12_GLOBAL__N_124unique_dim_cuda_templateIhEESt5tupleIJNSF_6TensorESK_SK_EERKSK_lbbbEUlllE0_EEPmJS9_EEE10hipError_tPvRmT3_T4_T5_T6_T7_T9_mT8_P12ihipStream_tbDpT10_ENKUlT_T0_E_clISt17integral_constantIbLb1EES19_IbLb0EEEEDaS15_S16_EUlS15_E_NS1_11comp_targetILNS1_3genE4ELNS1_11target_archE910ELNS1_3gpuE8ELNS1_3repE0EEENS1_30default_config_static_selectorELNS0_4arch9wavefront6targetE1EEEvT1_
                                        ; -- End function
	.section	.AMDGPU.csdata,"",@progbits
; Kernel info:
; codeLenInByte = 9560
; NumSgprs: 50
; NumVgprs: 50
; NumAgprs: 0
; TotalNumVgprs: 50
; ScratchSize: 0
; MemoryBound: 0
; FloatMode: 240
; IeeeMode: 1
; LDSByteSize: 4236 bytes/workgroup (compile time only)
; SGPRBlocks: 6
; VGPRBlocks: 6
; NumSGPRsForWavesPerEU: 50
; NumVGPRsForWavesPerEU: 50
; AccumOffset: 52
; Occupancy: 8
; WaveLimiterHint : 1
; COMPUTE_PGM_RSRC2:SCRATCH_EN: 0
; COMPUTE_PGM_RSRC2:USER_SGPR: 6
; COMPUTE_PGM_RSRC2:TRAP_HANDLER: 0
; COMPUTE_PGM_RSRC2:TGID_X_EN: 1
; COMPUTE_PGM_RSRC2:TGID_Y_EN: 0
; COMPUTE_PGM_RSRC2:TGID_Z_EN: 0
; COMPUTE_PGM_RSRC2:TIDIG_COMP_CNT: 0
; COMPUTE_PGM_RSRC3_GFX90A:ACCUM_OFFSET: 12
; COMPUTE_PGM_RSRC3_GFX90A:TG_SPLIT: 0
	.section	.text._ZN7rocprim17ROCPRIM_400000_NS6detail17trampoline_kernelINS0_14default_configENS1_25partition_config_selectorILNS1_17partition_subalgoE9EllbEEZZNS1_14partition_implILS5_9ELb0ES3_jPlS8_PNS0_10empty_typeENS0_5tupleIJS8_S9_EEENSB_IJS8_SA_EEENS0_18inequality_wrapperIZN2at6native12_GLOBAL__N_124unique_dim_cuda_templateIhEESt5tupleIJNSF_6TensorESK_SK_EERKSK_lbbbEUlllE0_EEPmJS9_EEE10hipError_tPvRmT3_T4_T5_T6_T7_T9_mT8_P12ihipStream_tbDpT10_ENKUlT_T0_E_clISt17integral_constantIbLb1EES19_IbLb0EEEEDaS15_S16_EUlS15_E_NS1_11comp_targetILNS1_3genE3ELNS1_11target_archE908ELNS1_3gpuE7ELNS1_3repE0EEENS1_30default_config_static_selectorELNS0_4arch9wavefront6targetE1EEEvT1_,"axG",@progbits,_ZN7rocprim17ROCPRIM_400000_NS6detail17trampoline_kernelINS0_14default_configENS1_25partition_config_selectorILNS1_17partition_subalgoE9EllbEEZZNS1_14partition_implILS5_9ELb0ES3_jPlS8_PNS0_10empty_typeENS0_5tupleIJS8_S9_EEENSB_IJS8_SA_EEENS0_18inequality_wrapperIZN2at6native12_GLOBAL__N_124unique_dim_cuda_templateIhEESt5tupleIJNSF_6TensorESK_SK_EERKSK_lbbbEUlllE0_EEPmJS9_EEE10hipError_tPvRmT3_T4_T5_T6_T7_T9_mT8_P12ihipStream_tbDpT10_ENKUlT_T0_E_clISt17integral_constantIbLb1EES19_IbLb0EEEEDaS15_S16_EUlS15_E_NS1_11comp_targetILNS1_3genE3ELNS1_11target_archE908ELNS1_3gpuE7ELNS1_3repE0EEENS1_30default_config_static_selectorELNS0_4arch9wavefront6targetE1EEEvT1_,comdat
	.globl	_ZN7rocprim17ROCPRIM_400000_NS6detail17trampoline_kernelINS0_14default_configENS1_25partition_config_selectorILNS1_17partition_subalgoE9EllbEEZZNS1_14partition_implILS5_9ELb0ES3_jPlS8_PNS0_10empty_typeENS0_5tupleIJS8_S9_EEENSB_IJS8_SA_EEENS0_18inequality_wrapperIZN2at6native12_GLOBAL__N_124unique_dim_cuda_templateIhEESt5tupleIJNSF_6TensorESK_SK_EERKSK_lbbbEUlllE0_EEPmJS9_EEE10hipError_tPvRmT3_T4_T5_T6_T7_T9_mT8_P12ihipStream_tbDpT10_ENKUlT_T0_E_clISt17integral_constantIbLb1EES19_IbLb0EEEEDaS15_S16_EUlS15_E_NS1_11comp_targetILNS1_3genE3ELNS1_11target_archE908ELNS1_3gpuE7ELNS1_3repE0EEENS1_30default_config_static_selectorELNS0_4arch9wavefront6targetE1EEEvT1_ ; -- Begin function _ZN7rocprim17ROCPRIM_400000_NS6detail17trampoline_kernelINS0_14default_configENS1_25partition_config_selectorILNS1_17partition_subalgoE9EllbEEZZNS1_14partition_implILS5_9ELb0ES3_jPlS8_PNS0_10empty_typeENS0_5tupleIJS8_S9_EEENSB_IJS8_SA_EEENS0_18inequality_wrapperIZN2at6native12_GLOBAL__N_124unique_dim_cuda_templateIhEESt5tupleIJNSF_6TensorESK_SK_EERKSK_lbbbEUlllE0_EEPmJS9_EEE10hipError_tPvRmT3_T4_T5_T6_T7_T9_mT8_P12ihipStream_tbDpT10_ENKUlT_T0_E_clISt17integral_constantIbLb1EES19_IbLb0EEEEDaS15_S16_EUlS15_E_NS1_11comp_targetILNS1_3genE3ELNS1_11target_archE908ELNS1_3gpuE7ELNS1_3repE0EEENS1_30default_config_static_selectorELNS0_4arch9wavefront6targetE1EEEvT1_
	.p2align	8
	.type	_ZN7rocprim17ROCPRIM_400000_NS6detail17trampoline_kernelINS0_14default_configENS1_25partition_config_selectorILNS1_17partition_subalgoE9EllbEEZZNS1_14partition_implILS5_9ELb0ES3_jPlS8_PNS0_10empty_typeENS0_5tupleIJS8_S9_EEENSB_IJS8_SA_EEENS0_18inequality_wrapperIZN2at6native12_GLOBAL__N_124unique_dim_cuda_templateIhEESt5tupleIJNSF_6TensorESK_SK_EERKSK_lbbbEUlllE0_EEPmJS9_EEE10hipError_tPvRmT3_T4_T5_T6_T7_T9_mT8_P12ihipStream_tbDpT10_ENKUlT_T0_E_clISt17integral_constantIbLb1EES19_IbLb0EEEEDaS15_S16_EUlS15_E_NS1_11comp_targetILNS1_3genE3ELNS1_11target_archE908ELNS1_3gpuE7ELNS1_3repE0EEENS1_30default_config_static_selectorELNS0_4arch9wavefront6targetE1EEEvT1_,@function
_ZN7rocprim17ROCPRIM_400000_NS6detail17trampoline_kernelINS0_14default_configENS1_25partition_config_selectorILNS1_17partition_subalgoE9EllbEEZZNS1_14partition_implILS5_9ELb0ES3_jPlS8_PNS0_10empty_typeENS0_5tupleIJS8_S9_EEENSB_IJS8_SA_EEENS0_18inequality_wrapperIZN2at6native12_GLOBAL__N_124unique_dim_cuda_templateIhEESt5tupleIJNSF_6TensorESK_SK_EERKSK_lbbbEUlllE0_EEPmJS9_EEE10hipError_tPvRmT3_T4_T5_T6_T7_T9_mT8_P12ihipStream_tbDpT10_ENKUlT_T0_E_clISt17integral_constantIbLb1EES19_IbLb0EEEEDaS15_S16_EUlS15_E_NS1_11comp_targetILNS1_3genE3ELNS1_11target_archE908ELNS1_3gpuE7ELNS1_3repE0EEENS1_30default_config_static_selectorELNS0_4arch9wavefront6targetE1EEEvT1_: ; @_ZN7rocprim17ROCPRIM_400000_NS6detail17trampoline_kernelINS0_14default_configENS1_25partition_config_selectorILNS1_17partition_subalgoE9EllbEEZZNS1_14partition_implILS5_9ELb0ES3_jPlS8_PNS0_10empty_typeENS0_5tupleIJS8_S9_EEENSB_IJS8_SA_EEENS0_18inequality_wrapperIZN2at6native12_GLOBAL__N_124unique_dim_cuda_templateIhEESt5tupleIJNSF_6TensorESK_SK_EERKSK_lbbbEUlllE0_EEPmJS9_EEE10hipError_tPvRmT3_T4_T5_T6_T7_T9_mT8_P12ihipStream_tbDpT10_ENKUlT_T0_E_clISt17integral_constantIbLb1EES19_IbLb0EEEEDaS15_S16_EUlS15_E_NS1_11comp_targetILNS1_3genE3ELNS1_11target_archE908ELNS1_3gpuE7ELNS1_3repE0EEENS1_30default_config_static_selectorELNS0_4arch9wavefront6targetE1EEEvT1_
; %bb.0:
	.section	.rodata,"a",@progbits
	.p2align	6, 0x0
	.amdhsa_kernel _ZN7rocprim17ROCPRIM_400000_NS6detail17trampoline_kernelINS0_14default_configENS1_25partition_config_selectorILNS1_17partition_subalgoE9EllbEEZZNS1_14partition_implILS5_9ELb0ES3_jPlS8_PNS0_10empty_typeENS0_5tupleIJS8_S9_EEENSB_IJS8_SA_EEENS0_18inequality_wrapperIZN2at6native12_GLOBAL__N_124unique_dim_cuda_templateIhEESt5tupleIJNSF_6TensorESK_SK_EERKSK_lbbbEUlllE0_EEPmJS9_EEE10hipError_tPvRmT3_T4_T5_T6_T7_T9_mT8_P12ihipStream_tbDpT10_ENKUlT_T0_E_clISt17integral_constantIbLb1EES19_IbLb0EEEEDaS15_S16_EUlS15_E_NS1_11comp_targetILNS1_3genE3ELNS1_11target_archE908ELNS1_3gpuE7ELNS1_3repE0EEENS1_30default_config_static_selectorELNS0_4arch9wavefront6targetE1EEEvT1_
		.amdhsa_group_segment_fixed_size 0
		.amdhsa_private_segment_fixed_size 0
		.amdhsa_kernarg_size 120
		.amdhsa_user_sgpr_count 6
		.amdhsa_user_sgpr_private_segment_buffer 1
		.amdhsa_user_sgpr_dispatch_ptr 0
		.amdhsa_user_sgpr_queue_ptr 0
		.amdhsa_user_sgpr_kernarg_segment_ptr 1
		.amdhsa_user_sgpr_dispatch_id 0
		.amdhsa_user_sgpr_flat_scratch_init 0
		.amdhsa_user_sgpr_kernarg_preload_length 0
		.amdhsa_user_sgpr_kernarg_preload_offset 0
		.amdhsa_user_sgpr_private_segment_size 0
		.amdhsa_uses_dynamic_stack 0
		.amdhsa_system_sgpr_private_segment_wavefront_offset 0
		.amdhsa_system_sgpr_workgroup_id_x 1
		.amdhsa_system_sgpr_workgroup_id_y 0
		.amdhsa_system_sgpr_workgroup_id_z 0
		.amdhsa_system_sgpr_workgroup_info 0
		.amdhsa_system_vgpr_workitem_id 0
		.amdhsa_next_free_vgpr 1
		.amdhsa_next_free_sgpr 0
		.amdhsa_accum_offset 4
		.amdhsa_reserve_vcc 0
		.amdhsa_reserve_flat_scratch 0
		.amdhsa_float_round_mode_32 0
		.amdhsa_float_round_mode_16_64 0
		.amdhsa_float_denorm_mode_32 3
		.amdhsa_float_denorm_mode_16_64 3
		.amdhsa_dx10_clamp 1
		.amdhsa_ieee_mode 1
		.amdhsa_fp16_overflow 0
		.amdhsa_tg_split 0
		.amdhsa_exception_fp_ieee_invalid_op 0
		.amdhsa_exception_fp_denorm_src 0
		.amdhsa_exception_fp_ieee_div_zero 0
		.amdhsa_exception_fp_ieee_overflow 0
		.amdhsa_exception_fp_ieee_underflow 0
		.amdhsa_exception_fp_ieee_inexact 0
		.amdhsa_exception_int_div_zero 0
	.end_amdhsa_kernel
	.section	.text._ZN7rocprim17ROCPRIM_400000_NS6detail17trampoline_kernelINS0_14default_configENS1_25partition_config_selectorILNS1_17partition_subalgoE9EllbEEZZNS1_14partition_implILS5_9ELb0ES3_jPlS8_PNS0_10empty_typeENS0_5tupleIJS8_S9_EEENSB_IJS8_SA_EEENS0_18inequality_wrapperIZN2at6native12_GLOBAL__N_124unique_dim_cuda_templateIhEESt5tupleIJNSF_6TensorESK_SK_EERKSK_lbbbEUlllE0_EEPmJS9_EEE10hipError_tPvRmT3_T4_T5_T6_T7_T9_mT8_P12ihipStream_tbDpT10_ENKUlT_T0_E_clISt17integral_constantIbLb1EES19_IbLb0EEEEDaS15_S16_EUlS15_E_NS1_11comp_targetILNS1_3genE3ELNS1_11target_archE908ELNS1_3gpuE7ELNS1_3repE0EEENS1_30default_config_static_selectorELNS0_4arch9wavefront6targetE1EEEvT1_,"axG",@progbits,_ZN7rocprim17ROCPRIM_400000_NS6detail17trampoline_kernelINS0_14default_configENS1_25partition_config_selectorILNS1_17partition_subalgoE9EllbEEZZNS1_14partition_implILS5_9ELb0ES3_jPlS8_PNS0_10empty_typeENS0_5tupleIJS8_S9_EEENSB_IJS8_SA_EEENS0_18inequality_wrapperIZN2at6native12_GLOBAL__N_124unique_dim_cuda_templateIhEESt5tupleIJNSF_6TensorESK_SK_EERKSK_lbbbEUlllE0_EEPmJS9_EEE10hipError_tPvRmT3_T4_T5_T6_T7_T9_mT8_P12ihipStream_tbDpT10_ENKUlT_T0_E_clISt17integral_constantIbLb1EES19_IbLb0EEEEDaS15_S16_EUlS15_E_NS1_11comp_targetILNS1_3genE3ELNS1_11target_archE908ELNS1_3gpuE7ELNS1_3repE0EEENS1_30default_config_static_selectorELNS0_4arch9wavefront6targetE1EEEvT1_,comdat
.Lfunc_end223:
	.size	_ZN7rocprim17ROCPRIM_400000_NS6detail17trampoline_kernelINS0_14default_configENS1_25partition_config_selectorILNS1_17partition_subalgoE9EllbEEZZNS1_14partition_implILS5_9ELb0ES3_jPlS8_PNS0_10empty_typeENS0_5tupleIJS8_S9_EEENSB_IJS8_SA_EEENS0_18inequality_wrapperIZN2at6native12_GLOBAL__N_124unique_dim_cuda_templateIhEESt5tupleIJNSF_6TensorESK_SK_EERKSK_lbbbEUlllE0_EEPmJS9_EEE10hipError_tPvRmT3_T4_T5_T6_T7_T9_mT8_P12ihipStream_tbDpT10_ENKUlT_T0_E_clISt17integral_constantIbLb1EES19_IbLb0EEEEDaS15_S16_EUlS15_E_NS1_11comp_targetILNS1_3genE3ELNS1_11target_archE908ELNS1_3gpuE7ELNS1_3repE0EEENS1_30default_config_static_selectorELNS0_4arch9wavefront6targetE1EEEvT1_, .Lfunc_end223-_ZN7rocprim17ROCPRIM_400000_NS6detail17trampoline_kernelINS0_14default_configENS1_25partition_config_selectorILNS1_17partition_subalgoE9EllbEEZZNS1_14partition_implILS5_9ELb0ES3_jPlS8_PNS0_10empty_typeENS0_5tupleIJS8_S9_EEENSB_IJS8_SA_EEENS0_18inequality_wrapperIZN2at6native12_GLOBAL__N_124unique_dim_cuda_templateIhEESt5tupleIJNSF_6TensorESK_SK_EERKSK_lbbbEUlllE0_EEPmJS9_EEE10hipError_tPvRmT3_T4_T5_T6_T7_T9_mT8_P12ihipStream_tbDpT10_ENKUlT_T0_E_clISt17integral_constantIbLb1EES19_IbLb0EEEEDaS15_S16_EUlS15_E_NS1_11comp_targetILNS1_3genE3ELNS1_11target_archE908ELNS1_3gpuE7ELNS1_3repE0EEENS1_30default_config_static_selectorELNS0_4arch9wavefront6targetE1EEEvT1_
                                        ; -- End function
	.section	.AMDGPU.csdata,"",@progbits
; Kernel info:
; codeLenInByte = 0
; NumSgprs: 4
; NumVgprs: 0
; NumAgprs: 0
; TotalNumVgprs: 0
; ScratchSize: 0
; MemoryBound: 0
; FloatMode: 240
; IeeeMode: 1
; LDSByteSize: 0 bytes/workgroup (compile time only)
; SGPRBlocks: 0
; VGPRBlocks: 0
; NumSGPRsForWavesPerEU: 4
; NumVGPRsForWavesPerEU: 1
; AccumOffset: 4
; Occupancy: 8
; WaveLimiterHint : 0
; COMPUTE_PGM_RSRC2:SCRATCH_EN: 0
; COMPUTE_PGM_RSRC2:USER_SGPR: 6
; COMPUTE_PGM_RSRC2:TRAP_HANDLER: 0
; COMPUTE_PGM_RSRC2:TGID_X_EN: 1
; COMPUTE_PGM_RSRC2:TGID_Y_EN: 0
; COMPUTE_PGM_RSRC2:TGID_Z_EN: 0
; COMPUTE_PGM_RSRC2:TIDIG_COMP_CNT: 0
; COMPUTE_PGM_RSRC3_GFX90A:ACCUM_OFFSET: 0
; COMPUTE_PGM_RSRC3_GFX90A:TG_SPLIT: 0
	.section	.text._ZN7rocprim17ROCPRIM_400000_NS6detail17trampoline_kernelINS0_14default_configENS1_25partition_config_selectorILNS1_17partition_subalgoE9EllbEEZZNS1_14partition_implILS5_9ELb0ES3_jPlS8_PNS0_10empty_typeENS0_5tupleIJS8_S9_EEENSB_IJS8_SA_EEENS0_18inequality_wrapperIZN2at6native12_GLOBAL__N_124unique_dim_cuda_templateIhEESt5tupleIJNSF_6TensorESK_SK_EERKSK_lbbbEUlllE0_EEPmJS9_EEE10hipError_tPvRmT3_T4_T5_T6_T7_T9_mT8_P12ihipStream_tbDpT10_ENKUlT_T0_E_clISt17integral_constantIbLb1EES19_IbLb0EEEEDaS15_S16_EUlS15_E_NS1_11comp_targetILNS1_3genE2ELNS1_11target_archE906ELNS1_3gpuE6ELNS1_3repE0EEENS1_30default_config_static_selectorELNS0_4arch9wavefront6targetE1EEEvT1_,"axG",@progbits,_ZN7rocprim17ROCPRIM_400000_NS6detail17trampoline_kernelINS0_14default_configENS1_25partition_config_selectorILNS1_17partition_subalgoE9EllbEEZZNS1_14partition_implILS5_9ELb0ES3_jPlS8_PNS0_10empty_typeENS0_5tupleIJS8_S9_EEENSB_IJS8_SA_EEENS0_18inequality_wrapperIZN2at6native12_GLOBAL__N_124unique_dim_cuda_templateIhEESt5tupleIJNSF_6TensorESK_SK_EERKSK_lbbbEUlllE0_EEPmJS9_EEE10hipError_tPvRmT3_T4_T5_T6_T7_T9_mT8_P12ihipStream_tbDpT10_ENKUlT_T0_E_clISt17integral_constantIbLb1EES19_IbLb0EEEEDaS15_S16_EUlS15_E_NS1_11comp_targetILNS1_3genE2ELNS1_11target_archE906ELNS1_3gpuE6ELNS1_3repE0EEENS1_30default_config_static_selectorELNS0_4arch9wavefront6targetE1EEEvT1_,comdat
	.globl	_ZN7rocprim17ROCPRIM_400000_NS6detail17trampoline_kernelINS0_14default_configENS1_25partition_config_selectorILNS1_17partition_subalgoE9EllbEEZZNS1_14partition_implILS5_9ELb0ES3_jPlS8_PNS0_10empty_typeENS0_5tupleIJS8_S9_EEENSB_IJS8_SA_EEENS0_18inequality_wrapperIZN2at6native12_GLOBAL__N_124unique_dim_cuda_templateIhEESt5tupleIJNSF_6TensorESK_SK_EERKSK_lbbbEUlllE0_EEPmJS9_EEE10hipError_tPvRmT3_T4_T5_T6_T7_T9_mT8_P12ihipStream_tbDpT10_ENKUlT_T0_E_clISt17integral_constantIbLb1EES19_IbLb0EEEEDaS15_S16_EUlS15_E_NS1_11comp_targetILNS1_3genE2ELNS1_11target_archE906ELNS1_3gpuE6ELNS1_3repE0EEENS1_30default_config_static_selectorELNS0_4arch9wavefront6targetE1EEEvT1_ ; -- Begin function _ZN7rocprim17ROCPRIM_400000_NS6detail17trampoline_kernelINS0_14default_configENS1_25partition_config_selectorILNS1_17partition_subalgoE9EllbEEZZNS1_14partition_implILS5_9ELb0ES3_jPlS8_PNS0_10empty_typeENS0_5tupleIJS8_S9_EEENSB_IJS8_SA_EEENS0_18inequality_wrapperIZN2at6native12_GLOBAL__N_124unique_dim_cuda_templateIhEESt5tupleIJNSF_6TensorESK_SK_EERKSK_lbbbEUlllE0_EEPmJS9_EEE10hipError_tPvRmT3_T4_T5_T6_T7_T9_mT8_P12ihipStream_tbDpT10_ENKUlT_T0_E_clISt17integral_constantIbLb1EES19_IbLb0EEEEDaS15_S16_EUlS15_E_NS1_11comp_targetILNS1_3genE2ELNS1_11target_archE906ELNS1_3gpuE6ELNS1_3repE0EEENS1_30default_config_static_selectorELNS0_4arch9wavefront6targetE1EEEvT1_
	.p2align	8
	.type	_ZN7rocprim17ROCPRIM_400000_NS6detail17trampoline_kernelINS0_14default_configENS1_25partition_config_selectorILNS1_17partition_subalgoE9EllbEEZZNS1_14partition_implILS5_9ELb0ES3_jPlS8_PNS0_10empty_typeENS0_5tupleIJS8_S9_EEENSB_IJS8_SA_EEENS0_18inequality_wrapperIZN2at6native12_GLOBAL__N_124unique_dim_cuda_templateIhEESt5tupleIJNSF_6TensorESK_SK_EERKSK_lbbbEUlllE0_EEPmJS9_EEE10hipError_tPvRmT3_T4_T5_T6_T7_T9_mT8_P12ihipStream_tbDpT10_ENKUlT_T0_E_clISt17integral_constantIbLb1EES19_IbLb0EEEEDaS15_S16_EUlS15_E_NS1_11comp_targetILNS1_3genE2ELNS1_11target_archE906ELNS1_3gpuE6ELNS1_3repE0EEENS1_30default_config_static_selectorELNS0_4arch9wavefront6targetE1EEEvT1_,@function
_ZN7rocprim17ROCPRIM_400000_NS6detail17trampoline_kernelINS0_14default_configENS1_25partition_config_selectorILNS1_17partition_subalgoE9EllbEEZZNS1_14partition_implILS5_9ELb0ES3_jPlS8_PNS0_10empty_typeENS0_5tupleIJS8_S9_EEENSB_IJS8_SA_EEENS0_18inequality_wrapperIZN2at6native12_GLOBAL__N_124unique_dim_cuda_templateIhEESt5tupleIJNSF_6TensorESK_SK_EERKSK_lbbbEUlllE0_EEPmJS9_EEE10hipError_tPvRmT3_T4_T5_T6_T7_T9_mT8_P12ihipStream_tbDpT10_ENKUlT_T0_E_clISt17integral_constantIbLb1EES19_IbLb0EEEEDaS15_S16_EUlS15_E_NS1_11comp_targetILNS1_3genE2ELNS1_11target_archE906ELNS1_3gpuE6ELNS1_3repE0EEENS1_30default_config_static_selectorELNS0_4arch9wavefront6targetE1EEEvT1_: ; @_ZN7rocprim17ROCPRIM_400000_NS6detail17trampoline_kernelINS0_14default_configENS1_25partition_config_selectorILNS1_17partition_subalgoE9EllbEEZZNS1_14partition_implILS5_9ELb0ES3_jPlS8_PNS0_10empty_typeENS0_5tupleIJS8_S9_EEENSB_IJS8_SA_EEENS0_18inequality_wrapperIZN2at6native12_GLOBAL__N_124unique_dim_cuda_templateIhEESt5tupleIJNSF_6TensorESK_SK_EERKSK_lbbbEUlllE0_EEPmJS9_EEE10hipError_tPvRmT3_T4_T5_T6_T7_T9_mT8_P12ihipStream_tbDpT10_ENKUlT_T0_E_clISt17integral_constantIbLb1EES19_IbLb0EEEEDaS15_S16_EUlS15_E_NS1_11comp_targetILNS1_3genE2ELNS1_11target_archE906ELNS1_3gpuE6ELNS1_3repE0EEENS1_30default_config_static_selectorELNS0_4arch9wavefront6targetE1EEEvT1_
; %bb.0:
	.section	.rodata,"a",@progbits
	.p2align	6, 0x0
	.amdhsa_kernel _ZN7rocprim17ROCPRIM_400000_NS6detail17trampoline_kernelINS0_14default_configENS1_25partition_config_selectorILNS1_17partition_subalgoE9EllbEEZZNS1_14partition_implILS5_9ELb0ES3_jPlS8_PNS0_10empty_typeENS0_5tupleIJS8_S9_EEENSB_IJS8_SA_EEENS0_18inequality_wrapperIZN2at6native12_GLOBAL__N_124unique_dim_cuda_templateIhEESt5tupleIJNSF_6TensorESK_SK_EERKSK_lbbbEUlllE0_EEPmJS9_EEE10hipError_tPvRmT3_T4_T5_T6_T7_T9_mT8_P12ihipStream_tbDpT10_ENKUlT_T0_E_clISt17integral_constantIbLb1EES19_IbLb0EEEEDaS15_S16_EUlS15_E_NS1_11comp_targetILNS1_3genE2ELNS1_11target_archE906ELNS1_3gpuE6ELNS1_3repE0EEENS1_30default_config_static_selectorELNS0_4arch9wavefront6targetE1EEEvT1_
		.amdhsa_group_segment_fixed_size 0
		.amdhsa_private_segment_fixed_size 0
		.amdhsa_kernarg_size 120
		.amdhsa_user_sgpr_count 6
		.amdhsa_user_sgpr_private_segment_buffer 1
		.amdhsa_user_sgpr_dispatch_ptr 0
		.amdhsa_user_sgpr_queue_ptr 0
		.amdhsa_user_sgpr_kernarg_segment_ptr 1
		.amdhsa_user_sgpr_dispatch_id 0
		.amdhsa_user_sgpr_flat_scratch_init 0
		.amdhsa_user_sgpr_kernarg_preload_length 0
		.amdhsa_user_sgpr_kernarg_preload_offset 0
		.amdhsa_user_sgpr_private_segment_size 0
		.amdhsa_uses_dynamic_stack 0
		.amdhsa_system_sgpr_private_segment_wavefront_offset 0
		.amdhsa_system_sgpr_workgroup_id_x 1
		.amdhsa_system_sgpr_workgroup_id_y 0
		.amdhsa_system_sgpr_workgroup_id_z 0
		.amdhsa_system_sgpr_workgroup_info 0
		.amdhsa_system_vgpr_workitem_id 0
		.amdhsa_next_free_vgpr 1
		.amdhsa_next_free_sgpr 0
		.amdhsa_accum_offset 4
		.amdhsa_reserve_vcc 0
		.amdhsa_reserve_flat_scratch 0
		.amdhsa_float_round_mode_32 0
		.amdhsa_float_round_mode_16_64 0
		.amdhsa_float_denorm_mode_32 3
		.amdhsa_float_denorm_mode_16_64 3
		.amdhsa_dx10_clamp 1
		.amdhsa_ieee_mode 1
		.amdhsa_fp16_overflow 0
		.amdhsa_tg_split 0
		.amdhsa_exception_fp_ieee_invalid_op 0
		.amdhsa_exception_fp_denorm_src 0
		.amdhsa_exception_fp_ieee_div_zero 0
		.amdhsa_exception_fp_ieee_overflow 0
		.amdhsa_exception_fp_ieee_underflow 0
		.amdhsa_exception_fp_ieee_inexact 0
		.amdhsa_exception_int_div_zero 0
	.end_amdhsa_kernel
	.section	.text._ZN7rocprim17ROCPRIM_400000_NS6detail17trampoline_kernelINS0_14default_configENS1_25partition_config_selectorILNS1_17partition_subalgoE9EllbEEZZNS1_14partition_implILS5_9ELb0ES3_jPlS8_PNS0_10empty_typeENS0_5tupleIJS8_S9_EEENSB_IJS8_SA_EEENS0_18inequality_wrapperIZN2at6native12_GLOBAL__N_124unique_dim_cuda_templateIhEESt5tupleIJNSF_6TensorESK_SK_EERKSK_lbbbEUlllE0_EEPmJS9_EEE10hipError_tPvRmT3_T4_T5_T6_T7_T9_mT8_P12ihipStream_tbDpT10_ENKUlT_T0_E_clISt17integral_constantIbLb1EES19_IbLb0EEEEDaS15_S16_EUlS15_E_NS1_11comp_targetILNS1_3genE2ELNS1_11target_archE906ELNS1_3gpuE6ELNS1_3repE0EEENS1_30default_config_static_selectorELNS0_4arch9wavefront6targetE1EEEvT1_,"axG",@progbits,_ZN7rocprim17ROCPRIM_400000_NS6detail17trampoline_kernelINS0_14default_configENS1_25partition_config_selectorILNS1_17partition_subalgoE9EllbEEZZNS1_14partition_implILS5_9ELb0ES3_jPlS8_PNS0_10empty_typeENS0_5tupleIJS8_S9_EEENSB_IJS8_SA_EEENS0_18inequality_wrapperIZN2at6native12_GLOBAL__N_124unique_dim_cuda_templateIhEESt5tupleIJNSF_6TensorESK_SK_EERKSK_lbbbEUlllE0_EEPmJS9_EEE10hipError_tPvRmT3_T4_T5_T6_T7_T9_mT8_P12ihipStream_tbDpT10_ENKUlT_T0_E_clISt17integral_constantIbLb1EES19_IbLb0EEEEDaS15_S16_EUlS15_E_NS1_11comp_targetILNS1_3genE2ELNS1_11target_archE906ELNS1_3gpuE6ELNS1_3repE0EEENS1_30default_config_static_selectorELNS0_4arch9wavefront6targetE1EEEvT1_,comdat
.Lfunc_end224:
	.size	_ZN7rocprim17ROCPRIM_400000_NS6detail17trampoline_kernelINS0_14default_configENS1_25partition_config_selectorILNS1_17partition_subalgoE9EllbEEZZNS1_14partition_implILS5_9ELb0ES3_jPlS8_PNS0_10empty_typeENS0_5tupleIJS8_S9_EEENSB_IJS8_SA_EEENS0_18inequality_wrapperIZN2at6native12_GLOBAL__N_124unique_dim_cuda_templateIhEESt5tupleIJNSF_6TensorESK_SK_EERKSK_lbbbEUlllE0_EEPmJS9_EEE10hipError_tPvRmT3_T4_T5_T6_T7_T9_mT8_P12ihipStream_tbDpT10_ENKUlT_T0_E_clISt17integral_constantIbLb1EES19_IbLb0EEEEDaS15_S16_EUlS15_E_NS1_11comp_targetILNS1_3genE2ELNS1_11target_archE906ELNS1_3gpuE6ELNS1_3repE0EEENS1_30default_config_static_selectorELNS0_4arch9wavefront6targetE1EEEvT1_, .Lfunc_end224-_ZN7rocprim17ROCPRIM_400000_NS6detail17trampoline_kernelINS0_14default_configENS1_25partition_config_selectorILNS1_17partition_subalgoE9EllbEEZZNS1_14partition_implILS5_9ELb0ES3_jPlS8_PNS0_10empty_typeENS0_5tupleIJS8_S9_EEENSB_IJS8_SA_EEENS0_18inequality_wrapperIZN2at6native12_GLOBAL__N_124unique_dim_cuda_templateIhEESt5tupleIJNSF_6TensorESK_SK_EERKSK_lbbbEUlllE0_EEPmJS9_EEE10hipError_tPvRmT3_T4_T5_T6_T7_T9_mT8_P12ihipStream_tbDpT10_ENKUlT_T0_E_clISt17integral_constantIbLb1EES19_IbLb0EEEEDaS15_S16_EUlS15_E_NS1_11comp_targetILNS1_3genE2ELNS1_11target_archE906ELNS1_3gpuE6ELNS1_3repE0EEENS1_30default_config_static_selectorELNS0_4arch9wavefront6targetE1EEEvT1_
                                        ; -- End function
	.section	.AMDGPU.csdata,"",@progbits
; Kernel info:
; codeLenInByte = 0
; NumSgprs: 4
; NumVgprs: 0
; NumAgprs: 0
; TotalNumVgprs: 0
; ScratchSize: 0
; MemoryBound: 0
; FloatMode: 240
; IeeeMode: 1
; LDSByteSize: 0 bytes/workgroup (compile time only)
; SGPRBlocks: 0
; VGPRBlocks: 0
; NumSGPRsForWavesPerEU: 4
; NumVGPRsForWavesPerEU: 1
; AccumOffset: 4
; Occupancy: 8
; WaveLimiterHint : 0
; COMPUTE_PGM_RSRC2:SCRATCH_EN: 0
; COMPUTE_PGM_RSRC2:USER_SGPR: 6
; COMPUTE_PGM_RSRC2:TRAP_HANDLER: 0
; COMPUTE_PGM_RSRC2:TGID_X_EN: 1
; COMPUTE_PGM_RSRC2:TGID_Y_EN: 0
; COMPUTE_PGM_RSRC2:TGID_Z_EN: 0
; COMPUTE_PGM_RSRC2:TIDIG_COMP_CNT: 0
; COMPUTE_PGM_RSRC3_GFX90A:ACCUM_OFFSET: 0
; COMPUTE_PGM_RSRC3_GFX90A:TG_SPLIT: 0
	.section	.text._ZN7rocprim17ROCPRIM_400000_NS6detail17trampoline_kernelINS0_14default_configENS1_25partition_config_selectorILNS1_17partition_subalgoE9EllbEEZZNS1_14partition_implILS5_9ELb0ES3_jPlS8_PNS0_10empty_typeENS0_5tupleIJS8_S9_EEENSB_IJS8_SA_EEENS0_18inequality_wrapperIZN2at6native12_GLOBAL__N_124unique_dim_cuda_templateIhEESt5tupleIJNSF_6TensorESK_SK_EERKSK_lbbbEUlllE0_EEPmJS9_EEE10hipError_tPvRmT3_T4_T5_T6_T7_T9_mT8_P12ihipStream_tbDpT10_ENKUlT_T0_E_clISt17integral_constantIbLb1EES19_IbLb0EEEEDaS15_S16_EUlS15_E_NS1_11comp_targetILNS1_3genE10ELNS1_11target_archE1200ELNS1_3gpuE4ELNS1_3repE0EEENS1_30default_config_static_selectorELNS0_4arch9wavefront6targetE1EEEvT1_,"axG",@progbits,_ZN7rocprim17ROCPRIM_400000_NS6detail17trampoline_kernelINS0_14default_configENS1_25partition_config_selectorILNS1_17partition_subalgoE9EllbEEZZNS1_14partition_implILS5_9ELb0ES3_jPlS8_PNS0_10empty_typeENS0_5tupleIJS8_S9_EEENSB_IJS8_SA_EEENS0_18inequality_wrapperIZN2at6native12_GLOBAL__N_124unique_dim_cuda_templateIhEESt5tupleIJNSF_6TensorESK_SK_EERKSK_lbbbEUlllE0_EEPmJS9_EEE10hipError_tPvRmT3_T4_T5_T6_T7_T9_mT8_P12ihipStream_tbDpT10_ENKUlT_T0_E_clISt17integral_constantIbLb1EES19_IbLb0EEEEDaS15_S16_EUlS15_E_NS1_11comp_targetILNS1_3genE10ELNS1_11target_archE1200ELNS1_3gpuE4ELNS1_3repE0EEENS1_30default_config_static_selectorELNS0_4arch9wavefront6targetE1EEEvT1_,comdat
	.globl	_ZN7rocprim17ROCPRIM_400000_NS6detail17trampoline_kernelINS0_14default_configENS1_25partition_config_selectorILNS1_17partition_subalgoE9EllbEEZZNS1_14partition_implILS5_9ELb0ES3_jPlS8_PNS0_10empty_typeENS0_5tupleIJS8_S9_EEENSB_IJS8_SA_EEENS0_18inequality_wrapperIZN2at6native12_GLOBAL__N_124unique_dim_cuda_templateIhEESt5tupleIJNSF_6TensorESK_SK_EERKSK_lbbbEUlllE0_EEPmJS9_EEE10hipError_tPvRmT3_T4_T5_T6_T7_T9_mT8_P12ihipStream_tbDpT10_ENKUlT_T0_E_clISt17integral_constantIbLb1EES19_IbLb0EEEEDaS15_S16_EUlS15_E_NS1_11comp_targetILNS1_3genE10ELNS1_11target_archE1200ELNS1_3gpuE4ELNS1_3repE0EEENS1_30default_config_static_selectorELNS0_4arch9wavefront6targetE1EEEvT1_ ; -- Begin function _ZN7rocprim17ROCPRIM_400000_NS6detail17trampoline_kernelINS0_14default_configENS1_25partition_config_selectorILNS1_17partition_subalgoE9EllbEEZZNS1_14partition_implILS5_9ELb0ES3_jPlS8_PNS0_10empty_typeENS0_5tupleIJS8_S9_EEENSB_IJS8_SA_EEENS0_18inequality_wrapperIZN2at6native12_GLOBAL__N_124unique_dim_cuda_templateIhEESt5tupleIJNSF_6TensorESK_SK_EERKSK_lbbbEUlllE0_EEPmJS9_EEE10hipError_tPvRmT3_T4_T5_T6_T7_T9_mT8_P12ihipStream_tbDpT10_ENKUlT_T0_E_clISt17integral_constantIbLb1EES19_IbLb0EEEEDaS15_S16_EUlS15_E_NS1_11comp_targetILNS1_3genE10ELNS1_11target_archE1200ELNS1_3gpuE4ELNS1_3repE0EEENS1_30default_config_static_selectorELNS0_4arch9wavefront6targetE1EEEvT1_
	.p2align	8
	.type	_ZN7rocprim17ROCPRIM_400000_NS6detail17trampoline_kernelINS0_14default_configENS1_25partition_config_selectorILNS1_17partition_subalgoE9EllbEEZZNS1_14partition_implILS5_9ELb0ES3_jPlS8_PNS0_10empty_typeENS0_5tupleIJS8_S9_EEENSB_IJS8_SA_EEENS0_18inequality_wrapperIZN2at6native12_GLOBAL__N_124unique_dim_cuda_templateIhEESt5tupleIJNSF_6TensorESK_SK_EERKSK_lbbbEUlllE0_EEPmJS9_EEE10hipError_tPvRmT3_T4_T5_T6_T7_T9_mT8_P12ihipStream_tbDpT10_ENKUlT_T0_E_clISt17integral_constantIbLb1EES19_IbLb0EEEEDaS15_S16_EUlS15_E_NS1_11comp_targetILNS1_3genE10ELNS1_11target_archE1200ELNS1_3gpuE4ELNS1_3repE0EEENS1_30default_config_static_selectorELNS0_4arch9wavefront6targetE1EEEvT1_,@function
_ZN7rocprim17ROCPRIM_400000_NS6detail17trampoline_kernelINS0_14default_configENS1_25partition_config_selectorILNS1_17partition_subalgoE9EllbEEZZNS1_14partition_implILS5_9ELb0ES3_jPlS8_PNS0_10empty_typeENS0_5tupleIJS8_S9_EEENSB_IJS8_SA_EEENS0_18inequality_wrapperIZN2at6native12_GLOBAL__N_124unique_dim_cuda_templateIhEESt5tupleIJNSF_6TensorESK_SK_EERKSK_lbbbEUlllE0_EEPmJS9_EEE10hipError_tPvRmT3_T4_T5_T6_T7_T9_mT8_P12ihipStream_tbDpT10_ENKUlT_T0_E_clISt17integral_constantIbLb1EES19_IbLb0EEEEDaS15_S16_EUlS15_E_NS1_11comp_targetILNS1_3genE10ELNS1_11target_archE1200ELNS1_3gpuE4ELNS1_3repE0EEENS1_30default_config_static_selectorELNS0_4arch9wavefront6targetE1EEEvT1_: ; @_ZN7rocprim17ROCPRIM_400000_NS6detail17trampoline_kernelINS0_14default_configENS1_25partition_config_selectorILNS1_17partition_subalgoE9EllbEEZZNS1_14partition_implILS5_9ELb0ES3_jPlS8_PNS0_10empty_typeENS0_5tupleIJS8_S9_EEENSB_IJS8_SA_EEENS0_18inequality_wrapperIZN2at6native12_GLOBAL__N_124unique_dim_cuda_templateIhEESt5tupleIJNSF_6TensorESK_SK_EERKSK_lbbbEUlllE0_EEPmJS9_EEE10hipError_tPvRmT3_T4_T5_T6_T7_T9_mT8_P12ihipStream_tbDpT10_ENKUlT_T0_E_clISt17integral_constantIbLb1EES19_IbLb0EEEEDaS15_S16_EUlS15_E_NS1_11comp_targetILNS1_3genE10ELNS1_11target_archE1200ELNS1_3gpuE4ELNS1_3repE0EEENS1_30default_config_static_selectorELNS0_4arch9wavefront6targetE1EEEvT1_
; %bb.0:
	.section	.rodata,"a",@progbits
	.p2align	6, 0x0
	.amdhsa_kernel _ZN7rocprim17ROCPRIM_400000_NS6detail17trampoline_kernelINS0_14default_configENS1_25partition_config_selectorILNS1_17partition_subalgoE9EllbEEZZNS1_14partition_implILS5_9ELb0ES3_jPlS8_PNS0_10empty_typeENS0_5tupleIJS8_S9_EEENSB_IJS8_SA_EEENS0_18inequality_wrapperIZN2at6native12_GLOBAL__N_124unique_dim_cuda_templateIhEESt5tupleIJNSF_6TensorESK_SK_EERKSK_lbbbEUlllE0_EEPmJS9_EEE10hipError_tPvRmT3_T4_T5_T6_T7_T9_mT8_P12ihipStream_tbDpT10_ENKUlT_T0_E_clISt17integral_constantIbLb1EES19_IbLb0EEEEDaS15_S16_EUlS15_E_NS1_11comp_targetILNS1_3genE10ELNS1_11target_archE1200ELNS1_3gpuE4ELNS1_3repE0EEENS1_30default_config_static_selectorELNS0_4arch9wavefront6targetE1EEEvT1_
		.amdhsa_group_segment_fixed_size 0
		.amdhsa_private_segment_fixed_size 0
		.amdhsa_kernarg_size 120
		.amdhsa_user_sgpr_count 6
		.amdhsa_user_sgpr_private_segment_buffer 1
		.amdhsa_user_sgpr_dispatch_ptr 0
		.amdhsa_user_sgpr_queue_ptr 0
		.amdhsa_user_sgpr_kernarg_segment_ptr 1
		.amdhsa_user_sgpr_dispatch_id 0
		.amdhsa_user_sgpr_flat_scratch_init 0
		.amdhsa_user_sgpr_kernarg_preload_length 0
		.amdhsa_user_sgpr_kernarg_preload_offset 0
		.amdhsa_user_sgpr_private_segment_size 0
		.amdhsa_uses_dynamic_stack 0
		.amdhsa_system_sgpr_private_segment_wavefront_offset 0
		.amdhsa_system_sgpr_workgroup_id_x 1
		.amdhsa_system_sgpr_workgroup_id_y 0
		.amdhsa_system_sgpr_workgroup_id_z 0
		.amdhsa_system_sgpr_workgroup_info 0
		.amdhsa_system_vgpr_workitem_id 0
		.amdhsa_next_free_vgpr 1
		.amdhsa_next_free_sgpr 0
		.amdhsa_accum_offset 4
		.amdhsa_reserve_vcc 0
		.amdhsa_reserve_flat_scratch 0
		.amdhsa_float_round_mode_32 0
		.amdhsa_float_round_mode_16_64 0
		.amdhsa_float_denorm_mode_32 3
		.amdhsa_float_denorm_mode_16_64 3
		.amdhsa_dx10_clamp 1
		.amdhsa_ieee_mode 1
		.amdhsa_fp16_overflow 0
		.amdhsa_tg_split 0
		.amdhsa_exception_fp_ieee_invalid_op 0
		.amdhsa_exception_fp_denorm_src 0
		.amdhsa_exception_fp_ieee_div_zero 0
		.amdhsa_exception_fp_ieee_overflow 0
		.amdhsa_exception_fp_ieee_underflow 0
		.amdhsa_exception_fp_ieee_inexact 0
		.amdhsa_exception_int_div_zero 0
	.end_amdhsa_kernel
	.section	.text._ZN7rocprim17ROCPRIM_400000_NS6detail17trampoline_kernelINS0_14default_configENS1_25partition_config_selectorILNS1_17partition_subalgoE9EllbEEZZNS1_14partition_implILS5_9ELb0ES3_jPlS8_PNS0_10empty_typeENS0_5tupleIJS8_S9_EEENSB_IJS8_SA_EEENS0_18inequality_wrapperIZN2at6native12_GLOBAL__N_124unique_dim_cuda_templateIhEESt5tupleIJNSF_6TensorESK_SK_EERKSK_lbbbEUlllE0_EEPmJS9_EEE10hipError_tPvRmT3_T4_T5_T6_T7_T9_mT8_P12ihipStream_tbDpT10_ENKUlT_T0_E_clISt17integral_constantIbLb1EES19_IbLb0EEEEDaS15_S16_EUlS15_E_NS1_11comp_targetILNS1_3genE10ELNS1_11target_archE1200ELNS1_3gpuE4ELNS1_3repE0EEENS1_30default_config_static_selectorELNS0_4arch9wavefront6targetE1EEEvT1_,"axG",@progbits,_ZN7rocprim17ROCPRIM_400000_NS6detail17trampoline_kernelINS0_14default_configENS1_25partition_config_selectorILNS1_17partition_subalgoE9EllbEEZZNS1_14partition_implILS5_9ELb0ES3_jPlS8_PNS0_10empty_typeENS0_5tupleIJS8_S9_EEENSB_IJS8_SA_EEENS0_18inequality_wrapperIZN2at6native12_GLOBAL__N_124unique_dim_cuda_templateIhEESt5tupleIJNSF_6TensorESK_SK_EERKSK_lbbbEUlllE0_EEPmJS9_EEE10hipError_tPvRmT3_T4_T5_T6_T7_T9_mT8_P12ihipStream_tbDpT10_ENKUlT_T0_E_clISt17integral_constantIbLb1EES19_IbLb0EEEEDaS15_S16_EUlS15_E_NS1_11comp_targetILNS1_3genE10ELNS1_11target_archE1200ELNS1_3gpuE4ELNS1_3repE0EEENS1_30default_config_static_selectorELNS0_4arch9wavefront6targetE1EEEvT1_,comdat
.Lfunc_end225:
	.size	_ZN7rocprim17ROCPRIM_400000_NS6detail17trampoline_kernelINS0_14default_configENS1_25partition_config_selectorILNS1_17partition_subalgoE9EllbEEZZNS1_14partition_implILS5_9ELb0ES3_jPlS8_PNS0_10empty_typeENS0_5tupleIJS8_S9_EEENSB_IJS8_SA_EEENS0_18inequality_wrapperIZN2at6native12_GLOBAL__N_124unique_dim_cuda_templateIhEESt5tupleIJNSF_6TensorESK_SK_EERKSK_lbbbEUlllE0_EEPmJS9_EEE10hipError_tPvRmT3_T4_T5_T6_T7_T9_mT8_P12ihipStream_tbDpT10_ENKUlT_T0_E_clISt17integral_constantIbLb1EES19_IbLb0EEEEDaS15_S16_EUlS15_E_NS1_11comp_targetILNS1_3genE10ELNS1_11target_archE1200ELNS1_3gpuE4ELNS1_3repE0EEENS1_30default_config_static_selectorELNS0_4arch9wavefront6targetE1EEEvT1_, .Lfunc_end225-_ZN7rocprim17ROCPRIM_400000_NS6detail17trampoline_kernelINS0_14default_configENS1_25partition_config_selectorILNS1_17partition_subalgoE9EllbEEZZNS1_14partition_implILS5_9ELb0ES3_jPlS8_PNS0_10empty_typeENS0_5tupleIJS8_S9_EEENSB_IJS8_SA_EEENS0_18inequality_wrapperIZN2at6native12_GLOBAL__N_124unique_dim_cuda_templateIhEESt5tupleIJNSF_6TensorESK_SK_EERKSK_lbbbEUlllE0_EEPmJS9_EEE10hipError_tPvRmT3_T4_T5_T6_T7_T9_mT8_P12ihipStream_tbDpT10_ENKUlT_T0_E_clISt17integral_constantIbLb1EES19_IbLb0EEEEDaS15_S16_EUlS15_E_NS1_11comp_targetILNS1_3genE10ELNS1_11target_archE1200ELNS1_3gpuE4ELNS1_3repE0EEENS1_30default_config_static_selectorELNS0_4arch9wavefront6targetE1EEEvT1_
                                        ; -- End function
	.section	.AMDGPU.csdata,"",@progbits
; Kernel info:
; codeLenInByte = 0
; NumSgprs: 4
; NumVgprs: 0
; NumAgprs: 0
; TotalNumVgprs: 0
; ScratchSize: 0
; MemoryBound: 0
; FloatMode: 240
; IeeeMode: 1
; LDSByteSize: 0 bytes/workgroup (compile time only)
; SGPRBlocks: 0
; VGPRBlocks: 0
; NumSGPRsForWavesPerEU: 4
; NumVGPRsForWavesPerEU: 1
; AccumOffset: 4
; Occupancy: 8
; WaveLimiterHint : 0
; COMPUTE_PGM_RSRC2:SCRATCH_EN: 0
; COMPUTE_PGM_RSRC2:USER_SGPR: 6
; COMPUTE_PGM_RSRC2:TRAP_HANDLER: 0
; COMPUTE_PGM_RSRC2:TGID_X_EN: 1
; COMPUTE_PGM_RSRC2:TGID_Y_EN: 0
; COMPUTE_PGM_RSRC2:TGID_Z_EN: 0
; COMPUTE_PGM_RSRC2:TIDIG_COMP_CNT: 0
; COMPUTE_PGM_RSRC3_GFX90A:ACCUM_OFFSET: 0
; COMPUTE_PGM_RSRC3_GFX90A:TG_SPLIT: 0
	.section	.text._ZN7rocprim17ROCPRIM_400000_NS6detail17trampoline_kernelINS0_14default_configENS1_25partition_config_selectorILNS1_17partition_subalgoE9EllbEEZZNS1_14partition_implILS5_9ELb0ES3_jPlS8_PNS0_10empty_typeENS0_5tupleIJS8_S9_EEENSB_IJS8_SA_EEENS0_18inequality_wrapperIZN2at6native12_GLOBAL__N_124unique_dim_cuda_templateIhEESt5tupleIJNSF_6TensorESK_SK_EERKSK_lbbbEUlllE0_EEPmJS9_EEE10hipError_tPvRmT3_T4_T5_T6_T7_T9_mT8_P12ihipStream_tbDpT10_ENKUlT_T0_E_clISt17integral_constantIbLb1EES19_IbLb0EEEEDaS15_S16_EUlS15_E_NS1_11comp_targetILNS1_3genE9ELNS1_11target_archE1100ELNS1_3gpuE3ELNS1_3repE0EEENS1_30default_config_static_selectorELNS0_4arch9wavefront6targetE1EEEvT1_,"axG",@progbits,_ZN7rocprim17ROCPRIM_400000_NS6detail17trampoline_kernelINS0_14default_configENS1_25partition_config_selectorILNS1_17partition_subalgoE9EllbEEZZNS1_14partition_implILS5_9ELb0ES3_jPlS8_PNS0_10empty_typeENS0_5tupleIJS8_S9_EEENSB_IJS8_SA_EEENS0_18inequality_wrapperIZN2at6native12_GLOBAL__N_124unique_dim_cuda_templateIhEESt5tupleIJNSF_6TensorESK_SK_EERKSK_lbbbEUlllE0_EEPmJS9_EEE10hipError_tPvRmT3_T4_T5_T6_T7_T9_mT8_P12ihipStream_tbDpT10_ENKUlT_T0_E_clISt17integral_constantIbLb1EES19_IbLb0EEEEDaS15_S16_EUlS15_E_NS1_11comp_targetILNS1_3genE9ELNS1_11target_archE1100ELNS1_3gpuE3ELNS1_3repE0EEENS1_30default_config_static_selectorELNS0_4arch9wavefront6targetE1EEEvT1_,comdat
	.globl	_ZN7rocprim17ROCPRIM_400000_NS6detail17trampoline_kernelINS0_14default_configENS1_25partition_config_selectorILNS1_17partition_subalgoE9EllbEEZZNS1_14partition_implILS5_9ELb0ES3_jPlS8_PNS0_10empty_typeENS0_5tupleIJS8_S9_EEENSB_IJS8_SA_EEENS0_18inequality_wrapperIZN2at6native12_GLOBAL__N_124unique_dim_cuda_templateIhEESt5tupleIJNSF_6TensorESK_SK_EERKSK_lbbbEUlllE0_EEPmJS9_EEE10hipError_tPvRmT3_T4_T5_T6_T7_T9_mT8_P12ihipStream_tbDpT10_ENKUlT_T0_E_clISt17integral_constantIbLb1EES19_IbLb0EEEEDaS15_S16_EUlS15_E_NS1_11comp_targetILNS1_3genE9ELNS1_11target_archE1100ELNS1_3gpuE3ELNS1_3repE0EEENS1_30default_config_static_selectorELNS0_4arch9wavefront6targetE1EEEvT1_ ; -- Begin function _ZN7rocprim17ROCPRIM_400000_NS6detail17trampoline_kernelINS0_14default_configENS1_25partition_config_selectorILNS1_17partition_subalgoE9EllbEEZZNS1_14partition_implILS5_9ELb0ES3_jPlS8_PNS0_10empty_typeENS0_5tupleIJS8_S9_EEENSB_IJS8_SA_EEENS0_18inequality_wrapperIZN2at6native12_GLOBAL__N_124unique_dim_cuda_templateIhEESt5tupleIJNSF_6TensorESK_SK_EERKSK_lbbbEUlllE0_EEPmJS9_EEE10hipError_tPvRmT3_T4_T5_T6_T7_T9_mT8_P12ihipStream_tbDpT10_ENKUlT_T0_E_clISt17integral_constantIbLb1EES19_IbLb0EEEEDaS15_S16_EUlS15_E_NS1_11comp_targetILNS1_3genE9ELNS1_11target_archE1100ELNS1_3gpuE3ELNS1_3repE0EEENS1_30default_config_static_selectorELNS0_4arch9wavefront6targetE1EEEvT1_
	.p2align	8
	.type	_ZN7rocprim17ROCPRIM_400000_NS6detail17trampoline_kernelINS0_14default_configENS1_25partition_config_selectorILNS1_17partition_subalgoE9EllbEEZZNS1_14partition_implILS5_9ELb0ES3_jPlS8_PNS0_10empty_typeENS0_5tupleIJS8_S9_EEENSB_IJS8_SA_EEENS0_18inequality_wrapperIZN2at6native12_GLOBAL__N_124unique_dim_cuda_templateIhEESt5tupleIJNSF_6TensorESK_SK_EERKSK_lbbbEUlllE0_EEPmJS9_EEE10hipError_tPvRmT3_T4_T5_T6_T7_T9_mT8_P12ihipStream_tbDpT10_ENKUlT_T0_E_clISt17integral_constantIbLb1EES19_IbLb0EEEEDaS15_S16_EUlS15_E_NS1_11comp_targetILNS1_3genE9ELNS1_11target_archE1100ELNS1_3gpuE3ELNS1_3repE0EEENS1_30default_config_static_selectorELNS0_4arch9wavefront6targetE1EEEvT1_,@function
_ZN7rocprim17ROCPRIM_400000_NS6detail17trampoline_kernelINS0_14default_configENS1_25partition_config_selectorILNS1_17partition_subalgoE9EllbEEZZNS1_14partition_implILS5_9ELb0ES3_jPlS8_PNS0_10empty_typeENS0_5tupleIJS8_S9_EEENSB_IJS8_SA_EEENS0_18inequality_wrapperIZN2at6native12_GLOBAL__N_124unique_dim_cuda_templateIhEESt5tupleIJNSF_6TensorESK_SK_EERKSK_lbbbEUlllE0_EEPmJS9_EEE10hipError_tPvRmT3_T4_T5_T6_T7_T9_mT8_P12ihipStream_tbDpT10_ENKUlT_T0_E_clISt17integral_constantIbLb1EES19_IbLb0EEEEDaS15_S16_EUlS15_E_NS1_11comp_targetILNS1_3genE9ELNS1_11target_archE1100ELNS1_3gpuE3ELNS1_3repE0EEENS1_30default_config_static_selectorELNS0_4arch9wavefront6targetE1EEEvT1_: ; @_ZN7rocprim17ROCPRIM_400000_NS6detail17trampoline_kernelINS0_14default_configENS1_25partition_config_selectorILNS1_17partition_subalgoE9EllbEEZZNS1_14partition_implILS5_9ELb0ES3_jPlS8_PNS0_10empty_typeENS0_5tupleIJS8_S9_EEENSB_IJS8_SA_EEENS0_18inequality_wrapperIZN2at6native12_GLOBAL__N_124unique_dim_cuda_templateIhEESt5tupleIJNSF_6TensorESK_SK_EERKSK_lbbbEUlllE0_EEPmJS9_EEE10hipError_tPvRmT3_T4_T5_T6_T7_T9_mT8_P12ihipStream_tbDpT10_ENKUlT_T0_E_clISt17integral_constantIbLb1EES19_IbLb0EEEEDaS15_S16_EUlS15_E_NS1_11comp_targetILNS1_3genE9ELNS1_11target_archE1100ELNS1_3gpuE3ELNS1_3repE0EEENS1_30default_config_static_selectorELNS0_4arch9wavefront6targetE1EEEvT1_
; %bb.0:
	.section	.rodata,"a",@progbits
	.p2align	6, 0x0
	.amdhsa_kernel _ZN7rocprim17ROCPRIM_400000_NS6detail17trampoline_kernelINS0_14default_configENS1_25partition_config_selectorILNS1_17partition_subalgoE9EllbEEZZNS1_14partition_implILS5_9ELb0ES3_jPlS8_PNS0_10empty_typeENS0_5tupleIJS8_S9_EEENSB_IJS8_SA_EEENS0_18inequality_wrapperIZN2at6native12_GLOBAL__N_124unique_dim_cuda_templateIhEESt5tupleIJNSF_6TensorESK_SK_EERKSK_lbbbEUlllE0_EEPmJS9_EEE10hipError_tPvRmT3_T4_T5_T6_T7_T9_mT8_P12ihipStream_tbDpT10_ENKUlT_T0_E_clISt17integral_constantIbLb1EES19_IbLb0EEEEDaS15_S16_EUlS15_E_NS1_11comp_targetILNS1_3genE9ELNS1_11target_archE1100ELNS1_3gpuE3ELNS1_3repE0EEENS1_30default_config_static_selectorELNS0_4arch9wavefront6targetE1EEEvT1_
		.amdhsa_group_segment_fixed_size 0
		.amdhsa_private_segment_fixed_size 0
		.amdhsa_kernarg_size 120
		.amdhsa_user_sgpr_count 6
		.amdhsa_user_sgpr_private_segment_buffer 1
		.amdhsa_user_sgpr_dispatch_ptr 0
		.amdhsa_user_sgpr_queue_ptr 0
		.amdhsa_user_sgpr_kernarg_segment_ptr 1
		.amdhsa_user_sgpr_dispatch_id 0
		.amdhsa_user_sgpr_flat_scratch_init 0
		.amdhsa_user_sgpr_kernarg_preload_length 0
		.amdhsa_user_sgpr_kernarg_preload_offset 0
		.amdhsa_user_sgpr_private_segment_size 0
		.amdhsa_uses_dynamic_stack 0
		.amdhsa_system_sgpr_private_segment_wavefront_offset 0
		.amdhsa_system_sgpr_workgroup_id_x 1
		.amdhsa_system_sgpr_workgroup_id_y 0
		.amdhsa_system_sgpr_workgroup_id_z 0
		.amdhsa_system_sgpr_workgroup_info 0
		.amdhsa_system_vgpr_workitem_id 0
		.amdhsa_next_free_vgpr 1
		.amdhsa_next_free_sgpr 0
		.amdhsa_accum_offset 4
		.amdhsa_reserve_vcc 0
		.amdhsa_reserve_flat_scratch 0
		.amdhsa_float_round_mode_32 0
		.amdhsa_float_round_mode_16_64 0
		.amdhsa_float_denorm_mode_32 3
		.amdhsa_float_denorm_mode_16_64 3
		.amdhsa_dx10_clamp 1
		.amdhsa_ieee_mode 1
		.amdhsa_fp16_overflow 0
		.amdhsa_tg_split 0
		.amdhsa_exception_fp_ieee_invalid_op 0
		.amdhsa_exception_fp_denorm_src 0
		.amdhsa_exception_fp_ieee_div_zero 0
		.amdhsa_exception_fp_ieee_overflow 0
		.amdhsa_exception_fp_ieee_underflow 0
		.amdhsa_exception_fp_ieee_inexact 0
		.amdhsa_exception_int_div_zero 0
	.end_amdhsa_kernel
	.section	.text._ZN7rocprim17ROCPRIM_400000_NS6detail17trampoline_kernelINS0_14default_configENS1_25partition_config_selectorILNS1_17partition_subalgoE9EllbEEZZNS1_14partition_implILS5_9ELb0ES3_jPlS8_PNS0_10empty_typeENS0_5tupleIJS8_S9_EEENSB_IJS8_SA_EEENS0_18inequality_wrapperIZN2at6native12_GLOBAL__N_124unique_dim_cuda_templateIhEESt5tupleIJNSF_6TensorESK_SK_EERKSK_lbbbEUlllE0_EEPmJS9_EEE10hipError_tPvRmT3_T4_T5_T6_T7_T9_mT8_P12ihipStream_tbDpT10_ENKUlT_T0_E_clISt17integral_constantIbLb1EES19_IbLb0EEEEDaS15_S16_EUlS15_E_NS1_11comp_targetILNS1_3genE9ELNS1_11target_archE1100ELNS1_3gpuE3ELNS1_3repE0EEENS1_30default_config_static_selectorELNS0_4arch9wavefront6targetE1EEEvT1_,"axG",@progbits,_ZN7rocprim17ROCPRIM_400000_NS6detail17trampoline_kernelINS0_14default_configENS1_25partition_config_selectorILNS1_17partition_subalgoE9EllbEEZZNS1_14partition_implILS5_9ELb0ES3_jPlS8_PNS0_10empty_typeENS0_5tupleIJS8_S9_EEENSB_IJS8_SA_EEENS0_18inequality_wrapperIZN2at6native12_GLOBAL__N_124unique_dim_cuda_templateIhEESt5tupleIJNSF_6TensorESK_SK_EERKSK_lbbbEUlllE0_EEPmJS9_EEE10hipError_tPvRmT3_T4_T5_T6_T7_T9_mT8_P12ihipStream_tbDpT10_ENKUlT_T0_E_clISt17integral_constantIbLb1EES19_IbLb0EEEEDaS15_S16_EUlS15_E_NS1_11comp_targetILNS1_3genE9ELNS1_11target_archE1100ELNS1_3gpuE3ELNS1_3repE0EEENS1_30default_config_static_selectorELNS0_4arch9wavefront6targetE1EEEvT1_,comdat
.Lfunc_end226:
	.size	_ZN7rocprim17ROCPRIM_400000_NS6detail17trampoline_kernelINS0_14default_configENS1_25partition_config_selectorILNS1_17partition_subalgoE9EllbEEZZNS1_14partition_implILS5_9ELb0ES3_jPlS8_PNS0_10empty_typeENS0_5tupleIJS8_S9_EEENSB_IJS8_SA_EEENS0_18inequality_wrapperIZN2at6native12_GLOBAL__N_124unique_dim_cuda_templateIhEESt5tupleIJNSF_6TensorESK_SK_EERKSK_lbbbEUlllE0_EEPmJS9_EEE10hipError_tPvRmT3_T4_T5_T6_T7_T9_mT8_P12ihipStream_tbDpT10_ENKUlT_T0_E_clISt17integral_constantIbLb1EES19_IbLb0EEEEDaS15_S16_EUlS15_E_NS1_11comp_targetILNS1_3genE9ELNS1_11target_archE1100ELNS1_3gpuE3ELNS1_3repE0EEENS1_30default_config_static_selectorELNS0_4arch9wavefront6targetE1EEEvT1_, .Lfunc_end226-_ZN7rocprim17ROCPRIM_400000_NS6detail17trampoline_kernelINS0_14default_configENS1_25partition_config_selectorILNS1_17partition_subalgoE9EllbEEZZNS1_14partition_implILS5_9ELb0ES3_jPlS8_PNS0_10empty_typeENS0_5tupleIJS8_S9_EEENSB_IJS8_SA_EEENS0_18inequality_wrapperIZN2at6native12_GLOBAL__N_124unique_dim_cuda_templateIhEESt5tupleIJNSF_6TensorESK_SK_EERKSK_lbbbEUlllE0_EEPmJS9_EEE10hipError_tPvRmT3_T4_T5_T6_T7_T9_mT8_P12ihipStream_tbDpT10_ENKUlT_T0_E_clISt17integral_constantIbLb1EES19_IbLb0EEEEDaS15_S16_EUlS15_E_NS1_11comp_targetILNS1_3genE9ELNS1_11target_archE1100ELNS1_3gpuE3ELNS1_3repE0EEENS1_30default_config_static_selectorELNS0_4arch9wavefront6targetE1EEEvT1_
                                        ; -- End function
	.section	.AMDGPU.csdata,"",@progbits
; Kernel info:
; codeLenInByte = 0
; NumSgprs: 4
; NumVgprs: 0
; NumAgprs: 0
; TotalNumVgprs: 0
; ScratchSize: 0
; MemoryBound: 0
; FloatMode: 240
; IeeeMode: 1
; LDSByteSize: 0 bytes/workgroup (compile time only)
; SGPRBlocks: 0
; VGPRBlocks: 0
; NumSGPRsForWavesPerEU: 4
; NumVGPRsForWavesPerEU: 1
; AccumOffset: 4
; Occupancy: 8
; WaveLimiterHint : 0
; COMPUTE_PGM_RSRC2:SCRATCH_EN: 0
; COMPUTE_PGM_RSRC2:USER_SGPR: 6
; COMPUTE_PGM_RSRC2:TRAP_HANDLER: 0
; COMPUTE_PGM_RSRC2:TGID_X_EN: 1
; COMPUTE_PGM_RSRC2:TGID_Y_EN: 0
; COMPUTE_PGM_RSRC2:TGID_Z_EN: 0
; COMPUTE_PGM_RSRC2:TIDIG_COMP_CNT: 0
; COMPUTE_PGM_RSRC3_GFX90A:ACCUM_OFFSET: 0
; COMPUTE_PGM_RSRC3_GFX90A:TG_SPLIT: 0
	.section	.text._ZN7rocprim17ROCPRIM_400000_NS6detail17trampoline_kernelINS0_14default_configENS1_25partition_config_selectorILNS1_17partition_subalgoE9EllbEEZZNS1_14partition_implILS5_9ELb0ES3_jPlS8_PNS0_10empty_typeENS0_5tupleIJS8_S9_EEENSB_IJS8_SA_EEENS0_18inequality_wrapperIZN2at6native12_GLOBAL__N_124unique_dim_cuda_templateIhEESt5tupleIJNSF_6TensorESK_SK_EERKSK_lbbbEUlllE0_EEPmJS9_EEE10hipError_tPvRmT3_T4_T5_T6_T7_T9_mT8_P12ihipStream_tbDpT10_ENKUlT_T0_E_clISt17integral_constantIbLb1EES19_IbLb0EEEEDaS15_S16_EUlS15_E_NS1_11comp_targetILNS1_3genE8ELNS1_11target_archE1030ELNS1_3gpuE2ELNS1_3repE0EEENS1_30default_config_static_selectorELNS0_4arch9wavefront6targetE1EEEvT1_,"axG",@progbits,_ZN7rocprim17ROCPRIM_400000_NS6detail17trampoline_kernelINS0_14default_configENS1_25partition_config_selectorILNS1_17partition_subalgoE9EllbEEZZNS1_14partition_implILS5_9ELb0ES3_jPlS8_PNS0_10empty_typeENS0_5tupleIJS8_S9_EEENSB_IJS8_SA_EEENS0_18inequality_wrapperIZN2at6native12_GLOBAL__N_124unique_dim_cuda_templateIhEESt5tupleIJNSF_6TensorESK_SK_EERKSK_lbbbEUlllE0_EEPmJS9_EEE10hipError_tPvRmT3_T4_T5_T6_T7_T9_mT8_P12ihipStream_tbDpT10_ENKUlT_T0_E_clISt17integral_constantIbLb1EES19_IbLb0EEEEDaS15_S16_EUlS15_E_NS1_11comp_targetILNS1_3genE8ELNS1_11target_archE1030ELNS1_3gpuE2ELNS1_3repE0EEENS1_30default_config_static_selectorELNS0_4arch9wavefront6targetE1EEEvT1_,comdat
	.globl	_ZN7rocprim17ROCPRIM_400000_NS6detail17trampoline_kernelINS0_14default_configENS1_25partition_config_selectorILNS1_17partition_subalgoE9EllbEEZZNS1_14partition_implILS5_9ELb0ES3_jPlS8_PNS0_10empty_typeENS0_5tupleIJS8_S9_EEENSB_IJS8_SA_EEENS0_18inequality_wrapperIZN2at6native12_GLOBAL__N_124unique_dim_cuda_templateIhEESt5tupleIJNSF_6TensorESK_SK_EERKSK_lbbbEUlllE0_EEPmJS9_EEE10hipError_tPvRmT3_T4_T5_T6_T7_T9_mT8_P12ihipStream_tbDpT10_ENKUlT_T0_E_clISt17integral_constantIbLb1EES19_IbLb0EEEEDaS15_S16_EUlS15_E_NS1_11comp_targetILNS1_3genE8ELNS1_11target_archE1030ELNS1_3gpuE2ELNS1_3repE0EEENS1_30default_config_static_selectorELNS0_4arch9wavefront6targetE1EEEvT1_ ; -- Begin function _ZN7rocprim17ROCPRIM_400000_NS6detail17trampoline_kernelINS0_14default_configENS1_25partition_config_selectorILNS1_17partition_subalgoE9EllbEEZZNS1_14partition_implILS5_9ELb0ES3_jPlS8_PNS0_10empty_typeENS0_5tupleIJS8_S9_EEENSB_IJS8_SA_EEENS0_18inequality_wrapperIZN2at6native12_GLOBAL__N_124unique_dim_cuda_templateIhEESt5tupleIJNSF_6TensorESK_SK_EERKSK_lbbbEUlllE0_EEPmJS9_EEE10hipError_tPvRmT3_T4_T5_T6_T7_T9_mT8_P12ihipStream_tbDpT10_ENKUlT_T0_E_clISt17integral_constantIbLb1EES19_IbLb0EEEEDaS15_S16_EUlS15_E_NS1_11comp_targetILNS1_3genE8ELNS1_11target_archE1030ELNS1_3gpuE2ELNS1_3repE0EEENS1_30default_config_static_selectorELNS0_4arch9wavefront6targetE1EEEvT1_
	.p2align	8
	.type	_ZN7rocprim17ROCPRIM_400000_NS6detail17trampoline_kernelINS0_14default_configENS1_25partition_config_selectorILNS1_17partition_subalgoE9EllbEEZZNS1_14partition_implILS5_9ELb0ES3_jPlS8_PNS0_10empty_typeENS0_5tupleIJS8_S9_EEENSB_IJS8_SA_EEENS0_18inequality_wrapperIZN2at6native12_GLOBAL__N_124unique_dim_cuda_templateIhEESt5tupleIJNSF_6TensorESK_SK_EERKSK_lbbbEUlllE0_EEPmJS9_EEE10hipError_tPvRmT3_T4_T5_T6_T7_T9_mT8_P12ihipStream_tbDpT10_ENKUlT_T0_E_clISt17integral_constantIbLb1EES19_IbLb0EEEEDaS15_S16_EUlS15_E_NS1_11comp_targetILNS1_3genE8ELNS1_11target_archE1030ELNS1_3gpuE2ELNS1_3repE0EEENS1_30default_config_static_selectorELNS0_4arch9wavefront6targetE1EEEvT1_,@function
_ZN7rocprim17ROCPRIM_400000_NS6detail17trampoline_kernelINS0_14default_configENS1_25partition_config_selectorILNS1_17partition_subalgoE9EllbEEZZNS1_14partition_implILS5_9ELb0ES3_jPlS8_PNS0_10empty_typeENS0_5tupleIJS8_S9_EEENSB_IJS8_SA_EEENS0_18inequality_wrapperIZN2at6native12_GLOBAL__N_124unique_dim_cuda_templateIhEESt5tupleIJNSF_6TensorESK_SK_EERKSK_lbbbEUlllE0_EEPmJS9_EEE10hipError_tPvRmT3_T4_T5_T6_T7_T9_mT8_P12ihipStream_tbDpT10_ENKUlT_T0_E_clISt17integral_constantIbLb1EES19_IbLb0EEEEDaS15_S16_EUlS15_E_NS1_11comp_targetILNS1_3genE8ELNS1_11target_archE1030ELNS1_3gpuE2ELNS1_3repE0EEENS1_30default_config_static_selectorELNS0_4arch9wavefront6targetE1EEEvT1_: ; @_ZN7rocprim17ROCPRIM_400000_NS6detail17trampoline_kernelINS0_14default_configENS1_25partition_config_selectorILNS1_17partition_subalgoE9EllbEEZZNS1_14partition_implILS5_9ELb0ES3_jPlS8_PNS0_10empty_typeENS0_5tupleIJS8_S9_EEENSB_IJS8_SA_EEENS0_18inequality_wrapperIZN2at6native12_GLOBAL__N_124unique_dim_cuda_templateIhEESt5tupleIJNSF_6TensorESK_SK_EERKSK_lbbbEUlllE0_EEPmJS9_EEE10hipError_tPvRmT3_T4_T5_T6_T7_T9_mT8_P12ihipStream_tbDpT10_ENKUlT_T0_E_clISt17integral_constantIbLb1EES19_IbLb0EEEEDaS15_S16_EUlS15_E_NS1_11comp_targetILNS1_3genE8ELNS1_11target_archE1030ELNS1_3gpuE2ELNS1_3repE0EEENS1_30default_config_static_selectorELNS0_4arch9wavefront6targetE1EEEvT1_
; %bb.0:
	.section	.rodata,"a",@progbits
	.p2align	6, 0x0
	.amdhsa_kernel _ZN7rocprim17ROCPRIM_400000_NS6detail17trampoline_kernelINS0_14default_configENS1_25partition_config_selectorILNS1_17partition_subalgoE9EllbEEZZNS1_14partition_implILS5_9ELb0ES3_jPlS8_PNS0_10empty_typeENS0_5tupleIJS8_S9_EEENSB_IJS8_SA_EEENS0_18inequality_wrapperIZN2at6native12_GLOBAL__N_124unique_dim_cuda_templateIhEESt5tupleIJNSF_6TensorESK_SK_EERKSK_lbbbEUlllE0_EEPmJS9_EEE10hipError_tPvRmT3_T4_T5_T6_T7_T9_mT8_P12ihipStream_tbDpT10_ENKUlT_T0_E_clISt17integral_constantIbLb1EES19_IbLb0EEEEDaS15_S16_EUlS15_E_NS1_11comp_targetILNS1_3genE8ELNS1_11target_archE1030ELNS1_3gpuE2ELNS1_3repE0EEENS1_30default_config_static_selectorELNS0_4arch9wavefront6targetE1EEEvT1_
		.amdhsa_group_segment_fixed_size 0
		.amdhsa_private_segment_fixed_size 0
		.amdhsa_kernarg_size 120
		.amdhsa_user_sgpr_count 6
		.amdhsa_user_sgpr_private_segment_buffer 1
		.amdhsa_user_sgpr_dispatch_ptr 0
		.amdhsa_user_sgpr_queue_ptr 0
		.amdhsa_user_sgpr_kernarg_segment_ptr 1
		.amdhsa_user_sgpr_dispatch_id 0
		.amdhsa_user_sgpr_flat_scratch_init 0
		.amdhsa_user_sgpr_kernarg_preload_length 0
		.amdhsa_user_sgpr_kernarg_preload_offset 0
		.amdhsa_user_sgpr_private_segment_size 0
		.amdhsa_uses_dynamic_stack 0
		.amdhsa_system_sgpr_private_segment_wavefront_offset 0
		.amdhsa_system_sgpr_workgroup_id_x 1
		.amdhsa_system_sgpr_workgroup_id_y 0
		.amdhsa_system_sgpr_workgroup_id_z 0
		.amdhsa_system_sgpr_workgroup_info 0
		.amdhsa_system_vgpr_workitem_id 0
		.amdhsa_next_free_vgpr 1
		.amdhsa_next_free_sgpr 0
		.amdhsa_accum_offset 4
		.amdhsa_reserve_vcc 0
		.amdhsa_reserve_flat_scratch 0
		.amdhsa_float_round_mode_32 0
		.amdhsa_float_round_mode_16_64 0
		.amdhsa_float_denorm_mode_32 3
		.amdhsa_float_denorm_mode_16_64 3
		.amdhsa_dx10_clamp 1
		.amdhsa_ieee_mode 1
		.amdhsa_fp16_overflow 0
		.amdhsa_tg_split 0
		.amdhsa_exception_fp_ieee_invalid_op 0
		.amdhsa_exception_fp_denorm_src 0
		.amdhsa_exception_fp_ieee_div_zero 0
		.amdhsa_exception_fp_ieee_overflow 0
		.amdhsa_exception_fp_ieee_underflow 0
		.amdhsa_exception_fp_ieee_inexact 0
		.amdhsa_exception_int_div_zero 0
	.end_amdhsa_kernel
	.section	.text._ZN7rocprim17ROCPRIM_400000_NS6detail17trampoline_kernelINS0_14default_configENS1_25partition_config_selectorILNS1_17partition_subalgoE9EllbEEZZNS1_14partition_implILS5_9ELb0ES3_jPlS8_PNS0_10empty_typeENS0_5tupleIJS8_S9_EEENSB_IJS8_SA_EEENS0_18inequality_wrapperIZN2at6native12_GLOBAL__N_124unique_dim_cuda_templateIhEESt5tupleIJNSF_6TensorESK_SK_EERKSK_lbbbEUlllE0_EEPmJS9_EEE10hipError_tPvRmT3_T4_T5_T6_T7_T9_mT8_P12ihipStream_tbDpT10_ENKUlT_T0_E_clISt17integral_constantIbLb1EES19_IbLb0EEEEDaS15_S16_EUlS15_E_NS1_11comp_targetILNS1_3genE8ELNS1_11target_archE1030ELNS1_3gpuE2ELNS1_3repE0EEENS1_30default_config_static_selectorELNS0_4arch9wavefront6targetE1EEEvT1_,"axG",@progbits,_ZN7rocprim17ROCPRIM_400000_NS6detail17trampoline_kernelINS0_14default_configENS1_25partition_config_selectorILNS1_17partition_subalgoE9EllbEEZZNS1_14partition_implILS5_9ELb0ES3_jPlS8_PNS0_10empty_typeENS0_5tupleIJS8_S9_EEENSB_IJS8_SA_EEENS0_18inequality_wrapperIZN2at6native12_GLOBAL__N_124unique_dim_cuda_templateIhEESt5tupleIJNSF_6TensorESK_SK_EERKSK_lbbbEUlllE0_EEPmJS9_EEE10hipError_tPvRmT3_T4_T5_T6_T7_T9_mT8_P12ihipStream_tbDpT10_ENKUlT_T0_E_clISt17integral_constantIbLb1EES19_IbLb0EEEEDaS15_S16_EUlS15_E_NS1_11comp_targetILNS1_3genE8ELNS1_11target_archE1030ELNS1_3gpuE2ELNS1_3repE0EEENS1_30default_config_static_selectorELNS0_4arch9wavefront6targetE1EEEvT1_,comdat
.Lfunc_end227:
	.size	_ZN7rocprim17ROCPRIM_400000_NS6detail17trampoline_kernelINS0_14default_configENS1_25partition_config_selectorILNS1_17partition_subalgoE9EllbEEZZNS1_14partition_implILS5_9ELb0ES3_jPlS8_PNS0_10empty_typeENS0_5tupleIJS8_S9_EEENSB_IJS8_SA_EEENS0_18inequality_wrapperIZN2at6native12_GLOBAL__N_124unique_dim_cuda_templateIhEESt5tupleIJNSF_6TensorESK_SK_EERKSK_lbbbEUlllE0_EEPmJS9_EEE10hipError_tPvRmT3_T4_T5_T6_T7_T9_mT8_P12ihipStream_tbDpT10_ENKUlT_T0_E_clISt17integral_constantIbLb1EES19_IbLb0EEEEDaS15_S16_EUlS15_E_NS1_11comp_targetILNS1_3genE8ELNS1_11target_archE1030ELNS1_3gpuE2ELNS1_3repE0EEENS1_30default_config_static_selectorELNS0_4arch9wavefront6targetE1EEEvT1_, .Lfunc_end227-_ZN7rocprim17ROCPRIM_400000_NS6detail17trampoline_kernelINS0_14default_configENS1_25partition_config_selectorILNS1_17partition_subalgoE9EllbEEZZNS1_14partition_implILS5_9ELb0ES3_jPlS8_PNS0_10empty_typeENS0_5tupleIJS8_S9_EEENSB_IJS8_SA_EEENS0_18inequality_wrapperIZN2at6native12_GLOBAL__N_124unique_dim_cuda_templateIhEESt5tupleIJNSF_6TensorESK_SK_EERKSK_lbbbEUlllE0_EEPmJS9_EEE10hipError_tPvRmT3_T4_T5_T6_T7_T9_mT8_P12ihipStream_tbDpT10_ENKUlT_T0_E_clISt17integral_constantIbLb1EES19_IbLb0EEEEDaS15_S16_EUlS15_E_NS1_11comp_targetILNS1_3genE8ELNS1_11target_archE1030ELNS1_3gpuE2ELNS1_3repE0EEENS1_30default_config_static_selectorELNS0_4arch9wavefront6targetE1EEEvT1_
                                        ; -- End function
	.section	.AMDGPU.csdata,"",@progbits
; Kernel info:
; codeLenInByte = 0
; NumSgprs: 4
; NumVgprs: 0
; NumAgprs: 0
; TotalNumVgprs: 0
; ScratchSize: 0
; MemoryBound: 0
; FloatMode: 240
; IeeeMode: 1
; LDSByteSize: 0 bytes/workgroup (compile time only)
; SGPRBlocks: 0
; VGPRBlocks: 0
; NumSGPRsForWavesPerEU: 4
; NumVGPRsForWavesPerEU: 1
; AccumOffset: 4
; Occupancy: 8
; WaveLimiterHint : 0
; COMPUTE_PGM_RSRC2:SCRATCH_EN: 0
; COMPUTE_PGM_RSRC2:USER_SGPR: 6
; COMPUTE_PGM_RSRC2:TRAP_HANDLER: 0
; COMPUTE_PGM_RSRC2:TGID_X_EN: 1
; COMPUTE_PGM_RSRC2:TGID_Y_EN: 0
; COMPUTE_PGM_RSRC2:TGID_Z_EN: 0
; COMPUTE_PGM_RSRC2:TIDIG_COMP_CNT: 0
; COMPUTE_PGM_RSRC3_GFX90A:ACCUM_OFFSET: 0
; COMPUTE_PGM_RSRC3_GFX90A:TG_SPLIT: 0
	.section	.text._ZN7rocprim17ROCPRIM_400000_NS6detail17trampoline_kernelINS0_14default_configENS1_25partition_config_selectorILNS1_17partition_subalgoE9EllbEEZZNS1_14partition_implILS5_9ELb0ES3_jPlS8_PNS0_10empty_typeENS0_5tupleIJS8_S9_EEENSB_IJS8_SA_EEENS0_18inequality_wrapperIZN2at6native12_GLOBAL__N_124unique_dim_cuda_templateIhEESt5tupleIJNSF_6TensorESK_SK_EERKSK_lbbbEUlllE0_EEPmJS9_EEE10hipError_tPvRmT3_T4_T5_T6_T7_T9_mT8_P12ihipStream_tbDpT10_ENKUlT_T0_E_clISt17integral_constantIbLb0EES19_IbLb1EEEEDaS15_S16_EUlS15_E_NS1_11comp_targetILNS1_3genE0ELNS1_11target_archE4294967295ELNS1_3gpuE0ELNS1_3repE0EEENS1_30default_config_static_selectorELNS0_4arch9wavefront6targetE1EEEvT1_,"axG",@progbits,_ZN7rocprim17ROCPRIM_400000_NS6detail17trampoline_kernelINS0_14default_configENS1_25partition_config_selectorILNS1_17partition_subalgoE9EllbEEZZNS1_14partition_implILS5_9ELb0ES3_jPlS8_PNS0_10empty_typeENS0_5tupleIJS8_S9_EEENSB_IJS8_SA_EEENS0_18inequality_wrapperIZN2at6native12_GLOBAL__N_124unique_dim_cuda_templateIhEESt5tupleIJNSF_6TensorESK_SK_EERKSK_lbbbEUlllE0_EEPmJS9_EEE10hipError_tPvRmT3_T4_T5_T6_T7_T9_mT8_P12ihipStream_tbDpT10_ENKUlT_T0_E_clISt17integral_constantIbLb0EES19_IbLb1EEEEDaS15_S16_EUlS15_E_NS1_11comp_targetILNS1_3genE0ELNS1_11target_archE4294967295ELNS1_3gpuE0ELNS1_3repE0EEENS1_30default_config_static_selectorELNS0_4arch9wavefront6targetE1EEEvT1_,comdat
	.globl	_ZN7rocprim17ROCPRIM_400000_NS6detail17trampoline_kernelINS0_14default_configENS1_25partition_config_selectorILNS1_17partition_subalgoE9EllbEEZZNS1_14partition_implILS5_9ELb0ES3_jPlS8_PNS0_10empty_typeENS0_5tupleIJS8_S9_EEENSB_IJS8_SA_EEENS0_18inequality_wrapperIZN2at6native12_GLOBAL__N_124unique_dim_cuda_templateIhEESt5tupleIJNSF_6TensorESK_SK_EERKSK_lbbbEUlllE0_EEPmJS9_EEE10hipError_tPvRmT3_T4_T5_T6_T7_T9_mT8_P12ihipStream_tbDpT10_ENKUlT_T0_E_clISt17integral_constantIbLb0EES19_IbLb1EEEEDaS15_S16_EUlS15_E_NS1_11comp_targetILNS1_3genE0ELNS1_11target_archE4294967295ELNS1_3gpuE0ELNS1_3repE0EEENS1_30default_config_static_selectorELNS0_4arch9wavefront6targetE1EEEvT1_ ; -- Begin function _ZN7rocprim17ROCPRIM_400000_NS6detail17trampoline_kernelINS0_14default_configENS1_25partition_config_selectorILNS1_17partition_subalgoE9EllbEEZZNS1_14partition_implILS5_9ELb0ES3_jPlS8_PNS0_10empty_typeENS0_5tupleIJS8_S9_EEENSB_IJS8_SA_EEENS0_18inequality_wrapperIZN2at6native12_GLOBAL__N_124unique_dim_cuda_templateIhEESt5tupleIJNSF_6TensorESK_SK_EERKSK_lbbbEUlllE0_EEPmJS9_EEE10hipError_tPvRmT3_T4_T5_T6_T7_T9_mT8_P12ihipStream_tbDpT10_ENKUlT_T0_E_clISt17integral_constantIbLb0EES19_IbLb1EEEEDaS15_S16_EUlS15_E_NS1_11comp_targetILNS1_3genE0ELNS1_11target_archE4294967295ELNS1_3gpuE0ELNS1_3repE0EEENS1_30default_config_static_selectorELNS0_4arch9wavefront6targetE1EEEvT1_
	.p2align	8
	.type	_ZN7rocprim17ROCPRIM_400000_NS6detail17trampoline_kernelINS0_14default_configENS1_25partition_config_selectorILNS1_17partition_subalgoE9EllbEEZZNS1_14partition_implILS5_9ELb0ES3_jPlS8_PNS0_10empty_typeENS0_5tupleIJS8_S9_EEENSB_IJS8_SA_EEENS0_18inequality_wrapperIZN2at6native12_GLOBAL__N_124unique_dim_cuda_templateIhEESt5tupleIJNSF_6TensorESK_SK_EERKSK_lbbbEUlllE0_EEPmJS9_EEE10hipError_tPvRmT3_T4_T5_T6_T7_T9_mT8_P12ihipStream_tbDpT10_ENKUlT_T0_E_clISt17integral_constantIbLb0EES19_IbLb1EEEEDaS15_S16_EUlS15_E_NS1_11comp_targetILNS1_3genE0ELNS1_11target_archE4294967295ELNS1_3gpuE0ELNS1_3repE0EEENS1_30default_config_static_selectorELNS0_4arch9wavefront6targetE1EEEvT1_,@function
_ZN7rocprim17ROCPRIM_400000_NS6detail17trampoline_kernelINS0_14default_configENS1_25partition_config_selectorILNS1_17partition_subalgoE9EllbEEZZNS1_14partition_implILS5_9ELb0ES3_jPlS8_PNS0_10empty_typeENS0_5tupleIJS8_S9_EEENSB_IJS8_SA_EEENS0_18inequality_wrapperIZN2at6native12_GLOBAL__N_124unique_dim_cuda_templateIhEESt5tupleIJNSF_6TensorESK_SK_EERKSK_lbbbEUlllE0_EEPmJS9_EEE10hipError_tPvRmT3_T4_T5_T6_T7_T9_mT8_P12ihipStream_tbDpT10_ENKUlT_T0_E_clISt17integral_constantIbLb0EES19_IbLb1EEEEDaS15_S16_EUlS15_E_NS1_11comp_targetILNS1_3genE0ELNS1_11target_archE4294967295ELNS1_3gpuE0ELNS1_3repE0EEENS1_30default_config_static_selectorELNS0_4arch9wavefront6targetE1EEEvT1_: ; @_ZN7rocprim17ROCPRIM_400000_NS6detail17trampoline_kernelINS0_14default_configENS1_25partition_config_selectorILNS1_17partition_subalgoE9EllbEEZZNS1_14partition_implILS5_9ELb0ES3_jPlS8_PNS0_10empty_typeENS0_5tupleIJS8_S9_EEENSB_IJS8_SA_EEENS0_18inequality_wrapperIZN2at6native12_GLOBAL__N_124unique_dim_cuda_templateIhEESt5tupleIJNSF_6TensorESK_SK_EERKSK_lbbbEUlllE0_EEPmJS9_EEE10hipError_tPvRmT3_T4_T5_T6_T7_T9_mT8_P12ihipStream_tbDpT10_ENKUlT_T0_E_clISt17integral_constantIbLb0EES19_IbLb1EEEEDaS15_S16_EUlS15_E_NS1_11comp_targetILNS1_3genE0ELNS1_11target_archE4294967295ELNS1_3gpuE0ELNS1_3repE0EEENS1_30default_config_static_selectorELNS0_4arch9wavefront6targetE1EEEvT1_
; %bb.0:
	.section	.rodata,"a",@progbits
	.p2align	6, 0x0
	.amdhsa_kernel _ZN7rocprim17ROCPRIM_400000_NS6detail17trampoline_kernelINS0_14default_configENS1_25partition_config_selectorILNS1_17partition_subalgoE9EllbEEZZNS1_14partition_implILS5_9ELb0ES3_jPlS8_PNS0_10empty_typeENS0_5tupleIJS8_S9_EEENSB_IJS8_SA_EEENS0_18inequality_wrapperIZN2at6native12_GLOBAL__N_124unique_dim_cuda_templateIhEESt5tupleIJNSF_6TensorESK_SK_EERKSK_lbbbEUlllE0_EEPmJS9_EEE10hipError_tPvRmT3_T4_T5_T6_T7_T9_mT8_P12ihipStream_tbDpT10_ENKUlT_T0_E_clISt17integral_constantIbLb0EES19_IbLb1EEEEDaS15_S16_EUlS15_E_NS1_11comp_targetILNS1_3genE0ELNS1_11target_archE4294967295ELNS1_3gpuE0ELNS1_3repE0EEENS1_30default_config_static_selectorELNS0_4arch9wavefront6targetE1EEEvT1_
		.amdhsa_group_segment_fixed_size 0
		.amdhsa_private_segment_fixed_size 0
		.amdhsa_kernarg_size 136
		.amdhsa_user_sgpr_count 6
		.amdhsa_user_sgpr_private_segment_buffer 1
		.amdhsa_user_sgpr_dispatch_ptr 0
		.amdhsa_user_sgpr_queue_ptr 0
		.amdhsa_user_sgpr_kernarg_segment_ptr 1
		.amdhsa_user_sgpr_dispatch_id 0
		.amdhsa_user_sgpr_flat_scratch_init 0
		.amdhsa_user_sgpr_kernarg_preload_length 0
		.amdhsa_user_sgpr_kernarg_preload_offset 0
		.amdhsa_user_sgpr_private_segment_size 0
		.amdhsa_uses_dynamic_stack 0
		.amdhsa_system_sgpr_private_segment_wavefront_offset 0
		.amdhsa_system_sgpr_workgroup_id_x 1
		.amdhsa_system_sgpr_workgroup_id_y 0
		.amdhsa_system_sgpr_workgroup_id_z 0
		.amdhsa_system_sgpr_workgroup_info 0
		.amdhsa_system_vgpr_workitem_id 0
		.amdhsa_next_free_vgpr 1
		.amdhsa_next_free_sgpr 0
		.amdhsa_accum_offset 4
		.amdhsa_reserve_vcc 0
		.amdhsa_reserve_flat_scratch 0
		.amdhsa_float_round_mode_32 0
		.amdhsa_float_round_mode_16_64 0
		.amdhsa_float_denorm_mode_32 3
		.amdhsa_float_denorm_mode_16_64 3
		.amdhsa_dx10_clamp 1
		.amdhsa_ieee_mode 1
		.amdhsa_fp16_overflow 0
		.amdhsa_tg_split 0
		.amdhsa_exception_fp_ieee_invalid_op 0
		.amdhsa_exception_fp_denorm_src 0
		.amdhsa_exception_fp_ieee_div_zero 0
		.amdhsa_exception_fp_ieee_overflow 0
		.amdhsa_exception_fp_ieee_underflow 0
		.amdhsa_exception_fp_ieee_inexact 0
		.amdhsa_exception_int_div_zero 0
	.end_amdhsa_kernel
	.section	.text._ZN7rocprim17ROCPRIM_400000_NS6detail17trampoline_kernelINS0_14default_configENS1_25partition_config_selectorILNS1_17partition_subalgoE9EllbEEZZNS1_14partition_implILS5_9ELb0ES3_jPlS8_PNS0_10empty_typeENS0_5tupleIJS8_S9_EEENSB_IJS8_SA_EEENS0_18inequality_wrapperIZN2at6native12_GLOBAL__N_124unique_dim_cuda_templateIhEESt5tupleIJNSF_6TensorESK_SK_EERKSK_lbbbEUlllE0_EEPmJS9_EEE10hipError_tPvRmT3_T4_T5_T6_T7_T9_mT8_P12ihipStream_tbDpT10_ENKUlT_T0_E_clISt17integral_constantIbLb0EES19_IbLb1EEEEDaS15_S16_EUlS15_E_NS1_11comp_targetILNS1_3genE0ELNS1_11target_archE4294967295ELNS1_3gpuE0ELNS1_3repE0EEENS1_30default_config_static_selectorELNS0_4arch9wavefront6targetE1EEEvT1_,"axG",@progbits,_ZN7rocprim17ROCPRIM_400000_NS6detail17trampoline_kernelINS0_14default_configENS1_25partition_config_selectorILNS1_17partition_subalgoE9EllbEEZZNS1_14partition_implILS5_9ELb0ES3_jPlS8_PNS0_10empty_typeENS0_5tupleIJS8_S9_EEENSB_IJS8_SA_EEENS0_18inequality_wrapperIZN2at6native12_GLOBAL__N_124unique_dim_cuda_templateIhEESt5tupleIJNSF_6TensorESK_SK_EERKSK_lbbbEUlllE0_EEPmJS9_EEE10hipError_tPvRmT3_T4_T5_T6_T7_T9_mT8_P12ihipStream_tbDpT10_ENKUlT_T0_E_clISt17integral_constantIbLb0EES19_IbLb1EEEEDaS15_S16_EUlS15_E_NS1_11comp_targetILNS1_3genE0ELNS1_11target_archE4294967295ELNS1_3gpuE0ELNS1_3repE0EEENS1_30default_config_static_selectorELNS0_4arch9wavefront6targetE1EEEvT1_,comdat
.Lfunc_end228:
	.size	_ZN7rocprim17ROCPRIM_400000_NS6detail17trampoline_kernelINS0_14default_configENS1_25partition_config_selectorILNS1_17partition_subalgoE9EllbEEZZNS1_14partition_implILS5_9ELb0ES3_jPlS8_PNS0_10empty_typeENS0_5tupleIJS8_S9_EEENSB_IJS8_SA_EEENS0_18inequality_wrapperIZN2at6native12_GLOBAL__N_124unique_dim_cuda_templateIhEESt5tupleIJNSF_6TensorESK_SK_EERKSK_lbbbEUlllE0_EEPmJS9_EEE10hipError_tPvRmT3_T4_T5_T6_T7_T9_mT8_P12ihipStream_tbDpT10_ENKUlT_T0_E_clISt17integral_constantIbLb0EES19_IbLb1EEEEDaS15_S16_EUlS15_E_NS1_11comp_targetILNS1_3genE0ELNS1_11target_archE4294967295ELNS1_3gpuE0ELNS1_3repE0EEENS1_30default_config_static_selectorELNS0_4arch9wavefront6targetE1EEEvT1_, .Lfunc_end228-_ZN7rocprim17ROCPRIM_400000_NS6detail17trampoline_kernelINS0_14default_configENS1_25partition_config_selectorILNS1_17partition_subalgoE9EllbEEZZNS1_14partition_implILS5_9ELb0ES3_jPlS8_PNS0_10empty_typeENS0_5tupleIJS8_S9_EEENSB_IJS8_SA_EEENS0_18inequality_wrapperIZN2at6native12_GLOBAL__N_124unique_dim_cuda_templateIhEESt5tupleIJNSF_6TensorESK_SK_EERKSK_lbbbEUlllE0_EEPmJS9_EEE10hipError_tPvRmT3_T4_T5_T6_T7_T9_mT8_P12ihipStream_tbDpT10_ENKUlT_T0_E_clISt17integral_constantIbLb0EES19_IbLb1EEEEDaS15_S16_EUlS15_E_NS1_11comp_targetILNS1_3genE0ELNS1_11target_archE4294967295ELNS1_3gpuE0ELNS1_3repE0EEENS1_30default_config_static_selectorELNS0_4arch9wavefront6targetE1EEEvT1_
                                        ; -- End function
	.section	.AMDGPU.csdata,"",@progbits
; Kernel info:
; codeLenInByte = 0
; NumSgprs: 4
; NumVgprs: 0
; NumAgprs: 0
; TotalNumVgprs: 0
; ScratchSize: 0
; MemoryBound: 0
; FloatMode: 240
; IeeeMode: 1
; LDSByteSize: 0 bytes/workgroup (compile time only)
; SGPRBlocks: 0
; VGPRBlocks: 0
; NumSGPRsForWavesPerEU: 4
; NumVGPRsForWavesPerEU: 1
; AccumOffset: 4
; Occupancy: 8
; WaveLimiterHint : 0
; COMPUTE_PGM_RSRC2:SCRATCH_EN: 0
; COMPUTE_PGM_RSRC2:USER_SGPR: 6
; COMPUTE_PGM_RSRC2:TRAP_HANDLER: 0
; COMPUTE_PGM_RSRC2:TGID_X_EN: 1
; COMPUTE_PGM_RSRC2:TGID_Y_EN: 0
; COMPUTE_PGM_RSRC2:TGID_Z_EN: 0
; COMPUTE_PGM_RSRC2:TIDIG_COMP_CNT: 0
; COMPUTE_PGM_RSRC3_GFX90A:ACCUM_OFFSET: 0
; COMPUTE_PGM_RSRC3_GFX90A:TG_SPLIT: 0
	.section	.text._ZN7rocprim17ROCPRIM_400000_NS6detail17trampoline_kernelINS0_14default_configENS1_25partition_config_selectorILNS1_17partition_subalgoE9EllbEEZZNS1_14partition_implILS5_9ELb0ES3_jPlS8_PNS0_10empty_typeENS0_5tupleIJS8_S9_EEENSB_IJS8_SA_EEENS0_18inequality_wrapperIZN2at6native12_GLOBAL__N_124unique_dim_cuda_templateIhEESt5tupleIJNSF_6TensorESK_SK_EERKSK_lbbbEUlllE0_EEPmJS9_EEE10hipError_tPvRmT3_T4_T5_T6_T7_T9_mT8_P12ihipStream_tbDpT10_ENKUlT_T0_E_clISt17integral_constantIbLb0EES19_IbLb1EEEEDaS15_S16_EUlS15_E_NS1_11comp_targetILNS1_3genE5ELNS1_11target_archE942ELNS1_3gpuE9ELNS1_3repE0EEENS1_30default_config_static_selectorELNS0_4arch9wavefront6targetE1EEEvT1_,"axG",@progbits,_ZN7rocprim17ROCPRIM_400000_NS6detail17trampoline_kernelINS0_14default_configENS1_25partition_config_selectorILNS1_17partition_subalgoE9EllbEEZZNS1_14partition_implILS5_9ELb0ES3_jPlS8_PNS0_10empty_typeENS0_5tupleIJS8_S9_EEENSB_IJS8_SA_EEENS0_18inequality_wrapperIZN2at6native12_GLOBAL__N_124unique_dim_cuda_templateIhEESt5tupleIJNSF_6TensorESK_SK_EERKSK_lbbbEUlllE0_EEPmJS9_EEE10hipError_tPvRmT3_T4_T5_T6_T7_T9_mT8_P12ihipStream_tbDpT10_ENKUlT_T0_E_clISt17integral_constantIbLb0EES19_IbLb1EEEEDaS15_S16_EUlS15_E_NS1_11comp_targetILNS1_3genE5ELNS1_11target_archE942ELNS1_3gpuE9ELNS1_3repE0EEENS1_30default_config_static_selectorELNS0_4arch9wavefront6targetE1EEEvT1_,comdat
	.globl	_ZN7rocprim17ROCPRIM_400000_NS6detail17trampoline_kernelINS0_14default_configENS1_25partition_config_selectorILNS1_17partition_subalgoE9EllbEEZZNS1_14partition_implILS5_9ELb0ES3_jPlS8_PNS0_10empty_typeENS0_5tupleIJS8_S9_EEENSB_IJS8_SA_EEENS0_18inequality_wrapperIZN2at6native12_GLOBAL__N_124unique_dim_cuda_templateIhEESt5tupleIJNSF_6TensorESK_SK_EERKSK_lbbbEUlllE0_EEPmJS9_EEE10hipError_tPvRmT3_T4_T5_T6_T7_T9_mT8_P12ihipStream_tbDpT10_ENKUlT_T0_E_clISt17integral_constantIbLb0EES19_IbLb1EEEEDaS15_S16_EUlS15_E_NS1_11comp_targetILNS1_3genE5ELNS1_11target_archE942ELNS1_3gpuE9ELNS1_3repE0EEENS1_30default_config_static_selectorELNS0_4arch9wavefront6targetE1EEEvT1_ ; -- Begin function _ZN7rocprim17ROCPRIM_400000_NS6detail17trampoline_kernelINS0_14default_configENS1_25partition_config_selectorILNS1_17partition_subalgoE9EllbEEZZNS1_14partition_implILS5_9ELb0ES3_jPlS8_PNS0_10empty_typeENS0_5tupleIJS8_S9_EEENSB_IJS8_SA_EEENS0_18inequality_wrapperIZN2at6native12_GLOBAL__N_124unique_dim_cuda_templateIhEESt5tupleIJNSF_6TensorESK_SK_EERKSK_lbbbEUlllE0_EEPmJS9_EEE10hipError_tPvRmT3_T4_T5_T6_T7_T9_mT8_P12ihipStream_tbDpT10_ENKUlT_T0_E_clISt17integral_constantIbLb0EES19_IbLb1EEEEDaS15_S16_EUlS15_E_NS1_11comp_targetILNS1_3genE5ELNS1_11target_archE942ELNS1_3gpuE9ELNS1_3repE0EEENS1_30default_config_static_selectorELNS0_4arch9wavefront6targetE1EEEvT1_
	.p2align	8
	.type	_ZN7rocprim17ROCPRIM_400000_NS6detail17trampoline_kernelINS0_14default_configENS1_25partition_config_selectorILNS1_17partition_subalgoE9EllbEEZZNS1_14partition_implILS5_9ELb0ES3_jPlS8_PNS0_10empty_typeENS0_5tupleIJS8_S9_EEENSB_IJS8_SA_EEENS0_18inequality_wrapperIZN2at6native12_GLOBAL__N_124unique_dim_cuda_templateIhEESt5tupleIJNSF_6TensorESK_SK_EERKSK_lbbbEUlllE0_EEPmJS9_EEE10hipError_tPvRmT3_T4_T5_T6_T7_T9_mT8_P12ihipStream_tbDpT10_ENKUlT_T0_E_clISt17integral_constantIbLb0EES19_IbLb1EEEEDaS15_S16_EUlS15_E_NS1_11comp_targetILNS1_3genE5ELNS1_11target_archE942ELNS1_3gpuE9ELNS1_3repE0EEENS1_30default_config_static_selectorELNS0_4arch9wavefront6targetE1EEEvT1_,@function
_ZN7rocprim17ROCPRIM_400000_NS6detail17trampoline_kernelINS0_14default_configENS1_25partition_config_selectorILNS1_17partition_subalgoE9EllbEEZZNS1_14partition_implILS5_9ELb0ES3_jPlS8_PNS0_10empty_typeENS0_5tupleIJS8_S9_EEENSB_IJS8_SA_EEENS0_18inequality_wrapperIZN2at6native12_GLOBAL__N_124unique_dim_cuda_templateIhEESt5tupleIJNSF_6TensorESK_SK_EERKSK_lbbbEUlllE0_EEPmJS9_EEE10hipError_tPvRmT3_T4_T5_T6_T7_T9_mT8_P12ihipStream_tbDpT10_ENKUlT_T0_E_clISt17integral_constantIbLb0EES19_IbLb1EEEEDaS15_S16_EUlS15_E_NS1_11comp_targetILNS1_3genE5ELNS1_11target_archE942ELNS1_3gpuE9ELNS1_3repE0EEENS1_30default_config_static_selectorELNS0_4arch9wavefront6targetE1EEEvT1_: ; @_ZN7rocprim17ROCPRIM_400000_NS6detail17trampoline_kernelINS0_14default_configENS1_25partition_config_selectorILNS1_17partition_subalgoE9EllbEEZZNS1_14partition_implILS5_9ELb0ES3_jPlS8_PNS0_10empty_typeENS0_5tupleIJS8_S9_EEENSB_IJS8_SA_EEENS0_18inequality_wrapperIZN2at6native12_GLOBAL__N_124unique_dim_cuda_templateIhEESt5tupleIJNSF_6TensorESK_SK_EERKSK_lbbbEUlllE0_EEPmJS9_EEE10hipError_tPvRmT3_T4_T5_T6_T7_T9_mT8_P12ihipStream_tbDpT10_ENKUlT_T0_E_clISt17integral_constantIbLb0EES19_IbLb1EEEEDaS15_S16_EUlS15_E_NS1_11comp_targetILNS1_3genE5ELNS1_11target_archE942ELNS1_3gpuE9ELNS1_3repE0EEENS1_30default_config_static_selectorELNS0_4arch9wavefront6targetE1EEEvT1_
; %bb.0:
	.section	.rodata,"a",@progbits
	.p2align	6, 0x0
	.amdhsa_kernel _ZN7rocprim17ROCPRIM_400000_NS6detail17trampoline_kernelINS0_14default_configENS1_25partition_config_selectorILNS1_17partition_subalgoE9EllbEEZZNS1_14partition_implILS5_9ELb0ES3_jPlS8_PNS0_10empty_typeENS0_5tupleIJS8_S9_EEENSB_IJS8_SA_EEENS0_18inequality_wrapperIZN2at6native12_GLOBAL__N_124unique_dim_cuda_templateIhEESt5tupleIJNSF_6TensorESK_SK_EERKSK_lbbbEUlllE0_EEPmJS9_EEE10hipError_tPvRmT3_T4_T5_T6_T7_T9_mT8_P12ihipStream_tbDpT10_ENKUlT_T0_E_clISt17integral_constantIbLb0EES19_IbLb1EEEEDaS15_S16_EUlS15_E_NS1_11comp_targetILNS1_3genE5ELNS1_11target_archE942ELNS1_3gpuE9ELNS1_3repE0EEENS1_30default_config_static_selectorELNS0_4arch9wavefront6targetE1EEEvT1_
		.amdhsa_group_segment_fixed_size 0
		.amdhsa_private_segment_fixed_size 0
		.amdhsa_kernarg_size 136
		.amdhsa_user_sgpr_count 6
		.amdhsa_user_sgpr_private_segment_buffer 1
		.amdhsa_user_sgpr_dispatch_ptr 0
		.amdhsa_user_sgpr_queue_ptr 0
		.amdhsa_user_sgpr_kernarg_segment_ptr 1
		.amdhsa_user_sgpr_dispatch_id 0
		.amdhsa_user_sgpr_flat_scratch_init 0
		.amdhsa_user_sgpr_kernarg_preload_length 0
		.amdhsa_user_sgpr_kernarg_preload_offset 0
		.amdhsa_user_sgpr_private_segment_size 0
		.amdhsa_uses_dynamic_stack 0
		.amdhsa_system_sgpr_private_segment_wavefront_offset 0
		.amdhsa_system_sgpr_workgroup_id_x 1
		.amdhsa_system_sgpr_workgroup_id_y 0
		.amdhsa_system_sgpr_workgroup_id_z 0
		.amdhsa_system_sgpr_workgroup_info 0
		.amdhsa_system_vgpr_workitem_id 0
		.amdhsa_next_free_vgpr 1
		.amdhsa_next_free_sgpr 0
		.amdhsa_accum_offset 4
		.amdhsa_reserve_vcc 0
		.amdhsa_reserve_flat_scratch 0
		.amdhsa_float_round_mode_32 0
		.amdhsa_float_round_mode_16_64 0
		.amdhsa_float_denorm_mode_32 3
		.amdhsa_float_denorm_mode_16_64 3
		.amdhsa_dx10_clamp 1
		.amdhsa_ieee_mode 1
		.amdhsa_fp16_overflow 0
		.amdhsa_tg_split 0
		.amdhsa_exception_fp_ieee_invalid_op 0
		.amdhsa_exception_fp_denorm_src 0
		.amdhsa_exception_fp_ieee_div_zero 0
		.amdhsa_exception_fp_ieee_overflow 0
		.amdhsa_exception_fp_ieee_underflow 0
		.amdhsa_exception_fp_ieee_inexact 0
		.amdhsa_exception_int_div_zero 0
	.end_amdhsa_kernel
	.section	.text._ZN7rocprim17ROCPRIM_400000_NS6detail17trampoline_kernelINS0_14default_configENS1_25partition_config_selectorILNS1_17partition_subalgoE9EllbEEZZNS1_14partition_implILS5_9ELb0ES3_jPlS8_PNS0_10empty_typeENS0_5tupleIJS8_S9_EEENSB_IJS8_SA_EEENS0_18inequality_wrapperIZN2at6native12_GLOBAL__N_124unique_dim_cuda_templateIhEESt5tupleIJNSF_6TensorESK_SK_EERKSK_lbbbEUlllE0_EEPmJS9_EEE10hipError_tPvRmT3_T4_T5_T6_T7_T9_mT8_P12ihipStream_tbDpT10_ENKUlT_T0_E_clISt17integral_constantIbLb0EES19_IbLb1EEEEDaS15_S16_EUlS15_E_NS1_11comp_targetILNS1_3genE5ELNS1_11target_archE942ELNS1_3gpuE9ELNS1_3repE0EEENS1_30default_config_static_selectorELNS0_4arch9wavefront6targetE1EEEvT1_,"axG",@progbits,_ZN7rocprim17ROCPRIM_400000_NS6detail17trampoline_kernelINS0_14default_configENS1_25partition_config_selectorILNS1_17partition_subalgoE9EllbEEZZNS1_14partition_implILS5_9ELb0ES3_jPlS8_PNS0_10empty_typeENS0_5tupleIJS8_S9_EEENSB_IJS8_SA_EEENS0_18inequality_wrapperIZN2at6native12_GLOBAL__N_124unique_dim_cuda_templateIhEESt5tupleIJNSF_6TensorESK_SK_EERKSK_lbbbEUlllE0_EEPmJS9_EEE10hipError_tPvRmT3_T4_T5_T6_T7_T9_mT8_P12ihipStream_tbDpT10_ENKUlT_T0_E_clISt17integral_constantIbLb0EES19_IbLb1EEEEDaS15_S16_EUlS15_E_NS1_11comp_targetILNS1_3genE5ELNS1_11target_archE942ELNS1_3gpuE9ELNS1_3repE0EEENS1_30default_config_static_selectorELNS0_4arch9wavefront6targetE1EEEvT1_,comdat
.Lfunc_end229:
	.size	_ZN7rocprim17ROCPRIM_400000_NS6detail17trampoline_kernelINS0_14default_configENS1_25partition_config_selectorILNS1_17partition_subalgoE9EllbEEZZNS1_14partition_implILS5_9ELb0ES3_jPlS8_PNS0_10empty_typeENS0_5tupleIJS8_S9_EEENSB_IJS8_SA_EEENS0_18inequality_wrapperIZN2at6native12_GLOBAL__N_124unique_dim_cuda_templateIhEESt5tupleIJNSF_6TensorESK_SK_EERKSK_lbbbEUlllE0_EEPmJS9_EEE10hipError_tPvRmT3_T4_T5_T6_T7_T9_mT8_P12ihipStream_tbDpT10_ENKUlT_T0_E_clISt17integral_constantIbLb0EES19_IbLb1EEEEDaS15_S16_EUlS15_E_NS1_11comp_targetILNS1_3genE5ELNS1_11target_archE942ELNS1_3gpuE9ELNS1_3repE0EEENS1_30default_config_static_selectorELNS0_4arch9wavefront6targetE1EEEvT1_, .Lfunc_end229-_ZN7rocprim17ROCPRIM_400000_NS6detail17trampoline_kernelINS0_14default_configENS1_25partition_config_selectorILNS1_17partition_subalgoE9EllbEEZZNS1_14partition_implILS5_9ELb0ES3_jPlS8_PNS0_10empty_typeENS0_5tupleIJS8_S9_EEENSB_IJS8_SA_EEENS0_18inequality_wrapperIZN2at6native12_GLOBAL__N_124unique_dim_cuda_templateIhEESt5tupleIJNSF_6TensorESK_SK_EERKSK_lbbbEUlllE0_EEPmJS9_EEE10hipError_tPvRmT3_T4_T5_T6_T7_T9_mT8_P12ihipStream_tbDpT10_ENKUlT_T0_E_clISt17integral_constantIbLb0EES19_IbLb1EEEEDaS15_S16_EUlS15_E_NS1_11comp_targetILNS1_3genE5ELNS1_11target_archE942ELNS1_3gpuE9ELNS1_3repE0EEENS1_30default_config_static_selectorELNS0_4arch9wavefront6targetE1EEEvT1_
                                        ; -- End function
	.section	.AMDGPU.csdata,"",@progbits
; Kernel info:
; codeLenInByte = 0
; NumSgprs: 4
; NumVgprs: 0
; NumAgprs: 0
; TotalNumVgprs: 0
; ScratchSize: 0
; MemoryBound: 0
; FloatMode: 240
; IeeeMode: 1
; LDSByteSize: 0 bytes/workgroup (compile time only)
; SGPRBlocks: 0
; VGPRBlocks: 0
; NumSGPRsForWavesPerEU: 4
; NumVGPRsForWavesPerEU: 1
; AccumOffset: 4
; Occupancy: 8
; WaveLimiterHint : 0
; COMPUTE_PGM_RSRC2:SCRATCH_EN: 0
; COMPUTE_PGM_RSRC2:USER_SGPR: 6
; COMPUTE_PGM_RSRC2:TRAP_HANDLER: 0
; COMPUTE_PGM_RSRC2:TGID_X_EN: 1
; COMPUTE_PGM_RSRC2:TGID_Y_EN: 0
; COMPUTE_PGM_RSRC2:TGID_Z_EN: 0
; COMPUTE_PGM_RSRC2:TIDIG_COMP_CNT: 0
; COMPUTE_PGM_RSRC3_GFX90A:ACCUM_OFFSET: 0
; COMPUTE_PGM_RSRC3_GFX90A:TG_SPLIT: 0
	.section	.text._ZN7rocprim17ROCPRIM_400000_NS6detail17trampoline_kernelINS0_14default_configENS1_25partition_config_selectorILNS1_17partition_subalgoE9EllbEEZZNS1_14partition_implILS5_9ELb0ES3_jPlS8_PNS0_10empty_typeENS0_5tupleIJS8_S9_EEENSB_IJS8_SA_EEENS0_18inequality_wrapperIZN2at6native12_GLOBAL__N_124unique_dim_cuda_templateIhEESt5tupleIJNSF_6TensorESK_SK_EERKSK_lbbbEUlllE0_EEPmJS9_EEE10hipError_tPvRmT3_T4_T5_T6_T7_T9_mT8_P12ihipStream_tbDpT10_ENKUlT_T0_E_clISt17integral_constantIbLb0EES19_IbLb1EEEEDaS15_S16_EUlS15_E_NS1_11comp_targetILNS1_3genE4ELNS1_11target_archE910ELNS1_3gpuE8ELNS1_3repE0EEENS1_30default_config_static_selectorELNS0_4arch9wavefront6targetE1EEEvT1_,"axG",@progbits,_ZN7rocprim17ROCPRIM_400000_NS6detail17trampoline_kernelINS0_14default_configENS1_25partition_config_selectorILNS1_17partition_subalgoE9EllbEEZZNS1_14partition_implILS5_9ELb0ES3_jPlS8_PNS0_10empty_typeENS0_5tupleIJS8_S9_EEENSB_IJS8_SA_EEENS0_18inequality_wrapperIZN2at6native12_GLOBAL__N_124unique_dim_cuda_templateIhEESt5tupleIJNSF_6TensorESK_SK_EERKSK_lbbbEUlllE0_EEPmJS9_EEE10hipError_tPvRmT3_T4_T5_T6_T7_T9_mT8_P12ihipStream_tbDpT10_ENKUlT_T0_E_clISt17integral_constantIbLb0EES19_IbLb1EEEEDaS15_S16_EUlS15_E_NS1_11comp_targetILNS1_3genE4ELNS1_11target_archE910ELNS1_3gpuE8ELNS1_3repE0EEENS1_30default_config_static_selectorELNS0_4arch9wavefront6targetE1EEEvT1_,comdat
	.globl	_ZN7rocprim17ROCPRIM_400000_NS6detail17trampoline_kernelINS0_14default_configENS1_25partition_config_selectorILNS1_17partition_subalgoE9EllbEEZZNS1_14partition_implILS5_9ELb0ES3_jPlS8_PNS0_10empty_typeENS0_5tupleIJS8_S9_EEENSB_IJS8_SA_EEENS0_18inequality_wrapperIZN2at6native12_GLOBAL__N_124unique_dim_cuda_templateIhEESt5tupleIJNSF_6TensorESK_SK_EERKSK_lbbbEUlllE0_EEPmJS9_EEE10hipError_tPvRmT3_T4_T5_T6_T7_T9_mT8_P12ihipStream_tbDpT10_ENKUlT_T0_E_clISt17integral_constantIbLb0EES19_IbLb1EEEEDaS15_S16_EUlS15_E_NS1_11comp_targetILNS1_3genE4ELNS1_11target_archE910ELNS1_3gpuE8ELNS1_3repE0EEENS1_30default_config_static_selectorELNS0_4arch9wavefront6targetE1EEEvT1_ ; -- Begin function _ZN7rocprim17ROCPRIM_400000_NS6detail17trampoline_kernelINS0_14default_configENS1_25partition_config_selectorILNS1_17partition_subalgoE9EllbEEZZNS1_14partition_implILS5_9ELb0ES3_jPlS8_PNS0_10empty_typeENS0_5tupleIJS8_S9_EEENSB_IJS8_SA_EEENS0_18inequality_wrapperIZN2at6native12_GLOBAL__N_124unique_dim_cuda_templateIhEESt5tupleIJNSF_6TensorESK_SK_EERKSK_lbbbEUlllE0_EEPmJS9_EEE10hipError_tPvRmT3_T4_T5_T6_T7_T9_mT8_P12ihipStream_tbDpT10_ENKUlT_T0_E_clISt17integral_constantIbLb0EES19_IbLb1EEEEDaS15_S16_EUlS15_E_NS1_11comp_targetILNS1_3genE4ELNS1_11target_archE910ELNS1_3gpuE8ELNS1_3repE0EEENS1_30default_config_static_selectorELNS0_4arch9wavefront6targetE1EEEvT1_
	.p2align	8
	.type	_ZN7rocprim17ROCPRIM_400000_NS6detail17trampoline_kernelINS0_14default_configENS1_25partition_config_selectorILNS1_17partition_subalgoE9EllbEEZZNS1_14partition_implILS5_9ELb0ES3_jPlS8_PNS0_10empty_typeENS0_5tupleIJS8_S9_EEENSB_IJS8_SA_EEENS0_18inequality_wrapperIZN2at6native12_GLOBAL__N_124unique_dim_cuda_templateIhEESt5tupleIJNSF_6TensorESK_SK_EERKSK_lbbbEUlllE0_EEPmJS9_EEE10hipError_tPvRmT3_T4_T5_T6_T7_T9_mT8_P12ihipStream_tbDpT10_ENKUlT_T0_E_clISt17integral_constantIbLb0EES19_IbLb1EEEEDaS15_S16_EUlS15_E_NS1_11comp_targetILNS1_3genE4ELNS1_11target_archE910ELNS1_3gpuE8ELNS1_3repE0EEENS1_30default_config_static_selectorELNS0_4arch9wavefront6targetE1EEEvT1_,@function
_ZN7rocprim17ROCPRIM_400000_NS6detail17trampoline_kernelINS0_14default_configENS1_25partition_config_selectorILNS1_17partition_subalgoE9EllbEEZZNS1_14partition_implILS5_9ELb0ES3_jPlS8_PNS0_10empty_typeENS0_5tupleIJS8_S9_EEENSB_IJS8_SA_EEENS0_18inequality_wrapperIZN2at6native12_GLOBAL__N_124unique_dim_cuda_templateIhEESt5tupleIJNSF_6TensorESK_SK_EERKSK_lbbbEUlllE0_EEPmJS9_EEE10hipError_tPvRmT3_T4_T5_T6_T7_T9_mT8_P12ihipStream_tbDpT10_ENKUlT_T0_E_clISt17integral_constantIbLb0EES19_IbLb1EEEEDaS15_S16_EUlS15_E_NS1_11comp_targetILNS1_3genE4ELNS1_11target_archE910ELNS1_3gpuE8ELNS1_3repE0EEENS1_30default_config_static_selectorELNS0_4arch9wavefront6targetE1EEEvT1_: ; @_ZN7rocprim17ROCPRIM_400000_NS6detail17trampoline_kernelINS0_14default_configENS1_25partition_config_selectorILNS1_17partition_subalgoE9EllbEEZZNS1_14partition_implILS5_9ELb0ES3_jPlS8_PNS0_10empty_typeENS0_5tupleIJS8_S9_EEENSB_IJS8_SA_EEENS0_18inequality_wrapperIZN2at6native12_GLOBAL__N_124unique_dim_cuda_templateIhEESt5tupleIJNSF_6TensorESK_SK_EERKSK_lbbbEUlllE0_EEPmJS9_EEE10hipError_tPvRmT3_T4_T5_T6_T7_T9_mT8_P12ihipStream_tbDpT10_ENKUlT_T0_E_clISt17integral_constantIbLb0EES19_IbLb1EEEEDaS15_S16_EUlS15_E_NS1_11comp_targetILNS1_3genE4ELNS1_11target_archE910ELNS1_3gpuE8ELNS1_3repE0EEENS1_30default_config_static_selectorELNS0_4arch9wavefront6targetE1EEEvT1_
; %bb.0:
	s_load_dwordx4 s[8:11], s[4:5], 0x8
	s_load_dwordx2 s[14:15], s[4:5], 0x18
	s_load_dwordx8 s[20:27], s[4:5], 0x40
	s_load_dwordx4 s[16:19], s[4:5], 0x60
	v_cmp_ne_u32_e64 s[2:3], 0, v0
	v_cmp_eq_u32_e64 s[0:1], 0, v0
	s_and_saveexec_b64 s[6:7], s[0:1]
	s_cbranch_execz .LBB230_4
; %bb.1:
	s_mov_b64 s[28:29], exec
	v_mbcnt_lo_u32_b32 v1, s28, 0
	v_mbcnt_hi_u32_b32 v1, s29, v1
	v_cmp_eq_u32_e32 vcc, 0, v1
                                        ; implicit-def: $vgpr2
	s_and_saveexec_b64 s[12:13], vcc
	s_cbranch_execz .LBB230_3
; %bb.2:
	s_load_dwordx2 s[30:31], s[4:5], 0x78
	s_bcnt1_i32_b64 s28, s[28:29]
	v_mov_b32_e32 v2, 0
	v_mov_b32_e32 v3, s28
	s_waitcnt lgkmcnt(0)
	global_atomic_add v2, v2, v3, s[30:31] glc
.LBB230_3:
	s_or_b64 exec, exec, s[12:13]
	s_waitcnt vmcnt(0)
	v_readfirstlane_b32 s12, v2
	v_add_u32_e32 v1, s12, v1
	v_mov_b32_e32 v2, 0
	ds_write_b32 v2, v1
.LBB230_4:
	s_or_b64 exec, exec, s[6:7]
	v_mov_b32_e32 v1, 0
	s_load_dwordx4 s[28:31], s[4:5], 0x28
	s_load_dword s6, s[4:5], 0x70
	s_waitcnt lgkmcnt(0)
	s_barrier
	ds_read_b32 v6, v1
	s_waitcnt lgkmcnt(0)
	s_barrier
	global_load_dwordx2 v[2:3], v1, s[22:23]
	s_lshl_b64 s[36:37], s[10:11], 3
	s_add_u32 s12, s8, s36
	s_addc_u32 s13, s9, s37
	s_add_i32 s22, s6, -1
	s_lshl_b32 s8, s6, 9
	s_lshl_b32 s6, s22, 9
	s_add_i32 s6, s10, s6
	v_readfirstlane_b32 s33, v6
	s_sub_i32 s48, s24, s6
	s_lshl_b32 s6, s33, 9
	s_add_u32 s8, s10, s8
	s_addc_u32 s9, s11, 0
	v_mov_b32_e32 v4, s24
	v_mov_b32_e32 v5, s25
	s_cmp_eq_u32 s33, s22
	s_mov_b32 s7, 0
	v_cmp_ge_u64_e32 vcc, s[8:9], v[4:5]
	s_cselect_b64 s[24:25], -1, 0
	s_lshl_b64 s[8:9], s[6:7], 3
	s_and_b64 s[6:7], vcc, s[24:25]
	s_xor_b64 s[34:35], s[6:7], -1
	s_add_u32 s12, s12, s8
	s_mov_b64 s[4:5], -1
	v_lshrrev_b32_e32 v18, 2, v0
	s_addc_u32 s13, s13, s9
	s_and_b64 vcc, exec, s[34:35]
	s_waitcnt vmcnt(0)
	v_readfirstlane_b32 s22, v2
	v_readfirstlane_b32 s23, v3
	s_cbranch_vccz .LBB230_6
; %bb.5:
	v_lshlrev_b32_e32 v1, 3, v0
	global_load_dwordx2 v[2:3], v1, s[12:13]
	global_load_dwordx2 v[4:5], v1, s[12:13] offset:1024
	global_load_dwordx2 v[6:7], v1, s[12:13] offset:2048
	;; [unrolled: 1-line block ×3, first 2 shown]
	v_or_b32_e32 v11, 0x80, v0
	v_or_b32_e32 v12, 0x100, v0
	;; [unrolled: 1-line block ×3, first 2 shown]
	v_and_b32_e32 v10, 24, v18
	v_lshrrev_b32_e32 v11, 2, v11
	v_lshrrev_b32_e32 v12, 2, v12
	;; [unrolled: 1-line block ×3, first 2 shown]
	v_add_u32_e32 v10, v10, v1
	v_and_b32_e32 v11, 56, v11
	v_and_b32_e32 v12, 0x58, v12
	;; [unrolled: 1-line block ×3, first 2 shown]
	v_add_u32_e32 v11, v11, v1
	v_add_u32_e32 v12, v12, v1
	;; [unrolled: 1-line block ×3, first 2 shown]
	s_mov_b64 s[4:5], 0
	s_waitcnt vmcnt(3)
	ds_write_b64 v10, v[2:3]
	s_waitcnt vmcnt(2)
	ds_write_b64 v11, v[4:5] offset:1024
	s_waitcnt vmcnt(1)
	ds_write_b64 v12, v[6:7] offset:2048
	;; [unrolled: 2-line block ×3, first 2 shown]
	s_waitcnt lgkmcnt(0)
	s_barrier
.LBB230_6:
	s_andn2_b64 vcc, exec, s[4:5]
	v_cmp_gt_u32_e64 s[4:5], s48, v0
	s_cbranch_vccnz .LBB230_16
; %bb.7:
                                        ; implicit-def: $vgpr2_vgpr3_vgpr4_vgpr5_vgpr6_vgpr7_vgpr8_vgpr9
	s_and_saveexec_b64 s[38:39], s[4:5]
	s_cbranch_execz .LBB230_9
; %bb.8:
	v_lshlrev_b32_e32 v1, 3, v0
	global_load_dwordx2 v[2:3], v1, s[12:13]
.LBB230_9:
	s_or_b64 exec, exec, s[38:39]
	v_or_b32_e32 v1, 0x80, v0
	v_cmp_gt_u32_e32 vcc, s48, v1
	s_and_saveexec_b64 s[4:5], vcc
	s_cbranch_execz .LBB230_11
; %bb.10:
	v_lshlrev_b32_e32 v4, 3, v0
	global_load_dwordx2 v[4:5], v4, s[12:13] offset:1024
.LBB230_11:
	s_or_b64 exec, exec, s[4:5]
	v_or_b32_e32 v10, 0x100, v0
	v_cmp_gt_u32_e32 vcc, s48, v10
	s_and_saveexec_b64 s[4:5], vcc
	s_cbranch_execz .LBB230_13
; %bb.12:
	v_lshlrev_b32_e32 v6, 3, v0
	global_load_dwordx2 v[6:7], v6, s[12:13] offset:2048
.LBB230_13:
	;; [unrolled: 9-line block ×3, first 2 shown]
	s_or_b64 exec, exec, s[4:5]
	v_lshrrev_b32_e32 v1, 2, v1
	v_lshlrev_b32_e32 v13, 3, v0
	v_and_b32_e32 v1, 56, v1
	v_add_u32_e32 v1, v1, v13
	s_waitcnt vmcnt(0)
	ds_write_b64 v1, v[4:5] offset:1024
	v_lshrrev_b32_e32 v1, 2, v10
	v_and_b32_e32 v1, 0x78, v1
	v_add_u32_e32 v1, v1, v13
	ds_write_b64 v1, v[6:7] offset:2048
	v_lshrrev_b32_e32 v1, 2, v11
	v_and_b32_e32 v12, 24, v18
	v_and_b32_e32 v1, 0x78, v1
	v_add_u32_e32 v12, v12, v13
	v_add_u32_e32 v1, v1, v13
	ds_write_b64 v12, v[2:3]
	ds_write_b64 v1, v[8:9] offset:3072
	s_waitcnt lgkmcnt(0)
	s_barrier
.LBB230_16:
	v_lshlrev_b32_e32 v1, 2, v0
	v_lshrrev_b32_e32 v2, 3, v0
	v_add_lshl_u32 v19, v2, v1, 3
	ds_read2_b64 v[14:17], v19 offset1:1
	ds_read2_b64 v[10:13], v19 offset0:2 offset1:3
	s_add_u32 s4, s14, s36
	s_addc_u32 s5, s15, s37
	s_add_u32 s4, s4, s8
	s_addc_u32 s5, s5, s9
	s_mov_b64 s[8:9], -1
	s_and_b64 vcc, exec, s[34:35]
	s_waitcnt lgkmcnt(0)
	s_barrier
	s_cbranch_vccz .LBB230_18
; %bb.17:
	v_lshlrev_b32_e32 v20, 3, v0
	global_load_dwordx2 v[2:3], v20, s[4:5]
	global_load_dwordx2 v[4:5], v20, s[4:5] offset:1024
	global_load_dwordx2 v[6:7], v20, s[4:5] offset:2048
	;; [unrolled: 1-line block ×3, first 2 shown]
	v_or_b32_e32 v22, 0x80, v0
	v_or_b32_e32 v23, 0x100, v0
	;; [unrolled: 1-line block ×3, first 2 shown]
	v_and_b32_e32 v21, 24, v18
	v_lshrrev_b32_e32 v22, 2, v22
	v_lshrrev_b32_e32 v23, 2, v23
	;; [unrolled: 1-line block ×3, first 2 shown]
	v_add_u32_e32 v21, v21, v20
	v_and_b32_e32 v22, 56, v22
	v_and_b32_e32 v23, 0x58, v23
	v_and_b32_e32 v24, 0x78, v24
	v_add_u32_e32 v22, v22, v20
	v_add_u32_e32 v23, v23, v20
	;; [unrolled: 1-line block ×3, first 2 shown]
	s_mov_b64 s[8:9], 0
	s_waitcnt vmcnt(3)
	ds_write_b64 v21, v[2:3]
	s_waitcnt vmcnt(2)
	ds_write_b64 v22, v[4:5] offset:1024
	s_waitcnt vmcnt(1)
	ds_write_b64 v23, v[6:7] offset:2048
	;; [unrolled: 2-line block ×3, first 2 shown]
	s_waitcnt lgkmcnt(0)
	s_barrier
.LBB230_18:
	s_andn2_b64 vcc, exec, s[8:9]
	s_cbranch_vccnz .LBB230_28
; %bb.19:
	v_cmp_gt_u32_e32 vcc, s48, v0
                                        ; implicit-def: $vgpr2_vgpr3
	s_and_saveexec_b64 s[8:9], vcc
	s_cbranch_execz .LBB230_21
; %bb.20:
	v_lshlrev_b32_e32 v2, 3, v0
	global_load_dwordx2 v[2:3], v2, s[4:5]
.LBB230_21:
	s_or_b64 exec, exec, s[8:9]
	v_or_b32_e32 v20, 0x80, v0
	v_cmp_gt_u32_e32 vcc, s48, v20
                                        ; implicit-def: $vgpr4_vgpr5
	s_and_saveexec_b64 s[8:9], vcc
	s_cbranch_execz .LBB230_23
; %bb.22:
	v_lshlrev_b32_e32 v4, 3, v0
	global_load_dwordx2 v[4:5], v4, s[4:5] offset:1024
.LBB230_23:
	s_or_b64 exec, exec, s[8:9]
	v_or_b32_e32 v21, 0x100, v0
	v_cmp_gt_u32_e32 vcc, s48, v21
                                        ; implicit-def: $vgpr6_vgpr7
	s_and_saveexec_b64 s[8:9], vcc
	s_cbranch_execz .LBB230_25
; %bb.24:
	v_lshlrev_b32_e32 v6, 3, v0
	global_load_dwordx2 v[6:7], v6, s[4:5] offset:2048
.LBB230_25:
	s_or_b64 exec, exec, s[8:9]
	v_or_b32_e32 v22, 0x180, v0
	v_cmp_gt_u32_e32 vcc, s48, v22
                                        ; implicit-def: $vgpr8_vgpr9
	s_and_saveexec_b64 s[8:9], vcc
	s_cbranch_execz .LBB230_27
; %bb.26:
	v_lshlrev_b32_e32 v8, 3, v0
	global_load_dwordx2 v[8:9], v8, s[4:5] offset:3072
.LBB230_27:
	s_or_b64 exec, exec, s[8:9]
	v_and_b32_e32 v18, 24, v18
	v_lshlrev_b32_e32 v23, 3, v0
	v_add_u32_e32 v18, v18, v23
	s_waitcnt vmcnt(0)
	ds_write_b64 v18, v[2:3]
	v_lshrrev_b32_e32 v2, 2, v20
	v_and_b32_e32 v2, 56, v2
	v_add_u32_e32 v2, v2, v23
	ds_write_b64 v2, v[4:5] offset:1024
	v_lshrrev_b32_e32 v2, 2, v21
	v_and_b32_e32 v2, 0x78, v2
	v_add_u32_e32 v2, v2, v23
	ds_write_b64 v2, v[6:7] offset:2048
	;; [unrolled: 4-line block ×3, first 2 shown]
	s_waitcnt lgkmcnt(0)
	s_barrier
.LBB230_28:
	ds_read2_b64 v[6:9], v19 offset1:1
	ds_read2_b64 v[2:5], v19 offset0:2 offset1:3
	s_cmp_lg_u32 s33, 0
	s_cselect_b64 s[36:37], -1, 0
	s_cmp_lg_u64 s[10:11], 0
	s_cselect_b64 s[4:5], -1, 0
	s_or_b64 s[4:5], s[4:5], s[36:37]
	s_mov_b64 s[8:9], 0
	s_and_b64 vcc, exec, s[4:5]
	v_cmp_gt_i64_e64 s[4:5], s[26:27], 0
	s_waitcnt lgkmcnt(0)
	s_barrier
	s_cbranch_vccz .LBB230_37
; %bb.29:
	v_mov_b32_e32 v18, 0
	global_load_dwordx2 v[18:19], v18, s[12:13] offset:-8
	v_cndmask_b32_e64 v20, 0, 1, s[4:5]
	v_lshlrev_b32_e32 v29, 3, v0
	s_and_b64 vcc, exec, s[34:35]
	v_cmp_ne_u32_e64 s[4:5], 1, v20
	ds_write_b64 v29, v[12:13]
	s_cbranch_vccz .LBB230_38
; %bb.30:
	v_mul_lo_u32 v22, v11, s26
	v_mul_lo_u32 v23, v10, s27
	v_mad_u64_u32 v[20:21], s[10:11], v10, s26, 0
	s_and_b64 vcc, exec, s[4:5]
	v_add3_u32 v21, v21, v23, v22
	s_cbranch_vccnz .LBB230_41
; %bb.31:
	v_mov_b32_e32 v23, s17
	v_add_co_u32_e32 v22, vcc, s16, v20
	v_pk_mov_b32 v[24:25], s[16:17], s[16:17] op_sel:[0,1]
	v_addc_co_u32_e32 v23, vcc, v23, v21, vcc
	v_mad_u64_u32 v[24:25], s[8:9], v12, s26, v[24:25]
	v_mul_lo_u32 v26, v12, s27
	v_mul_lo_u32 v27, v13, s26
	v_add3_u32 v25, v27, v25, v26
	global_load_ubyte v26, v[22:23], off
	global_load_ubyte v27, v[24:25], off
	s_mov_b64 s[8:9], -1
	s_waitcnt vmcnt(0)
	v_cmp_eq_u16_e32 vcc, v26, v27
	s_and_saveexec_b64 s[10:11], vcc
	s_cbranch_execz .LBB230_40
; %bb.32:
	s_mov_b64 s[14:15], 1
	s_mov_b64 s[8:9], 0
                                        ; implicit-def: $sgpr12_sgpr13
	s_branch .LBB230_35
.LBB230_33:                             ;   in Loop: Header=BB230_35 Depth=1
	v_mov_b32_e32 v28, s15
	v_add_co_u32_e32 v26, vcc, s14, v22
	v_addc_co_u32_e32 v27, vcc, v23, v28, vcc
	v_add_co_u32_e32 v30, vcc, s14, v24
	v_addc_co_u32_e32 v31, vcc, v25, v28, vcc
	global_load_ubyte v28, v[26:27], off
	global_load_ubyte v32, v[30:31], off
	s_add_u32 s38, s14, 1
	s_addc_u32 s39, s15, 0
	s_andn2_b64 s[12:13], s[12:13], exec
	s_waitcnt vmcnt(0)
	v_cmp_ne_u16_e32 vcc, v28, v32
	s_and_b64 s[40:41], vcc, exec
	s_or_b64 s[12:13], s[12:13], s[40:41]
.LBB230_34:                             ;   in Loop: Header=BB230_35 Depth=1
	s_and_b64 s[40:41], exec, s[12:13]
	s_or_b64 s[8:9], s[40:41], s[8:9]
	v_pk_mov_b32 v[26:27], s[14:15], s[14:15] op_sel:[0,1]
	s_mov_b64 s[14:15], s[38:39]
	s_andn2_b64 exec, exec, s[8:9]
	s_cbranch_execz .LBB230_39
.LBB230_35:                             ; =>This Inner Loop Header: Depth=1
	s_or_b64 s[12:13], s[12:13], exec
	s_cmp_eq_u64 s[26:27], s[14:15]
	s_cbranch_scc0 .LBB230_33
; %bb.36:                               ;   in Loop: Header=BB230_35 Depth=1
                                        ; implicit-def: $sgpr38_sgpr39
	s_mov_b64 s[14:15], s[26:27]
	s_branch .LBB230_34
.LBB230_37:
                                        ; implicit-def: $sgpr12_sgpr13
                                        ; implicit-def: $vgpr28
	s_branch .LBB230_119
.LBB230_38:
                                        ; implicit-def: $sgpr12_sgpr13
                                        ; implicit-def: $vgpr28
	s_cbranch_execnz .LBB230_71
	s_branch .LBB230_118
.LBB230_39:
	s_or_b64 exec, exec, s[8:9]
	v_cmp_gt_i64_e32 vcc, s[26:27], v[26:27]
	s_orn2_b64 s[8:9], vcc, exec
.LBB230_40:
	s_or_b64 exec, exec, s[10:11]
.LBB230_41:
	v_mul_lo_u32 v24, v17, s26
	v_mul_lo_u32 v25, v16, s27
	v_mad_u64_u32 v[22:23], s[10:11], v16, s26, 0
	v_add3_u32 v23, v23, v25, v24
	s_mov_b64 s[10:11], 0
	s_and_b64 vcc, exec, s[4:5]
	s_mov_b64 s[12:13], 0
	s_cbranch_vccnz .LBB230_50
; %bb.42:
	v_mov_b32_e32 v25, s17
	v_add_co_u32_e32 v24, vcc, s16, v22
	v_addc_co_u32_e32 v25, vcc, v25, v23, vcc
	v_mov_b32_e32 v26, s17
	v_add_co_u32_e32 v20, vcc, s16, v20
	v_addc_co_u32_e32 v21, vcc, v26, v21, vcc
	global_load_ubyte v26, v[24:25], off
	global_load_ubyte v27, v[20:21], off
	s_mov_b64 s[12:13], -1
	s_waitcnt vmcnt(0)
	v_cmp_eq_u16_e32 vcc, v26, v27
	s_and_saveexec_b64 s[14:15], vcc
	s_cbranch_execz .LBB230_49
; %bb.43:
	s_mov_b64 s[40:41], 1
	s_mov_b64 s[12:13], 0
                                        ; implicit-def: $sgpr38_sgpr39
	s_branch .LBB230_46
.LBB230_44:                             ;   in Loop: Header=BB230_46 Depth=1
	v_mov_b32_e32 v28, s41
	v_add_co_u32_e32 v26, vcc, s40, v24
	v_addc_co_u32_e32 v27, vcc, v25, v28, vcc
	v_add_co_u32_e32 v30, vcc, s40, v20
	v_addc_co_u32_e32 v31, vcc, v21, v28, vcc
	global_load_ubyte v28, v[26:27], off
	global_load_ubyte v32, v[30:31], off
	s_add_u32 s42, s40, 1
	s_addc_u32 s43, s41, 0
	s_andn2_b64 s[38:39], s[38:39], exec
	s_waitcnt vmcnt(0)
	v_cmp_ne_u16_e32 vcc, v28, v32
	s_and_b64 s[44:45], vcc, exec
	s_or_b64 s[38:39], s[38:39], s[44:45]
.LBB230_45:                             ;   in Loop: Header=BB230_46 Depth=1
	s_and_b64 s[44:45], exec, s[38:39]
	s_or_b64 s[12:13], s[44:45], s[12:13]
	v_pk_mov_b32 v[26:27], s[40:41], s[40:41] op_sel:[0,1]
	s_mov_b64 s[40:41], s[42:43]
	s_andn2_b64 exec, exec, s[12:13]
	s_cbranch_execz .LBB230_48
.LBB230_46:                             ; =>This Inner Loop Header: Depth=1
	s_or_b64 s[38:39], s[38:39], exec
	s_cmp_eq_u64 s[26:27], s[40:41]
	s_cbranch_scc0 .LBB230_44
; %bb.47:                               ;   in Loop: Header=BB230_46 Depth=1
                                        ; implicit-def: $sgpr42_sgpr43
	s_mov_b64 s[40:41], s[26:27]
	s_branch .LBB230_45
.LBB230_48:
	s_or_b64 exec, exec, s[12:13]
	v_cmp_gt_i64_e32 vcc, s[26:27], v[26:27]
	s_orn2_b64 s[12:13], vcc, exec
.LBB230_49:
	s_or_b64 exec, exec, s[14:15]
.LBB230_50:
	v_mul_lo_u32 v24, v15, s26
	v_mul_lo_u32 v25, v14, s27
	v_mad_u64_u32 v[20:21], s[14:15], v14, s26, 0
	s_and_b64 vcc, exec, s[4:5]
	v_add3_u32 v21, v21, v25, v24
	s_cbranch_vccnz .LBB230_59
; %bb.51:
	v_mov_b32_e32 v25, s17
	v_add_co_u32_e32 v24, vcc, s16, v20
	v_addc_co_u32_e32 v25, vcc, v25, v21, vcc
	v_mov_b32_e32 v26, s17
	v_add_co_u32_e32 v22, vcc, s16, v22
	v_addc_co_u32_e32 v23, vcc, v26, v23, vcc
	global_load_ubyte v26, v[24:25], off
	global_load_ubyte v27, v[22:23], off
	s_mov_b64 s[10:11], -1
	s_waitcnt vmcnt(0)
	v_cmp_eq_u16_e32 vcc, v26, v27
	s_and_saveexec_b64 s[14:15], vcc
	s_cbranch_execz .LBB230_58
; %bb.52:
	s_mov_b64 s[40:41], 1
	s_mov_b64 s[10:11], 0
                                        ; implicit-def: $sgpr38_sgpr39
	s_branch .LBB230_55
.LBB230_53:                             ;   in Loop: Header=BB230_55 Depth=1
	v_mov_b32_e32 v28, s41
	v_add_co_u32_e32 v26, vcc, s40, v24
	v_addc_co_u32_e32 v27, vcc, v25, v28, vcc
	v_add_co_u32_e32 v30, vcc, s40, v22
	v_addc_co_u32_e32 v31, vcc, v23, v28, vcc
	global_load_ubyte v28, v[26:27], off
	global_load_ubyte v32, v[30:31], off
	s_add_u32 s42, s40, 1
	s_addc_u32 s43, s41, 0
	s_andn2_b64 s[38:39], s[38:39], exec
	s_waitcnt vmcnt(0)
	v_cmp_ne_u16_e32 vcc, v28, v32
	s_and_b64 s[44:45], vcc, exec
	s_or_b64 s[38:39], s[38:39], s[44:45]
.LBB230_54:                             ;   in Loop: Header=BB230_55 Depth=1
	s_and_b64 s[44:45], exec, s[38:39]
	s_or_b64 s[10:11], s[44:45], s[10:11]
	v_pk_mov_b32 v[26:27], s[40:41], s[40:41] op_sel:[0,1]
	s_mov_b64 s[40:41], s[42:43]
	s_andn2_b64 exec, exec, s[10:11]
	s_cbranch_execz .LBB230_57
.LBB230_55:                             ; =>This Inner Loop Header: Depth=1
	s_or_b64 s[38:39], s[38:39], exec
	s_cmp_eq_u64 s[26:27], s[40:41]
	s_cbranch_scc0 .LBB230_53
; %bb.56:                               ;   in Loop: Header=BB230_55 Depth=1
                                        ; implicit-def: $sgpr42_sgpr43
	s_mov_b64 s[40:41], s[26:27]
	s_branch .LBB230_54
.LBB230_57:
	s_or_b64 exec, exec, s[10:11]
	v_cmp_gt_i64_e32 vcc, s[26:27], v[26:27]
	s_orn2_b64 s[10:11], vcc, exec
.LBB230_58:
	s_or_b64 exec, exec, s[14:15]
.LBB230_59:
	s_waitcnt vmcnt(0)
	v_pk_mov_b32 v[24:25], v[18:19], v[18:19] op_sel:[0,1]
	s_waitcnt lgkmcnt(0)
	s_barrier
	s_and_saveexec_b64 s[14:15], s[2:3]
	s_cbranch_execz .LBB230_61
; %bb.60:
	v_add_u32_e32 v22, -8, v29
	ds_read_b64 v[24:25], v22
.LBB230_61:
	s_or_b64 exec, exec, s[14:15]
	v_cndmask_b32_e64 v23, 0, 1, s[8:9]
	v_cndmask_b32_e64 v22, 0, 1, s[12:13]
	;; [unrolled: 1-line block ×3, first 2 shown]
	v_lshlrev_b16_e32 v23, 8, v23
	v_lshlrev_b16_e32 v26, 8, v26
	v_or_b32_sdwa v27, v22, v23 dst_sel:WORD_1 dst_unused:UNUSED_PAD src0_sel:DWORD src1_sel:DWORD
	s_mov_b64 s[8:9], 0
	s_and_b64 vcc, exec, s[4:5]
	s_mov_b64 s[12:13], 0
	s_cbranch_vccnz .LBB230_70
; %bb.62:
	v_pk_mov_b32 v[22:23], s[16:17], s[16:17] op_sel:[0,1]
	s_waitcnt lgkmcnt(0)
	v_mad_u64_u32 v[22:23], s[10:11], v24, s26, v[22:23]
	v_mul_lo_u32 v24, v24, s27
	v_mul_lo_u32 v25, v25, s26
	v_add3_u32 v23, v25, v23, v24
	v_mov_b32_e32 v24, s17
	v_add_co_u32_e32 v20, vcc, s16, v20
	v_addc_co_u32_e32 v21, vcc, v24, v21, vcc
	global_load_ubyte v24, v[22:23], off
	global_load_ubyte v25, v[20:21], off
	s_mov_b64 s[12:13], -1
	s_waitcnt vmcnt(0)
	v_cmp_eq_u16_e32 vcc, v24, v25
	s_and_saveexec_b64 s[10:11], vcc
	s_cbranch_execz .LBB230_69
; %bb.63:
	s_mov_b64 s[38:39], 1
	s_mov_b64 s[12:13], 0
                                        ; implicit-def: $sgpr14_sgpr15
	s_branch .LBB230_66
.LBB230_64:                             ;   in Loop: Header=BB230_66 Depth=1
	v_mov_b32_e32 v28, s39
	v_add_co_u32_e32 v24, vcc, s38, v22
	v_addc_co_u32_e32 v25, vcc, v23, v28, vcc
	v_add_co_u32_e32 v30, vcc, s38, v20
	v_addc_co_u32_e32 v31, vcc, v21, v28, vcc
	global_load_ubyte v28, v[24:25], off
	global_load_ubyte v32, v[30:31], off
	s_add_u32 s40, s38, 1
	s_addc_u32 s41, s39, 0
	s_andn2_b64 s[14:15], s[14:15], exec
	s_waitcnt vmcnt(0)
	v_cmp_ne_u16_e32 vcc, v28, v32
	s_and_b64 s[42:43], vcc, exec
	s_or_b64 s[14:15], s[14:15], s[42:43]
.LBB230_65:                             ;   in Loop: Header=BB230_66 Depth=1
	s_and_b64 s[42:43], exec, s[14:15]
	s_or_b64 s[12:13], s[42:43], s[12:13]
	v_pk_mov_b32 v[24:25], s[38:39], s[38:39] op_sel:[0,1]
	s_mov_b64 s[38:39], s[40:41]
	s_andn2_b64 exec, exec, s[12:13]
	s_cbranch_execz .LBB230_68
.LBB230_66:                             ; =>This Inner Loop Header: Depth=1
	s_or_b64 s[14:15], s[14:15], exec
	s_cmp_eq_u64 s[26:27], s[38:39]
	s_cbranch_scc0 .LBB230_64
; %bb.67:                               ;   in Loop: Header=BB230_66 Depth=1
                                        ; implicit-def: $sgpr40_sgpr41
	s_mov_b64 s[38:39], s[26:27]
	s_branch .LBB230_65
.LBB230_68:
	s_or_b64 exec, exec, s[12:13]
	v_cmp_gt_i64_e32 vcc, s[26:27], v[24:25]
	s_orn2_b64 s[12:13], vcc, exec
.LBB230_69:
	s_or_b64 exec, exec, s[10:11]
.LBB230_70:
	v_or_b32_e32 v28, v26, v27
	s_and_b64 vcc, exec, s[8:9]
	s_cbranch_vccz .LBB230_118
.LBB230_71:
	v_or_b32_e32 v20, 3, v1
	v_cmp_gt_u32_e32 vcc, s48, v20
	s_mov_b64 s[10:11], 0
	s_mov_b64 s[8:9], 0
	s_and_saveexec_b64 s[12:13], vcc
	s_cbranch_execz .LBB230_82
; %bb.72:
	s_and_b64 vcc, exec, s[4:5]
	s_mov_b64 s[14:15], 0
	s_cbranch_vccnz .LBB230_81
; %bb.73:
	v_pk_mov_b32 v[22:23], s[16:17], s[16:17] op_sel:[0,1]
	v_mad_u64_u32 v[20:21], s[8:9], v10, s26, v[22:23]
	s_waitcnt lgkmcnt(0)
	v_mul_lo_u32 v24, v10, s27
	v_mul_lo_u32 v25, v11, s26
	v_add3_u32 v21, v25, v21, v24
	v_mad_u64_u32 v[22:23], s[8:9], v12, s26, v[22:23]
	v_mul_lo_u32 v24, v12, s27
	v_mul_lo_u32 v25, v13, s26
	v_add3_u32 v23, v25, v23, v24
	global_load_ubyte v24, v[20:21], off
	global_load_ubyte v25, v[22:23], off
	s_mov_b64 s[14:15], -1
	s_waitcnt vmcnt(0)
	v_cmp_eq_u16_e32 vcc, v24, v25
	s_and_saveexec_b64 s[8:9], vcc
	s_cbranch_execz .LBB230_80
; %bb.74:
	s_mov_b64 s[40:41], 1
	s_mov_b64 s[14:15], 0
                                        ; implicit-def: $sgpr38_sgpr39
	s_branch .LBB230_77
.LBB230_75:                             ;   in Loop: Header=BB230_77 Depth=1
	v_mov_b32_e32 v27, s41
	v_add_co_u32_e32 v24, vcc, s40, v20
	v_addc_co_u32_e32 v25, vcc, v21, v27, vcc
	v_add_co_u32_e32 v26, vcc, s40, v22
	v_addc_co_u32_e32 v27, vcc, v23, v27, vcc
	global_load_ubyte v28, v[24:25], off
	global_load_ubyte v30, v[26:27], off
	s_add_u32 s42, s40, 1
	s_addc_u32 s43, s41, 0
	s_andn2_b64 s[38:39], s[38:39], exec
	s_waitcnt vmcnt(0)
	v_cmp_ne_u16_e32 vcc, v28, v30
	s_and_b64 s[44:45], vcc, exec
	s_or_b64 s[38:39], s[38:39], s[44:45]
.LBB230_76:                             ;   in Loop: Header=BB230_77 Depth=1
	s_and_b64 s[44:45], exec, s[38:39]
	s_or_b64 s[14:15], s[44:45], s[14:15]
	v_pk_mov_b32 v[24:25], s[40:41], s[40:41] op_sel:[0,1]
	s_mov_b64 s[40:41], s[42:43]
	s_andn2_b64 exec, exec, s[14:15]
	s_cbranch_execz .LBB230_79
.LBB230_77:                             ; =>This Inner Loop Header: Depth=1
	s_or_b64 s[38:39], s[38:39], exec
	s_cmp_eq_u64 s[26:27], s[40:41]
	s_cbranch_scc0 .LBB230_75
; %bb.78:                               ;   in Loop: Header=BB230_77 Depth=1
                                        ; implicit-def: $sgpr42_sgpr43
	s_mov_b64 s[40:41], s[26:27]
	s_branch .LBB230_76
.LBB230_79:
	s_or_b64 exec, exec, s[14:15]
	v_cmp_gt_i64_e32 vcc, s[26:27], v[24:25]
	s_orn2_b64 s[14:15], vcc, exec
.LBB230_80:
	s_or_b64 exec, exec, s[8:9]
.LBB230_81:
	s_and_b64 s[8:9], s[14:15], exec
.LBB230_82:
	s_or_b64 exec, exec, s[12:13]
	v_or_b32_e32 v20, 2, v1
	v_cmp_gt_u32_e32 vcc, s48, v20
	s_and_saveexec_b64 s[12:13], vcc
	s_cbranch_execz .LBB230_93
; %bb.83:
	s_and_b64 vcc, exec, s[4:5]
	s_mov_b64 s[14:15], 0
	s_cbranch_vccnz .LBB230_92
; %bb.84:
	v_pk_mov_b32 v[22:23], s[16:17], s[16:17] op_sel:[0,1]
	v_mad_u64_u32 v[20:21], s[10:11], v16, s26, v[22:23]
	s_waitcnt lgkmcnt(0)
	v_mul_lo_u32 v24, v16, s27
	v_mul_lo_u32 v25, v17, s26
	v_add3_u32 v21, v25, v21, v24
	v_mad_u64_u32 v[22:23], s[10:11], v10, s26, v[22:23]
	v_mul_lo_u32 v24, v10, s27
	v_mul_lo_u32 v25, v11, s26
	v_add3_u32 v23, v25, v23, v24
	global_load_ubyte v24, v[20:21], off
	global_load_ubyte v25, v[22:23], off
	s_mov_b64 s[14:15], -1
	s_waitcnt vmcnt(0)
	v_cmp_eq_u16_e32 vcc, v24, v25
	s_and_saveexec_b64 s[10:11], vcc
	s_cbranch_execz .LBB230_91
; %bb.85:
	s_mov_b64 s[40:41], 1
	s_mov_b64 s[14:15], 0
                                        ; implicit-def: $sgpr38_sgpr39
	s_branch .LBB230_88
.LBB230_86:                             ;   in Loop: Header=BB230_88 Depth=1
	v_mov_b32_e32 v27, s41
	v_add_co_u32_e32 v24, vcc, s40, v20
	v_addc_co_u32_e32 v25, vcc, v21, v27, vcc
	v_add_co_u32_e32 v26, vcc, s40, v22
	v_addc_co_u32_e32 v27, vcc, v23, v27, vcc
	global_load_ubyte v28, v[24:25], off
	global_load_ubyte v30, v[26:27], off
	s_add_u32 s42, s40, 1
	s_addc_u32 s43, s41, 0
	s_andn2_b64 s[38:39], s[38:39], exec
	s_waitcnt vmcnt(0)
	v_cmp_ne_u16_e32 vcc, v28, v30
	s_and_b64 s[44:45], vcc, exec
	s_or_b64 s[38:39], s[38:39], s[44:45]
.LBB230_87:                             ;   in Loop: Header=BB230_88 Depth=1
	s_and_b64 s[44:45], exec, s[38:39]
	s_or_b64 s[14:15], s[44:45], s[14:15]
	v_pk_mov_b32 v[24:25], s[40:41], s[40:41] op_sel:[0,1]
	s_mov_b64 s[40:41], s[42:43]
	s_andn2_b64 exec, exec, s[14:15]
	s_cbranch_execz .LBB230_90
.LBB230_88:                             ; =>This Inner Loop Header: Depth=1
	s_or_b64 s[38:39], s[38:39], exec
	s_cmp_eq_u64 s[26:27], s[40:41]
	s_cbranch_scc0 .LBB230_86
; %bb.89:                               ;   in Loop: Header=BB230_88 Depth=1
                                        ; implicit-def: $sgpr42_sgpr43
	s_mov_b64 s[40:41], s[26:27]
	s_branch .LBB230_87
.LBB230_90:
	s_or_b64 exec, exec, s[14:15]
	v_cmp_gt_i64_e32 vcc, s[26:27], v[24:25]
	s_orn2_b64 s[14:15], vcc, exec
.LBB230_91:
	s_or_b64 exec, exec, s[10:11]
.LBB230_92:
	s_and_b64 s[10:11], s[14:15], exec
.LBB230_93:
	s_or_b64 exec, exec, s[12:13]
	v_or_b32_e32 v20, 1, v1
	v_cmp_gt_u32_e32 vcc, s48, v20
	s_mov_b64 s[14:15], 0
	s_and_saveexec_b64 s[12:13], vcc
	s_cbranch_execz .LBB230_104
; %bb.94:
	s_and_b64 vcc, exec, s[4:5]
	s_mov_b64 s[38:39], 0
	s_cbranch_vccnz .LBB230_103
; %bb.95:
	v_pk_mov_b32 v[22:23], s[16:17], s[16:17] op_sel:[0,1]
	v_mad_u64_u32 v[20:21], s[14:15], v14, s26, v[22:23]
	s_waitcnt lgkmcnt(0)
	v_mul_lo_u32 v24, v14, s27
	v_mul_lo_u32 v25, v15, s26
	v_add3_u32 v21, v25, v21, v24
	v_mad_u64_u32 v[22:23], s[14:15], v16, s26, v[22:23]
	v_mul_lo_u32 v24, v16, s27
	v_mul_lo_u32 v25, v17, s26
	v_add3_u32 v23, v25, v23, v24
	global_load_ubyte v24, v[20:21], off
	global_load_ubyte v25, v[22:23], off
	s_mov_b64 s[38:39], -1
	s_waitcnt vmcnt(0)
	v_cmp_eq_u16_e32 vcc, v24, v25
	s_and_saveexec_b64 s[14:15], vcc
	s_cbranch_execz .LBB230_102
; %bb.96:
	s_mov_b64 s[42:43], 1
	s_mov_b64 s[38:39], 0
                                        ; implicit-def: $sgpr40_sgpr41
	s_branch .LBB230_99
.LBB230_97:                             ;   in Loop: Header=BB230_99 Depth=1
	v_mov_b32_e32 v27, s43
	v_add_co_u32_e32 v24, vcc, s42, v20
	v_addc_co_u32_e32 v25, vcc, v21, v27, vcc
	v_add_co_u32_e32 v26, vcc, s42, v22
	v_addc_co_u32_e32 v27, vcc, v23, v27, vcc
	global_load_ubyte v28, v[24:25], off
	global_load_ubyte v30, v[26:27], off
	s_add_u32 s44, s42, 1
	s_addc_u32 s45, s43, 0
	s_andn2_b64 s[40:41], s[40:41], exec
	s_waitcnt vmcnt(0)
	v_cmp_ne_u16_e32 vcc, v28, v30
	s_and_b64 s[46:47], vcc, exec
	s_or_b64 s[40:41], s[40:41], s[46:47]
.LBB230_98:                             ;   in Loop: Header=BB230_99 Depth=1
	s_and_b64 s[46:47], exec, s[40:41]
	s_or_b64 s[38:39], s[46:47], s[38:39]
	v_pk_mov_b32 v[24:25], s[42:43], s[42:43] op_sel:[0,1]
	s_mov_b64 s[42:43], s[44:45]
	s_andn2_b64 exec, exec, s[38:39]
	s_cbranch_execz .LBB230_101
.LBB230_99:                             ; =>This Inner Loop Header: Depth=1
	s_or_b64 s[40:41], s[40:41], exec
	s_cmp_eq_u64 s[26:27], s[42:43]
	s_cbranch_scc0 .LBB230_97
; %bb.100:                              ;   in Loop: Header=BB230_99 Depth=1
                                        ; implicit-def: $sgpr44_sgpr45
	s_mov_b64 s[42:43], s[26:27]
	s_branch .LBB230_98
.LBB230_101:
	s_or_b64 exec, exec, s[38:39]
	v_cmp_gt_i64_e32 vcc, s[26:27], v[24:25]
	s_orn2_b64 s[38:39], vcc, exec
.LBB230_102:
	s_or_b64 exec, exec, s[14:15]
.LBB230_103:
	s_and_b64 s[14:15], s[38:39], exec
.LBB230_104:
	s_or_b64 exec, exec, s[12:13]
	s_waitcnt lgkmcnt(0)
	s_barrier
	s_and_saveexec_b64 s[12:13], s[2:3]
	s_cbranch_execz .LBB230_106
; %bb.105:
	s_waitcnt vmcnt(0)
	v_add_u32_e32 v18, -8, v29
	ds_read_b64 v[18:19], v18
.LBB230_106:
	s_or_b64 exec, exec, s[12:13]
	v_cndmask_b32_e64 v21, 0, 1, s[8:9]
	v_cndmask_b32_e64 v20, 0, 1, s[10:11]
	;; [unrolled: 1-line block ×3, first 2 shown]
	v_lshlrev_b16_e32 v21, 8, v21
	v_lshlrev_b16_e32 v24, 8, v22
	v_or_b32_sdwa v25, v20, v21 dst_sel:WORD_1 dst_unused:UNUSED_PAD src0_sel:DWORD src1_sel:DWORD
	v_cmp_gt_u32_e32 vcc, s48, v1
	s_mov_b64 s[12:13], 0
	s_and_saveexec_b64 s[8:9], vcc
	s_cbranch_execz .LBB230_117
; %bb.107:
	s_and_b64 vcc, exec, s[4:5]
	s_mov_b64 s[10:11], 0
	s_cbranch_vccnz .LBB230_116
; %bb.108:
	v_pk_mov_b32 v[22:23], s[16:17], s[16:17] op_sel:[0,1]
	s_waitcnt vmcnt(0) lgkmcnt(0)
	v_mad_u64_u32 v[20:21], s[4:5], v18, s26, v[22:23]
	v_mul_lo_u32 v18, v18, s27
	v_mul_lo_u32 v19, v19, s26
	v_add3_u32 v21, v19, v21, v18
	v_mad_u64_u32 v[18:19], s[4:5], v14, s26, v[22:23]
	v_mul_lo_u32 v22, v14, s27
	v_mul_lo_u32 v23, v15, s26
	v_add3_u32 v19, v23, v19, v22
	global_load_ubyte v22, v[20:21], off
	global_load_ubyte v23, v[18:19], off
	s_mov_b64 s[10:11], -1
	s_waitcnt vmcnt(0)
	v_cmp_eq_u16_e32 vcc, v22, v23
	s_and_saveexec_b64 s[4:5], vcc
	s_cbranch_execz .LBB230_115
; %bb.109:
	s_mov_b64 s[14:15], 1
	s_mov_b64 s[10:11], 0
                                        ; implicit-def: $sgpr12_sgpr13
	s_branch .LBB230_112
.LBB230_110:                            ;   in Loop: Header=BB230_112 Depth=1
	v_mov_b32_e32 v27, s15
	v_add_co_u32_e32 v22, vcc, s14, v20
	v_addc_co_u32_e32 v23, vcc, v21, v27, vcc
	v_add_co_u32_e32 v26, vcc, s14, v18
	v_addc_co_u32_e32 v27, vcc, v19, v27, vcc
	global_load_ubyte v28, v[22:23], off
	global_load_ubyte v29, v[26:27], off
	s_add_u32 s38, s14, 1
	s_addc_u32 s39, s15, 0
	s_andn2_b64 s[12:13], s[12:13], exec
	s_waitcnt vmcnt(0)
	v_cmp_ne_u16_e32 vcc, v28, v29
	s_and_b64 s[40:41], vcc, exec
	s_or_b64 s[12:13], s[12:13], s[40:41]
.LBB230_111:                            ;   in Loop: Header=BB230_112 Depth=1
	s_and_b64 s[40:41], exec, s[12:13]
	s_or_b64 s[10:11], s[40:41], s[10:11]
	v_pk_mov_b32 v[22:23], s[14:15], s[14:15] op_sel:[0,1]
	s_mov_b64 s[14:15], s[38:39]
	s_andn2_b64 exec, exec, s[10:11]
	s_cbranch_execz .LBB230_114
.LBB230_112:                            ; =>This Inner Loop Header: Depth=1
	s_or_b64 s[12:13], s[12:13], exec
	s_cmp_eq_u64 s[26:27], s[14:15]
	s_cbranch_scc0 .LBB230_110
; %bb.113:                              ;   in Loop: Header=BB230_112 Depth=1
                                        ; implicit-def: $sgpr38_sgpr39
	s_mov_b64 s[14:15], s[26:27]
	s_branch .LBB230_111
.LBB230_114:
	s_or_b64 exec, exec, s[10:11]
	v_cmp_gt_i64_e32 vcc, s[26:27], v[22:23]
	s_orn2_b64 s[10:11], vcc, exec
.LBB230_115:
	s_or_b64 exec, exec, s[4:5]
.LBB230_116:
	s_and_b64 s[12:13], s[10:11], exec
.LBB230_117:
	s_or_b64 exec, exec, s[8:9]
	v_or_b32_e32 v28, v24, v25
.LBB230_118:
	s_mov_b64 s[8:9], -1
	s_cbranch_execnz .LBB230_207
.LBB230_119:
	v_lshlrev_b32_e32 v26, 3, v0
	s_mov_b64 s[12:13], 0
	v_cmp_gt_i64_e64 s[10:11], s[26:27], 0
	s_and_b64 vcc, exec, s[34:35]
	ds_write_b64 v26, v[12:13]
	s_cbranch_vccz .LBB230_127
; %bb.120:
	v_mul_lo_u32 v20, v11, s26
	v_mul_lo_u32 v21, v10, s27
	s_waitcnt vmcnt(0) lgkmcnt(1)
	v_mad_u64_u32 v[18:19], s[4:5], v10, s26, 0
	v_cndmask_b32_e64 v22, 0, 1, s[10:11]
	v_cmp_ne_u32_e64 s[4:5], 1, v22
	s_andn2_b64 vcc, exec, s[10:11]
	v_add3_u32 v19, v19, v21, v20
	s_cbranch_vccnz .LBB230_130
; %bb.121:
	v_mov_b32_e32 v21, s17
	v_add_co_u32_e32 v20, vcc, s16, v18
	v_pk_mov_b32 v[22:23], s[16:17], s[16:17] op_sel:[0,1]
	v_addc_co_u32_e32 v21, vcc, v21, v19, vcc
	v_mad_u64_u32 v[22:23], s[12:13], v12, s26, v[22:23]
	v_mul_lo_u32 v24, v12, s27
	v_mul_lo_u32 v25, v13, s26
	v_add3_u32 v23, v25, v23, v24
	global_load_ubyte v24, v[20:21], off
	global_load_ubyte v25, v[22:23], off
	s_mov_b64 s[12:13], -1
	s_waitcnt vmcnt(0)
	v_cmp_eq_u16_e32 vcc, v24, v25
	s_and_saveexec_b64 s[14:15], vcc
	s_cbranch_execz .LBB230_129
; %bb.122:
	s_mov_b64 s[40:41], 1
	s_mov_b64 s[12:13], 0
                                        ; implicit-def: $sgpr38_sgpr39
	s_branch .LBB230_125
.LBB230_123:                            ;   in Loop: Header=BB230_125 Depth=1
	v_mov_b32_e32 v27, s41
	v_add_co_u32_e32 v24, vcc, s40, v20
	v_addc_co_u32_e32 v25, vcc, v21, v27, vcc
	v_add_co_u32_e32 v28, vcc, s40, v22
	v_addc_co_u32_e32 v29, vcc, v23, v27, vcc
	global_load_ubyte v27, v[24:25], off
	global_load_ubyte v30, v[28:29], off
	s_add_u32 s42, s40, 1
	s_addc_u32 s43, s41, 0
	s_andn2_b64 s[38:39], s[38:39], exec
	s_waitcnt vmcnt(0)
	v_cmp_ne_u16_e32 vcc, v27, v30
	s_and_b64 s[44:45], vcc, exec
	s_or_b64 s[38:39], s[38:39], s[44:45]
.LBB230_124:                            ;   in Loop: Header=BB230_125 Depth=1
	s_and_b64 s[44:45], exec, s[38:39]
	s_or_b64 s[12:13], s[44:45], s[12:13]
	v_pk_mov_b32 v[24:25], s[40:41], s[40:41] op_sel:[0,1]
	s_mov_b64 s[40:41], s[42:43]
	s_andn2_b64 exec, exec, s[12:13]
	s_cbranch_execz .LBB230_128
.LBB230_125:                            ; =>This Inner Loop Header: Depth=1
	s_or_b64 s[38:39], s[38:39], exec
	s_cmp_eq_u64 s[26:27], s[40:41]
	s_cbranch_scc0 .LBB230_123
; %bb.126:                              ;   in Loop: Header=BB230_125 Depth=1
                                        ; implicit-def: $sgpr42_sgpr43
	s_mov_b64 s[40:41], s[26:27]
	s_branch .LBB230_124
.LBB230_127:
                                        ; implicit-def: $sgpr12_sgpr13
                                        ; implicit-def: $vgpr28
	s_cbranch_execnz .LBB230_160
	s_branch .LBB230_207
.LBB230_128:
	s_or_b64 exec, exec, s[12:13]
	v_cmp_gt_i64_e32 vcc, s[26:27], v[24:25]
	s_orn2_b64 s[12:13], vcc, exec
.LBB230_129:
	s_or_b64 exec, exec, s[14:15]
.LBB230_130:
	v_mul_lo_u32 v22, v17, s26
	v_mul_lo_u32 v23, v16, s27
	v_mad_u64_u32 v[20:21], s[14:15], v16, s26, 0
	v_add3_u32 v21, v21, v23, v22
	s_mov_b64 s[14:15], 0
	s_and_b64 vcc, exec, s[4:5]
	s_mov_b64 s[38:39], 0
	s_cbranch_vccnz .LBB230_139
; %bb.131:
	v_mov_b32_e32 v23, s17
	v_add_co_u32_e32 v22, vcc, s16, v20
	v_addc_co_u32_e32 v23, vcc, v23, v21, vcc
	v_mov_b32_e32 v24, s17
	v_add_co_u32_e32 v18, vcc, s16, v18
	v_addc_co_u32_e32 v19, vcc, v24, v19, vcc
	global_load_ubyte v24, v[22:23], off
	global_load_ubyte v25, v[18:19], off
	s_mov_b64 s[38:39], -1
	s_waitcnt vmcnt(0)
	v_cmp_eq_u16_e32 vcc, v24, v25
	s_and_saveexec_b64 s[40:41], vcc
	s_cbranch_execz .LBB230_138
; %bb.132:
	s_mov_b64 s[44:45], 1
	s_mov_b64 s[38:39], 0
                                        ; implicit-def: $sgpr42_sgpr43
	s_branch .LBB230_135
.LBB230_133:                            ;   in Loop: Header=BB230_135 Depth=1
	v_mov_b32_e32 v27, s45
	v_add_co_u32_e32 v24, vcc, s44, v22
	v_addc_co_u32_e32 v25, vcc, v23, v27, vcc
	v_add_co_u32_e32 v28, vcc, s44, v18
	v_addc_co_u32_e32 v29, vcc, v19, v27, vcc
	global_load_ubyte v27, v[24:25], off
	global_load_ubyte v30, v[28:29], off
	s_add_u32 s46, s44, 1
	s_addc_u32 s47, s45, 0
	s_andn2_b64 s[42:43], s[42:43], exec
	s_waitcnt vmcnt(0)
	v_cmp_ne_u16_e32 vcc, v27, v30
	s_and_b64 s[50:51], vcc, exec
	s_or_b64 s[42:43], s[42:43], s[50:51]
.LBB230_134:                            ;   in Loop: Header=BB230_135 Depth=1
	s_and_b64 s[50:51], exec, s[42:43]
	s_or_b64 s[38:39], s[50:51], s[38:39]
	v_pk_mov_b32 v[24:25], s[44:45], s[44:45] op_sel:[0,1]
	s_mov_b64 s[44:45], s[46:47]
	s_andn2_b64 exec, exec, s[38:39]
	s_cbranch_execz .LBB230_137
.LBB230_135:                            ; =>This Inner Loop Header: Depth=1
	s_or_b64 s[42:43], s[42:43], exec
	s_cmp_eq_u64 s[26:27], s[44:45]
	s_cbranch_scc0 .LBB230_133
; %bb.136:                              ;   in Loop: Header=BB230_135 Depth=1
                                        ; implicit-def: $sgpr46_sgpr47
	s_mov_b64 s[44:45], s[26:27]
	s_branch .LBB230_134
.LBB230_137:
	s_or_b64 exec, exec, s[38:39]
	v_cmp_gt_i64_e32 vcc, s[26:27], v[24:25]
	s_orn2_b64 s[38:39], vcc, exec
.LBB230_138:
	s_or_b64 exec, exec, s[40:41]
.LBB230_139:
	v_mul_lo_u32 v22, v15, s26
	v_mul_lo_u32 v23, v14, s27
	v_mad_u64_u32 v[18:19], s[40:41], v14, s26, 0
	s_and_b64 vcc, exec, s[4:5]
	v_add3_u32 v19, v19, v23, v22
	s_cbranch_vccnz .LBB230_148
; %bb.140:
	v_mov_b32_e32 v23, s17
	v_add_co_u32_e32 v22, vcc, s16, v18
	v_addc_co_u32_e32 v23, vcc, v23, v19, vcc
	v_mov_b32_e32 v24, s17
	v_add_co_u32_e32 v20, vcc, s16, v20
	v_addc_co_u32_e32 v21, vcc, v24, v21, vcc
	global_load_ubyte v24, v[22:23], off
	global_load_ubyte v25, v[20:21], off
	s_mov_b64 s[14:15], -1
	s_waitcnt vmcnt(0)
	v_cmp_eq_u16_e32 vcc, v24, v25
	s_and_saveexec_b64 s[40:41], vcc
	s_cbranch_execz .LBB230_147
; %bb.141:
	s_mov_b64 s[44:45], 1
	s_mov_b64 s[14:15], 0
                                        ; implicit-def: $sgpr42_sgpr43
	s_branch .LBB230_144
.LBB230_142:                            ;   in Loop: Header=BB230_144 Depth=1
	v_mov_b32_e32 v27, s45
	v_add_co_u32_e32 v24, vcc, s44, v22
	v_addc_co_u32_e32 v25, vcc, v23, v27, vcc
	v_add_co_u32_e32 v28, vcc, s44, v20
	v_addc_co_u32_e32 v29, vcc, v21, v27, vcc
	global_load_ubyte v27, v[24:25], off
	global_load_ubyte v30, v[28:29], off
	s_add_u32 s46, s44, 1
	s_addc_u32 s47, s45, 0
	s_andn2_b64 s[42:43], s[42:43], exec
	s_waitcnt vmcnt(0)
	v_cmp_ne_u16_e32 vcc, v27, v30
	s_and_b64 s[50:51], vcc, exec
	s_or_b64 s[42:43], s[42:43], s[50:51]
.LBB230_143:                            ;   in Loop: Header=BB230_144 Depth=1
	s_and_b64 s[50:51], exec, s[42:43]
	s_or_b64 s[14:15], s[50:51], s[14:15]
	v_pk_mov_b32 v[24:25], s[44:45], s[44:45] op_sel:[0,1]
	s_mov_b64 s[44:45], s[46:47]
	s_andn2_b64 exec, exec, s[14:15]
	s_cbranch_execz .LBB230_146
.LBB230_144:                            ; =>This Inner Loop Header: Depth=1
	s_or_b64 s[42:43], s[42:43], exec
	s_cmp_eq_u64 s[26:27], s[44:45]
	s_cbranch_scc0 .LBB230_142
; %bb.145:                              ;   in Loop: Header=BB230_144 Depth=1
                                        ; implicit-def: $sgpr46_sgpr47
	s_mov_b64 s[44:45], s[26:27]
	s_branch .LBB230_143
.LBB230_146:
	s_or_b64 exec, exec, s[14:15]
	v_cmp_gt_i64_e32 vcc, s[26:27], v[24:25]
	s_orn2_b64 s[14:15], vcc, exec
.LBB230_147:
	s_or_b64 exec, exec, s[40:41]
.LBB230_148:
	v_cndmask_b32_e64 v21, 0, 1, s[12:13]
	v_cndmask_b32_e64 v22, 0, 1, s[14:15]
	;; [unrolled: 1-line block ×3, first 2 shown]
	v_lshlrev_b16_e32 v22, 8, v22
	v_lshlrev_b16_e32 v21, 8, v21
	v_or_b32_e32 v22, 1, v22
	v_or_b32_sdwa v20, v20, v21 dst_sel:WORD_1 dst_unused:UNUSED_PAD src0_sel:DWORD src1_sel:DWORD
	v_or_b32_sdwa v28, v22, v20 dst_sel:DWORD dst_unused:UNUSED_PAD src0_sel:WORD_0 src1_sel:DWORD
	s_waitcnt lgkmcnt(0)
	s_barrier
	s_waitcnt lgkmcnt(0)
                                        ; implicit-def: $sgpr12_sgpr13
	s_and_saveexec_b64 s[14:15], s[2:3]
	s_xor_b64 s[14:15], exec, s[14:15]
	s_cbranch_execz .LBB230_159
; %bb.149:
	s_and_b64 vcc, exec, s[4:5]
	s_mov_b64 s[12:13], 0
	s_cbranch_vccnz .LBB230_158
; %bb.150:
	v_add_u32_e32 v20, -8, v26
	ds_read_b64 v[20:21], v20
	v_pk_mov_b32 v[22:23], s[16:17], s[16:17] op_sel:[0,1]
	v_add_co_u32_e32 v18, vcc, s16, v18
	s_mov_b64 s[12:13], -1
	s_waitcnt lgkmcnt(0)
	v_mul_lo_u32 v24, v20, s27
	v_mul_lo_u32 v25, v21, s26
	v_mad_u64_u32 v[20:21], s[4:5], v20, s26, v[22:23]
	v_mov_b32_e32 v22, s17
	v_addc_co_u32_e32 v19, vcc, v22, v19, vcc
	v_add3_u32 v21, v25, v21, v24
	global_load_ubyte v22, v[18:19], off
	global_load_ubyte v23, v[20:21], off
	s_waitcnt vmcnt(0)
	v_cmp_eq_u16_e32 vcc, v23, v22
	s_and_saveexec_b64 s[4:5], vcc
	s_cbranch_execz .LBB230_157
; %bb.151:
	s_mov_b64 s[40:41], 1
	s_mov_b64 s[12:13], 0
                                        ; implicit-def: $sgpr38_sgpr39
	s_branch .LBB230_154
.LBB230_152:                            ;   in Loop: Header=BB230_154 Depth=1
	v_mov_b32_e32 v25, s41
	v_add_co_u32_e32 v22, vcc, s40, v20
	v_addc_co_u32_e32 v23, vcc, v21, v25, vcc
	v_add_co_u32_e32 v24, vcc, s40, v18
	v_addc_co_u32_e32 v25, vcc, v19, v25, vcc
	global_load_ubyte v27, v[22:23], off
	global_load_ubyte v29, v[24:25], off
	s_add_u32 s42, s40, 1
	s_addc_u32 s43, s41, 0
	s_andn2_b64 s[38:39], s[38:39], exec
	s_waitcnt vmcnt(0)
	v_cmp_ne_u16_e32 vcc, v27, v29
	s_and_b64 s[44:45], vcc, exec
	s_or_b64 s[38:39], s[38:39], s[44:45]
.LBB230_153:                            ;   in Loop: Header=BB230_154 Depth=1
	s_and_b64 s[44:45], exec, s[38:39]
	s_or_b64 s[12:13], s[44:45], s[12:13]
	v_pk_mov_b32 v[22:23], s[40:41], s[40:41] op_sel:[0,1]
	s_mov_b64 s[40:41], s[42:43]
	s_andn2_b64 exec, exec, s[12:13]
	s_cbranch_execz .LBB230_156
.LBB230_154:                            ; =>This Inner Loop Header: Depth=1
	s_or_b64 s[38:39], s[38:39], exec
	s_cmp_eq_u64 s[26:27], s[40:41]
	s_cbranch_scc0 .LBB230_152
; %bb.155:                              ;   in Loop: Header=BB230_154 Depth=1
                                        ; implicit-def: $sgpr42_sgpr43
	s_mov_b64 s[40:41], s[26:27]
	s_branch .LBB230_153
.LBB230_156:
	s_or_b64 exec, exec, s[12:13]
	v_cmp_gt_i64_e32 vcc, s[26:27], v[22:23]
	s_orn2_b64 s[12:13], vcc, exec
.LBB230_157:
	s_or_b64 exec, exec, s[4:5]
.LBB230_158:
	s_and_b64 s[12:13], s[12:13], exec
	s_or_b64 s[8:9], s[8:9], exec
.LBB230_159:
	s_or_b64 exec, exec, s[14:15]
	s_branch .LBB230_207
.LBB230_160:
	s_waitcnt vmcnt(0) lgkmcnt(1)
	v_or_b32_e32 v18, 3, v1
	v_cmp_gt_u32_e32 vcc, s48, v18
	s_mov_b64 s[12:13], 0
	s_mov_b64 s[4:5], 0
	s_and_saveexec_b64 s[14:15], vcc
	s_cbranch_execz .LBB230_171
; %bb.161:
	s_andn2_b64 vcc, exec, s[10:11]
	s_mov_b64 s[38:39], 0
	s_cbranch_vccnz .LBB230_170
; %bb.162:
	v_pk_mov_b32 v[20:21], s[16:17], s[16:17] op_sel:[0,1]
	v_mad_u64_u32 v[18:19], s[4:5], v10, s26, v[20:21]
	v_mul_lo_u32 v22, v10, s27
	v_mul_lo_u32 v23, v11, s26
	v_add3_u32 v19, v23, v19, v22
	v_mad_u64_u32 v[20:21], s[4:5], v12, s26, v[20:21]
	v_mul_lo_u32 v22, v12, s27
	v_mul_lo_u32 v23, v13, s26
	v_add3_u32 v21, v23, v21, v22
	global_load_ubyte v22, v[18:19], off
	global_load_ubyte v23, v[20:21], off
	s_mov_b64 s[38:39], -1
	s_waitcnt vmcnt(0)
	v_cmp_eq_u16_e32 vcc, v22, v23
	s_and_saveexec_b64 s[4:5], vcc
	s_cbranch_execz .LBB230_169
; %bb.163:
	s_mov_b64 s[42:43], 1
	s_mov_b64 s[38:39], 0
                                        ; implicit-def: $sgpr40_sgpr41
	s_branch .LBB230_166
.LBB230_164:                            ;   in Loop: Header=BB230_166 Depth=1
	v_mov_b32_e32 v25, s43
	v_add_co_u32_e32 v22, vcc, s42, v18
	v_addc_co_u32_e32 v23, vcc, v19, v25, vcc
	v_add_co_u32_e32 v24, vcc, s42, v20
	v_addc_co_u32_e32 v25, vcc, v21, v25, vcc
	global_load_ubyte v27, v[22:23], off
	global_load_ubyte v28, v[24:25], off
	s_add_u32 s44, s42, 1
	s_addc_u32 s45, s43, 0
	s_andn2_b64 s[40:41], s[40:41], exec
	s_waitcnt vmcnt(0)
	v_cmp_ne_u16_e32 vcc, v27, v28
	s_and_b64 s[46:47], vcc, exec
	s_or_b64 s[40:41], s[40:41], s[46:47]
.LBB230_165:                            ;   in Loop: Header=BB230_166 Depth=1
	s_and_b64 s[46:47], exec, s[40:41]
	s_or_b64 s[38:39], s[46:47], s[38:39]
	v_pk_mov_b32 v[22:23], s[42:43], s[42:43] op_sel:[0,1]
	s_mov_b64 s[42:43], s[44:45]
	s_andn2_b64 exec, exec, s[38:39]
	s_cbranch_execz .LBB230_168
.LBB230_166:                            ; =>This Inner Loop Header: Depth=1
	s_or_b64 s[40:41], s[40:41], exec
	s_cmp_eq_u64 s[26:27], s[42:43]
	s_cbranch_scc0 .LBB230_164
; %bb.167:                              ;   in Loop: Header=BB230_166 Depth=1
                                        ; implicit-def: $sgpr44_sgpr45
	s_mov_b64 s[42:43], s[26:27]
	s_branch .LBB230_165
.LBB230_168:
	s_or_b64 exec, exec, s[38:39]
	v_cmp_gt_i64_e32 vcc, s[26:27], v[22:23]
	s_orn2_b64 s[38:39], vcc, exec
.LBB230_169:
	s_or_b64 exec, exec, s[4:5]
.LBB230_170:
	s_and_b64 s[4:5], s[38:39], exec
.LBB230_171:
	s_or_b64 exec, exec, s[14:15]
	v_or_b32_e32 v18, 2, v1
	v_cmp_gt_u32_e32 vcc, s48, v18
	s_and_saveexec_b64 s[14:15], vcc
	s_cbranch_execz .LBB230_182
; %bb.172:
	s_andn2_b64 vcc, exec, s[10:11]
	s_mov_b64 s[38:39], 0
	s_cbranch_vccnz .LBB230_181
; %bb.173:
	v_pk_mov_b32 v[20:21], s[16:17], s[16:17] op_sel:[0,1]
	v_mad_u64_u32 v[18:19], s[12:13], v16, s26, v[20:21]
	v_mul_lo_u32 v22, v16, s27
	v_mul_lo_u32 v23, v17, s26
	v_add3_u32 v19, v23, v19, v22
	v_mad_u64_u32 v[20:21], s[12:13], v10, s26, v[20:21]
	v_mul_lo_u32 v22, v10, s27
	v_mul_lo_u32 v23, v11, s26
	v_add3_u32 v21, v23, v21, v22
	global_load_ubyte v22, v[18:19], off
	global_load_ubyte v23, v[20:21], off
	s_mov_b64 s[38:39], -1
	s_waitcnt vmcnt(0)
	v_cmp_eq_u16_e32 vcc, v22, v23
	s_and_saveexec_b64 s[12:13], vcc
	s_cbranch_execz .LBB230_180
; %bb.174:
	s_mov_b64 s[42:43], 1
	s_mov_b64 s[38:39], 0
                                        ; implicit-def: $sgpr40_sgpr41
	s_branch .LBB230_177
.LBB230_175:                            ;   in Loop: Header=BB230_177 Depth=1
	v_mov_b32_e32 v25, s43
	v_add_co_u32_e32 v22, vcc, s42, v18
	v_addc_co_u32_e32 v23, vcc, v19, v25, vcc
	v_add_co_u32_e32 v24, vcc, s42, v20
	v_addc_co_u32_e32 v25, vcc, v21, v25, vcc
	global_load_ubyte v27, v[22:23], off
	global_load_ubyte v28, v[24:25], off
	s_add_u32 s44, s42, 1
	s_addc_u32 s45, s43, 0
	s_andn2_b64 s[40:41], s[40:41], exec
	s_waitcnt vmcnt(0)
	v_cmp_ne_u16_e32 vcc, v27, v28
	s_and_b64 s[46:47], vcc, exec
	s_or_b64 s[40:41], s[40:41], s[46:47]
.LBB230_176:                            ;   in Loop: Header=BB230_177 Depth=1
	s_and_b64 s[46:47], exec, s[40:41]
	s_or_b64 s[38:39], s[46:47], s[38:39]
	v_pk_mov_b32 v[22:23], s[42:43], s[42:43] op_sel:[0,1]
	s_mov_b64 s[42:43], s[44:45]
	s_andn2_b64 exec, exec, s[38:39]
	s_cbranch_execz .LBB230_179
.LBB230_177:                            ; =>This Inner Loop Header: Depth=1
	s_or_b64 s[40:41], s[40:41], exec
	s_cmp_eq_u64 s[26:27], s[42:43]
	s_cbranch_scc0 .LBB230_175
; %bb.178:                              ;   in Loop: Header=BB230_177 Depth=1
                                        ; implicit-def: $sgpr44_sgpr45
	s_mov_b64 s[42:43], s[26:27]
	s_branch .LBB230_176
.LBB230_179:
	s_or_b64 exec, exec, s[38:39]
	v_cmp_gt_i64_e32 vcc, s[26:27], v[22:23]
	s_orn2_b64 s[38:39], vcc, exec
.LBB230_180:
	s_or_b64 exec, exec, s[12:13]
.LBB230_181:
	s_and_b64 s[12:13], s[38:39], exec
.LBB230_182:
	s_or_b64 exec, exec, s[14:15]
	v_or_b32_e32 v18, 1, v1
	v_cmp_gt_u32_e32 vcc, s48, v18
	s_mov_b64 s[38:39], 0
	s_and_saveexec_b64 s[14:15], vcc
	s_cbranch_execz .LBB230_193
; %bb.183:
	s_andn2_b64 vcc, exec, s[10:11]
	s_mov_b64 s[40:41], 0
	s_cbranch_vccnz .LBB230_192
; %bb.184:
	v_pk_mov_b32 v[20:21], s[16:17], s[16:17] op_sel:[0,1]
	v_mad_u64_u32 v[18:19], s[38:39], v14, s26, v[20:21]
	v_mul_lo_u32 v22, v14, s27
	v_mul_lo_u32 v23, v15, s26
	v_add3_u32 v19, v23, v19, v22
	v_mad_u64_u32 v[20:21], s[38:39], v16, s26, v[20:21]
	v_mul_lo_u32 v22, v16, s27
	v_mul_lo_u32 v23, v17, s26
	v_add3_u32 v21, v23, v21, v22
	global_load_ubyte v22, v[18:19], off
	global_load_ubyte v23, v[20:21], off
	s_mov_b64 s[40:41], -1
	s_waitcnt vmcnt(0)
	v_cmp_eq_u16_e32 vcc, v22, v23
	s_and_saveexec_b64 s[38:39], vcc
	s_cbranch_execz .LBB230_191
; %bb.185:
	s_mov_b64 s[44:45], 1
	s_mov_b64 s[40:41], 0
                                        ; implicit-def: $sgpr42_sgpr43
	s_branch .LBB230_188
.LBB230_186:                            ;   in Loop: Header=BB230_188 Depth=1
	v_mov_b32_e32 v25, s45
	v_add_co_u32_e32 v22, vcc, s44, v18
	v_addc_co_u32_e32 v23, vcc, v19, v25, vcc
	v_add_co_u32_e32 v24, vcc, s44, v20
	v_addc_co_u32_e32 v25, vcc, v21, v25, vcc
	global_load_ubyte v27, v[22:23], off
	global_load_ubyte v28, v[24:25], off
	s_add_u32 s46, s44, 1
	s_addc_u32 s47, s45, 0
	s_andn2_b64 s[42:43], s[42:43], exec
	s_waitcnt vmcnt(0)
	v_cmp_ne_u16_e32 vcc, v27, v28
	s_and_b64 s[50:51], vcc, exec
	s_or_b64 s[42:43], s[42:43], s[50:51]
.LBB230_187:                            ;   in Loop: Header=BB230_188 Depth=1
	s_and_b64 s[50:51], exec, s[42:43]
	s_or_b64 s[40:41], s[50:51], s[40:41]
	v_pk_mov_b32 v[22:23], s[44:45], s[44:45] op_sel:[0,1]
	s_mov_b64 s[44:45], s[46:47]
	s_andn2_b64 exec, exec, s[40:41]
	s_cbranch_execz .LBB230_190
.LBB230_188:                            ; =>This Inner Loop Header: Depth=1
	s_or_b64 s[42:43], s[42:43], exec
	s_cmp_eq_u64 s[26:27], s[44:45]
	s_cbranch_scc0 .LBB230_186
; %bb.189:                              ;   in Loop: Header=BB230_188 Depth=1
                                        ; implicit-def: $sgpr46_sgpr47
	s_mov_b64 s[44:45], s[26:27]
	s_branch .LBB230_187
.LBB230_190:
	s_or_b64 exec, exec, s[40:41]
	v_cmp_gt_i64_e32 vcc, s[26:27], v[22:23]
	s_orn2_b64 s[40:41], vcc, exec
.LBB230_191:
	s_or_b64 exec, exec, s[38:39]
.LBB230_192:
	s_and_b64 s[38:39], s[40:41], exec
.LBB230_193:
	s_or_b64 exec, exec, s[14:15]
	v_cndmask_b32_e64 v19, 0, 1, s[4:5]
	v_cndmask_b32_e64 v20, 0, 1, s[38:39]
	;; [unrolled: 1-line block ×3, first 2 shown]
	v_lshlrev_b16_e32 v20, 8, v20
	v_lshlrev_b16_e32 v19, 8, v19
	v_or_b32_e32 v20, 1, v20
	v_or_b32_sdwa v18, v18, v19 dst_sel:WORD_1 dst_unused:UNUSED_PAD src0_sel:DWORD src1_sel:DWORD
	v_or_b32_sdwa v28, v20, v18 dst_sel:DWORD dst_unused:UNUSED_PAD src0_sel:WORD_0 src1_sel:DWORD
	s_waitcnt lgkmcnt(0)
	s_barrier
	s_waitcnt lgkmcnt(0)
                                        ; implicit-def: $sgpr12_sgpr13
	s_and_saveexec_b64 s[4:5], s[2:3]
	s_cbranch_execz .LBB230_206
; %bb.194:
	v_cmp_gt_u32_e32 vcc, s48, v1
	s_mov_b64 s[12:13], 0
	s_and_saveexec_b64 s[2:3], vcc
	s_cbranch_execz .LBB230_205
; %bb.195:
	s_andn2_b64 vcc, exec, s[10:11]
	s_cbranch_vccnz .LBB230_204
; %bb.196:
	v_add_u32_e32 v18, -8, v26
	ds_read_b64 v[18:19], v18
	v_pk_mov_b32 v[20:21], s[16:17], s[16:17] op_sel:[0,1]
	s_mov_b64 s[12:13], -1
	s_waitcnt lgkmcnt(0)
	v_mul_lo_u32 v22, v18, s27
	v_mul_lo_u32 v23, v19, s26
	v_mad_u64_u32 v[18:19], s[10:11], v18, s26, v[20:21]
	v_add3_u32 v19, v23, v19, v22
	v_mad_u64_u32 v[20:21], s[10:11], v14, s26, v[20:21]
	v_mul_lo_u32 v22, v14, s27
	v_mul_lo_u32 v23, v15, s26
	v_add3_u32 v21, v23, v21, v22
	global_load_ubyte v22, v[18:19], off
	global_load_ubyte v23, v[20:21], off
	s_waitcnt vmcnt(0)
	v_cmp_eq_u16_e32 vcc, v22, v23
	s_and_saveexec_b64 s[10:11], vcc
	s_cbranch_execz .LBB230_203
; %bb.197:
	s_mov_b64 s[16:17], 1
	s_mov_b64 s[12:13], 0
                                        ; implicit-def: $sgpr14_sgpr15
	s_branch .LBB230_200
.LBB230_198:                            ;   in Loop: Header=BB230_200 Depth=1
	v_mov_b32_e32 v25, s17
	v_add_co_u32_e32 v22, vcc, s16, v18
	v_addc_co_u32_e32 v23, vcc, v19, v25, vcc
	v_add_co_u32_e32 v24, vcc, s16, v20
	v_addc_co_u32_e32 v25, vcc, v21, v25, vcc
	global_load_ubyte v26, v[22:23], off
	global_load_ubyte v27, v[24:25], off
	s_add_u32 s38, s16, 1
	s_addc_u32 s39, s17, 0
	s_andn2_b64 s[14:15], s[14:15], exec
	s_waitcnt vmcnt(0)
	v_cmp_ne_u16_e32 vcc, v26, v27
	s_and_b64 s[40:41], vcc, exec
	s_or_b64 s[14:15], s[14:15], s[40:41]
.LBB230_199:                            ;   in Loop: Header=BB230_200 Depth=1
	s_and_b64 s[40:41], exec, s[14:15]
	s_or_b64 s[12:13], s[40:41], s[12:13]
	v_pk_mov_b32 v[22:23], s[16:17], s[16:17] op_sel:[0,1]
	s_mov_b64 s[16:17], s[38:39]
	s_andn2_b64 exec, exec, s[12:13]
	s_cbranch_execz .LBB230_202
.LBB230_200:                            ; =>This Inner Loop Header: Depth=1
	s_or_b64 s[14:15], s[14:15], exec
	s_cmp_eq_u64 s[26:27], s[16:17]
	s_cbranch_scc0 .LBB230_198
; %bb.201:                              ;   in Loop: Header=BB230_200 Depth=1
                                        ; implicit-def: $sgpr38_sgpr39
	s_mov_b64 s[16:17], s[26:27]
	s_branch .LBB230_199
.LBB230_202:
	s_or_b64 exec, exec, s[12:13]
	v_cmp_gt_i64_e32 vcc, s[26:27], v[22:23]
	s_orn2_b64 s[12:13], vcc, exec
.LBB230_203:
	s_or_b64 exec, exec, s[10:11]
.LBB230_204:
	s_and_b64 s[12:13], s[12:13], exec
.LBB230_205:
	s_or_b64 exec, exec, s[2:3]
	s_and_b64 s[12:13], s[12:13], exec
	s_or_b64 s[8:9], s[8:9], exec
.LBB230_206:
	s_or_b64 exec, exec, s[4:5]
.LBB230_207:
	s_and_saveexec_b64 s[2:3], s[8:9]
	s_cbranch_execz .LBB230_209
; %bb.208:
	s_waitcnt vmcnt(0) lgkmcnt(0)
	v_and_b32_e32 v18, 0xffffff00, v28
	v_cndmask_b32_e64 v19, 0, 1, s[12:13]
	v_or_b32_e32 v18, v19, v18
	v_and_b32_e32 v18, 0xffff, v18
	s_mov_b32 s4, 0xffff0000
	v_and_or_b32 v28, v28, s4, v18
.LBB230_209:
	s_or_b64 exec, exec, s[2:3]
	s_andn2_b64 vcc, exec, s[6:7]
	s_cbranch_vccnz .LBB230_211
; %bb.210:
	v_cmp_gt_u32_e32 vcc, s48, v1
	s_waitcnt vmcnt(0) lgkmcnt(0)
	v_cndmask_b32_e32 v18, 0, v28, vcc
	v_or_b32_e32 v19, 1, v1
	v_and_b32_e32 v18, 0xff, v18
	v_cmp_gt_u32_e32 vcc, s48, v19
	v_cndmask_b32_e32 v18, v18, v28, vcc
	v_or_b32_e32 v19, 2, v1
	v_and_b32_e32 v18, 0xffff, v18
	v_cmp_gt_u32_e32 vcc, s48, v19
	;; [unrolled: 4-line block ×3, first 2 shown]
	v_cndmask_b32_e32 v28, v18, v28, vcc
.LBB230_211:
	v_bfe_u32 v30, v28, 16, 8
	v_lshrrev_b32_e32 v29, 24, v28
	s_waitcnt vmcnt(0) lgkmcnt(0)
	v_add_u32_sdwa v18, v28, v28 dst_sel:DWORD dst_unused:UNUSED_PAD src0_sel:BYTE_1 src1_sel:BYTE_0
	v_add3_u32 v33, v18, v30, v29
	v_mbcnt_lo_u32_b32 v18, -1, 0
	v_mbcnt_hi_u32_b32 v31, -1, v18
	v_and_b32_e32 v18, 15, v31
	v_cmp_eq_u32_e64 s[14:15], 0, v18
	v_cmp_lt_u32_e64 s[12:13], 1, v18
	v_cmp_lt_u32_e64 s[10:11], 3, v18
	v_cmp_lt_u32_e64 s[8:9], 7, v18
	v_and_b32_e32 v18, 16, v31
	v_cmp_eq_u32_e64 s[6:7], 0, v18
	v_or_b32_e32 v18, 63, v0
	v_cmp_lt_u32_e64 s[2:3], 31, v31
	v_lshrrev_b32_e32 v32, 6, v0
	v_cmp_eq_u32_e64 s[4:5], v18, v0
	s_and_b64 vcc, exec, s[36:37]
	s_barrier
	s_cbranch_vccz .LBB230_238
; %bb.212:
	v_mov_b32_dpp v18, v33 row_shr:1 row_mask:0xf bank_mask:0xf
	v_cndmask_b32_e64 v18, v18, 0, s[14:15]
	v_add_u32_e32 v18, v18, v33
	s_nop 1
	v_mov_b32_dpp v19, v18 row_shr:2 row_mask:0xf bank_mask:0xf
	v_cndmask_b32_e64 v19, 0, v19, s[12:13]
	v_add_u32_e32 v18, v18, v19
	s_nop 1
	;; [unrolled: 4-line block ×4, first 2 shown]
	v_mov_b32_dpp v19, v18 row_bcast:15 row_mask:0xf bank_mask:0xf
	v_cndmask_b32_e64 v19, v19, 0, s[6:7]
	v_add_u32_e32 v18, v18, v19
	s_nop 1
	v_mov_b32_dpp v19, v18 row_bcast:31 row_mask:0xf bank_mask:0xf
	v_cndmask_b32_e64 v19, 0, v19, s[2:3]
	v_add_u32_e32 v18, v18, v19
	s_and_saveexec_b64 s[16:17], s[4:5]
	s_cbranch_execz .LBB230_214
; %bb.213:
	v_lshlrev_b32_e32 v19, 2, v32
	ds_write_b32 v19, v18
.LBB230_214:
	s_or_b64 exec, exec, s[16:17]
	v_cmp_gt_u32_e32 vcc, 2, v0
	s_waitcnt lgkmcnt(0)
	s_barrier
	s_and_saveexec_b64 s[16:17], vcc
	s_cbranch_execz .LBB230_216
; %bb.215:
	ds_read_b32 v19, v1
	v_bfe_i32 v20, v31, 0, 1
	s_waitcnt lgkmcnt(0)
	v_mov_b32_dpp v21, v19 row_shr:1 row_mask:0xf bank_mask:0xf
	v_and_b32_e32 v20, v20, v21
	v_add_u32_e32 v19, v20, v19
	ds_write_b32 v1, v19
.LBB230_216:
	s_or_b64 exec, exec, s[16:17]
	v_cmp_gt_u32_e32 vcc, 64, v0
	v_cmp_lt_u32_e64 s[16:17], 63, v0
	s_waitcnt lgkmcnt(0)
	s_barrier
	s_waitcnt lgkmcnt(0)
                                        ; implicit-def: $vgpr34
	s_and_saveexec_b64 s[26:27], s[16:17]
	s_cbranch_execz .LBB230_218
; %bb.217:
	v_lshl_add_u32 v19, v32, 2, -4
	ds_read_b32 v34, v19
	s_waitcnt lgkmcnt(0)
	v_add_u32_e32 v18, v34, v18
.LBB230_218:
	s_or_b64 exec, exec, s[26:27]
	v_add_u32_e32 v19, -1, v31
	v_and_b32_e32 v20, 64, v31
	v_cmp_lt_i32_e64 s[16:17], v19, v20
	v_cndmask_b32_e64 v19, v19, v31, s[16:17]
	v_lshlrev_b32_e32 v19, 2, v19
	ds_bpermute_b32 v35, v19, v18
	v_cmp_eq_u32_e64 s[16:17], 0, v31
	s_and_saveexec_b64 s[26:27], vcc
	s_cbranch_execz .LBB230_237
; %bb.219:
	v_mov_b32_e32 v25, 0
	ds_read_b32 v18, v25 offset:4
	s_and_saveexec_b64 s[36:37], s[16:17]
	s_cbranch_execz .LBB230_221
; %bb.220:
	s_add_i32 s38, s33, 64
	s_mov_b32 s39, 0
	s_lshl_b64 s[38:39], s[38:39], 3
	s_add_u32 s38, s18, s38
	v_mov_b32_e32 v19, 1
	s_addc_u32 s39, s19, s39
	s_waitcnt lgkmcnt(0)
	global_store_dwordx2 v25, v[18:19], s[38:39]
.LBB230_221:
	s_or_b64 exec, exec, s[36:37]
	v_xad_u32 v20, v31, -1, s33
	v_add_u32_e32 v24, 64, v20
	v_lshlrev_b64 v[22:23], 3, v[24:25]
	v_mov_b32_e32 v19, s19
	v_add_co_u32_e32 v26, vcc, s18, v22
	v_addc_co_u32_e32 v27, vcc, v19, v23, vcc
	global_load_dwordx2 v[22:23], v[26:27], off glc
	s_waitcnt vmcnt(0)
	v_cmp_eq_u16_sdwa s[38:39], v23, v25 src0_sel:BYTE_0 src1_sel:DWORD
	s_and_saveexec_b64 s[36:37], s[38:39]
	s_cbranch_execz .LBB230_225
; %bb.222:
	s_mov_b64 s[38:39], 0
	v_mov_b32_e32 v19, 0
.LBB230_223:                            ; =>This Inner Loop Header: Depth=1
	global_load_dwordx2 v[22:23], v[26:27], off glc
	s_waitcnt vmcnt(0)
	v_cmp_ne_u16_sdwa s[40:41], v23, v19 src0_sel:BYTE_0 src1_sel:DWORD
	s_or_b64 s[38:39], s[40:41], s[38:39]
	s_andn2_b64 exec, exec, s[38:39]
	s_cbranch_execnz .LBB230_223
; %bb.224:
	s_or_b64 exec, exec, s[38:39]
.LBB230_225:
	s_or_b64 exec, exec, s[36:37]
	v_and_b32_e32 v36, 63, v31
	v_mov_b32_e32 v19, 2
	v_cmp_ne_u32_e32 vcc, 63, v36
	v_cmp_eq_u16_sdwa s[36:37], v23, v19 src0_sel:BYTE_0 src1_sel:DWORD
	v_lshlrev_b64 v[24:25], v31, -1
	v_addc_co_u32_e32 v27, vcc, 0, v31, vcc
	v_and_b32_e32 v21, s37, v25
	v_lshlrev_b32_e32 v37, 2, v27
	v_or_b32_e32 v21, 0x80000000, v21
	ds_bpermute_b32 v27, v37, v22
	v_and_b32_e32 v26, s36, v24
	v_ffbl_b32_e32 v21, v21
	v_add_u32_e32 v21, 32, v21
	v_ffbl_b32_e32 v26, v26
	v_min_u32_e32 v21, v26, v21
	v_cmp_lt_u32_e32 vcc, v36, v21
	s_waitcnt lgkmcnt(0)
	v_cndmask_b32_e32 v26, 0, v27, vcc
	v_cmp_gt_u32_e32 vcc, 62, v36
	v_add_u32_e32 v22, v26, v22
	v_cndmask_b32_e64 v26, 0, 1, vcc
	v_lshlrev_b32_e32 v26, 1, v26
	v_add_lshl_u32 v38, v26, v31, 2
	ds_bpermute_b32 v26, v38, v22
	v_add_u32_e32 v39, 2, v36
	v_cmp_le_u32_e32 vcc, v39, v21
	v_add_u32_e32 v41, 4, v36
	v_add_u32_e32 v43, 8, v36
	s_waitcnt lgkmcnt(0)
	v_cndmask_b32_e32 v26, 0, v26, vcc
	v_cmp_gt_u32_e32 vcc, 60, v36
	v_add_u32_e32 v22, v22, v26
	v_cndmask_b32_e64 v26, 0, 1, vcc
	v_lshlrev_b32_e32 v26, 2, v26
	v_add_lshl_u32 v40, v26, v31, 2
	ds_bpermute_b32 v26, v40, v22
	v_cmp_le_u32_e32 vcc, v41, v21
	v_add_u32_e32 v46, 16, v36
	v_add_u32_e32 v48, 32, v36
	s_waitcnt lgkmcnt(0)
	v_cndmask_b32_e32 v26, 0, v26, vcc
	v_cmp_gt_u32_e32 vcc, 56, v36
	v_add_u32_e32 v22, v22, v26
	v_cndmask_b32_e64 v26, 0, 1, vcc
	v_lshlrev_b32_e32 v26, 3, v26
	v_add_lshl_u32 v42, v26, v31, 2
	ds_bpermute_b32 v26, v42, v22
	v_cmp_le_u32_e32 vcc, v43, v21
	s_waitcnt lgkmcnt(0)
	v_cndmask_b32_e32 v26, 0, v26, vcc
	v_cmp_gt_u32_e32 vcc, 48, v36
	v_add_u32_e32 v22, v22, v26
	v_cndmask_b32_e64 v26, 0, 1, vcc
	v_lshlrev_b32_e32 v26, 4, v26
	v_add_lshl_u32 v45, v26, v31, 2
	ds_bpermute_b32 v26, v45, v22
	v_cmp_le_u32_e32 vcc, v46, v21
	s_waitcnt lgkmcnt(0)
	v_cndmask_b32_e32 v26, 0, v26, vcc
	v_cmp_gt_u32_e32 vcc, 32, v36
	v_add_u32_e32 v22, v22, v26
	v_cndmask_b32_e64 v26, 0, 1, vcc
	v_lshlrev_b32_e32 v26, 5, v26
	v_add_lshl_u32 v47, v26, v31, 2
	ds_bpermute_b32 v26, v47, v22
	v_cmp_le_u32_e32 vcc, v48, v21
	s_waitcnt lgkmcnt(0)
	v_cndmask_b32_e32 v21, 0, v26, vcc
	v_add_u32_e32 v22, v22, v21
	v_mov_b32_e32 v21, 0
	s_branch .LBB230_227
.LBB230_226:                            ;   in Loop: Header=BB230_227 Depth=1
	s_or_b64 exec, exec, s[36:37]
	v_cmp_eq_u16_sdwa s[36:37], v23, v19 src0_sel:BYTE_0 src1_sel:DWORD
	v_and_b32_e32 v26, s37, v25
	v_or_b32_e32 v26, 0x80000000, v26
	ds_bpermute_b32 v49, v37, v22
	v_and_b32_e32 v27, s36, v24
	v_ffbl_b32_e32 v26, v26
	v_add_u32_e32 v26, 32, v26
	v_ffbl_b32_e32 v27, v27
	v_min_u32_e32 v26, v27, v26
	v_cmp_lt_u32_e32 vcc, v36, v26
	s_waitcnt lgkmcnt(0)
	v_cndmask_b32_e32 v27, 0, v49, vcc
	v_add_u32_e32 v22, v27, v22
	ds_bpermute_b32 v27, v38, v22
	v_cmp_le_u32_e32 vcc, v39, v26
	v_subrev_u32_e32 v20, 64, v20
	s_waitcnt lgkmcnt(0)
	v_cndmask_b32_e32 v27, 0, v27, vcc
	v_add_u32_e32 v22, v22, v27
	ds_bpermute_b32 v27, v40, v22
	v_cmp_le_u32_e32 vcc, v41, v26
	s_waitcnt lgkmcnt(0)
	v_cndmask_b32_e32 v27, 0, v27, vcc
	v_add_u32_e32 v22, v22, v27
	ds_bpermute_b32 v27, v42, v22
	v_cmp_le_u32_e32 vcc, v43, v26
	;; [unrolled: 5-line block ×4, first 2 shown]
	s_waitcnt lgkmcnt(0)
	v_cndmask_b32_e32 v26, 0, v27, vcc
	v_add3_u32 v22, v26, v44, v22
.LBB230_227:                            ; =>This Loop Header: Depth=1
                                        ;     Child Loop BB230_230 Depth 2
	v_cmp_ne_u16_sdwa s[36:37], v23, v19 src0_sel:BYTE_0 src1_sel:DWORD
	v_cndmask_b32_e64 v23, 0, 1, s[36:37]
	;;#ASMSTART
	;;#ASMEND
	v_cmp_ne_u32_e32 vcc, 0, v23
	s_cmp_lg_u64 vcc, exec
	v_mov_b32_e32 v44, v22
	s_cbranch_scc1 .LBB230_232
; %bb.228:                              ;   in Loop: Header=BB230_227 Depth=1
	v_lshlrev_b64 v[22:23], 3, v[20:21]
	v_mov_b32_e32 v27, s19
	v_add_co_u32_e32 v26, vcc, s18, v22
	v_addc_co_u32_e32 v27, vcc, v27, v23, vcc
	global_load_dwordx2 v[22:23], v[26:27], off glc
	s_waitcnt vmcnt(0)
	v_cmp_eq_u16_sdwa s[38:39], v23, v21 src0_sel:BYTE_0 src1_sel:DWORD
	s_and_saveexec_b64 s[36:37], s[38:39]
	s_cbranch_execz .LBB230_226
; %bb.229:                              ;   in Loop: Header=BB230_227 Depth=1
	s_mov_b64 s[38:39], 0
.LBB230_230:                            ;   Parent Loop BB230_227 Depth=1
                                        ; =>  This Inner Loop Header: Depth=2
	global_load_dwordx2 v[22:23], v[26:27], off glc
	s_waitcnt vmcnt(0)
	v_cmp_ne_u16_sdwa s[40:41], v23, v21 src0_sel:BYTE_0 src1_sel:DWORD
	s_or_b64 s[38:39], s[40:41], s[38:39]
	s_andn2_b64 exec, exec, s[38:39]
	s_cbranch_execnz .LBB230_230
; %bb.231:                              ;   in Loop: Header=BB230_227 Depth=1
	s_or_b64 exec, exec, s[38:39]
	s_branch .LBB230_226
.LBB230_232:                            ;   in Loop: Header=BB230_227 Depth=1
                                        ; implicit-def: $vgpr22
                                        ; implicit-def: $vgpr23
	s_cbranch_execz .LBB230_227
; %bb.233:
	s_and_saveexec_b64 s[36:37], s[16:17]
	s_cbranch_execz .LBB230_235
; %bb.234:
	s_add_i32 s38, s33, 64
	s_mov_b32 s39, 0
	s_lshl_b64 s[38:39], s[38:39], 3
	s_add_u32 s38, s18, s38
	v_add_u32_e32 v20, v44, v18
	v_mov_b32_e32 v21, 2
	s_addc_u32 s39, s19, s39
	v_mov_b32_e32 v19, 0
	s_movk_i32 s33, 0x1000
	global_store_dwordx2 v19, v[20:21], s[38:39]
	v_add_u32_e64 v19, s33, 0
	ds_write2_b32 v19, v18, v44 offset0:32 offset1:34
.LBB230_235:
	s_or_b64 exec, exec, s[36:37]
	s_and_b64 exec, exec, s[0:1]
	s_cbranch_execz .LBB230_237
; %bb.236:
	v_mov_b32_e32 v18, 0
	ds_write_b32 v18, v44 offset:4
.LBB230_237:
	s_or_b64 exec, exec, s[26:27]
	v_mov_b32_e32 v19, 0
	s_waitcnt lgkmcnt(0)
	s_barrier
	ds_read_b32 v19, v19 offset:4
	v_cndmask_b32_e64 v18, v35, v34, s[16:17]
	s_movk_i32 s16, 0x1000
	v_add_u32_e64 v20, s16, 0
	s_waitcnt lgkmcnt(0)
	s_barrier
	ds_read2_b32 v[26:27], v20 offset0:32 offset1:34
	v_cndmask_b32_e64 v18, v18, 0, s[0:1]
	v_add_u32_e32 v24, v19, v18
	v_add_u32_sdwa v22, v24, v28 dst_sel:DWORD dst_unused:UNUSED_PAD src0_sel:DWORD src1_sel:BYTE_0
	v_add_u32_sdwa v20, v22, v28 dst_sel:DWORD dst_unused:UNUSED_PAD src0_sel:DWORD src1_sel:BYTE_1
	v_add_u32_e32 v18, v20, v30
	s_waitcnt lgkmcnt(0)
	v_readfirstlane_b32 s33, v26
	v_readfirstlane_b32 s16, v27
	s_branch .LBB230_248
.LBB230_238:
                                        ; implicit-def: $vgpr18
                                        ; implicit-def: $vgpr20
                                        ; implicit-def: $vgpr22
                                        ; implicit-def: $vgpr24
                                        ; implicit-def: $sgpr16
                                        ; implicit-def: $sgpr33
	s_cbranch_execz .LBB230_248
; %bb.239:
	s_nop 0
	v_mov_b32_dpp v18, v33 row_shr:1 row_mask:0xf bank_mask:0xf
	v_cndmask_b32_e64 v18, v18, 0, s[14:15]
	v_add_u32_e32 v18, v18, v33
	s_nop 1
	v_mov_b32_dpp v19, v18 row_shr:2 row_mask:0xf bank_mask:0xf
	v_cndmask_b32_e64 v19, 0, v19, s[12:13]
	v_add_u32_e32 v18, v18, v19
	s_nop 1
	v_mov_b32_dpp v19, v18 row_shr:4 row_mask:0xf bank_mask:0xf
	v_cndmask_b32_e64 v19, 0, v19, s[10:11]
	v_add_u32_e32 v18, v18, v19
	s_nop 1
	v_mov_b32_dpp v19, v18 row_shr:8 row_mask:0xf bank_mask:0xf
	v_cndmask_b32_e64 v19, 0, v19, s[8:9]
	v_add_u32_e32 v18, v18, v19
	s_nop 1
	v_mov_b32_dpp v19, v18 row_bcast:15 row_mask:0xf bank_mask:0xf
	v_cndmask_b32_e64 v19, v19, 0, s[6:7]
	v_add_u32_e32 v18, v18, v19
	s_nop 1
	v_mov_b32_dpp v19, v18 row_bcast:31 row_mask:0xf bank_mask:0xf
	v_cndmask_b32_e64 v19, 0, v19, s[2:3]
	v_add_u32_e32 v18, v18, v19
	s_and_saveexec_b64 s[2:3], s[4:5]
	s_cbranch_execz .LBB230_241
; %bb.240:
	v_lshlrev_b32_e32 v19, 2, v32
	ds_write_b32 v19, v18
.LBB230_241:
	s_or_b64 exec, exec, s[2:3]
	v_cmp_gt_u32_e32 vcc, 2, v0
	s_waitcnt lgkmcnt(0)
	s_barrier
	s_and_saveexec_b64 s[2:3], vcc
	s_cbranch_execz .LBB230_243
; %bb.242:
	ds_read_b32 v19, v1
	v_bfe_i32 v20, v31, 0, 1
	s_waitcnt lgkmcnt(0)
	v_mov_b32_dpp v21, v19 row_shr:1 row_mask:0xf bank_mask:0xf
	v_and_b32_e32 v20, v20, v21
	v_add_u32_e32 v19, v20, v19
	ds_write_b32 v1, v19
.LBB230_243:
	s_or_b64 exec, exec, s[2:3]
	v_cmp_lt_u32_e32 vcc, 63, v0
	v_mov_b32_e32 v19, 0
	v_mov_b32_e32 v1, 0
	s_waitcnt lgkmcnt(0)
	s_barrier
	s_and_saveexec_b64 s[2:3], vcc
	s_cbranch_execz .LBB230_245
; %bb.244:
	v_lshl_add_u32 v1, v32, 2, -4
	ds_read_b32 v1, v1
.LBB230_245:
	s_or_b64 exec, exec, s[2:3]
	v_add_u32_e32 v20, -1, v31
	v_and_b32_e32 v21, 64, v31
	v_cmp_lt_i32_e32 vcc, v20, v21
	v_cndmask_b32_e32 v20, v20, v31, vcc
	s_waitcnt lgkmcnt(0)
	v_add_u32_e32 v18, v1, v18
	v_lshlrev_b32_e32 v20, 2, v20
	ds_read_b32 v19, v19 offset:4
	ds_bpermute_b32 v18, v20, v18
	s_waitcnt lgkmcnt(1)
	v_readfirstlane_b32 s33, v19
	s_and_saveexec_b64 s[2:3], s[0:1]
	s_cbranch_execz .LBB230_247
; %bb.246:
	v_mov_b32_e32 v19, 0
	v_mov_b32_e32 v20, s33
	;; [unrolled: 1-line block ×3, first 2 shown]
	global_store_dwordx2 v19, v[20:21], s[18:19] offset:512
.LBB230_247:
	s_or_b64 exec, exec, s[2:3]
	v_cmp_eq_u32_e32 vcc, 0, v31
	s_waitcnt lgkmcnt(0)
	v_cndmask_b32_e32 v1, v18, v1, vcc
	v_cndmask_b32_e64 v24, v1, 0, s[0:1]
	v_add_u32_sdwa v22, v24, v28 dst_sel:DWORD dst_unused:UNUSED_PAD src0_sel:DWORD src1_sel:BYTE_0
	v_add_u32_sdwa v20, v22, v28 dst_sel:DWORD dst_unused:UNUSED_PAD src0_sel:DWORD src1_sel:BYTE_1
	s_mov_b32 s16, 0
	v_add_u32_e32 v18, v20, v30
	s_barrier
.LBB230_248:
	s_cmpk_lt_u32 s33, 0x81
	s_cselect_b64 s[4:5], -1, 0
	v_lshrrev_b32_e32 v1, 8, v28
	s_mov_b64 s[2:3], -1
	s_and_b64 vcc, exec, s[4:5]
	s_cbranch_vccz .LBB230_262
; %bb.249:
	s_add_i32 s6, s16, s33
	v_cmp_gt_u32_e32 vcc, s6, v24
	s_or_b64 s[8:9], s[34:35], vcc
	s_and_saveexec_b64 s[2:3], s[8:9]
	s_cbranch_execz .LBB230_252
; %bb.250:
	v_and_b32_e32 v19, 1, v28
	v_cmp_eq_u32_e32 vcc, 1, v19
	s_and_b64 exec, exec, vcc
	s_cbranch_execz .LBB230_252
; %bb.251:
	s_lshl_b64 s[8:9], s[22:23], 3
	s_add_u32 s7, s28, s8
	v_mov_b32_e32 v25, 0
	s_addc_u32 s8, s29, s9
	v_lshlrev_b64 v[26:27], 3, v[24:25]
	v_mov_b32_e32 v19, s8
	v_add_co_u32_e32 v26, vcc, s7, v26
	v_addc_co_u32_e32 v27, vcc, v19, v27, vcc
	global_store_dwordx2 v[26:27], v[14:15], off
.LBB230_252:
	s_or_b64 exec, exec, s[2:3]
	v_cmp_gt_u32_e32 vcc, s6, v22
	s_or_b64 s[8:9], s[34:35], vcc
	s_and_saveexec_b64 s[2:3], s[8:9]
	s_cbranch_execz .LBB230_255
; %bb.253:
	v_and_b32_e32 v19, 1, v1
	v_cmp_eq_u32_e32 vcc, 1, v19
	s_and_b64 exec, exec, vcc
	s_cbranch_execz .LBB230_255
; %bb.254:
	s_lshl_b64 s[8:9], s[22:23], 3
	s_add_u32 s7, s28, s8
	v_mov_b32_e32 v23, 0
	s_addc_u32 s8, s29, s9
	v_lshlrev_b64 v[26:27], 3, v[22:23]
	v_mov_b32_e32 v19, s8
	v_add_co_u32_e32 v26, vcc, s7, v26
	v_addc_co_u32_e32 v27, vcc, v19, v27, vcc
	global_store_dwordx2 v[26:27], v[16:17], off
.LBB230_255:
	s_or_b64 exec, exec, s[2:3]
	v_cmp_gt_u32_e32 vcc, s6, v20
	s_or_b64 s[8:9], s[34:35], vcc
	s_and_saveexec_b64 s[2:3], s[8:9]
	s_cbranch_execz .LBB230_258
; %bb.256:
	v_mov_b32_e32 v19, 1
	v_and_b32_sdwa v19, v19, v28 dst_sel:DWORD dst_unused:UNUSED_PAD src0_sel:DWORD src1_sel:WORD_1
	v_cmp_eq_u32_e32 vcc, 1, v19
	s_and_b64 exec, exec, vcc
	s_cbranch_execz .LBB230_258
; %bb.257:
	s_lshl_b64 s[8:9], s[22:23], 3
	s_add_u32 s7, s28, s8
	v_mov_b32_e32 v21, 0
	s_addc_u32 s8, s29, s9
	v_lshlrev_b64 v[26:27], 3, v[20:21]
	v_mov_b32_e32 v19, s8
	v_add_co_u32_e32 v26, vcc, s7, v26
	v_addc_co_u32_e32 v27, vcc, v19, v27, vcc
	global_store_dwordx2 v[26:27], v[10:11], off
.LBB230_258:
	s_or_b64 exec, exec, s[2:3]
	v_cmp_gt_u32_e32 vcc, s6, v18
	s_or_b64 s[6:7], s[34:35], vcc
	s_and_saveexec_b64 s[2:3], s[6:7]
	s_cbranch_execz .LBB230_261
; %bb.259:
	v_and_b32_e32 v19, 1, v29
	v_cmp_eq_u32_e32 vcc, 1, v19
	s_and_b64 exec, exec, vcc
	s_cbranch_execz .LBB230_261
; %bb.260:
	s_lshl_b64 s[6:7], s[22:23], 3
	s_add_u32 s6, s28, s6
	v_mov_b32_e32 v19, 0
	s_addc_u32 s7, s29, s7
	v_lshlrev_b64 v[26:27], 3, v[18:19]
	v_mov_b32_e32 v19, s7
	v_add_co_u32_e32 v26, vcc, s6, v26
	v_addc_co_u32_e32 v27, vcc, v19, v27, vcc
	global_store_dwordx2 v[26:27], v[12:13], off
.LBB230_261:
	s_or_b64 exec, exec, s[2:3]
	s_mov_b64 s[2:3], 0
.LBB230_262:
	v_and_b32_e32 v26, 1, v28
	s_and_b64 vcc, exec, s[2:3]
	v_cmp_eq_u32_e64 s[2:3], 1, v26
	s_cbranch_vccz .LBB230_275
; %bb.263:
	s_and_saveexec_b64 s[6:7], s[2:3]
	s_cbranch_execz .LBB230_265
; %bb.264:
	v_subrev_u32_e32 v19, s16, v24
	v_lshlrev_b32_e32 v19, 3, v19
	ds_write_b64 v19, v[14:15]
.LBB230_265:
	s_or_b64 exec, exec, s[6:7]
	v_and_b32_e32 v14, 1, v1
	v_cmp_eq_u32_e32 vcc, 1, v14
	s_and_saveexec_b64 s[2:3], vcc
	s_cbranch_execz .LBB230_267
; %bb.266:
	v_subrev_u32_e32 v14, s16, v22
	v_lshlrev_b32_e32 v14, 3, v14
	ds_write_b64 v14, v[16:17]
.LBB230_267:
	s_or_b64 exec, exec, s[2:3]
	v_mov_b32_e32 v14, 1
	v_and_b32_sdwa v14, v14, v28 dst_sel:DWORD dst_unused:UNUSED_PAD src0_sel:DWORD src1_sel:WORD_1
	v_cmp_eq_u32_e32 vcc, 1, v14
	s_and_saveexec_b64 s[2:3], vcc
	s_cbranch_execz .LBB230_269
; %bb.268:
	v_subrev_u32_e32 v14, s16, v20
	v_lshlrev_b32_e32 v14, 3, v14
	ds_write_b64 v14, v[10:11]
.LBB230_269:
	s_or_b64 exec, exec, s[2:3]
	v_and_b32_e32 v10, 1, v29
	v_cmp_eq_u32_e32 vcc, 1, v10
	s_and_saveexec_b64 s[2:3], vcc
	s_cbranch_execz .LBB230_271
; %bb.270:
	v_subrev_u32_e32 v10, s16, v18
	v_lshlrev_b32_e32 v10, 3, v10
	ds_write_b64 v10, v[12:13]
.LBB230_271:
	s_or_b64 exec, exec, s[2:3]
	v_cmp_gt_u32_e32 vcc, s33, v0
	s_waitcnt lgkmcnt(0)
	s_barrier
	s_and_saveexec_b64 s[2:3], vcc
	s_cbranch_execz .LBB230_274
; %bb.272:
	s_mov_b32 s17, 0
	s_lshl_b64 s[6:7], s[16:17], 3
	s_add_u32 s8, s28, s6
	s_addc_u32 s9, s29, s7
	s_lshl_b64 s[6:7], s[22:23], 3
	s_add_u32 s8, s8, s6
	s_addc_u32 s9, s9, s7
	v_lshlrev_b32_e32 v12, 3, v0
	s_mov_b64 s[6:7], 0
	v_mov_b32_e32 v11, 0
	v_mov_b32_e32 v13, s9
	;; [unrolled: 1-line block ×3, first 2 shown]
.LBB230_273:                            ; =>This Inner Loop Header: Depth=1
	ds_read_b64 v[14:15], v12
	v_lshlrev_b64 v[16:17], 3, v[10:11]
	v_add_co_u32_e32 v16, vcc, s8, v16
	v_add_u32_e32 v10, 0x80, v10
	v_addc_co_u32_e32 v17, vcc, v13, v17, vcc
	v_cmp_le_u32_e32 vcc, s33, v10
	v_add_u32_e32 v12, 0x400, v12
	s_or_b64 s[6:7], vcc, s[6:7]
	s_waitcnt lgkmcnt(0)
	global_store_dwordx2 v[16:17], v[14:15], off
	s_andn2_b64 exec, exec, s[6:7]
	s_cbranch_execnz .LBB230_273
.LBB230_274:
	s_or_b64 exec, exec, s[2:3]
.LBB230_275:
	s_mov_b64 s[2:3], -1
	s_and_b64 vcc, exec, s[4:5]
	s_barrier
	s_cbranch_vccnz .LBB230_279
; %bb.276:
	s_and_b64 vcc, exec, s[2:3]
	s_cbranch_vccnz .LBB230_292
.LBB230_277:
	s_and_b64 s[0:1], s[0:1], s[24:25]
	s_and_saveexec_b64 s[2:3], s[0:1]
	s_cbranch_execnz .LBB230_304
.LBB230_278:
	s_endpgm
.LBB230_279:
	s_add_i32 s4, s16, s33
	v_cmp_gt_u32_e32 vcc, s4, v24
	s_or_b64 s[6:7], s[34:35], vcc
	s_and_saveexec_b64 s[2:3], s[6:7]
	s_cbranch_execz .LBB230_282
; %bb.280:
	v_cmp_eq_u32_e32 vcc, 1, v26
	s_and_b64 exec, exec, vcc
	s_cbranch_execz .LBB230_282
; %bb.281:
	s_lshl_b64 s[6:7], s[22:23], 3
	s_add_u32 s5, s30, s6
	v_mov_b32_e32 v25, 0
	s_addc_u32 s6, s31, s7
	v_lshlrev_b64 v[10:11], 3, v[24:25]
	v_mov_b32_e32 v12, s6
	v_add_co_u32_e32 v10, vcc, s5, v10
	v_addc_co_u32_e32 v11, vcc, v12, v11, vcc
	global_store_dwordx2 v[10:11], v[6:7], off
.LBB230_282:
	s_or_b64 exec, exec, s[2:3]
	v_cmp_gt_u32_e32 vcc, s4, v22
	s_or_b64 s[6:7], s[34:35], vcc
	s_and_saveexec_b64 s[2:3], s[6:7]
	s_cbranch_execz .LBB230_285
; %bb.283:
	v_and_b32_e32 v10, 1, v1
	v_cmp_eq_u32_e32 vcc, 1, v10
	s_and_b64 exec, exec, vcc
	s_cbranch_execz .LBB230_285
; %bb.284:
	s_lshl_b64 s[6:7], s[22:23], 3
	s_add_u32 s5, s30, s6
	v_mov_b32_e32 v23, 0
	s_addc_u32 s6, s31, s7
	v_lshlrev_b64 v[10:11], 3, v[22:23]
	v_mov_b32_e32 v12, s6
	v_add_co_u32_e32 v10, vcc, s5, v10
	v_addc_co_u32_e32 v11, vcc, v12, v11, vcc
	global_store_dwordx2 v[10:11], v[8:9], off
.LBB230_285:
	s_or_b64 exec, exec, s[2:3]
	v_cmp_gt_u32_e32 vcc, s4, v20
	s_or_b64 s[6:7], s[34:35], vcc
	s_and_saveexec_b64 s[2:3], s[6:7]
	s_cbranch_execz .LBB230_288
; %bb.286:
	v_mov_b32_e32 v10, 1
	v_and_b32_sdwa v10, v10, v28 dst_sel:DWORD dst_unused:UNUSED_PAD src0_sel:DWORD src1_sel:WORD_1
	v_cmp_eq_u32_e32 vcc, 1, v10
	s_and_b64 exec, exec, vcc
	s_cbranch_execz .LBB230_288
; %bb.287:
	s_lshl_b64 s[6:7], s[22:23], 3
	s_add_u32 s5, s30, s6
	v_mov_b32_e32 v21, 0
	s_addc_u32 s6, s31, s7
	v_lshlrev_b64 v[10:11], 3, v[20:21]
	v_mov_b32_e32 v12, s6
	v_add_co_u32_e32 v10, vcc, s5, v10
	v_addc_co_u32_e32 v11, vcc, v12, v11, vcc
	global_store_dwordx2 v[10:11], v[2:3], off
.LBB230_288:
	s_or_b64 exec, exec, s[2:3]
	v_cmp_gt_u32_e32 vcc, s4, v18
	s_or_b64 s[4:5], s[34:35], vcc
	s_and_saveexec_b64 s[2:3], s[4:5]
	s_cbranch_execz .LBB230_291
; %bb.289:
	v_and_b32_e32 v10, 1, v29
	v_cmp_eq_u32_e32 vcc, 1, v10
	s_and_b64 exec, exec, vcc
	s_cbranch_execz .LBB230_291
; %bb.290:
	s_lshl_b64 s[4:5], s[22:23], 3
	s_add_u32 s4, s30, s4
	v_mov_b32_e32 v19, 0
	s_addc_u32 s5, s31, s5
	v_lshlrev_b64 v[10:11], 3, v[18:19]
	v_mov_b32_e32 v12, s5
	v_add_co_u32_e32 v10, vcc, s4, v10
	v_addc_co_u32_e32 v11, vcc, v12, v11, vcc
	global_store_dwordx2 v[10:11], v[4:5], off
.LBB230_291:
	s_or_b64 exec, exec, s[2:3]
	s_branch .LBB230_277
.LBB230_292:
	v_cmp_eq_u32_e32 vcc, 1, v26
	s_and_saveexec_b64 s[2:3], vcc
	s_cbranch_execz .LBB230_294
; %bb.293:
	v_subrev_u32_e32 v10, s16, v24
	v_lshlrev_b32_e32 v10, 3, v10
	ds_write_b64 v10, v[6:7]
.LBB230_294:
	s_or_b64 exec, exec, s[2:3]
	v_and_b32_e32 v1, 1, v1
	v_cmp_eq_u32_e32 vcc, 1, v1
	s_and_saveexec_b64 s[2:3], vcc
	s_cbranch_execz .LBB230_296
; %bb.295:
	v_subrev_u32_e32 v1, s16, v22
	v_lshlrev_b32_e32 v1, 3, v1
	ds_write_b64 v1, v[8:9]
.LBB230_296:
	s_or_b64 exec, exec, s[2:3]
	v_mov_b32_e32 v1, 1
	v_and_b32_sdwa v1, v1, v28 dst_sel:DWORD dst_unused:UNUSED_PAD src0_sel:DWORD src1_sel:WORD_1
	v_cmp_eq_u32_e32 vcc, 1, v1
	s_and_saveexec_b64 s[2:3], vcc
	s_cbranch_execz .LBB230_298
; %bb.297:
	v_subrev_u32_e32 v1, s16, v20
	v_lshlrev_b32_e32 v1, 3, v1
	ds_write_b64 v1, v[2:3]
.LBB230_298:
	s_or_b64 exec, exec, s[2:3]
	v_and_b32_e32 v1, 1, v29
	v_cmp_eq_u32_e32 vcc, 1, v1
	s_and_saveexec_b64 s[2:3], vcc
	s_cbranch_execz .LBB230_300
; %bb.299:
	v_subrev_u32_e32 v1, s16, v18
	v_lshlrev_b32_e32 v1, 3, v1
	ds_write_b64 v1, v[4:5]
.LBB230_300:
	s_or_b64 exec, exec, s[2:3]
	v_cmp_gt_u32_e32 vcc, s33, v0
	s_waitcnt lgkmcnt(0)
	s_barrier
	s_and_saveexec_b64 s[2:3], vcc
	s_cbranch_execz .LBB230_303
; %bb.301:
	s_mov_b32 s17, 0
	s_lshl_b64 s[4:5], s[16:17], 3
	s_add_u32 s6, s30, s4
	s_addc_u32 s7, s31, s5
	s_lshl_b64 s[4:5], s[22:23], 3
	s_add_u32 s6, s6, s4
	s_addc_u32 s7, s7, s5
	v_lshlrev_b32_e32 v2, 3, v0
	s_mov_b64 s[4:5], 0
	v_mov_b32_e32 v1, 0
	v_mov_b32_e32 v3, s7
.LBB230_302:                            ; =>This Inner Loop Header: Depth=1
	ds_read_b64 v[4:5], v2
	v_lshlrev_b64 v[6:7], 3, v[0:1]
	v_add_co_u32_e32 v6, vcc, s6, v6
	v_add_u32_e32 v0, 0x80, v0
	v_addc_co_u32_e32 v7, vcc, v3, v7, vcc
	v_cmp_le_u32_e32 vcc, s33, v0
	v_add_u32_e32 v2, 0x400, v2
	s_or_b64 s[4:5], vcc, s[4:5]
	s_waitcnt lgkmcnt(0)
	global_store_dwordx2 v[6:7], v[4:5], off
	s_andn2_b64 exec, exec, s[4:5]
	s_cbranch_execnz .LBB230_302
.LBB230_303:
	s_or_b64 exec, exec, s[2:3]
	s_and_b64 s[0:1], s[0:1], s[24:25]
	s_and_saveexec_b64 s[2:3], s[0:1]
	s_cbranch_execz .LBB230_278
.LBB230_304:
	s_add_u32 s0, s22, s33
	s_addc_u32 s1, s23, 0
	s_add_u32 s0, s0, s16
	s_addc_u32 s1, s1, 0
	v_mov_b32_e32 v2, 0
	v_pk_mov_b32 v[0:1], s[0:1], s[0:1] op_sel:[0,1]
	global_store_dwordx2 v2, v[0:1], s[20:21]
	s_endpgm
	.section	.rodata,"a",@progbits
	.p2align	6, 0x0
	.amdhsa_kernel _ZN7rocprim17ROCPRIM_400000_NS6detail17trampoline_kernelINS0_14default_configENS1_25partition_config_selectorILNS1_17partition_subalgoE9EllbEEZZNS1_14partition_implILS5_9ELb0ES3_jPlS8_PNS0_10empty_typeENS0_5tupleIJS8_S9_EEENSB_IJS8_SA_EEENS0_18inequality_wrapperIZN2at6native12_GLOBAL__N_124unique_dim_cuda_templateIhEESt5tupleIJNSF_6TensorESK_SK_EERKSK_lbbbEUlllE0_EEPmJS9_EEE10hipError_tPvRmT3_T4_T5_T6_T7_T9_mT8_P12ihipStream_tbDpT10_ENKUlT_T0_E_clISt17integral_constantIbLb0EES19_IbLb1EEEEDaS15_S16_EUlS15_E_NS1_11comp_targetILNS1_3genE4ELNS1_11target_archE910ELNS1_3gpuE8ELNS1_3repE0EEENS1_30default_config_static_selectorELNS0_4arch9wavefront6targetE1EEEvT1_
		.amdhsa_group_segment_fixed_size 4236
		.amdhsa_private_segment_fixed_size 0
		.amdhsa_kernarg_size 136
		.amdhsa_user_sgpr_count 6
		.amdhsa_user_sgpr_private_segment_buffer 1
		.amdhsa_user_sgpr_dispatch_ptr 0
		.amdhsa_user_sgpr_queue_ptr 0
		.amdhsa_user_sgpr_kernarg_segment_ptr 1
		.amdhsa_user_sgpr_dispatch_id 0
		.amdhsa_user_sgpr_flat_scratch_init 0
		.amdhsa_user_sgpr_kernarg_preload_length 0
		.amdhsa_user_sgpr_kernarg_preload_offset 0
		.amdhsa_user_sgpr_private_segment_size 0
		.amdhsa_uses_dynamic_stack 0
		.amdhsa_system_sgpr_private_segment_wavefront_offset 0
		.amdhsa_system_sgpr_workgroup_id_x 1
		.amdhsa_system_sgpr_workgroup_id_y 0
		.amdhsa_system_sgpr_workgroup_id_z 0
		.amdhsa_system_sgpr_workgroup_info 0
		.amdhsa_system_vgpr_workitem_id 0
		.amdhsa_next_free_vgpr 50
		.amdhsa_next_free_sgpr 52
		.amdhsa_accum_offset 52
		.amdhsa_reserve_vcc 1
		.amdhsa_reserve_flat_scratch 0
		.amdhsa_float_round_mode_32 0
		.amdhsa_float_round_mode_16_64 0
		.amdhsa_float_denorm_mode_32 3
		.amdhsa_float_denorm_mode_16_64 3
		.amdhsa_dx10_clamp 1
		.amdhsa_ieee_mode 1
		.amdhsa_fp16_overflow 0
		.amdhsa_tg_split 0
		.amdhsa_exception_fp_ieee_invalid_op 0
		.amdhsa_exception_fp_denorm_src 0
		.amdhsa_exception_fp_ieee_div_zero 0
		.amdhsa_exception_fp_ieee_overflow 0
		.amdhsa_exception_fp_ieee_underflow 0
		.amdhsa_exception_fp_ieee_inexact 0
		.amdhsa_exception_int_div_zero 0
	.end_amdhsa_kernel
	.section	.text._ZN7rocprim17ROCPRIM_400000_NS6detail17trampoline_kernelINS0_14default_configENS1_25partition_config_selectorILNS1_17partition_subalgoE9EllbEEZZNS1_14partition_implILS5_9ELb0ES3_jPlS8_PNS0_10empty_typeENS0_5tupleIJS8_S9_EEENSB_IJS8_SA_EEENS0_18inequality_wrapperIZN2at6native12_GLOBAL__N_124unique_dim_cuda_templateIhEESt5tupleIJNSF_6TensorESK_SK_EERKSK_lbbbEUlllE0_EEPmJS9_EEE10hipError_tPvRmT3_T4_T5_T6_T7_T9_mT8_P12ihipStream_tbDpT10_ENKUlT_T0_E_clISt17integral_constantIbLb0EES19_IbLb1EEEEDaS15_S16_EUlS15_E_NS1_11comp_targetILNS1_3genE4ELNS1_11target_archE910ELNS1_3gpuE8ELNS1_3repE0EEENS1_30default_config_static_selectorELNS0_4arch9wavefront6targetE1EEEvT1_,"axG",@progbits,_ZN7rocprim17ROCPRIM_400000_NS6detail17trampoline_kernelINS0_14default_configENS1_25partition_config_selectorILNS1_17partition_subalgoE9EllbEEZZNS1_14partition_implILS5_9ELb0ES3_jPlS8_PNS0_10empty_typeENS0_5tupleIJS8_S9_EEENSB_IJS8_SA_EEENS0_18inequality_wrapperIZN2at6native12_GLOBAL__N_124unique_dim_cuda_templateIhEESt5tupleIJNSF_6TensorESK_SK_EERKSK_lbbbEUlllE0_EEPmJS9_EEE10hipError_tPvRmT3_T4_T5_T6_T7_T9_mT8_P12ihipStream_tbDpT10_ENKUlT_T0_E_clISt17integral_constantIbLb0EES19_IbLb1EEEEDaS15_S16_EUlS15_E_NS1_11comp_targetILNS1_3genE4ELNS1_11target_archE910ELNS1_3gpuE8ELNS1_3repE0EEENS1_30default_config_static_selectorELNS0_4arch9wavefront6targetE1EEEvT1_,comdat
.Lfunc_end230:
	.size	_ZN7rocprim17ROCPRIM_400000_NS6detail17trampoline_kernelINS0_14default_configENS1_25partition_config_selectorILNS1_17partition_subalgoE9EllbEEZZNS1_14partition_implILS5_9ELb0ES3_jPlS8_PNS0_10empty_typeENS0_5tupleIJS8_S9_EEENSB_IJS8_SA_EEENS0_18inequality_wrapperIZN2at6native12_GLOBAL__N_124unique_dim_cuda_templateIhEESt5tupleIJNSF_6TensorESK_SK_EERKSK_lbbbEUlllE0_EEPmJS9_EEE10hipError_tPvRmT3_T4_T5_T6_T7_T9_mT8_P12ihipStream_tbDpT10_ENKUlT_T0_E_clISt17integral_constantIbLb0EES19_IbLb1EEEEDaS15_S16_EUlS15_E_NS1_11comp_targetILNS1_3genE4ELNS1_11target_archE910ELNS1_3gpuE8ELNS1_3repE0EEENS1_30default_config_static_selectorELNS0_4arch9wavefront6targetE1EEEvT1_, .Lfunc_end230-_ZN7rocprim17ROCPRIM_400000_NS6detail17trampoline_kernelINS0_14default_configENS1_25partition_config_selectorILNS1_17partition_subalgoE9EllbEEZZNS1_14partition_implILS5_9ELb0ES3_jPlS8_PNS0_10empty_typeENS0_5tupleIJS8_S9_EEENSB_IJS8_SA_EEENS0_18inequality_wrapperIZN2at6native12_GLOBAL__N_124unique_dim_cuda_templateIhEESt5tupleIJNSF_6TensorESK_SK_EERKSK_lbbbEUlllE0_EEPmJS9_EEE10hipError_tPvRmT3_T4_T5_T6_T7_T9_mT8_P12ihipStream_tbDpT10_ENKUlT_T0_E_clISt17integral_constantIbLb0EES19_IbLb1EEEEDaS15_S16_EUlS15_E_NS1_11comp_targetILNS1_3genE4ELNS1_11target_archE910ELNS1_3gpuE8ELNS1_3repE0EEENS1_30default_config_static_selectorELNS0_4arch9wavefront6targetE1EEEvT1_
                                        ; -- End function
	.section	.AMDGPU.csdata,"",@progbits
; Kernel info:
; codeLenInByte = 9576
; NumSgprs: 56
; NumVgprs: 50
; NumAgprs: 0
; TotalNumVgprs: 50
; ScratchSize: 0
; MemoryBound: 0
; FloatMode: 240
; IeeeMode: 1
; LDSByteSize: 4236 bytes/workgroup (compile time only)
; SGPRBlocks: 6
; VGPRBlocks: 6
; NumSGPRsForWavesPerEU: 56
; NumVGPRsForWavesPerEU: 50
; AccumOffset: 52
; Occupancy: 8
; WaveLimiterHint : 1
; COMPUTE_PGM_RSRC2:SCRATCH_EN: 0
; COMPUTE_PGM_RSRC2:USER_SGPR: 6
; COMPUTE_PGM_RSRC2:TRAP_HANDLER: 0
; COMPUTE_PGM_RSRC2:TGID_X_EN: 1
; COMPUTE_PGM_RSRC2:TGID_Y_EN: 0
; COMPUTE_PGM_RSRC2:TGID_Z_EN: 0
; COMPUTE_PGM_RSRC2:TIDIG_COMP_CNT: 0
; COMPUTE_PGM_RSRC3_GFX90A:ACCUM_OFFSET: 12
; COMPUTE_PGM_RSRC3_GFX90A:TG_SPLIT: 0
	.section	.text._ZN7rocprim17ROCPRIM_400000_NS6detail17trampoline_kernelINS0_14default_configENS1_25partition_config_selectorILNS1_17partition_subalgoE9EllbEEZZNS1_14partition_implILS5_9ELb0ES3_jPlS8_PNS0_10empty_typeENS0_5tupleIJS8_S9_EEENSB_IJS8_SA_EEENS0_18inequality_wrapperIZN2at6native12_GLOBAL__N_124unique_dim_cuda_templateIhEESt5tupleIJNSF_6TensorESK_SK_EERKSK_lbbbEUlllE0_EEPmJS9_EEE10hipError_tPvRmT3_T4_T5_T6_T7_T9_mT8_P12ihipStream_tbDpT10_ENKUlT_T0_E_clISt17integral_constantIbLb0EES19_IbLb1EEEEDaS15_S16_EUlS15_E_NS1_11comp_targetILNS1_3genE3ELNS1_11target_archE908ELNS1_3gpuE7ELNS1_3repE0EEENS1_30default_config_static_selectorELNS0_4arch9wavefront6targetE1EEEvT1_,"axG",@progbits,_ZN7rocprim17ROCPRIM_400000_NS6detail17trampoline_kernelINS0_14default_configENS1_25partition_config_selectorILNS1_17partition_subalgoE9EllbEEZZNS1_14partition_implILS5_9ELb0ES3_jPlS8_PNS0_10empty_typeENS0_5tupleIJS8_S9_EEENSB_IJS8_SA_EEENS0_18inequality_wrapperIZN2at6native12_GLOBAL__N_124unique_dim_cuda_templateIhEESt5tupleIJNSF_6TensorESK_SK_EERKSK_lbbbEUlllE0_EEPmJS9_EEE10hipError_tPvRmT3_T4_T5_T6_T7_T9_mT8_P12ihipStream_tbDpT10_ENKUlT_T0_E_clISt17integral_constantIbLb0EES19_IbLb1EEEEDaS15_S16_EUlS15_E_NS1_11comp_targetILNS1_3genE3ELNS1_11target_archE908ELNS1_3gpuE7ELNS1_3repE0EEENS1_30default_config_static_selectorELNS0_4arch9wavefront6targetE1EEEvT1_,comdat
	.globl	_ZN7rocprim17ROCPRIM_400000_NS6detail17trampoline_kernelINS0_14default_configENS1_25partition_config_selectorILNS1_17partition_subalgoE9EllbEEZZNS1_14partition_implILS5_9ELb0ES3_jPlS8_PNS0_10empty_typeENS0_5tupleIJS8_S9_EEENSB_IJS8_SA_EEENS0_18inequality_wrapperIZN2at6native12_GLOBAL__N_124unique_dim_cuda_templateIhEESt5tupleIJNSF_6TensorESK_SK_EERKSK_lbbbEUlllE0_EEPmJS9_EEE10hipError_tPvRmT3_T4_T5_T6_T7_T9_mT8_P12ihipStream_tbDpT10_ENKUlT_T0_E_clISt17integral_constantIbLb0EES19_IbLb1EEEEDaS15_S16_EUlS15_E_NS1_11comp_targetILNS1_3genE3ELNS1_11target_archE908ELNS1_3gpuE7ELNS1_3repE0EEENS1_30default_config_static_selectorELNS0_4arch9wavefront6targetE1EEEvT1_ ; -- Begin function _ZN7rocprim17ROCPRIM_400000_NS6detail17trampoline_kernelINS0_14default_configENS1_25partition_config_selectorILNS1_17partition_subalgoE9EllbEEZZNS1_14partition_implILS5_9ELb0ES3_jPlS8_PNS0_10empty_typeENS0_5tupleIJS8_S9_EEENSB_IJS8_SA_EEENS0_18inequality_wrapperIZN2at6native12_GLOBAL__N_124unique_dim_cuda_templateIhEESt5tupleIJNSF_6TensorESK_SK_EERKSK_lbbbEUlllE0_EEPmJS9_EEE10hipError_tPvRmT3_T4_T5_T6_T7_T9_mT8_P12ihipStream_tbDpT10_ENKUlT_T0_E_clISt17integral_constantIbLb0EES19_IbLb1EEEEDaS15_S16_EUlS15_E_NS1_11comp_targetILNS1_3genE3ELNS1_11target_archE908ELNS1_3gpuE7ELNS1_3repE0EEENS1_30default_config_static_selectorELNS0_4arch9wavefront6targetE1EEEvT1_
	.p2align	8
	.type	_ZN7rocprim17ROCPRIM_400000_NS6detail17trampoline_kernelINS0_14default_configENS1_25partition_config_selectorILNS1_17partition_subalgoE9EllbEEZZNS1_14partition_implILS5_9ELb0ES3_jPlS8_PNS0_10empty_typeENS0_5tupleIJS8_S9_EEENSB_IJS8_SA_EEENS0_18inequality_wrapperIZN2at6native12_GLOBAL__N_124unique_dim_cuda_templateIhEESt5tupleIJNSF_6TensorESK_SK_EERKSK_lbbbEUlllE0_EEPmJS9_EEE10hipError_tPvRmT3_T4_T5_T6_T7_T9_mT8_P12ihipStream_tbDpT10_ENKUlT_T0_E_clISt17integral_constantIbLb0EES19_IbLb1EEEEDaS15_S16_EUlS15_E_NS1_11comp_targetILNS1_3genE3ELNS1_11target_archE908ELNS1_3gpuE7ELNS1_3repE0EEENS1_30default_config_static_selectorELNS0_4arch9wavefront6targetE1EEEvT1_,@function
_ZN7rocprim17ROCPRIM_400000_NS6detail17trampoline_kernelINS0_14default_configENS1_25partition_config_selectorILNS1_17partition_subalgoE9EllbEEZZNS1_14partition_implILS5_9ELb0ES3_jPlS8_PNS0_10empty_typeENS0_5tupleIJS8_S9_EEENSB_IJS8_SA_EEENS0_18inequality_wrapperIZN2at6native12_GLOBAL__N_124unique_dim_cuda_templateIhEESt5tupleIJNSF_6TensorESK_SK_EERKSK_lbbbEUlllE0_EEPmJS9_EEE10hipError_tPvRmT3_T4_T5_T6_T7_T9_mT8_P12ihipStream_tbDpT10_ENKUlT_T0_E_clISt17integral_constantIbLb0EES19_IbLb1EEEEDaS15_S16_EUlS15_E_NS1_11comp_targetILNS1_3genE3ELNS1_11target_archE908ELNS1_3gpuE7ELNS1_3repE0EEENS1_30default_config_static_selectorELNS0_4arch9wavefront6targetE1EEEvT1_: ; @_ZN7rocprim17ROCPRIM_400000_NS6detail17trampoline_kernelINS0_14default_configENS1_25partition_config_selectorILNS1_17partition_subalgoE9EllbEEZZNS1_14partition_implILS5_9ELb0ES3_jPlS8_PNS0_10empty_typeENS0_5tupleIJS8_S9_EEENSB_IJS8_SA_EEENS0_18inequality_wrapperIZN2at6native12_GLOBAL__N_124unique_dim_cuda_templateIhEESt5tupleIJNSF_6TensorESK_SK_EERKSK_lbbbEUlllE0_EEPmJS9_EEE10hipError_tPvRmT3_T4_T5_T6_T7_T9_mT8_P12ihipStream_tbDpT10_ENKUlT_T0_E_clISt17integral_constantIbLb0EES19_IbLb1EEEEDaS15_S16_EUlS15_E_NS1_11comp_targetILNS1_3genE3ELNS1_11target_archE908ELNS1_3gpuE7ELNS1_3repE0EEENS1_30default_config_static_selectorELNS0_4arch9wavefront6targetE1EEEvT1_
; %bb.0:
	.section	.rodata,"a",@progbits
	.p2align	6, 0x0
	.amdhsa_kernel _ZN7rocprim17ROCPRIM_400000_NS6detail17trampoline_kernelINS0_14default_configENS1_25partition_config_selectorILNS1_17partition_subalgoE9EllbEEZZNS1_14partition_implILS5_9ELb0ES3_jPlS8_PNS0_10empty_typeENS0_5tupleIJS8_S9_EEENSB_IJS8_SA_EEENS0_18inequality_wrapperIZN2at6native12_GLOBAL__N_124unique_dim_cuda_templateIhEESt5tupleIJNSF_6TensorESK_SK_EERKSK_lbbbEUlllE0_EEPmJS9_EEE10hipError_tPvRmT3_T4_T5_T6_T7_T9_mT8_P12ihipStream_tbDpT10_ENKUlT_T0_E_clISt17integral_constantIbLb0EES19_IbLb1EEEEDaS15_S16_EUlS15_E_NS1_11comp_targetILNS1_3genE3ELNS1_11target_archE908ELNS1_3gpuE7ELNS1_3repE0EEENS1_30default_config_static_selectorELNS0_4arch9wavefront6targetE1EEEvT1_
		.amdhsa_group_segment_fixed_size 0
		.amdhsa_private_segment_fixed_size 0
		.amdhsa_kernarg_size 136
		.amdhsa_user_sgpr_count 6
		.amdhsa_user_sgpr_private_segment_buffer 1
		.amdhsa_user_sgpr_dispatch_ptr 0
		.amdhsa_user_sgpr_queue_ptr 0
		.amdhsa_user_sgpr_kernarg_segment_ptr 1
		.amdhsa_user_sgpr_dispatch_id 0
		.amdhsa_user_sgpr_flat_scratch_init 0
		.amdhsa_user_sgpr_kernarg_preload_length 0
		.amdhsa_user_sgpr_kernarg_preload_offset 0
		.amdhsa_user_sgpr_private_segment_size 0
		.amdhsa_uses_dynamic_stack 0
		.amdhsa_system_sgpr_private_segment_wavefront_offset 0
		.amdhsa_system_sgpr_workgroup_id_x 1
		.amdhsa_system_sgpr_workgroup_id_y 0
		.amdhsa_system_sgpr_workgroup_id_z 0
		.amdhsa_system_sgpr_workgroup_info 0
		.amdhsa_system_vgpr_workitem_id 0
		.amdhsa_next_free_vgpr 1
		.amdhsa_next_free_sgpr 0
		.amdhsa_accum_offset 4
		.amdhsa_reserve_vcc 0
		.amdhsa_reserve_flat_scratch 0
		.amdhsa_float_round_mode_32 0
		.amdhsa_float_round_mode_16_64 0
		.amdhsa_float_denorm_mode_32 3
		.amdhsa_float_denorm_mode_16_64 3
		.amdhsa_dx10_clamp 1
		.amdhsa_ieee_mode 1
		.amdhsa_fp16_overflow 0
		.amdhsa_tg_split 0
		.amdhsa_exception_fp_ieee_invalid_op 0
		.amdhsa_exception_fp_denorm_src 0
		.amdhsa_exception_fp_ieee_div_zero 0
		.amdhsa_exception_fp_ieee_overflow 0
		.amdhsa_exception_fp_ieee_underflow 0
		.amdhsa_exception_fp_ieee_inexact 0
		.amdhsa_exception_int_div_zero 0
	.end_amdhsa_kernel
	.section	.text._ZN7rocprim17ROCPRIM_400000_NS6detail17trampoline_kernelINS0_14default_configENS1_25partition_config_selectorILNS1_17partition_subalgoE9EllbEEZZNS1_14partition_implILS5_9ELb0ES3_jPlS8_PNS0_10empty_typeENS0_5tupleIJS8_S9_EEENSB_IJS8_SA_EEENS0_18inequality_wrapperIZN2at6native12_GLOBAL__N_124unique_dim_cuda_templateIhEESt5tupleIJNSF_6TensorESK_SK_EERKSK_lbbbEUlllE0_EEPmJS9_EEE10hipError_tPvRmT3_T4_T5_T6_T7_T9_mT8_P12ihipStream_tbDpT10_ENKUlT_T0_E_clISt17integral_constantIbLb0EES19_IbLb1EEEEDaS15_S16_EUlS15_E_NS1_11comp_targetILNS1_3genE3ELNS1_11target_archE908ELNS1_3gpuE7ELNS1_3repE0EEENS1_30default_config_static_selectorELNS0_4arch9wavefront6targetE1EEEvT1_,"axG",@progbits,_ZN7rocprim17ROCPRIM_400000_NS6detail17trampoline_kernelINS0_14default_configENS1_25partition_config_selectorILNS1_17partition_subalgoE9EllbEEZZNS1_14partition_implILS5_9ELb0ES3_jPlS8_PNS0_10empty_typeENS0_5tupleIJS8_S9_EEENSB_IJS8_SA_EEENS0_18inequality_wrapperIZN2at6native12_GLOBAL__N_124unique_dim_cuda_templateIhEESt5tupleIJNSF_6TensorESK_SK_EERKSK_lbbbEUlllE0_EEPmJS9_EEE10hipError_tPvRmT3_T4_T5_T6_T7_T9_mT8_P12ihipStream_tbDpT10_ENKUlT_T0_E_clISt17integral_constantIbLb0EES19_IbLb1EEEEDaS15_S16_EUlS15_E_NS1_11comp_targetILNS1_3genE3ELNS1_11target_archE908ELNS1_3gpuE7ELNS1_3repE0EEENS1_30default_config_static_selectorELNS0_4arch9wavefront6targetE1EEEvT1_,comdat
.Lfunc_end231:
	.size	_ZN7rocprim17ROCPRIM_400000_NS6detail17trampoline_kernelINS0_14default_configENS1_25partition_config_selectorILNS1_17partition_subalgoE9EllbEEZZNS1_14partition_implILS5_9ELb0ES3_jPlS8_PNS0_10empty_typeENS0_5tupleIJS8_S9_EEENSB_IJS8_SA_EEENS0_18inequality_wrapperIZN2at6native12_GLOBAL__N_124unique_dim_cuda_templateIhEESt5tupleIJNSF_6TensorESK_SK_EERKSK_lbbbEUlllE0_EEPmJS9_EEE10hipError_tPvRmT3_T4_T5_T6_T7_T9_mT8_P12ihipStream_tbDpT10_ENKUlT_T0_E_clISt17integral_constantIbLb0EES19_IbLb1EEEEDaS15_S16_EUlS15_E_NS1_11comp_targetILNS1_3genE3ELNS1_11target_archE908ELNS1_3gpuE7ELNS1_3repE0EEENS1_30default_config_static_selectorELNS0_4arch9wavefront6targetE1EEEvT1_, .Lfunc_end231-_ZN7rocprim17ROCPRIM_400000_NS6detail17trampoline_kernelINS0_14default_configENS1_25partition_config_selectorILNS1_17partition_subalgoE9EllbEEZZNS1_14partition_implILS5_9ELb0ES3_jPlS8_PNS0_10empty_typeENS0_5tupleIJS8_S9_EEENSB_IJS8_SA_EEENS0_18inequality_wrapperIZN2at6native12_GLOBAL__N_124unique_dim_cuda_templateIhEESt5tupleIJNSF_6TensorESK_SK_EERKSK_lbbbEUlllE0_EEPmJS9_EEE10hipError_tPvRmT3_T4_T5_T6_T7_T9_mT8_P12ihipStream_tbDpT10_ENKUlT_T0_E_clISt17integral_constantIbLb0EES19_IbLb1EEEEDaS15_S16_EUlS15_E_NS1_11comp_targetILNS1_3genE3ELNS1_11target_archE908ELNS1_3gpuE7ELNS1_3repE0EEENS1_30default_config_static_selectorELNS0_4arch9wavefront6targetE1EEEvT1_
                                        ; -- End function
	.section	.AMDGPU.csdata,"",@progbits
; Kernel info:
; codeLenInByte = 0
; NumSgprs: 4
; NumVgprs: 0
; NumAgprs: 0
; TotalNumVgprs: 0
; ScratchSize: 0
; MemoryBound: 0
; FloatMode: 240
; IeeeMode: 1
; LDSByteSize: 0 bytes/workgroup (compile time only)
; SGPRBlocks: 0
; VGPRBlocks: 0
; NumSGPRsForWavesPerEU: 4
; NumVGPRsForWavesPerEU: 1
; AccumOffset: 4
; Occupancy: 8
; WaveLimiterHint : 0
; COMPUTE_PGM_RSRC2:SCRATCH_EN: 0
; COMPUTE_PGM_RSRC2:USER_SGPR: 6
; COMPUTE_PGM_RSRC2:TRAP_HANDLER: 0
; COMPUTE_PGM_RSRC2:TGID_X_EN: 1
; COMPUTE_PGM_RSRC2:TGID_Y_EN: 0
; COMPUTE_PGM_RSRC2:TGID_Z_EN: 0
; COMPUTE_PGM_RSRC2:TIDIG_COMP_CNT: 0
; COMPUTE_PGM_RSRC3_GFX90A:ACCUM_OFFSET: 0
; COMPUTE_PGM_RSRC3_GFX90A:TG_SPLIT: 0
	.section	.text._ZN7rocprim17ROCPRIM_400000_NS6detail17trampoline_kernelINS0_14default_configENS1_25partition_config_selectorILNS1_17partition_subalgoE9EllbEEZZNS1_14partition_implILS5_9ELb0ES3_jPlS8_PNS0_10empty_typeENS0_5tupleIJS8_S9_EEENSB_IJS8_SA_EEENS0_18inequality_wrapperIZN2at6native12_GLOBAL__N_124unique_dim_cuda_templateIhEESt5tupleIJNSF_6TensorESK_SK_EERKSK_lbbbEUlllE0_EEPmJS9_EEE10hipError_tPvRmT3_T4_T5_T6_T7_T9_mT8_P12ihipStream_tbDpT10_ENKUlT_T0_E_clISt17integral_constantIbLb0EES19_IbLb1EEEEDaS15_S16_EUlS15_E_NS1_11comp_targetILNS1_3genE2ELNS1_11target_archE906ELNS1_3gpuE6ELNS1_3repE0EEENS1_30default_config_static_selectorELNS0_4arch9wavefront6targetE1EEEvT1_,"axG",@progbits,_ZN7rocprim17ROCPRIM_400000_NS6detail17trampoline_kernelINS0_14default_configENS1_25partition_config_selectorILNS1_17partition_subalgoE9EllbEEZZNS1_14partition_implILS5_9ELb0ES3_jPlS8_PNS0_10empty_typeENS0_5tupleIJS8_S9_EEENSB_IJS8_SA_EEENS0_18inequality_wrapperIZN2at6native12_GLOBAL__N_124unique_dim_cuda_templateIhEESt5tupleIJNSF_6TensorESK_SK_EERKSK_lbbbEUlllE0_EEPmJS9_EEE10hipError_tPvRmT3_T4_T5_T6_T7_T9_mT8_P12ihipStream_tbDpT10_ENKUlT_T0_E_clISt17integral_constantIbLb0EES19_IbLb1EEEEDaS15_S16_EUlS15_E_NS1_11comp_targetILNS1_3genE2ELNS1_11target_archE906ELNS1_3gpuE6ELNS1_3repE0EEENS1_30default_config_static_selectorELNS0_4arch9wavefront6targetE1EEEvT1_,comdat
	.globl	_ZN7rocprim17ROCPRIM_400000_NS6detail17trampoline_kernelINS0_14default_configENS1_25partition_config_selectorILNS1_17partition_subalgoE9EllbEEZZNS1_14partition_implILS5_9ELb0ES3_jPlS8_PNS0_10empty_typeENS0_5tupleIJS8_S9_EEENSB_IJS8_SA_EEENS0_18inequality_wrapperIZN2at6native12_GLOBAL__N_124unique_dim_cuda_templateIhEESt5tupleIJNSF_6TensorESK_SK_EERKSK_lbbbEUlllE0_EEPmJS9_EEE10hipError_tPvRmT3_T4_T5_T6_T7_T9_mT8_P12ihipStream_tbDpT10_ENKUlT_T0_E_clISt17integral_constantIbLb0EES19_IbLb1EEEEDaS15_S16_EUlS15_E_NS1_11comp_targetILNS1_3genE2ELNS1_11target_archE906ELNS1_3gpuE6ELNS1_3repE0EEENS1_30default_config_static_selectorELNS0_4arch9wavefront6targetE1EEEvT1_ ; -- Begin function _ZN7rocprim17ROCPRIM_400000_NS6detail17trampoline_kernelINS0_14default_configENS1_25partition_config_selectorILNS1_17partition_subalgoE9EllbEEZZNS1_14partition_implILS5_9ELb0ES3_jPlS8_PNS0_10empty_typeENS0_5tupleIJS8_S9_EEENSB_IJS8_SA_EEENS0_18inequality_wrapperIZN2at6native12_GLOBAL__N_124unique_dim_cuda_templateIhEESt5tupleIJNSF_6TensorESK_SK_EERKSK_lbbbEUlllE0_EEPmJS9_EEE10hipError_tPvRmT3_T4_T5_T6_T7_T9_mT8_P12ihipStream_tbDpT10_ENKUlT_T0_E_clISt17integral_constantIbLb0EES19_IbLb1EEEEDaS15_S16_EUlS15_E_NS1_11comp_targetILNS1_3genE2ELNS1_11target_archE906ELNS1_3gpuE6ELNS1_3repE0EEENS1_30default_config_static_selectorELNS0_4arch9wavefront6targetE1EEEvT1_
	.p2align	8
	.type	_ZN7rocprim17ROCPRIM_400000_NS6detail17trampoline_kernelINS0_14default_configENS1_25partition_config_selectorILNS1_17partition_subalgoE9EllbEEZZNS1_14partition_implILS5_9ELb0ES3_jPlS8_PNS0_10empty_typeENS0_5tupleIJS8_S9_EEENSB_IJS8_SA_EEENS0_18inequality_wrapperIZN2at6native12_GLOBAL__N_124unique_dim_cuda_templateIhEESt5tupleIJNSF_6TensorESK_SK_EERKSK_lbbbEUlllE0_EEPmJS9_EEE10hipError_tPvRmT3_T4_T5_T6_T7_T9_mT8_P12ihipStream_tbDpT10_ENKUlT_T0_E_clISt17integral_constantIbLb0EES19_IbLb1EEEEDaS15_S16_EUlS15_E_NS1_11comp_targetILNS1_3genE2ELNS1_11target_archE906ELNS1_3gpuE6ELNS1_3repE0EEENS1_30default_config_static_selectorELNS0_4arch9wavefront6targetE1EEEvT1_,@function
_ZN7rocprim17ROCPRIM_400000_NS6detail17trampoline_kernelINS0_14default_configENS1_25partition_config_selectorILNS1_17partition_subalgoE9EllbEEZZNS1_14partition_implILS5_9ELb0ES3_jPlS8_PNS0_10empty_typeENS0_5tupleIJS8_S9_EEENSB_IJS8_SA_EEENS0_18inequality_wrapperIZN2at6native12_GLOBAL__N_124unique_dim_cuda_templateIhEESt5tupleIJNSF_6TensorESK_SK_EERKSK_lbbbEUlllE0_EEPmJS9_EEE10hipError_tPvRmT3_T4_T5_T6_T7_T9_mT8_P12ihipStream_tbDpT10_ENKUlT_T0_E_clISt17integral_constantIbLb0EES19_IbLb1EEEEDaS15_S16_EUlS15_E_NS1_11comp_targetILNS1_3genE2ELNS1_11target_archE906ELNS1_3gpuE6ELNS1_3repE0EEENS1_30default_config_static_selectorELNS0_4arch9wavefront6targetE1EEEvT1_: ; @_ZN7rocprim17ROCPRIM_400000_NS6detail17trampoline_kernelINS0_14default_configENS1_25partition_config_selectorILNS1_17partition_subalgoE9EllbEEZZNS1_14partition_implILS5_9ELb0ES3_jPlS8_PNS0_10empty_typeENS0_5tupleIJS8_S9_EEENSB_IJS8_SA_EEENS0_18inequality_wrapperIZN2at6native12_GLOBAL__N_124unique_dim_cuda_templateIhEESt5tupleIJNSF_6TensorESK_SK_EERKSK_lbbbEUlllE0_EEPmJS9_EEE10hipError_tPvRmT3_T4_T5_T6_T7_T9_mT8_P12ihipStream_tbDpT10_ENKUlT_T0_E_clISt17integral_constantIbLb0EES19_IbLb1EEEEDaS15_S16_EUlS15_E_NS1_11comp_targetILNS1_3genE2ELNS1_11target_archE906ELNS1_3gpuE6ELNS1_3repE0EEENS1_30default_config_static_selectorELNS0_4arch9wavefront6targetE1EEEvT1_
; %bb.0:
	.section	.rodata,"a",@progbits
	.p2align	6, 0x0
	.amdhsa_kernel _ZN7rocprim17ROCPRIM_400000_NS6detail17trampoline_kernelINS0_14default_configENS1_25partition_config_selectorILNS1_17partition_subalgoE9EllbEEZZNS1_14partition_implILS5_9ELb0ES3_jPlS8_PNS0_10empty_typeENS0_5tupleIJS8_S9_EEENSB_IJS8_SA_EEENS0_18inequality_wrapperIZN2at6native12_GLOBAL__N_124unique_dim_cuda_templateIhEESt5tupleIJNSF_6TensorESK_SK_EERKSK_lbbbEUlllE0_EEPmJS9_EEE10hipError_tPvRmT3_T4_T5_T6_T7_T9_mT8_P12ihipStream_tbDpT10_ENKUlT_T0_E_clISt17integral_constantIbLb0EES19_IbLb1EEEEDaS15_S16_EUlS15_E_NS1_11comp_targetILNS1_3genE2ELNS1_11target_archE906ELNS1_3gpuE6ELNS1_3repE0EEENS1_30default_config_static_selectorELNS0_4arch9wavefront6targetE1EEEvT1_
		.amdhsa_group_segment_fixed_size 0
		.amdhsa_private_segment_fixed_size 0
		.amdhsa_kernarg_size 136
		.amdhsa_user_sgpr_count 6
		.amdhsa_user_sgpr_private_segment_buffer 1
		.amdhsa_user_sgpr_dispatch_ptr 0
		.amdhsa_user_sgpr_queue_ptr 0
		.amdhsa_user_sgpr_kernarg_segment_ptr 1
		.amdhsa_user_sgpr_dispatch_id 0
		.amdhsa_user_sgpr_flat_scratch_init 0
		.amdhsa_user_sgpr_kernarg_preload_length 0
		.amdhsa_user_sgpr_kernarg_preload_offset 0
		.amdhsa_user_sgpr_private_segment_size 0
		.amdhsa_uses_dynamic_stack 0
		.amdhsa_system_sgpr_private_segment_wavefront_offset 0
		.amdhsa_system_sgpr_workgroup_id_x 1
		.amdhsa_system_sgpr_workgroup_id_y 0
		.amdhsa_system_sgpr_workgroup_id_z 0
		.amdhsa_system_sgpr_workgroup_info 0
		.amdhsa_system_vgpr_workitem_id 0
		.amdhsa_next_free_vgpr 1
		.amdhsa_next_free_sgpr 0
		.amdhsa_accum_offset 4
		.amdhsa_reserve_vcc 0
		.amdhsa_reserve_flat_scratch 0
		.amdhsa_float_round_mode_32 0
		.amdhsa_float_round_mode_16_64 0
		.amdhsa_float_denorm_mode_32 3
		.amdhsa_float_denorm_mode_16_64 3
		.amdhsa_dx10_clamp 1
		.amdhsa_ieee_mode 1
		.amdhsa_fp16_overflow 0
		.amdhsa_tg_split 0
		.amdhsa_exception_fp_ieee_invalid_op 0
		.amdhsa_exception_fp_denorm_src 0
		.amdhsa_exception_fp_ieee_div_zero 0
		.amdhsa_exception_fp_ieee_overflow 0
		.amdhsa_exception_fp_ieee_underflow 0
		.amdhsa_exception_fp_ieee_inexact 0
		.amdhsa_exception_int_div_zero 0
	.end_amdhsa_kernel
	.section	.text._ZN7rocprim17ROCPRIM_400000_NS6detail17trampoline_kernelINS0_14default_configENS1_25partition_config_selectorILNS1_17partition_subalgoE9EllbEEZZNS1_14partition_implILS5_9ELb0ES3_jPlS8_PNS0_10empty_typeENS0_5tupleIJS8_S9_EEENSB_IJS8_SA_EEENS0_18inequality_wrapperIZN2at6native12_GLOBAL__N_124unique_dim_cuda_templateIhEESt5tupleIJNSF_6TensorESK_SK_EERKSK_lbbbEUlllE0_EEPmJS9_EEE10hipError_tPvRmT3_T4_T5_T6_T7_T9_mT8_P12ihipStream_tbDpT10_ENKUlT_T0_E_clISt17integral_constantIbLb0EES19_IbLb1EEEEDaS15_S16_EUlS15_E_NS1_11comp_targetILNS1_3genE2ELNS1_11target_archE906ELNS1_3gpuE6ELNS1_3repE0EEENS1_30default_config_static_selectorELNS0_4arch9wavefront6targetE1EEEvT1_,"axG",@progbits,_ZN7rocprim17ROCPRIM_400000_NS6detail17trampoline_kernelINS0_14default_configENS1_25partition_config_selectorILNS1_17partition_subalgoE9EllbEEZZNS1_14partition_implILS5_9ELb0ES3_jPlS8_PNS0_10empty_typeENS0_5tupleIJS8_S9_EEENSB_IJS8_SA_EEENS0_18inequality_wrapperIZN2at6native12_GLOBAL__N_124unique_dim_cuda_templateIhEESt5tupleIJNSF_6TensorESK_SK_EERKSK_lbbbEUlllE0_EEPmJS9_EEE10hipError_tPvRmT3_T4_T5_T6_T7_T9_mT8_P12ihipStream_tbDpT10_ENKUlT_T0_E_clISt17integral_constantIbLb0EES19_IbLb1EEEEDaS15_S16_EUlS15_E_NS1_11comp_targetILNS1_3genE2ELNS1_11target_archE906ELNS1_3gpuE6ELNS1_3repE0EEENS1_30default_config_static_selectorELNS0_4arch9wavefront6targetE1EEEvT1_,comdat
.Lfunc_end232:
	.size	_ZN7rocprim17ROCPRIM_400000_NS6detail17trampoline_kernelINS0_14default_configENS1_25partition_config_selectorILNS1_17partition_subalgoE9EllbEEZZNS1_14partition_implILS5_9ELb0ES3_jPlS8_PNS0_10empty_typeENS0_5tupleIJS8_S9_EEENSB_IJS8_SA_EEENS0_18inequality_wrapperIZN2at6native12_GLOBAL__N_124unique_dim_cuda_templateIhEESt5tupleIJNSF_6TensorESK_SK_EERKSK_lbbbEUlllE0_EEPmJS9_EEE10hipError_tPvRmT3_T4_T5_T6_T7_T9_mT8_P12ihipStream_tbDpT10_ENKUlT_T0_E_clISt17integral_constantIbLb0EES19_IbLb1EEEEDaS15_S16_EUlS15_E_NS1_11comp_targetILNS1_3genE2ELNS1_11target_archE906ELNS1_3gpuE6ELNS1_3repE0EEENS1_30default_config_static_selectorELNS0_4arch9wavefront6targetE1EEEvT1_, .Lfunc_end232-_ZN7rocprim17ROCPRIM_400000_NS6detail17trampoline_kernelINS0_14default_configENS1_25partition_config_selectorILNS1_17partition_subalgoE9EllbEEZZNS1_14partition_implILS5_9ELb0ES3_jPlS8_PNS0_10empty_typeENS0_5tupleIJS8_S9_EEENSB_IJS8_SA_EEENS0_18inequality_wrapperIZN2at6native12_GLOBAL__N_124unique_dim_cuda_templateIhEESt5tupleIJNSF_6TensorESK_SK_EERKSK_lbbbEUlllE0_EEPmJS9_EEE10hipError_tPvRmT3_T4_T5_T6_T7_T9_mT8_P12ihipStream_tbDpT10_ENKUlT_T0_E_clISt17integral_constantIbLb0EES19_IbLb1EEEEDaS15_S16_EUlS15_E_NS1_11comp_targetILNS1_3genE2ELNS1_11target_archE906ELNS1_3gpuE6ELNS1_3repE0EEENS1_30default_config_static_selectorELNS0_4arch9wavefront6targetE1EEEvT1_
                                        ; -- End function
	.section	.AMDGPU.csdata,"",@progbits
; Kernel info:
; codeLenInByte = 0
; NumSgprs: 4
; NumVgprs: 0
; NumAgprs: 0
; TotalNumVgprs: 0
; ScratchSize: 0
; MemoryBound: 0
; FloatMode: 240
; IeeeMode: 1
; LDSByteSize: 0 bytes/workgroup (compile time only)
; SGPRBlocks: 0
; VGPRBlocks: 0
; NumSGPRsForWavesPerEU: 4
; NumVGPRsForWavesPerEU: 1
; AccumOffset: 4
; Occupancy: 8
; WaveLimiterHint : 0
; COMPUTE_PGM_RSRC2:SCRATCH_EN: 0
; COMPUTE_PGM_RSRC2:USER_SGPR: 6
; COMPUTE_PGM_RSRC2:TRAP_HANDLER: 0
; COMPUTE_PGM_RSRC2:TGID_X_EN: 1
; COMPUTE_PGM_RSRC2:TGID_Y_EN: 0
; COMPUTE_PGM_RSRC2:TGID_Z_EN: 0
; COMPUTE_PGM_RSRC2:TIDIG_COMP_CNT: 0
; COMPUTE_PGM_RSRC3_GFX90A:ACCUM_OFFSET: 0
; COMPUTE_PGM_RSRC3_GFX90A:TG_SPLIT: 0
	.section	.text._ZN7rocprim17ROCPRIM_400000_NS6detail17trampoline_kernelINS0_14default_configENS1_25partition_config_selectorILNS1_17partition_subalgoE9EllbEEZZNS1_14partition_implILS5_9ELb0ES3_jPlS8_PNS0_10empty_typeENS0_5tupleIJS8_S9_EEENSB_IJS8_SA_EEENS0_18inequality_wrapperIZN2at6native12_GLOBAL__N_124unique_dim_cuda_templateIhEESt5tupleIJNSF_6TensorESK_SK_EERKSK_lbbbEUlllE0_EEPmJS9_EEE10hipError_tPvRmT3_T4_T5_T6_T7_T9_mT8_P12ihipStream_tbDpT10_ENKUlT_T0_E_clISt17integral_constantIbLb0EES19_IbLb1EEEEDaS15_S16_EUlS15_E_NS1_11comp_targetILNS1_3genE10ELNS1_11target_archE1200ELNS1_3gpuE4ELNS1_3repE0EEENS1_30default_config_static_selectorELNS0_4arch9wavefront6targetE1EEEvT1_,"axG",@progbits,_ZN7rocprim17ROCPRIM_400000_NS6detail17trampoline_kernelINS0_14default_configENS1_25partition_config_selectorILNS1_17partition_subalgoE9EllbEEZZNS1_14partition_implILS5_9ELb0ES3_jPlS8_PNS0_10empty_typeENS0_5tupleIJS8_S9_EEENSB_IJS8_SA_EEENS0_18inequality_wrapperIZN2at6native12_GLOBAL__N_124unique_dim_cuda_templateIhEESt5tupleIJNSF_6TensorESK_SK_EERKSK_lbbbEUlllE0_EEPmJS9_EEE10hipError_tPvRmT3_T4_T5_T6_T7_T9_mT8_P12ihipStream_tbDpT10_ENKUlT_T0_E_clISt17integral_constantIbLb0EES19_IbLb1EEEEDaS15_S16_EUlS15_E_NS1_11comp_targetILNS1_3genE10ELNS1_11target_archE1200ELNS1_3gpuE4ELNS1_3repE0EEENS1_30default_config_static_selectorELNS0_4arch9wavefront6targetE1EEEvT1_,comdat
	.globl	_ZN7rocprim17ROCPRIM_400000_NS6detail17trampoline_kernelINS0_14default_configENS1_25partition_config_selectorILNS1_17partition_subalgoE9EllbEEZZNS1_14partition_implILS5_9ELb0ES3_jPlS8_PNS0_10empty_typeENS0_5tupleIJS8_S9_EEENSB_IJS8_SA_EEENS0_18inequality_wrapperIZN2at6native12_GLOBAL__N_124unique_dim_cuda_templateIhEESt5tupleIJNSF_6TensorESK_SK_EERKSK_lbbbEUlllE0_EEPmJS9_EEE10hipError_tPvRmT3_T4_T5_T6_T7_T9_mT8_P12ihipStream_tbDpT10_ENKUlT_T0_E_clISt17integral_constantIbLb0EES19_IbLb1EEEEDaS15_S16_EUlS15_E_NS1_11comp_targetILNS1_3genE10ELNS1_11target_archE1200ELNS1_3gpuE4ELNS1_3repE0EEENS1_30default_config_static_selectorELNS0_4arch9wavefront6targetE1EEEvT1_ ; -- Begin function _ZN7rocprim17ROCPRIM_400000_NS6detail17trampoline_kernelINS0_14default_configENS1_25partition_config_selectorILNS1_17partition_subalgoE9EllbEEZZNS1_14partition_implILS5_9ELb0ES3_jPlS8_PNS0_10empty_typeENS0_5tupleIJS8_S9_EEENSB_IJS8_SA_EEENS0_18inequality_wrapperIZN2at6native12_GLOBAL__N_124unique_dim_cuda_templateIhEESt5tupleIJNSF_6TensorESK_SK_EERKSK_lbbbEUlllE0_EEPmJS9_EEE10hipError_tPvRmT3_T4_T5_T6_T7_T9_mT8_P12ihipStream_tbDpT10_ENKUlT_T0_E_clISt17integral_constantIbLb0EES19_IbLb1EEEEDaS15_S16_EUlS15_E_NS1_11comp_targetILNS1_3genE10ELNS1_11target_archE1200ELNS1_3gpuE4ELNS1_3repE0EEENS1_30default_config_static_selectorELNS0_4arch9wavefront6targetE1EEEvT1_
	.p2align	8
	.type	_ZN7rocprim17ROCPRIM_400000_NS6detail17trampoline_kernelINS0_14default_configENS1_25partition_config_selectorILNS1_17partition_subalgoE9EllbEEZZNS1_14partition_implILS5_9ELb0ES3_jPlS8_PNS0_10empty_typeENS0_5tupleIJS8_S9_EEENSB_IJS8_SA_EEENS0_18inequality_wrapperIZN2at6native12_GLOBAL__N_124unique_dim_cuda_templateIhEESt5tupleIJNSF_6TensorESK_SK_EERKSK_lbbbEUlllE0_EEPmJS9_EEE10hipError_tPvRmT3_T4_T5_T6_T7_T9_mT8_P12ihipStream_tbDpT10_ENKUlT_T0_E_clISt17integral_constantIbLb0EES19_IbLb1EEEEDaS15_S16_EUlS15_E_NS1_11comp_targetILNS1_3genE10ELNS1_11target_archE1200ELNS1_3gpuE4ELNS1_3repE0EEENS1_30default_config_static_selectorELNS0_4arch9wavefront6targetE1EEEvT1_,@function
_ZN7rocprim17ROCPRIM_400000_NS6detail17trampoline_kernelINS0_14default_configENS1_25partition_config_selectorILNS1_17partition_subalgoE9EllbEEZZNS1_14partition_implILS5_9ELb0ES3_jPlS8_PNS0_10empty_typeENS0_5tupleIJS8_S9_EEENSB_IJS8_SA_EEENS0_18inequality_wrapperIZN2at6native12_GLOBAL__N_124unique_dim_cuda_templateIhEESt5tupleIJNSF_6TensorESK_SK_EERKSK_lbbbEUlllE0_EEPmJS9_EEE10hipError_tPvRmT3_T4_T5_T6_T7_T9_mT8_P12ihipStream_tbDpT10_ENKUlT_T0_E_clISt17integral_constantIbLb0EES19_IbLb1EEEEDaS15_S16_EUlS15_E_NS1_11comp_targetILNS1_3genE10ELNS1_11target_archE1200ELNS1_3gpuE4ELNS1_3repE0EEENS1_30default_config_static_selectorELNS0_4arch9wavefront6targetE1EEEvT1_: ; @_ZN7rocprim17ROCPRIM_400000_NS6detail17trampoline_kernelINS0_14default_configENS1_25partition_config_selectorILNS1_17partition_subalgoE9EllbEEZZNS1_14partition_implILS5_9ELb0ES3_jPlS8_PNS0_10empty_typeENS0_5tupleIJS8_S9_EEENSB_IJS8_SA_EEENS0_18inequality_wrapperIZN2at6native12_GLOBAL__N_124unique_dim_cuda_templateIhEESt5tupleIJNSF_6TensorESK_SK_EERKSK_lbbbEUlllE0_EEPmJS9_EEE10hipError_tPvRmT3_T4_T5_T6_T7_T9_mT8_P12ihipStream_tbDpT10_ENKUlT_T0_E_clISt17integral_constantIbLb0EES19_IbLb1EEEEDaS15_S16_EUlS15_E_NS1_11comp_targetILNS1_3genE10ELNS1_11target_archE1200ELNS1_3gpuE4ELNS1_3repE0EEENS1_30default_config_static_selectorELNS0_4arch9wavefront6targetE1EEEvT1_
; %bb.0:
	.section	.rodata,"a",@progbits
	.p2align	6, 0x0
	.amdhsa_kernel _ZN7rocprim17ROCPRIM_400000_NS6detail17trampoline_kernelINS0_14default_configENS1_25partition_config_selectorILNS1_17partition_subalgoE9EllbEEZZNS1_14partition_implILS5_9ELb0ES3_jPlS8_PNS0_10empty_typeENS0_5tupleIJS8_S9_EEENSB_IJS8_SA_EEENS0_18inequality_wrapperIZN2at6native12_GLOBAL__N_124unique_dim_cuda_templateIhEESt5tupleIJNSF_6TensorESK_SK_EERKSK_lbbbEUlllE0_EEPmJS9_EEE10hipError_tPvRmT3_T4_T5_T6_T7_T9_mT8_P12ihipStream_tbDpT10_ENKUlT_T0_E_clISt17integral_constantIbLb0EES19_IbLb1EEEEDaS15_S16_EUlS15_E_NS1_11comp_targetILNS1_3genE10ELNS1_11target_archE1200ELNS1_3gpuE4ELNS1_3repE0EEENS1_30default_config_static_selectorELNS0_4arch9wavefront6targetE1EEEvT1_
		.amdhsa_group_segment_fixed_size 0
		.amdhsa_private_segment_fixed_size 0
		.amdhsa_kernarg_size 136
		.amdhsa_user_sgpr_count 6
		.amdhsa_user_sgpr_private_segment_buffer 1
		.amdhsa_user_sgpr_dispatch_ptr 0
		.amdhsa_user_sgpr_queue_ptr 0
		.amdhsa_user_sgpr_kernarg_segment_ptr 1
		.amdhsa_user_sgpr_dispatch_id 0
		.amdhsa_user_sgpr_flat_scratch_init 0
		.amdhsa_user_sgpr_kernarg_preload_length 0
		.amdhsa_user_sgpr_kernarg_preload_offset 0
		.amdhsa_user_sgpr_private_segment_size 0
		.amdhsa_uses_dynamic_stack 0
		.amdhsa_system_sgpr_private_segment_wavefront_offset 0
		.amdhsa_system_sgpr_workgroup_id_x 1
		.amdhsa_system_sgpr_workgroup_id_y 0
		.amdhsa_system_sgpr_workgroup_id_z 0
		.amdhsa_system_sgpr_workgroup_info 0
		.amdhsa_system_vgpr_workitem_id 0
		.amdhsa_next_free_vgpr 1
		.amdhsa_next_free_sgpr 0
		.amdhsa_accum_offset 4
		.amdhsa_reserve_vcc 0
		.amdhsa_reserve_flat_scratch 0
		.amdhsa_float_round_mode_32 0
		.amdhsa_float_round_mode_16_64 0
		.amdhsa_float_denorm_mode_32 3
		.amdhsa_float_denorm_mode_16_64 3
		.amdhsa_dx10_clamp 1
		.amdhsa_ieee_mode 1
		.amdhsa_fp16_overflow 0
		.amdhsa_tg_split 0
		.amdhsa_exception_fp_ieee_invalid_op 0
		.amdhsa_exception_fp_denorm_src 0
		.amdhsa_exception_fp_ieee_div_zero 0
		.amdhsa_exception_fp_ieee_overflow 0
		.amdhsa_exception_fp_ieee_underflow 0
		.amdhsa_exception_fp_ieee_inexact 0
		.amdhsa_exception_int_div_zero 0
	.end_amdhsa_kernel
	.section	.text._ZN7rocprim17ROCPRIM_400000_NS6detail17trampoline_kernelINS0_14default_configENS1_25partition_config_selectorILNS1_17partition_subalgoE9EllbEEZZNS1_14partition_implILS5_9ELb0ES3_jPlS8_PNS0_10empty_typeENS0_5tupleIJS8_S9_EEENSB_IJS8_SA_EEENS0_18inequality_wrapperIZN2at6native12_GLOBAL__N_124unique_dim_cuda_templateIhEESt5tupleIJNSF_6TensorESK_SK_EERKSK_lbbbEUlllE0_EEPmJS9_EEE10hipError_tPvRmT3_T4_T5_T6_T7_T9_mT8_P12ihipStream_tbDpT10_ENKUlT_T0_E_clISt17integral_constantIbLb0EES19_IbLb1EEEEDaS15_S16_EUlS15_E_NS1_11comp_targetILNS1_3genE10ELNS1_11target_archE1200ELNS1_3gpuE4ELNS1_3repE0EEENS1_30default_config_static_selectorELNS0_4arch9wavefront6targetE1EEEvT1_,"axG",@progbits,_ZN7rocprim17ROCPRIM_400000_NS6detail17trampoline_kernelINS0_14default_configENS1_25partition_config_selectorILNS1_17partition_subalgoE9EllbEEZZNS1_14partition_implILS5_9ELb0ES3_jPlS8_PNS0_10empty_typeENS0_5tupleIJS8_S9_EEENSB_IJS8_SA_EEENS0_18inequality_wrapperIZN2at6native12_GLOBAL__N_124unique_dim_cuda_templateIhEESt5tupleIJNSF_6TensorESK_SK_EERKSK_lbbbEUlllE0_EEPmJS9_EEE10hipError_tPvRmT3_T4_T5_T6_T7_T9_mT8_P12ihipStream_tbDpT10_ENKUlT_T0_E_clISt17integral_constantIbLb0EES19_IbLb1EEEEDaS15_S16_EUlS15_E_NS1_11comp_targetILNS1_3genE10ELNS1_11target_archE1200ELNS1_3gpuE4ELNS1_3repE0EEENS1_30default_config_static_selectorELNS0_4arch9wavefront6targetE1EEEvT1_,comdat
.Lfunc_end233:
	.size	_ZN7rocprim17ROCPRIM_400000_NS6detail17trampoline_kernelINS0_14default_configENS1_25partition_config_selectorILNS1_17partition_subalgoE9EllbEEZZNS1_14partition_implILS5_9ELb0ES3_jPlS8_PNS0_10empty_typeENS0_5tupleIJS8_S9_EEENSB_IJS8_SA_EEENS0_18inequality_wrapperIZN2at6native12_GLOBAL__N_124unique_dim_cuda_templateIhEESt5tupleIJNSF_6TensorESK_SK_EERKSK_lbbbEUlllE0_EEPmJS9_EEE10hipError_tPvRmT3_T4_T5_T6_T7_T9_mT8_P12ihipStream_tbDpT10_ENKUlT_T0_E_clISt17integral_constantIbLb0EES19_IbLb1EEEEDaS15_S16_EUlS15_E_NS1_11comp_targetILNS1_3genE10ELNS1_11target_archE1200ELNS1_3gpuE4ELNS1_3repE0EEENS1_30default_config_static_selectorELNS0_4arch9wavefront6targetE1EEEvT1_, .Lfunc_end233-_ZN7rocprim17ROCPRIM_400000_NS6detail17trampoline_kernelINS0_14default_configENS1_25partition_config_selectorILNS1_17partition_subalgoE9EllbEEZZNS1_14partition_implILS5_9ELb0ES3_jPlS8_PNS0_10empty_typeENS0_5tupleIJS8_S9_EEENSB_IJS8_SA_EEENS0_18inequality_wrapperIZN2at6native12_GLOBAL__N_124unique_dim_cuda_templateIhEESt5tupleIJNSF_6TensorESK_SK_EERKSK_lbbbEUlllE0_EEPmJS9_EEE10hipError_tPvRmT3_T4_T5_T6_T7_T9_mT8_P12ihipStream_tbDpT10_ENKUlT_T0_E_clISt17integral_constantIbLb0EES19_IbLb1EEEEDaS15_S16_EUlS15_E_NS1_11comp_targetILNS1_3genE10ELNS1_11target_archE1200ELNS1_3gpuE4ELNS1_3repE0EEENS1_30default_config_static_selectorELNS0_4arch9wavefront6targetE1EEEvT1_
                                        ; -- End function
	.section	.AMDGPU.csdata,"",@progbits
; Kernel info:
; codeLenInByte = 0
; NumSgprs: 4
; NumVgprs: 0
; NumAgprs: 0
; TotalNumVgprs: 0
; ScratchSize: 0
; MemoryBound: 0
; FloatMode: 240
; IeeeMode: 1
; LDSByteSize: 0 bytes/workgroup (compile time only)
; SGPRBlocks: 0
; VGPRBlocks: 0
; NumSGPRsForWavesPerEU: 4
; NumVGPRsForWavesPerEU: 1
; AccumOffset: 4
; Occupancy: 8
; WaveLimiterHint : 0
; COMPUTE_PGM_RSRC2:SCRATCH_EN: 0
; COMPUTE_PGM_RSRC2:USER_SGPR: 6
; COMPUTE_PGM_RSRC2:TRAP_HANDLER: 0
; COMPUTE_PGM_RSRC2:TGID_X_EN: 1
; COMPUTE_PGM_RSRC2:TGID_Y_EN: 0
; COMPUTE_PGM_RSRC2:TGID_Z_EN: 0
; COMPUTE_PGM_RSRC2:TIDIG_COMP_CNT: 0
; COMPUTE_PGM_RSRC3_GFX90A:ACCUM_OFFSET: 0
; COMPUTE_PGM_RSRC3_GFX90A:TG_SPLIT: 0
	.section	.text._ZN7rocprim17ROCPRIM_400000_NS6detail17trampoline_kernelINS0_14default_configENS1_25partition_config_selectorILNS1_17partition_subalgoE9EllbEEZZNS1_14partition_implILS5_9ELb0ES3_jPlS8_PNS0_10empty_typeENS0_5tupleIJS8_S9_EEENSB_IJS8_SA_EEENS0_18inequality_wrapperIZN2at6native12_GLOBAL__N_124unique_dim_cuda_templateIhEESt5tupleIJNSF_6TensorESK_SK_EERKSK_lbbbEUlllE0_EEPmJS9_EEE10hipError_tPvRmT3_T4_T5_T6_T7_T9_mT8_P12ihipStream_tbDpT10_ENKUlT_T0_E_clISt17integral_constantIbLb0EES19_IbLb1EEEEDaS15_S16_EUlS15_E_NS1_11comp_targetILNS1_3genE9ELNS1_11target_archE1100ELNS1_3gpuE3ELNS1_3repE0EEENS1_30default_config_static_selectorELNS0_4arch9wavefront6targetE1EEEvT1_,"axG",@progbits,_ZN7rocprim17ROCPRIM_400000_NS6detail17trampoline_kernelINS0_14default_configENS1_25partition_config_selectorILNS1_17partition_subalgoE9EllbEEZZNS1_14partition_implILS5_9ELb0ES3_jPlS8_PNS0_10empty_typeENS0_5tupleIJS8_S9_EEENSB_IJS8_SA_EEENS0_18inequality_wrapperIZN2at6native12_GLOBAL__N_124unique_dim_cuda_templateIhEESt5tupleIJNSF_6TensorESK_SK_EERKSK_lbbbEUlllE0_EEPmJS9_EEE10hipError_tPvRmT3_T4_T5_T6_T7_T9_mT8_P12ihipStream_tbDpT10_ENKUlT_T0_E_clISt17integral_constantIbLb0EES19_IbLb1EEEEDaS15_S16_EUlS15_E_NS1_11comp_targetILNS1_3genE9ELNS1_11target_archE1100ELNS1_3gpuE3ELNS1_3repE0EEENS1_30default_config_static_selectorELNS0_4arch9wavefront6targetE1EEEvT1_,comdat
	.globl	_ZN7rocprim17ROCPRIM_400000_NS6detail17trampoline_kernelINS0_14default_configENS1_25partition_config_selectorILNS1_17partition_subalgoE9EllbEEZZNS1_14partition_implILS5_9ELb0ES3_jPlS8_PNS0_10empty_typeENS0_5tupleIJS8_S9_EEENSB_IJS8_SA_EEENS0_18inequality_wrapperIZN2at6native12_GLOBAL__N_124unique_dim_cuda_templateIhEESt5tupleIJNSF_6TensorESK_SK_EERKSK_lbbbEUlllE0_EEPmJS9_EEE10hipError_tPvRmT3_T4_T5_T6_T7_T9_mT8_P12ihipStream_tbDpT10_ENKUlT_T0_E_clISt17integral_constantIbLb0EES19_IbLb1EEEEDaS15_S16_EUlS15_E_NS1_11comp_targetILNS1_3genE9ELNS1_11target_archE1100ELNS1_3gpuE3ELNS1_3repE0EEENS1_30default_config_static_selectorELNS0_4arch9wavefront6targetE1EEEvT1_ ; -- Begin function _ZN7rocprim17ROCPRIM_400000_NS6detail17trampoline_kernelINS0_14default_configENS1_25partition_config_selectorILNS1_17partition_subalgoE9EllbEEZZNS1_14partition_implILS5_9ELb0ES3_jPlS8_PNS0_10empty_typeENS0_5tupleIJS8_S9_EEENSB_IJS8_SA_EEENS0_18inequality_wrapperIZN2at6native12_GLOBAL__N_124unique_dim_cuda_templateIhEESt5tupleIJNSF_6TensorESK_SK_EERKSK_lbbbEUlllE0_EEPmJS9_EEE10hipError_tPvRmT3_T4_T5_T6_T7_T9_mT8_P12ihipStream_tbDpT10_ENKUlT_T0_E_clISt17integral_constantIbLb0EES19_IbLb1EEEEDaS15_S16_EUlS15_E_NS1_11comp_targetILNS1_3genE9ELNS1_11target_archE1100ELNS1_3gpuE3ELNS1_3repE0EEENS1_30default_config_static_selectorELNS0_4arch9wavefront6targetE1EEEvT1_
	.p2align	8
	.type	_ZN7rocprim17ROCPRIM_400000_NS6detail17trampoline_kernelINS0_14default_configENS1_25partition_config_selectorILNS1_17partition_subalgoE9EllbEEZZNS1_14partition_implILS5_9ELb0ES3_jPlS8_PNS0_10empty_typeENS0_5tupleIJS8_S9_EEENSB_IJS8_SA_EEENS0_18inequality_wrapperIZN2at6native12_GLOBAL__N_124unique_dim_cuda_templateIhEESt5tupleIJNSF_6TensorESK_SK_EERKSK_lbbbEUlllE0_EEPmJS9_EEE10hipError_tPvRmT3_T4_T5_T6_T7_T9_mT8_P12ihipStream_tbDpT10_ENKUlT_T0_E_clISt17integral_constantIbLb0EES19_IbLb1EEEEDaS15_S16_EUlS15_E_NS1_11comp_targetILNS1_3genE9ELNS1_11target_archE1100ELNS1_3gpuE3ELNS1_3repE0EEENS1_30default_config_static_selectorELNS0_4arch9wavefront6targetE1EEEvT1_,@function
_ZN7rocprim17ROCPRIM_400000_NS6detail17trampoline_kernelINS0_14default_configENS1_25partition_config_selectorILNS1_17partition_subalgoE9EllbEEZZNS1_14partition_implILS5_9ELb0ES3_jPlS8_PNS0_10empty_typeENS0_5tupleIJS8_S9_EEENSB_IJS8_SA_EEENS0_18inequality_wrapperIZN2at6native12_GLOBAL__N_124unique_dim_cuda_templateIhEESt5tupleIJNSF_6TensorESK_SK_EERKSK_lbbbEUlllE0_EEPmJS9_EEE10hipError_tPvRmT3_T4_T5_T6_T7_T9_mT8_P12ihipStream_tbDpT10_ENKUlT_T0_E_clISt17integral_constantIbLb0EES19_IbLb1EEEEDaS15_S16_EUlS15_E_NS1_11comp_targetILNS1_3genE9ELNS1_11target_archE1100ELNS1_3gpuE3ELNS1_3repE0EEENS1_30default_config_static_selectorELNS0_4arch9wavefront6targetE1EEEvT1_: ; @_ZN7rocprim17ROCPRIM_400000_NS6detail17trampoline_kernelINS0_14default_configENS1_25partition_config_selectorILNS1_17partition_subalgoE9EllbEEZZNS1_14partition_implILS5_9ELb0ES3_jPlS8_PNS0_10empty_typeENS0_5tupleIJS8_S9_EEENSB_IJS8_SA_EEENS0_18inequality_wrapperIZN2at6native12_GLOBAL__N_124unique_dim_cuda_templateIhEESt5tupleIJNSF_6TensorESK_SK_EERKSK_lbbbEUlllE0_EEPmJS9_EEE10hipError_tPvRmT3_T4_T5_T6_T7_T9_mT8_P12ihipStream_tbDpT10_ENKUlT_T0_E_clISt17integral_constantIbLb0EES19_IbLb1EEEEDaS15_S16_EUlS15_E_NS1_11comp_targetILNS1_3genE9ELNS1_11target_archE1100ELNS1_3gpuE3ELNS1_3repE0EEENS1_30default_config_static_selectorELNS0_4arch9wavefront6targetE1EEEvT1_
; %bb.0:
	.section	.rodata,"a",@progbits
	.p2align	6, 0x0
	.amdhsa_kernel _ZN7rocprim17ROCPRIM_400000_NS6detail17trampoline_kernelINS0_14default_configENS1_25partition_config_selectorILNS1_17partition_subalgoE9EllbEEZZNS1_14partition_implILS5_9ELb0ES3_jPlS8_PNS0_10empty_typeENS0_5tupleIJS8_S9_EEENSB_IJS8_SA_EEENS0_18inequality_wrapperIZN2at6native12_GLOBAL__N_124unique_dim_cuda_templateIhEESt5tupleIJNSF_6TensorESK_SK_EERKSK_lbbbEUlllE0_EEPmJS9_EEE10hipError_tPvRmT3_T4_T5_T6_T7_T9_mT8_P12ihipStream_tbDpT10_ENKUlT_T0_E_clISt17integral_constantIbLb0EES19_IbLb1EEEEDaS15_S16_EUlS15_E_NS1_11comp_targetILNS1_3genE9ELNS1_11target_archE1100ELNS1_3gpuE3ELNS1_3repE0EEENS1_30default_config_static_selectorELNS0_4arch9wavefront6targetE1EEEvT1_
		.amdhsa_group_segment_fixed_size 0
		.amdhsa_private_segment_fixed_size 0
		.amdhsa_kernarg_size 136
		.amdhsa_user_sgpr_count 6
		.amdhsa_user_sgpr_private_segment_buffer 1
		.amdhsa_user_sgpr_dispatch_ptr 0
		.amdhsa_user_sgpr_queue_ptr 0
		.amdhsa_user_sgpr_kernarg_segment_ptr 1
		.amdhsa_user_sgpr_dispatch_id 0
		.amdhsa_user_sgpr_flat_scratch_init 0
		.amdhsa_user_sgpr_kernarg_preload_length 0
		.amdhsa_user_sgpr_kernarg_preload_offset 0
		.amdhsa_user_sgpr_private_segment_size 0
		.amdhsa_uses_dynamic_stack 0
		.amdhsa_system_sgpr_private_segment_wavefront_offset 0
		.amdhsa_system_sgpr_workgroup_id_x 1
		.amdhsa_system_sgpr_workgroup_id_y 0
		.amdhsa_system_sgpr_workgroup_id_z 0
		.amdhsa_system_sgpr_workgroup_info 0
		.amdhsa_system_vgpr_workitem_id 0
		.amdhsa_next_free_vgpr 1
		.amdhsa_next_free_sgpr 0
		.amdhsa_accum_offset 4
		.amdhsa_reserve_vcc 0
		.amdhsa_reserve_flat_scratch 0
		.amdhsa_float_round_mode_32 0
		.amdhsa_float_round_mode_16_64 0
		.amdhsa_float_denorm_mode_32 3
		.amdhsa_float_denorm_mode_16_64 3
		.amdhsa_dx10_clamp 1
		.amdhsa_ieee_mode 1
		.amdhsa_fp16_overflow 0
		.amdhsa_tg_split 0
		.amdhsa_exception_fp_ieee_invalid_op 0
		.amdhsa_exception_fp_denorm_src 0
		.amdhsa_exception_fp_ieee_div_zero 0
		.amdhsa_exception_fp_ieee_overflow 0
		.amdhsa_exception_fp_ieee_underflow 0
		.amdhsa_exception_fp_ieee_inexact 0
		.amdhsa_exception_int_div_zero 0
	.end_amdhsa_kernel
	.section	.text._ZN7rocprim17ROCPRIM_400000_NS6detail17trampoline_kernelINS0_14default_configENS1_25partition_config_selectorILNS1_17partition_subalgoE9EllbEEZZNS1_14partition_implILS5_9ELb0ES3_jPlS8_PNS0_10empty_typeENS0_5tupleIJS8_S9_EEENSB_IJS8_SA_EEENS0_18inequality_wrapperIZN2at6native12_GLOBAL__N_124unique_dim_cuda_templateIhEESt5tupleIJNSF_6TensorESK_SK_EERKSK_lbbbEUlllE0_EEPmJS9_EEE10hipError_tPvRmT3_T4_T5_T6_T7_T9_mT8_P12ihipStream_tbDpT10_ENKUlT_T0_E_clISt17integral_constantIbLb0EES19_IbLb1EEEEDaS15_S16_EUlS15_E_NS1_11comp_targetILNS1_3genE9ELNS1_11target_archE1100ELNS1_3gpuE3ELNS1_3repE0EEENS1_30default_config_static_selectorELNS0_4arch9wavefront6targetE1EEEvT1_,"axG",@progbits,_ZN7rocprim17ROCPRIM_400000_NS6detail17trampoline_kernelINS0_14default_configENS1_25partition_config_selectorILNS1_17partition_subalgoE9EllbEEZZNS1_14partition_implILS5_9ELb0ES3_jPlS8_PNS0_10empty_typeENS0_5tupleIJS8_S9_EEENSB_IJS8_SA_EEENS0_18inequality_wrapperIZN2at6native12_GLOBAL__N_124unique_dim_cuda_templateIhEESt5tupleIJNSF_6TensorESK_SK_EERKSK_lbbbEUlllE0_EEPmJS9_EEE10hipError_tPvRmT3_T4_T5_T6_T7_T9_mT8_P12ihipStream_tbDpT10_ENKUlT_T0_E_clISt17integral_constantIbLb0EES19_IbLb1EEEEDaS15_S16_EUlS15_E_NS1_11comp_targetILNS1_3genE9ELNS1_11target_archE1100ELNS1_3gpuE3ELNS1_3repE0EEENS1_30default_config_static_selectorELNS0_4arch9wavefront6targetE1EEEvT1_,comdat
.Lfunc_end234:
	.size	_ZN7rocprim17ROCPRIM_400000_NS6detail17trampoline_kernelINS0_14default_configENS1_25partition_config_selectorILNS1_17partition_subalgoE9EllbEEZZNS1_14partition_implILS5_9ELb0ES3_jPlS8_PNS0_10empty_typeENS0_5tupleIJS8_S9_EEENSB_IJS8_SA_EEENS0_18inequality_wrapperIZN2at6native12_GLOBAL__N_124unique_dim_cuda_templateIhEESt5tupleIJNSF_6TensorESK_SK_EERKSK_lbbbEUlllE0_EEPmJS9_EEE10hipError_tPvRmT3_T4_T5_T6_T7_T9_mT8_P12ihipStream_tbDpT10_ENKUlT_T0_E_clISt17integral_constantIbLb0EES19_IbLb1EEEEDaS15_S16_EUlS15_E_NS1_11comp_targetILNS1_3genE9ELNS1_11target_archE1100ELNS1_3gpuE3ELNS1_3repE0EEENS1_30default_config_static_selectorELNS0_4arch9wavefront6targetE1EEEvT1_, .Lfunc_end234-_ZN7rocprim17ROCPRIM_400000_NS6detail17trampoline_kernelINS0_14default_configENS1_25partition_config_selectorILNS1_17partition_subalgoE9EllbEEZZNS1_14partition_implILS5_9ELb0ES3_jPlS8_PNS0_10empty_typeENS0_5tupleIJS8_S9_EEENSB_IJS8_SA_EEENS0_18inequality_wrapperIZN2at6native12_GLOBAL__N_124unique_dim_cuda_templateIhEESt5tupleIJNSF_6TensorESK_SK_EERKSK_lbbbEUlllE0_EEPmJS9_EEE10hipError_tPvRmT3_T4_T5_T6_T7_T9_mT8_P12ihipStream_tbDpT10_ENKUlT_T0_E_clISt17integral_constantIbLb0EES19_IbLb1EEEEDaS15_S16_EUlS15_E_NS1_11comp_targetILNS1_3genE9ELNS1_11target_archE1100ELNS1_3gpuE3ELNS1_3repE0EEENS1_30default_config_static_selectorELNS0_4arch9wavefront6targetE1EEEvT1_
                                        ; -- End function
	.section	.AMDGPU.csdata,"",@progbits
; Kernel info:
; codeLenInByte = 0
; NumSgprs: 4
; NumVgprs: 0
; NumAgprs: 0
; TotalNumVgprs: 0
; ScratchSize: 0
; MemoryBound: 0
; FloatMode: 240
; IeeeMode: 1
; LDSByteSize: 0 bytes/workgroup (compile time only)
; SGPRBlocks: 0
; VGPRBlocks: 0
; NumSGPRsForWavesPerEU: 4
; NumVGPRsForWavesPerEU: 1
; AccumOffset: 4
; Occupancy: 8
; WaveLimiterHint : 0
; COMPUTE_PGM_RSRC2:SCRATCH_EN: 0
; COMPUTE_PGM_RSRC2:USER_SGPR: 6
; COMPUTE_PGM_RSRC2:TRAP_HANDLER: 0
; COMPUTE_PGM_RSRC2:TGID_X_EN: 1
; COMPUTE_PGM_RSRC2:TGID_Y_EN: 0
; COMPUTE_PGM_RSRC2:TGID_Z_EN: 0
; COMPUTE_PGM_RSRC2:TIDIG_COMP_CNT: 0
; COMPUTE_PGM_RSRC3_GFX90A:ACCUM_OFFSET: 0
; COMPUTE_PGM_RSRC3_GFX90A:TG_SPLIT: 0
	.section	.text._ZN7rocprim17ROCPRIM_400000_NS6detail17trampoline_kernelINS0_14default_configENS1_25partition_config_selectorILNS1_17partition_subalgoE9EllbEEZZNS1_14partition_implILS5_9ELb0ES3_jPlS8_PNS0_10empty_typeENS0_5tupleIJS8_S9_EEENSB_IJS8_SA_EEENS0_18inequality_wrapperIZN2at6native12_GLOBAL__N_124unique_dim_cuda_templateIhEESt5tupleIJNSF_6TensorESK_SK_EERKSK_lbbbEUlllE0_EEPmJS9_EEE10hipError_tPvRmT3_T4_T5_T6_T7_T9_mT8_P12ihipStream_tbDpT10_ENKUlT_T0_E_clISt17integral_constantIbLb0EES19_IbLb1EEEEDaS15_S16_EUlS15_E_NS1_11comp_targetILNS1_3genE8ELNS1_11target_archE1030ELNS1_3gpuE2ELNS1_3repE0EEENS1_30default_config_static_selectorELNS0_4arch9wavefront6targetE1EEEvT1_,"axG",@progbits,_ZN7rocprim17ROCPRIM_400000_NS6detail17trampoline_kernelINS0_14default_configENS1_25partition_config_selectorILNS1_17partition_subalgoE9EllbEEZZNS1_14partition_implILS5_9ELb0ES3_jPlS8_PNS0_10empty_typeENS0_5tupleIJS8_S9_EEENSB_IJS8_SA_EEENS0_18inequality_wrapperIZN2at6native12_GLOBAL__N_124unique_dim_cuda_templateIhEESt5tupleIJNSF_6TensorESK_SK_EERKSK_lbbbEUlllE0_EEPmJS9_EEE10hipError_tPvRmT3_T4_T5_T6_T7_T9_mT8_P12ihipStream_tbDpT10_ENKUlT_T0_E_clISt17integral_constantIbLb0EES19_IbLb1EEEEDaS15_S16_EUlS15_E_NS1_11comp_targetILNS1_3genE8ELNS1_11target_archE1030ELNS1_3gpuE2ELNS1_3repE0EEENS1_30default_config_static_selectorELNS0_4arch9wavefront6targetE1EEEvT1_,comdat
	.globl	_ZN7rocprim17ROCPRIM_400000_NS6detail17trampoline_kernelINS0_14default_configENS1_25partition_config_selectorILNS1_17partition_subalgoE9EllbEEZZNS1_14partition_implILS5_9ELb0ES3_jPlS8_PNS0_10empty_typeENS0_5tupleIJS8_S9_EEENSB_IJS8_SA_EEENS0_18inequality_wrapperIZN2at6native12_GLOBAL__N_124unique_dim_cuda_templateIhEESt5tupleIJNSF_6TensorESK_SK_EERKSK_lbbbEUlllE0_EEPmJS9_EEE10hipError_tPvRmT3_T4_T5_T6_T7_T9_mT8_P12ihipStream_tbDpT10_ENKUlT_T0_E_clISt17integral_constantIbLb0EES19_IbLb1EEEEDaS15_S16_EUlS15_E_NS1_11comp_targetILNS1_3genE8ELNS1_11target_archE1030ELNS1_3gpuE2ELNS1_3repE0EEENS1_30default_config_static_selectorELNS0_4arch9wavefront6targetE1EEEvT1_ ; -- Begin function _ZN7rocprim17ROCPRIM_400000_NS6detail17trampoline_kernelINS0_14default_configENS1_25partition_config_selectorILNS1_17partition_subalgoE9EllbEEZZNS1_14partition_implILS5_9ELb0ES3_jPlS8_PNS0_10empty_typeENS0_5tupleIJS8_S9_EEENSB_IJS8_SA_EEENS0_18inequality_wrapperIZN2at6native12_GLOBAL__N_124unique_dim_cuda_templateIhEESt5tupleIJNSF_6TensorESK_SK_EERKSK_lbbbEUlllE0_EEPmJS9_EEE10hipError_tPvRmT3_T4_T5_T6_T7_T9_mT8_P12ihipStream_tbDpT10_ENKUlT_T0_E_clISt17integral_constantIbLb0EES19_IbLb1EEEEDaS15_S16_EUlS15_E_NS1_11comp_targetILNS1_3genE8ELNS1_11target_archE1030ELNS1_3gpuE2ELNS1_3repE0EEENS1_30default_config_static_selectorELNS0_4arch9wavefront6targetE1EEEvT1_
	.p2align	8
	.type	_ZN7rocprim17ROCPRIM_400000_NS6detail17trampoline_kernelINS0_14default_configENS1_25partition_config_selectorILNS1_17partition_subalgoE9EllbEEZZNS1_14partition_implILS5_9ELb0ES3_jPlS8_PNS0_10empty_typeENS0_5tupleIJS8_S9_EEENSB_IJS8_SA_EEENS0_18inequality_wrapperIZN2at6native12_GLOBAL__N_124unique_dim_cuda_templateIhEESt5tupleIJNSF_6TensorESK_SK_EERKSK_lbbbEUlllE0_EEPmJS9_EEE10hipError_tPvRmT3_T4_T5_T6_T7_T9_mT8_P12ihipStream_tbDpT10_ENKUlT_T0_E_clISt17integral_constantIbLb0EES19_IbLb1EEEEDaS15_S16_EUlS15_E_NS1_11comp_targetILNS1_3genE8ELNS1_11target_archE1030ELNS1_3gpuE2ELNS1_3repE0EEENS1_30default_config_static_selectorELNS0_4arch9wavefront6targetE1EEEvT1_,@function
_ZN7rocprim17ROCPRIM_400000_NS6detail17trampoline_kernelINS0_14default_configENS1_25partition_config_selectorILNS1_17partition_subalgoE9EllbEEZZNS1_14partition_implILS5_9ELb0ES3_jPlS8_PNS0_10empty_typeENS0_5tupleIJS8_S9_EEENSB_IJS8_SA_EEENS0_18inequality_wrapperIZN2at6native12_GLOBAL__N_124unique_dim_cuda_templateIhEESt5tupleIJNSF_6TensorESK_SK_EERKSK_lbbbEUlllE0_EEPmJS9_EEE10hipError_tPvRmT3_T4_T5_T6_T7_T9_mT8_P12ihipStream_tbDpT10_ENKUlT_T0_E_clISt17integral_constantIbLb0EES19_IbLb1EEEEDaS15_S16_EUlS15_E_NS1_11comp_targetILNS1_3genE8ELNS1_11target_archE1030ELNS1_3gpuE2ELNS1_3repE0EEENS1_30default_config_static_selectorELNS0_4arch9wavefront6targetE1EEEvT1_: ; @_ZN7rocprim17ROCPRIM_400000_NS6detail17trampoline_kernelINS0_14default_configENS1_25partition_config_selectorILNS1_17partition_subalgoE9EllbEEZZNS1_14partition_implILS5_9ELb0ES3_jPlS8_PNS0_10empty_typeENS0_5tupleIJS8_S9_EEENSB_IJS8_SA_EEENS0_18inequality_wrapperIZN2at6native12_GLOBAL__N_124unique_dim_cuda_templateIhEESt5tupleIJNSF_6TensorESK_SK_EERKSK_lbbbEUlllE0_EEPmJS9_EEE10hipError_tPvRmT3_T4_T5_T6_T7_T9_mT8_P12ihipStream_tbDpT10_ENKUlT_T0_E_clISt17integral_constantIbLb0EES19_IbLb1EEEEDaS15_S16_EUlS15_E_NS1_11comp_targetILNS1_3genE8ELNS1_11target_archE1030ELNS1_3gpuE2ELNS1_3repE0EEENS1_30default_config_static_selectorELNS0_4arch9wavefront6targetE1EEEvT1_
; %bb.0:
	.section	.rodata,"a",@progbits
	.p2align	6, 0x0
	.amdhsa_kernel _ZN7rocprim17ROCPRIM_400000_NS6detail17trampoline_kernelINS0_14default_configENS1_25partition_config_selectorILNS1_17partition_subalgoE9EllbEEZZNS1_14partition_implILS5_9ELb0ES3_jPlS8_PNS0_10empty_typeENS0_5tupleIJS8_S9_EEENSB_IJS8_SA_EEENS0_18inequality_wrapperIZN2at6native12_GLOBAL__N_124unique_dim_cuda_templateIhEESt5tupleIJNSF_6TensorESK_SK_EERKSK_lbbbEUlllE0_EEPmJS9_EEE10hipError_tPvRmT3_T4_T5_T6_T7_T9_mT8_P12ihipStream_tbDpT10_ENKUlT_T0_E_clISt17integral_constantIbLb0EES19_IbLb1EEEEDaS15_S16_EUlS15_E_NS1_11comp_targetILNS1_3genE8ELNS1_11target_archE1030ELNS1_3gpuE2ELNS1_3repE0EEENS1_30default_config_static_selectorELNS0_4arch9wavefront6targetE1EEEvT1_
		.amdhsa_group_segment_fixed_size 0
		.amdhsa_private_segment_fixed_size 0
		.amdhsa_kernarg_size 136
		.amdhsa_user_sgpr_count 6
		.amdhsa_user_sgpr_private_segment_buffer 1
		.amdhsa_user_sgpr_dispatch_ptr 0
		.amdhsa_user_sgpr_queue_ptr 0
		.amdhsa_user_sgpr_kernarg_segment_ptr 1
		.amdhsa_user_sgpr_dispatch_id 0
		.amdhsa_user_sgpr_flat_scratch_init 0
		.amdhsa_user_sgpr_kernarg_preload_length 0
		.amdhsa_user_sgpr_kernarg_preload_offset 0
		.amdhsa_user_sgpr_private_segment_size 0
		.amdhsa_uses_dynamic_stack 0
		.amdhsa_system_sgpr_private_segment_wavefront_offset 0
		.amdhsa_system_sgpr_workgroup_id_x 1
		.amdhsa_system_sgpr_workgroup_id_y 0
		.amdhsa_system_sgpr_workgroup_id_z 0
		.amdhsa_system_sgpr_workgroup_info 0
		.amdhsa_system_vgpr_workitem_id 0
		.amdhsa_next_free_vgpr 1
		.amdhsa_next_free_sgpr 0
		.amdhsa_accum_offset 4
		.amdhsa_reserve_vcc 0
		.amdhsa_reserve_flat_scratch 0
		.amdhsa_float_round_mode_32 0
		.amdhsa_float_round_mode_16_64 0
		.amdhsa_float_denorm_mode_32 3
		.amdhsa_float_denorm_mode_16_64 3
		.amdhsa_dx10_clamp 1
		.amdhsa_ieee_mode 1
		.amdhsa_fp16_overflow 0
		.amdhsa_tg_split 0
		.amdhsa_exception_fp_ieee_invalid_op 0
		.amdhsa_exception_fp_denorm_src 0
		.amdhsa_exception_fp_ieee_div_zero 0
		.amdhsa_exception_fp_ieee_overflow 0
		.amdhsa_exception_fp_ieee_underflow 0
		.amdhsa_exception_fp_ieee_inexact 0
		.amdhsa_exception_int_div_zero 0
	.end_amdhsa_kernel
	.section	.text._ZN7rocprim17ROCPRIM_400000_NS6detail17trampoline_kernelINS0_14default_configENS1_25partition_config_selectorILNS1_17partition_subalgoE9EllbEEZZNS1_14partition_implILS5_9ELb0ES3_jPlS8_PNS0_10empty_typeENS0_5tupleIJS8_S9_EEENSB_IJS8_SA_EEENS0_18inequality_wrapperIZN2at6native12_GLOBAL__N_124unique_dim_cuda_templateIhEESt5tupleIJNSF_6TensorESK_SK_EERKSK_lbbbEUlllE0_EEPmJS9_EEE10hipError_tPvRmT3_T4_T5_T6_T7_T9_mT8_P12ihipStream_tbDpT10_ENKUlT_T0_E_clISt17integral_constantIbLb0EES19_IbLb1EEEEDaS15_S16_EUlS15_E_NS1_11comp_targetILNS1_3genE8ELNS1_11target_archE1030ELNS1_3gpuE2ELNS1_3repE0EEENS1_30default_config_static_selectorELNS0_4arch9wavefront6targetE1EEEvT1_,"axG",@progbits,_ZN7rocprim17ROCPRIM_400000_NS6detail17trampoline_kernelINS0_14default_configENS1_25partition_config_selectorILNS1_17partition_subalgoE9EllbEEZZNS1_14partition_implILS5_9ELb0ES3_jPlS8_PNS0_10empty_typeENS0_5tupleIJS8_S9_EEENSB_IJS8_SA_EEENS0_18inequality_wrapperIZN2at6native12_GLOBAL__N_124unique_dim_cuda_templateIhEESt5tupleIJNSF_6TensorESK_SK_EERKSK_lbbbEUlllE0_EEPmJS9_EEE10hipError_tPvRmT3_T4_T5_T6_T7_T9_mT8_P12ihipStream_tbDpT10_ENKUlT_T0_E_clISt17integral_constantIbLb0EES19_IbLb1EEEEDaS15_S16_EUlS15_E_NS1_11comp_targetILNS1_3genE8ELNS1_11target_archE1030ELNS1_3gpuE2ELNS1_3repE0EEENS1_30default_config_static_selectorELNS0_4arch9wavefront6targetE1EEEvT1_,comdat
.Lfunc_end235:
	.size	_ZN7rocprim17ROCPRIM_400000_NS6detail17trampoline_kernelINS0_14default_configENS1_25partition_config_selectorILNS1_17partition_subalgoE9EllbEEZZNS1_14partition_implILS5_9ELb0ES3_jPlS8_PNS0_10empty_typeENS0_5tupleIJS8_S9_EEENSB_IJS8_SA_EEENS0_18inequality_wrapperIZN2at6native12_GLOBAL__N_124unique_dim_cuda_templateIhEESt5tupleIJNSF_6TensorESK_SK_EERKSK_lbbbEUlllE0_EEPmJS9_EEE10hipError_tPvRmT3_T4_T5_T6_T7_T9_mT8_P12ihipStream_tbDpT10_ENKUlT_T0_E_clISt17integral_constantIbLb0EES19_IbLb1EEEEDaS15_S16_EUlS15_E_NS1_11comp_targetILNS1_3genE8ELNS1_11target_archE1030ELNS1_3gpuE2ELNS1_3repE0EEENS1_30default_config_static_selectorELNS0_4arch9wavefront6targetE1EEEvT1_, .Lfunc_end235-_ZN7rocprim17ROCPRIM_400000_NS6detail17trampoline_kernelINS0_14default_configENS1_25partition_config_selectorILNS1_17partition_subalgoE9EllbEEZZNS1_14partition_implILS5_9ELb0ES3_jPlS8_PNS0_10empty_typeENS0_5tupleIJS8_S9_EEENSB_IJS8_SA_EEENS0_18inequality_wrapperIZN2at6native12_GLOBAL__N_124unique_dim_cuda_templateIhEESt5tupleIJNSF_6TensorESK_SK_EERKSK_lbbbEUlllE0_EEPmJS9_EEE10hipError_tPvRmT3_T4_T5_T6_T7_T9_mT8_P12ihipStream_tbDpT10_ENKUlT_T0_E_clISt17integral_constantIbLb0EES19_IbLb1EEEEDaS15_S16_EUlS15_E_NS1_11comp_targetILNS1_3genE8ELNS1_11target_archE1030ELNS1_3gpuE2ELNS1_3repE0EEENS1_30default_config_static_selectorELNS0_4arch9wavefront6targetE1EEEvT1_
                                        ; -- End function
	.section	.AMDGPU.csdata,"",@progbits
; Kernel info:
; codeLenInByte = 0
; NumSgprs: 4
; NumVgprs: 0
; NumAgprs: 0
; TotalNumVgprs: 0
; ScratchSize: 0
; MemoryBound: 0
; FloatMode: 240
; IeeeMode: 1
; LDSByteSize: 0 bytes/workgroup (compile time only)
; SGPRBlocks: 0
; VGPRBlocks: 0
; NumSGPRsForWavesPerEU: 4
; NumVGPRsForWavesPerEU: 1
; AccumOffset: 4
; Occupancy: 8
; WaveLimiterHint : 0
; COMPUTE_PGM_RSRC2:SCRATCH_EN: 0
; COMPUTE_PGM_RSRC2:USER_SGPR: 6
; COMPUTE_PGM_RSRC2:TRAP_HANDLER: 0
; COMPUTE_PGM_RSRC2:TGID_X_EN: 1
; COMPUTE_PGM_RSRC2:TGID_Y_EN: 0
; COMPUTE_PGM_RSRC2:TGID_Z_EN: 0
; COMPUTE_PGM_RSRC2:TIDIG_COMP_CNT: 0
; COMPUTE_PGM_RSRC3_GFX90A:ACCUM_OFFSET: 0
; COMPUTE_PGM_RSRC3_GFX90A:TG_SPLIT: 0
	.section	.text._ZN7rocprim17ROCPRIM_400000_NS6detail17trampoline_kernelINS0_14default_configENS1_35adjacent_difference_config_selectorILb0ElEEZNS1_24adjacent_difference_implIS3_Lb0ELb0EPlS7_N6thrust23THRUST_200600_302600_NS5minusIlEEEE10hipError_tPvRmT2_T3_mT4_P12ihipStream_tbEUlT_E_NS1_11comp_targetILNS1_3genE0ELNS1_11target_archE4294967295ELNS1_3gpuE0ELNS1_3repE0EEENS1_30default_config_static_selectorELNS0_4arch9wavefront6targetE1EEEvT1_,"axG",@progbits,_ZN7rocprim17ROCPRIM_400000_NS6detail17trampoline_kernelINS0_14default_configENS1_35adjacent_difference_config_selectorILb0ElEEZNS1_24adjacent_difference_implIS3_Lb0ELb0EPlS7_N6thrust23THRUST_200600_302600_NS5minusIlEEEE10hipError_tPvRmT2_T3_mT4_P12ihipStream_tbEUlT_E_NS1_11comp_targetILNS1_3genE0ELNS1_11target_archE4294967295ELNS1_3gpuE0ELNS1_3repE0EEENS1_30default_config_static_selectorELNS0_4arch9wavefront6targetE1EEEvT1_,comdat
	.protected	_ZN7rocprim17ROCPRIM_400000_NS6detail17trampoline_kernelINS0_14default_configENS1_35adjacent_difference_config_selectorILb0ElEEZNS1_24adjacent_difference_implIS3_Lb0ELb0EPlS7_N6thrust23THRUST_200600_302600_NS5minusIlEEEE10hipError_tPvRmT2_T3_mT4_P12ihipStream_tbEUlT_E_NS1_11comp_targetILNS1_3genE0ELNS1_11target_archE4294967295ELNS1_3gpuE0ELNS1_3repE0EEENS1_30default_config_static_selectorELNS0_4arch9wavefront6targetE1EEEvT1_ ; -- Begin function _ZN7rocprim17ROCPRIM_400000_NS6detail17trampoline_kernelINS0_14default_configENS1_35adjacent_difference_config_selectorILb0ElEEZNS1_24adjacent_difference_implIS3_Lb0ELb0EPlS7_N6thrust23THRUST_200600_302600_NS5minusIlEEEE10hipError_tPvRmT2_T3_mT4_P12ihipStream_tbEUlT_E_NS1_11comp_targetILNS1_3genE0ELNS1_11target_archE4294967295ELNS1_3gpuE0ELNS1_3repE0EEENS1_30default_config_static_selectorELNS0_4arch9wavefront6targetE1EEEvT1_
	.globl	_ZN7rocprim17ROCPRIM_400000_NS6detail17trampoline_kernelINS0_14default_configENS1_35adjacent_difference_config_selectorILb0ElEEZNS1_24adjacent_difference_implIS3_Lb0ELb0EPlS7_N6thrust23THRUST_200600_302600_NS5minusIlEEEE10hipError_tPvRmT2_T3_mT4_P12ihipStream_tbEUlT_E_NS1_11comp_targetILNS1_3genE0ELNS1_11target_archE4294967295ELNS1_3gpuE0ELNS1_3repE0EEENS1_30default_config_static_selectorELNS0_4arch9wavefront6targetE1EEEvT1_
	.p2align	8
	.type	_ZN7rocprim17ROCPRIM_400000_NS6detail17trampoline_kernelINS0_14default_configENS1_35adjacent_difference_config_selectorILb0ElEEZNS1_24adjacent_difference_implIS3_Lb0ELb0EPlS7_N6thrust23THRUST_200600_302600_NS5minusIlEEEE10hipError_tPvRmT2_T3_mT4_P12ihipStream_tbEUlT_E_NS1_11comp_targetILNS1_3genE0ELNS1_11target_archE4294967295ELNS1_3gpuE0ELNS1_3repE0EEENS1_30default_config_static_selectorELNS0_4arch9wavefront6targetE1EEEvT1_,@function
_ZN7rocprim17ROCPRIM_400000_NS6detail17trampoline_kernelINS0_14default_configENS1_35adjacent_difference_config_selectorILb0ElEEZNS1_24adjacent_difference_implIS3_Lb0ELb0EPlS7_N6thrust23THRUST_200600_302600_NS5minusIlEEEE10hipError_tPvRmT2_T3_mT4_P12ihipStream_tbEUlT_E_NS1_11comp_targetILNS1_3genE0ELNS1_11target_archE4294967295ELNS1_3gpuE0ELNS1_3repE0EEENS1_30default_config_static_selectorELNS0_4arch9wavefront6targetE1EEEvT1_: ; @_ZN7rocprim17ROCPRIM_400000_NS6detail17trampoline_kernelINS0_14default_configENS1_35adjacent_difference_config_selectorILb0ElEEZNS1_24adjacent_difference_implIS3_Lb0ELb0EPlS7_N6thrust23THRUST_200600_302600_NS5minusIlEEEE10hipError_tPvRmT2_T3_mT4_P12ihipStream_tbEUlT_E_NS1_11comp_targetILNS1_3genE0ELNS1_11target_archE4294967295ELNS1_3gpuE0ELNS1_3repE0EEENS1_30default_config_static_selectorELNS0_4arch9wavefront6targetE1EEEvT1_
; %bb.0:
	.section	.rodata,"a",@progbits
	.p2align	6, 0x0
	.amdhsa_kernel _ZN7rocprim17ROCPRIM_400000_NS6detail17trampoline_kernelINS0_14default_configENS1_35adjacent_difference_config_selectorILb0ElEEZNS1_24adjacent_difference_implIS3_Lb0ELb0EPlS7_N6thrust23THRUST_200600_302600_NS5minusIlEEEE10hipError_tPvRmT2_T3_mT4_P12ihipStream_tbEUlT_E_NS1_11comp_targetILNS1_3genE0ELNS1_11target_archE4294967295ELNS1_3gpuE0ELNS1_3repE0EEENS1_30default_config_static_selectorELNS0_4arch9wavefront6targetE1EEEvT1_
		.amdhsa_group_segment_fixed_size 0
		.amdhsa_private_segment_fixed_size 0
		.amdhsa_kernarg_size 56
		.amdhsa_user_sgpr_count 6
		.amdhsa_user_sgpr_private_segment_buffer 1
		.amdhsa_user_sgpr_dispatch_ptr 0
		.amdhsa_user_sgpr_queue_ptr 0
		.amdhsa_user_sgpr_kernarg_segment_ptr 1
		.amdhsa_user_sgpr_dispatch_id 0
		.amdhsa_user_sgpr_flat_scratch_init 0
		.amdhsa_user_sgpr_kernarg_preload_length 0
		.amdhsa_user_sgpr_kernarg_preload_offset 0
		.amdhsa_user_sgpr_private_segment_size 0
		.amdhsa_uses_dynamic_stack 0
		.amdhsa_system_sgpr_private_segment_wavefront_offset 0
		.amdhsa_system_sgpr_workgroup_id_x 1
		.amdhsa_system_sgpr_workgroup_id_y 0
		.amdhsa_system_sgpr_workgroup_id_z 0
		.amdhsa_system_sgpr_workgroup_info 0
		.amdhsa_system_vgpr_workitem_id 0
		.amdhsa_next_free_vgpr 1
		.amdhsa_next_free_sgpr 0
		.amdhsa_accum_offset 4
		.amdhsa_reserve_vcc 0
		.amdhsa_reserve_flat_scratch 0
		.amdhsa_float_round_mode_32 0
		.amdhsa_float_round_mode_16_64 0
		.amdhsa_float_denorm_mode_32 3
		.amdhsa_float_denorm_mode_16_64 3
		.amdhsa_dx10_clamp 1
		.amdhsa_ieee_mode 1
		.amdhsa_fp16_overflow 0
		.amdhsa_tg_split 0
		.amdhsa_exception_fp_ieee_invalid_op 0
		.amdhsa_exception_fp_denorm_src 0
		.amdhsa_exception_fp_ieee_div_zero 0
		.amdhsa_exception_fp_ieee_overflow 0
		.amdhsa_exception_fp_ieee_underflow 0
		.amdhsa_exception_fp_ieee_inexact 0
		.amdhsa_exception_int_div_zero 0
	.end_amdhsa_kernel
	.section	.text._ZN7rocprim17ROCPRIM_400000_NS6detail17trampoline_kernelINS0_14default_configENS1_35adjacent_difference_config_selectorILb0ElEEZNS1_24adjacent_difference_implIS3_Lb0ELb0EPlS7_N6thrust23THRUST_200600_302600_NS5minusIlEEEE10hipError_tPvRmT2_T3_mT4_P12ihipStream_tbEUlT_E_NS1_11comp_targetILNS1_3genE0ELNS1_11target_archE4294967295ELNS1_3gpuE0ELNS1_3repE0EEENS1_30default_config_static_selectorELNS0_4arch9wavefront6targetE1EEEvT1_,"axG",@progbits,_ZN7rocprim17ROCPRIM_400000_NS6detail17trampoline_kernelINS0_14default_configENS1_35adjacent_difference_config_selectorILb0ElEEZNS1_24adjacent_difference_implIS3_Lb0ELb0EPlS7_N6thrust23THRUST_200600_302600_NS5minusIlEEEE10hipError_tPvRmT2_T3_mT4_P12ihipStream_tbEUlT_E_NS1_11comp_targetILNS1_3genE0ELNS1_11target_archE4294967295ELNS1_3gpuE0ELNS1_3repE0EEENS1_30default_config_static_selectorELNS0_4arch9wavefront6targetE1EEEvT1_,comdat
.Lfunc_end236:
	.size	_ZN7rocprim17ROCPRIM_400000_NS6detail17trampoline_kernelINS0_14default_configENS1_35adjacent_difference_config_selectorILb0ElEEZNS1_24adjacent_difference_implIS3_Lb0ELb0EPlS7_N6thrust23THRUST_200600_302600_NS5minusIlEEEE10hipError_tPvRmT2_T3_mT4_P12ihipStream_tbEUlT_E_NS1_11comp_targetILNS1_3genE0ELNS1_11target_archE4294967295ELNS1_3gpuE0ELNS1_3repE0EEENS1_30default_config_static_selectorELNS0_4arch9wavefront6targetE1EEEvT1_, .Lfunc_end236-_ZN7rocprim17ROCPRIM_400000_NS6detail17trampoline_kernelINS0_14default_configENS1_35adjacent_difference_config_selectorILb0ElEEZNS1_24adjacent_difference_implIS3_Lb0ELb0EPlS7_N6thrust23THRUST_200600_302600_NS5minusIlEEEE10hipError_tPvRmT2_T3_mT4_P12ihipStream_tbEUlT_E_NS1_11comp_targetILNS1_3genE0ELNS1_11target_archE4294967295ELNS1_3gpuE0ELNS1_3repE0EEENS1_30default_config_static_selectorELNS0_4arch9wavefront6targetE1EEEvT1_
                                        ; -- End function
	.section	.AMDGPU.csdata,"",@progbits
; Kernel info:
; codeLenInByte = 0
; NumSgprs: 4
; NumVgprs: 0
; NumAgprs: 0
; TotalNumVgprs: 0
; ScratchSize: 0
; MemoryBound: 0
; FloatMode: 240
; IeeeMode: 1
; LDSByteSize: 0 bytes/workgroup (compile time only)
; SGPRBlocks: 0
; VGPRBlocks: 0
; NumSGPRsForWavesPerEU: 4
; NumVGPRsForWavesPerEU: 1
; AccumOffset: 4
; Occupancy: 8
; WaveLimiterHint : 0
; COMPUTE_PGM_RSRC2:SCRATCH_EN: 0
; COMPUTE_PGM_RSRC2:USER_SGPR: 6
; COMPUTE_PGM_RSRC2:TRAP_HANDLER: 0
; COMPUTE_PGM_RSRC2:TGID_X_EN: 1
; COMPUTE_PGM_RSRC2:TGID_Y_EN: 0
; COMPUTE_PGM_RSRC2:TGID_Z_EN: 0
; COMPUTE_PGM_RSRC2:TIDIG_COMP_CNT: 0
; COMPUTE_PGM_RSRC3_GFX90A:ACCUM_OFFSET: 0
; COMPUTE_PGM_RSRC3_GFX90A:TG_SPLIT: 0
	.section	.text._ZN7rocprim17ROCPRIM_400000_NS6detail17trampoline_kernelINS0_14default_configENS1_35adjacent_difference_config_selectorILb0ElEEZNS1_24adjacent_difference_implIS3_Lb0ELb0EPlS7_N6thrust23THRUST_200600_302600_NS5minusIlEEEE10hipError_tPvRmT2_T3_mT4_P12ihipStream_tbEUlT_E_NS1_11comp_targetILNS1_3genE10ELNS1_11target_archE1201ELNS1_3gpuE5ELNS1_3repE0EEENS1_30default_config_static_selectorELNS0_4arch9wavefront6targetE1EEEvT1_,"axG",@progbits,_ZN7rocprim17ROCPRIM_400000_NS6detail17trampoline_kernelINS0_14default_configENS1_35adjacent_difference_config_selectorILb0ElEEZNS1_24adjacent_difference_implIS3_Lb0ELb0EPlS7_N6thrust23THRUST_200600_302600_NS5minusIlEEEE10hipError_tPvRmT2_T3_mT4_P12ihipStream_tbEUlT_E_NS1_11comp_targetILNS1_3genE10ELNS1_11target_archE1201ELNS1_3gpuE5ELNS1_3repE0EEENS1_30default_config_static_selectorELNS0_4arch9wavefront6targetE1EEEvT1_,comdat
	.protected	_ZN7rocprim17ROCPRIM_400000_NS6detail17trampoline_kernelINS0_14default_configENS1_35adjacent_difference_config_selectorILb0ElEEZNS1_24adjacent_difference_implIS3_Lb0ELb0EPlS7_N6thrust23THRUST_200600_302600_NS5minusIlEEEE10hipError_tPvRmT2_T3_mT4_P12ihipStream_tbEUlT_E_NS1_11comp_targetILNS1_3genE10ELNS1_11target_archE1201ELNS1_3gpuE5ELNS1_3repE0EEENS1_30default_config_static_selectorELNS0_4arch9wavefront6targetE1EEEvT1_ ; -- Begin function _ZN7rocprim17ROCPRIM_400000_NS6detail17trampoline_kernelINS0_14default_configENS1_35adjacent_difference_config_selectorILb0ElEEZNS1_24adjacent_difference_implIS3_Lb0ELb0EPlS7_N6thrust23THRUST_200600_302600_NS5minusIlEEEE10hipError_tPvRmT2_T3_mT4_P12ihipStream_tbEUlT_E_NS1_11comp_targetILNS1_3genE10ELNS1_11target_archE1201ELNS1_3gpuE5ELNS1_3repE0EEENS1_30default_config_static_selectorELNS0_4arch9wavefront6targetE1EEEvT1_
	.globl	_ZN7rocprim17ROCPRIM_400000_NS6detail17trampoline_kernelINS0_14default_configENS1_35adjacent_difference_config_selectorILb0ElEEZNS1_24adjacent_difference_implIS3_Lb0ELb0EPlS7_N6thrust23THRUST_200600_302600_NS5minusIlEEEE10hipError_tPvRmT2_T3_mT4_P12ihipStream_tbEUlT_E_NS1_11comp_targetILNS1_3genE10ELNS1_11target_archE1201ELNS1_3gpuE5ELNS1_3repE0EEENS1_30default_config_static_selectorELNS0_4arch9wavefront6targetE1EEEvT1_
	.p2align	8
	.type	_ZN7rocprim17ROCPRIM_400000_NS6detail17trampoline_kernelINS0_14default_configENS1_35adjacent_difference_config_selectorILb0ElEEZNS1_24adjacent_difference_implIS3_Lb0ELb0EPlS7_N6thrust23THRUST_200600_302600_NS5minusIlEEEE10hipError_tPvRmT2_T3_mT4_P12ihipStream_tbEUlT_E_NS1_11comp_targetILNS1_3genE10ELNS1_11target_archE1201ELNS1_3gpuE5ELNS1_3repE0EEENS1_30default_config_static_selectorELNS0_4arch9wavefront6targetE1EEEvT1_,@function
_ZN7rocprim17ROCPRIM_400000_NS6detail17trampoline_kernelINS0_14default_configENS1_35adjacent_difference_config_selectorILb0ElEEZNS1_24adjacent_difference_implIS3_Lb0ELb0EPlS7_N6thrust23THRUST_200600_302600_NS5minusIlEEEE10hipError_tPvRmT2_T3_mT4_P12ihipStream_tbEUlT_E_NS1_11comp_targetILNS1_3genE10ELNS1_11target_archE1201ELNS1_3gpuE5ELNS1_3repE0EEENS1_30default_config_static_selectorELNS0_4arch9wavefront6targetE1EEEvT1_: ; @_ZN7rocprim17ROCPRIM_400000_NS6detail17trampoline_kernelINS0_14default_configENS1_35adjacent_difference_config_selectorILb0ElEEZNS1_24adjacent_difference_implIS3_Lb0ELb0EPlS7_N6thrust23THRUST_200600_302600_NS5minusIlEEEE10hipError_tPvRmT2_T3_mT4_P12ihipStream_tbEUlT_E_NS1_11comp_targetILNS1_3genE10ELNS1_11target_archE1201ELNS1_3gpuE5ELNS1_3repE0EEENS1_30default_config_static_selectorELNS0_4arch9wavefront6targetE1EEEvT1_
; %bb.0:
	.section	.rodata,"a",@progbits
	.p2align	6, 0x0
	.amdhsa_kernel _ZN7rocprim17ROCPRIM_400000_NS6detail17trampoline_kernelINS0_14default_configENS1_35adjacent_difference_config_selectorILb0ElEEZNS1_24adjacent_difference_implIS3_Lb0ELb0EPlS7_N6thrust23THRUST_200600_302600_NS5minusIlEEEE10hipError_tPvRmT2_T3_mT4_P12ihipStream_tbEUlT_E_NS1_11comp_targetILNS1_3genE10ELNS1_11target_archE1201ELNS1_3gpuE5ELNS1_3repE0EEENS1_30default_config_static_selectorELNS0_4arch9wavefront6targetE1EEEvT1_
		.amdhsa_group_segment_fixed_size 0
		.amdhsa_private_segment_fixed_size 0
		.amdhsa_kernarg_size 56
		.amdhsa_user_sgpr_count 6
		.amdhsa_user_sgpr_private_segment_buffer 1
		.amdhsa_user_sgpr_dispatch_ptr 0
		.amdhsa_user_sgpr_queue_ptr 0
		.amdhsa_user_sgpr_kernarg_segment_ptr 1
		.amdhsa_user_sgpr_dispatch_id 0
		.amdhsa_user_sgpr_flat_scratch_init 0
		.amdhsa_user_sgpr_kernarg_preload_length 0
		.amdhsa_user_sgpr_kernarg_preload_offset 0
		.amdhsa_user_sgpr_private_segment_size 0
		.amdhsa_uses_dynamic_stack 0
		.amdhsa_system_sgpr_private_segment_wavefront_offset 0
		.amdhsa_system_sgpr_workgroup_id_x 1
		.amdhsa_system_sgpr_workgroup_id_y 0
		.amdhsa_system_sgpr_workgroup_id_z 0
		.amdhsa_system_sgpr_workgroup_info 0
		.amdhsa_system_vgpr_workitem_id 0
		.amdhsa_next_free_vgpr 1
		.amdhsa_next_free_sgpr 0
		.amdhsa_accum_offset 4
		.amdhsa_reserve_vcc 0
		.amdhsa_reserve_flat_scratch 0
		.amdhsa_float_round_mode_32 0
		.amdhsa_float_round_mode_16_64 0
		.amdhsa_float_denorm_mode_32 3
		.amdhsa_float_denorm_mode_16_64 3
		.amdhsa_dx10_clamp 1
		.amdhsa_ieee_mode 1
		.amdhsa_fp16_overflow 0
		.amdhsa_tg_split 0
		.amdhsa_exception_fp_ieee_invalid_op 0
		.amdhsa_exception_fp_denorm_src 0
		.amdhsa_exception_fp_ieee_div_zero 0
		.amdhsa_exception_fp_ieee_overflow 0
		.amdhsa_exception_fp_ieee_underflow 0
		.amdhsa_exception_fp_ieee_inexact 0
		.amdhsa_exception_int_div_zero 0
	.end_amdhsa_kernel
	.section	.text._ZN7rocprim17ROCPRIM_400000_NS6detail17trampoline_kernelINS0_14default_configENS1_35adjacent_difference_config_selectorILb0ElEEZNS1_24adjacent_difference_implIS3_Lb0ELb0EPlS7_N6thrust23THRUST_200600_302600_NS5minusIlEEEE10hipError_tPvRmT2_T3_mT4_P12ihipStream_tbEUlT_E_NS1_11comp_targetILNS1_3genE10ELNS1_11target_archE1201ELNS1_3gpuE5ELNS1_3repE0EEENS1_30default_config_static_selectorELNS0_4arch9wavefront6targetE1EEEvT1_,"axG",@progbits,_ZN7rocprim17ROCPRIM_400000_NS6detail17trampoline_kernelINS0_14default_configENS1_35adjacent_difference_config_selectorILb0ElEEZNS1_24adjacent_difference_implIS3_Lb0ELb0EPlS7_N6thrust23THRUST_200600_302600_NS5minusIlEEEE10hipError_tPvRmT2_T3_mT4_P12ihipStream_tbEUlT_E_NS1_11comp_targetILNS1_3genE10ELNS1_11target_archE1201ELNS1_3gpuE5ELNS1_3repE0EEENS1_30default_config_static_selectorELNS0_4arch9wavefront6targetE1EEEvT1_,comdat
.Lfunc_end237:
	.size	_ZN7rocprim17ROCPRIM_400000_NS6detail17trampoline_kernelINS0_14default_configENS1_35adjacent_difference_config_selectorILb0ElEEZNS1_24adjacent_difference_implIS3_Lb0ELb0EPlS7_N6thrust23THRUST_200600_302600_NS5minusIlEEEE10hipError_tPvRmT2_T3_mT4_P12ihipStream_tbEUlT_E_NS1_11comp_targetILNS1_3genE10ELNS1_11target_archE1201ELNS1_3gpuE5ELNS1_3repE0EEENS1_30default_config_static_selectorELNS0_4arch9wavefront6targetE1EEEvT1_, .Lfunc_end237-_ZN7rocprim17ROCPRIM_400000_NS6detail17trampoline_kernelINS0_14default_configENS1_35adjacent_difference_config_selectorILb0ElEEZNS1_24adjacent_difference_implIS3_Lb0ELb0EPlS7_N6thrust23THRUST_200600_302600_NS5minusIlEEEE10hipError_tPvRmT2_T3_mT4_P12ihipStream_tbEUlT_E_NS1_11comp_targetILNS1_3genE10ELNS1_11target_archE1201ELNS1_3gpuE5ELNS1_3repE0EEENS1_30default_config_static_selectorELNS0_4arch9wavefront6targetE1EEEvT1_
                                        ; -- End function
	.section	.AMDGPU.csdata,"",@progbits
; Kernel info:
; codeLenInByte = 0
; NumSgprs: 4
; NumVgprs: 0
; NumAgprs: 0
; TotalNumVgprs: 0
; ScratchSize: 0
; MemoryBound: 0
; FloatMode: 240
; IeeeMode: 1
; LDSByteSize: 0 bytes/workgroup (compile time only)
; SGPRBlocks: 0
; VGPRBlocks: 0
; NumSGPRsForWavesPerEU: 4
; NumVGPRsForWavesPerEU: 1
; AccumOffset: 4
; Occupancy: 8
; WaveLimiterHint : 0
; COMPUTE_PGM_RSRC2:SCRATCH_EN: 0
; COMPUTE_PGM_RSRC2:USER_SGPR: 6
; COMPUTE_PGM_RSRC2:TRAP_HANDLER: 0
; COMPUTE_PGM_RSRC2:TGID_X_EN: 1
; COMPUTE_PGM_RSRC2:TGID_Y_EN: 0
; COMPUTE_PGM_RSRC2:TGID_Z_EN: 0
; COMPUTE_PGM_RSRC2:TIDIG_COMP_CNT: 0
; COMPUTE_PGM_RSRC3_GFX90A:ACCUM_OFFSET: 0
; COMPUTE_PGM_RSRC3_GFX90A:TG_SPLIT: 0
	.section	.text._ZN7rocprim17ROCPRIM_400000_NS6detail17trampoline_kernelINS0_14default_configENS1_35adjacent_difference_config_selectorILb0ElEEZNS1_24adjacent_difference_implIS3_Lb0ELb0EPlS7_N6thrust23THRUST_200600_302600_NS5minusIlEEEE10hipError_tPvRmT2_T3_mT4_P12ihipStream_tbEUlT_E_NS1_11comp_targetILNS1_3genE5ELNS1_11target_archE942ELNS1_3gpuE9ELNS1_3repE0EEENS1_30default_config_static_selectorELNS0_4arch9wavefront6targetE1EEEvT1_,"axG",@progbits,_ZN7rocprim17ROCPRIM_400000_NS6detail17trampoline_kernelINS0_14default_configENS1_35adjacent_difference_config_selectorILb0ElEEZNS1_24adjacent_difference_implIS3_Lb0ELb0EPlS7_N6thrust23THRUST_200600_302600_NS5minusIlEEEE10hipError_tPvRmT2_T3_mT4_P12ihipStream_tbEUlT_E_NS1_11comp_targetILNS1_3genE5ELNS1_11target_archE942ELNS1_3gpuE9ELNS1_3repE0EEENS1_30default_config_static_selectorELNS0_4arch9wavefront6targetE1EEEvT1_,comdat
	.protected	_ZN7rocprim17ROCPRIM_400000_NS6detail17trampoline_kernelINS0_14default_configENS1_35adjacent_difference_config_selectorILb0ElEEZNS1_24adjacent_difference_implIS3_Lb0ELb0EPlS7_N6thrust23THRUST_200600_302600_NS5minusIlEEEE10hipError_tPvRmT2_T3_mT4_P12ihipStream_tbEUlT_E_NS1_11comp_targetILNS1_3genE5ELNS1_11target_archE942ELNS1_3gpuE9ELNS1_3repE0EEENS1_30default_config_static_selectorELNS0_4arch9wavefront6targetE1EEEvT1_ ; -- Begin function _ZN7rocprim17ROCPRIM_400000_NS6detail17trampoline_kernelINS0_14default_configENS1_35adjacent_difference_config_selectorILb0ElEEZNS1_24adjacent_difference_implIS3_Lb0ELb0EPlS7_N6thrust23THRUST_200600_302600_NS5minusIlEEEE10hipError_tPvRmT2_T3_mT4_P12ihipStream_tbEUlT_E_NS1_11comp_targetILNS1_3genE5ELNS1_11target_archE942ELNS1_3gpuE9ELNS1_3repE0EEENS1_30default_config_static_selectorELNS0_4arch9wavefront6targetE1EEEvT1_
	.globl	_ZN7rocprim17ROCPRIM_400000_NS6detail17trampoline_kernelINS0_14default_configENS1_35adjacent_difference_config_selectorILb0ElEEZNS1_24adjacent_difference_implIS3_Lb0ELb0EPlS7_N6thrust23THRUST_200600_302600_NS5minusIlEEEE10hipError_tPvRmT2_T3_mT4_P12ihipStream_tbEUlT_E_NS1_11comp_targetILNS1_3genE5ELNS1_11target_archE942ELNS1_3gpuE9ELNS1_3repE0EEENS1_30default_config_static_selectorELNS0_4arch9wavefront6targetE1EEEvT1_
	.p2align	8
	.type	_ZN7rocprim17ROCPRIM_400000_NS6detail17trampoline_kernelINS0_14default_configENS1_35adjacent_difference_config_selectorILb0ElEEZNS1_24adjacent_difference_implIS3_Lb0ELb0EPlS7_N6thrust23THRUST_200600_302600_NS5minusIlEEEE10hipError_tPvRmT2_T3_mT4_P12ihipStream_tbEUlT_E_NS1_11comp_targetILNS1_3genE5ELNS1_11target_archE942ELNS1_3gpuE9ELNS1_3repE0EEENS1_30default_config_static_selectorELNS0_4arch9wavefront6targetE1EEEvT1_,@function
_ZN7rocprim17ROCPRIM_400000_NS6detail17trampoline_kernelINS0_14default_configENS1_35adjacent_difference_config_selectorILb0ElEEZNS1_24adjacent_difference_implIS3_Lb0ELb0EPlS7_N6thrust23THRUST_200600_302600_NS5minusIlEEEE10hipError_tPvRmT2_T3_mT4_P12ihipStream_tbEUlT_E_NS1_11comp_targetILNS1_3genE5ELNS1_11target_archE942ELNS1_3gpuE9ELNS1_3repE0EEENS1_30default_config_static_selectorELNS0_4arch9wavefront6targetE1EEEvT1_: ; @_ZN7rocprim17ROCPRIM_400000_NS6detail17trampoline_kernelINS0_14default_configENS1_35adjacent_difference_config_selectorILb0ElEEZNS1_24adjacent_difference_implIS3_Lb0ELb0EPlS7_N6thrust23THRUST_200600_302600_NS5minusIlEEEE10hipError_tPvRmT2_T3_mT4_P12ihipStream_tbEUlT_E_NS1_11comp_targetILNS1_3genE5ELNS1_11target_archE942ELNS1_3gpuE9ELNS1_3repE0EEENS1_30default_config_static_selectorELNS0_4arch9wavefront6targetE1EEEvT1_
; %bb.0:
	.section	.rodata,"a",@progbits
	.p2align	6, 0x0
	.amdhsa_kernel _ZN7rocprim17ROCPRIM_400000_NS6detail17trampoline_kernelINS0_14default_configENS1_35adjacent_difference_config_selectorILb0ElEEZNS1_24adjacent_difference_implIS3_Lb0ELb0EPlS7_N6thrust23THRUST_200600_302600_NS5minusIlEEEE10hipError_tPvRmT2_T3_mT4_P12ihipStream_tbEUlT_E_NS1_11comp_targetILNS1_3genE5ELNS1_11target_archE942ELNS1_3gpuE9ELNS1_3repE0EEENS1_30default_config_static_selectorELNS0_4arch9wavefront6targetE1EEEvT1_
		.amdhsa_group_segment_fixed_size 0
		.amdhsa_private_segment_fixed_size 0
		.amdhsa_kernarg_size 56
		.amdhsa_user_sgpr_count 6
		.amdhsa_user_sgpr_private_segment_buffer 1
		.amdhsa_user_sgpr_dispatch_ptr 0
		.amdhsa_user_sgpr_queue_ptr 0
		.amdhsa_user_sgpr_kernarg_segment_ptr 1
		.amdhsa_user_sgpr_dispatch_id 0
		.amdhsa_user_sgpr_flat_scratch_init 0
		.amdhsa_user_sgpr_kernarg_preload_length 0
		.amdhsa_user_sgpr_kernarg_preload_offset 0
		.amdhsa_user_sgpr_private_segment_size 0
		.amdhsa_uses_dynamic_stack 0
		.amdhsa_system_sgpr_private_segment_wavefront_offset 0
		.amdhsa_system_sgpr_workgroup_id_x 1
		.amdhsa_system_sgpr_workgroup_id_y 0
		.amdhsa_system_sgpr_workgroup_id_z 0
		.amdhsa_system_sgpr_workgroup_info 0
		.amdhsa_system_vgpr_workitem_id 0
		.amdhsa_next_free_vgpr 1
		.amdhsa_next_free_sgpr 0
		.amdhsa_accum_offset 4
		.amdhsa_reserve_vcc 0
		.amdhsa_reserve_flat_scratch 0
		.amdhsa_float_round_mode_32 0
		.amdhsa_float_round_mode_16_64 0
		.amdhsa_float_denorm_mode_32 3
		.amdhsa_float_denorm_mode_16_64 3
		.amdhsa_dx10_clamp 1
		.amdhsa_ieee_mode 1
		.amdhsa_fp16_overflow 0
		.amdhsa_tg_split 0
		.amdhsa_exception_fp_ieee_invalid_op 0
		.amdhsa_exception_fp_denorm_src 0
		.amdhsa_exception_fp_ieee_div_zero 0
		.amdhsa_exception_fp_ieee_overflow 0
		.amdhsa_exception_fp_ieee_underflow 0
		.amdhsa_exception_fp_ieee_inexact 0
		.amdhsa_exception_int_div_zero 0
	.end_amdhsa_kernel
	.section	.text._ZN7rocprim17ROCPRIM_400000_NS6detail17trampoline_kernelINS0_14default_configENS1_35adjacent_difference_config_selectorILb0ElEEZNS1_24adjacent_difference_implIS3_Lb0ELb0EPlS7_N6thrust23THRUST_200600_302600_NS5minusIlEEEE10hipError_tPvRmT2_T3_mT4_P12ihipStream_tbEUlT_E_NS1_11comp_targetILNS1_3genE5ELNS1_11target_archE942ELNS1_3gpuE9ELNS1_3repE0EEENS1_30default_config_static_selectorELNS0_4arch9wavefront6targetE1EEEvT1_,"axG",@progbits,_ZN7rocprim17ROCPRIM_400000_NS6detail17trampoline_kernelINS0_14default_configENS1_35adjacent_difference_config_selectorILb0ElEEZNS1_24adjacent_difference_implIS3_Lb0ELb0EPlS7_N6thrust23THRUST_200600_302600_NS5minusIlEEEE10hipError_tPvRmT2_T3_mT4_P12ihipStream_tbEUlT_E_NS1_11comp_targetILNS1_3genE5ELNS1_11target_archE942ELNS1_3gpuE9ELNS1_3repE0EEENS1_30default_config_static_selectorELNS0_4arch9wavefront6targetE1EEEvT1_,comdat
.Lfunc_end238:
	.size	_ZN7rocprim17ROCPRIM_400000_NS6detail17trampoline_kernelINS0_14default_configENS1_35adjacent_difference_config_selectorILb0ElEEZNS1_24adjacent_difference_implIS3_Lb0ELb0EPlS7_N6thrust23THRUST_200600_302600_NS5minusIlEEEE10hipError_tPvRmT2_T3_mT4_P12ihipStream_tbEUlT_E_NS1_11comp_targetILNS1_3genE5ELNS1_11target_archE942ELNS1_3gpuE9ELNS1_3repE0EEENS1_30default_config_static_selectorELNS0_4arch9wavefront6targetE1EEEvT1_, .Lfunc_end238-_ZN7rocprim17ROCPRIM_400000_NS6detail17trampoline_kernelINS0_14default_configENS1_35adjacent_difference_config_selectorILb0ElEEZNS1_24adjacent_difference_implIS3_Lb0ELb0EPlS7_N6thrust23THRUST_200600_302600_NS5minusIlEEEE10hipError_tPvRmT2_T3_mT4_P12ihipStream_tbEUlT_E_NS1_11comp_targetILNS1_3genE5ELNS1_11target_archE942ELNS1_3gpuE9ELNS1_3repE0EEENS1_30default_config_static_selectorELNS0_4arch9wavefront6targetE1EEEvT1_
                                        ; -- End function
	.section	.AMDGPU.csdata,"",@progbits
; Kernel info:
; codeLenInByte = 0
; NumSgprs: 4
; NumVgprs: 0
; NumAgprs: 0
; TotalNumVgprs: 0
; ScratchSize: 0
; MemoryBound: 0
; FloatMode: 240
; IeeeMode: 1
; LDSByteSize: 0 bytes/workgroup (compile time only)
; SGPRBlocks: 0
; VGPRBlocks: 0
; NumSGPRsForWavesPerEU: 4
; NumVGPRsForWavesPerEU: 1
; AccumOffset: 4
; Occupancy: 8
; WaveLimiterHint : 0
; COMPUTE_PGM_RSRC2:SCRATCH_EN: 0
; COMPUTE_PGM_RSRC2:USER_SGPR: 6
; COMPUTE_PGM_RSRC2:TRAP_HANDLER: 0
; COMPUTE_PGM_RSRC2:TGID_X_EN: 1
; COMPUTE_PGM_RSRC2:TGID_Y_EN: 0
; COMPUTE_PGM_RSRC2:TGID_Z_EN: 0
; COMPUTE_PGM_RSRC2:TIDIG_COMP_CNT: 0
; COMPUTE_PGM_RSRC3_GFX90A:ACCUM_OFFSET: 0
; COMPUTE_PGM_RSRC3_GFX90A:TG_SPLIT: 0
	.section	.text._ZN7rocprim17ROCPRIM_400000_NS6detail17trampoline_kernelINS0_14default_configENS1_35adjacent_difference_config_selectorILb0ElEEZNS1_24adjacent_difference_implIS3_Lb0ELb0EPlS7_N6thrust23THRUST_200600_302600_NS5minusIlEEEE10hipError_tPvRmT2_T3_mT4_P12ihipStream_tbEUlT_E_NS1_11comp_targetILNS1_3genE4ELNS1_11target_archE910ELNS1_3gpuE8ELNS1_3repE0EEENS1_30default_config_static_selectorELNS0_4arch9wavefront6targetE1EEEvT1_,"axG",@progbits,_ZN7rocprim17ROCPRIM_400000_NS6detail17trampoline_kernelINS0_14default_configENS1_35adjacent_difference_config_selectorILb0ElEEZNS1_24adjacent_difference_implIS3_Lb0ELb0EPlS7_N6thrust23THRUST_200600_302600_NS5minusIlEEEE10hipError_tPvRmT2_T3_mT4_P12ihipStream_tbEUlT_E_NS1_11comp_targetILNS1_3genE4ELNS1_11target_archE910ELNS1_3gpuE8ELNS1_3repE0EEENS1_30default_config_static_selectorELNS0_4arch9wavefront6targetE1EEEvT1_,comdat
	.protected	_ZN7rocprim17ROCPRIM_400000_NS6detail17trampoline_kernelINS0_14default_configENS1_35adjacent_difference_config_selectorILb0ElEEZNS1_24adjacent_difference_implIS3_Lb0ELb0EPlS7_N6thrust23THRUST_200600_302600_NS5minusIlEEEE10hipError_tPvRmT2_T3_mT4_P12ihipStream_tbEUlT_E_NS1_11comp_targetILNS1_3genE4ELNS1_11target_archE910ELNS1_3gpuE8ELNS1_3repE0EEENS1_30default_config_static_selectorELNS0_4arch9wavefront6targetE1EEEvT1_ ; -- Begin function _ZN7rocprim17ROCPRIM_400000_NS6detail17trampoline_kernelINS0_14default_configENS1_35adjacent_difference_config_selectorILb0ElEEZNS1_24adjacent_difference_implIS3_Lb0ELb0EPlS7_N6thrust23THRUST_200600_302600_NS5minusIlEEEE10hipError_tPvRmT2_T3_mT4_P12ihipStream_tbEUlT_E_NS1_11comp_targetILNS1_3genE4ELNS1_11target_archE910ELNS1_3gpuE8ELNS1_3repE0EEENS1_30default_config_static_selectorELNS0_4arch9wavefront6targetE1EEEvT1_
	.globl	_ZN7rocprim17ROCPRIM_400000_NS6detail17trampoline_kernelINS0_14default_configENS1_35adjacent_difference_config_selectorILb0ElEEZNS1_24adjacent_difference_implIS3_Lb0ELb0EPlS7_N6thrust23THRUST_200600_302600_NS5minusIlEEEE10hipError_tPvRmT2_T3_mT4_P12ihipStream_tbEUlT_E_NS1_11comp_targetILNS1_3genE4ELNS1_11target_archE910ELNS1_3gpuE8ELNS1_3repE0EEENS1_30default_config_static_selectorELNS0_4arch9wavefront6targetE1EEEvT1_
	.p2align	8
	.type	_ZN7rocprim17ROCPRIM_400000_NS6detail17trampoline_kernelINS0_14default_configENS1_35adjacent_difference_config_selectorILb0ElEEZNS1_24adjacent_difference_implIS3_Lb0ELb0EPlS7_N6thrust23THRUST_200600_302600_NS5minusIlEEEE10hipError_tPvRmT2_T3_mT4_P12ihipStream_tbEUlT_E_NS1_11comp_targetILNS1_3genE4ELNS1_11target_archE910ELNS1_3gpuE8ELNS1_3repE0EEENS1_30default_config_static_selectorELNS0_4arch9wavefront6targetE1EEEvT1_,@function
_ZN7rocprim17ROCPRIM_400000_NS6detail17trampoline_kernelINS0_14default_configENS1_35adjacent_difference_config_selectorILb0ElEEZNS1_24adjacent_difference_implIS3_Lb0ELb0EPlS7_N6thrust23THRUST_200600_302600_NS5minusIlEEEE10hipError_tPvRmT2_T3_mT4_P12ihipStream_tbEUlT_E_NS1_11comp_targetILNS1_3genE4ELNS1_11target_archE910ELNS1_3gpuE8ELNS1_3repE0EEENS1_30default_config_static_selectorELNS0_4arch9wavefront6targetE1EEEvT1_: ; @_ZN7rocprim17ROCPRIM_400000_NS6detail17trampoline_kernelINS0_14default_configENS1_35adjacent_difference_config_selectorILb0ElEEZNS1_24adjacent_difference_implIS3_Lb0ELb0EPlS7_N6thrust23THRUST_200600_302600_NS5minusIlEEEE10hipError_tPvRmT2_T3_mT4_P12ihipStream_tbEUlT_E_NS1_11comp_targetILNS1_3genE4ELNS1_11target_archE910ELNS1_3gpuE8ELNS1_3repE0EEENS1_30default_config_static_selectorELNS0_4arch9wavefront6targetE1EEEvT1_
; %bb.0:
	s_load_dwordx8 s[8:15], s[4:5], 0x0
	s_load_dwordx2 s[0:1], s[4:5], 0x30
	s_mov_b32 s5, 0
	s_mov_b64 s[16:17], -1
	s_waitcnt lgkmcnt(0)
	s_lshl_b64 s[10:11], s[10:11], 3
	s_add_u32 s20, s8, s10
	s_addc_u32 s21, s9, s11
	s_lshl_b32 s4, s6, 9
	s_lshr_b64 s[2:3], s[14:15], 9
	s_and_b32 s8, s14, 0x1ff
	s_mov_b32 s9, s5
	s_cmp_lg_u64 s[8:9], 0
	s_cselect_b64 s[8:9], -1, 0
	v_cndmask_b32_e64 v1, 0, 1, s[8:9]
	v_readfirstlane_b32 s7, v1
	s_add_u32 s2, s2, s7
	s_addc_u32 s3, s3, 0
	s_add_u32 s8, s0, s6
	s_addc_u32 s9, s1, 0
	s_add_u32 s6, s2, -1
	s_addc_u32 s7, s3, -1
	v_pk_mov_b32 v[2:3], s[6:7], s[6:7] op_sel:[0,1]
	v_cmp_ge_u64_e64 s[0:1], s[8:9], v[2:3]
	s_and_b64 vcc, exec, s[0:1]
	s_cbranch_vccz .LBB239_6
; %bb.1:
	s_lshl_b32 s15, s6, 9
	s_sub_i32 s15, s14, s15
	s_lshl_b64 s[16:17], s[4:5], 3
	s_add_u32 s16, s20, s16
	s_addc_u32 s17, s21, s17
	v_cmp_gt_u32_e32 vcc, s15, v0
                                        ; implicit-def: $vgpr2_vgpr3_vgpr4_vgpr5
	s_and_saveexec_b64 s[18:19], vcc
	s_cbranch_execz .LBB239_3
; %bb.2:
	v_lshlrev_b32_e32 v1, 3, v0
	global_load_dwordx2 v[2:3], v1, s[16:17]
.LBB239_3:
	s_or_b64 exec, exec, s[18:19]
	v_or_b32_e32 v1, 0x100, v0
	v_cmp_gt_u32_e32 vcc, s15, v1
	s_and_saveexec_b64 s[18:19], vcc
	s_cbranch_execz .LBB239_5
; %bb.4:
	v_lshlrev_b32_e32 v4, 3, v0
	global_load_dwordx2 v[4:5], v4, s[16:17] offset:2048
.LBB239_5:
	s_or_b64 exec, exec, s[18:19]
	v_lshrrev_b32_e32 v6, 2, v0
	v_lshrrev_b32_e32 v1, 2, v1
	v_and_b32_e32 v6, 56, v6
	v_lshlrev_b32_e32 v7, 3, v0
	v_and_b32_e32 v1, 0x78, v1
	v_add_u32_e32 v6, v6, v7
	v_add_u32_e32 v1, v1, v7
	s_mov_b64 s[16:17], 0
	s_waitcnt vmcnt(0)
	ds_write_b64 v6, v[2:3]
	ds_write_b64 v1, v[4:5] offset:2048
	s_waitcnt lgkmcnt(0)
	s_barrier
.LBB239_6:
	s_and_b64 vcc, exec, s[16:17]
	v_lshlrev_b32_e32 v1, 3, v0
	s_cbranch_vccz .LBB239_8
; %bb.7:
	s_lshl_b64 s[16:17], s[4:5], 3
	s_add_u32 s16, s20, s16
	s_addc_u32 s17, s21, s17
	global_load_dwordx2 v[2:3], v1, s[16:17]
	global_load_dwordx2 v[4:5], v1, s[16:17] offset:2048
	v_lshrrev_b32_e32 v6, 2, v0
	v_or_b32_e32 v7, 0x100, v0
	v_and_b32_e32 v6, 56, v6
	v_lshrrev_b32_e32 v7, 2, v7
	v_add_u32_e32 v6, v6, v1
	v_and_b32_e32 v7, 0x78, v7
	v_add_u32_e32 v7, v7, v1
	s_waitcnt vmcnt(1)
	ds_write_b64 v6, v[2:3]
	s_waitcnt vmcnt(0)
	ds_write_b64 v7, v[4:5] offset:2048
	s_waitcnt lgkmcnt(0)
	s_barrier
.LBB239_8:
	v_lshlrev_b32_e32 v2, 1, v0
	v_lshrrev_b32_e32 v3, 4, v0
	v_add_lshl_u32 v2, v3, v2, 3
	ds_read2_b64 v[2:5], v2 offset1:1
	s_cmp_eq_u64 s[8:9], 0
	s_waitcnt lgkmcnt(0)
	s_barrier
	s_cbranch_scc1 .LBB239_13
; %bb.9:
	s_lshl_b64 s[16:17], s[4:5], 3
	s_add_u32 s5, s20, s16
	s_addc_u32 s15, s21, s17
	s_add_u32 s16, s5, -8
	s_addc_u32 s17, s15, -1
	s_load_dwordx2 s[16:17], s[16:17], 0x0
	s_cmp_eq_u64 s[8:9], s[6:7]
	s_cbranch_scc1 .LBB239_14
; %bb.10:
	v_sub_co_u32_e32 v6, vcc, v4, v2
	v_subb_co_u32_e32 v7, vcc, v5, v3, vcc
	v_cmp_ne_u32_e32 vcc, 0, v0
	s_waitcnt lgkmcnt(0)
	v_pk_mov_b32 v[8:9], s[16:17], s[16:17] op_sel:[0,1]
	ds_write_b64 v1, v[4:5]
	s_waitcnt lgkmcnt(0)
	s_barrier
	s_and_saveexec_b64 s[18:19], vcc
	s_cbranch_execz .LBB239_12
; %bb.11:
	v_add_u32_e32 v8, -8, v1
	ds_read_b64 v[8:9], v8
.LBB239_12:
	s_or_b64 exec, exec, s[18:19]
	s_cbranch_execz .LBB239_15
	s_branch .LBB239_18
.LBB239_13:
	s_mov_b64 s[8:9], 0
                                        ; implicit-def: $vgpr6_vgpr7
                                        ; implicit-def: $vgpr8_vgpr9
	s_branch .LBB239_19
.LBB239_14:
                                        ; implicit-def: $vgpr6_vgpr7
                                        ; implicit-def: $vgpr8_vgpr9
.LBB239_15:
	v_cmp_ne_u32_e32 vcc, 0, v0
	s_waitcnt lgkmcnt(0)
	v_pk_mov_b32 v[8:9], s[16:17], s[16:17] op_sel:[0,1]
	ds_write_b64 v1, v[4:5]
	s_waitcnt lgkmcnt(0)
	s_barrier
	s_and_saveexec_b64 s[16:17], vcc
	s_cbranch_execz .LBB239_17
; %bb.16:
	v_add_u32_e32 v6, -8, v1
	ds_read_b64 v[8:9], v6
.LBB239_17:
	s_or_b64 exec, exec, s[16:17]
	s_lshl_b32 s5, s8, 9
	v_lshlrev_b32_e32 v10, 1, v0
	v_sub_co_u32_e32 v11, vcc, v4, v2
	s_sub_i32 s5, s14, s5
	v_or_b32_e32 v6, 1, v10
	v_subb_co_u32_e32 v7, vcc, v5, v3, vcc
	v_cmp_gt_u32_e32 vcc, s5, v6
	v_cndmask_b32_e32 v7, v5, v7, vcc
	v_cndmask_b32_e32 v6, v4, v11, vcc
	v_cmp_gt_u32_e32 vcc, s5, v10
	s_waitcnt lgkmcnt(0)
	v_cndmask_b32_e32 v9, 0, v9, vcc
	v_cndmask_b32_e32 v8, 0, v8, vcc
.LBB239_18:
	s_waitcnt lgkmcnt(0)
	s_mov_b64 s[8:9], -1
	s_cbranch_execnz .LBB239_27
.LBB239_19:
	s_cmp_lg_u64 s[2:3], 1
	v_cmp_ne_u32_e32 vcc, 0, v0
	s_cbranch_scc0 .LBB239_23
; %bb.20:
	v_sub_co_u32_e64 v6, s[2:3], v4, v2
	v_subb_co_u32_e64 v7, s[2:3], v5, v3, s[2:3]
	ds_write_b64 v1, v[4:5]
	s_waitcnt lgkmcnt(0)
	s_barrier
	s_waitcnt lgkmcnt(0)
                                        ; implicit-def: $vgpr8_vgpr9
	s_and_saveexec_b64 s[2:3], vcc
	s_cbranch_execz .LBB239_22
; %bb.21:
	v_add_u32_e32 v8, -8, v1
	ds_read_b64 v[8:9], v8
	s_or_b64 s[8:9], s[8:9], exec
.LBB239_22:
	s_or_b64 exec, exec, s[2:3]
	s_branch .LBB239_27
.LBB239_23:
                                        ; implicit-def: $vgpr6_vgpr7
                                        ; implicit-def: $vgpr8_vgpr9
	s_cbranch_execz .LBB239_27
; %bb.24:
	s_waitcnt lgkmcnt(0)
	v_lshlrev_b32_e32 v8, 1, v0
	v_sub_co_u32_e32 v9, vcc, v4, v2
	v_or_b32_e32 v6, 1, v8
	v_subb_co_u32_e32 v7, vcc, v5, v3, vcc
	v_cmp_gt_u32_e32 vcc, s14, v6
	v_cndmask_b32_e32 v7, v5, v7, vcc
	v_cndmask_b32_e32 v6, v4, v9, vcc
	v_cmp_ne_u32_e32 vcc, 0, v0
	v_cmp_gt_u32_e64 s[2:3], s14, v8
	s_and_b64 s[16:17], vcc, s[2:3]
	ds_write_b64 v1, v[4:5]
	s_waitcnt lgkmcnt(0)
	s_barrier
	s_waitcnt lgkmcnt(0)
                                        ; implicit-def: $vgpr8_vgpr9
	s_and_saveexec_b64 s[2:3], s[16:17]
	s_cbranch_execz .LBB239_26
; %bb.25:
	v_add_u32_e32 v4, -8, v1
	ds_read_b64 v[8:9], v4
	s_or_b64 s[8:9], s[8:9], exec
.LBB239_26:
	s_or_b64 exec, exec, s[2:3]
.LBB239_27:
	s_and_saveexec_b64 s[2:3], s[8:9]
	s_cbranch_execz .LBB239_29
; %bb.28:
	s_waitcnt lgkmcnt(0)
	v_sub_co_u32_e32 v2, vcc, v2, v8
	v_subb_co_u32_e32 v3, vcc, v3, v9, vcc
.LBB239_29:
	s_or_b64 exec, exec, s[2:3]
	s_add_u32 s7, s12, s10
	s_addc_u32 s8, s13, s11
	s_and_b64 vcc, exec, s[0:1]
	v_lshrrev_b32_e32 v10, 1, v0
	s_waitcnt lgkmcnt(0)
	s_barrier
	s_cbranch_vccz .LBB239_33
; %bb.30:
	v_and_b32_e32 v4, 0x78, v10
	v_lshl_add_u32 v8, v0, 4, v4
	v_mov_b32_e32 v4, v6
	v_mov_b32_e32 v5, v7
	v_or_b32_e32 v11, 0x100, v0
	s_lshl_b32 s0, s6, 9
	s_mov_b32 s5, 0
	ds_write2_b64 v8, v[2:3], v[4:5] offset1:1
	v_lshrrev_b32_e32 v4, 5, v11
	s_sub_i32 s2, s14, s0
	s_lshl_b64 s[0:1], s[4:5], 3
	v_add_lshl_u32 v4, v4, v0, 3
	s_add_u32 s0, s7, s0
	s_waitcnt lgkmcnt(0)
	s_barrier
	ds_read_b64 v[4:5], v4 offset:2048
	s_addc_u32 s1, s8, s1
	v_mov_b32_e32 v9, s1
	v_add_co_u32_e32 v8, vcc, s0, v1
	v_addc_co_u32_e32 v9, vcc, 0, v9, vcc
	v_cmp_gt_u32_e32 vcc, s2, v0
	s_and_saveexec_b64 s[0:1], vcc
	s_cbranch_execz .LBB239_32
; %bb.31:
	v_lshrrev_b32_e32 v12, 5, v0
	v_add_lshl_u32 v12, v12, v0, 3
	ds_read_b64 v[12:13], v12
	s_waitcnt lgkmcnt(0)
	global_store_dwordx2 v[8:9], v[12:13], off
.LBB239_32:
	s_or_b64 exec, exec, s[0:1]
	v_cmp_gt_u32_e64 s[0:1], s2, v11
	s_branch .LBB239_35
.LBB239_33:
	s_mov_b64 s[0:1], 0
                                        ; implicit-def: $vgpr4_vgpr5
                                        ; implicit-def: $vgpr8_vgpr9
	s_cbranch_execz .LBB239_35
; %bb.34:
	s_waitcnt lgkmcnt(0)
	v_and_b32_e32 v4, 0x78, v10
	v_lshl_add_u32 v4, v0, 4, v4
	s_mov_b32 s5, 0
	ds_write2_b64 v4, v[2:3], v[6:7] offset1:1
	v_lshrrev_b32_e32 v2, 5, v0
	v_or_b32_e32 v3, 0x100, v0
	s_lshl_b64 s[2:3], s[4:5], 3
	v_add_lshl_u32 v2, v2, v0, 3
	v_lshrrev_b32_e32 v3, 5, v3
	s_add_u32 s2, s7, s2
	s_waitcnt lgkmcnt(0)
	s_barrier
	v_add_lshl_u32 v0, v3, v0, 3
	ds_read_b64 v[2:3], v2
	ds_read_b64 v[4:5], v0 offset:2048
	s_addc_u32 s3, s8, s3
	v_mov_b32_e32 v0, s3
	v_add_co_u32_e32 v8, vcc, s2, v1
	v_addc_co_u32_e32 v9, vcc, 0, v0, vcc
	s_or_b64 s[0:1], s[0:1], exec
	s_waitcnt lgkmcnt(1)
	global_store_dwordx2 v1, v[2:3], s[2:3]
.LBB239_35:
	s_and_saveexec_b64 s[2:3], s[0:1]
	s_cbranch_execnz .LBB239_37
; %bb.36:
	s_endpgm
.LBB239_37:
	s_waitcnt lgkmcnt(0)
	global_store_dwordx2 v[8:9], v[4:5], off offset:2048
	s_endpgm
	.section	.rodata,"a",@progbits
	.p2align	6, 0x0
	.amdhsa_kernel _ZN7rocprim17ROCPRIM_400000_NS6detail17trampoline_kernelINS0_14default_configENS1_35adjacent_difference_config_selectorILb0ElEEZNS1_24adjacent_difference_implIS3_Lb0ELb0EPlS7_N6thrust23THRUST_200600_302600_NS5minusIlEEEE10hipError_tPvRmT2_T3_mT4_P12ihipStream_tbEUlT_E_NS1_11comp_targetILNS1_3genE4ELNS1_11target_archE910ELNS1_3gpuE8ELNS1_3repE0EEENS1_30default_config_static_selectorELNS0_4arch9wavefront6targetE1EEEvT1_
		.amdhsa_group_segment_fixed_size 4224
		.amdhsa_private_segment_fixed_size 0
		.amdhsa_kernarg_size 56
		.amdhsa_user_sgpr_count 6
		.amdhsa_user_sgpr_private_segment_buffer 1
		.amdhsa_user_sgpr_dispatch_ptr 0
		.amdhsa_user_sgpr_queue_ptr 0
		.amdhsa_user_sgpr_kernarg_segment_ptr 1
		.amdhsa_user_sgpr_dispatch_id 0
		.amdhsa_user_sgpr_flat_scratch_init 0
		.amdhsa_user_sgpr_kernarg_preload_length 0
		.amdhsa_user_sgpr_kernarg_preload_offset 0
		.amdhsa_user_sgpr_private_segment_size 0
		.amdhsa_uses_dynamic_stack 0
		.amdhsa_system_sgpr_private_segment_wavefront_offset 0
		.amdhsa_system_sgpr_workgroup_id_x 1
		.amdhsa_system_sgpr_workgroup_id_y 0
		.amdhsa_system_sgpr_workgroup_id_z 0
		.amdhsa_system_sgpr_workgroup_info 0
		.amdhsa_system_vgpr_workitem_id 0
		.amdhsa_next_free_vgpr 14
		.amdhsa_next_free_sgpr 22
		.amdhsa_accum_offset 16
		.amdhsa_reserve_vcc 1
		.amdhsa_reserve_flat_scratch 0
		.amdhsa_float_round_mode_32 0
		.amdhsa_float_round_mode_16_64 0
		.amdhsa_float_denorm_mode_32 3
		.amdhsa_float_denorm_mode_16_64 3
		.amdhsa_dx10_clamp 1
		.amdhsa_ieee_mode 1
		.amdhsa_fp16_overflow 0
		.amdhsa_tg_split 0
		.amdhsa_exception_fp_ieee_invalid_op 0
		.amdhsa_exception_fp_denorm_src 0
		.amdhsa_exception_fp_ieee_div_zero 0
		.amdhsa_exception_fp_ieee_overflow 0
		.amdhsa_exception_fp_ieee_underflow 0
		.amdhsa_exception_fp_ieee_inexact 0
		.amdhsa_exception_int_div_zero 0
	.end_amdhsa_kernel
	.section	.text._ZN7rocprim17ROCPRIM_400000_NS6detail17trampoline_kernelINS0_14default_configENS1_35adjacent_difference_config_selectorILb0ElEEZNS1_24adjacent_difference_implIS3_Lb0ELb0EPlS7_N6thrust23THRUST_200600_302600_NS5minusIlEEEE10hipError_tPvRmT2_T3_mT4_P12ihipStream_tbEUlT_E_NS1_11comp_targetILNS1_3genE4ELNS1_11target_archE910ELNS1_3gpuE8ELNS1_3repE0EEENS1_30default_config_static_selectorELNS0_4arch9wavefront6targetE1EEEvT1_,"axG",@progbits,_ZN7rocprim17ROCPRIM_400000_NS6detail17trampoline_kernelINS0_14default_configENS1_35adjacent_difference_config_selectorILb0ElEEZNS1_24adjacent_difference_implIS3_Lb0ELb0EPlS7_N6thrust23THRUST_200600_302600_NS5minusIlEEEE10hipError_tPvRmT2_T3_mT4_P12ihipStream_tbEUlT_E_NS1_11comp_targetILNS1_3genE4ELNS1_11target_archE910ELNS1_3gpuE8ELNS1_3repE0EEENS1_30default_config_static_selectorELNS0_4arch9wavefront6targetE1EEEvT1_,comdat
.Lfunc_end239:
	.size	_ZN7rocprim17ROCPRIM_400000_NS6detail17trampoline_kernelINS0_14default_configENS1_35adjacent_difference_config_selectorILb0ElEEZNS1_24adjacent_difference_implIS3_Lb0ELb0EPlS7_N6thrust23THRUST_200600_302600_NS5minusIlEEEE10hipError_tPvRmT2_T3_mT4_P12ihipStream_tbEUlT_E_NS1_11comp_targetILNS1_3genE4ELNS1_11target_archE910ELNS1_3gpuE8ELNS1_3repE0EEENS1_30default_config_static_selectorELNS0_4arch9wavefront6targetE1EEEvT1_, .Lfunc_end239-_ZN7rocprim17ROCPRIM_400000_NS6detail17trampoline_kernelINS0_14default_configENS1_35adjacent_difference_config_selectorILb0ElEEZNS1_24adjacent_difference_implIS3_Lb0ELb0EPlS7_N6thrust23THRUST_200600_302600_NS5minusIlEEEE10hipError_tPvRmT2_T3_mT4_P12ihipStream_tbEUlT_E_NS1_11comp_targetILNS1_3genE4ELNS1_11target_archE910ELNS1_3gpuE8ELNS1_3repE0EEENS1_30default_config_static_selectorELNS0_4arch9wavefront6targetE1EEEvT1_
                                        ; -- End function
	.section	.AMDGPU.csdata,"",@progbits
; Kernel info:
; codeLenInByte = 1220
; NumSgprs: 26
; NumVgprs: 14
; NumAgprs: 0
; TotalNumVgprs: 14
; ScratchSize: 0
; MemoryBound: 0
; FloatMode: 240
; IeeeMode: 1
; LDSByteSize: 4224 bytes/workgroup (compile time only)
; SGPRBlocks: 3
; VGPRBlocks: 1
; NumSGPRsForWavesPerEU: 26
; NumVGPRsForWavesPerEU: 14
; AccumOffset: 16
; Occupancy: 8
; WaveLimiterHint : 1
; COMPUTE_PGM_RSRC2:SCRATCH_EN: 0
; COMPUTE_PGM_RSRC2:USER_SGPR: 6
; COMPUTE_PGM_RSRC2:TRAP_HANDLER: 0
; COMPUTE_PGM_RSRC2:TGID_X_EN: 1
; COMPUTE_PGM_RSRC2:TGID_Y_EN: 0
; COMPUTE_PGM_RSRC2:TGID_Z_EN: 0
; COMPUTE_PGM_RSRC2:TIDIG_COMP_CNT: 0
; COMPUTE_PGM_RSRC3_GFX90A:ACCUM_OFFSET: 3
; COMPUTE_PGM_RSRC3_GFX90A:TG_SPLIT: 0
	.section	.text._ZN7rocprim17ROCPRIM_400000_NS6detail17trampoline_kernelINS0_14default_configENS1_35adjacent_difference_config_selectorILb0ElEEZNS1_24adjacent_difference_implIS3_Lb0ELb0EPlS7_N6thrust23THRUST_200600_302600_NS5minusIlEEEE10hipError_tPvRmT2_T3_mT4_P12ihipStream_tbEUlT_E_NS1_11comp_targetILNS1_3genE3ELNS1_11target_archE908ELNS1_3gpuE7ELNS1_3repE0EEENS1_30default_config_static_selectorELNS0_4arch9wavefront6targetE1EEEvT1_,"axG",@progbits,_ZN7rocprim17ROCPRIM_400000_NS6detail17trampoline_kernelINS0_14default_configENS1_35adjacent_difference_config_selectorILb0ElEEZNS1_24adjacent_difference_implIS3_Lb0ELb0EPlS7_N6thrust23THRUST_200600_302600_NS5minusIlEEEE10hipError_tPvRmT2_T3_mT4_P12ihipStream_tbEUlT_E_NS1_11comp_targetILNS1_3genE3ELNS1_11target_archE908ELNS1_3gpuE7ELNS1_3repE0EEENS1_30default_config_static_selectorELNS0_4arch9wavefront6targetE1EEEvT1_,comdat
	.protected	_ZN7rocprim17ROCPRIM_400000_NS6detail17trampoline_kernelINS0_14default_configENS1_35adjacent_difference_config_selectorILb0ElEEZNS1_24adjacent_difference_implIS3_Lb0ELb0EPlS7_N6thrust23THRUST_200600_302600_NS5minusIlEEEE10hipError_tPvRmT2_T3_mT4_P12ihipStream_tbEUlT_E_NS1_11comp_targetILNS1_3genE3ELNS1_11target_archE908ELNS1_3gpuE7ELNS1_3repE0EEENS1_30default_config_static_selectorELNS0_4arch9wavefront6targetE1EEEvT1_ ; -- Begin function _ZN7rocprim17ROCPRIM_400000_NS6detail17trampoline_kernelINS0_14default_configENS1_35adjacent_difference_config_selectorILb0ElEEZNS1_24adjacent_difference_implIS3_Lb0ELb0EPlS7_N6thrust23THRUST_200600_302600_NS5minusIlEEEE10hipError_tPvRmT2_T3_mT4_P12ihipStream_tbEUlT_E_NS1_11comp_targetILNS1_3genE3ELNS1_11target_archE908ELNS1_3gpuE7ELNS1_3repE0EEENS1_30default_config_static_selectorELNS0_4arch9wavefront6targetE1EEEvT1_
	.globl	_ZN7rocprim17ROCPRIM_400000_NS6detail17trampoline_kernelINS0_14default_configENS1_35adjacent_difference_config_selectorILb0ElEEZNS1_24adjacent_difference_implIS3_Lb0ELb0EPlS7_N6thrust23THRUST_200600_302600_NS5minusIlEEEE10hipError_tPvRmT2_T3_mT4_P12ihipStream_tbEUlT_E_NS1_11comp_targetILNS1_3genE3ELNS1_11target_archE908ELNS1_3gpuE7ELNS1_3repE0EEENS1_30default_config_static_selectorELNS0_4arch9wavefront6targetE1EEEvT1_
	.p2align	8
	.type	_ZN7rocprim17ROCPRIM_400000_NS6detail17trampoline_kernelINS0_14default_configENS1_35adjacent_difference_config_selectorILb0ElEEZNS1_24adjacent_difference_implIS3_Lb0ELb0EPlS7_N6thrust23THRUST_200600_302600_NS5minusIlEEEE10hipError_tPvRmT2_T3_mT4_P12ihipStream_tbEUlT_E_NS1_11comp_targetILNS1_3genE3ELNS1_11target_archE908ELNS1_3gpuE7ELNS1_3repE0EEENS1_30default_config_static_selectorELNS0_4arch9wavefront6targetE1EEEvT1_,@function
_ZN7rocprim17ROCPRIM_400000_NS6detail17trampoline_kernelINS0_14default_configENS1_35adjacent_difference_config_selectorILb0ElEEZNS1_24adjacent_difference_implIS3_Lb0ELb0EPlS7_N6thrust23THRUST_200600_302600_NS5minusIlEEEE10hipError_tPvRmT2_T3_mT4_P12ihipStream_tbEUlT_E_NS1_11comp_targetILNS1_3genE3ELNS1_11target_archE908ELNS1_3gpuE7ELNS1_3repE0EEENS1_30default_config_static_selectorELNS0_4arch9wavefront6targetE1EEEvT1_: ; @_ZN7rocprim17ROCPRIM_400000_NS6detail17trampoline_kernelINS0_14default_configENS1_35adjacent_difference_config_selectorILb0ElEEZNS1_24adjacent_difference_implIS3_Lb0ELb0EPlS7_N6thrust23THRUST_200600_302600_NS5minusIlEEEE10hipError_tPvRmT2_T3_mT4_P12ihipStream_tbEUlT_E_NS1_11comp_targetILNS1_3genE3ELNS1_11target_archE908ELNS1_3gpuE7ELNS1_3repE0EEENS1_30default_config_static_selectorELNS0_4arch9wavefront6targetE1EEEvT1_
; %bb.0:
	.section	.rodata,"a",@progbits
	.p2align	6, 0x0
	.amdhsa_kernel _ZN7rocprim17ROCPRIM_400000_NS6detail17trampoline_kernelINS0_14default_configENS1_35adjacent_difference_config_selectorILb0ElEEZNS1_24adjacent_difference_implIS3_Lb0ELb0EPlS7_N6thrust23THRUST_200600_302600_NS5minusIlEEEE10hipError_tPvRmT2_T3_mT4_P12ihipStream_tbEUlT_E_NS1_11comp_targetILNS1_3genE3ELNS1_11target_archE908ELNS1_3gpuE7ELNS1_3repE0EEENS1_30default_config_static_selectorELNS0_4arch9wavefront6targetE1EEEvT1_
		.amdhsa_group_segment_fixed_size 0
		.amdhsa_private_segment_fixed_size 0
		.amdhsa_kernarg_size 56
		.amdhsa_user_sgpr_count 6
		.amdhsa_user_sgpr_private_segment_buffer 1
		.amdhsa_user_sgpr_dispatch_ptr 0
		.amdhsa_user_sgpr_queue_ptr 0
		.amdhsa_user_sgpr_kernarg_segment_ptr 1
		.amdhsa_user_sgpr_dispatch_id 0
		.amdhsa_user_sgpr_flat_scratch_init 0
		.amdhsa_user_sgpr_kernarg_preload_length 0
		.amdhsa_user_sgpr_kernarg_preload_offset 0
		.amdhsa_user_sgpr_private_segment_size 0
		.amdhsa_uses_dynamic_stack 0
		.amdhsa_system_sgpr_private_segment_wavefront_offset 0
		.amdhsa_system_sgpr_workgroup_id_x 1
		.amdhsa_system_sgpr_workgroup_id_y 0
		.amdhsa_system_sgpr_workgroup_id_z 0
		.amdhsa_system_sgpr_workgroup_info 0
		.amdhsa_system_vgpr_workitem_id 0
		.amdhsa_next_free_vgpr 1
		.amdhsa_next_free_sgpr 0
		.amdhsa_accum_offset 4
		.amdhsa_reserve_vcc 0
		.amdhsa_reserve_flat_scratch 0
		.amdhsa_float_round_mode_32 0
		.amdhsa_float_round_mode_16_64 0
		.amdhsa_float_denorm_mode_32 3
		.amdhsa_float_denorm_mode_16_64 3
		.amdhsa_dx10_clamp 1
		.amdhsa_ieee_mode 1
		.amdhsa_fp16_overflow 0
		.amdhsa_tg_split 0
		.amdhsa_exception_fp_ieee_invalid_op 0
		.amdhsa_exception_fp_denorm_src 0
		.amdhsa_exception_fp_ieee_div_zero 0
		.amdhsa_exception_fp_ieee_overflow 0
		.amdhsa_exception_fp_ieee_underflow 0
		.amdhsa_exception_fp_ieee_inexact 0
		.amdhsa_exception_int_div_zero 0
	.end_amdhsa_kernel
	.section	.text._ZN7rocprim17ROCPRIM_400000_NS6detail17trampoline_kernelINS0_14default_configENS1_35adjacent_difference_config_selectorILb0ElEEZNS1_24adjacent_difference_implIS3_Lb0ELb0EPlS7_N6thrust23THRUST_200600_302600_NS5minusIlEEEE10hipError_tPvRmT2_T3_mT4_P12ihipStream_tbEUlT_E_NS1_11comp_targetILNS1_3genE3ELNS1_11target_archE908ELNS1_3gpuE7ELNS1_3repE0EEENS1_30default_config_static_selectorELNS0_4arch9wavefront6targetE1EEEvT1_,"axG",@progbits,_ZN7rocprim17ROCPRIM_400000_NS6detail17trampoline_kernelINS0_14default_configENS1_35adjacent_difference_config_selectorILb0ElEEZNS1_24adjacent_difference_implIS3_Lb0ELb0EPlS7_N6thrust23THRUST_200600_302600_NS5minusIlEEEE10hipError_tPvRmT2_T3_mT4_P12ihipStream_tbEUlT_E_NS1_11comp_targetILNS1_3genE3ELNS1_11target_archE908ELNS1_3gpuE7ELNS1_3repE0EEENS1_30default_config_static_selectorELNS0_4arch9wavefront6targetE1EEEvT1_,comdat
.Lfunc_end240:
	.size	_ZN7rocprim17ROCPRIM_400000_NS6detail17trampoline_kernelINS0_14default_configENS1_35adjacent_difference_config_selectorILb0ElEEZNS1_24adjacent_difference_implIS3_Lb0ELb0EPlS7_N6thrust23THRUST_200600_302600_NS5minusIlEEEE10hipError_tPvRmT2_T3_mT4_P12ihipStream_tbEUlT_E_NS1_11comp_targetILNS1_3genE3ELNS1_11target_archE908ELNS1_3gpuE7ELNS1_3repE0EEENS1_30default_config_static_selectorELNS0_4arch9wavefront6targetE1EEEvT1_, .Lfunc_end240-_ZN7rocprim17ROCPRIM_400000_NS6detail17trampoline_kernelINS0_14default_configENS1_35adjacent_difference_config_selectorILb0ElEEZNS1_24adjacent_difference_implIS3_Lb0ELb0EPlS7_N6thrust23THRUST_200600_302600_NS5minusIlEEEE10hipError_tPvRmT2_T3_mT4_P12ihipStream_tbEUlT_E_NS1_11comp_targetILNS1_3genE3ELNS1_11target_archE908ELNS1_3gpuE7ELNS1_3repE0EEENS1_30default_config_static_selectorELNS0_4arch9wavefront6targetE1EEEvT1_
                                        ; -- End function
	.section	.AMDGPU.csdata,"",@progbits
; Kernel info:
; codeLenInByte = 0
; NumSgprs: 4
; NumVgprs: 0
; NumAgprs: 0
; TotalNumVgprs: 0
; ScratchSize: 0
; MemoryBound: 0
; FloatMode: 240
; IeeeMode: 1
; LDSByteSize: 0 bytes/workgroup (compile time only)
; SGPRBlocks: 0
; VGPRBlocks: 0
; NumSGPRsForWavesPerEU: 4
; NumVGPRsForWavesPerEU: 1
; AccumOffset: 4
; Occupancy: 8
; WaveLimiterHint : 0
; COMPUTE_PGM_RSRC2:SCRATCH_EN: 0
; COMPUTE_PGM_RSRC2:USER_SGPR: 6
; COMPUTE_PGM_RSRC2:TRAP_HANDLER: 0
; COMPUTE_PGM_RSRC2:TGID_X_EN: 1
; COMPUTE_PGM_RSRC2:TGID_Y_EN: 0
; COMPUTE_PGM_RSRC2:TGID_Z_EN: 0
; COMPUTE_PGM_RSRC2:TIDIG_COMP_CNT: 0
; COMPUTE_PGM_RSRC3_GFX90A:ACCUM_OFFSET: 0
; COMPUTE_PGM_RSRC3_GFX90A:TG_SPLIT: 0
	.section	.text._ZN7rocprim17ROCPRIM_400000_NS6detail17trampoline_kernelINS0_14default_configENS1_35adjacent_difference_config_selectorILb0ElEEZNS1_24adjacent_difference_implIS3_Lb0ELb0EPlS7_N6thrust23THRUST_200600_302600_NS5minusIlEEEE10hipError_tPvRmT2_T3_mT4_P12ihipStream_tbEUlT_E_NS1_11comp_targetILNS1_3genE2ELNS1_11target_archE906ELNS1_3gpuE6ELNS1_3repE0EEENS1_30default_config_static_selectorELNS0_4arch9wavefront6targetE1EEEvT1_,"axG",@progbits,_ZN7rocprim17ROCPRIM_400000_NS6detail17trampoline_kernelINS0_14default_configENS1_35adjacent_difference_config_selectorILb0ElEEZNS1_24adjacent_difference_implIS3_Lb0ELb0EPlS7_N6thrust23THRUST_200600_302600_NS5minusIlEEEE10hipError_tPvRmT2_T3_mT4_P12ihipStream_tbEUlT_E_NS1_11comp_targetILNS1_3genE2ELNS1_11target_archE906ELNS1_3gpuE6ELNS1_3repE0EEENS1_30default_config_static_selectorELNS0_4arch9wavefront6targetE1EEEvT1_,comdat
	.protected	_ZN7rocprim17ROCPRIM_400000_NS6detail17trampoline_kernelINS0_14default_configENS1_35adjacent_difference_config_selectorILb0ElEEZNS1_24adjacent_difference_implIS3_Lb0ELb0EPlS7_N6thrust23THRUST_200600_302600_NS5minusIlEEEE10hipError_tPvRmT2_T3_mT4_P12ihipStream_tbEUlT_E_NS1_11comp_targetILNS1_3genE2ELNS1_11target_archE906ELNS1_3gpuE6ELNS1_3repE0EEENS1_30default_config_static_selectorELNS0_4arch9wavefront6targetE1EEEvT1_ ; -- Begin function _ZN7rocprim17ROCPRIM_400000_NS6detail17trampoline_kernelINS0_14default_configENS1_35adjacent_difference_config_selectorILb0ElEEZNS1_24adjacent_difference_implIS3_Lb0ELb0EPlS7_N6thrust23THRUST_200600_302600_NS5minusIlEEEE10hipError_tPvRmT2_T3_mT4_P12ihipStream_tbEUlT_E_NS1_11comp_targetILNS1_3genE2ELNS1_11target_archE906ELNS1_3gpuE6ELNS1_3repE0EEENS1_30default_config_static_selectorELNS0_4arch9wavefront6targetE1EEEvT1_
	.globl	_ZN7rocprim17ROCPRIM_400000_NS6detail17trampoline_kernelINS0_14default_configENS1_35adjacent_difference_config_selectorILb0ElEEZNS1_24adjacent_difference_implIS3_Lb0ELb0EPlS7_N6thrust23THRUST_200600_302600_NS5minusIlEEEE10hipError_tPvRmT2_T3_mT4_P12ihipStream_tbEUlT_E_NS1_11comp_targetILNS1_3genE2ELNS1_11target_archE906ELNS1_3gpuE6ELNS1_3repE0EEENS1_30default_config_static_selectorELNS0_4arch9wavefront6targetE1EEEvT1_
	.p2align	8
	.type	_ZN7rocprim17ROCPRIM_400000_NS6detail17trampoline_kernelINS0_14default_configENS1_35adjacent_difference_config_selectorILb0ElEEZNS1_24adjacent_difference_implIS3_Lb0ELb0EPlS7_N6thrust23THRUST_200600_302600_NS5minusIlEEEE10hipError_tPvRmT2_T3_mT4_P12ihipStream_tbEUlT_E_NS1_11comp_targetILNS1_3genE2ELNS1_11target_archE906ELNS1_3gpuE6ELNS1_3repE0EEENS1_30default_config_static_selectorELNS0_4arch9wavefront6targetE1EEEvT1_,@function
_ZN7rocprim17ROCPRIM_400000_NS6detail17trampoline_kernelINS0_14default_configENS1_35adjacent_difference_config_selectorILb0ElEEZNS1_24adjacent_difference_implIS3_Lb0ELb0EPlS7_N6thrust23THRUST_200600_302600_NS5minusIlEEEE10hipError_tPvRmT2_T3_mT4_P12ihipStream_tbEUlT_E_NS1_11comp_targetILNS1_3genE2ELNS1_11target_archE906ELNS1_3gpuE6ELNS1_3repE0EEENS1_30default_config_static_selectorELNS0_4arch9wavefront6targetE1EEEvT1_: ; @_ZN7rocprim17ROCPRIM_400000_NS6detail17trampoline_kernelINS0_14default_configENS1_35adjacent_difference_config_selectorILb0ElEEZNS1_24adjacent_difference_implIS3_Lb0ELb0EPlS7_N6thrust23THRUST_200600_302600_NS5minusIlEEEE10hipError_tPvRmT2_T3_mT4_P12ihipStream_tbEUlT_E_NS1_11comp_targetILNS1_3genE2ELNS1_11target_archE906ELNS1_3gpuE6ELNS1_3repE0EEENS1_30default_config_static_selectorELNS0_4arch9wavefront6targetE1EEEvT1_
; %bb.0:
	.section	.rodata,"a",@progbits
	.p2align	6, 0x0
	.amdhsa_kernel _ZN7rocprim17ROCPRIM_400000_NS6detail17trampoline_kernelINS0_14default_configENS1_35adjacent_difference_config_selectorILb0ElEEZNS1_24adjacent_difference_implIS3_Lb0ELb0EPlS7_N6thrust23THRUST_200600_302600_NS5minusIlEEEE10hipError_tPvRmT2_T3_mT4_P12ihipStream_tbEUlT_E_NS1_11comp_targetILNS1_3genE2ELNS1_11target_archE906ELNS1_3gpuE6ELNS1_3repE0EEENS1_30default_config_static_selectorELNS0_4arch9wavefront6targetE1EEEvT1_
		.amdhsa_group_segment_fixed_size 0
		.amdhsa_private_segment_fixed_size 0
		.amdhsa_kernarg_size 56
		.amdhsa_user_sgpr_count 6
		.amdhsa_user_sgpr_private_segment_buffer 1
		.amdhsa_user_sgpr_dispatch_ptr 0
		.amdhsa_user_sgpr_queue_ptr 0
		.amdhsa_user_sgpr_kernarg_segment_ptr 1
		.amdhsa_user_sgpr_dispatch_id 0
		.amdhsa_user_sgpr_flat_scratch_init 0
		.amdhsa_user_sgpr_kernarg_preload_length 0
		.amdhsa_user_sgpr_kernarg_preload_offset 0
		.amdhsa_user_sgpr_private_segment_size 0
		.amdhsa_uses_dynamic_stack 0
		.amdhsa_system_sgpr_private_segment_wavefront_offset 0
		.amdhsa_system_sgpr_workgroup_id_x 1
		.amdhsa_system_sgpr_workgroup_id_y 0
		.amdhsa_system_sgpr_workgroup_id_z 0
		.amdhsa_system_sgpr_workgroup_info 0
		.amdhsa_system_vgpr_workitem_id 0
		.amdhsa_next_free_vgpr 1
		.amdhsa_next_free_sgpr 0
		.amdhsa_accum_offset 4
		.amdhsa_reserve_vcc 0
		.amdhsa_reserve_flat_scratch 0
		.amdhsa_float_round_mode_32 0
		.amdhsa_float_round_mode_16_64 0
		.amdhsa_float_denorm_mode_32 3
		.amdhsa_float_denorm_mode_16_64 3
		.amdhsa_dx10_clamp 1
		.amdhsa_ieee_mode 1
		.amdhsa_fp16_overflow 0
		.amdhsa_tg_split 0
		.amdhsa_exception_fp_ieee_invalid_op 0
		.amdhsa_exception_fp_denorm_src 0
		.amdhsa_exception_fp_ieee_div_zero 0
		.amdhsa_exception_fp_ieee_overflow 0
		.amdhsa_exception_fp_ieee_underflow 0
		.amdhsa_exception_fp_ieee_inexact 0
		.amdhsa_exception_int_div_zero 0
	.end_amdhsa_kernel
	.section	.text._ZN7rocprim17ROCPRIM_400000_NS6detail17trampoline_kernelINS0_14default_configENS1_35adjacent_difference_config_selectorILb0ElEEZNS1_24adjacent_difference_implIS3_Lb0ELb0EPlS7_N6thrust23THRUST_200600_302600_NS5minusIlEEEE10hipError_tPvRmT2_T3_mT4_P12ihipStream_tbEUlT_E_NS1_11comp_targetILNS1_3genE2ELNS1_11target_archE906ELNS1_3gpuE6ELNS1_3repE0EEENS1_30default_config_static_selectorELNS0_4arch9wavefront6targetE1EEEvT1_,"axG",@progbits,_ZN7rocprim17ROCPRIM_400000_NS6detail17trampoline_kernelINS0_14default_configENS1_35adjacent_difference_config_selectorILb0ElEEZNS1_24adjacent_difference_implIS3_Lb0ELb0EPlS7_N6thrust23THRUST_200600_302600_NS5minusIlEEEE10hipError_tPvRmT2_T3_mT4_P12ihipStream_tbEUlT_E_NS1_11comp_targetILNS1_3genE2ELNS1_11target_archE906ELNS1_3gpuE6ELNS1_3repE0EEENS1_30default_config_static_selectorELNS0_4arch9wavefront6targetE1EEEvT1_,comdat
.Lfunc_end241:
	.size	_ZN7rocprim17ROCPRIM_400000_NS6detail17trampoline_kernelINS0_14default_configENS1_35adjacent_difference_config_selectorILb0ElEEZNS1_24adjacent_difference_implIS3_Lb0ELb0EPlS7_N6thrust23THRUST_200600_302600_NS5minusIlEEEE10hipError_tPvRmT2_T3_mT4_P12ihipStream_tbEUlT_E_NS1_11comp_targetILNS1_3genE2ELNS1_11target_archE906ELNS1_3gpuE6ELNS1_3repE0EEENS1_30default_config_static_selectorELNS0_4arch9wavefront6targetE1EEEvT1_, .Lfunc_end241-_ZN7rocprim17ROCPRIM_400000_NS6detail17trampoline_kernelINS0_14default_configENS1_35adjacent_difference_config_selectorILb0ElEEZNS1_24adjacent_difference_implIS3_Lb0ELb0EPlS7_N6thrust23THRUST_200600_302600_NS5minusIlEEEE10hipError_tPvRmT2_T3_mT4_P12ihipStream_tbEUlT_E_NS1_11comp_targetILNS1_3genE2ELNS1_11target_archE906ELNS1_3gpuE6ELNS1_3repE0EEENS1_30default_config_static_selectorELNS0_4arch9wavefront6targetE1EEEvT1_
                                        ; -- End function
	.section	.AMDGPU.csdata,"",@progbits
; Kernel info:
; codeLenInByte = 0
; NumSgprs: 4
; NumVgprs: 0
; NumAgprs: 0
; TotalNumVgprs: 0
; ScratchSize: 0
; MemoryBound: 0
; FloatMode: 240
; IeeeMode: 1
; LDSByteSize: 0 bytes/workgroup (compile time only)
; SGPRBlocks: 0
; VGPRBlocks: 0
; NumSGPRsForWavesPerEU: 4
; NumVGPRsForWavesPerEU: 1
; AccumOffset: 4
; Occupancy: 8
; WaveLimiterHint : 0
; COMPUTE_PGM_RSRC2:SCRATCH_EN: 0
; COMPUTE_PGM_RSRC2:USER_SGPR: 6
; COMPUTE_PGM_RSRC2:TRAP_HANDLER: 0
; COMPUTE_PGM_RSRC2:TGID_X_EN: 1
; COMPUTE_PGM_RSRC2:TGID_Y_EN: 0
; COMPUTE_PGM_RSRC2:TGID_Z_EN: 0
; COMPUTE_PGM_RSRC2:TIDIG_COMP_CNT: 0
; COMPUTE_PGM_RSRC3_GFX90A:ACCUM_OFFSET: 0
; COMPUTE_PGM_RSRC3_GFX90A:TG_SPLIT: 0
	.section	.text._ZN7rocprim17ROCPRIM_400000_NS6detail17trampoline_kernelINS0_14default_configENS1_35adjacent_difference_config_selectorILb0ElEEZNS1_24adjacent_difference_implIS3_Lb0ELb0EPlS7_N6thrust23THRUST_200600_302600_NS5minusIlEEEE10hipError_tPvRmT2_T3_mT4_P12ihipStream_tbEUlT_E_NS1_11comp_targetILNS1_3genE9ELNS1_11target_archE1100ELNS1_3gpuE3ELNS1_3repE0EEENS1_30default_config_static_selectorELNS0_4arch9wavefront6targetE1EEEvT1_,"axG",@progbits,_ZN7rocprim17ROCPRIM_400000_NS6detail17trampoline_kernelINS0_14default_configENS1_35adjacent_difference_config_selectorILb0ElEEZNS1_24adjacent_difference_implIS3_Lb0ELb0EPlS7_N6thrust23THRUST_200600_302600_NS5minusIlEEEE10hipError_tPvRmT2_T3_mT4_P12ihipStream_tbEUlT_E_NS1_11comp_targetILNS1_3genE9ELNS1_11target_archE1100ELNS1_3gpuE3ELNS1_3repE0EEENS1_30default_config_static_selectorELNS0_4arch9wavefront6targetE1EEEvT1_,comdat
	.protected	_ZN7rocprim17ROCPRIM_400000_NS6detail17trampoline_kernelINS0_14default_configENS1_35adjacent_difference_config_selectorILb0ElEEZNS1_24adjacent_difference_implIS3_Lb0ELb0EPlS7_N6thrust23THRUST_200600_302600_NS5minusIlEEEE10hipError_tPvRmT2_T3_mT4_P12ihipStream_tbEUlT_E_NS1_11comp_targetILNS1_3genE9ELNS1_11target_archE1100ELNS1_3gpuE3ELNS1_3repE0EEENS1_30default_config_static_selectorELNS0_4arch9wavefront6targetE1EEEvT1_ ; -- Begin function _ZN7rocprim17ROCPRIM_400000_NS6detail17trampoline_kernelINS0_14default_configENS1_35adjacent_difference_config_selectorILb0ElEEZNS1_24adjacent_difference_implIS3_Lb0ELb0EPlS7_N6thrust23THRUST_200600_302600_NS5minusIlEEEE10hipError_tPvRmT2_T3_mT4_P12ihipStream_tbEUlT_E_NS1_11comp_targetILNS1_3genE9ELNS1_11target_archE1100ELNS1_3gpuE3ELNS1_3repE0EEENS1_30default_config_static_selectorELNS0_4arch9wavefront6targetE1EEEvT1_
	.globl	_ZN7rocprim17ROCPRIM_400000_NS6detail17trampoline_kernelINS0_14default_configENS1_35adjacent_difference_config_selectorILb0ElEEZNS1_24adjacent_difference_implIS3_Lb0ELb0EPlS7_N6thrust23THRUST_200600_302600_NS5minusIlEEEE10hipError_tPvRmT2_T3_mT4_P12ihipStream_tbEUlT_E_NS1_11comp_targetILNS1_3genE9ELNS1_11target_archE1100ELNS1_3gpuE3ELNS1_3repE0EEENS1_30default_config_static_selectorELNS0_4arch9wavefront6targetE1EEEvT1_
	.p2align	8
	.type	_ZN7rocprim17ROCPRIM_400000_NS6detail17trampoline_kernelINS0_14default_configENS1_35adjacent_difference_config_selectorILb0ElEEZNS1_24adjacent_difference_implIS3_Lb0ELb0EPlS7_N6thrust23THRUST_200600_302600_NS5minusIlEEEE10hipError_tPvRmT2_T3_mT4_P12ihipStream_tbEUlT_E_NS1_11comp_targetILNS1_3genE9ELNS1_11target_archE1100ELNS1_3gpuE3ELNS1_3repE0EEENS1_30default_config_static_selectorELNS0_4arch9wavefront6targetE1EEEvT1_,@function
_ZN7rocprim17ROCPRIM_400000_NS6detail17trampoline_kernelINS0_14default_configENS1_35adjacent_difference_config_selectorILb0ElEEZNS1_24adjacent_difference_implIS3_Lb0ELb0EPlS7_N6thrust23THRUST_200600_302600_NS5minusIlEEEE10hipError_tPvRmT2_T3_mT4_P12ihipStream_tbEUlT_E_NS1_11comp_targetILNS1_3genE9ELNS1_11target_archE1100ELNS1_3gpuE3ELNS1_3repE0EEENS1_30default_config_static_selectorELNS0_4arch9wavefront6targetE1EEEvT1_: ; @_ZN7rocprim17ROCPRIM_400000_NS6detail17trampoline_kernelINS0_14default_configENS1_35adjacent_difference_config_selectorILb0ElEEZNS1_24adjacent_difference_implIS3_Lb0ELb0EPlS7_N6thrust23THRUST_200600_302600_NS5minusIlEEEE10hipError_tPvRmT2_T3_mT4_P12ihipStream_tbEUlT_E_NS1_11comp_targetILNS1_3genE9ELNS1_11target_archE1100ELNS1_3gpuE3ELNS1_3repE0EEENS1_30default_config_static_selectorELNS0_4arch9wavefront6targetE1EEEvT1_
; %bb.0:
	.section	.rodata,"a",@progbits
	.p2align	6, 0x0
	.amdhsa_kernel _ZN7rocprim17ROCPRIM_400000_NS6detail17trampoline_kernelINS0_14default_configENS1_35adjacent_difference_config_selectorILb0ElEEZNS1_24adjacent_difference_implIS3_Lb0ELb0EPlS7_N6thrust23THRUST_200600_302600_NS5minusIlEEEE10hipError_tPvRmT2_T3_mT4_P12ihipStream_tbEUlT_E_NS1_11comp_targetILNS1_3genE9ELNS1_11target_archE1100ELNS1_3gpuE3ELNS1_3repE0EEENS1_30default_config_static_selectorELNS0_4arch9wavefront6targetE1EEEvT1_
		.amdhsa_group_segment_fixed_size 0
		.amdhsa_private_segment_fixed_size 0
		.amdhsa_kernarg_size 56
		.amdhsa_user_sgpr_count 6
		.amdhsa_user_sgpr_private_segment_buffer 1
		.amdhsa_user_sgpr_dispatch_ptr 0
		.amdhsa_user_sgpr_queue_ptr 0
		.amdhsa_user_sgpr_kernarg_segment_ptr 1
		.amdhsa_user_sgpr_dispatch_id 0
		.amdhsa_user_sgpr_flat_scratch_init 0
		.amdhsa_user_sgpr_kernarg_preload_length 0
		.amdhsa_user_sgpr_kernarg_preload_offset 0
		.amdhsa_user_sgpr_private_segment_size 0
		.amdhsa_uses_dynamic_stack 0
		.amdhsa_system_sgpr_private_segment_wavefront_offset 0
		.amdhsa_system_sgpr_workgroup_id_x 1
		.amdhsa_system_sgpr_workgroup_id_y 0
		.amdhsa_system_sgpr_workgroup_id_z 0
		.amdhsa_system_sgpr_workgroup_info 0
		.amdhsa_system_vgpr_workitem_id 0
		.amdhsa_next_free_vgpr 1
		.amdhsa_next_free_sgpr 0
		.amdhsa_accum_offset 4
		.amdhsa_reserve_vcc 0
		.amdhsa_reserve_flat_scratch 0
		.amdhsa_float_round_mode_32 0
		.amdhsa_float_round_mode_16_64 0
		.amdhsa_float_denorm_mode_32 3
		.amdhsa_float_denorm_mode_16_64 3
		.amdhsa_dx10_clamp 1
		.amdhsa_ieee_mode 1
		.amdhsa_fp16_overflow 0
		.amdhsa_tg_split 0
		.amdhsa_exception_fp_ieee_invalid_op 0
		.amdhsa_exception_fp_denorm_src 0
		.amdhsa_exception_fp_ieee_div_zero 0
		.amdhsa_exception_fp_ieee_overflow 0
		.amdhsa_exception_fp_ieee_underflow 0
		.amdhsa_exception_fp_ieee_inexact 0
		.amdhsa_exception_int_div_zero 0
	.end_amdhsa_kernel
	.section	.text._ZN7rocprim17ROCPRIM_400000_NS6detail17trampoline_kernelINS0_14default_configENS1_35adjacent_difference_config_selectorILb0ElEEZNS1_24adjacent_difference_implIS3_Lb0ELb0EPlS7_N6thrust23THRUST_200600_302600_NS5minusIlEEEE10hipError_tPvRmT2_T3_mT4_P12ihipStream_tbEUlT_E_NS1_11comp_targetILNS1_3genE9ELNS1_11target_archE1100ELNS1_3gpuE3ELNS1_3repE0EEENS1_30default_config_static_selectorELNS0_4arch9wavefront6targetE1EEEvT1_,"axG",@progbits,_ZN7rocprim17ROCPRIM_400000_NS6detail17trampoline_kernelINS0_14default_configENS1_35adjacent_difference_config_selectorILb0ElEEZNS1_24adjacent_difference_implIS3_Lb0ELb0EPlS7_N6thrust23THRUST_200600_302600_NS5minusIlEEEE10hipError_tPvRmT2_T3_mT4_P12ihipStream_tbEUlT_E_NS1_11comp_targetILNS1_3genE9ELNS1_11target_archE1100ELNS1_3gpuE3ELNS1_3repE0EEENS1_30default_config_static_selectorELNS0_4arch9wavefront6targetE1EEEvT1_,comdat
.Lfunc_end242:
	.size	_ZN7rocprim17ROCPRIM_400000_NS6detail17trampoline_kernelINS0_14default_configENS1_35adjacent_difference_config_selectorILb0ElEEZNS1_24adjacent_difference_implIS3_Lb0ELb0EPlS7_N6thrust23THRUST_200600_302600_NS5minusIlEEEE10hipError_tPvRmT2_T3_mT4_P12ihipStream_tbEUlT_E_NS1_11comp_targetILNS1_3genE9ELNS1_11target_archE1100ELNS1_3gpuE3ELNS1_3repE0EEENS1_30default_config_static_selectorELNS0_4arch9wavefront6targetE1EEEvT1_, .Lfunc_end242-_ZN7rocprim17ROCPRIM_400000_NS6detail17trampoline_kernelINS0_14default_configENS1_35adjacent_difference_config_selectorILb0ElEEZNS1_24adjacent_difference_implIS3_Lb0ELb0EPlS7_N6thrust23THRUST_200600_302600_NS5minusIlEEEE10hipError_tPvRmT2_T3_mT4_P12ihipStream_tbEUlT_E_NS1_11comp_targetILNS1_3genE9ELNS1_11target_archE1100ELNS1_3gpuE3ELNS1_3repE0EEENS1_30default_config_static_selectorELNS0_4arch9wavefront6targetE1EEEvT1_
                                        ; -- End function
	.section	.AMDGPU.csdata,"",@progbits
; Kernel info:
; codeLenInByte = 0
; NumSgprs: 4
; NumVgprs: 0
; NumAgprs: 0
; TotalNumVgprs: 0
; ScratchSize: 0
; MemoryBound: 0
; FloatMode: 240
; IeeeMode: 1
; LDSByteSize: 0 bytes/workgroup (compile time only)
; SGPRBlocks: 0
; VGPRBlocks: 0
; NumSGPRsForWavesPerEU: 4
; NumVGPRsForWavesPerEU: 1
; AccumOffset: 4
; Occupancy: 8
; WaveLimiterHint : 0
; COMPUTE_PGM_RSRC2:SCRATCH_EN: 0
; COMPUTE_PGM_RSRC2:USER_SGPR: 6
; COMPUTE_PGM_RSRC2:TRAP_HANDLER: 0
; COMPUTE_PGM_RSRC2:TGID_X_EN: 1
; COMPUTE_PGM_RSRC2:TGID_Y_EN: 0
; COMPUTE_PGM_RSRC2:TGID_Z_EN: 0
; COMPUTE_PGM_RSRC2:TIDIG_COMP_CNT: 0
; COMPUTE_PGM_RSRC3_GFX90A:ACCUM_OFFSET: 0
; COMPUTE_PGM_RSRC3_GFX90A:TG_SPLIT: 0
	.section	.text._ZN7rocprim17ROCPRIM_400000_NS6detail17trampoline_kernelINS0_14default_configENS1_35adjacent_difference_config_selectorILb0ElEEZNS1_24adjacent_difference_implIS3_Lb0ELb0EPlS7_N6thrust23THRUST_200600_302600_NS5minusIlEEEE10hipError_tPvRmT2_T3_mT4_P12ihipStream_tbEUlT_E_NS1_11comp_targetILNS1_3genE8ELNS1_11target_archE1030ELNS1_3gpuE2ELNS1_3repE0EEENS1_30default_config_static_selectorELNS0_4arch9wavefront6targetE1EEEvT1_,"axG",@progbits,_ZN7rocprim17ROCPRIM_400000_NS6detail17trampoline_kernelINS0_14default_configENS1_35adjacent_difference_config_selectorILb0ElEEZNS1_24adjacent_difference_implIS3_Lb0ELb0EPlS7_N6thrust23THRUST_200600_302600_NS5minusIlEEEE10hipError_tPvRmT2_T3_mT4_P12ihipStream_tbEUlT_E_NS1_11comp_targetILNS1_3genE8ELNS1_11target_archE1030ELNS1_3gpuE2ELNS1_3repE0EEENS1_30default_config_static_selectorELNS0_4arch9wavefront6targetE1EEEvT1_,comdat
	.protected	_ZN7rocprim17ROCPRIM_400000_NS6detail17trampoline_kernelINS0_14default_configENS1_35adjacent_difference_config_selectorILb0ElEEZNS1_24adjacent_difference_implIS3_Lb0ELb0EPlS7_N6thrust23THRUST_200600_302600_NS5minusIlEEEE10hipError_tPvRmT2_T3_mT4_P12ihipStream_tbEUlT_E_NS1_11comp_targetILNS1_3genE8ELNS1_11target_archE1030ELNS1_3gpuE2ELNS1_3repE0EEENS1_30default_config_static_selectorELNS0_4arch9wavefront6targetE1EEEvT1_ ; -- Begin function _ZN7rocprim17ROCPRIM_400000_NS6detail17trampoline_kernelINS0_14default_configENS1_35adjacent_difference_config_selectorILb0ElEEZNS1_24adjacent_difference_implIS3_Lb0ELb0EPlS7_N6thrust23THRUST_200600_302600_NS5minusIlEEEE10hipError_tPvRmT2_T3_mT4_P12ihipStream_tbEUlT_E_NS1_11comp_targetILNS1_3genE8ELNS1_11target_archE1030ELNS1_3gpuE2ELNS1_3repE0EEENS1_30default_config_static_selectorELNS0_4arch9wavefront6targetE1EEEvT1_
	.globl	_ZN7rocprim17ROCPRIM_400000_NS6detail17trampoline_kernelINS0_14default_configENS1_35adjacent_difference_config_selectorILb0ElEEZNS1_24adjacent_difference_implIS3_Lb0ELb0EPlS7_N6thrust23THRUST_200600_302600_NS5minusIlEEEE10hipError_tPvRmT2_T3_mT4_P12ihipStream_tbEUlT_E_NS1_11comp_targetILNS1_3genE8ELNS1_11target_archE1030ELNS1_3gpuE2ELNS1_3repE0EEENS1_30default_config_static_selectorELNS0_4arch9wavefront6targetE1EEEvT1_
	.p2align	8
	.type	_ZN7rocprim17ROCPRIM_400000_NS6detail17trampoline_kernelINS0_14default_configENS1_35adjacent_difference_config_selectorILb0ElEEZNS1_24adjacent_difference_implIS3_Lb0ELb0EPlS7_N6thrust23THRUST_200600_302600_NS5minusIlEEEE10hipError_tPvRmT2_T3_mT4_P12ihipStream_tbEUlT_E_NS1_11comp_targetILNS1_3genE8ELNS1_11target_archE1030ELNS1_3gpuE2ELNS1_3repE0EEENS1_30default_config_static_selectorELNS0_4arch9wavefront6targetE1EEEvT1_,@function
_ZN7rocprim17ROCPRIM_400000_NS6detail17trampoline_kernelINS0_14default_configENS1_35adjacent_difference_config_selectorILb0ElEEZNS1_24adjacent_difference_implIS3_Lb0ELb0EPlS7_N6thrust23THRUST_200600_302600_NS5minusIlEEEE10hipError_tPvRmT2_T3_mT4_P12ihipStream_tbEUlT_E_NS1_11comp_targetILNS1_3genE8ELNS1_11target_archE1030ELNS1_3gpuE2ELNS1_3repE0EEENS1_30default_config_static_selectorELNS0_4arch9wavefront6targetE1EEEvT1_: ; @_ZN7rocprim17ROCPRIM_400000_NS6detail17trampoline_kernelINS0_14default_configENS1_35adjacent_difference_config_selectorILb0ElEEZNS1_24adjacent_difference_implIS3_Lb0ELb0EPlS7_N6thrust23THRUST_200600_302600_NS5minusIlEEEE10hipError_tPvRmT2_T3_mT4_P12ihipStream_tbEUlT_E_NS1_11comp_targetILNS1_3genE8ELNS1_11target_archE1030ELNS1_3gpuE2ELNS1_3repE0EEENS1_30default_config_static_selectorELNS0_4arch9wavefront6targetE1EEEvT1_
; %bb.0:
	.section	.rodata,"a",@progbits
	.p2align	6, 0x0
	.amdhsa_kernel _ZN7rocprim17ROCPRIM_400000_NS6detail17trampoline_kernelINS0_14default_configENS1_35adjacent_difference_config_selectorILb0ElEEZNS1_24adjacent_difference_implIS3_Lb0ELb0EPlS7_N6thrust23THRUST_200600_302600_NS5minusIlEEEE10hipError_tPvRmT2_T3_mT4_P12ihipStream_tbEUlT_E_NS1_11comp_targetILNS1_3genE8ELNS1_11target_archE1030ELNS1_3gpuE2ELNS1_3repE0EEENS1_30default_config_static_selectorELNS0_4arch9wavefront6targetE1EEEvT1_
		.amdhsa_group_segment_fixed_size 0
		.amdhsa_private_segment_fixed_size 0
		.amdhsa_kernarg_size 56
		.amdhsa_user_sgpr_count 6
		.amdhsa_user_sgpr_private_segment_buffer 1
		.amdhsa_user_sgpr_dispatch_ptr 0
		.amdhsa_user_sgpr_queue_ptr 0
		.amdhsa_user_sgpr_kernarg_segment_ptr 1
		.amdhsa_user_sgpr_dispatch_id 0
		.amdhsa_user_sgpr_flat_scratch_init 0
		.amdhsa_user_sgpr_kernarg_preload_length 0
		.amdhsa_user_sgpr_kernarg_preload_offset 0
		.amdhsa_user_sgpr_private_segment_size 0
		.amdhsa_uses_dynamic_stack 0
		.amdhsa_system_sgpr_private_segment_wavefront_offset 0
		.amdhsa_system_sgpr_workgroup_id_x 1
		.amdhsa_system_sgpr_workgroup_id_y 0
		.amdhsa_system_sgpr_workgroup_id_z 0
		.amdhsa_system_sgpr_workgroup_info 0
		.amdhsa_system_vgpr_workitem_id 0
		.amdhsa_next_free_vgpr 1
		.amdhsa_next_free_sgpr 0
		.amdhsa_accum_offset 4
		.amdhsa_reserve_vcc 0
		.amdhsa_reserve_flat_scratch 0
		.amdhsa_float_round_mode_32 0
		.amdhsa_float_round_mode_16_64 0
		.amdhsa_float_denorm_mode_32 3
		.amdhsa_float_denorm_mode_16_64 3
		.amdhsa_dx10_clamp 1
		.amdhsa_ieee_mode 1
		.amdhsa_fp16_overflow 0
		.amdhsa_tg_split 0
		.amdhsa_exception_fp_ieee_invalid_op 0
		.amdhsa_exception_fp_denorm_src 0
		.amdhsa_exception_fp_ieee_div_zero 0
		.amdhsa_exception_fp_ieee_overflow 0
		.amdhsa_exception_fp_ieee_underflow 0
		.amdhsa_exception_fp_ieee_inexact 0
		.amdhsa_exception_int_div_zero 0
	.end_amdhsa_kernel
	.section	.text._ZN7rocprim17ROCPRIM_400000_NS6detail17trampoline_kernelINS0_14default_configENS1_35adjacent_difference_config_selectorILb0ElEEZNS1_24adjacent_difference_implIS3_Lb0ELb0EPlS7_N6thrust23THRUST_200600_302600_NS5minusIlEEEE10hipError_tPvRmT2_T3_mT4_P12ihipStream_tbEUlT_E_NS1_11comp_targetILNS1_3genE8ELNS1_11target_archE1030ELNS1_3gpuE2ELNS1_3repE0EEENS1_30default_config_static_selectorELNS0_4arch9wavefront6targetE1EEEvT1_,"axG",@progbits,_ZN7rocprim17ROCPRIM_400000_NS6detail17trampoline_kernelINS0_14default_configENS1_35adjacent_difference_config_selectorILb0ElEEZNS1_24adjacent_difference_implIS3_Lb0ELb0EPlS7_N6thrust23THRUST_200600_302600_NS5minusIlEEEE10hipError_tPvRmT2_T3_mT4_P12ihipStream_tbEUlT_E_NS1_11comp_targetILNS1_3genE8ELNS1_11target_archE1030ELNS1_3gpuE2ELNS1_3repE0EEENS1_30default_config_static_selectorELNS0_4arch9wavefront6targetE1EEEvT1_,comdat
.Lfunc_end243:
	.size	_ZN7rocprim17ROCPRIM_400000_NS6detail17trampoline_kernelINS0_14default_configENS1_35adjacent_difference_config_selectorILb0ElEEZNS1_24adjacent_difference_implIS3_Lb0ELb0EPlS7_N6thrust23THRUST_200600_302600_NS5minusIlEEEE10hipError_tPvRmT2_T3_mT4_P12ihipStream_tbEUlT_E_NS1_11comp_targetILNS1_3genE8ELNS1_11target_archE1030ELNS1_3gpuE2ELNS1_3repE0EEENS1_30default_config_static_selectorELNS0_4arch9wavefront6targetE1EEEvT1_, .Lfunc_end243-_ZN7rocprim17ROCPRIM_400000_NS6detail17trampoline_kernelINS0_14default_configENS1_35adjacent_difference_config_selectorILb0ElEEZNS1_24adjacent_difference_implIS3_Lb0ELb0EPlS7_N6thrust23THRUST_200600_302600_NS5minusIlEEEE10hipError_tPvRmT2_T3_mT4_P12ihipStream_tbEUlT_E_NS1_11comp_targetILNS1_3genE8ELNS1_11target_archE1030ELNS1_3gpuE2ELNS1_3repE0EEENS1_30default_config_static_selectorELNS0_4arch9wavefront6targetE1EEEvT1_
                                        ; -- End function
	.section	.AMDGPU.csdata,"",@progbits
; Kernel info:
; codeLenInByte = 0
; NumSgprs: 4
; NumVgprs: 0
; NumAgprs: 0
; TotalNumVgprs: 0
; ScratchSize: 0
; MemoryBound: 0
; FloatMode: 240
; IeeeMode: 1
; LDSByteSize: 0 bytes/workgroup (compile time only)
; SGPRBlocks: 0
; VGPRBlocks: 0
; NumSGPRsForWavesPerEU: 4
; NumVGPRsForWavesPerEU: 1
; AccumOffset: 4
; Occupancy: 8
; WaveLimiterHint : 0
; COMPUTE_PGM_RSRC2:SCRATCH_EN: 0
; COMPUTE_PGM_RSRC2:USER_SGPR: 6
; COMPUTE_PGM_RSRC2:TRAP_HANDLER: 0
; COMPUTE_PGM_RSRC2:TGID_X_EN: 1
; COMPUTE_PGM_RSRC2:TGID_Y_EN: 0
; COMPUTE_PGM_RSRC2:TGID_Z_EN: 0
; COMPUTE_PGM_RSRC2:TIDIG_COMP_CNT: 0
; COMPUTE_PGM_RSRC3_GFX90A:ACCUM_OFFSET: 0
; COMPUTE_PGM_RSRC3_GFX90A:TG_SPLIT: 0
	.section	.text._ZN7rocprim17ROCPRIM_400000_NS6detail17trampoline_kernelINS0_14default_configENS1_25transform_config_selectorIlLb0EEEZNS1_14transform_implILb0ES3_S5_NS0_18transform_iteratorINS0_17counting_iteratorImlEEZNS1_24adjacent_difference_implIS3_Lb1ELb0EPlSB_N6thrust23THRUST_200600_302600_NS5minusIlEEEE10hipError_tPvRmT2_T3_mT4_P12ihipStream_tbEUlmE_lEESB_NS0_8identityIvEEEESG_SJ_SK_mSL_SN_bEUlT_E_NS1_11comp_targetILNS1_3genE0ELNS1_11target_archE4294967295ELNS1_3gpuE0ELNS1_3repE0EEENS1_30default_config_static_selectorELNS0_4arch9wavefront6targetE1EEEvT1_,"axG",@progbits,_ZN7rocprim17ROCPRIM_400000_NS6detail17trampoline_kernelINS0_14default_configENS1_25transform_config_selectorIlLb0EEEZNS1_14transform_implILb0ES3_S5_NS0_18transform_iteratorINS0_17counting_iteratorImlEEZNS1_24adjacent_difference_implIS3_Lb1ELb0EPlSB_N6thrust23THRUST_200600_302600_NS5minusIlEEEE10hipError_tPvRmT2_T3_mT4_P12ihipStream_tbEUlmE_lEESB_NS0_8identityIvEEEESG_SJ_SK_mSL_SN_bEUlT_E_NS1_11comp_targetILNS1_3genE0ELNS1_11target_archE4294967295ELNS1_3gpuE0ELNS1_3repE0EEENS1_30default_config_static_selectorELNS0_4arch9wavefront6targetE1EEEvT1_,comdat
	.protected	_ZN7rocprim17ROCPRIM_400000_NS6detail17trampoline_kernelINS0_14default_configENS1_25transform_config_selectorIlLb0EEEZNS1_14transform_implILb0ES3_S5_NS0_18transform_iteratorINS0_17counting_iteratorImlEEZNS1_24adjacent_difference_implIS3_Lb1ELb0EPlSB_N6thrust23THRUST_200600_302600_NS5minusIlEEEE10hipError_tPvRmT2_T3_mT4_P12ihipStream_tbEUlmE_lEESB_NS0_8identityIvEEEESG_SJ_SK_mSL_SN_bEUlT_E_NS1_11comp_targetILNS1_3genE0ELNS1_11target_archE4294967295ELNS1_3gpuE0ELNS1_3repE0EEENS1_30default_config_static_selectorELNS0_4arch9wavefront6targetE1EEEvT1_ ; -- Begin function _ZN7rocprim17ROCPRIM_400000_NS6detail17trampoline_kernelINS0_14default_configENS1_25transform_config_selectorIlLb0EEEZNS1_14transform_implILb0ES3_S5_NS0_18transform_iteratorINS0_17counting_iteratorImlEEZNS1_24adjacent_difference_implIS3_Lb1ELb0EPlSB_N6thrust23THRUST_200600_302600_NS5minusIlEEEE10hipError_tPvRmT2_T3_mT4_P12ihipStream_tbEUlmE_lEESB_NS0_8identityIvEEEESG_SJ_SK_mSL_SN_bEUlT_E_NS1_11comp_targetILNS1_3genE0ELNS1_11target_archE4294967295ELNS1_3gpuE0ELNS1_3repE0EEENS1_30default_config_static_selectorELNS0_4arch9wavefront6targetE1EEEvT1_
	.globl	_ZN7rocprim17ROCPRIM_400000_NS6detail17trampoline_kernelINS0_14default_configENS1_25transform_config_selectorIlLb0EEEZNS1_14transform_implILb0ES3_S5_NS0_18transform_iteratorINS0_17counting_iteratorImlEEZNS1_24adjacent_difference_implIS3_Lb1ELb0EPlSB_N6thrust23THRUST_200600_302600_NS5minusIlEEEE10hipError_tPvRmT2_T3_mT4_P12ihipStream_tbEUlmE_lEESB_NS0_8identityIvEEEESG_SJ_SK_mSL_SN_bEUlT_E_NS1_11comp_targetILNS1_3genE0ELNS1_11target_archE4294967295ELNS1_3gpuE0ELNS1_3repE0EEENS1_30default_config_static_selectorELNS0_4arch9wavefront6targetE1EEEvT1_
	.p2align	8
	.type	_ZN7rocprim17ROCPRIM_400000_NS6detail17trampoline_kernelINS0_14default_configENS1_25transform_config_selectorIlLb0EEEZNS1_14transform_implILb0ES3_S5_NS0_18transform_iteratorINS0_17counting_iteratorImlEEZNS1_24adjacent_difference_implIS3_Lb1ELb0EPlSB_N6thrust23THRUST_200600_302600_NS5minusIlEEEE10hipError_tPvRmT2_T3_mT4_P12ihipStream_tbEUlmE_lEESB_NS0_8identityIvEEEESG_SJ_SK_mSL_SN_bEUlT_E_NS1_11comp_targetILNS1_3genE0ELNS1_11target_archE4294967295ELNS1_3gpuE0ELNS1_3repE0EEENS1_30default_config_static_selectorELNS0_4arch9wavefront6targetE1EEEvT1_,@function
_ZN7rocprim17ROCPRIM_400000_NS6detail17trampoline_kernelINS0_14default_configENS1_25transform_config_selectorIlLb0EEEZNS1_14transform_implILb0ES3_S5_NS0_18transform_iteratorINS0_17counting_iteratorImlEEZNS1_24adjacent_difference_implIS3_Lb1ELb0EPlSB_N6thrust23THRUST_200600_302600_NS5minusIlEEEE10hipError_tPvRmT2_T3_mT4_P12ihipStream_tbEUlmE_lEESB_NS0_8identityIvEEEESG_SJ_SK_mSL_SN_bEUlT_E_NS1_11comp_targetILNS1_3genE0ELNS1_11target_archE4294967295ELNS1_3gpuE0ELNS1_3repE0EEENS1_30default_config_static_selectorELNS0_4arch9wavefront6targetE1EEEvT1_: ; @_ZN7rocprim17ROCPRIM_400000_NS6detail17trampoline_kernelINS0_14default_configENS1_25transform_config_selectorIlLb0EEEZNS1_14transform_implILb0ES3_S5_NS0_18transform_iteratorINS0_17counting_iteratorImlEEZNS1_24adjacent_difference_implIS3_Lb1ELb0EPlSB_N6thrust23THRUST_200600_302600_NS5minusIlEEEE10hipError_tPvRmT2_T3_mT4_P12ihipStream_tbEUlmE_lEESB_NS0_8identityIvEEEESG_SJ_SK_mSL_SN_bEUlT_E_NS1_11comp_targetILNS1_3genE0ELNS1_11target_archE4294967295ELNS1_3gpuE0ELNS1_3repE0EEENS1_30default_config_static_selectorELNS0_4arch9wavefront6targetE1EEEvT1_
; %bb.0:
	.section	.rodata,"a",@progbits
	.p2align	6, 0x0
	.amdhsa_kernel _ZN7rocprim17ROCPRIM_400000_NS6detail17trampoline_kernelINS0_14default_configENS1_25transform_config_selectorIlLb0EEEZNS1_14transform_implILb0ES3_S5_NS0_18transform_iteratorINS0_17counting_iteratorImlEEZNS1_24adjacent_difference_implIS3_Lb1ELb0EPlSB_N6thrust23THRUST_200600_302600_NS5minusIlEEEE10hipError_tPvRmT2_T3_mT4_P12ihipStream_tbEUlmE_lEESB_NS0_8identityIvEEEESG_SJ_SK_mSL_SN_bEUlT_E_NS1_11comp_targetILNS1_3genE0ELNS1_11target_archE4294967295ELNS1_3gpuE0ELNS1_3repE0EEENS1_30default_config_static_selectorELNS0_4arch9wavefront6targetE1EEEvT1_
		.amdhsa_group_segment_fixed_size 0
		.amdhsa_private_segment_fixed_size 0
		.amdhsa_kernarg_size 56
		.amdhsa_user_sgpr_count 6
		.amdhsa_user_sgpr_private_segment_buffer 1
		.amdhsa_user_sgpr_dispatch_ptr 0
		.amdhsa_user_sgpr_queue_ptr 0
		.amdhsa_user_sgpr_kernarg_segment_ptr 1
		.amdhsa_user_sgpr_dispatch_id 0
		.amdhsa_user_sgpr_flat_scratch_init 0
		.amdhsa_user_sgpr_kernarg_preload_length 0
		.amdhsa_user_sgpr_kernarg_preload_offset 0
		.amdhsa_user_sgpr_private_segment_size 0
		.amdhsa_uses_dynamic_stack 0
		.amdhsa_system_sgpr_private_segment_wavefront_offset 0
		.amdhsa_system_sgpr_workgroup_id_x 1
		.amdhsa_system_sgpr_workgroup_id_y 0
		.amdhsa_system_sgpr_workgroup_id_z 0
		.amdhsa_system_sgpr_workgroup_info 0
		.amdhsa_system_vgpr_workitem_id 0
		.amdhsa_next_free_vgpr 1
		.amdhsa_next_free_sgpr 0
		.amdhsa_accum_offset 4
		.amdhsa_reserve_vcc 0
		.amdhsa_reserve_flat_scratch 0
		.amdhsa_float_round_mode_32 0
		.amdhsa_float_round_mode_16_64 0
		.amdhsa_float_denorm_mode_32 3
		.amdhsa_float_denorm_mode_16_64 3
		.amdhsa_dx10_clamp 1
		.amdhsa_ieee_mode 1
		.amdhsa_fp16_overflow 0
		.amdhsa_tg_split 0
		.amdhsa_exception_fp_ieee_invalid_op 0
		.amdhsa_exception_fp_denorm_src 0
		.amdhsa_exception_fp_ieee_div_zero 0
		.amdhsa_exception_fp_ieee_overflow 0
		.amdhsa_exception_fp_ieee_underflow 0
		.amdhsa_exception_fp_ieee_inexact 0
		.amdhsa_exception_int_div_zero 0
	.end_amdhsa_kernel
	.section	.text._ZN7rocprim17ROCPRIM_400000_NS6detail17trampoline_kernelINS0_14default_configENS1_25transform_config_selectorIlLb0EEEZNS1_14transform_implILb0ES3_S5_NS0_18transform_iteratorINS0_17counting_iteratorImlEEZNS1_24adjacent_difference_implIS3_Lb1ELb0EPlSB_N6thrust23THRUST_200600_302600_NS5minusIlEEEE10hipError_tPvRmT2_T3_mT4_P12ihipStream_tbEUlmE_lEESB_NS0_8identityIvEEEESG_SJ_SK_mSL_SN_bEUlT_E_NS1_11comp_targetILNS1_3genE0ELNS1_11target_archE4294967295ELNS1_3gpuE0ELNS1_3repE0EEENS1_30default_config_static_selectorELNS0_4arch9wavefront6targetE1EEEvT1_,"axG",@progbits,_ZN7rocprim17ROCPRIM_400000_NS6detail17trampoline_kernelINS0_14default_configENS1_25transform_config_selectorIlLb0EEEZNS1_14transform_implILb0ES3_S5_NS0_18transform_iteratorINS0_17counting_iteratorImlEEZNS1_24adjacent_difference_implIS3_Lb1ELb0EPlSB_N6thrust23THRUST_200600_302600_NS5minusIlEEEE10hipError_tPvRmT2_T3_mT4_P12ihipStream_tbEUlmE_lEESB_NS0_8identityIvEEEESG_SJ_SK_mSL_SN_bEUlT_E_NS1_11comp_targetILNS1_3genE0ELNS1_11target_archE4294967295ELNS1_3gpuE0ELNS1_3repE0EEENS1_30default_config_static_selectorELNS0_4arch9wavefront6targetE1EEEvT1_,comdat
.Lfunc_end244:
	.size	_ZN7rocprim17ROCPRIM_400000_NS6detail17trampoline_kernelINS0_14default_configENS1_25transform_config_selectorIlLb0EEEZNS1_14transform_implILb0ES3_S5_NS0_18transform_iteratorINS0_17counting_iteratorImlEEZNS1_24adjacent_difference_implIS3_Lb1ELb0EPlSB_N6thrust23THRUST_200600_302600_NS5minusIlEEEE10hipError_tPvRmT2_T3_mT4_P12ihipStream_tbEUlmE_lEESB_NS0_8identityIvEEEESG_SJ_SK_mSL_SN_bEUlT_E_NS1_11comp_targetILNS1_3genE0ELNS1_11target_archE4294967295ELNS1_3gpuE0ELNS1_3repE0EEENS1_30default_config_static_selectorELNS0_4arch9wavefront6targetE1EEEvT1_, .Lfunc_end244-_ZN7rocprim17ROCPRIM_400000_NS6detail17trampoline_kernelINS0_14default_configENS1_25transform_config_selectorIlLb0EEEZNS1_14transform_implILb0ES3_S5_NS0_18transform_iteratorINS0_17counting_iteratorImlEEZNS1_24adjacent_difference_implIS3_Lb1ELb0EPlSB_N6thrust23THRUST_200600_302600_NS5minusIlEEEE10hipError_tPvRmT2_T3_mT4_P12ihipStream_tbEUlmE_lEESB_NS0_8identityIvEEEESG_SJ_SK_mSL_SN_bEUlT_E_NS1_11comp_targetILNS1_3genE0ELNS1_11target_archE4294967295ELNS1_3gpuE0ELNS1_3repE0EEENS1_30default_config_static_selectorELNS0_4arch9wavefront6targetE1EEEvT1_
                                        ; -- End function
	.section	.AMDGPU.csdata,"",@progbits
; Kernel info:
; codeLenInByte = 0
; NumSgprs: 4
; NumVgprs: 0
; NumAgprs: 0
; TotalNumVgprs: 0
; ScratchSize: 0
; MemoryBound: 0
; FloatMode: 240
; IeeeMode: 1
; LDSByteSize: 0 bytes/workgroup (compile time only)
; SGPRBlocks: 0
; VGPRBlocks: 0
; NumSGPRsForWavesPerEU: 4
; NumVGPRsForWavesPerEU: 1
; AccumOffset: 4
; Occupancy: 8
; WaveLimiterHint : 0
; COMPUTE_PGM_RSRC2:SCRATCH_EN: 0
; COMPUTE_PGM_RSRC2:USER_SGPR: 6
; COMPUTE_PGM_RSRC2:TRAP_HANDLER: 0
; COMPUTE_PGM_RSRC2:TGID_X_EN: 1
; COMPUTE_PGM_RSRC2:TGID_Y_EN: 0
; COMPUTE_PGM_RSRC2:TGID_Z_EN: 0
; COMPUTE_PGM_RSRC2:TIDIG_COMP_CNT: 0
; COMPUTE_PGM_RSRC3_GFX90A:ACCUM_OFFSET: 0
; COMPUTE_PGM_RSRC3_GFX90A:TG_SPLIT: 0
	.section	.text._ZN7rocprim17ROCPRIM_400000_NS6detail17trampoline_kernelINS0_14default_configENS1_25transform_config_selectorIlLb0EEEZNS1_14transform_implILb0ES3_S5_NS0_18transform_iteratorINS0_17counting_iteratorImlEEZNS1_24adjacent_difference_implIS3_Lb1ELb0EPlSB_N6thrust23THRUST_200600_302600_NS5minusIlEEEE10hipError_tPvRmT2_T3_mT4_P12ihipStream_tbEUlmE_lEESB_NS0_8identityIvEEEESG_SJ_SK_mSL_SN_bEUlT_E_NS1_11comp_targetILNS1_3genE5ELNS1_11target_archE942ELNS1_3gpuE9ELNS1_3repE0EEENS1_30default_config_static_selectorELNS0_4arch9wavefront6targetE1EEEvT1_,"axG",@progbits,_ZN7rocprim17ROCPRIM_400000_NS6detail17trampoline_kernelINS0_14default_configENS1_25transform_config_selectorIlLb0EEEZNS1_14transform_implILb0ES3_S5_NS0_18transform_iteratorINS0_17counting_iteratorImlEEZNS1_24adjacent_difference_implIS3_Lb1ELb0EPlSB_N6thrust23THRUST_200600_302600_NS5minusIlEEEE10hipError_tPvRmT2_T3_mT4_P12ihipStream_tbEUlmE_lEESB_NS0_8identityIvEEEESG_SJ_SK_mSL_SN_bEUlT_E_NS1_11comp_targetILNS1_3genE5ELNS1_11target_archE942ELNS1_3gpuE9ELNS1_3repE0EEENS1_30default_config_static_selectorELNS0_4arch9wavefront6targetE1EEEvT1_,comdat
	.protected	_ZN7rocprim17ROCPRIM_400000_NS6detail17trampoline_kernelINS0_14default_configENS1_25transform_config_selectorIlLb0EEEZNS1_14transform_implILb0ES3_S5_NS0_18transform_iteratorINS0_17counting_iteratorImlEEZNS1_24adjacent_difference_implIS3_Lb1ELb0EPlSB_N6thrust23THRUST_200600_302600_NS5minusIlEEEE10hipError_tPvRmT2_T3_mT4_P12ihipStream_tbEUlmE_lEESB_NS0_8identityIvEEEESG_SJ_SK_mSL_SN_bEUlT_E_NS1_11comp_targetILNS1_3genE5ELNS1_11target_archE942ELNS1_3gpuE9ELNS1_3repE0EEENS1_30default_config_static_selectorELNS0_4arch9wavefront6targetE1EEEvT1_ ; -- Begin function _ZN7rocprim17ROCPRIM_400000_NS6detail17trampoline_kernelINS0_14default_configENS1_25transform_config_selectorIlLb0EEEZNS1_14transform_implILb0ES3_S5_NS0_18transform_iteratorINS0_17counting_iteratorImlEEZNS1_24adjacent_difference_implIS3_Lb1ELb0EPlSB_N6thrust23THRUST_200600_302600_NS5minusIlEEEE10hipError_tPvRmT2_T3_mT4_P12ihipStream_tbEUlmE_lEESB_NS0_8identityIvEEEESG_SJ_SK_mSL_SN_bEUlT_E_NS1_11comp_targetILNS1_3genE5ELNS1_11target_archE942ELNS1_3gpuE9ELNS1_3repE0EEENS1_30default_config_static_selectorELNS0_4arch9wavefront6targetE1EEEvT1_
	.globl	_ZN7rocprim17ROCPRIM_400000_NS6detail17trampoline_kernelINS0_14default_configENS1_25transform_config_selectorIlLb0EEEZNS1_14transform_implILb0ES3_S5_NS0_18transform_iteratorINS0_17counting_iteratorImlEEZNS1_24adjacent_difference_implIS3_Lb1ELb0EPlSB_N6thrust23THRUST_200600_302600_NS5minusIlEEEE10hipError_tPvRmT2_T3_mT4_P12ihipStream_tbEUlmE_lEESB_NS0_8identityIvEEEESG_SJ_SK_mSL_SN_bEUlT_E_NS1_11comp_targetILNS1_3genE5ELNS1_11target_archE942ELNS1_3gpuE9ELNS1_3repE0EEENS1_30default_config_static_selectorELNS0_4arch9wavefront6targetE1EEEvT1_
	.p2align	8
	.type	_ZN7rocprim17ROCPRIM_400000_NS6detail17trampoline_kernelINS0_14default_configENS1_25transform_config_selectorIlLb0EEEZNS1_14transform_implILb0ES3_S5_NS0_18transform_iteratorINS0_17counting_iteratorImlEEZNS1_24adjacent_difference_implIS3_Lb1ELb0EPlSB_N6thrust23THRUST_200600_302600_NS5minusIlEEEE10hipError_tPvRmT2_T3_mT4_P12ihipStream_tbEUlmE_lEESB_NS0_8identityIvEEEESG_SJ_SK_mSL_SN_bEUlT_E_NS1_11comp_targetILNS1_3genE5ELNS1_11target_archE942ELNS1_3gpuE9ELNS1_3repE0EEENS1_30default_config_static_selectorELNS0_4arch9wavefront6targetE1EEEvT1_,@function
_ZN7rocprim17ROCPRIM_400000_NS6detail17trampoline_kernelINS0_14default_configENS1_25transform_config_selectorIlLb0EEEZNS1_14transform_implILb0ES3_S5_NS0_18transform_iteratorINS0_17counting_iteratorImlEEZNS1_24adjacent_difference_implIS3_Lb1ELb0EPlSB_N6thrust23THRUST_200600_302600_NS5minusIlEEEE10hipError_tPvRmT2_T3_mT4_P12ihipStream_tbEUlmE_lEESB_NS0_8identityIvEEEESG_SJ_SK_mSL_SN_bEUlT_E_NS1_11comp_targetILNS1_3genE5ELNS1_11target_archE942ELNS1_3gpuE9ELNS1_3repE0EEENS1_30default_config_static_selectorELNS0_4arch9wavefront6targetE1EEEvT1_: ; @_ZN7rocprim17ROCPRIM_400000_NS6detail17trampoline_kernelINS0_14default_configENS1_25transform_config_selectorIlLb0EEEZNS1_14transform_implILb0ES3_S5_NS0_18transform_iteratorINS0_17counting_iteratorImlEEZNS1_24adjacent_difference_implIS3_Lb1ELb0EPlSB_N6thrust23THRUST_200600_302600_NS5minusIlEEEE10hipError_tPvRmT2_T3_mT4_P12ihipStream_tbEUlmE_lEESB_NS0_8identityIvEEEESG_SJ_SK_mSL_SN_bEUlT_E_NS1_11comp_targetILNS1_3genE5ELNS1_11target_archE942ELNS1_3gpuE9ELNS1_3repE0EEENS1_30default_config_static_selectorELNS0_4arch9wavefront6targetE1EEEvT1_
; %bb.0:
	.section	.rodata,"a",@progbits
	.p2align	6, 0x0
	.amdhsa_kernel _ZN7rocprim17ROCPRIM_400000_NS6detail17trampoline_kernelINS0_14default_configENS1_25transform_config_selectorIlLb0EEEZNS1_14transform_implILb0ES3_S5_NS0_18transform_iteratorINS0_17counting_iteratorImlEEZNS1_24adjacent_difference_implIS3_Lb1ELb0EPlSB_N6thrust23THRUST_200600_302600_NS5minusIlEEEE10hipError_tPvRmT2_T3_mT4_P12ihipStream_tbEUlmE_lEESB_NS0_8identityIvEEEESG_SJ_SK_mSL_SN_bEUlT_E_NS1_11comp_targetILNS1_3genE5ELNS1_11target_archE942ELNS1_3gpuE9ELNS1_3repE0EEENS1_30default_config_static_selectorELNS0_4arch9wavefront6targetE1EEEvT1_
		.amdhsa_group_segment_fixed_size 0
		.amdhsa_private_segment_fixed_size 0
		.amdhsa_kernarg_size 56
		.amdhsa_user_sgpr_count 6
		.amdhsa_user_sgpr_private_segment_buffer 1
		.amdhsa_user_sgpr_dispatch_ptr 0
		.amdhsa_user_sgpr_queue_ptr 0
		.amdhsa_user_sgpr_kernarg_segment_ptr 1
		.amdhsa_user_sgpr_dispatch_id 0
		.amdhsa_user_sgpr_flat_scratch_init 0
		.amdhsa_user_sgpr_kernarg_preload_length 0
		.amdhsa_user_sgpr_kernarg_preload_offset 0
		.amdhsa_user_sgpr_private_segment_size 0
		.amdhsa_uses_dynamic_stack 0
		.amdhsa_system_sgpr_private_segment_wavefront_offset 0
		.amdhsa_system_sgpr_workgroup_id_x 1
		.amdhsa_system_sgpr_workgroup_id_y 0
		.amdhsa_system_sgpr_workgroup_id_z 0
		.amdhsa_system_sgpr_workgroup_info 0
		.amdhsa_system_vgpr_workitem_id 0
		.amdhsa_next_free_vgpr 1
		.amdhsa_next_free_sgpr 0
		.amdhsa_accum_offset 4
		.amdhsa_reserve_vcc 0
		.amdhsa_reserve_flat_scratch 0
		.amdhsa_float_round_mode_32 0
		.amdhsa_float_round_mode_16_64 0
		.amdhsa_float_denorm_mode_32 3
		.amdhsa_float_denorm_mode_16_64 3
		.amdhsa_dx10_clamp 1
		.amdhsa_ieee_mode 1
		.amdhsa_fp16_overflow 0
		.amdhsa_tg_split 0
		.amdhsa_exception_fp_ieee_invalid_op 0
		.amdhsa_exception_fp_denorm_src 0
		.amdhsa_exception_fp_ieee_div_zero 0
		.amdhsa_exception_fp_ieee_overflow 0
		.amdhsa_exception_fp_ieee_underflow 0
		.amdhsa_exception_fp_ieee_inexact 0
		.amdhsa_exception_int_div_zero 0
	.end_amdhsa_kernel
	.section	.text._ZN7rocprim17ROCPRIM_400000_NS6detail17trampoline_kernelINS0_14default_configENS1_25transform_config_selectorIlLb0EEEZNS1_14transform_implILb0ES3_S5_NS0_18transform_iteratorINS0_17counting_iteratorImlEEZNS1_24adjacent_difference_implIS3_Lb1ELb0EPlSB_N6thrust23THRUST_200600_302600_NS5minusIlEEEE10hipError_tPvRmT2_T3_mT4_P12ihipStream_tbEUlmE_lEESB_NS0_8identityIvEEEESG_SJ_SK_mSL_SN_bEUlT_E_NS1_11comp_targetILNS1_3genE5ELNS1_11target_archE942ELNS1_3gpuE9ELNS1_3repE0EEENS1_30default_config_static_selectorELNS0_4arch9wavefront6targetE1EEEvT1_,"axG",@progbits,_ZN7rocprim17ROCPRIM_400000_NS6detail17trampoline_kernelINS0_14default_configENS1_25transform_config_selectorIlLb0EEEZNS1_14transform_implILb0ES3_S5_NS0_18transform_iteratorINS0_17counting_iteratorImlEEZNS1_24adjacent_difference_implIS3_Lb1ELb0EPlSB_N6thrust23THRUST_200600_302600_NS5minusIlEEEE10hipError_tPvRmT2_T3_mT4_P12ihipStream_tbEUlmE_lEESB_NS0_8identityIvEEEESG_SJ_SK_mSL_SN_bEUlT_E_NS1_11comp_targetILNS1_3genE5ELNS1_11target_archE942ELNS1_3gpuE9ELNS1_3repE0EEENS1_30default_config_static_selectorELNS0_4arch9wavefront6targetE1EEEvT1_,comdat
.Lfunc_end245:
	.size	_ZN7rocprim17ROCPRIM_400000_NS6detail17trampoline_kernelINS0_14default_configENS1_25transform_config_selectorIlLb0EEEZNS1_14transform_implILb0ES3_S5_NS0_18transform_iteratorINS0_17counting_iteratorImlEEZNS1_24adjacent_difference_implIS3_Lb1ELb0EPlSB_N6thrust23THRUST_200600_302600_NS5minusIlEEEE10hipError_tPvRmT2_T3_mT4_P12ihipStream_tbEUlmE_lEESB_NS0_8identityIvEEEESG_SJ_SK_mSL_SN_bEUlT_E_NS1_11comp_targetILNS1_3genE5ELNS1_11target_archE942ELNS1_3gpuE9ELNS1_3repE0EEENS1_30default_config_static_selectorELNS0_4arch9wavefront6targetE1EEEvT1_, .Lfunc_end245-_ZN7rocprim17ROCPRIM_400000_NS6detail17trampoline_kernelINS0_14default_configENS1_25transform_config_selectorIlLb0EEEZNS1_14transform_implILb0ES3_S5_NS0_18transform_iteratorINS0_17counting_iteratorImlEEZNS1_24adjacent_difference_implIS3_Lb1ELb0EPlSB_N6thrust23THRUST_200600_302600_NS5minusIlEEEE10hipError_tPvRmT2_T3_mT4_P12ihipStream_tbEUlmE_lEESB_NS0_8identityIvEEEESG_SJ_SK_mSL_SN_bEUlT_E_NS1_11comp_targetILNS1_3genE5ELNS1_11target_archE942ELNS1_3gpuE9ELNS1_3repE0EEENS1_30default_config_static_selectorELNS0_4arch9wavefront6targetE1EEEvT1_
                                        ; -- End function
	.section	.AMDGPU.csdata,"",@progbits
; Kernel info:
; codeLenInByte = 0
; NumSgprs: 4
; NumVgprs: 0
; NumAgprs: 0
; TotalNumVgprs: 0
; ScratchSize: 0
; MemoryBound: 0
; FloatMode: 240
; IeeeMode: 1
; LDSByteSize: 0 bytes/workgroup (compile time only)
; SGPRBlocks: 0
; VGPRBlocks: 0
; NumSGPRsForWavesPerEU: 4
; NumVGPRsForWavesPerEU: 1
; AccumOffset: 4
; Occupancy: 8
; WaveLimiterHint : 0
; COMPUTE_PGM_RSRC2:SCRATCH_EN: 0
; COMPUTE_PGM_RSRC2:USER_SGPR: 6
; COMPUTE_PGM_RSRC2:TRAP_HANDLER: 0
; COMPUTE_PGM_RSRC2:TGID_X_EN: 1
; COMPUTE_PGM_RSRC2:TGID_Y_EN: 0
; COMPUTE_PGM_RSRC2:TGID_Z_EN: 0
; COMPUTE_PGM_RSRC2:TIDIG_COMP_CNT: 0
; COMPUTE_PGM_RSRC3_GFX90A:ACCUM_OFFSET: 0
; COMPUTE_PGM_RSRC3_GFX90A:TG_SPLIT: 0
	.section	.text._ZN7rocprim17ROCPRIM_400000_NS6detail17trampoline_kernelINS0_14default_configENS1_25transform_config_selectorIlLb0EEEZNS1_14transform_implILb0ES3_S5_NS0_18transform_iteratorINS0_17counting_iteratorImlEEZNS1_24adjacent_difference_implIS3_Lb1ELb0EPlSB_N6thrust23THRUST_200600_302600_NS5minusIlEEEE10hipError_tPvRmT2_T3_mT4_P12ihipStream_tbEUlmE_lEESB_NS0_8identityIvEEEESG_SJ_SK_mSL_SN_bEUlT_E_NS1_11comp_targetILNS1_3genE4ELNS1_11target_archE910ELNS1_3gpuE8ELNS1_3repE0EEENS1_30default_config_static_selectorELNS0_4arch9wavefront6targetE1EEEvT1_,"axG",@progbits,_ZN7rocprim17ROCPRIM_400000_NS6detail17trampoline_kernelINS0_14default_configENS1_25transform_config_selectorIlLb0EEEZNS1_14transform_implILb0ES3_S5_NS0_18transform_iteratorINS0_17counting_iteratorImlEEZNS1_24adjacent_difference_implIS3_Lb1ELb0EPlSB_N6thrust23THRUST_200600_302600_NS5minusIlEEEE10hipError_tPvRmT2_T3_mT4_P12ihipStream_tbEUlmE_lEESB_NS0_8identityIvEEEESG_SJ_SK_mSL_SN_bEUlT_E_NS1_11comp_targetILNS1_3genE4ELNS1_11target_archE910ELNS1_3gpuE8ELNS1_3repE0EEENS1_30default_config_static_selectorELNS0_4arch9wavefront6targetE1EEEvT1_,comdat
	.protected	_ZN7rocprim17ROCPRIM_400000_NS6detail17trampoline_kernelINS0_14default_configENS1_25transform_config_selectorIlLb0EEEZNS1_14transform_implILb0ES3_S5_NS0_18transform_iteratorINS0_17counting_iteratorImlEEZNS1_24adjacent_difference_implIS3_Lb1ELb0EPlSB_N6thrust23THRUST_200600_302600_NS5minusIlEEEE10hipError_tPvRmT2_T3_mT4_P12ihipStream_tbEUlmE_lEESB_NS0_8identityIvEEEESG_SJ_SK_mSL_SN_bEUlT_E_NS1_11comp_targetILNS1_3genE4ELNS1_11target_archE910ELNS1_3gpuE8ELNS1_3repE0EEENS1_30default_config_static_selectorELNS0_4arch9wavefront6targetE1EEEvT1_ ; -- Begin function _ZN7rocprim17ROCPRIM_400000_NS6detail17trampoline_kernelINS0_14default_configENS1_25transform_config_selectorIlLb0EEEZNS1_14transform_implILb0ES3_S5_NS0_18transform_iteratorINS0_17counting_iteratorImlEEZNS1_24adjacent_difference_implIS3_Lb1ELb0EPlSB_N6thrust23THRUST_200600_302600_NS5minusIlEEEE10hipError_tPvRmT2_T3_mT4_P12ihipStream_tbEUlmE_lEESB_NS0_8identityIvEEEESG_SJ_SK_mSL_SN_bEUlT_E_NS1_11comp_targetILNS1_3genE4ELNS1_11target_archE910ELNS1_3gpuE8ELNS1_3repE0EEENS1_30default_config_static_selectorELNS0_4arch9wavefront6targetE1EEEvT1_
	.globl	_ZN7rocprim17ROCPRIM_400000_NS6detail17trampoline_kernelINS0_14default_configENS1_25transform_config_selectorIlLb0EEEZNS1_14transform_implILb0ES3_S5_NS0_18transform_iteratorINS0_17counting_iteratorImlEEZNS1_24adjacent_difference_implIS3_Lb1ELb0EPlSB_N6thrust23THRUST_200600_302600_NS5minusIlEEEE10hipError_tPvRmT2_T3_mT4_P12ihipStream_tbEUlmE_lEESB_NS0_8identityIvEEEESG_SJ_SK_mSL_SN_bEUlT_E_NS1_11comp_targetILNS1_3genE4ELNS1_11target_archE910ELNS1_3gpuE8ELNS1_3repE0EEENS1_30default_config_static_selectorELNS0_4arch9wavefront6targetE1EEEvT1_
	.p2align	8
	.type	_ZN7rocprim17ROCPRIM_400000_NS6detail17trampoline_kernelINS0_14default_configENS1_25transform_config_selectorIlLb0EEEZNS1_14transform_implILb0ES3_S5_NS0_18transform_iteratorINS0_17counting_iteratorImlEEZNS1_24adjacent_difference_implIS3_Lb1ELb0EPlSB_N6thrust23THRUST_200600_302600_NS5minusIlEEEE10hipError_tPvRmT2_T3_mT4_P12ihipStream_tbEUlmE_lEESB_NS0_8identityIvEEEESG_SJ_SK_mSL_SN_bEUlT_E_NS1_11comp_targetILNS1_3genE4ELNS1_11target_archE910ELNS1_3gpuE8ELNS1_3repE0EEENS1_30default_config_static_selectorELNS0_4arch9wavefront6targetE1EEEvT1_,@function
_ZN7rocprim17ROCPRIM_400000_NS6detail17trampoline_kernelINS0_14default_configENS1_25transform_config_selectorIlLb0EEEZNS1_14transform_implILb0ES3_S5_NS0_18transform_iteratorINS0_17counting_iteratorImlEEZNS1_24adjacent_difference_implIS3_Lb1ELb0EPlSB_N6thrust23THRUST_200600_302600_NS5minusIlEEEE10hipError_tPvRmT2_T3_mT4_P12ihipStream_tbEUlmE_lEESB_NS0_8identityIvEEEESG_SJ_SK_mSL_SN_bEUlT_E_NS1_11comp_targetILNS1_3genE4ELNS1_11target_archE910ELNS1_3gpuE8ELNS1_3repE0EEENS1_30default_config_static_selectorELNS0_4arch9wavefront6targetE1EEEvT1_: ; @_ZN7rocprim17ROCPRIM_400000_NS6detail17trampoline_kernelINS0_14default_configENS1_25transform_config_selectorIlLb0EEEZNS1_14transform_implILb0ES3_S5_NS0_18transform_iteratorINS0_17counting_iteratorImlEEZNS1_24adjacent_difference_implIS3_Lb1ELb0EPlSB_N6thrust23THRUST_200600_302600_NS5minusIlEEEE10hipError_tPvRmT2_T3_mT4_P12ihipStream_tbEUlmE_lEESB_NS0_8identityIvEEEESG_SJ_SK_mSL_SN_bEUlT_E_NS1_11comp_targetILNS1_3genE4ELNS1_11target_archE910ELNS1_3gpuE8ELNS1_3repE0EEENS1_30default_config_static_selectorELNS0_4arch9wavefront6targetE1EEEvT1_
; %bb.0:
	s_load_dwordx4 s[0:3], s[4:5], 0x18
	s_load_dwordx2 s[14:15], s[4:5], 0x28
	s_load_dwordx4 s[8:11], s[4:5], 0x0
	s_load_dword s12, s[4:5], 0x10
	s_waitcnt lgkmcnt(0)
	s_load_dword s3, s[4:5], 0x38
                                        ; kill: killed $sgpr4_sgpr5
	s_lshl_b64 s[4:5], s[0:1], 3
	s_add_u32 s14, s14, s4
	s_addc_u32 s15, s15, s5
	s_lshl_b32 s4, s6, 9
	s_waitcnt lgkmcnt(0)
	s_add_i32 s3, s3, -1
	s_add_u32 s7, s8, s4
	s_addc_u32 s8, s9, 0
	s_add_u32 s16, s7, s0
	s_addc_u32 s17, s8, s1
	s_mov_b32 s5, 0
	s_cmp_lg_u32 s6, s3
	v_lshlrev_b32_e32 v1, 3, v0
	s_cbranch_scc0 .LBB246_2
; %bb.1:
	v_mov_b32_e32 v2, s17
	v_add_co_u32_e32 v3, vcc, s16, v0
	v_addc_co_u32_e32 v5, vcc, 0, v2, vcc
	v_mad_u64_u32 v[2:3], s[0:1], v3, s12, 0
	v_mov_b32_e32 v4, v3
	v_mad_u64_u32 v[4:5], s[0:1], v5, s12, v[4:5]
	v_mov_b32_e32 v3, v4
	v_lshlrev_b64 v[2:3], 3, v[2:3]
	s_mov_b32 s13, s5
	v_mov_b32_e32 v4, s11
	v_add_co_u32_e32 v2, vcc, s10, v2
	v_addc_co_u32_e32 v3, vcc, v4, v3, vcc
	s_lshl_b64 s[0:1], s[12:13], 11
	global_load_dwordx2 v[8:9], v[2:3], off
	v_mov_b32_e32 v4, s1
	v_add_co_u32_e32 v2, vcc, s0, v2
	v_addc_co_u32_e32 v3, vcc, v3, v4, vcc
	global_load_dwordx2 v[4:5], v[2:3], off
	s_lshl_b64 s[6:7], s[4:5], 3
	s_add_u32 s6, s14, s6
	s_addc_u32 s7, s15, s7
	v_mov_b32_e32 v2, s7
	v_add_co_u32_e32 v6, vcc, s6, v1
	v_addc_co_u32_e32 v7, vcc, 0, v2, vcc
	s_waitcnt vmcnt(1)
	global_store_dwordx2 v1, v[8:9], s[6:7]
	s_mov_b64 s[6:7], -1
	s_cbranch_execz .LBB246_3
	s_branch .LBB246_12
.LBB246_2:
	s_mov_b64 s[6:7], 0
                                        ; implicit-def: $vgpr4_vgpr5
                                        ; implicit-def: $vgpr6_vgpr7
.LBB246_3:
	s_sub_i32 s8, s2, s4
	v_cmp_gt_u32_e32 vcc, s8, v0
                                        ; implicit-def: $vgpr2_vgpr3_vgpr4_vgpr5
	s_and_saveexec_b64 s[2:3], vcc
	s_cbranch_execz .LBB246_5
; %bb.4:
	v_mov_b32_e32 v2, s17
	v_add_co_u32_e64 v3, s[0:1], s16, v0
	s_waitcnt vmcnt(1)
	v_addc_co_u32_e64 v5, s[0:1], 0, v2, s[0:1]
	v_mad_u64_u32 v[2:3], s[0:1], v3, s12, 0
	v_mov_b32_e32 v4, v3
	v_mad_u64_u32 v[4:5], s[0:1], v5, s12, v[4:5]
	v_mov_b32_e32 v3, v4
	v_lshlrev_b64 v[2:3], 3, v[2:3]
	v_mov_b32_e32 v4, s11
	v_add_co_u32_e64 v2, s[0:1], s10, v2
	v_addc_co_u32_e64 v3, s[0:1], v4, v3, s[0:1]
	global_load_dwordx2 v[2:3], v[2:3], off
.LBB246_5:
	s_or_b64 exec, exec, s[2:3]
	v_or_b32_e32 v0, 0x100, v0
	v_cmp_gt_u32_e64 s[0:1], s8, v0
	s_and_saveexec_b64 s[8:9], s[0:1]
	s_cbranch_execz .LBB246_7
; %bb.6:
	s_waitcnt vmcnt(1)
	v_mov_b32_e32 v4, s17
	v_add_co_u32_e64 v0, s[2:3], s16, v0
	v_addc_co_u32_e64 v6, s[2:3], 0, v4, s[2:3]
	v_mad_u64_u32 v[4:5], s[2:3], v0, s12, 0
	v_mov_b32_e32 v0, v5
	v_mad_u64_u32 v[6:7], s[2:3], v6, s12, v[0:1]
	v_mov_b32_e32 v5, v6
	v_lshlrev_b64 v[4:5], 3, v[4:5]
	v_mov_b32_e32 v0, s11
	v_add_co_u32_e64 v4, s[2:3], s10, v4
	v_addc_co_u32_e64 v5, s[2:3], v0, v5, s[2:3]
	global_load_dwordx2 v[4:5], v[4:5], off
.LBB246_7:
	s_or_b64 exec, exec, s[8:9]
	s_lshl_b64 s[2:3], s[4:5], 3
	s_add_u32 s2, s14, s2
	s_addc_u32 s3, s15, s3
	v_mov_b32_e32 v0, s3
	v_add_co_u32_e64 v6, s[2:3], s2, v1
	v_addc_co_u32_e64 v7, s[2:3], 0, v0, s[2:3]
	s_and_saveexec_b64 s[2:3], vcc
	s_cbranch_execz .LBB246_9
; %bb.8:
	s_waitcnt vmcnt(0)
	global_store_dwordx2 v[6:7], v[2:3], off
.LBB246_9:
	s_or_b64 exec, exec, s[2:3]
	s_and_saveexec_b64 s[2:3], s[0:1]
; %bb.10:
	s_or_b64 s[6:7], s[6:7], exec
; %bb.11:
	s_or_b64 exec, exec, s[2:3]
.LBB246_12:
	s_and_saveexec_b64 s[0:1], s[6:7]
	s_cbranch_execnz .LBB246_14
; %bb.13:
	s_endpgm
.LBB246_14:
	s_waitcnt vmcnt(0)
	global_store_dwordx2 v[6:7], v[4:5], off offset:2048
	s_endpgm
	.section	.rodata,"a",@progbits
	.p2align	6, 0x0
	.amdhsa_kernel _ZN7rocprim17ROCPRIM_400000_NS6detail17trampoline_kernelINS0_14default_configENS1_25transform_config_selectorIlLb0EEEZNS1_14transform_implILb0ES3_S5_NS0_18transform_iteratorINS0_17counting_iteratorImlEEZNS1_24adjacent_difference_implIS3_Lb1ELb0EPlSB_N6thrust23THRUST_200600_302600_NS5minusIlEEEE10hipError_tPvRmT2_T3_mT4_P12ihipStream_tbEUlmE_lEESB_NS0_8identityIvEEEESG_SJ_SK_mSL_SN_bEUlT_E_NS1_11comp_targetILNS1_3genE4ELNS1_11target_archE910ELNS1_3gpuE8ELNS1_3repE0EEENS1_30default_config_static_selectorELNS0_4arch9wavefront6targetE1EEEvT1_
		.amdhsa_group_segment_fixed_size 0
		.amdhsa_private_segment_fixed_size 0
		.amdhsa_kernarg_size 312
		.amdhsa_user_sgpr_count 6
		.amdhsa_user_sgpr_private_segment_buffer 1
		.amdhsa_user_sgpr_dispatch_ptr 0
		.amdhsa_user_sgpr_queue_ptr 0
		.amdhsa_user_sgpr_kernarg_segment_ptr 1
		.amdhsa_user_sgpr_dispatch_id 0
		.amdhsa_user_sgpr_flat_scratch_init 0
		.amdhsa_user_sgpr_kernarg_preload_length 0
		.amdhsa_user_sgpr_kernarg_preload_offset 0
		.amdhsa_user_sgpr_private_segment_size 0
		.amdhsa_uses_dynamic_stack 0
		.amdhsa_system_sgpr_private_segment_wavefront_offset 0
		.amdhsa_system_sgpr_workgroup_id_x 1
		.amdhsa_system_sgpr_workgroup_id_y 0
		.amdhsa_system_sgpr_workgroup_id_z 0
		.amdhsa_system_sgpr_workgroup_info 0
		.amdhsa_system_vgpr_workitem_id 0
		.amdhsa_next_free_vgpr 10
		.amdhsa_next_free_sgpr 18
		.amdhsa_accum_offset 12
		.amdhsa_reserve_vcc 1
		.amdhsa_reserve_flat_scratch 0
		.amdhsa_float_round_mode_32 0
		.amdhsa_float_round_mode_16_64 0
		.amdhsa_float_denorm_mode_32 3
		.amdhsa_float_denorm_mode_16_64 3
		.amdhsa_dx10_clamp 1
		.amdhsa_ieee_mode 1
		.amdhsa_fp16_overflow 0
		.amdhsa_tg_split 0
		.amdhsa_exception_fp_ieee_invalid_op 0
		.amdhsa_exception_fp_denorm_src 0
		.amdhsa_exception_fp_ieee_div_zero 0
		.amdhsa_exception_fp_ieee_overflow 0
		.amdhsa_exception_fp_ieee_underflow 0
		.amdhsa_exception_fp_ieee_inexact 0
		.amdhsa_exception_int_div_zero 0
	.end_amdhsa_kernel
	.section	.text._ZN7rocprim17ROCPRIM_400000_NS6detail17trampoline_kernelINS0_14default_configENS1_25transform_config_selectorIlLb0EEEZNS1_14transform_implILb0ES3_S5_NS0_18transform_iteratorINS0_17counting_iteratorImlEEZNS1_24adjacent_difference_implIS3_Lb1ELb0EPlSB_N6thrust23THRUST_200600_302600_NS5minusIlEEEE10hipError_tPvRmT2_T3_mT4_P12ihipStream_tbEUlmE_lEESB_NS0_8identityIvEEEESG_SJ_SK_mSL_SN_bEUlT_E_NS1_11comp_targetILNS1_3genE4ELNS1_11target_archE910ELNS1_3gpuE8ELNS1_3repE0EEENS1_30default_config_static_selectorELNS0_4arch9wavefront6targetE1EEEvT1_,"axG",@progbits,_ZN7rocprim17ROCPRIM_400000_NS6detail17trampoline_kernelINS0_14default_configENS1_25transform_config_selectorIlLb0EEEZNS1_14transform_implILb0ES3_S5_NS0_18transform_iteratorINS0_17counting_iteratorImlEEZNS1_24adjacent_difference_implIS3_Lb1ELb0EPlSB_N6thrust23THRUST_200600_302600_NS5minusIlEEEE10hipError_tPvRmT2_T3_mT4_P12ihipStream_tbEUlmE_lEESB_NS0_8identityIvEEEESG_SJ_SK_mSL_SN_bEUlT_E_NS1_11comp_targetILNS1_3genE4ELNS1_11target_archE910ELNS1_3gpuE8ELNS1_3repE0EEENS1_30default_config_static_selectorELNS0_4arch9wavefront6targetE1EEEvT1_,comdat
.Lfunc_end246:
	.size	_ZN7rocprim17ROCPRIM_400000_NS6detail17trampoline_kernelINS0_14default_configENS1_25transform_config_selectorIlLb0EEEZNS1_14transform_implILb0ES3_S5_NS0_18transform_iteratorINS0_17counting_iteratorImlEEZNS1_24adjacent_difference_implIS3_Lb1ELb0EPlSB_N6thrust23THRUST_200600_302600_NS5minusIlEEEE10hipError_tPvRmT2_T3_mT4_P12ihipStream_tbEUlmE_lEESB_NS0_8identityIvEEEESG_SJ_SK_mSL_SN_bEUlT_E_NS1_11comp_targetILNS1_3genE4ELNS1_11target_archE910ELNS1_3gpuE8ELNS1_3repE0EEENS1_30default_config_static_selectorELNS0_4arch9wavefront6targetE1EEEvT1_, .Lfunc_end246-_ZN7rocprim17ROCPRIM_400000_NS6detail17trampoline_kernelINS0_14default_configENS1_25transform_config_selectorIlLb0EEEZNS1_14transform_implILb0ES3_S5_NS0_18transform_iteratorINS0_17counting_iteratorImlEEZNS1_24adjacent_difference_implIS3_Lb1ELb0EPlSB_N6thrust23THRUST_200600_302600_NS5minusIlEEEE10hipError_tPvRmT2_T3_mT4_P12ihipStream_tbEUlmE_lEESB_NS0_8identityIvEEEESG_SJ_SK_mSL_SN_bEUlT_E_NS1_11comp_targetILNS1_3genE4ELNS1_11target_archE910ELNS1_3gpuE8ELNS1_3repE0EEENS1_30default_config_static_selectorELNS0_4arch9wavefront6targetE1EEEvT1_
                                        ; -- End function
	.section	.AMDGPU.csdata,"",@progbits
; Kernel info:
; codeLenInByte = 556
; NumSgprs: 22
; NumVgprs: 10
; NumAgprs: 0
; TotalNumVgprs: 10
; ScratchSize: 0
; MemoryBound: 0
; FloatMode: 240
; IeeeMode: 1
; LDSByteSize: 0 bytes/workgroup (compile time only)
; SGPRBlocks: 2
; VGPRBlocks: 1
; NumSGPRsForWavesPerEU: 22
; NumVGPRsForWavesPerEU: 10
; AccumOffset: 12
; Occupancy: 8
; WaveLimiterHint : 0
; COMPUTE_PGM_RSRC2:SCRATCH_EN: 0
; COMPUTE_PGM_RSRC2:USER_SGPR: 6
; COMPUTE_PGM_RSRC2:TRAP_HANDLER: 0
; COMPUTE_PGM_RSRC2:TGID_X_EN: 1
; COMPUTE_PGM_RSRC2:TGID_Y_EN: 0
; COMPUTE_PGM_RSRC2:TGID_Z_EN: 0
; COMPUTE_PGM_RSRC2:TIDIG_COMP_CNT: 0
; COMPUTE_PGM_RSRC3_GFX90A:ACCUM_OFFSET: 2
; COMPUTE_PGM_RSRC3_GFX90A:TG_SPLIT: 0
	.section	.text._ZN7rocprim17ROCPRIM_400000_NS6detail17trampoline_kernelINS0_14default_configENS1_25transform_config_selectorIlLb0EEEZNS1_14transform_implILb0ES3_S5_NS0_18transform_iteratorINS0_17counting_iteratorImlEEZNS1_24adjacent_difference_implIS3_Lb1ELb0EPlSB_N6thrust23THRUST_200600_302600_NS5minusIlEEEE10hipError_tPvRmT2_T3_mT4_P12ihipStream_tbEUlmE_lEESB_NS0_8identityIvEEEESG_SJ_SK_mSL_SN_bEUlT_E_NS1_11comp_targetILNS1_3genE3ELNS1_11target_archE908ELNS1_3gpuE7ELNS1_3repE0EEENS1_30default_config_static_selectorELNS0_4arch9wavefront6targetE1EEEvT1_,"axG",@progbits,_ZN7rocprim17ROCPRIM_400000_NS6detail17trampoline_kernelINS0_14default_configENS1_25transform_config_selectorIlLb0EEEZNS1_14transform_implILb0ES3_S5_NS0_18transform_iteratorINS0_17counting_iteratorImlEEZNS1_24adjacent_difference_implIS3_Lb1ELb0EPlSB_N6thrust23THRUST_200600_302600_NS5minusIlEEEE10hipError_tPvRmT2_T3_mT4_P12ihipStream_tbEUlmE_lEESB_NS0_8identityIvEEEESG_SJ_SK_mSL_SN_bEUlT_E_NS1_11comp_targetILNS1_3genE3ELNS1_11target_archE908ELNS1_3gpuE7ELNS1_3repE0EEENS1_30default_config_static_selectorELNS0_4arch9wavefront6targetE1EEEvT1_,comdat
	.protected	_ZN7rocprim17ROCPRIM_400000_NS6detail17trampoline_kernelINS0_14default_configENS1_25transform_config_selectorIlLb0EEEZNS1_14transform_implILb0ES3_S5_NS0_18transform_iteratorINS0_17counting_iteratorImlEEZNS1_24adjacent_difference_implIS3_Lb1ELb0EPlSB_N6thrust23THRUST_200600_302600_NS5minusIlEEEE10hipError_tPvRmT2_T3_mT4_P12ihipStream_tbEUlmE_lEESB_NS0_8identityIvEEEESG_SJ_SK_mSL_SN_bEUlT_E_NS1_11comp_targetILNS1_3genE3ELNS1_11target_archE908ELNS1_3gpuE7ELNS1_3repE0EEENS1_30default_config_static_selectorELNS0_4arch9wavefront6targetE1EEEvT1_ ; -- Begin function _ZN7rocprim17ROCPRIM_400000_NS6detail17trampoline_kernelINS0_14default_configENS1_25transform_config_selectorIlLb0EEEZNS1_14transform_implILb0ES3_S5_NS0_18transform_iteratorINS0_17counting_iteratorImlEEZNS1_24adjacent_difference_implIS3_Lb1ELb0EPlSB_N6thrust23THRUST_200600_302600_NS5minusIlEEEE10hipError_tPvRmT2_T3_mT4_P12ihipStream_tbEUlmE_lEESB_NS0_8identityIvEEEESG_SJ_SK_mSL_SN_bEUlT_E_NS1_11comp_targetILNS1_3genE3ELNS1_11target_archE908ELNS1_3gpuE7ELNS1_3repE0EEENS1_30default_config_static_selectorELNS0_4arch9wavefront6targetE1EEEvT1_
	.globl	_ZN7rocprim17ROCPRIM_400000_NS6detail17trampoline_kernelINS0_14default_configENS1_25transform_config_selectorIlLb0EEEZNS1_14transform_implILb0ES3_S5_NS0_18transform_iteratorINS0_17counting_iteratorImlEEZNS1_24adjacent_difference_implIS3_Lb1ELb0EPlSB_N6thrust23THRUST_200600_302600_NS5minusIlEEEE10hipError_tPvRmT2_T3_mT4_P12ihipStream_tbEUlmE_lEESB_NS0_8identityIvEEEESG_SJ_SK_mSL_SN_bEUlT_E_NS1_11comp_targetILNS1_3genE3ELNS1_11target_archE908ELNS1_3gpuE7ELNS1_3repE0EEENS1_30default_config_static_selectorELNS0_4arch9wavefront6targetE1EEEvT1_
	.p2align	8
	.type	_ZN7rocprim17ROCPRIM_400000_NS6detail17trampoline_kernelINS0_14default_configENS1_25transform_config_selectorIlLb0EEEZNS1_14transform_implILb0ES3_S5_NS0_18transform_iteratorINS0_17counting_iteratorImlEEZNS1_24adjacent_difference_implIS3_Lb1ELb0EPlSB_N6thrust23THRUST_200600_302600_NS5minusIlEEEE10hipError_tPvRmT2_T3_mT4_P12ihipStream_tbEUlmE_lEESB_NS0_8identityIvEEEESG_SJ_SK_mSL_SN_bEUlT_E_NS1_11comp_targetILNS1_3genE3ELNS1_11target_archE908ELNS1_3gpuE7ELNS1_3repE0EEENS1_30default_config_static_selectorELNS0_4arch9wavefront6targetE1EEEvT1_,@function
_ZN7rocprim17ROCPRIM_400000_NS6detail17trampoline_kernelINS0_14default_configENS1_25transform_config_selectorIlLb0EEEZNS1_14transform_implILb0ES3_S5_NS0_18transform_iteratorINS0_17counting_iteratorImlEEZNS1_24adjacent_difference_implIS3_Lb1ELb0EPlSB_N6thrust23THRUST_200600_302600_NS5minusIlEEEE10hipError_tPvRmT2_T3_mT4_P12ihipStream_tbEUlmE_lEESB_NS0_8identityIvEEEESG_SJ_SK_mSL_SN_bEUlT_E_NS1_11comp_targetILNS1_3genE3ELNS1_11target_archE908ELNS1_3gpuE7ELNS1_3repE0EEENS1_30default_config_static_selectorELNS0_4arch9wavefront6targetE1EEEvT1_: ; @_ZN7rocprim17ROCPRIM_400000_NS6detail17trampoline_kernelINS0_14default_configENS1_25transform_config_selectorIlLb0EEEZNS1_14transform_implILb0ES3_S5_NS0_18transform_iteratorINS0_17counting_iteratorImlEEZNS1_24adjacent_difference_implIS3_Lb1ELb0EPlSB_N6thrust23THRUST_200600_302600_NS5minusIlEEEE10hipError_tPvRmT2_T3_mT4_P12ihipStream_tbEUlmE_lEESB_NS0_8identityIvEEEESG_SJ_SK_mSL_SN_bEUlT_E_NS1_11comp_targetILNS1_3genE3ELNS1_11target_archE908ELNS1_3gpuE7ELNS1_3repE0EEENS1_30default_config_static_selectorELNS0_4arch9wavefront6targetE1EEEvT1_
; %bb.0:
	.section	.rodata,"a",@progbits
	.p2align	6, 0x0
	.amdhsa_kernel _ZN7rocprim17ROCPRIM_400000_NS6detail17trampoline_kernelINS0_14default_configENS1_25transform_config_selectorIlLb0EEEZNS1_14transform_implILb0ES3_S5_NS0_18transform_iteratorINS0_17counting_iteratorImlEEZNS1_24adjacent_difference_implIS3_Lb1ELb0EPlSB_N6thrust23THRUST_200600_302600_NS5minusIlEEEE10hipError_tPvRmT2_T3_mT4_P12ihipStream_tbEUlmE_lEESB_NS0_8identityIvEEEESG_SJ_SK_mSL_SN_bEUlT_E_NS1_11comp_targetILNS1_3genE3ELNS1_11target_archE908ELNS1_3gpuE7ELNS1_3repE0EEENS1_30default_config_static_selectorELNS0_4arch9wavefront6targetE1EEEvT1_
		.amdhsa_group_segment_fixed_size 0
		.amdhsa_private_segment_fixed_size 0
		.amdhsa_kernarg_size 56
		.amdhsa_user_sgpr_count 6
		.amdhsa_user_sgpr_private_segment_buffer 1
		.amdhsa_user_sgpr_dispatch_ptr 0
		.amdhsa_user_sgpr_queue_ptr 0
		.amdhsa_user_sgpr_kernarg_segment_ptr 1
		.amdhsa_user_sgpr_dispatch_id 0
		.amdhsa_user_sgpr_flat_scratch_init 0
		.amdhsa_user_sgpr_kernarg_preload_length 0
		.amdhsa_user_sgpr_kernarg_preload_offset 0
		.amdhsa_user_sgpr_private_segment_size 0
		.amdhsa_uses_dynamic_stack 0
		.amdhsa_system_sgpr_private_segment_wavefront_offset 0
		.amdhsa_system_sgpr_workgroup_id_x 1
		.amdhsa_system_sgpr_workgroup_id_y 0
		.amdhsa_system_sgpr_workgroup_id_z 0
		.amdhsa_system_sgpr_workgroup_info 0
		.amdhsa_system_vgpr_workitem_id 0
		.amdhsa_next_free_vgpr 1
		.amdhsa_next_free_sgpr 0
		.amdhsa_accum_offset 4
		.amdhsa_reserve_vcc 0
		.amdhsa_reserve_flat_scratch 0
		.amdhsa_float_round_mode_32 0
		.amdhsa_float_round_mode_16_64 0
		.amdhsa_float_denorm_mode_32 3
		.amdhsa_float_denorm_mode_16_64 3
		.amdhsa_dx10_clamp 1
		.amdhsa_ieee_mode 1
		.amdhsa_fp16_overflow 0
		.amdhsa_tg_split 0
		.amdhsa_exception_fp_ieee_invalid_op 0
		.amdhsa_exception_fp_denorm_src 0
		.amdhsa_exception_fp_ieee_div_zero 0
		.amdhsa_exception_fp_ieee_overflow 0
		.amdhsa_exception_fp_ieee_underflow 0
		.amdhsa_exception_fp_ieee_inexact 0
		.amdhsa_exception_int_div_zero 0
	.end_amdhsa_kernel
	.section	.text._ZN7rocprim17ROCPRIM_400000_NS6detail17trampoline_kernelINS0_14default_configENS1_25transform_config_selectorIlLb0EEEZNS1_14transform_implILb0ES3_S5_NS0_18transform_iteratorINS0_17counting_iteratorImlEEZNS1_24adjacent_difference_implIS3_Lb1ELb0EPlSB_N6thrust23THRUST_200600_302600_NS5minusIlEEEE10hipError_tPvRmT2_T3_mT4_P12ihipStream_tbEUlmE_lEESB_NS0_8identityIvEEEESG_SJ_SK_mSL_SN_bEUlT_E_NS1_11comp_targetILNS1_3genE3ELNS1_11target_archE908ELNS1_3gpuE7ELNS1_3repE0EEENS1_30default_config_static_selectorELNS0_4arch9wavefront6targetE1EEEvT1_,"axG",@progbits,_ZN7rocprim17ROCPRIM_400000_NS6detail17trampoline_kernelINS0_14default_configENS1_25transform_config_selectorIlLb0EEEZNS1_14transform_implILb0ES3_S5_NS0_18transform_iteratorINS0_17counting_iteratorImlEEZNS1_24adjacent_difference_implIS3_Lb1ELb0EPlSB_N6thrust23THRUST_200600_302600_NS5minusIlEEEE10hipError_tPvRmT2_T3_mT4_P12ihipStream_tbEUlmE_lEESB_NS0_8identityIvEEEESG_SJ_SK_mSL_SN_bEUlT_E_NS1_11comp_targetILNS1_3genE3ELNS1_11target_archE908ELNS1_3gpuE7ELNS1_3repE0EEENS1_30default_config_static_selectorELNS0_4arch9wavefront6targetE1EEEvT1_,comdat
.Lfunc_end247:
	.size	_ZN7rocprim17ROCPRIM_400000_NS6detail17trampoline_kernelINS0_14default_configENS1_25transform_config_selectorIlLb0EEEZNS1_14transform_implILb0ES3_S5_NS0_18transform_iteratorINS0_17counting_iteratorImlEEZNS1_24adjacent_difference_implIS3_Lb1ELb0EPlSB_N6thrust23THRUST_200600_302600_NS5minusIlEEEE10hipError_tPvRmT2_T3_mT4_P12ihipStream_tbEUlmE_lEESB_NS0_8identityIvEEEESG_SJ_SK_mSL_SN_bEUlT_E_NS1_11comp_targetILNS1_3genE3ELNS1_11target_archE908ELNS1_3gpuE7ELNS1_3repE0EEENS1_30default_config_static_selectorELNS0_4arch9wavefront6targetE1EEEvT1_, .Lfunc_end247-_ZN7rocprim17ROCPRIM_400000_NS6detail17trampoline_kernelINS0_14default_configENS1_25transform_config_selectorIlLb0EEEZNS1_14transform_implILb0ES3_S5_NS0_18transform_iteratorINS0_17counting_iteratorImlEEZNS1_24adjacent_difference_implIS3_Lb1ELb0EPlSB_N6thrust23THRUST_200600_302600_NS5minusIlEEEE10hipError_tPvRmT2_T3_mT4_P12ihipStream_tbEUlmE_lEESB_NS0_8identityIvEEEESG_SJ_SK_mSL_SN_bEUlT_E_NS1_11comp_targetILNS1_3genE3ELNS1_11target_archE908ELNS1_3gpuE7ELNS1_3repE0EEENS1_30default_config_static_selectorELNS0_4arch9wavefront6targetE1EEEvT1_
                                        ; -- End function
	.section	.AMDGPU.csdata,"",@progbits
; Kernel info:
; codeLenInByte = 0
; NumSgprs: 4
; NumVgprs: 0
; NumAgprs: 0
; TotalNumVgprs: 0
; ScratchSize: 0
; MemoryBound: 0
; FloatMode: 240
; IeeeMode: 1
; LDSByteSize: 0 bytes/workgroup (compile time only)
; SGPRBlocks: 0
; VGPRBlocks: 0
; NumSGPRsForWavesPerEU: 4
; NumVGPRsForWavesPerEU: 1
; AccumOffset: 4
; Occupancy: 8
; WaveLimiterHint : 0
; COMPUTE_PGM_RSRC2:SCRATCH_EN: 0
; COMPUTE_PGM_RSRC2:USER_SGPR: 6
; COMPUTE_PGM_RSRC2:TRAP_HANDLER: 0
; COMPUTE_PGM_RSRC2:TGID_X_EN: 1
; COMPUTE_PGM_RSRC2:TGID_Y_EN: 0
; COMPUTE_PGM_RSRC2:TGID_Z_EN: 0
; COMPUTE_PGM_RSRC2:TIDIG_COMP_CNT: 0
; COMPUTE_PGM_RSRC3_GFX90A:ACCUM_OFFSET: 0
; COMPUTE_PGM_RSRC3_GFX90A:TG_SPLIT: 0
	.section	.text._ZN7rocprim17ROCPRIM_400000_NS6detail17trampoline_kernelINS0_14default_configENS1_25transform_config_selectorIlLb0EEEZNS1_14transform_implILb0ES3_S5_NS0_18transform_iteratorINS0_17counting_iteratorImlEEZNS1_24adjacent_difference_implIS3_Lb1ELb0EPlSB_N6thrust23THRUST_200600_302600_NS5minusIlEEEE10hipError_tPvRmT2_T3_mT4_P12ihipStream_tbEUlmE_lEESB_NS0_8identityIvEEEESG_SJ_SK_mSL_SN_bEUlT_E_NS1_11comp_targetILNS1_3genE2ELNS1_11target_archE906ELNS1_3gpuE6ELNS1_3repE0EEENS1_30default_config_static_selectorELNS0_4arch9wavefront6targetE1EEEvT1_,"axG",@progbits,_ZN7rocprim17ROCPRIM_400000_NS6detail17trampoline_kernelINS0_14default_configENS1_25transform_config_selectorIlLb0EEEZNS1_14transform_implILb0ES3_S5_NS0_18transform_iteratorINS0_17counting_iteratorImlEEZNS1_24adjacent_difference_implIS3_Lb1ELb0EPlSB_N6thrust23THRUST_200600_302600_NS5minusIlEEEE10hipError_tPvRmT2_T3_mT4_P12ihipStream_tbEUlmE_lEESB_NS0_8identityIvEEEESG_SJ_SK_mSL_SN_bEUlT_E_NS1_11comp_targetILNS1_3genE2ELNS1_11target_archE906ELNS1_3gpuE6ELNS1_3repE0EEENS1_30default_config_static_selectorELNS0_4arch9wavefront6targetE1EEEvT1_,comdat
	.protected	_ZN7rocprim17ROCPRIM_400000_NS6detail17trampoline_kernelINS0_14default_configENS1_25transform_config_selectorIlLb0EEEZNS1_14transform_implILb0ES3_S5_NS0_18transform_iteratorINS0_17counting_iteratorImlEEZNS1_24adjacent_difference_implIS3_Lb1ELb0EPlSB_N6thrust23THRUST_200600_302600_NS5minusIlEEEE10hipError_tPvRmT2_T3_mT4_P12ihipStream_tbEUlmE_lEESB_NS0_8identityIvEEEESG_SJ_SK_mSL_SN_bEUlT_E_NS1_11comp_targetILNS1_3genE2ELNS1_11target_archE906ELNS1_3gpuE6ELNS1_3repE0EEENS1_30default_config_static_selectorELNS0_4arch9wavefront6targetE1EEEvT1_ ; -- Begin function _ZN7rocprim17ROCPRIM_400000_NS6detail17trampoline_kernelINS0_14default_configENS1_25transform_config_selectorIlLb0EEEZNS1_14transform_implILb0ES3_S5_NS0_18transform_iteratorINS0_17counting_iteratorImlEEZNS1_24adjacent_difference_implIS3_Lb1ELb0EPlSB_N6thrust23THRUST_200600_302600_NS5minusIlEEEE10hipError_tPvRmT2_T3_mT4_P12ihipStream_tbEUlmE_lEESB_NS0_8identityIvEEEESG_SJ_SK_mSL_SN_bEUlT_E_NS1_11comp_targetILNS1_3genE2ELNS1_11target_archE906ELNS1_3gpuE6ELNS1_3repE0EEENS1_30default_config_static_selectorELNS0_4arch9wavefront6targetE1EEEvT1_
	.globl	_ZN7rocprim17ROCPRIM_400000_NS6detail17trampoline_kernelINS0_14default_configENS1_25transform_config_selectorIlLb0EEEZNS1_14transform_implILb0ES3_S5_NS0_18transform_iteratorINS0_17counting_iteratorImlEEZNS1_24adjacent_difference_implIS3_Lb1ELb0EPlSB_N6thrust23THRUST_200600_302600_NS5minusIlEEEE10hipError_tPvRmT2_T3_mT4_P12ihipStream_tbEUlmE_lEESB_NS0_8identityIvEEEESG_SJ_SK_mSL_SN_bEUlT_E_NS1_11comp_targetILNS1_3genE2ELNS1_11target_archE906ELNS1_3gpuE6ELNS1_3repE0EEENS1_30default_config_static_selectorELNS0_4arch9wavefront6targetE1EEEvT1_
	.p2align	8
	.type	_ZN7rocprim17ROCPRIM_400000_NS6detail17trampoline_kernelINS0_14default_configENS1_25transform_config_selectorIlLb0EEEZNS1_14transform_implILb0ES3_S5_NS0_18transform_iteratorINS0_17counting_iteratorImlEEZNS1_24adjacent_difference_implIS3_Lb1ELb0EPlSB_N6thrust23THRUST_200600_302600_NS5minusIlEEEE10hipError_tPvRmT2_T3_mT4_P12ihipStream_tbEUlmE_lEESB_NS0_8identityIvEEEESG_SJ_SK_mSL_SN_bEUlT_E_NS1_11comp_targetILNS1_3genE2ELNS1_11target_archE906ELNS1_3gpuE6ELNS1_3repE0EEENS1_30default_config_static_selectorELNS0_4arch9wavefront6targetE1EEEvT1_,@function
_ZN7rocprim17ROCPRIM_400000_NS6detail17trampoline_kernelINS0_14default_configENS1_25transform_config_selectorIlLb0EEEZNS1_14transform_implILb0ES3_S5_NS0_18transform_iteratorINS0_17counting_iteratorImlEEZNS1_24adjacent_difference_implIS3_Lb1ELb0EPlSB_N6thrust23THRUST_200600_302600_NS5minusIlEEEE10hipError_tPvRmT2_T3_mT4_P12ihipStream_tbEUlmE_lEESB_NS0_8identityIvEEEESG_SJ_SK_mSL_SN_bEUlT_E_NS1_11comp_targetILNS1_3genE2ELNS1_11target_archE906ELNS1_3gpuE6ELNS1_3repE0EEENS1_30default_config_static_selectorELNS0_4arch9wavefront6targetE1EEEvT1_: ; @_ZN7rocprim17ROCPRIM_400000_NS6detail17trampoline_kernelINS0_14default_configENS1_25transform_config_selectorIlLb0EEEZNS1_14transform_implILb0ES3_S5_NS0_18transform_iteratorINS0_17counting_iteratorImlEEZNS1_24adjacent_difference_implIS3_Lb1ELb0EPlSB_N6thrust23THRUST_200600_302600_NS5minusIlEEEE10hipError_tPvRmT2_T3_mT4_P12ihipStream_tbEUlmE_lEESB_NS0_8identityIvEEEESG_SJ_SK_mSL_SN_bEUlT_E_NS1_11comp_targetILNS1_3genE2ELNS1_11target_archE906ELNS1_3gpuE6ELNS1_3repE0EEENS1_30default_config_static_selectorELNS0_4arch9wavefront6targetE1EEEvT1_
; %bb.0:
	.section	.rodata,"a",@progbits
	.p2align	6, 0x0
	.amdhsa_kernel _ZN7rocprim17ROCPRIM_400000_NS6detail17trampoline_kernelINS0_14default_configENS1_25transform_config_selectorIlLb0EEEZNS1_14transform_implILb0ES3_S5_NS0_18transform_iteratorINS0_17counting_iteratorImlEEZNS1_24adjacent_difference_implIS3_Lb1ELb0EPlSB_N6thrust23THRUST_200600_302600_NS5minusIlEEEE10hipError_tPvRmT2_T3_mT4_P12ihipStream_tbEUlmE_lEESB_NS0_8identityIvEEEESG_SJ_SK_mSL_SN_bEUlT_E_NS1_11comp_targetILNS1_3genE2ELNS1_11target_archE906ELNS1_3gpuE6ELNS1_3repE0EEENS1_30default_config_static_selectorELNS0_4arch9wavefront6targetE1EEEvT1_
		.amdhsa_group_segment_fixed_size 0
		.amdhsa_private_segment_fixed_size 0
		.amdhsa_kernarg_size 56
		.amdhsa_user_sgpr_count 6
		.amdhsa_user_sgpr_private_segment_buffer 1
		.amdhsa_user_sgpr_dispatch_ptr 0
		.amdhsa_user_sgpr_queue_ptr 0
		.amdhsa_user_sgpr_kernarg_segment_ptr 1
		.amdhsa_user_sgpr_dispatch_id 0
		.amdhsa_user_sgpr_flat_scratch_init 0
		.amdhsa_user_sgpr_kernarg_preload_length 0
		.amdhsa_user_sgpr_kernarg_preload_offset 0
		.amdhsa_user_sgpr_private_segment_size 0
		.amdhsa_uses_dynamic_stack 0
		.amdhsa_system_sgpr_private_segment_wavefront_offset 0
		.amdhsa_system_sgpr_workgroup_id_x 1
		.amdhsa_system_sgpr_workgroup_id_y 0
		.amdhsa_system_sgpr_workgroup_id_z 0
		.amdhsa_system_sgpr_workgroup_info 0
		.amdhsa_system_vgpr_workitem_id 0
		.amdhsa_next_free_vgpr 1
		.amdhsa_next_free_sgpr 0
		.amdhsa_accum_offset 4
		.amdhsa_reserve_vcc 0
		.amdhsa_reserve_flat_scratch 0
		.amdhsa_float_round_mode_32 0
		.amdhsa_float_round_mode_16_64 0
		.amdhsa_float_denorm_mode_32 3
		.amdhsa_float_denorm_mode_16_64 3
		.amdhsa_dx10_clamp 1
		.amdhsa_ieee_mode 1
		.amdhsa_fp16_overflow 0
		.amdhsa_tg_split 0
		.amdhsa_exception_fp_ieee_invalid_op 0
		.amdhsa_exception_fp_denorm_src 0
		.amdhsa_exception_fp_ieee_div_zero 0
		.amdhsa_exception_fp_ieee_overflow 0
		.amdhsa_exception_fp_ieee_underflow 0
		.amdhsa_exception_fp_ieee_inexact 0
		.amdhsa_exception_int_div_zero 0
	.end_amdhsa_kernel
	.section	.text._ZN7rocprim17ROCPRIM_400000_NS6detail17trampoline_kernelINS0_14default_configENS1_25transform_config_selectorIlLb0EEEZNS1_14transform_implILb0ES3_S5_NS0_18transform_iteratorINS0_17counting_iteratorImlEEZNS1_24adjacent_difference_implIS3_Lb1ELb0EPlSB_N6thrust23THRUST_200600_302600_NS5minusIlEEEE10hipError_tPvRmT2_T3_mT4_P12ihipStream_tbEUlmE_lEESB_NS0_8identityIvEEEESG_SJ_SK_mSL_SN_bEUlT_E_NS1_11comp_targetILNS1_3genE2ELNS1_11target_archE906ELNS1_3gpuE6ELNS1_3repE0EEENS1_30default_config_static_selectorELNS0_4arch9wavefront6targetE1EEEvT1_,"axG",@progbits,_ZN7rocprim17ROCPRIM_400000_NS6detail17trampoline_kernelINS0_14default_configENS1_25transform_config_selectorIlLb0EEEZNS1_14transform_implILb0ES3_S5_NS0_18transform_iteratorINS0_17counting_iteratorImlEEZNS1_24adjacent_difference_implIS3_Lb1ELb0EPlSB_N6thrust23THRUST_200600_302600_NS5minusIlEEEE10hipError_tPvRmT2_T3_mT4_P12ihipStream_tbEUlmE_lEESB_NS0_8identityIvEEEESG_SJ_SK_mSL_SN_bEUlT_E_NS1_11comp_targetILNS1_3genE2ELNS1_11target_archE906ELNS1_3gpuE6ELNS1_3repE0EEENS1_30default_config_static_selectorELNS0_4arch9wavefront6targetE1EEEvT1_,comdat
.Lfunc_end248:
	.size	_ZN7rocprim17ROCPRIM_400000_NS6detail17trampoline_kernelINS0_14default_configENS1_25transform_config_selectorIlLb0EEEZNS1_14transform_implILb0ES3_S5_NS0_18transform_iteratorINS0_17counting_iteratorImlEEZNS1_24adjacent_difference_implIS3_Lb1ELb0EPlSB_N6thrust23THRUST_200600_302600_NS5minusIlEEEE10hipError_tPvRmT2_T3_mT4_P12ihipStream_tbEUlmE_lEESB_NS0_8identityIvEEEESG_SJ_SK_mSL_SN_bEUlT_E_NS1_11comp_targetILNS1_3genE2ELNS1_11target_archE906ELNS1_3gpuE6ELNS1_3repE0EEENS1_30default_config_static_selectorELNS0_4arch9wavefront6targetE1EEEvT1_, .Lfunc_end248-_ZN7rocprim17ROCPRIM_400000_NS6detail17trampoline_kernelINS0_14default_configENS1_25transform_config_selectorIlLb0EEEZNS1_14transform_implILb0ES3_S5_NS0_18transform_iteratorINS0_17counting_iteratorImlEEZNS1_24adjacent_difference_implIS3_Lb1ELb0EPlSB_N6thrust23THRUST_200600_302600_NS5minusIlEEEE10hipError_tPvRmT2_T3_mT4_P12ihipStream_tbEUlmE_lEESB_NS0_8identityIvEEEESG_SJ_SK_mSL_SN_bEUlT_E_NS1_11comp_targetILNS1_3genE2ELNS1_11target_archE906ELNS1_3gpuE6ELNS1_3repE0EEENS1_30default_config_static_selectorELNS0_4arch9wavefront6targetE1EEEvT1_
                                        ; -- End function
	.section	.AMDGPU.csdata,"",@progbits
; Kernel info:
; codeLenInByte = 0
; NumSgprs: 4
; NumVgprs: 0
; NumAgprs: 0
; TotalNumVgprs: 0
; ScratchSize: 0
; MemoryBound: 0
; FloatMode: 240
; IeeeMode: 1
; LDSByteSize: 0 bytes/workgroup (compile time only)
; SGPRBlocks: 0
; VGPRBlocks: 0
; NumSGPRsForWavesPerEU: 4
; NumVGPRsForWavesPerEU: 1
; AccumOffset: 4
; Occupancy: 8
; WaveLimiterHint : 0
; COMPUTE_PGM_RSRC2:SCRATCH_EN: 0
; COMPUTE_PGM_RSRC2:USER_SGPR: 6
; COMPUTE_PGM_RSRC2:TRAP_HANDLER: 0
; COMPUTE_PGM_RSRC2:TGID_X_EN: 1
; COMPUTE_PGM_RSRC2:TGID_Y_EN: 0
; COMPUTE_PGM_RSRC2:TGID_Z_EN: 0
; COMPUTE_PGM_RSRC2:TIDIG_COMP_CNT: 0
; COMPUTE_PGM_RSRC3_GFX90A:ACCUM_OFFSET: 0
; COMPUTE_PGM_RSRC3_GFX90A:TG_SPLIT: 0
	.section	.text._ZN7rocprim17ROCPRIM_400000_NS6detail17trampoline_kernelINS0_14default_configENS1_25transform_config_selectorIlLb0EEEZNS1_14transform_implILb0ES3_S5_NS0_18transform_iteratorINS0_17counting_iteratorImlEEZNS1_24adjacent_difference_implIS3_Lb1ELb0EPlSB_N6thrust23THRUST_200600_302600_NS5minusIlEEEE10hipError_tPvRmT2_T3_mT4_P12ihipStream_tbEUlmE_lEESB_NS0_8identityIvEEEESG_SJ_SK_mSL_SN_bEUlT_E_NS1_11comp_targetILNS1_3genE10ELNS1_11target_archE1201ELNS1_3gpuE5ELNS1_3repE0EEENS1_30default_config_static_selectorELNS0_4arch9wavefront6targetE1EEEvT1_,"axG",@progbits,_ZN7rocprim17ROCPRIM_400000_NS6detail17trampoline_kernelINS0_14default_configENS1_25transform_config_selectorIlLb0EEEZNS1_14transform_implILb0ES3_S5_NS0_18transform_iteratorINS0_17counting_iteratorImlEEZNS1_24adjacent_difference_implIS3_Lb1ELb0EPlSB_N6thrust23THRUST_200600_302600_NS5minusIlEEEE10hipError_tPvRmT2_T3_mT4_P12ihipStream_tbEUlmE_lEESB_NS0_8identityIvEEEESG_SJ_SK_mSL_SN_bEUlT_E_NS1_11comp_targetILNS1_3genE10ELNS1_11target_archE1201ELNS1_3gpuE5ELNS1_3repE0EEENS1_30default_config_static_selectorELNS0_4arch9wavefront6targetE1EEEvT1_,comdat
	.protected	_ZN7rocprim17ROCPRIM_400000_NS6detail17trampoline_kernelINS0_14default_configENS1_25transform_config_selectorIlLb0EEEZNS1_14transform_implILb0ES3_S5_NS0_18transform_iteratorINS0_17counting_iteratorImlEEZNS1_24adjacent_difference_implIS3_Lb1ELb0EPlSB_N6thrust23THRUST_200600_302600_NS5minusIlEEEE10hipError_tPvRmT2_T3_mT4_P12ihipStream_tbEUlmE_lEESB_NS0_8identityIvEEEESG_SJ_SK_mSL_SN_bEUlT_E_NS1_11comp_targetILNS1_3genE10ELNS1_11target_archE1201ELNS1_3gpuE5ELNS1_3repE0EEENS1_30default_config_static_selectorELNS0_4arch9wavefront6targetE1EEEvT1_ ; -- Begin function _ZN7rocprim17ROCPRIM_400000_NS6detail17trampoline_kernelINS0_14default_configENS1_25transform_config_selectorIlLb0EEEZNS1_14transform_implILb0ES3_S5_NS0_18transform_iteratorINS0_17counting_iteratorImlEEZNS1_24adjacent_difference_implIS3_Lb1ELb0EPlSB_N6thrust23THRUST_200600_302600_NS5minusIlEEEE10hipError_tPvRmT2_T3_mT4_P12ihipStream_tbEUlmE_lEESB_NS0_8identityIvEEEESG_SJ_SK_mSL_SN_bEUlT_E_NS1_11comp_targetILNS1_3genE10ELNS1_11target_archE1201ELNS1_3gpuE5ELNS1_3repE0EEENS1_30default_config_static_selectorELNS0_4arch9wavefront6targetE1EEEvT1_
	.globl	_ZN7rocprim17ROCPRIM_400000_NS6detail17trampoline_kernelINS0_14default_configENS1_25transform_config_selectorIlLb0EEEZNS1_14transform_implILb0ES3_S5_NS0_18transform_iteratorINS0_17counting_iteratorImlEEZNS1_24adjacent_difference_implIS3_Lb1ELb0EPlSB_N6thrust23THRUST_200600_302600_NS5minusIlEEEE10hipError_tPvRmT2_T3_mT4_P12ihipStream_tbEUlmE_lEESB_NS0_8identityIvEEEESG_SJ_SK_mSL_SN_bEUlT_E_NS1_11comp_targetILNS1_3genE10ELNS1_11target_archE1201ELNS1_3gpuE5ELNS1_3repE0EEENS1_30default_config_static_selectorELNS0_4arch9wavefront6targetE1EEEvT1_
	.p2align	8
	.type	_ZN7rocprim17ROCPRIM_400000_NS6detail17trampoline_kernelINS0_14default_configENS1_25transform_config_selectorIlLb0EEEZNS1_14transform_implILb0ES3_S5_NS0_18transform_iteratorINS0_17counting_iteratorImlEEZNS1_24adjacent_difference_implIS3_Lb1ELb0EPlSB_N6thrust23THRUST_200600_302600_NS5minusIlEEEE10hipError_tPvRmT2_T3_mT4_P12ihipStream_tbEUlmE_lEESB_NS0_8identityIvEEEESG_SJ_SK_mSL_SN_bEUlT_E_NS1_11comp_targetILNS1_3genE10ELNS1_11target_archE1201ELNS1_3gpuE5ELNS1_3repE0EEENS1_30default_config_static_selectorELNS0_4arch9wavefront6targetE1EEEvT1_,@function
_ZN7rocprim17ROCPRIM_400000_NS6detail17trampoline_kernelINS0_14default_configENS1_25transform_config_selectorIlLb0EEEZNS1_14transform_implILb0ES3_S5_NS0_18transform_iteratorINS0_17counting_iteratorImlEEZNS1_24adjacent_difference_implIS3_Lb1ELb0EPlSB_N6thrust23THRUST_200600_302600_NS5minusIlEEEE10hipError_tPvRmT2_T3_mT4_P12ihipStream_tbEUlmE_lEESB_NS0_8identityIvEEEESG_SJ_SK_mSL_SN_bEUlT_E_NS1_11comp_targetILNS1_3genE10ELNS1_11target_archE1201ELNS1_3gpuE5ELNS1_3repE0EEENS1_30default_config_static_selectorELNS0_4arch9wavefront6targetE1EEEvT1_: ; @_ZN7rocprim17ROCPRIM_400000_NS6detail17trampoline_kernelINS0_14default_configENS1_25transform_config_selectorIlLb0EEEZNS1_14transform_implILb0ES3_S5_NS0_18transform_iteratorINS0_17counting_iteratorImlEEZNS1_24adjacent_difference_implIS3_Lb1ELb0EPlSB_N6thrust23THRUST_200600_302600_NS5minusIlEEEE10hipError_tPvRmT2_T3_mT4_P12ihipStream_tbEUlmE_lEESB_NS0_8identityIvEEEESG_SJ_SK_mSL_SN_bEUlT_E_NS1_11comp_targetILNS1_3genE10ELNS1_11target_archE1201ELNS1_3gpuE5ELNS1_3repE0EEENS1_30default_config_static_selectorELNS0_4arch9wavefront6targetE1EEEvT1_
; %bb.0:
	.section	.rodata,"a",@progbits
	.p2align	6, 0x0
	.amdhsa_kernel _ZN7rocprim17ROCPRIM_400000_NS6detail17trampoline_kernelINS0_14default_configENS1_25transform_config_selectorIlLb0EEEZNS1_14transform_implILb0ES3_S5_NS0_18transform_iteratorINS0_17counting_iteratorImlEEZNS1_24adjacent_difference_implIS3_Lb1ELb0EPlSB_N6thrust23THRUST_200600_302600_NS5minusIlEEEE10hipError_tPvRmT2_T3_mT4_P12ihipStream_tbEUlmE_lEESB_NS0_8identityIvEEEESG_SJ_SK_mSL_SN_bEUlT_E_NS1_11comp_targetILNS1_3genE10ELNS1_11target_archE1201ELNS1_3gpuE5ELNS1_3repE0EEENS1_30default_config_static_selectorELNS0_4arch9wavefront6targetE1EEEvT1_
		.amdhsa_group_segment_fixed_size 0
		.amdhsa_private_segment_fixed_size 0
		.amdhsa_kernarg_size 56
		.amdhsa_user_sgpr_count 6
		.amdhsa_user_sgpr_private_segment_buffer 1
		.amdhsa_user_sgpr_dispatch_ptr 0
		.amdhsa_user_sgpr_queue_ptr 0
		.amdhsa_user_sgpr_kernarg_segment_ptr 1
		.amdhsa_user_sgpr_dispatch_id 0
		.amdhsa_user_sgpr_flat_scratch_init 0
		.amdhsa_user_sgpr_kernarg_preload_length 0
		.amdhsa_user_sgpr_kernarg_preload_offset 0
		.amdhsa_user_sgpr_private_segment_size 0
		.amdhsa_uses_dynamic_stack 0
		.amdhsa_system_sgpr_private_segment_wavefront_offset 0
		.amdhsa_system_sgpr_workgroup_id_x 1
		.amdhsa_system_sgpr_workgroup_id_y 0
		.amdhsa_system_sgpr_workgroup_id_z 0
		.amdhsa_system_sgpr_workgroup_info 0
		.amdhsa_system_vgpr_workitem_id 0
		.amdhsa_next_free_vgpr 1
		.amdhsa_next_free_sgpr 0
		.amdhsa_accum_offset 4
		.amdhsa_reserve_vcc 0
		.amdhsa_reserve_flat_scratch 0
		.amdhsa_float_round_mode_32 0
		.amdhsa_float_round_mode_16_64 0
		.amdhsa_float_denorm_mode_32 3
		.amdhsa_float_denorm_mode_16_64 3
		.amdhsa_dx10_clamp 1
		.amdhsa_ieee_mode 1
		.amdhsa_fp16_overflow 0
		.amdhsa_tg_split 0
		.amdhsa_exception_fp_ieee_invalid_op 0
		.amdhsa_exception_fp_denorm_src 0
		.amdhsa_exception_fp_ieee_div_zero 0
		.amdhsa_exception_fp_ieee_overflow 0
		.amdhsa_exception_fp_ieee_underflow 0
		.amdhsa_exception_fp_ieee_inexact 0
		.amdhsa_exception_int_div_zero 0
	.end_amdhsa_kernel
	.section	.text._ZN7rocprim17ROCPRIM_400000_NS6detail17trampoline_kernelINS0_14default_configENS1_25transform_config_selectorIlLb0EEEZNS1_14transform_implILb0ES3_S5_NS0_18transform_iteratorINS0_17counting_iteratorImlEEZNS1_24adjacent_difference_implIS3_Lb1ELb0EPlSB_N6thrust23THRUST_200600_302600_NS5minusIlEEEE10hipError_tPvRmT2_T3_mT4_P12ihipStream_tbEUlmE_lEESB_NS0_8identityIvEEEESG_SJ_SK_mSL_SN_bEUlT_E_NS1_11comp_targetILNS1_3genE10ELNS1_11target_archE1201ELNS1_3gpuE5ELNS1_3repE0EEENS1_30default_config_static_selectorELNS0_4arch9wavefront6targetE1EEEvT1_,"axG",@progbits,_ZN7rocprim17ROCPRIM_400000_NS6detail17trampoline_kernelINS0_14default_configENS1_25transform_config_selectorIlLb0EEEZNS1_14transform_implILb0ES3_S5_NS0_18transform_iteratorINS0_17counting_iteratorImlEEZNS1_24adjacent_difference_implIS3_Lb1ELb0EPlSB_N6thrust23THRUST_200600_302600_NS5minusIlEEEE10hipError_tPvRmT2_T3_mT4_P12ihipStream_tbEUlmE_lEESB_NS0_8identityIvEEEESG_SJ_SK_mSL_SN_bEUlT_E_NS1_11comp_targetILNS1_3genE10ELNS1_11target_archE1201ELNS1_3gpuE5ELNS1_3repE0EEENS1_30default_config_static_selectorELNS0_4arch9wavefront6targetE1EEEvT1_,comdat
.Lfunc_end249:
	.size	_ZN7rocprim17ROCPRIM_400000_NS6detail17trampoline_kernelINS0_14default_configENS1_25transform_config_selectorIlLb0EEEZNS1_14transform_implILb0ES3_S5_NS0_18transform_iteratorINS0_17counting_iteratorImlEEZNS1_24adjacent_difference_implIS3_Lb1ELb0EPlSB_N6thrust23THRUST_200600_302600_NS5minusIlEEEE10hipError_tPvRmT2_T3_mT4_P12ihipStream_tbEUlmE_lEESB_NS0_8identityIvEEEESG_SJ_SK_mSL_SN_bEUlT_E_NS1_11comp_targetILNS1_3genE10ELNS1_11target_archE1201ELNS1_3gpuE5ELNS1_3repE0EEENS1_30default_config_static_selectorELNS0_4arch9wavefront6targetE1EEEvT1_, .Lfunc_end249-_ZN7rocprim17ROCPRIM_400000_NS6detail17trampoline_kernelINS0_14default_configENS1_25transform_config_selectorIlLb0EEEZNS1_14transform_implILb0ES3_S5_NS0_18transform_iteratorINS0_17counting_iteratorImlEEZNS1_24adjacent_difference_implIS3_Lb1ELb0EPlSB_N6thrust23THRUST_200600_302600_NS5minusIlEEEE10hipError_tPvRmT2_T3_mT4_P12ihipStream_tbEUlmE_lEESB_NS0_8identityIvEEEESG_SJ_SK_mSL_SN_bEUlT_E_NS1_11comp_targetILNS1_3genE10ELNS1_11target_archE1201ELNS1_3gpuE5ELNS1_3repE0EEENS1_30default_config_static_selectorELNS0_4arch9wavefront6targetE1EEEvT1_
                                        ; -- End function
	.section	.AMDGPU.csdata,"",@progbits
; Kernel info:
; codeLenInByte = 0
; NumSgprs: 4
; NumVgprs: 0
; NumAgprs: 0
; TotalNumVgprs: 0
; ScratchSize: 0
; MemoryBound: 0
; FloatMode: 240
; IeeeMode: 1
; LDSByteSize: 0 bytes/workgroup (compile time only)
; SGPRBlocks: 0
; VGPRBlocks: 0
; NumSGPRsForWavesPerEU: 4
; NumVGPRsForWavesPerEU: 1
; AccumOffset: 4
; Occupancy: 8
; WaveLimiterHint : 0
; COMPUTE_PGM_RSRC2:SCRATCH_EN: 0
; COMPUTE_PGM_RSRC2:USER_SGPR: 6
; COMPUTE_PGM_RSRC2:TRAP_HANDLER: 0
; COMPUTE_PGM_RSRC2:TGID_X_EN: 1
; COMPUTE_PGM_RSRC2:TGID_Y_EN: 0
; COMPUTE_PGM_RSRC2:TGID_Z_EN: 0
; COMPUTE_PGM_RSRC2:TIDIG_COMP_CNT: 0
; COMPUTE_PGM_RSRC3_GFX90A:ACCUM_OFFSET: 0
; COMPUTE_PGM_RSRC3_GFX90A:TG_SPLIT: 0
	.section	.text._ZN7rocprim17ROCPRIM_400000_NS6detail17trampoline_kernelINS0_14default_configENS1_25transform_config_selectorIlLb0EEEZNS1_14transform_implILb0ES3_S5_NS0_18transform_iteratorINS0_17counting_iteratorImlEEZNS1_24adjacent_difference_implIS3_Lb1ELb0EPlSB_N6thrust23THRUST_200600_302600_NS5minusIlEEEE10hipError_tPvRmT2_T3_mT4_P12ihipStream_tbEUlmE_lEESB_NS0_8identityIvEEEESG_SJ_SK_mSL_SN_bEUlT_E_NS1_11comp_targetILNS1_3genE10ELNS1_11target_archE1200ELNS1_3gpuE4ELNS1_3repE0EEENS1_30default_config_static_selectorELNS0_4arch9wavefront6targetE1EEEvT1_,"axG",@progbits,_ZN7rocprim17ROCPRIM_400000_NS6detail17trampoline_kernelINS0_14default_configENS1_25transform_config_selectorIlLb0EEEZNS1_14transform_implILb0ES3_S5_NS0_18transform_iteratorINS0_17counting_iteratorImlEEZNS1_24adjacent_difference_implIS3_Lb1ELb0EPlSB_N6thrust23THRUST_200600_302600_NS5minusIlEEEE10hipError_tPvRmT2_T3_mT4_P12ihipStream_tbEUlmE_lEESB_NS0_8identityIvEEEESG_SJ_SK_mSL_SN_bEUlT_E_NS1_11comp_targetILNS1_3genE10ELNS1_11target_archE1200ELNS1_3gpuE4ELNS1_3repE0EEENS1_30default_config_static_selectorELNS0_4arch9wavefront6targetE1EEEvT1_,comdat
	.protected	_ZN7rocprim17ROCPRIM_400000_NS6detail17trampoline_kernelINS0_14default_configENS1_25transform_config_selectorIlLb0EEEZNS1_14transform_implILb0ES3_S5_NS0_18transform_iteratorINS0_17counting_iteratorImlEEZNS1_24adjacent_difference_implIS3_Lb1ELb0EPlSB_N6thrust23THRUST_200600_302600_NS5minusIlEEEE10hipError_tPvRmT2_T3_mT4_P12ihipStream_tbEUlmE_lEESB_NS0_8identityIvEEEESG_SJ_SK_mSL_SN_bEUlT_E_NS1_11comp_targetILNS1_3genE10ELNS1_11target_archE1200ELNS1_3gpuE4ELNS1_3repE0EEENS1_30default_config_static_selectorELNS0_4arch9wavefront6targetE1EEEvT1_ ; -- Begin function _ZN7rocprim17ROCPRIM_400000_NS6detail17trampoline_kernelINS0_14default_configENS1_25transform_config_selectorIlLb0EEEZNS1_14transform_implILb0ES3_S5_NS0_18transform_iteratorINS0_17counting_iteratorImlEEZNS1_24adjacent_difference_implIS3_Lb1ELb0EPlSB_N6thrust23THRUST_200600_302600_NS5minusIlEEEE10hipError_tPvRmT2_T3_mT4_P12ihipStream_tbEUlmE_lEESB_NS0_8identityIvEEEESG_SJ_SK_mSL_SN_bEUlT_E_NS1_11comp_targetILNS1_3genE10ELNS1_11target_archE1200ELNS1_3gpuE4ELNS1_3repE0EEENS1_30default_config_static_selectorELNS0_4arch9wavefront6targetE1EEEvT1_
	.globl	_ZN7rocprim17ROCPRIM_400000_NS6detail17trampoline_kernelINS0_14default_configENS1_25transform_config_selectorIlLb0EEEZNS1_14transform_implILb0ES3_S5_NS0_18transform_iteratorINS0_17counting_iteratorImlEEZNS1_24adjacent_difference_implIS3_Lb1ELb0EPlSB_N6thrust23THRUST_200600_302600_NS5minusIlEEEE10hipError_tPvRmT2_T3_mT4_P12ihipStream_tbEUlmE_lEESB_NS0_8identityIvEEEESG_SJ_SK_mSL_SN_bEUlT_E_NS1_11comp_targetILNS1_3genE10ELNS1_11target_archE1200ELNS1_3gpuE4ELNS1_3repE0EEENS1_30default_config_static_selectorELNS0_4arch9wavefront6targetE1EEEvT1_
	.p2align	8
	.type	_ZN7rocprim17ROCPRIM_400000_NS6detail17trampoline_kernelINS0_14default_configENS1_25transform_config_selectorIlLb0EEEZNS1_14transform_implILb0ES3_S5_NS0_18transform_iteratorINS0_17counting_iteratorImlEEZNS1_24adjacent_difference_implIS3_Lb1ELb0EPlSB_N6thrust23THRUST_200600_302600_NS5minusIlEEEE10hipError_tPvRmT2_T3_mT4_P12ihipStream_tbEUlmE_lEESB_NS0_8identityIvEEEESG_SJ_SK_mSL_SN_bEUlT_E_NS1_11comp_targetILNS1_3genE10ELNS1_11target_archE1200ELNS1_3gpuE4ELNS1_3repE0EEENS1_30default_config_static_selectorELNS0_4arch9wavefront6targetE1EEEvT1_,@function
_ZN7rocprim17ROCPRIM_400000_NS6detail17trampoline_kernelINS0_14default_configENS1_25transform_config_selectorIlLb0EEEZNS1_14transform_implILb0ES3_S5_NS0_18transform_iteratorINS0_17counting_iteratorImlEEZNS1_24adjacent_difference_implIS3_Lb1ELb0EPlSB_N6thrust23THRUST_200600_302600_NS5minusIlEEEE10hipError_tPvRmT2_T3_mT4_P12ihipStream_tbEUlmE_lEESB_NS0_8identityIvEEEESG_SJ_SK_mSL_SN_bEUlT_E_NS1_11comp_targetILNS1_3genE10ELNS1_11target_archE1200ELNS1_3gpuE4ELNS1_3repE0EEENS1_30default_config_static_selectorELNS0_4arch9wavefront6targetE1EEEvT1_: ; @_ZN7rocprim17ROCPRIM_400000_NS6detail17trampoline_kernelINS0_14default_configENS1_25transform_config_selectorIlLb0EEEZNS1_14transform_implILb0ES3_S5_NS0_18transform_iteratorINS0_17counting_iteratorImlEEZNS1_24adjacent_difference_implIS3_Lb1ELb0EPlSB_N6thrust23THRUST_200600_302600_NS5minusIlEEEE10hipError_tPvRmT2_T3_mT4_P12ihipStream_tbEUlmE_lEESB_NS0_8identityIvEEEESG_SJ_SK_mSL_SN_bEUlT_E_NS1_11comp_targetILNS1_3genE10ELNS1_11target_archE1200ELNS1_3gpuE4ELNS1_3repE0EEENS1_30default_config_static_selectorELNS0_4arch9wavefront6targetE1EEEvT1_
; %bb.0:
	.section	.rodata,"a",@progbits
	.p2align	6, 0x0
	.amdhsa_kernel _ZN7rocprim17ROCPRIM_400000_NS6detail17trampoline_kernelINS0_14default_configENS1_25transform_config_selectorIlLb0EEEZNS1_14transform_implILb0ES3_S5_NS0_18transform_iteratorINS0_17counting_iteratorImlEEZNS1_24adjacent_difference_implIS3_Lb1ELb0EPlSB_N6thrust23THRUST_200600_302600_NS5minusIlEEEE10hipError_tPvRmT2_T3_mT4_P12ihipStream_tbEUlmE_lEESB_NS0_8identityIvEEEESG_SJ_SK_mSL_SN_bEUlT_E_NS1_11comp_targetILNS1_3genE10ELNS1_11target_archE1200ELNS1_3gpuE4ELNS1_3repE0EEENS1_30default_config_static_selectorELNS0_4arch9wavefront6targetE1EEEvT1_
		.amdhsa_group_segment_fixed_size 0
		.amdhsa_private_segment_fixed_size 0
		.amdhsa_kernarg_size 56
		.amdhsa_user_sgpr_count 6
		.amdhsa_user_sgpr_private_segment_buffer 1
		.amdhsa_user_sgpr_dispatch_ptr 0
		.amdhsa_user_sgpr_queue_ptr 0
		.amdhsa_user_sgpr_kernarg_segment_ptr 1
		.amdhsa_user_sgpr_dispatch_id 0
		.amdhsa_user_sgpr_flat_scratch_init 0
		.amdhsa_user_sgpr_kernarg_preload_length 0
		.amdhsa_user_sgpr_kernarg_preload_offset 0
		.amdhsa_user_sgpr_private_segment_size 0
		.amdhsa_uses_dynamic_stack 0
		.amdhsa_system_sgpr_private_segment_wavefront_offset 0
		.amdhsa_system_sgpr_workgroup_id_x 1
		.amdhsa_system_sgpr_workgroup_id_y 0
		.amdhsa_system_sgpr_workgroup_id_z 0
		.amdhsa_system_sgpr_workgroup_info 0
		.amdhsa_system_vgpr_workitem_id 0
		.amdhsa_next_free_vgpr 1
		.amdhsa_next_free_sgpr 0
		.amdhsa_accum_offset 4
		.amdhsa_reserve_vcc 0
		.amdhsa_reserve_flat_scratch 0
		.amdhsa_float_round_mode_32 0
		.amdhsa_float_round_mode_16_64 0
		.amdhsa_float_denorm_mode_32 3
		.amdhsa_float_denorm_mode_16_64 3
		.amdhsa_dx10_clamp 1
		.amdhsa_ieee_mode 1
		.amdhsa_fp16_overflow 0
		.amdhsa_tg_split 0
		.amdhsa_exception_fp_ieee_invalid_op 0
		.amdhsa_exception_fp_denorm_src 0
		.amdhsa_exception_fp_ieee_div_zero 0
		.amdhsa_exception_fp_ieee_overflow 0
		.amdhsa_exception_fp_ieee_underflow 0
		.amdhsa_exception_fp_ieee_inexact 0
		.amdhsa_exception_int_div_zero 0
	.end_amdhsa_kernel
	.section	.text._ZN7rocprim17ROCPRIM_400000_NS6detail17trampoline_kernelINS0_14default_configENS1_25transform_config_selectorIlLb0EEEZNS1_14transform_implILb0ES3_S5_NS0_18transform_iteratorINS0_17counting_iteratorImlEEZNS1_24adjacent_difference_implIS3_Lb1ELb0EPlSB_N6thrust23THRUST_200600_302600_NS5minusIlEEEE10hipError_tPvRmT2_T3_mT4_P12ihipStream_tbEUlmE_lEESB_NS0_8identityIvEEEESG_SJ_SK_mSL_SN_bEUlT_E_NS1_11comp_targetILNS1_3genE10ELNS1_11target_archE1200ELNS1_3gpuE4ELNS1_3repE0EEENS1_30default_config_static_selectorELNS0_4arch9wavefront6targetE1EEEvT1_,"axG",@progbits,_ZN7rocprim17ROCPRIM_400000_NS6detail17trampoline_kernelINS0_14default_configENS1_25transform_config_selectorIlLb0EEEZNS1_14transform_implILb0ES3_S5_NS0_18transform_iteratorINS0_17counting_iteratorImlEEZNS1_24adjacent_difference_implIS3_Lb1ELb0EPlSB_N6thrust23THRUST_200600_302600_NS5minusIlEEEE10hipError_tPvRmT2_T3_mT4_P12ihipStream_tbEUlmE_lEESB_NS0_8identityIvEEEESG_SJ_SK_mSL_SN_bEUlT_E_NS1_11comp_targetILNS1_3genE10ELNS1_11target_archE1200ELNS1_3gpuE4ELNS1_3repE0EEENS1_30default_config_static_selectorELNS0_4arch9wavefront6targetE1EEEvT1_,comdat
.Lfunc_end250:
	.size	_ZN7rocprim17ROCPRIM_400000_NS6detail17trampoline_kernelINS0_14default_configENS1_25transform_config_selectorIlLb0EEEZNS1_14transform_implILb0ES3_S5_NS0_18transform_iteratorINS0_17counting_iteratorImlEEZNS1_24adjacent_difference_implIS3_Lb1ELb0EPlSB_N6thrust23THRUST_200600_302600_NS5minusIlEEEE10hipError_tPvRmT2_T3_mT4_P12ihipStream_tbEUlmE_lEESB_NS0_8identityIvEEEESG_SJ_SK_mSL_SN_bEUlT_E_NS1_11comp_targetILNS1_3genE10ELNS1_11target_archE1200ELNS1_3gpuE4ELNS1_3repE0EEENS1_30default_config_static_selectorELNS0_4arch9wavefront6targetE1EEEvT1_, .Lfunc_end250-_ZN7rocprim17ROCPRIM_400000_NS6detail17trampoline_kernelINS0_14default_configENS1_25transform_config_selectorIlLb0EEEZNS1_14transform_implILb0ES3_S5_NS0_18transform_iteratorINS0_17counting_iteratorImlEEZNS1_24adjacent_difference_implIS3_Lb1ELb0EPlSB_N6thrust23THRUST_200600_302600_NS5minusIlEEEE10hipError_tPvRmT2_T3_mT4_P12ihipStream_tbEUlmE_lEESB_NS0_8identityIvEEEESG_SJ_SK_mSL_SN_bEUlT_E_NS1_11comp_targetILNS1_3genE10ELNS1_11target_archE1200ELNS1_3gpuE4ELNS1_3repE0EEENS1_30default_config_static_selectorELNS0_4arch9wavefront6targetE1EEEvT1_
                                        ; -- End function
	.section	.AMDGPU.csdata,"",@progbits
; Kernel info:
; codeLenInByte = 0
; NumSgprs: 4
; NumVgprs: 0
; NumAgprs: 0
; TotalNumVgprs: 0
; ScratchSize: 0
; MemoryBound: 0
; FloatMode: 240
; IeeeMode: 1
; LDSByteSize: 0 bytes/workgroup (compile time only)
; SGPRBlocks: 0
; VGPRBlocks: 0
; NumSGPRsForWavesPerEU: 4
; NumVGPRsForWavesPerEU: 1
; AccumOffset: 4
; Occupancy: 8
; WaveLimiterHint : 0
; COMPUTE_PGM_RSRC2:SCRATCH_EN: 0
; COMPUTE_PGM_RSRC2:USER_SGPR: 6
; COMPUTE_PGM_RSRC2:TRAP_HANDLER: 0
; COMPUTE_PGM_RSRC2:TGID_X_EN: 1
; COMPUTE_PGM_RSRC2:TGID_Y_EN: 0
; COMPUTE_PGM_RSRC2:TGID_Z_EN: 0
; COMPUTE_PGM_RSRC2:TIDIG_COMP_CNT: 0
; COMPUTE_PGM_RSRC3_GFX90A:ACCUM_OFFSET: 0
; COMPUTE_PGM_RSRC3_GFX90A:TG_SPLIT: 0
	.section	.text._ZN7rocprim17ROCPRIM_400000_NS6detail17trampoline_kernelINS0_14default_configENS1_25transform_config_selectorIlLb0EEEZNS1_14transform_implILb0ES3_S5_NS0_18transform_iteratorINS0_17counting_iteratorImlEEZNS1_24adjacent_difference_implIS3_Lb1ELb0EPlSB_N6thrust23THRUST_200600_302600_NS5minusIlEEEE10hipError_tPvRmT2_T3_mT4_P12ihipStream_tbEUlmE_lEESB_NS0_8identityIvEEEESG_SJ_SK_mSL_SN_bEUlT_E_NS1_11comp_targetILNS1_3genE9ELNS1_11target_archE1100ELNS1_3gpuE3ELNS1_3repE0EEENS1_30default_config_static_selectorELNS0_4arch9wavefront6targetE1EEEvT1_,"axG",@progbits,_ZN7rocprim17ROCPRIM_400000_NS6detail17trampoline_kernelINS0_14default_configENS1_25transform_config_selectorIlLb0EEEZNS1_14transform_implILb0ES3_S5_NS0_18transform_iteratorINS0_17counting_iteratorImlEEZNS1_24adjacent_difference_implIS3_Lb1ELb0EPlSB_N6thrust23THRUST_200600_302600_NS5minusIlEEEE10hipError_tPvRmT2_T3_mT4_P12ihipStream_tbEUlmE_lEESB_NS0_8identityIvEEEESG_SJ_SK_mSL_SN_bEUlT_E_NS1_11comp_targetILNS1_3genE9ELNS1_11target_archE1100ELNS1_3gpuE3ELNS1_3repE0EEENS1_30default_config_static_selectorELNS0_4arch9wavefront6targetE1EEEvT1_,comdat
	.protected	_ZN7rocprim17ROCPRIM_400000_NS6detail17trampoline_kernelINS0_14default_configENS1_25transform_config_selectorIlLb0EEEZNS1_14transform_implILb0ES3_S5_NS0_18transform_iteratorINS0_17counting_iteratorImlEEZNS1_24adjacent_difference_implIS3_Lb1ELb0EPlSB_N6thrust23THRUST_200600_302600_NS5minusIlEEEE10hipError_tPvRmT2_T3_mT4_P12ihipStream_tbEUlmE_lEESB_NS0_8identityIvEEEESG_SJ_SK_mSL_SN_bEUlT_E_NS1_11comp_targetILNS1_3genE9ELNS1_11target_archE1100ELNS1_3gpuE3ELNS1_3repE0EEENS1_30default_config_static_selectorELNS0_4arch9wavefront6targetE1EEEvT1_ ; -- Begin function _ZN7rocprim17ROCPRIM_400000_NS6detail17trampoline_kernelINS0_14default_configENS1_25transform_config_selectorIlLb0EEEZNS1_14transform_implILb0ES3_S5_NS0_18transform_iteratorINS0_17counting_iteratorImlEEZNS1_24adjacent_difference_implIS3_Lb1ELb0EPlSB_N6thrust23THRUST_200600_302600_NS5minusIlEEEE10hipError_tPvRmT2_T3_mT4_P12ihipStream_tbEUlmE_lEESB_NS0_8identityIvEEEESG_SJ_SK_mSL_SN_bEUlT_E_NS1_11comp_targetILNS1_3genE9ELNS1_11target_archE1100ELNS1_3gpuE3ELNS1_3repE0EEENS1_30default_config_static_selectorELNS0_4arch9wavefront6targetE1EEEvT1_
	.globl	_ZN7rocprim17ROCPRIM_400000_NS6detail17trampoline_kernelINS0_14default_configENS1_25transform_config_selectorIlLb0EEEZNS1_14transform_implILb0ES3_S5_NS0_18transform_iteratorINS0_17counting_iteratorImlEEZNS1_24adjacent_difference_implIS3_Lb1ELb0EPlSB_N6thrust23THRUST_200600_302600_NS5minusIlEEEE10hipError_tPvRmT2_T3_mT4_P12ihipStream_tbEUlmE_lEESB_NS0_8identityIvEEEESG_SJ_SK_mSL_SN_bEUlT_E_NS1_11comp_targetILNS1_3genE9ELNS1_11target_archE1100ELNS1_3gpuE3ELNS1_3repE0EEENS1_30default_config_static_selectorELNS0_4arch9wavefront6targetE1EEEvT1_
	.p2align	8
	.type	_ZN7rocprim17ROCPRIM_400000_NS6detail17trampoline_kernelINS0_14default_configENS1_25transform_config_selectorIlLb0EEEZNS1_14transform_implILb0ES3_S5_NS0_18transform_iteratorINS0_17counting_iteratorImlEEZNS1_24adjacent_difference_implIS3_Lb1ELb0EPlSB_N6thrust23THRUST_200600_302600_NS5minusIlEEEE10hipError_tPvRmT2_T3_mT4_P12ihipStream_tbEUlmE_lEESB_NS0_8identityIvEEEESG_SJ_SK_mSL_SN_bEUlT_E_NS1_11comp_targetILNS1_3genE9ELNS1_11target_archE1100ELNS1_3gpuE3ELNS1_3repE0EEENS1_30default_config_static_selectorELNS0_4arch9wavefront6targetE1EEEvT1_,@function
_ZN7rocprim17ROCPRIM_400000_NS6detail17trampoline_kernelINS0_14default_configENS1_25transform_config_selectorIlLb0EEEZNS1_14transform_implILb0ES3_S5_NS0_18transform_iteratorINS0_17counting_iteratorImlEEZNS1_24adjacent_difference_implIS3_Lb1ELb0EPlSB_N6thrust23THRUST_200600_302600_NS5minusIlEEEE10hipError_tPvRmT2_T3_mT4_P12ihipStream_tbEUlmE_lEESB_NS0_8identityIvEEEESG_SJ_SK_mSL_SN_bEUlT_E_NS1_11comp_targetILNS1_3genE9ELNS1_11target_archE1100ELNS1_3gpuE3ELNS1_3repE0EEENS1_30default_config_static_selectorELNS0_4arch9wavefront6targetE1EEEvT1_: ; @_ZN7rocprim17ROCPRIM_400000_NS6detail17trampoline_kernelINS0_14default_configENS1_25transform_config_selectorIlLb0EEEZNS1_14transform_implILb0ES3_S5_NS0_18transform_iteratorINS0_17counting_iteratorImlEEZNS1_24adjacent_difference_implIS3_Lb1ELb0EPlSB_N6thrust23THRUST_200600_302600_NS5minusIlEEEE10hipError_tPvRmT2_T3_mT4_P12ihipStream_tbEUlmE_lEESB_NS0_8identityIvEEEESG_SJ_SK_mSL_SN_bEUlT_E_NS1_11comp_targetILNS1_3genE9ELNS1_11target_archE1100ELNS1_3gpuE3ELNS1_3repE0EEENS1_30default_config_static_selectorELNS0_4arch9wavefront6targetE1EEEvT1_
; %bb.0:
	.section	.rodata,"a",@progbits
	.p2align	6, 0x0
	.amdhsa_kernel _ZN7rocprim17ROCPRIM_400000_NS6detail17trampoline_kernelINS0_14default_configENS1_25transform_config_selectorIlLb0EEEZNS1_14transform_implILb0ES3_S5_NS0_18transform_iteratorINS0_17counting_iteratorImlEEZNS1_24adjacent_difference_implIS3_Lb1ELb0EPlSB_N6thrust23THRUST_200600_302600_NS5minusIlEEEE10hipError_tPvRmT2_T3_mT4_P12ihipStream_tbEUlmE_lEESB_NS0_8identityIvEEEESG_SJ_SK_mSL_SN_bEUlT_E_NS1_11comp_targetILNS1_3genE9ELNS1_11target_archE1100ELNS1_3gpuE3ELNS1_3repE0EEENS1_30default_config_static_selectorELNS0_4arch9wavefront6targetE1EEEvT1_
		.amdhsa_group_segment_fixed_size 0
		.amdhsa_private_segment_fixed_size 0
		.amdhsa_kernarg_size 56
		.amdhsa_user_sgpr_count 6
		.amdhsa_user_sgpr_private_segment_buffer 1
		.amdhsa_user_sgpr_dispatch_ptr 0
		.amdhsa_user_sgpr_queue_ptr 0
		.amdhsa_user_sgpr_kernarg_segment_ptr 1
		.amdhsa_user_sgpr_dispatch_id 0
		.amdhsa_user_sgpr_flat_scratch_init 0
		.amdhsa_user_sgpr_kernarg_preload_length 0
		.amdhsa_user_sgpr_kernarg_preload_offset 0
		.amdhsa_user_sgpr_private_segment_size 0
		.amdhsa_uses_dynamic_stack 0
		.amdhsa_system_sgpr_private_segment_wavefront_offset 0
		.amdhsa_system_sgpr_workgroup_id_x 1
		.amdhsa_system_sgpr_workgroup_id_y 0
		.amdhsa_system_sgpr_workgroup_id_z 0
		.amdhsa_system_sgpr_workgroup_info 0
		.amdhsa_system_vgpr_workitem_id 0
		.amdhsa_next_free_vgpr 1
		.amdhsa_next_free_sgpr 0
		.amdhsa_accum_offset 4
		.amdhsa_reserve_vcc 0
		.amdhsa_reserve_flat_scratch 0
		.amdhsa_float_round_mode_32 0
		.amdhsa_float_round_mode_16_64 0
		.amdhsa_float_denorm_mode_32 3
		.amdhsa_float_denorm_mode_16_64 3
		.amdhsa_dx10_clamp 1
		.amdhsa_ieee_mode 1
		.amdhsa_fp16_overflow 0
		.amdhsa_tg_split 0
		.amdhsa_exception_fp_ieee_invalid_op 0
		.amdhsa_exception_fp_denorm_src 0
		.amdhsa_exception_fp_ieee_div_zero 0
		.amdhsa_exception_fp_ieee_overflow 0
		.amdhsa_exception_fp_ieee_underflow 0
		.amdhsa_exception_fp_ieee_inexact 0
		.amdhsa_exception_int_div_zero 0
	.end_amdhsa_kernel
	.section	.text._ZN7rocprim17ROCPRIM_400000_NS6detail17trampoline_kernelINS0_14default_configENS1_25transform_config_selectorIlLb0EEEZNS1_14transform_implILb0ES3_S5_NS0_18transform_iteratorINS0_17counting_iteratorImlEEZNS1_24adjacent_difference_implIS3_Lb1ELb0EPlSB_N6thrust23THRUST_200600_302600_NS5minusIlEEEE10hipError_tPvRmT2_T3_mT4_P12ihipStream_tbEUlmE_lEESB_NS0_8identityIvEEEESG_SJ_SK_mSL_SN_bEUlT_E_NS1_11comp_targetILNS1_3genE9ELNS1_11target_archE1100ELNS1_3gpuE3ELNS1_3repE0EEENS1_30default_config_static_selectorELNS0_4arch9wavefront6targetE1EEEvT1_,"axG",@progbits,_ZN7rocprim17ROCPRIM_400000_NS6detail17trampoline_kernelINS0_14default_configENS1_25transform_config_selectorIlLb0EEEZNS1_14transform_implILb0ES3_S5_NS0_18transform_iteratorINS0_17counting_iteratorImlEEZNS1_24adjacent_difference_implIS3_Lb1ELb0EPlSB_N6thrust23THRUST_200600_302600_NS5minusIlEEEE10hipError_tPvRmT2_T3_mT4_P12ihipStream_tbEUlmE_lEESB_NS0_8identityIvEEEESG_SJ_SK_mSL_SN_bEUlT_E_NS1_11comp_targetILNS1_3genE9ELNS1_11target_archE1100ELNS1_3gpuE3ELNS1_3repE0EEENS1_30default_config_static_selectorELNS0_4arch9wavefront6targetE1EEEvT1_,comdat
.Lfunc_end251:
	.size	_ZN7rocprim17ROCPRIM_400000_NS6detail17trampoline_kernelINS0_14default_configENS1_25transform_config_selectorIlLb0EEEZNS1_14transform_implILb0ES3_S5_NS0_18transform_iteratorINS0_17counting_iteratorImlEEZNS1_24adjacent_difference_implIS3_Lb1ELb0EPlSB_N6thrust23THRUST_200600_302600_NS5minusIlEEEE10hipError_tPvRmT2_T3_mT4_P12ihipStream_tbEUlmE_lEESB_NS0_8identityIvEEEESG_SJ_SK_mSL_SN_bEUlT_E_NS1_11comp_targetILNS1_3genE9ELNS1_11target_archE1100ELNS1_3gpuE3ELNS1_3repE0EEENS1_30default_config_static_selectorELNS0_4arch9wavefront6targetE1EEEvT1_, .Lfunc_end251-_ZN7rocprim17ROCPRIM_400000_NS6detail17trampoline_kernelINS0_14default_configENS1_25transform_config_selectorIlLb0EEEZNS1_14transform_implILb0ES3_S5_NS0_18transform_iteratorINS0_17counting_iteratorImlEEZNS1_24adjacent_difference_implIS3_Lb1ELb0EPlSB_N6thrust23THRUST_200600_302600_NS5minusIlEEEE10hipError_tPvRmT2_T3_mT4_P12ihipStream_tbEUlmE_lEESB_NS0_8identityIvEEEESG_SJ_SK_mSL_SN_bEUlT_E_NS1_11comp_targetILNS1_3genE9ELNS1_11target_archE1100ELNS1_3gpuE3ELNS1_3repE0EEENS1_30default_config_static_selectorELNS0_4arch9wavefront6targetE1EEEvT1_
                                        ; -- End function
	.section	.AMDGPU.csdata,"",@progbits
; Kernel info:
; codeLenInByte = 0
; NumSgprs: 4
; NumVgprs: 0
; NumAgprs: 0
; TotalNumVgprs: 0
; ScratchSize: 0
; MemoryBound: 0
; FloatMode: 240
; IeeeMode: 1
; LDSByteSize: 0 bytes/workgroup (compile time only)
; SGPRBlocks: 0
; VGPRBlocks: 0
; NumSGPRsForWavesPerEU: 4
; NumVGPRsForWavesPerEU: 1
; AccumOffset: 4
; Occupancy: 8
; WaveLimiterHint : 0
; COMPUTE_PGM_RSRC2:SCRATCH_EN: 0
; COMPUTE_PGM_RSRC2:USER_SGPR: 6
; COMPUTE_PGM_RSRC2:TRAP_HANDLER: 0
; COMPUTE_PGM_RSRC2:TGID_X_EN: 1
; COMPUTE_PGM_RSRC2:TGID_Y_EN: 0
; COMPUTE_PGM_RSRC2:TGID_Z_EN: 0
; COMPUTE_PGM_RSRC2:TIDIG_COMP_CNT: 0
; COMPUTE_PGM_RSRC3_GFX90A:ACCUM_OFFSET: 0
; COMPUTE_PGM_RSRC3_GFX90A:TG_SPLIT: 0
	.section	.text._ZN7rocprim17ROCPRIM_400000_NS6detail17trampoline_kernelINS0_14default_configENS1_25transform_config_selectorIlLb0EEEZNS1_14transform_implILb0ES3_S5_NS0_18transform_iteratorINS0_17counting_iteratorImlEEZNS1_24adjacent_difference_implIS3_Lb1ELb0EPlSB_N6thrust23THRUST_200600_302600_NS5minusIlEEEE10hipError_tPvRmT2_T3_mT4_P12ihipStream_tbEUlmE_lEESB_NS0_8identityIvEEEESG_SJ_SK_mSL_SN_bEUlT_E_NS1_11comp_targetILNS1_3genE8ELNS1_11target_archE1030ELNS1_3gpuE2ELNS1_3repE0EEENS1_30default_config_static_selectorELNS0_4arch9wavefront6targetE1EEEvT1_,"axG",@progbits,_ZN7rocprim17ROCPRIM_400000_NS6detail17trampoline_kernelINS0_14default_configENS1_25transform_config_selectorIlLb0EEEZNS1_14transform_implILb0ES3_S5_NS0_18transform_iteratorINS0_17counting_iteratorImlEEZNS1_24adjacent_difference_implIS3_Lb1ELb0EPlSB_N6thrust23THRUST_200600_302600_NS5minusIlEEEE10hipError_tPvRmT2_T3_mT4_P12ihipStream_tbEUlmE_lEESB_NS0_8identityIvEEEESG_SJ_SK_mSL_SN_bEUlT_E_NS1_11comp_targetILNS1_3genE8ELNS1_11target_archE1030ELNS1_3gpuE2ELNS1_3repE0EEENS1_30default_config_static_selectorELNS0_4arch9wavefront6targetE1EEEvT1_,comdat
	.protected	_ZN7rocprim17ROCPRIM_400000_NS6detail17trampoline_kernelINS0_14default_configENS1_25transform_config_selectorIlLb0EEEZNS1_14transform_implILb0ES3_S5_NS0_18transform_iteratorINS0_17counting_iteratorImlEEZNS1_24adjacent_difference_implIS3_Lb1ELb0EPlSB_N6thrust23THRUST_200600_302600_NS5minusIlEEEE10hipError_tPvRmT2_T3_mT4_P12ihipStream_tbEUlmE_lEESB_NS0_8identityIvEEEESG_SJ_SK_mSL_SN_bEUlT_E_NS1_11comp_targetILNS1_3genE8ELNS1_11target_archE1030ELNS1_3gpuE2ELNS1_3repE0EEENS1_30default_config_static_selectorELNS0_4arch9wavefront6targetE1EEEvT1_ ; -- Begin function _ZN7rocprim17ROCPRIM_400000_NS6detail17trampoline_kernelINS0_14default_configENS1_25transform_config_selectorIlLb0EEEZNS1_14transform_implILb0ES3_S5_NS0_18transform_iteratorINS0_17counting_iteratorImlEEZNS1_24adjacent_difference_implIS3_Lb1ELb0EPlSB_N6thrust23THRUST_200600_302600_NS5minusIlEEEE10hipError_tPvRmT2_T3_mT4_P12ihipStream_tbEUlmE_lEESB_NS0_8identityIvEEEESG_SJ_SK_mSL_SN_bEUlT_E_NS1_11comp_targetILNS1_3genE8ELNS1_11target_archE1030ELNS1_3gpuE2ELNS1_3repE0EEENS1_30default_config_static_selectorELNS0_4arch9wavefront6targetE1EEEvT1_
	.globl	_ZN7rocprim17ROCPRIM_400000_NS6detail17trampoline_kernelINS0_14default_configENS1_25transform_config_selectorIlLb0EEEZNS1_14transform_implILb0ES3_S5_NS0_18transform_iteratorINS0_17counting_iteratorImlEEZNS1_24adjacent_difference_implIS3_Lb1ELb0EPlSB_N6thrust23THRUST_200600_302600_NS5minusIlEEEE10hipError_tPvRmT2_T3_mT4_P12ihipStream_tbEUlmE_lEESB_NS0_8identityIvEEEESG_SJ_SK_mSL_SN_bEUlT_E_NS1_11comp_targetILNS1_3genE8ELNS1_11target_archE1030ELNS1_3gpuE2ELNS1_3repE0EEENS1_30default_config_static_selectorELNS0_4arch9wavefront6targetE1EEEvT1_
	.p2align	8
	.type	_ZN7rocprim17ROCPRIM_400000_NS6detail17trampoline_kernelINS0_14default_configENS1_25transform_config_selectorIlLb0EEEZNS1_14transform_implILb0ES3_S5_NS0_18transform_iteratorINS0_17counting_iteratorImlEEZNS1_24adjacent_difference_implIS3_Lb1ELb0EPlSB_N6thrust23THRUST_200600_302600_NS5minusIlEEEE10hipError_tPvRmT2_T3_mT4_P12ihipStream_tbEUlmE_lEESB_NS0_8identityIvEEEESG_SJ_SK_mSL_SN_bEUlT_E_NS1_11comp_targetILNS1_3genE8ELNS1_11target_archE1030ELNS1_3gpuE2ELNS1_3repE0EEENS1_30default_config_static_selectorELNS0_4arch9wavefront6targetE1EEEvT1_,@function
_ZN7rocprim17ROCPRIM_400000_NS6detail17trampoline_kernelINS0_14default_configENS1_25transform_config_selectorIlLb0EEEZNS1_14transform_implILb0ES3_S5_NS0_18transform_iteratorINS0_17counting_iteratorImlEEZNS1_24adjacent_difference_implIS3_Lb1ELb0EPlSB_N6thrust23THRUST_200600_302600_NS5minusIlEEEE10hipError_tPvRmT2_T3_mT4_P12ihipStream_tbEUlmE_lEESB_NS0_8identityIvEEEESG_SJ_SK_mSL_SN_bEUlT_E_NS1_11comp_targetILNS1_3genE8ELNS1_11target_archE1030ELNS1_3gpuE2ELNS1_3repE0EEENS1_30default_config_static_selectorELNS0_4arch9wavefront6targetE1EEEvT1_: ; @_ZN7rocprim17ROCPRIM_400000_NS6detail17trampoline_kernelINS0_14default_configENS1_25transform_config_selectorIlLb0EEEZNS1_14transform_implILb0ES3_S5_NS0_18transform_iteratorINS0_17counting_iteratorImlEEZNS1_24adjacent_difference_implIS3_Lb1ELb0EPlSB_N6thrust23THRUST_200600_302600_NS5minusIlEEEE10hipError_tPvRmT2_T3_mT4_P12ihipStream_tbEUlmE_lEESB_NS0_8identityIvEEEESG_SJ_SK_mSL_SN_bEUlT_E_NS1_11comp_targetILNS1_3genE8ELNS1_11target_archE1030ELNS1_3gpuE2ELNS1_3repE0EEENS1_30default_config_static_selectorELNS0_4arch9wavefront6targetE1EEEvT1_
; %bb.0:
	.section	.rodata,"a",@progbits
	.p2align	6, 0x0
	.amdhsa_kernel _ZN7rocprim17ROCPRIM_400000_NS6detail17trampoline_kernelINS0_14default_configENS1_25transform_config_selectorIlLb0EEEZNS1_14transform_implILb0ES3_S5_NS0_18transform_iteratorINS0_17counting_iteratorImlEEZNS1_24adjacent_difference_implIS3_Lb1ELb0EPlSB_N6thrust23THRUST_200600_302600_NS5minusIlEEEE10hipError_tPvRmT2_T3_mT4_P12ihipStream_tbEUlmE_lEESB_NS0_8identityIvEEEESG_SJ_SK_mSL_SN_bEUlT_E_NS1_11comp_targetILNS1_3genE8ELNS1_11target_archE1030ELNS1_3gpuE2ELNS1_3repE0EEENS1_30default_config_static_selectorELNS0_4arch9wavefront6targetE1EEEvT1_
		.amdhsa_group_segment_fixed_size 0
		.amdhsa_private_segment_fixed_size 0
		.amdhsa_kernarg_size 56
		.amdhsa_user_sgpr_count 6
		.amdhsa_user_sgpr_private_segment_buffer 1
		.amdhsa_user_sgpr_dispatch_ptr 0
		.amdhsa_user_sgpr_queue_ptr 0
		.amdhsa_user_sgpr_kernarg_segment_ptr 1
		.amdhsa_user_sgpr_dispatch_id 0
		.amdhsa_user_sgpr_flat_scratch_init 0
		.amdhsa_user_sgpr_kernarg_preload_length 0
		.amdhsa_user_sgpr_kernarg_preload_offset 0
		.amdhsa_user_sgpr_private_segment_size 0
		.amdhsa_uses_dynamic_stack 0
		.amdhsa_system_sgpr_private_segment_wavefront_offset 0
		.amdhsa_system_sgpr_workgroup_id_x 1
		.amdhsa_system_sgpr_workgroup_id_y 0
		.amdhsa_system_sgpr_workgroup_id_z 0
		.amdhsa_system_sgpr_workgroup_info 0
		.amdhsa_system_vgpr_workitem_id 0
		.amdhsa_next_free_vgpr 1
		.amdhsa_next_free_sgpr 0
		.amdhsa_accum_offset 4
		.amdhsa_reserve_vcc 0
		.amdhsa_reserve_flat_scratch 0
		.amdhsa_float_round_mode_32 0
		.amdhsa_float_round_mode_16_64 0
		.amdhsa_float_denorm_mode_32 3
		.amdhsa_float_denorm_mode_16_64 3
		.amdhsa_dx10_clamp 1
		.amdhsa_ieee_mode 1
		.amdhsa_fp16_overflow 0
		.amdhsa_tg_split 0
		.amdhsa_exception_fp_ieee_invalid_op 0
		.amdhsa_exception_fp_denorm_src 0
		.amdhsa_exception_fp_ieee_div_zero 0
		.amdhsa_exception_fp_ieee_overflow 0
		.amdhsa_exception_fp_ieee_underflow 0
		.amdhsa_exception_fp_ieee_inexact 0
		.amdhsa_exception_int_div_zero 0
	.end_amdhsa_kernel
	.section	.text._ZN7rocprim17ROCPRIM_400000_NS6detail17trampoline_kernelINS0_14default_configENS1_25transform_config_selectorIlLb0EEEZNS1_14transform_implILb0ES3_S5_NS0_18transform_iteratorINS0_17counting_iteratorImlEEZNS1_24adjacent_difference_implIS3_Lb1ELb0EPlSB_N6thrust23THRUST_200600_302600_NS5minusIlEEEE10hipError_tPvRmT2_T3_mT4_P12ihipStream_tbEUlmE_lEESB_NS0_8identityIvEEEESG_SJ_SK_mSL_SN_bEUlT_E_NS1_11comp_targetILNS1_3genE8ELNS1_11target_archE1030ELNS1_3gpuE2ELNS1_3repE0EEENS1_30default_config_static_selectorELNS0_4arch9wavefront6targetE1EEEvT1_,"axG",@progbits,_ZN7rocprim17ROCPRIM_400000_NS6detail17trampoline_kernelINS0_14default_configENS1_25transform_config_selectorIlLb0EEEZNS1_14transform_implILb0ES3_S5_NS0_18transform_iteratorINS0_17counting_iteratorImlEEZNS1_24adjacent_difference_implIS3_Lb1ELb0EPlSB_N6thrust23THRUST_200600_302600_NS5minusIlEEEE10hipError_tPvRmT2_T3_mT4_P12ihipStream_tbEUlmE_lEESB_NS0_8identityIvEEEESG_SJ_SK_mSL_SN_bEUlT_E_NS1_11comp_targetILNS1_3genE8ELNS1_11target_archE1030ELNS1_3gpuE2ELNS1_3repE0EEENS1_30default_config_static_selectorELNS0_4arch9wavefront6targetE1EEEvT1_,comdat
.Lfunc_end252:
	.size	_ZN7rocprim17ROCPRIM_400000_NS6detail17trampoline_kernelINS0_14default_configENS1_25transform_config_selectorIlLb0EEEZNS1_14transform_implILb0ES3_S5_NS0_18transform_iteratorINS0_17counting_iteratorImlEEZNS1_24adjacent_difference_implIS3_Lb1ELb0EPlSB_N6thrust23THRUST_200600_302600_NS5minusIlEEEE10hipError_tPvRmT2_T3_mT4_P12ihipStream_tbEUlmE_lEESB_NS0_8identityIvEEEESG_SJ_SK_mSL_SN_bEUlT_E_NS1_11comp_targetILNS1_3genE8ELNS1_11target_archE1030ELNS1_3gpuE2ELNS1_3repE0EEENS1_30default_config_static_selectorELNS0_4arch9wavefront6targetE1EEEvT1_, .Lfunc_end252-_ZN7rocprim17ROCPRIM_400000_NS6detail17trampoline_kernelINS0_14default_configENS1_25transform_config_selectorIlLb0EEEZNS1_14transform_implILb0ES3_S5_NS0_18transform_iteratorINS0_17counting_iteratorImlEEZNS1_24adjacent_difference_implIS3_Lb1ELb0EPlSB_N6thrust23THRUST_200600_302600_NS5minusIlEEEE10hipError_tPvRmT2_T3_mT4_P12ihipStream_tbEUlmE_lEESB_NS0_8identityIvEEEESG_SJ_SK_mSL_SN_bEUlT_E_NS1_11comp_targetILNS1_3genE8ELNS1_11target_archE1030ELNS1_3gpuE2ELNS1_3repE0EEENS1_30default_config_static_selectorELNS0_4arch9wavefront6targetE1EEEvT1_
                                        ; -- End function
	.section	.AMDGPU.csdata,"",@progbits
; Kernel info:
; codeLenInByte = 0
; NumSgprs: 4
; NumVgprs: 0
; NumAgprs: 0
; TotalNumVgprs: 0
; ScratchSize: 0
; MemoryBound: 0
; FloatMode: 240
; IeeeMode: 1
; LDSByteSize: 0 bytes/workgroup (compile time only)
; SGPRBlocks: 0
; VGPRBlocks: 0
; NumSGPRsForWavesPerEU: 4
; NumVGPRsForWavesPerEU: 1
; AccumOffset: 4
; Occupancy: 8
; WaveLimiterHint : 0
; COMPUTE_PGM_RSRC2:SCRATCH_EN: 0
; COMPUTE_PGM_RSRC2:USER_SGPR: 6
; COMPUTE_PGM_RSRC2:TRAP_HANDLER: 0
; COMPUTE_PGM_RSRC2:TGID_X_EN: 1
; COMPUTE_PGM_RSRC2:TGID_Y_EN: 0
; COMPUTE_PGM_RSRC2:TGID_Z_EN: 0
; COMPUTE_PGM_RSRC2:TIDIG_COMP_CNT: 0
; COMPUTE_PGM_RSRC3_GFX90A:ACCUM_OFFSET: 0
; COMPUTE_PGM_RSRC3_GFX90A:TG_SPLIT: 0
	.section	.text._ZN7rocprim17ROCPRIM_400000_NS6detail17trampoline_kernelINS0_14default_configENS1_35adjacent_difference_config_selectorILb1ElEEZNS1_24adjacent_difference_implIS3_Lb1ELb0EPlS7_N6thrust23THRUST_200600_302600_NS5minusIlEEEE10hipError_tPvRmT2_T3_mT4_P12ihipStream_tbEUlT_E_NS1_11comp_targetILNS1_3genE0ELNS1_11target_archE4294967295ELNS1_3gpuE0ELNS1_3repE0EEENS1_30default_config_static_selectorELNS0_4arch9wavefront6targetE1EEEvT1_,"axG",@progbits,_ZN7rocprim17ROCPRIM_400000_NS6detail17trampoline_kernelINS0_14default_configENS1_35adjacent_difference_config_selectorILb1ElEEZNS1_24adjacent_difference_implIS3_Lb1ELb0EPlS7_N6thrust23THRUST_200600_302600_NS5minusIlEEEE10hipError_tPvRmT2_T3_mT4_P12ihipStream_tbEUlT_E_NS1_11comp_targetILNS1_3genE0ELNS1_11target_archE4294967295ELNS1_3gpuE0ELNS1_3repE0EEENS1_30default_config_static_selectorELNS0_4arch9wavefront6targetE1EEEvT1_,comdat
	.protected	_ZN7rocprim17ROCPRIM_400000_NS6detail17trampoline_kernelINS0_14default_configENS1_35adjacent_difference_config_selectorILb1ElEEZNS1_24adjacent_difference_implIS3_Lb1ELb0EPlS7_N6thrust23THRUST_200600_302600_NS5minusIlEEEE10hipError_tPvRmT2_T3_mT4_P12ihipStream_tbEUlT_E_NS1_11comp_targetILNS1_3genE0ELNS1_11target_archE4294967295ELNS1_3gpuE0ELNS1_3repE0EEENS1_30default_config_static_selectorELNS0_4arch9wavefront6targetE1EEEvT1_ ; -- Begin function _ZN7rocprim17ROCPRIM_400000_NS6detail17trampoline_kernelINS0_14default_configENS1_35adjacent_difference_config_selectorILb1ElEEZNS1_24adjacent_difference_implIS3_Lb1ELb0EPlS7_N6thrust23THRUST_200600_302600_NS5minusIlEEEE10hipError_tPvRmT2_T3_mT4_P12ihipStream_tbEUlT_E_NS1_11comp_targetILNS1_3genE0ELNS1_11target_archE4294967295ELNS1_3gpuE0ELNS1_3repE0EEENS1_30default_config_static_selectorELNS0_4arch9wavefront6targetE1EEEvT1_
	.globl	_ZN7rocprim17ROCPRIM_400000_NS6detail17trampoline_kernelINS0_14default_configENS1_35adjacent_difference_config_selectorILb1ElEEZNS1_24adjacent_difference_implIS3_Lb1ELb0EPlS7_N6thrust23THRUST_200600_302600_NS5minusIlEEEE10hipError_tPvRmT2_T3_mT4_P12ihipStream_tbEUlT_E_NS1_11comp_targetILNS1_3genE0ELNS1_11target_archE4294967295ELNS1_3gpuE0ELNS1_3repE0EEENS1_30default_config_static_selectorELNS0_4arch9wavefront6targetE1EEEvT1_
	.p2align	8
	.type	_ZN7rocprim17ROCPRIM_400000_NS6detail17trampoline_kernelINS0_14default_configENS1_35adjacent_difference_config_selectorILb1ElEEZNS1_24adjacent_difference_implIS3_Lb1ELb0EPlS7_N6thrust23THRUST_200600_302600_NS5minusIlEEEE10hipError_tPvRmT2_T3_mT4_P12ihipStream_tbEUlT_E_NS1_11comp_targetILNS1_3genE0ELNS1_11target_archE4294967295ELNS1_3gpuE0ELNS1_3repE0EEENS1_30default_config_static_selectorELNS0_4arch9wavefront6targetE1EEEvT1_,@function
_ZN7rocprim17ROCPRIM_400000_NS6detail17trampoline_kernelINS0_14default_configENS1_35adjacent_difference_config_selectorILb1ElEEZNS1_24adjacent_difference_implIS3_Lb1ELb0EPlS7_N6thrust23THRUST_200600_302600_NS5minusIlEEEE10hipError_tPvRmT2_T3_mT4_P12ihipStream_tbEUlT_E_NS1_11comp_targetILNS1_3genE0ELNS1_11target_archE4294967295ELNS1_3gpuE0ELNS1_3repE0EEENS1_30default_config_static_selectorELNS0_4arch9wavefront6targetE1EEEvT1_: ; @_ZN7rocprim17ROCPRIM_400000_NS6detail17trampoline_kernelINS0_14default_configENS1_35adjacent_difference_config_selectorILb1ElEEZNS1_24adjacent_difference_implIS3_Lb1ELb0EPlS7_N6thrust23THRUST_200600_302600_NS5minusIlEEEE10hipError_tPvRmT2_T3_mT4_P12ihipStream_tbEUlT_E_NS1_11comp_targetILNS1_3genE0ELNS1_11target_archE4294967295ELNS1_3gpuE0ELNS1_3repE0EEENS1_30default_config_static_selectorELNS0_4arch9wavefront6targetE1EEEvT1_
; %bb.0:
	.section	.rodata,"a",@progbits
	.p2align	6, 0x0
	.amdhsa_kernel _ZN7rocprim17ROCPRIM_400000_NS6detail17trampoline_kernelINS0_14default_configENS1_35adjacent_difference_config_selectorILb1ElEEZNS1_24adjacent_difference_implIS3_Lb1ELb0EPlS7_N6thrust23THRUST_200600_302600_NS5minusIlEEEE10hipError_tPvRmT2_T3_mT4_P12ihipStream_tbEUlT_E_NS1_11comp_targetILNS1_3genE0ELNS1_11target_archE4294967295ELNS1_3gpuE0ELNS1_3repE0EEENS1_30default_config_static_selectorELNS0_4arch9wavefront6targetE1EEEvT1_
		.amdhsa_group_segment_fixed_size 0
		.amdhsa_private_segment_fixed_size 0
		.amdhsa_kernarg_size 56
		.amdhsa_user_sgpr_count 6
		.amdhsa_user_sgpr_private_segment_buffer 1
		.amdhsa_user_sgpr_dispatch_ptr 0
		.amdhsa_user_sgpr_queue_ptr 0
		.amdhsa_user_sgpr_kernarg_segment_ptr 1
		.amdhsa_user_sgpr_dispatch_id 0
		.amdhsa_user_sgpr_flat_scratch_init 0
		.amdhsa_user_sgpr_kernarg_preload_length 0
		.amdhsa_user_sgpr_kernarg_preload_offset 0
		.amdhsa_user_sgpr_private_segment_size 0
		.amdhsa_uses_dynamic_stack 0
		.amdhsa_system_sgpr_private_segment_wavefront_offset 0
		.amdhsa_system_sgpr_workgroup_id_x 1
		.amdhsa_system_sgpr_workgroup_id_y 0
		.amdhsa_system_sgpr_workgroup_id_z 0
		.amdhsa_system_sgpr_workgroup_info 0
		.amdhsa_system_vgpr_workitem_id 0
		.amdhsa_next_free_vgpr 1
		.amdhsa_next_free_sgpr 0
		.amdhsa_accum_offset 4
		.amdhsa_reserve_vcc 0
		.amdhsa_reserve_flat_scratch 0
		.amdhsa_float_round_mode_32 0
		.amdhsa_float_round_mode_16_64 0
		.amdhsa_float_denorm_mode_32 3
		.amdhsa_float_denorm_mode_16_64 3
		.amdhsa_dx10_clamp 1
		.amdhsa_ieee_mode 1
		.amdhsa_fp16_overflow 0
		.amdhsa_tg_split 0
		.amdhsa_exception_fp_ieee_invalid_op 0
		.amdhsa_exception_fp_denorm_src 0
		.amdhsa_exception_fp_ieee_div_zero 0
		.amdhsa_exception_fp_ieee_overflow 0
		.amdhsa_exception_fp_ieee_underflow 0
		.amdhsa_exception_fp_ieee_inexact 0
		.amdhsa_exception_int_div_zero 0
	.end_amdhsa_kernel
	.section	.text._ZN7rocprim17ROCPRIM_400000_NS6detail17trampoline_kernelINS0_14default_configENS1_35adjacent_difference_config_selectorILb1ElEEZNS1_24adjacent_difference_implIS3_Lb1ELb0EPlS7_N6thrust23THRUST_200600_302600_NS5minusIlEEEE10hipError_tPvRmT2_T3_mT4_P12ihipStream_tbEUlT_E_NS1_11comp_targetILNS1_3genE0ELNS1_11target_archE4294967295ELNS1_3gpuE0ELNS1_3repE0EEENS1_30default_config_static_selectorELNS0_4arch9wavefront6targetE1EEEvT1_,"axG",@progbits,_ZN7rocprim17ROCPRIM_400000_NS6detail17trampoline_kernelINS0_14default_configENS1_35adjacent_difference_config_selectorILb1ElEEZNS1_24adjacent_difference_implIS3_Lb1ELb0EPlS7_N6thrust23THRUST_200600_302600_NS5minusIlEEEE10hipError_tPvRmT2_T3_mT4_P12ihipStream_tbEUlT_E_NS1_11comp_targetILNS1_3genE0ELNS1_11target_archE4294967295ELNS1_3gpuE0ELNS1_3repE0EEENS1_30default_config_static_selectorELNS0_4arch9wavefront6targetE1EEEvT1_,comdat
.Lfunc_end253:
	.size	_ZN7rocprim17ROCPRIM_400000_NS6detail17trampoline_kernelINS0_14default_configENS1_35adjacent_difference_config_selectorILb1ElEEZNS1_24adjacent_difference_implIS3_Lb1ELb0EPlS7_N6thrust23THRUST_200600_302600_NS5minusIlEEEE10hipError_tPvRmT2_T3_mT4_P12ihipStream_tbEUlT_E_NS1_11comp_targetILNS1_3genE0ELNS1_11target_archE4294967295ELNS1_3gpuE0ELNS1_3repE0EEENS1_30default_config_static_selectorELNS0_4arch9wavefront6targetE1EEEvT1_, .Lfunc_end253-_ZN7rocprim17ROCPRIM_400000_NS6detail17trampoline_kernelINS0_14default_configENS1_35adjacent_difference_config_selectorILb1ElEEZNS1_24adjacent_difference_implIS3_Lb1ELb0EPlS7_N6thrust23THRUST_200600_302600_NS5minusIlEEEE10hipError_tPvRmT2_T3_mT4_P12ihipStream_tbEUlT_E_NS1_11comp_targetILNS1_3genE0ELNS1_11target_archE4294967295ELNS1_3gpuE0ELNS1_3repE0EEENS1_30default_config_static_selectorELNS0_4arch9wavefront6targetE1EEEvT1_
                                        ; -- End function
	.section	.AMDGPU.csdata,"",@progbits
; Kernel info:
; codeLenInByte = 0
; NumSgprs: 4
; NumVgprs: 0
; NumAgprs: 0
; TotalNumVgprs: 0
; ScratchSize: 0
; MemoryBound: 0
; FloatMode: 240
; IeeeMode: 1
; LDSByteSize: 0 bytes/workgroup (compile time only)
; SGPRBlocks: 0
; VGPRBlocks: 0
; NumSGPRsForWavesPerEU: 4
; NumVGPRsForWavesPerEU: 1
; AccumOffset: 4
; Occupancy: 8
; WaveLimiterHint : 0
; COMPUTE_PGM_RSRC2:SCRATCH_EN: 0
; COMPUTE_PGM_RSRC2:USER_SGPR: 6
; COMPUTE_PGM_RSRC2:TRAP_HANDLER: 0
; COMPUTE_PGM_RSRC2:TGID_X_EN: 1
; COMPUTE_PGM_RSRC2:TGID_Y_EN: 0
; COMPUTE_PGM_RSRC2:TGID_Z_EN: 0
; COMPUTE_PGM_RSRC2:TIDIG_COMP_CNT: 0
; COMPUTE_PGM_RSRC3_GFX90A:ACCUM_OFFSET: 0
; COMPUTE_PGM_RSRC3_GFX90A:TG_SPLIT: 0
	.section	.text._ZN7rocprim17ROCPRIM_400000_NS6detail17trampoline_kernelINS0_14default_configENS1_35adjacent_difference_config_selectorILb1ElEEZNS1_24adjacent_difference_implIS3_Lb1ELb0EPlS7_N6thrust23THRUST_200600_302600_NS5minusIlEEEE10hipError_tPvRmT2_T3_mT4_P12ihipStream_tbEUlT_E_NS1_11comp_targetILNS1_3genE10ELNS1_11target_archE1201ELNS1_3gpuE5ELNS1_3repE0EEENS1_30default_config_static_selectorELNS0_4arch9wavefront6targetE1EEEvT1_,"axG",@progbits,_ZN7rocprim17ROCPRIM_400000_NS6detail17trampoline_kernelINS0_14default_configENS1_35adjacent_difference_config_selectorILb1ElEEZNS1_24adjacent_difference_implIS3_Lb1ELb0EPlS7_N6thrust23THRUST_200600_302600_NS5minusIlEEEE10hipError_tPvRmT2_T3_mT4_P12ihipStream_tbEUlT_E_NS1_11comp_targetILNS1_3genE10ELNS1_11target_archE1201ELNS1_3gpuE5ELNS1_3repE0EEENS1_30default_config_static_selectorELNS0_4arch9wavefront6targetE1EEEvT1_,comdat
	.protected	_ZN7rocprim17ROCPRIM_400000_NS6detail17trampoline_kernelINS0_14default_configENS1_35adjacent_difference_config_selectorILb1ElEEZNS1_24adjacent_difference_implIS3_Lb1ELb0EPlS7_N6thrust23THRUST_200600_302600_NS5minusIlEEEE10hipError_tPvRmT2_T3_mT4_P12ihipStream_tbEUlT_E_NS1_11comp_targetILNS1_3genE10ELNS1_11target_archE1201ELNS1_3gpuE5ELNS1_3repE0EEENS1_30default_config_static_selectorELNS0_4arch9wavefront6targetE1EEEvT1_ ; -- Begin function _ZN7rocprim17ROCPRIM_400000_NS6detail17trampoline_kernelINS0_14default_configENS1_35adjacent_difference_config_selectorILb1ElEEZNS1_24adjacent_difference_implIS3_Lb1ELb0EPlS7_N6thrust23THRUST_200600_302600_NS5minusIlEEEE10hipError_tPvRmT2_T3_mT4_P12ihipStream_tbEUlT_E_NS1_11comp_targetILNS1_3genE10ELNS1_11target_archE1201ELNS1_3gpuE5ELNS1_3repE0EEENS1_30default_config_static_selectorELNS0_4arch9wavefront6targetE1EEEvT1_
	.globl	_ZN7rocprim17ROCPRIM_400000_NS6detail17trampoline_kernelINS0_14default_configENS1_35adjacent_difference_config_selectorILb1ElEEZNS1_24adjacent_difference_implIS3_Lb1ELb0EPlS7_N6thrust23THRUST_200600_302600_NS5minusIlEEEE10hipError_tPvRmT2_T3_mT4_P12ihipStream_tbEUlT_E_NS1_11comp_targetILNS1_3genE10ELNS1_11target_archE1201ELNS1_3gpuE5ELNS1_3repE0EEENS1_30default_config_static_selectorELNS0_4arch9wavefront6targetE1EEEvT1_
	.p2align	8
	.type	_ZN7rocprim17ROCPRIM_400000_NS6detail17trampoline_kernelINS0_14default_configENS1_35adjacent_difference_config_selectorILb1ElEEZNS1_24adjacent_difference_implIS3_Lb1ELb0EPlS7_N6thrust23THRUST_200600_302600_NS5minusIlEEEE10hipError_tPvRmT2_T3_mT4_P12ihipStream_tbEUlT_E_NS1_11comp_targetILNS1_3genE10ELNS1_11target_archE1201ELNS1_3gpuE5ELNS1_3repE0EEENS1_30default_config_static_selectorELNS0_4arch9wavefront6targetE1EEEvT1_,@function
_ZN7rocprim17ROCPRIM_400000_NS6detail17trampoline_kernelINS0_14default_configENS1_35adjacent_difference_config_selectorILb1ElEEZNS1_24adjacent_difference_implIS3_Lb1ELb0EPlS7_N6thrust23THRUST_200600_302600_NS5minusIlEEEE10hipError_tPvRmT2_T3_mT4_P12ihipStream_tbEUlT_E_NS1_11comp_targetILNS1_3genE10ELNS1_11target_archE1201ELNS1_3gpuE5ELNS1_3repE0EEENS1_30default_config_static_selectorELNS0_4arch9wavefront6targetE1EEEvT1_: ; @_ZN7rocprim17ROCPRIM_400000_NS6detail17trampoline_kernelINS0_14default_configENS1_35adjacent_difference_config_selectorILb1ElEEZNS1_24adjacent_difference_implIS3_Lb1ELb0EPlS7_N6thrust23THRUST_200600_302600_NS5minusIlEEEE10hipError_tPvRmT2_T3_mT4_P12ihipStream_tbEUlT_E_NS1_11comp_targetILNS1_3genE10ELNS1_11target_archE1201ELNS1_3gpuE5ELNS1_3repE0EEENS1_30default_config_static_selectorELNS0_4arch9wavefront6targetE1EEEvT1_
; %bb.0:
	.section	.rodata,"a",@progbits
	.p2align	6, 0x0
	.amdhsa_kernel _ZN7rocprim17ROCPRIM_400000_NS6detail17trampoline_kernelINS0_14default_configENS1_35adjacent_difference_config_selectorILb1ElEEZNS1_24adjacent_difference_implIS3_Lb1ELb0EPlS7_N6thrust23THRUST_200600_302600_NS5minusIlEEEE10hipError_tPvRmT2_T3_mT4_P12ihipStream_tbEUlT_E_NS1_11comp_targetILNS1_3genE10ELNS1_11target_archE1201ELNS1_3gpuE5ELNS1_3repE0EEENS1_30default_config_static_selectorELNS0_4arch9wavefront6targetE1EEEvT1_
		.amdhsa_group_segment_fixed_size 0
		.amdhsa_private_segment_fixed_size 0
		.amdhsa_kernarg_size 56
		.amdhsa_user_sgpr_count 6
		.amdhsa_user_sgpr_private_segment_buffer 1
		.amdhsa_user_sgpr_dispatch_ptr 0
		.amdhsa_user_sgpr_queue_ptr 0
		.amdhsa_user_sgpr_kernarg_segment_ptr 1
		.amdhsa_user_sgpr_dispatch_id 0
		.amdhsa_user_sgpr_flat_scratch_init 0
		.amdhsa_user_sgpr_kernarg_preload_length 0
		.amdhsa_user_sgpr_kernarg_preload_offset 0
		.amdhsa_user_sgpr_private_segment_size 0
		.amdhsa_uses_dynamic_stack 0
		.amdhsa_system_sgpr_private_segment_wavefront_offset 0
		.amdhsa_system_sgpr_workgroup_id_x 1
		.amdhsa_system_sgpr_workgroup_id_y 0
		.amdhsa_system_sgpr_workgroup_id_z 0
		.amdhsa_system_sgpr_workgroup_info 0
		.amdhsa_system_vgpr_workitem_id 0
		.amdhsa_next_free_vgpr 1
		.amdhsa_next_free_sgpr 0
		.amdhsa_accum_offset 4
		.amdhsa_reserve_vcc 0
		.amdhsa_reserve_flat_scratch 0
		.amdhsa_float_round_mode_32 0
		.amdhsa_float_round_mode_16_64 0
		.amdhsa_float_denorm_mode_32 3
		.amdhsa_float_denorm_mode_16_64 3
		.amdhsa_dx10_clamp 1
		.amdhsa_ieee_mode 1
		.amdhsa_fp16_overflow 0
		.amdhsa_tg_split 0
		.amdhsa_exception_fp_ieee_invalid_op 0
		.amdhsa_exception_fp_denorm_src 0
		.amdhsa_exception_fp_ieee_div_zero 0
		.amdhsa_exception_fp_ieee_overflow 0
		.amdhsa_exception_fp_ieee_underflow 0
		.amdhsa_exception_fp_ieee_inexact 0
		.amdhsa_exception_int_div_zero 0
	.end_amdhsa_kernel
	.section	.text._ZN7rocprim17ROCPRIM_400000_NS6detail17trampoline_kernelINS0_14default_configENS1_35adjacent_difference_config_selectorILb1ElEEZNS1_24adjacent_difference_implIS3_Lb1ELb0EPlS7_N6thrust23THRUST_200600_302600_NS5minusIlEEEE10hipError_tPvRmT2_T3_mT4_P12ihipStream_tbEUlT_E_NS1_11comp_targetILNS1_3genE10ELNS1_11target_archE1201ELNS1_3gpuE5ELNS1_3repE0EEENS1_30default_config_static_selectorELNS0_4arch9wavefront6targetE1EEEvT1_,"axG",@progbits,_ZN7rocprim17ROCPRIM_400000_NS6detail17trampoline_kernelINS0_14default_configENS1_35adjacent_difference_config_selectorILb1ElEEZNS1_24adjacent_difference_implIS3_Lb1ELb0EPlS7_N6thrust23THRUST_200600_302600_NS5minusIlEEEE10hipError_tPvRmT2_T3_mT4_P12ihipStream_tbEUlT_E_NS1_11comp_targetILNS1_3genE10ELNS1_11target_archE1201ELNS1_3gpuE5ELNS1_3repE0EEENS1_30default_config_static_selectorELNS0_4arch9wavefront6targetE1EEEvT1_,comdat
.Lfunc_end254:
	.size	_ZN7rocprim17ROCPRIM_400000_NS6detail17trampoline_kernelINS0_14default_configENS1_35adjacent_difference_config_selectorILb1ElEEZNS1_24adjacent_difference_implIS3_Lb1ELb0EPlS7_N6thrust23THRUST_200600_302600_NS5minusIlEEEE10hipError_tPvRmT2_T3_mT4_P12ihipStream_tbEUlT_E_NS1_11comp_targetILNS1_3genE10ELNS1_11target_archE1201ELNS1_3gpuE5ELNS1_3repE0EEENS1_30default_config_static_selectorELNS0_4arch9wavefront6targetE1EEEvT1_, .Lfunc_end254-_ZN7rocprim17ROCPRIM_400000_NS6detail17trampoline_kernelINS0_14default_configENS1_35adjacent_difference_config_selectorILb1ElEEZNS1_24adjacent_difference_implIS3_Lb1ELb0EPlS7_N6thrust23THRUST_200600_302600_NS5minusIlEEEE10hipError_tPvRmT2_T3_mT4_P12ihipStream_tbEUlT_E_NS1_11comp_targetILNS1_3genE10ELNS1_11target_archE1201ELNS1_3gpuE5ELNS1_3repE0EEENS1_30default_config_static_selectorELNS0_4arch9wavefront6targetE1EEEvT1_
                                        ; -- End function
	.section	.AMDGPU.csdata,"",@progbits
; Kernel info:
; codeLenInByte = 0
; NumSgprs: 4
; NumVgprs: 0
; NumAgprs: 0
; TotalNumVgprs: 0
; ScratchSize: 0
; MemoryBound: 0
; FloatMode: 240
; IeeeMode: 1
; LDSByteSize: 0 bytes/workgroup (compile time only)
; SGPRBlocks: 0
; VGPRBlocks: 0
; NumSGPRsForWavesPerEU: 4
; NumVGPRsForWavesPerEU: 1
; AccumOffset: 4
; Occupancy: 8
; WaveLimiterHint : 0
; COMPUTE_PGM_RSRC2:SCRATCH_EN: 0
; COMPUTE_PGM_RSRC2:USER_SGPR: 6
; COMPUTE_PGM_RSRC2:TRAP_HANDLER: 0
; COMPUTE_PGM_RSRC2:TGID_X_EN: 1
; COMPUTE_PGM_RSRC2:TGID_Y_EN: 0
; COMPUTE_PGM_RSRC2:TGID_Z_EN: 0
; COMPUTE_PGM_RSRC2:TIDIG_COMP_CNT: 0
; COMPUTE_PGM_RSRC3_GFX90A:ACCUM_OFFSET: 0
; COMPUTE_PGM_RSRC3_GFX90A:TG_SPLIT: 0
	.section	.text._ZN7rocprim17ROCPRIM_400000_NS6detail17trampoline_kernelINS0_14default_configENS1_35adjacent_difference_config_selectorILb1ElEEZNS1_24adjacent_difference_implIS3_Lb1ELb0EPlS7_N6thrust23THRUST_200600_302600_NS5minusIlEEEE10hipError_tPvRmT2_T3_mT4_P12ihipStream_tbEUlT_E_NS1_11comp_targetILNS1_3genE5ELNS1_11target_archE942ELNS1_3gpuE9ELNS1_3repE0EEENS1_30default_config_static_selectorELNS0_4arch9wavefront6targetE1EEEvT1_,"axG",@progbits,_ZN7rocprim17ROCPRIM_400000_NS6detail17trampoline_kernelINS0_14default_configENS1_35adjacent_difference_config_selectorILb1ElEEZNS1_24adjacent_difference_implIS3_Lb1ELb0EPlS7_N6thrust23THRUST_200600_302600_NS5minusIlEEEE10hipError_tPvRmT2_T3_mT4_P12ihipStream_tbEUlT_E_NS1_11comp_targetILNS1_3genE5ELNS1_11target_archE942ELNS1_3gpuE9ELNS1_3repE0EEENS1_30default_config_static_selectorELNS0_4arch9wavefront6targetE1EEEvT1_,comdat
	.protected	_ZN7rocprim17ROCPRIM_400000_NS6detail17trampoline_kernelINS0_14default_configENS1_35adjacent_difference_config_selectorILb1ElEEZNS1_24adjacent_difference_implIS3_Lb1ELb0EPlS7_N6thrust23THRUST_200600_302600_NS5minusIlEEEE10hipError_tPvRmT2_T3_mT4_P12ihipStream_tbEUlT_E_NS1_11comp_targetILNS1_3genE5ELNS1_11target_archE942ELNS1_3gpuE9ELNS1_3repE0EEENS1_30default_config_static_selectorELNS0_4arch9wavefront6targetE1EEEvT1_ ; -- Begin function _ZN7rocprim17ROCPRIM_400000_NS6detail17trampoline_kernelINS0_14default_configENS1_35adjacent_difference_config_selectorILb1ElEEZNS1_24adjacent_difference_implIS3_Lb1ELb0EPlS7_N6thrust23THRUST_200600_302600_NS5minusIlEEEE10hipError_tPvRmT2_T3_mT4_P12ihipStream_tbEUlT_E_NS1_11comp_targetILNS1_3genE5ELNS1_11target_archE942ELNS1_3gpuE9ELNS1_3repE0EEENS1_30default_config_static_selectorELNS0_4arch9wavefront6targetE1EEEvT1_
	.globl	_ZN7rocprim17ROCPRIM_400000_NS6detail17trampoline_kernelINS0_14default_configENS1_35adjacent_difference_config_selectorILb1ElEEZNS1_24adjacent_difference_implIS3_Lb1ELb0EPlS7_N6thrust23THRUST_200600_302600_NS5minusIlEEEE10hipError_tPvRmT2_T3_mT4_P12ihipStream_tbEUlT_E_NS1_11comp_targetILNS1_3genE5ELNS1_11target_archE942ELNS1_3gpuE9ELNS1_3repE0EEENS1_30default_config_static_selectorELNS0_4arch9wavefront6targetE1EEEvT1_
	.p2align	8
	.type	_ZN7rocprim17ROCPRIM_400000_NS6detail17trampoline_kernelINS0_14default_configENS1_35adjacent_difference_config_selectorILb1ElEEZNS1_24adjacent_difference_implIS3_Lb1ELb0EPlS7_N6thrust23THRUST_200600_302600_NS5minusIlEEEE10hipError_tPvRmT2_T3_mT4_P12ihipStream_tbEUlT_E_NS1_11comp_targetILNS1_3genE5ELNS1_11target_archE942ELNS1_3gpuE9ELNS1_3repE0EEENS1_30default_config_static_selectorELNS0_4arch9wavefront6targetE1EEEvT1_,@function
_ZN7rocprim17ROCPRIM_400000_NS6detail17trampoline_kernelINS0_14default_configENS1_35adjacent_difference_config_selectorILb1ElEEZNS1_24adjacent_difference_implIS3_Lb1ELb0EPlS7_N6thrust23THRUST_200600_302600_NS5minusIlEEEE10hipError_tPvRmT2_T3_mT4_P12ihipStream_tbEUlT_E_NS1_11comp_targetILNS1_3genE5ELNS1_11target_archE942ELNS1_3gpuE9ELNS1_3repE0EEENS1_30default_config_static_selectorELNS0_4arch9wavefront6targetE1EEEvT1_: ; @_ZN7rocprim17ROCPRIM_400000_NS6detail17trampoline_kernelINS0_14default_configENS1_35adjacent_difference_config_selectorILb1ElEEZNS1_24adjacent_difference_implIS3_Lb1ELb0EPlS7_N6thrust23THRUST_200600_302600_NS5minusIlEEEE10hipError_tPvRmT2_T3_mT4_P12ihipStream_tbEUlT_E_NS1_11comp_targetILNS1_3genE5ELNS1_11target_archE942ELNS1_3gpuE9ELNS1_3repE0EEENS1_30default_config_static_selectorELNS0_4arch9wavefront6targetE1EEEvT1_
; %bb.0:
	.section	.rodata,"a",@progbits
	.p2align	6, 0x0
	.amdhsa_kernel _ZN7rocprim17ROCPRIM_400000_NS6detail17trampoline_kernelINS0_14default_configENS1_35adjacent_difference_config_selectorILb1ElEEZNS1_24adjacent_difference_implIS3_Lb1ELb0EPlS7_N6thrust23THRUST_200600_302600_NS5minusIlEEEE10hipError_tPvRmT2_T3_mT4_P12ihipStream_tbEUlT_E_NS1_11comp_targetILNS1_3genE5ELNS1_11target_archE942ELNS1_3gpuE9ELNS1_3repE0EEENS1_30default_config_static_selectorELNS0_4arch9wavefront6targetE1EEEvT1_
		.amdhsa_group_segment_fixed_size 0
		.amdhsa_private_segment_fixed_size 0
		.amdhsa_kernarg_size 56
		.amdhsa_user_sgpr_count 6
		.amdhsa_user_sgpr_private_segment_buffer 1
		.amdhsa_user_sgpr_dispatch_ptr 0
		.amdhsa_user_sgpr_queue_ptr 0
		.amdhsa_user_sgpr_kernarg_segment_ptr 1
		.amdhsa_user_sgpr_dispatch_id 0
		.amdhsa_user_sgpr_flat_scratch_init 0
		.amdhsa_user_sgpr_kernarg_preload_length 0
		.amdhsa_user_sgpr_kernarg_preload_offset 0
		.amdhsa_user_sgpr_private_segment_size 0
		.amdhsa_uses_dynamic_stack 0
		.amdhsa_system_sgpr_private_segment_wavefront_offset 0
		.amdhsa_system_sgpr_workgroup_id_x 1
		.amdhsa_system_sgpr_workgroup_id_y 0
		.amdhsa_system_sgpr_workgroup_id_z 0
		.amdhsa_system_sgpr_workgroup_info 0
		.amdhsa_system_vgpr_workitem_id 0
		.amdhsa_next_free_vgpr 1
		.amdhsa_next_free_sgpr 0
		.amdhsa_accum_offset 4
		.amdhsa_reserve_vcc 0
		.amdhsa_reserve_flat_scratch 0
		.amdhsa_float_round_mode_32 0
		.amdhsa_float_round_mode_16_64 0
		.amdhsa_float_denorm_mode_32 3
		.amdhsa_float_denorm_mode_16_64 3
		.amdhsa_dx10_clamp 1
		.amdhsa_ieee_mode 1
		.amdhsa_fp16_overflow 0
		.amdhsa_tg_split 0
		.amdhsa_exception_fp_ieee_invalid_op 0
		.amdhsa_exception_fp_denorm_src 0
		.amdhsa_exception_fp_ieee_div_zero 0
		.amdhsa_exception_fp_ieee_overflow 0
		.amdhsa_exception_fp_ieee_underflow 0
		.amdhsa_exception_fp_ieee_inexact 0
		.amdhsa_exception_int_div_zero 0
	.end_amdhsa_kernel
	.section	.text._ZN7rocprim17ROCPRIM_400000_NS6detail17trampoline_kernelINS0_14default_configENS1_35adjacent_difference_config_selectorILb1ElEEZNS1_24adjacent_difference_implIS3_Lb1ELb0EPlS7_N6thrust23THRUST_200600_302600_NS5minusIlEEEE10hipError_tPvRmT2_T3_mT4_P12ihipStream_tbEUlT_E_NS1_11comp_targetILNS1_3genE5ELNS1_11target_archE942ELNS1_3gpuE9ELNS1_3repE0EEENS1_30default_config_static_selectorELNS0_4arch9wavefront6targetE1EEEvT1_,"axG",@progbits,_ZN7rocprim17ROCPRIM_400000_NS6detail17trampoline_kernelINS0_14default_configENS1_35adjacent_difference_config_selectorILb1ElEEZNS1_24adjacent_difference_implIS3_Lb1ELb0EPlS7_N6thrust23THRUST_200600_302600_NS5minusIlEEEE10hipError_tPvRmT2_T3_mT4_P12ihipStream_tbEUlT_E_NS1_11comp_targetILNS1_3genE5ELNS1_11target_archE942ELNS1_3gpuE9ELNS1_3repE0EEENS1_30default_config_static_selectorELNS0_4arch9wavefront6targetE1EEEvT1_,comdat
.Lfunc_end255:
	.size	_ZN7rocprim17ROCPRIM_400000_NS6detail17trampoline_kernelINS0_14default_configENS1_35adjacent_difference_config_selectorILb1ElEEZNS1_24adjacent_difference_implIS3_Lb1ELb0EPlS7_N6thrust23THRUST_200600_302600_NS5minusIlEEEE10hipError_tPvRmT2_T3_mT4_P12ihipStream_tbEUlT_E_NS1_11comp_targetILNS1_3genE5ELNS1_11target_archE942ELNS1_3gpuE9ELNS1_3repE0EEENS1_30default_config_static_selectorELNS0_4arch9wavefront6targetE1EEEvT1_, .Lfunc_end255-_ZN7rocprim17ROCPRIM_400000_NS6detail17trampoline_kernelINS0_14default_configENS1_35adjacent_difference_config_selectorILb1ElEEZNS1_24adjacent_difference_implIS3_Lb1ELb0EPlS7_N6thrust23THRUST_200600_302600_NS5minusIlEEEE10hipError_tPvRmT2_T3_mT4_P12ihipStream_tbEUlT_E_NS1_11comp_targetILNS1_3genE5ELNS1_11target_archE942ELNS1_3gpuE9ELNS1_3repE0EEENS1_30default_config_static_selectorELNS0_4arch9wavefront6targetE1EEEvT1_
                                        ; -- End function
	.section	.AMDGPU.csdata,"",@progbits
; Kernel info:
; codeLenInByte = 0
; NumSgprs: 4
; NumVgprs: 0
; NumAgprs: 0
; TotalNumVgprs: 0
; ScratchSize: 0
; MemoryBound: 0
; FloatMode: 240
; IeeeMode: 1
; LDSByteSize: 0 bytes/workgroup (compile time only)
; SGPRBlocks: 0
; VGPRBlocks: 0
; NumSGPRsForWavesPerEU: 4
; NumVGPRsForWavesPerEU: 1
; AccumOffset: 4
; Occupancy: 8
; WaveLimiterHint : 0
; COMPUTE_PGM_RSRC2:SCRATCH_EN: 0
; COMPUTE_PGM_RSRC2:USER_SGPR: 6
; COMPUTE_PGM_RSRC2:TRAP_HANDLER: 0
; COMPUTE_PGM_RSRC2:TGID_X_EN: 1
; COMPUTE_PGM_RSRC2:TGID_Y_EN: 0
; COMPUTE_PGM_RSRC2:TGID_Z_EN: 0
; COMPUTE_PGM_RSRC2:TIDIG_COMP_CNT: 0
; COMPUTE_PGM_RSRC3_GFX90A:ACCUM_OFFSET: 0
; COMPUTE_PGM_RSRC3_GFX90A:TG_SPLIT: 0
	.section	.text._ZN7rocprim17ROCPRIM_400000_NS6detail17trampoline_kernelINS0_14default_configENS1_35adjacent_difference_config_selectorILb1ElEEZNS1_24adjacent_difference_implIS3_Lb1ELb0EPlS7_N6thrust23THRUST_200600_302600_NS5minusIlEEEE10hipError_tPvRmT2_T3_mT4_P12ihipStream_tbEUlT_E_NS1_11comp_targetILNS1_3genE4ELNS1_11target_archE910ELNS1_3gpuE8ELNS1_3repE0EEENS1_30default_config_static_selectorELNS0_4arch9wavefront6targetE1EEEvT1_,"axG",@progbits,_ZN7rocprim17ROCPRIM_400000_NS6detail17trampoline_kernelINS0_14default_configENS1_35adjacent_difference_config_selectorILb1ElEEZNS1_24adjacent_difference_implIS3_Lb1ELb0EPlS7_N6thrust23THRUST_200600_302600_NS5minusIlEEEE10hipError_tPvRmT2_T3_mT4_P12ihipStream_tbEUlT_E_NS1_11comp_targetILNS1_3genE4ELNS1_11target_archE910ELNS1_3gpuE8ELNS1_3repE0EEENS1_30default_config_static_selectorELNS0_4arch9wavefront6targetE1EEEvT1_,comdat
	.protected	_ZN7rocprim17ROCPRIM_400000_NS6detail17trampoline_kernelINS0_14default_configENS1_35adjacent_difference_config_selectorILb1ElEEZNS1_24adjacent_difference_implIS3_Lb1ELb0EPlS7_N6thrust23THRUST_200600_302600_NS5minusIlEEEE10hipError_tPvRmT2_T3_mT4_P12ihipStream_tbEUlT_E_NS1_11comp_targetILNS1_3genE4ELNS1_11target_archE910ELNS1_3gpuE8ELNS1_3repE0EEENS1_30default_config_static_selectorELNS0_4arch9wavefront6targetE1EEEvT1_ ; -- Begin function _ZN7rocprim17ROCPRIM_400000_NS6detail17trampoline_kernelINS0_14default_configENS1_35adjacent_difference_config_selectorILb1ElEEZNS1_24adjacent_difference_implIS3_Lb1ELb0EPlS7_N6thrust23THRUST_200600_302600_NS5minusIlEEEE10hipError_tPvRmT2_T3_mT4_P12ihipStream_tbEUlT_E_NS1_11comp_targetILNS1_3genE4ELNS1_11target_archE910ELNS1_3gpuE8ELNS1_3repE0EEENS1_30default_config_static_selectorELNS0_4arch9wavefront6targetE1EEEvT1_
	.globl	_ZN7rocprim17ROCPRIM_400000_NS6detail17trampoline_kernelINS0_14default_configENS1_35adjacent_difference_config_selectorILb1ElEEZNS1_24adjacent_difference_implIS3_Lb1ELb0EPlS7_N6thrust23THRUST_200600_302600_NS5minusIlEEEE10hipError_tPvRmT2_T3_mT4_P12ihipStream_tbEUlT_E_NS1_11comp_targetILNS1_3genE4ELNS1_11target_archE910ELNS1_3gpuE8ELNS1_3repE0EEENS1_30default_config_static_selectorELNS0_4arch9wavefront6targetE1EEEvT1_
	.p2align	8
	.type	_ZN7rocprim17ROCPRIM_400000_NS6detail17trampoline_kernelINS0_14default_configENS1_35adjacent_difference_config_selectorILb1ElEEZNS1_24adjacent_difference_implIS3_Lb1ELb0EPlS7_N6thrust23THRUST_200600_302600_NS5minusIlEEEE10hipError_tPvRmT2_T3_mT4_P12ihipStream_tbEUlT_E_NS1_11comp_targetILNS1_3genE4ELNS1_11target_archE910ELNS1_3gpuE8ELNS1_3repE0EEENS1_30default_config_static_selectorELNS0_4arch9wavefront6targetE1EEEvT1_,@function
_ZN7rocprim17ROCPRIM_400000_NS6detail17trampoline_kernelINS0_14default_configENS1_35adjacent_difference_config_selectorILb1ElEEZNS1_24adjacent_difference_implIS3_Lb1ELb0EPlS7_N6thrust23THRUST_200600_302600_NS5minusIlEEEE10hipError_tPvRmT2_T3_mT4_P12ihipStream_tbEUlT_E_NS1_11comp_targetILNS1_3genE4ELNS1_11target_archE910ELNS1_3gpuE8ELNS1_3repE0EEENS1_30default_config_static_selectorELNS0_4arch9wavefront6targetE1EEEvT1_: ; @_ZN7rocprim17ROCPRIM_400000_NS6detail17trampoline_kernelINS0_14default_configENS1_35adjacent_difference_config_selectorILb1ElEEZNS1_24adjacent_difference_implIS3_Lb1ELb0EPlS7_N6thrust23THRUST_200600_302600_NS5minusIlEEEE10hipError_tPvRmT2_T3_mT4_P12ihipStream_tbEUlT_E_NS1_11comp_targetILNS1_3genE4ELNS1_11target_archE910ELNS1_3gpuE8ELNS1_3repE0EEENS1_30default_config_static_selectorELNS0_4arch9wavefront6targetE1EEEvT1_
; %bb.0:
	s_load_dwordx8 s[8:15], s[4:5], 0x0
	s_load_dwordx4 s[16:19], s[4:5], 0x28
	s_mov_b32 s21, 0
	s_mov_b64 s[22:23], -1
	s_waitcnt lgkmcnt(0)
	s_lshl_b64 s[10:11], s[10:11], 3
	s_add_u32 s26, s8, s10
	s_addc_u32 s27, s9, s11
	s_lshl_b32 s4, s6, 10
	s_lshr_b64 s[0:1], s[14:15], 10
	s_and_b32 s20, s14, 0x3ff
	s_cmp_lg_u64 s[20:21], 0
	s_cselect_b64 s[2:3], -1, 0
	v_cndmask_b32_e64 v1, 0, 1, s[2:3]
	v_readfirstlane_b32 s2, v1
	s_add_u32 s2, s0, s2
	s_addc_u32 s3, s1, 0
	s_add_u32 s8, s18, s6
	s_addc_u32 s9, s19, 0
	s_mov_b32 s20, s6
	s_add_u32 s6, s2, -1
	s_addc_u32 s7, s3, -1
	v_pk_mov_b32 v[2:3], s[6:7], s[6:7] op_sel:[0,1]
	v_cmp_ge_u64_e64 s[0:1], s[8:9], v[2:3]
	s_and_b64 vcc, exec, s[0:1]
	s_cbranch_vccz .LBB256_6
; %bb.1:
	s_lshl_b32 s5, s6, 10
	s_sub_i32 s15, s14, s5
	s_mov_b32 s5, s21
	s_lshl_b64 s[22:23], s[4:5], 3
	s_add_u32 s22, s26, s22
	s_addc_u32 s23, s27, s23
	v_cmp_gt_u32_e32 vcc, s15, v0
                                        ; implicit-def: $vgpr2_vgpr3_vgpr4_vgpr5
	s_and_saveexec_b64 s[24:25], vcc
	s_cbranch_execz .LBB256_3
; %bb.2:
	v_lshlrev_b32_e32 v1, 3, v0
	global_load_dwordx2 v[2:3], v1, s[22:23]
.LBB256_3:
	s_or_b64 exec, exec, s[24:25]
	v_or_b32_e32 v1, 0x200, v0
	v_cmp_gt_u32_e32 vcc, s15, v1
	s_and_saveexec_b64 s[24:25], vcc
	s_cbranch_execz .LBB256_5
; %bb.4:
	v_lshlrev_b32_e32 v4, 3, v1
	global_load_dwordx2 v[4:5], v4, s[22:23]
.LBB256_5:
	s_or_b64 exec, exec, s[24:25]
	v_lshrrev_b32_e32 v6, 2, v0
	v_lshrrev_b32_e32 v1, 2, v1
	v_and_b32_e32 v6, 0x78, v6
	v_lshlrev_b32_e32 v7, 3, v0
	v_and_b32_e32 v1, 0xf8, v1
	v_add_u32_e32 v6, v6, v7
	v_add_u32_e32 v1, v1, v7
	s_mov_b64 s[22:23], 0
	s_waitcnt vmcnt(0)
	ds_write_b64 v6, v[2:3]
	ds_write_b64 v1, v[4:5] offset:4096
	s_waitcnt lgkmcnt(0)
	s_barrier
.LBB256_6:
	s_and_b64 vcc, exec, s[22:23]
	v_lshlrev_b32_e32 v1, 3, v0
	s_cbranch_vccz .LBB256_8
; %bb.7:
	s_mov_b32 s5, 0
	s_lshl_b64 s[22:23], s[4:5], 3
	s_add_u32 s22, s26, s22
	s_addc_u32 s23, s27, s23
	v_mov_b32_e32 v2, s23
	v_add_co_u32_e32 v3, vcc, s22, v1
	v_addc_co_u32_e32 v4, vcc, 0, v2, vcc
	v_add_co_u32_e32 v2, vcc, 0x1000, v3
	v_addc_co_u32_e32 v3, vcc, 0, v4, vcc
	global_load_dwordx2 v[4:5], v1, s[22:23]
	global_load_dwordx2 v[6:7], v[2:3], off
	v_lshrrev_b32_e32 v2, 2, v0
	v_or_b32_e32 v3, 0x200, v0
	v_and_b32_e32 v2, 0x78, v2
	v_lshrrev_b32_e32 v3, 2, v3
	v_add_u32_e32 v2, v2, v1
	v_and_b32_e32 v3, 0xf8, v3
	v_add_u32_e32 v3, v3, v1
	s_waitcnt vmcnt(1)
	ds_write_b64 v2, v[4:5]
	s_waitcnt vmcnt(0)
	ds_write_b64 v3, v[6:7] offset:4096
	s_waitcnt lgkmcnt(0)
	s_barrier
.LBB256_8:
	v_lshlrev_b32_e32 v2, 1, v0
	v_lshrrev_b32_e32 v3, 4, v0
	v_add_lshl_u32 v2, v3, v2, 3
	ds_read2_b64 v[2:5], v2 offset1:1
	s_cmp_eq_u64 s[8:9], 0
	s_waitcnt lgkmcnt(0)
	s_barrier
	s_cbranch_scc1 .LBB256_13
; %bb.9:
	s_lshl_b64 s[18:19], s[18:19], 3
	s_add_u32 s5, s16, s18
	s_addc_u32 s15, s17, s19
	s_lshl_b64 s[16:17], s[20:21], 3
	s_add_u32 s5, s5, s16
	s_addc_u32 s15, s15, s17
	s_add_u32 s16, s5, -8
	s_addc_u32 s17, s15, -1
	s_load_dwordx2 s[16:17], s[16:17], 0x0
	s_cmp_eq_u64 s[8:9], s[6:7]
	s_cbranch_scc1 .LBB256_14
; %bb.10:
	v_sub_co_u32_e32 v6, vcc, v4, v2
	v_subb_co_u32_e32 v7, vcc, v5, v3, vcc
	v_cmp_ne_u32_e32 vcc, 0, v0
	s_waitcnt lgkmcnt(0)
	v_pk_mov_b32 v[8:9], s[16:17], s[16:17] op_sel:[0,1]
	ds_write_b64 v1, v[4:5]
	s_waitcnt lgkmcnt(0)
	s_barrier
	s_and_saveexec_b64 s[18:19], vcc
	s_cbranch_execz .LBB256_12
; %bb.11:
	v_add_u32_e32 v8, -8, v1
	ds_read_b64 v[8:9], v8
.LBB256_12:
	s_or_b64 exec, exec, s[18:19]
	s_cbranch_execz .LBB256_15
	s_branch .LBB256_18
.LBB256_13:
	s_mov_b64 s[8:9], 0
                                        ; implicit-def: $vgpr6_vgpr7
                                        ; implicit-def: $vgpr8_vgpr9
	s_branch .LBB256_19
.LBB256_14:
                                        ; implicit-def: $vgpr6_vgpr7
                                        ; implicit-def: $vgpr8_vgpr9
.LBB256_15:
	v_cmp_ne_u32_e32 vcc, 0, v0
	s_waitcnt lgkmcnt(0)
	v_pk_mov_b32 v[8:9], s[16:17], s[16:17] op_sel:[0,1]
	ds_write_b64 v1, v[4:5]
	s_waitcnt lgkmcnt(0)
	s_barrier
	s_and_saveexec_b64 s[16:17], vcc
	s_cbranch_execz .LBB256_17
; %bb.16:
	v_add_u32_e32 v6, -8, v1
	ds_read_b64 v[8:9], v6
.LBB256_17:
	s_or_b64 exec, exec, s[16:17]
	s_lshl_b32 s5, s8, 10
	v_lshlrev_b32_e32 v10, 1, v0
	v_sub_co_u32_e32 v11, vcc, v4, v2
	s_sub_i32 s5, s14, s5
	v_or_b32_e32 v6, 1, v10
	v_subb_co_u32_e32 v7, vcc, v5, v3, vcc
	v_cmp_gt_u32_e32 vcc, s5, v6
	v_cndmask_b32_e32 v7, v5, v7, vcc
	v_cndmask_b32_e32 v6, v4, v11, vcc
	v_cmp_gt_u32_e32 vcc, s5, v10
	s_waitcnt lgkmcnt(0)
	v_cndmask_b32_e32 v9, 0, v9, vcc
	v_cndmask_b32_e32 v8, 0, v8, vcc
.LBB256_18:
	s_waitcnt lgkmcnt(0)
	s_mov_b64 s[8:9], -1
	s_cbranch_execnz .LBB256_27
.LBB256_19:
	s_cmp_lg_u64 s[2:3], 1
	v_cmp_ne_u32_e32 vcc, 0, v0
	s_cbranch_scc0 .LBB256_23
; %bb.20:
	v_sub_co_u32_e64 v6, s[2:3], v4, v2
	v_subb_co_u32_e64 v7, s[2:3], v5, v3, s[2:3]
	ds_write_b64 v1, v[4:5]
	s_waitcnt lgkmcnt(0)
	s_barrier
	s_waitcnt lgkmcnt(0)
                                        ; implicit-def: $vgpr8_vgpr9
	s_and_saveexec_b64 s[2:3], vcc
	s_cbranch_execz .LBB256_22
; %bb.21:
	v_add_u32_e32 v8, -8, v1
	ds_read_b64 v[8:9], v8
	s_or_b64 s[8:9], s[8:9], exec
.LBB256_22:
	s_or_b64 exec, exec, s[2:3]
	s_branch .LBB256_27
.LBB256_23:
                                        ; implicit-def: $vgpr6_vgpr7
                                        ; implicit-def: $vgpr8_vgpr9
	s_cbranch_execz .LBB256_27
; %bb.24:
	s_waitcnt lgkmcnt(0)
	v_lshlrev_b32_e32 v8, 1, v0
	v_sub_co_u32_e32 v9, vcc, v4, v2
	v_or_b32_e32 v6, 1, v8
	v_subb_co_u32_e32 v7, vcc, v5, v3, vcc
	v_cmp_gt_u32_e32 vcc, s14, v6
	v_cndmask_b32_e32 v7, v5, v7, vcc
	v_cndmask_b32_e32 v6, v4, v9, vcc
	v_cmp_ne_u32_e32 vcc, 0, v0
	v_cmp_gt_u32_e64 s[2:3], s14, v8
	s_and_b64 s[16:17], vcc, s[2:3]
	ds_write_b64 v1, v[4:5]
	s_waitcnt lgkmcnt(0)
	s_barrier
	s_waitcnt lgkmcnt(0)
                                        ; implicit-def: $vgpr8_vgpr9
	s_and_saveexec_b64 s[2:3], s[16:17]
	s_cbranch_execz .LBB256_26
; %bb.25:
	v_add_u32_e32 v4, -8, v1
	ds_read_b64 v[8:9], v4
	s_or_b64 s[8:9], s[8:9], exec
.LBB256_26:
	s_or_b64 exec, exec, s[2:3]
.LBB256_27:
	s_and_saveexec_b64 s[2:3], s[8:9]
	s_cbranch_execz .LBB256_29
; %bb.28:
	s_waitcnt lgkmcnt(0)
	v_sub_co_u32_e32 v2, vcc, v2, v8
	v_subb_co_u32_e32 v3, vcc, v3, v9, vcc
.LBB256_29:
	s_or_b64 exec, exec, s[2:3]
	s_add_u32 s7, s12, s10
	s_addc_u32 s8, s13, s11
	s_and_b64 vcc, exec, s[0:1]
	v_lshrrev_b32_e32 v10, 1, v0
	s_waitcnt lgkmcnt(0)
	s_barrier
	s_cbranch_vccz .LBB256_33
; %bb.30:
	v_and_b32_e32 v4, 0xf8, v10
	v_lshl_add_u32 v8, v0, 4, v4
	v_mov_b32_e32 v4, v6
	v_mov_b32_e32 v5, v7
	v_or_b32_e32 v11, 0x200, v0
	s_lshl_b32 s0, s6, 10
	s_mov_b32 s5, 0
	ds_write2_b64 v8, v[2:3], v[4:5] offset1:1
	v_lshrrev_b32_e32 v4, 5, v11
	s_sub_i32 s2, s14, s0
	s_lshl_b64 s[0:1], s[4:5], 3
	v_add_lshl_u32 v4, v4, v0, 3
	s_add_u32 s0, s7, s0
	s_waitcnt lgkmcnt(0)
	s_barrier
	ds_read_b64 v[4:5], v4 offset:4096
	s_addc_u32 s1, s8, s1
	v_mov_b32_e32 v9, s1
	v_add_co_u32_e32 v8, vcc, s0, v1
	v_addc_co_u32_e32 v9, vcc, 0, v9, vcc
	v_cmp_gt_u32_e32 vcc, s2, v0
	s_and_saveexec_b64 s[0:1], vcc
	s_cbranch_execz .LBB256_32
; %bb.31:
	v_lshrrev_b32_e32 v12, 5, v0
	v_add_lshl_u32 v12, v12, v0, 3
	ds_read_b64 v[12:13], v12
	s_waitcnt lgkmcnt(0)
	global_store_dwordx2 v[8:9], v[12:13], off
.LBB256_32:
	s_or_b64 exec, exec, s[0:1]
	v_cmp_gt_u32_e64 s[0:1], s2, v11
	s_branch .LBB256_35
.LBB256_33:
	s_mov_b64 s[0:1], 0
                                        ; implicit-def: $vgpr4_vgpr5
                                        ; implicit-def: $vgpr8_vgpr9
	s_cbranch_execz .LBB256_35
; %bb.34:
	s_waitcnt lgkmcnt(0)
	v_and_b32_e32 v4, 0xf8, v10
	v_lshl_add_u32 v4, v0, 4, v4
	s_mov_b32 s5, 0
	ds_write2_b64 v4, v[2:3], v[6:7] offset1:1
	v_lshrrev_b32_e32 v2, 5, v0
	v_or_b32_e32 v3, 0x200, v0
	s_lshl_b64 s[2:3], s[4:5], 3
	v_add_lshl_u32 v2, v2, v0, 3
	v_lshrrev_b32_e32 v3, 5, v3
	s_add_u32 s2, s7, s2
	s_waitcnt lgkmcnt(0)
	s_barrier
	v_add_lshl_u32 v0, v3, v0, 3
	ds_read_b64 v[2:3], v2
	ds_read_b64 v[4:5], v0 offset:4096
	s_addc_u32 s3, s8, s3
	v_mov_b32_e32 v0, s3
	v_add_co_u32_e32 v8, vcc, s2, v1
	v_addc_co_u32_e32 v9, vcc, 0, v0, vcc
	s_or_b64 s[0:1], s[0:1], exec
	s_waitcnt lgkmcnt(1)
	global_store_dwordx2 v1, v[2:3], s[2:3]
.LBB256_35:
	s_and_saveexec_b64 s[2:3], s[0:1]
	s_cbranch_execnz .LBB256_37
; %bb.36:
	s_endpgm
.LBB256_37:
	v_add_co_u32_e32 v0, vcc, 0x1000, v8
	v_addc_co_u32_e32 v1, vcc, 0, v9, vcc
	s_waitcnt lgkmcnt(0)
	global_store_dwordx2 v[0:1], v[4:5], off
	s_endpgm
	.section	.rodata,"a",@progbits
	.p2align	6, 0x0
	.amdhsa_kernel _ZN7rocprim17ROCPRIM_400000_NS6detail17trampoline_kernelINS0_14default_configENS1_35adjacent_difference_config_selectorILb1ElEEZNS1_24adjacent_difference_implIS3_Lb1ELb0EPlS7_N6thrust23THRUST_200600_302600_NS5minusIlEEEE10hipError_tPvRmT2_T3_mT4_P12ihipStream_tbEUlT_E_NS1_11comp_targetILNS1_3genE4ELNS1_11target_archE910ELNS1_3gpuE8ELNS1_3repE0EEENS1_30default_config_static_selectorELNS0_4arch9wavefront6targetE1EEEvT1_
		.amdhsa_group_segment_fixed_size 8448
		.amdhsa_private_segment_fixed_size 0
		.amdhsa_kernarg_size 56
		.amdhsa_user_sgpr_count 6
		.amdhsa_user_sgpr_private_segment_buffer 1
		.amdhsa_user_sgpr_dispatch_ptr 0
		.amdhsa_user_sgpr_queue_ptr 0
		.amdhsa_user_sgpr_kernarg_segment_ptr 1
		.amdhsa_user_sgpr_dispatch_id 0
		.amdhsa_user_sgpr_flat_scratch_init 0
		.amdhsa_user_sgpr_kernarg_preload_length 0
		.amdhsa_user_sgpr_kernarg_preload_offset 0
		.amdhsa_user_sgpr_private_segment_size 0
		.amdhsa_uses_dynamic_stack 0
		.amdhsa_system_sgpr_private_segment_wavefront_offset 0
		.amdhsa_system_sgpr_workgroup_id_x 1
		.amdhsa_system_sgpr_workgroup_id_y 0
		.amdhsa_system_sgpr_workgroup_id_z 0
		.amdhsa_system_sgpr_workgroup_info 0
		.amdhsa_system_vgpr_workitem_id 0
		.amdhsa_next_free_vgpr 14
		.amdhsa_next_free_sgpr 28
		.amdhsa_accum_offset 16
		.amdhsa_reserve_vcc 1
		.amdhsa_reserve_flat_scratch 0
		.amdhsa_float_round_mode_32 0
		.amdhsa_float_round_mode_16_64 0
		.amdhsa_float_denorm_mode_32 3
		.amdhsa_float_denorm_mode_16_64 3
		.amdhsa_dx10_clamp 1
		.amdhsa_ieee_mode 1
		.amdhsa_fp16_overflow 0
		.amdhsa_tg_split 0
		.amdhsa_exception_fp_ieee_invalid_op 0
		.amdhsa_exception_fp_denorm_src 0
		.amdhsa_exception_fp_ieee_div_zero 0
		.amdhsa_exception_fp_ieee_overflow 0
		.amdhsa_exception_fp_ieee_underflow 0
		.amdhsa_exception_fp_ieee_inexact 0
		.amdhsa_exception_int_div_zero 0
	.end_amdhsa_kernel
	.section	.text._ZN7rocprim17ROCPRIM_400000_NS6detail17trampoline_kernelINS0_14default_configENS1_35adjacent_difference_config_selectorILb1ElEEZNS1_24adjacent_difference_implIS3_Lb1ELb0EPlS7_N6thrust23THRUST_200600_302600_NS5minusIlEEEE10hipError_tPvRmT2_T3_mT4_P12ihipStream_tbEUlT_E_NS1_11comp_targetILNS1_3genE4ELNS1_11target_archE910ELNS1_3gpuE8ELNS1_3repE0EEENS1_30default_config_static_selectorELNS0_4arch9wavefront6targetE1EEEvT1_,"axG",@progbits,_ZN7rocprim17ROCPRIM_400000_NS6detail17trampoline_kernelINS0_14default_configENS1_35adjacent_difference_config_selectorILb1ElEEZNS1_24adjacent_difference_implIS3_Lb1ELb0EPlS7_N6thrust23THRUST_200600_302600_NS5minusIlEEEE10hipError_tPvRmT2_T3_mT4_P12ihipStream_tbEUlT_E_NS1_11comp_targetILNS1_3genE4ELNS1_11target_archE910ELNS1_3gpuE8ELNS1_3repE0EEENS1_30default_config_static_selectorELNS0_4arch9wavefront6targetE1EEEvT1_,comdat
.Lfunc_end256:
	.size	_ZN7rocprim17ROCPRIM_400000_NS6detail17trampoline_kernelINS0_14default_configENS1_35adjacent_difference_config_selectorILb1ElEEZNS1_24adjacent_difference_implIS3_Lb1ELb0EPlS7_N6thrust23THRUST_200600_302600_NS5minusIlEEEE10hipError_tPvRmT2_T3_mT4_P12ihipStream_tbEUlT_E_NS1_11comp_targetILNS1_3genE4ELNS1_11target_archE910ELNS1_3gpuE8ELNS1_3repE0EEENS1_30default_config_static_selectorELNS0_4arch9wavefront6targetE1EEEvT1_, .Lfunc_end256-_ZN7rocprim17ROCPRIM_400000_NS6detail17trampoline_kernelINS0_14default_configENS1_35adjacent_difference_config_selectorILb1ElEEZNS1_24adjacent_difference_implIS3_Lb1ELb0EPlS7_N6thrust23THRUST_200600_302600_NS5minusIlEEEE10hipError_tPvRmT2_T3_mT4_P12ihipStream_tbEUlT_E_NS1_11comp_targetILNS1_3genE4ELNS1_11target_archE910ELNS1_3gpuE8ELNS1_3repE0EEENS1_30default_config_static_selectorELNS0_4arch9wavefront6targetE1EEEvT1_
                                        ; -- End function
	.section	.AMDGPU.csdata,"",@progbits
; Kernel info:
; codeLenInByte = 1284
; NumSgprs: 32
; NumVgprs: 14
; NumAgprs: 0
; TotalNumVgprs: 14
; ScratchSize: 0
; MemoryBound: 0
; FloatMode: 240
; IeeeMode: 1
; LDSByteSize: 8448 bytes/workgroup (compile time only)
; SGPRBlocks: 3
; VGPRBlocks: 1
; NumSGPRsForWavesPerEU: 32
; NumVGPRsForWavesPerEU: 14
; AccumOffset: 16
; Occupancy: 8
; WaveLimiterHint : 1
; COMPUTE_PGM_RSRC2:SCRATCH_EN: 0
; COMPUTE_PGM_RSRC2:USER_SGPR: 6
; COMPUTE_PGM_RSRC2:TRAP_HANDLER: 0
; COMPUTE_PGM_RSRC2:TGID_X_EN: 1
; COMPUTE_PGM_RSRC2:TGID_Y_EN: 0
; COMPUTE_PGM_RSRC2:TGID_Z_EN: 0
; COMPUTE_PGM_RSRC2:TIDIG_COMP_CNT: 0
; COMPUTE_PGM_RSRC3_GFX90A:ACCUM_OFFSET: 3
; COMPUTE_PGM_RSRC3_GFX90A:TG_SPLIT: 0
	.section	.text._ZN7rocprim17ROCPRIM_400000_NS6detail17trampoline_kernelINS0_14default_configENS1_35adjacent_difference_config_selectorILb1ElEEZNS1_24adjacent_difference_implIS3_Lb1ELb0EPlS7_N6thrust23THRUST_200600_302600_NS5minusIlEEEE10hipError_tPvRmT2_T3_mT4_P12ihipStream_tbEUlT_E_NS1_11comp_targetILNS1_3genE3ELNS1_11target_archE908ELNS1_3gpuE7ELNS1_3repE0EEENS1_30default_config_static_selectorELNS0_4arch9wavefront6targetE1EEEvT1_,"axG",@progbits,_ZN7rocprim17ROCPRIM_400000_NS6detail17trampoline_kernelINS0_14default_configENS1_35adjacent_difference_config_selectorILb1ElEEZNS1_24adjacent_difference_implIS3_Lb1ELb0EPlS7_N6thrust23THRUST_200600_302600_NS5minusIlEEEE10hipError_tPvRmT2_T3_mT4_P12ihipStream_tbEUlT_E_NS1_11comp_targetILNS1_3genE3ELNS1_11target_archE908ELNS1_3gpuE7ELNS1_3repE0EEENS1_30default_config_static_selectorELNS0_4arch9wavefront6targetE1EEEvT1_,comdat
	.protected	_ZN7rocprim17ROCPRIM_400000_NS6detail17trampoline_kernelINS0_14default_configENS1_35adjacent_difference_config_selectorILb1ElEEZNS1_24adjacent_difference_implIS3_Lb1ELb0EPlS7_N6thrust23THRUST_200600_302600_NS5minusIlEEEE10hipError_tPvRmT2_T3_mT4_P12ihipStream_tbEUlT_E_NS1_11comp_targetILNS1_3genE3ELNS1_11target_archE908ELNS1_3gpuE7ELNS1_3repE0EEENS1_30default_config_static_selectorELNS0_4arch9wavefront6targetE1EEEvT1_ ; -- Begin function _ZN7rocprim17ROCPRIM_400000_NS6detail17trampoline_kernelINS0_14default_configENS1_35adjacent_difference_config_selectorILb1ElEEZNS1_24adjacent_difference_implIS3_Lb1ELb0EPlS7_N6thrust23THRUST_200600_302600_NS5minusIlEEEE10hipError_tPvRmT2_T3_mT4_P12ihipStream_tbEUlT_E_NS1_11comp_targetILNS1_3genE3ELNS1_11target_archE908ELNS1_3gpuE7ELNS1_3repE0EEENS1_30default_config_static_selectorELNS0_4arch9wavefront6targetE1EEEvT1_
	.globl	_ZN7rocprim17ROCPRIM_400000_NS6detail17trampoline_kernelINS0_14default_configENS1_35adjacent_difference_config_selectorILb1ElEEZNS1_24adjacent_difference_implIS3_Lb1ELb0EPlS7_N6thrust23THRUST_200600_302600_NS5minusIlEEEE10hipError_tPvRmT2_T3_mT4_P12ihipStream_tbEUlT_E_NS1_11comp_targetILNS1_3genE3ELNS1_11target_archE908ELNS1_3gpuE7ELNS1_3repE0EEENS1_30default_config_static_selectorELNS0_4arch9wavefront6targetE1EEEvT1_
	.p2align	8
	.type	_ZN7rocprim17ROCPRIM_400000_NS6detail17trampoline_kernelINS0_14default_configENS1_35adjacent_difference_config_selectorILb1ElEEZNS1_24adjacent_difference_implIS3_Lb1ELb0EPlS7_N6thrust23THRUST_200600_302600_NS5minusIlEEEE10hipError_tPvRmT2_T3_mT4_P12ihipStream_tbEUlT_E_NS1_11comp_targetILNS1_3genE3ELNS1_11target_archE908ELNS1_3gpuE7ELNS1_3repE0EEENS1_30default_config_static_selectorELNS0_4arch9wavefront6targetE1EEEvT1_,@function
_ZN7rocprim17ROCPRIM_400000_NS6detail17trampoline_kernelINS0_14default_configENS1_35adjacent_difference_config_selectorILb1ElEEZNS1_24adjacent_difference_implIS3_Lb1ELb0EPlS7_N6thrust23THRUST_200600_302600_NS5minusIlEEEE10hipError_tPvRmT2_T3_mT4_P12ihipStream_tbEUlT_E_NS1_11comp_targetILNS1_3genE3ELNS1_11target_archE908ELNS1_3gpuE7ELNS1_3repE0EEENS1_30default_config_static_selectorELNS0_4arch9wavefront6targetE1EEEvT1_: ; @_ZN7rocprim17ROCPRIM_400000_NS6detail17trampoline_kernelINS0_14default_configENS1_35adjacent_difference_config_selectorILb1ElEEZNS1_24adjacent_difference_implIS3_Lb1ELb0EPlS7_N6thrust23THRUST_200600_302600_NS5minusIlEEEE10hipError_tPvRmT2_T3_mT4_P12ihipStream_tbEUlT_E_NS1_11comp_targetILNS1_3genE3ELNS1_11target_archE908ELNS1_3gpuE7ELNS1_3repE0EEENS1_30default_config_static_selectorELNS0_4arch9wavefront6targetE1EEEvT1_
; %bb.0:
	.section	.rodata,"a",@progbits
	.p2align	6, 0x0
	.amdhsa_kernel _ZN7rocprim17ROCPRIM_400000_NS6detail17trampoline_kernelINS0_14default_configENS1_35adjacent_difference_config_selectorILb1ElEEZNS1_24adjacent_difference_implIS3_Lb1ELb0EPlS7_N6thrust23THRUST_200600_302600_NS5minusIlEEEE10hipError_tPvRmT2_T3_mT4_P12ihipStream_tbEUlT_E_NS1_11comp_targetILNS1_3genE3ELNS1_11target_archE908ELNS1_3gpuE7ELNS1_3repE0EEENS1_30default_config_static_selectorELNS0_4arch9wavefront6targetE1EEEvT1_
		.amdhsa_group_segment_fixed_size 0
		.amdhsa_private_segment_fixed_size 0
		.amdhsa_kernarg_size 56
		.amdhsa_user_sgpr_count 6
		.amdhsa_user_sgpr_private_segment_buffer 1
		.amdhsa_user_sgpr_dispatch_ptr 0
		.amdhsa_user_sgpr_queue_ptr 0
		.amdhsa_user_sgpr_kernarg_segment_ptr 1
		.amdhsa_user_sgpr_dispatch_id 0
		.amdhsa_user_sgpr_flat_scratch_init 0
		.amdhsa_user_sgpr_kernarg_preload_length 0
		.amdhsa_user_sgpr_kernarg_preload_offset 0
		.amdhsa_user_sgpr_private_segment_size 0
		.amdhsa_uses_dynamic_stack 0
		.amdhsa_system_sgpr_private_segment_wavefront_offset 0
		.amdhsa_system_sgpr_workgroup_id_x 1
		.amdhsa_system_sgpr_workgroup_id_y 0
		.amdhsa_system_sgpr_workgroup_id_z 0
		.amdhsa_system_sgpr_workgroup_info 0
		.amdhsa_system_vgpr_workitem_id 0
		.amdhsa_next_free_vgpr 1
		.amdhsa_next_free_sgpr 0
		.amdhsa_accum_offset 4
		.amdhsa_reserve_vcc 0
		.amdhsa_reserve_flat_scratch 0
		.amdhsa_float_round_mode_32 0
		.amdhsa_float_round_mode_16_64 0
		.amdhsa_float_denorm_mode_32 3
		.amdhsa_float_denorm_mode_16_64 3
		.amdhsa_dx10_clamp 1
		.amdhsa_ieee_mode 1
		.amdhsa_fp16_overflow 0
		.amdhsa_tg_split 0
		.amdhsa_exception_fp_ieee_invalid_op 0
		.amdhsa_exception_fp_denorm_src 0
		.amdhsa_exception_fp_ieee_div_zero 0
		.amdhsa_exception_fp_ieee_overflow 0
		.amdhsa_exception_fp_ieee_underflow 0
		.amdhsa_exception_fp_ieee_inexact 0
		.amdhsa_exception_int_div_zero 0
	.end_amdhsa_kernel
	.section	.text._ZN7rocprim17ROCPRIM_400000_NS6detail17trampoline_kernelINS0_14default_configENS1_35adjacent_difference_config_selectorILb1ElEEZNS1_24adjacent_difference_implIS3_Lb1ELb0EPlS7_N6thrust23THRUST_200600_302600_NS5minusIlEEEE10hipError_tPvRmT2_T3_mT4_P12ihipStream_tbEUlT_E_NS1_11comp_targetILNS1_3genE3ELNS1_11target_archE908ELNS1_3gpuE7ELNS1_3repE0EEENS1_30default_config_static_selectorELNS0_4arch9wavefront6targetE1EEEvT1_,"axG",@progbits,_ZN7rocprim17ROCPRIM_400000_NS6detail17trampoline_kernelINS0_14default_configENS1_35adjacent_difference_config_selectorILb1ElEEZNS1_24adjacent_difference_implIS3_Lb1ELb0EPlS7_N6thrust23THRUST_200600_302600_NS5minusIlEEEE10hipError_tPvRmT2_T3_mT4_P12ihipStream_tbEUlT_E_NS1_11comp_targetILNS1_3genE3ELNS1_11target_archE908ELNS1_3gpuE7ELNS1_3repE0EEENS1_30default_config_static_selectorELNS0_4arch9wavefront6targetE1EEEvT1_,comdat
.Lfunc_end257:
	.size	_ZN7rocprim17ROCPRIM_400000_NS6detail17trampoline_kernelINS0_14default_configENS1_35adjacent_difference_config_selectorILb1ElEEZNS1_24adjacent_difference_implIS3_Lb1ELb0EPlS7_N6thrust23THRUST_200600_302600_NS5minusIlEEEE10hipError_tPvRmT2_T3_mT4_P12ihipStream_tbEUlT_E_NS1_11comp_targetILNS1_3genE3ELNS1_11target_archE908ELNS1_3gpuE7ELNS1_3repE0EEENS1_30default_config_static_selectorELNS0_4arch9wavefront6targetE1EEEvT1_, .Lfunc_end257-_ZN7rocprim17ROCPRIM_400000_NS6detail17trampoline_kernelINS0_14default_configENS1_35adjacent_difference_config_selectorILb1ElEEZNS1_24adjacent_difference_implIS3_Lb1ELb0EPlS7_N6thrust23THRUST_200600_302600_NS5minusIlEEEE10hipError_tPvRmT2_T3_mT4_P12ihipStream_tbEUlT_E_NS1_11comp_targetILNS1_3genE3ELNS1_11target_archE908ELNS1_3gpuE7ELNS1_3repE0EEENS1_30default_config_static_selectorELNS0_4arch9wavefront6targetE1EEEvT1_
                                        ; -- End function
	.section	.AMDGPU.csdata,"",@progbits
; Kernel info:
; codeLenInByte = 0
; NumSgprs: 4
; NumVgprs: 0
; NumAgprs: 0
; TotalNumVgprs: 0
; ScratchSize: 0
; MemoryBound: 0
; FloatMode: 240
; IeeeMode: 1
; LDSByteSize: 0 bytes/workgroup (compile time only)
; SGPRBlocks: 0
; VGPRBlocks: 0
; NumSGPRsForWavesPerEU: 4
; NumVGPRsForWavesPerEU: 1
; AccumOffset: 4
; Occupancy: 8
; WaveLimiterHint : 0
; COMPUTE_PGM_RSRC2:SCRATCH_EN: 0
; COMPUTE_PGM_RSRC2:USER_SGPR: 6
; COMPUTE_PGM_RSRC2:TRAP_HANDLER: 0
; COMPUTE_PGM_RSRC2:TGID_X_EN: 1
; COMPUTE_PGM_RSRC2:TGID_Y_EN: 0
; COMPUTE_PGM_RSRC2:TGID_Z_EN: 0
; COMPUTE_PGM_RSRC2:TIDIG_COMP_CNT: 0
; COMPUTE_PGM_RSRC3_GFX90A:ACCUM_OFFSET: 0
; COMPUTE_PGM_RSRC3_GFX90A:TG_SPLIT: 0
	.section	.text._ZN7rocprim17ROCPRIM_400000_NS6detail17trampoline_kernelINS0_14default_configENS1_35adjacent_difference_config_selectorILb1ElEEZNS1_24adjacent_difference_implIS3_Lb1ELb0EPlS7_N6thrust23THRUST_200600_302600_NS5minusIlEEEE10hipError_tPvRmT2_T3_mT4_P12ihipStream_tbEUlT_E_NS1_11comp_targetILNS1_3genE2ELNS1_11target_archE906ELNS1_3gpuE6ELNS1_3repE0EEENS1_30default_config_static_selectorELNS0_4arch9wavefront6targetE1EEEvT1_,"axG",@progbits,_ZN7rocprim17ROCPRIM_400000_NS6detail17trampoline_kernelINS0_14default_configENS1_35adjacent_difference_config_selectorILb1ElEEZNS1_24adjacent_difference_implIS3_Lb1ELb0EPlS7_N6thrust23THRUST_200600_302600_NS5minusIlEEEE10hipError_tPvRmT2_T3_mT4_P12ihipStream_tbEUlT_E_NS1_11comp_targetILNS1_3genE2ELNS1_11target_archE906ELNS1_3gpuE6ELNS1_3repE0EEENS1_30default_config_static_selectorELNS0_4arch9wavefront6targetE1EEEvT1_,comdat
	.protected	_ZN7rocprim17ROCPRIM_400000_NS6detail17trampoline_kernelINS0_14default_configENS1_35adjacent_difference_config_selectorILb1ElEEZNS1_24adjacent_difference_implIS3_Lb1ELb0EPlS7_N6thrust23THRUST_200600_302600_NS5minusIlEEEE10hipError_tPvRmT2_T3_mT4_P12ihipStream_tbEUlT_E_NS1_11comp_targetILNS1_3genE2ELNS1_11target_archE906ELNS1_3gpuE6ELNS1_3repE0EEENS1_30default_config_static_selectorELNS0_4arch9wavefront6targetE1EEEvT1_ ; -- Begin function _ZN7rocprim17ROCPRIM_400000_NS6detail17trampoline_kernelINS0_14default_configENS1_35adjacent_difference_config_selectorILb1ElEEZNS1_24adjacent_difference_implIS3_Lb1ELb0EPlS7_N6thrust23THRUST_200600_302600_NS5minusIlEEEE10hipError_tPvRmT2_T3_mT4_P12ihipStream_tbEUlT_E_NS1_11comp_targetILNS1_3genE2ELNS1_11target_archE906ELNS1_3gpuE6ELNS1_3repE0EEENS1_30default_config_static_selectorELNS0_4arch9wavefront6targetE1EEEvT1_
	.globl	_ZN7rocprim17ROCPRIM_400000_NS6detail17trampoline_kernelINS0_14default_configENS1_35adjacent_difference_config_selectorILb1ElEEZNS1_24adjacent_difference_implIS3_Lb1ELb0EPlS7_N6thrust23THRUST_200600_302600_NS5minusIlEEEE10hipError_tPvRmT2_T3_mT4_P12ihipStream_tbEUlT_E_NS1_11comp_targetILNS1_3genE2ELNS1_11target_archE906ELNS1_3gpuE6ELNS1_3repE0EEENS1_30default_config_static_selectorELNS0_4arch9wavefront6targetE1EEEvT1_
	.p2align	8
	.type	_ZN7rocprim17ROCPRIM_400000_NS6detail17trampoline_kernelINS0_14default_configENS1_35adjacent_difference_config_selectorILb1ElEEZNS1_24adjacent_difference_implIS3_Lb1ELb0EPlS7_N6thrust23THRUST_200600_302600_NS5minusIlEEEE10hipError_tPvRmT2_T3_mT4_P12ihipStream_tbEUlT_E_NS1_11comp_targetILNS1_3genE2ELNS1_11target_archE906ELNS1_3gpuE6ELNS1_3repE0EEENS1_30default_config_static_selectorELNS0_4arch9wavefront6targetE1EEEvT1_,@function
_ZN7rocprim17ROCPRIM_400000_NS6detail17trampoline_kernelINS0_14default_configENS1_35adjacent_difference_config_selectorILb1ElEEZNS1_24adjacent_difference_implIS3_Lb1ELb0EPlS7_N6thrust23THRUST_200600_302600_NS5minusIlEEEE10hipError_tPvRmT2_T3_mT4_P12ihipStream_tbEUlT_E_NS1_11comp_targetILNS1_3genE2ELNS1_11target_archE906ELNS1_3gpuE6ELNS1_3repE0EEENS1_30default_config_static_selectorELNS0_4arch9wavefront6targetE1EEEvT1_: ; @_ZN7rocprim17ROCPRIM_400000_NS6detail17trampoline_kernelINS0_14default_configENS1_35adjacent_difference_config_selectorILb1ElEEZNS1_24adjacent_difference_implIS3_Lb1ELb0EPlS7_N6thrust23THRUST_200600_302600_NS5minusIlEEEE10hipError_tPvRmT2_T3_mT4_P12ihipStream_tbEUlT_E_NS1_11comp_targetILNS1_3genE2ELNS1_11target_archE906ELNS1_3gpuE6ELNS1_3repE0EEENS1_30default_config_static_selectorELNS0_4arch9wavefront6targetE1EEEvT1_
; %bb.0:
	.section	.rodata,"a",@progbits
	.p2align	6, 0x0
	.amdhsa_kernel _ZN7rocprim17ROCPRIM_400000_NS6detail17trampoline_kernelINS0_14default_configENS1_35adjacent_difference_config_selectorILb1ElEEZNS1_24adjacent_difference_implIS3_Lb1ELb0EPlS7_N6thrust23THRUST_200600_302600_NS5minusIlEEEE10hipError_tPvRmT2_T3_mT4_P12ihipStream_tbEUlT_E_NS1_11comp_targetILNS1_3genE2ELNS1_11target_archE906ELNS1_3gpuE6ELNS1_3repE0EEENS1_30default_config_static_selectorELNS0_4arch9wavefront6targetE1EEEvT1_
		.amdhsa_group_segment_fixed_size 0
		.amdhsa_private_segment_fixed_size 0
		.amdhsa_kernarg_size 56
		.amdhsa_user_sgpr_count 6
		.amdhsa_user_sgpr_private_segment_buffer 1
		.amdhsa_user_sgpr_dispatch_ptr 0
		.amdhsa_user_sgpr_queue_ptr 0
		.amdhsa_user_sgpr_kernarg_segment_ptr 1
		.amdhsa_user_sgpr_dispatch_id 0
		.amdhsa_user_sgpr_flat_scratch_init 0
		.amdhsa_user_sgpr_kernarg_preload_length 0
		.amdhsa_user_sgpr_kernarg_preload_offset 0
		.amdhsa_user_sgpr_private_segment_size 0
		.amdhsa_uses_dynamic_stack 0
		.amdhsa_system_sgpr_private_segment_wavefront_offset 0
		.amdhsa_system_sgpr_workgroup_id_x 1
		.amdhsa_system_sgpr_workgroup_id_y 0
		.amdhsa_system_sgpr_workgroup_id_z 0
		.amdhsa_system_sgpr_workgroup_info 0
		.amdhsa_system_vgpr_workitem_id 0
		.amdhsa_next_free_vgpr 1
		.amdhsa_next_free_sgpr 0
		.amdhsa_accum_offset 4
		.amdhsa_reserve_vcc 0
		.amdhsa_reserve_flat_scratch 0
		.amdhsa_float_round_mode_32 0
		.amdhsa_float_round_mode_16_64 0
		.amdhsa_float_denorm_mode_32 3
		.amdhsa_float_denorm_mode_16_64 3
		.amdhsa_dx10_clamp 1
		.amdhsa_ieee_mode 1
		.amdhsa_fp16_overflow 0
		.amdhsa_tg_split 0
		.amdhsa_exception_fp_ieee_invalid_op 0
		.amdhsa_exception_fp_denorm_src 0
		.amdhsa_exception_fp_ieee_div_zero 0
		.amdhsa_exception_fp_ieee_overflow 0
		.amdhsa_exception_fp_ieee_underflow 0
		.amdhsa_exception_fp_ieee_inexact 0
		.amdhsa_exception_int_div_zero 0
	.end_amdhsa_kernel
	.section	.text._ZN7rocprim17ROCPRIM_400000_NS6detail17trampoline_kernelINS0_14default_configENS1_35adjacent_difference_config_selectorILb1ElEEZNS1_24adjacent_difference_implIS3_Lb1ELb0EPlS7_N6thrust23THRUST_200600_302600_NS5minusIlEEEE10hipError_tPvRmT2_T3_mT4_P12ihipStream_tbEUlT_E_NS1_11comp_targetILNS1_3genE2ELNS1_11target_archE906ELNS1_3gpuE6ELNS1_3repE0EEENS1_30default_config_static_selectorELNS0_4arch9wavefront6targetE1EEEvT1_,"axG",@progbits,_ZN7rocprim17ROCPRIM_400000_NS6detail17trampoline_kernelINS0_14default_configENS1_35adjacent_difference_config_selectorILb1ElEEZNS1_24adjacent_difference_implIS3_Lb1ELb0EPlS7_N6thrust23THRUST_200600_302600_NS5minusIlEEEE10hipError_tPvRmT2_T3_mT4_P12ihipStream_tbEUlT_E_NS1_11comp_targetILNS1_3genE2ELNS1_11target_archE906ELNS1_3gpuE6ELNS1_3repE0EEENS1_30default_config_static_selectorELNS0_4arch9wavefront6targetE1EEEvT1_,comdat
.Lfunc_end258:
	.size	_ZN7rocprim17ROCPRIM_400000_NS6detail17trampoline_kernelINS0_14default_configENS1_35adjacent_difference_config_selectorILb1ElEEZNS1_24adjacent_difference_implIS3_Lb1ELb0EPlS7_N6thrust23THRUST_200600_302600_NS5minusIlEEEE10hipError_tPvRmT2_T3_mT4_P12ihipStream_tbEUlT_E_NS1_11comp_targetILNS1_3genE2ELNS1_11target_archE906ELNS1_3gpuE6ELNS1_3repE0EEENS1_30default_config_static_selectorELNS0_4arch9wavefront6targetE1EEEvT1_, .Lfunc_end258-_ZN7rocprim17ROCPRIM_400000_NS6detail17trampoline_kernelINS0_14default_configENS1_35adjacent_difference_config_selectorILb1ElEEZNS1_24adjacent_difference_implIS3_Lb1ELb0EPlS7_N6thrust23THRUST_200600_302600_NS5minusIlEEEE10hipError_tPvRmT2_T3_mT4_P12ihipStream_tbEUlT_E_NS1_11comp_targetILNS1_3genE2ELNS1_11target_archE906ELNS1_3gpuE6ELNS1_3repE0EEENS1_30default_config_static_selectorELNS0_4arch9wavefront6targetE1EEEvT1_
                                        ; -- End function
	.section	.AMDGPU.csdata,"",@progbits
; Kernel info:
; codeLenInByte = 0
; NumSgprs: 4
; NumVgprs: 0
; NumAgprs: 0
; TotalNumVgprs: 0
; ScratchSize: 0
; MemoryBound: 0
; FloatMode: 240
; IeeeMode: 1
; LDSByteSize: 0 bytes/workgroup (compile time only)
; SGPRBlocks: 0
; VGPRBlocks: 0
; NumSGPRsForWavesPerEU: 4
; NumVGPRsForWavesPerEU: 1
; AccumOffset: 4
; Occupancy: 8
; WaveLimiterHint : 0
; COMPUTE_PGM_RSRC2:SCRATCH_EN: 0
; COMPUTE_PGM_RSRC2:USER_SGPR: 6
; COMPUTE_PGM_RSRC2:TRAP_HANDLER: 0
; COMPUTE_PGM_RSRC2:TGID_X_EN: 1
; COMPUTE_PGM_RSRC2:TGID_Y_EN: 0
; COMPUTE_PGM_RSRC2:TGID_Z_EN: 0
; COMPUTE_PGM_RSRC2:TIDIG_COMP_CNT: 0
; COMPUTE_PGM_RSRC3_GFX90A:ACCUM_OFFSET: 0
; COMPUTE_PGM_RSRC3_GFX90A:TG_SPLIT: 0
	.section	.text._ZN7rocprim17ROCPRIM_400000_NS6detail17trampoline_kernelINS0_14default_configENS1_35adjacent_difference_config_selectorILb1ElEEZNS1_24adjacent_difference_implIS3_Lb1ELb0EPlS7_N6thrust23THRUST_200600_302600_NS5minusIlEEEE10hipError_tPvRmT2_T3_mT4_P12ihipStream_tbEUlT_E_NS1_11comp_targetILNS1_3genE9ELNS1_11target_archE1100ELNS1_3gpuE3ELNS1_3repE0EEENS1_30default_config_static_selectorELNS0_4arch9wavefront6targetE1EEEvT1_,"axG",@progbits,_ZN7rocprim17ROCPRIM_400000_NS6detail17trampoline_kernelINS0_14default_configENS1_35adjacent_difference_config_selectorILb1ElEEZNS1_24adjacent_difference_implIS3_Lb1ELb0EPlS7_N6thrust23THRUST_200600_302600_NS5minusIlEEEE10hipError_tPvRmT2_T3_mT4_P12ihipStream_tbEUlT_E_NS1_11comp_targetILNS1_3genE9ELNS1_11target_archE1100ELNS1_3gpuE3ELNS1_3repE0EEENS1_30default_config_static_selectorELNS0_4arch9wavefront6targetE1EEEvT1_,comdat
	.protected	_ZN7rocprim17ROCPRIM_400000_NS6detail17trampoline_kernelINS0_14default_configENS1_35adjacent_difference_config_selectorILb1ElEEZNS1_24adjacent_difference_implIS3_Lb1ELb0EPlS7_N6thrust23THRUST_200600_302600_NS5minusIlEEEE10hipError_tPvRmT2_T3_mT4_P12ihipStream_tbEUlT_E_NS1_11comp_targetILNS1_3genE9ELNS1_11target_archE1100ELNS1_3gpuE3ELNS1_3repE0EEENS1_30default_config_static_selectorELNS0_4arch9wavefront6targetE1EEEvT1_ ; -- Begin function _ZN7rocprim17ROCPRIM_400000_NS6detail17trampoline_kernelINS0_14default_configENS1_35adjacent_difference_config_selectorILb1ElEEZNS1_24adjacent_difference_implIS3_Lb1ELb0EPlS7_N6thrust23THRUST_200600_302600_NS5minusIlEEEE10hipError_tPvRmT2_T3_mT4_P12ihipStream_tbEUlT_E_NS1_11comp_targetILNS1_3genE9ELNS1_11target_archE1100ELNS1_3gpuE3ELNS1_3repE0EEENS1_30default_config_static_selectorELNS0_4arch9wavefront6targetE1EEEvT1_
	.globl	_ZN7rocprim17ROCPRIM_400000_NS6detail17trampoline_kernelINS0_14default_configENS1_35adjacent_difference_config_selectorILb1ElEEZNS1_24adjacent_difference_implIS3_Lb1ELb0EPlS7_N6thrust23THRUST_200600_302600_NS5minusIlEEEE10hipError_tPvRmT2_T3_mT4_P12ihipStream_tbEUlT_E_NS1_11comp_targetILNS1_3genE9ELNS1_11target_archE1100ELNS1_3gpuE3ELNS1_3repE0EEENS1_30default_config_static_selectorELNS0_4arch9wavefront6targetE1EEEvT1_
	.p2align	8
	.type	_ZN7rocprim17ROCPRIM_400000_NS6detail17trampoline_kernelINS0_14default_configENS1_35adjacent_difference_config_selectorILb1ElEEZNS1_24adjacent_difference_implIS3_Lb1ELb0EPlS7_N6thrust23THRUST_200600_302600_NS5minusIlEEEE10hipError_tPvRmT2_T3_mT4_P12ihipStream_tbEUlT_E_NS1_11comp_targetILNS1_3genE9ELNS1_11target_archE1100ELNS1_3gpuE3ELNS1_3repE0EEENS1_30default_config_static_selectorELNS0_4arch9wavefront6targetE1EEEvT1_,@function
_ZN7rocprim17ROCPRIM_400000_NS6detail17trampoline_kernelINS0_14default_configENS1_35adjacent_difference_config_selectorILb1ElEEZNS1_24adjacent_difference_implIS3_Lb1ELb0EPlS7_N6thrust23THRUST_200600_302600_NS5minusIlEEEE10hipError_tPvRmT2_T3_mT4_P12ihipStream_tbEUlT_E_NS1_11comp_targetILNS1_3genE9ELNS1_11target_archE1100ELNS1_3gpuE3ELNS1_3repE0EEENS1_30default_config_static_selectorELNS0_4arch9wavefront6targetE1EEEvT1_: ; @_ZN7rocprim17ROCPRIM_400000_NS6detail17trampoline_kernelINS0_14default_configENS1_35adjacent_difference_config_selectorILb1ElEEZNS1_24adjacent_difference_implIS3_Lb1ELb0EPlS7_N6thrust23THRUST_200600_302600_NS5minusIlEEEE10hipError_tPvRmT2_T3_mT4_P12ihipStream_tbEUlT_E_NS1_11comp_targetILNS1_3genE9ELNS1_11target_archE1100ELNS1_3gpuE3ELNS1_3repE0EEENS1_30default_config_static_selectorELNS0_4arch9wavefront6targetE1EEEvT1_
; %bb.0:
	.section	.rodata,"a",@progbits
	.p2align	6, 0x0
	.amdhsa_kernel _ZN7rocprim17ROCPRIM_400000_NS6detail17trampoline_kernelINS0_14default_configENS1_35adjacent_difference_config_selectorILb1ElEEZNS1_24adjacent_difference_implIS3_Lb1ELb0EPlS7_N6thrust23THRUST_200600_302600_NS5minusIlEEEE10hipError_tPvRmT2_T3_mT4_P12ihipStream_tbEUlT_E_NS1_11comp_targetILNS1_3genE9ELNS1_11target_archE1100ELNS1_3gpuE3ELNS1_3repE0EEENS1_30default_config_static_selectorELNS0_4arch9wavefront6targetE1EEEvT1_
		.amdhsa_group_segment_fixed_size 0
		.amdhsa_private_segment_fixed_size 0
		.amdhsa_kernarg_size 56
		.amdhsa_user_sgpr_count 6
		.amdhsa_user_sgpr_private_segment_buffer 1
		.amdhsa_user_sgpr_dispatch_ptr 0
		.amdhsa_user_sgpr_queue_ptr 0
		.amdhsa_user_sgpr_kernarg_segment_ptr 1
		.amdhsa_user_sgpr_dispatch_id 0
		.amdhsa_user_sgpr_flat_scratch_init 0
		.amdhsa_user_sgpr_kernarg_preload_length 0
		.amdhsa_user_sgpr_kernarg_preload_offset 0
		.amdhsa_user_sgpr_private_segment_size 0
		.amdhsa_uses_dynamic_stack 0
		.amdhsa_system_sgpr_private_segment_wavefront_offset 0
		.amdhsa_system_sgpr_workgroup_id_x 1
		.amdhsa_system_sgpr_workgroup_id_y 0
		.amdhsa_system_sgpr_workgroup_id_z 0
		.amdhsa_system_sgpr_workgroup_info 0
		.amdhsa_system_vgpr_workitem_id 0
		.amdhsa_next_free_vgpr 1
		.amdhsa_next_free_sgpr 0
		.amdhsa_accum_offset 4
		.amdhsa_reserve_vcc 0
		.amdhsa_reserve_flat_scratch 0
		.amdhsa_float_round_mode_32 0
		.amdhsa_float_round_mode_16_64 0
		.amdhsa_float_denorm_mode_32 3
		.amdhsa_float_denorm_mode_16_64 3
		.amdhsa_dx10_clamp 1
		.amdhsa_ieee_mode 1
		.amdhsa_fp16_overflow 0
		.amdhsa_tg_split 0
		.amdhsa_exception_fp_ieee_invalid_op 0
		.amdhsa_exception_fp_denorm_src 0
		.amdhsa_exception_fp_ieee_div_zero 0
		.amdhsa_exception_fp_ieee_overflow 0
		.amdhsa_exception_fp_ieee_underflow 0
		.amdhsa_exception_fp_ieee_inexact 0
		.amdhsa_exception_int_div_zero 0
	.end_amdhsa_kernel
	.section	.text._ZN7rocprim17ROCPRIM_400000_NS6detail17trampoline_kernelINS0_14default_configENS1_35adjacent_difference_config_selectorILb1ElEEZNS1_24adjacent_difference_implIS3_Lb1ELb0EPlS7_N6thrust23THRUST_200600_302600_NS5minusIlEEEE10hipError_tPvRmT2_T3_mT4_P12ihipStream_tbEUlT_E_NS1_11comp_targetILNS1_3genE9ELNS1_11target_archE1100ELNS1_3gpuE3ELNS1_3repE0EEENS1_30default_config_static_selectorELNS0_4arch9wavefront6targetE1EEEvT1_,"axG",@progbits,_ZN7rocprim17ROCPRIM_400000_NS6detail17trampoline_kernelINS0_14default_configENS1_35adjacent_difference_config_selectorILb1ElEEZNS1_24adjacent_difference_implIS3_Lb1ELb0EPlS7_N6thrust23THRUST_200600_302600_NS5minusIlEEEE10hipError_tPvRmT2_T3_mT4_P12ihipStream_tbEUlT_E_NS1_11comp_targetILNS1_3genE9ELNS1_11target_archE1100ELNS1_3gpuE3ELNS1_3repE0EEENS1_30default_config_static_selectorELNS0_4arch9wavefront6targetE1EEEvT1_,comdat
.Lfunc_end259:
	.size	_ZN7rocprim17ROCPRIM_400000_NS6detail17trampoline_kernelINS0_14default_configENS1_35adjacent_difference_config_selectorILb1ElEEZNS1_24adjacent_difference_implIS3_Lb1ELb0EPlS7_N6thrust23THRUST_200600_302600_NS5minusIlEEEE10hipError_tPvRmT2_T3_mT4_P12ihipStream_tbEUlT_E_NS1_11comp_targetILNS1_3genE9ELNS1_11target_archE1100ELNS1_3gpuE3ELNS1_3repE0EEENS1_30default_config_static_selectorELNS0_4arch9wavefront6targetE1EEEvT1_, .Lfunc_end259-_ZN7rocprim17ROCPRIM_400000_NS6detail17trampoline_kernelINS0_14default_configENS1_35adjacent_difference_config_selectorILb1ElEEZNS1_24adjacent_difference_implIS3_Lb1ELb0EPlS7_N6thrust23THRUST_200600_302600_NS5minusIlEEEE10hipError_tPvRmT2_T3_mT4_P12ihipStream_tbEUlT_E_NS1_11comp_targetILNS1_3genE9ELNS1_11target_archE1100ELNS1_3gpuE3ELNS1_3repE0EEENS1_30default_config_static_selectorELNS0_4arch9wavefront6targetE1EEEvT1_
                                        ; -- End function
	.section	.AMDGPU.csdata,"",@progbits
; Kernel info:
; codeLenInByte = 0
; NumSgprs: 4
; NumVgprs: 0
; NumAgprs: 0
; TotalNumVgprs: 0
; ScratchSize: 0
; MemoryBound: 0
; FloatMode: 240
; IeeeMode: 1
; LDSByteSize: 0 bytes/workgroup (compile time only)
; SGPRBlocks: 0
; VGPRBlocks: 0
; NumSGPRsForWavesPerEU: 4
; NumVGPRsForWavesPerEU: 1
; AccumOffset: 4
; Occupancy: 8
; WaveLimiterHint : 0
; COMPUTE_PGM_RSRC2:SCRATCH_EN: 0
; COMPUTE_PGM_RSRC2:USER_SGPR: 6
; COMPUTE_PGM_RSRC2:TRAP_HANDLER: 0
; COMPUTE_PGM_RSRC2:TGID_X_EN: 1
; COMPUTE_PGM_RSRC2:TGID_Y_EN: 0
; COMPUTE_PGM_RSRC2:TGID_Z_EN: 0
; COMPUTE_PGM_RSRC2:TIDIG_COMP_CNT: 0
; COMPUTE_PGM_RSRC3_GFX90A:ACCUM_OFFSET: 0
; COMPUTE_PGM_RSRC3_GFX90A:TG_SPLIT: 0
	.section	.text._ZN7rocprim17ROCPRIM_400000_NS6detail17trampoline_kernelINS0_14default_configENS1_35adjacent_difference_config_selectorILb1ElEEZNS1_24adjacent_difference_implIS3_Lb1ELb0EPlS7_N6thrust23THRUST_200600_302600_NS5minusIlEEEE10hipError_tPvRmT2_T3_mT4_P12ihipStream_tbEUlT_E_NS1_11comp_targetILNS1_3genE8ELNS1_11target_archE1030ELNS1_3gpuE2ELNS1_3repE0EEENS1_30default_config_static_selectorELNS0_4arch9wavefront6targetE1EEEvT1_,"axG",@progbits,_ZN7rocprim17ROCPRIM_400000_NS6detail17trampoline_kernelINS0_14default_configENS1_35adjacent_difference_config_selectorILb1ElEEZNS1_24adjacent_difference_implIS3_Lb1ELb0EPlS7_N6thrust23THRUST_200600_302600_NS5minusIlEEEE10hipError_tPvRmT2_T3_mT4_P12ihipStream_tbEUlT_E_NS1_11comp_targetILNS1_3genE8ELNS1_11target_archE1030ELNS1_3gpuE2ELNS1_3repE0EEENS1_30default_config_static_selectorELNS0_4arch9wavefront6targetE1EEEvT1_,comdat
	.protected	_ZN7rocprim17ROCPRIM_400000_NS6detail17trampoline_kernelINS0_14default_configENS1_35adjacent_difference_config_selectorILb1ElEEZNS1_24adjacent_difference_implIS3_Lb1ELb0EPlS7_N6thrust23THRUST_200600_302600_NS5minusIlEEEE10hipError_tPvRmT2_T3_mT4_P12ihipStream_tbEUlT_E_NS1_11comp_targetILNS1_3genE8ELNS1_11target_archE1030ELNS1_3gpuE2ELNS1_3repE0EEENS1_30default_config_static_selectorELNS0_4arch9wavefront6targetE1EEEvT1_ ; -- Begin function _ZN7rocprim17ROCPRIM_400000_NS6detail17trampoline_kernelINS0_14default_configENS1_35adjacent_difference_config_selectorILb1ElEEZNS1_24adjacent_difference_implIS3_Lb1ELb0EPlS7_N6thrust23THRUST_200600_302600_NS5minusIlEEEE10hipError_tPvRmT2_T3_mT4_P12ihipStream_tbEUlT_E_NS1_11comp_targetILNS1_3genE8ELNS1_11target_archE1030ELNS1_3gpuE2ELNS1_3repE0EEENS1_30default_config_static_selectorELNS0_4arch9wavefront6targetE1EEEvT1_
	.globl	_ZN7rocprim17ROCPRIM_400000_NS6detail17trampoline_kernelINS0_14default_configENS1_35adjacent_difference_config_selectorILb1ElEEZNS1_24adjacent_difference_implIS3_Lb1ELb0EPlS7_N6thrust23THRUST_200600_302600_NS5minusIlEEEE10hipError_tPvRmT2_T3_mT4_P12ihipStream_tbEUlT_E_NS1_11comp_targetILNS1_3genE8ELNS1_11target_archE1030ELNS1_3gpuE2ELNS1_3repE0EEENS1_30default_config_static_selectorELNS0_4arch9wavefront6targetE1EEEvT1_
	.p2align	8
	.type	_ZN7rocprim17ROCPRIM_400000_NS6detail17trampoline_kernelINS0_14default_configENS1_35adjacent_difference_config_selectorILb1ElEEZNS1_24adjacent_difference_implIS3_Lb1ELb0EPlS7_N6thrust23THRUST_200600_302600_NS5minusIlEEEE10hipError_tPvRmT2_T3_mT4_P12ihipStream_tbEUlT_E_NS1_11comp_targetILNS1_3genE8ELNS1_11target_archE1030ELNS1_3gpuE2ELNS1_3repE0EEENS1_30default_config_static_selectorELNS0_4arch9wavefront6targetE1EEEvT1_,@function
_ZN7rocprim17ROCPRIM_400000_NS6detail17trampoline_kernelINS0_14default_configENS1_35adjacent_difference_config_selectorILb1ElEEZNS1_24adjacent_difference_implIS3_Lb1ELb0EPlS7_N6thrust23THRUST_200600_302600_NS5minusIlEEEE10hipError_tPvRmT2_T3_mT4_P12ihipStream_tbEUlT_E_NS1_11comp_targetILNS1_3genE8ELNS1_11target_archE1030ELNS1_3gpuE2ELNS1_3repE0EEENS1_30default_config_static_selectorELNS0_4arch9wavefront6targetE1EEEvT1_: ; @_ZN7rocprim17ROCPRIM_400000_NS6detail17trampoline_kernelINS0_14default_configENS1_35adjacent_difference_config_selectorILb1ElEEZNS1_24adjacent_difference_implIS3_Lb1ELb0EPlS7_N6thrust23THRUST_200600_302600_NS5minusIlEEEE10hipError_tPvRmT2_T3_mT4_P12ihipStream_tbEUlT_E_NS1_11comp_targetILNS1_3genE8ELNS1_11target_archE1030ELNS1_3gpuE2ELNS1_3repE0EEENS1_30default_config_static_selectorELNS0_4arch9wavefront6targetE1EEEvT1_
; %bb.0:
	.section	.rodata,"a",@progbits
	.p2align	6, 0x0
	.amdhsa_kernel _ZN7rocprim17ROCPRIM_400000_NS6detail17trampoline_kernelINS0_14default_configENS1_35adjacent_difference_config_selectorILb1ElEEZNS1_24adjacent_difference_implIS3_Lb1ELb0EPlS7_N6thrust23THRUST_200600_302600_NS5minusIlEEEE10hipError_tPvRmT2_T3_mT4_P12ihipStream_tbEUlT_E_NS1_11comp_targetILNS1_3genE8ELNS1_11target_archE1030ELNS1_3gpuE2ELNS1_3repE0EEENS1_30default_config_static_selectorELNS0_4arch9wavefront6targetE1EEEvT1_
		.amdhsa_group_segment_fixed_size 0
		.amdhsa_private_segment_fixed_size 0
		.amdhsa_kernarg_size 56
		.amdhsa_user_sgpr_count 6
		.amdhsa_user_sgpr_private_segment_buffer 1
		.amdhsa_user_sgpr_dispatch_ptr 0
		.amdhsa_user_sgpr_queue_ptr 0
		.amdhsa_user_sgpr_kernarg_segment_ptr 1
		.amdhsa_user_sgpr_dispatch_id 0
		.amdhsa_user_sgpr_flat_scratch_init 0
		.amdhsa_user_sgpr_kernarg_preload_length 0
		.amdhsa_user_sgpr_kernarg_preload_offset 0
		.amdhsa_user_sgpr_private_segment_size 0
		.amdhsa_uses_dynamic_stack 0
		.amdhsa_system_sgpr_private_segment_wavefront_offset 0
		.amdhsa_system_sgpr_workgroup_id_x 1
		.amdhsa_system_sgpr_workgroup_id_y 0
		.amdhsa_system_sgpr_workgroup_id_z 0
		.amdhsa_system_sgpr_workgroup_info 0
		.amdhsa_system_vgpr_workitem_id 0
		.amdhsa_next_free_vgpr 1
		.amdhsa_next_free_sgpr 0
		.amdhsa_accum_offset 4
		.amdhsa_reserve_vcc 0
		.amdhsa_reserve_flat_scratch 0
		.amdhsa_float_round_mode_32 0
		.amdhsa_float_round_mode_16_64 0
		.amdhsa_float_denorm_mode_32 3
		.amdhsa_float_denorm_mode_16_64 3
		.amdhsa_dx10_clamp 1
		.amdhsa_ieee_mode 1
		.amdhsa_fp16_overflow 0
		.amdhsa_tg_split 0
		.amdhsa_exception_fp_ieee_invalid_op 0
		.amdhsa_exception_fp_denorm_src 0
		.amdhsa_exception_fp_ieee_div_zero 0
		.amdhsa_exception_fp_ieee_overflow 0
		.amdhsa_exception_fp_ieee_underflow 0
		.amdhsa_exception_fp_ieee_inexact 0
		.amdhsa_exception_int_div_zero 0
	.end_amdhsa_kernel
	.section	.text._ZN7rocprim17ROCPRIM_400000_NS6detail17trampoline_kernelINS0_14default_configENS1_35adjacent_difference_config_selectorILb1ElEEZNS1_24adjacent_difference_implIS3_Lb1ELb0EPlS7_N6thrust23THRUST_200600_302600_NS5minusIlEEEE10hipError_tPvRmT2_T3_mT4_P12ihipStream_tbEUlT_E_NS1_11comp_targetILNS1_3genE8ELNS1_11target_archE1030ELNS1_3gpuE2ELNS1_3repE0EEENS1_30default_config_static_selectorELNS0_4arch9wavefront6targetE1EEEvT1_,"axG",@progbits,_ZN7rocprim17ROCPRIM_400000_NS6detail17trampoline_kernelINS0_14default_configENS1_35adjacent_difference_config_selectorILb1ElEEZNS1_24adjacent_difference_implIS3_Lb1ELb0EPlS7_N6thrust23THRUST_200600_302600_NS5minusIlEEEE10hipError_tPvRmT2_T3_mT4_P12ihipStream_tbEUlT_E_NS1_11comp_targetILNS1_3genE8ELNS1_11target_archE1030ELNS1_3gpuE2ELNS1_3repE0EEENS1_30default_config_static_selectorELNS0_4arch9wavefront6targetE1EEEvT1_,comdat
.Lfunc_end260:
	.size	_ZN7rocprim17ROCPRIM_400000_NS6detail17trampoline_kernelINS0_14default_configENS1_35adjacent_difference_config_selectorILb1ElEEZNS1_24adjacent_difference_implIS3_Lb1ELb0EPlS7_N6thrust23THRUST_200600_302600_NS5minusIlEEEE10hipError_tPvRmT2_T3_mT4_P12ihipStream_tbEUlT_E_NS1_11comp_targetILNS1_3genE8ELNS1_11target_archE1030ELNS1_3gpuE2ELNS1_3repE0EEENS1_30default_config_static_selectorELNS0_4arch9wavefront6targetE1EEEvT1_, .Lfunc_end260-_ZN7rocprim17ROCPRIM_400000_NS6detail17trampoline_kernelINS0_14default_configENS1_35adjacent_difference_config_selectorILb1ElEEZNS1_24adjacent_difference_implIS3_Lb1ELb0EPlS7_N6thrust23THRUST_200600_302600_NS5minusIlEEEE10hipError_tPvRmT2_T3_mT4_P12ihipStream_tbEUlT_E_NS1_11comp_targetILNS1_3genE8ELNS1_11target_archE1030ELNS1_3gpuE2ELNS1_3repE0EEENS1_30default_config_static_selectorELNS0_4arch9wavefront6targetE1EEEvT1_
                                        ; -- End function
	.section	.AMDGPU.csdata,"",@progbits
; Kernel info:
; codeLenInByte = 0
; NumSgprs: 4
; NumVgprs: 0
; NumAgprs: 0
; TotalNumVgprs: 0
; ScratchSize: 0
; MemoryBound: 0
; FloatMode: 240
; IeeeMode: 1
; LDSByteSize: 0 bytes/workgroup (compile time only)
; SGPRBlocks: 0
; VGPRBlocks: 0
; NumSGPRsForWavesPerEU: 4
; NumVGPRsForWavesPerEU: 1
; AccumOffset: 4
; Occupancy: 8
; WaveLimiterHint : 0
; COMPUTE_PGM_RSRC2:SCRATCH_EN: 0
; COMPUTE_PGM_RSRC2:USER_SGPR: 6
; COMPUTE_PGM_RSRC2:TRAP_HANDLER: 0
; COMPUTE_PGM_RSRC2:TGID_X_EN: 1
; COMPUTE_PGM_RSRC2:TGID_Y_EN: 0
; COMPUTE_PGM_RSRC2:TGID_Z_EN: 0
; COMPUTE_PGM_RSRC2:TIDIG_COMP_CNT: 0
; COMPUTE_PGM_RSRC3_GFX90A:ACCUM_OFFSET: 0
; COMPUTE_PGM_RSRC3_GFX90A:TG_SPLIT: 0
	.section	.text._ZN7rocprim17ROCPRIM_400000_NS6detail17trampoline_kernelINS0_14default_configENS1_37merge_sort_block_sort_config_selectorIlNS0_10empty_typeEEEZNS1_21merge_sort_block_sortIS3_PlS8_PS5_S9_ZN2at6native12_GLOBAL__N_124unique_dim_cuda_templateIaEESt5tupleIJNSA_6TensorESF_SF_EERKSF_lbbbEUlllE_EE10hipError_tT0_T1_T2_T3_mRjT4_P12ihipStream_tbNS1_7vsmem_tEEUlT_E_NS1_11comp_targetILNS1_3genE0ELNS1_11target_archE4294967295ELNS1_3gpuE0ELNS1_3repE0EEENS1_30default_config_static_selectorELNS0_4arch9wavefront6targetE1EEEvSM_,"axG",@progbits,_ZN7rocprim17ROCPRIM_400000_NS6detail17trampoline_kernelINS0_14default_configENS1_37merge_sort_block_sort_config_selectorIlNS0_10empty_typeEEEZNS1_21merge_sort_block_sortIS3_PlS8_PS5_S9_ZN2at6native12_GLOBAL__N_124unique_dim_cuda_templateIaEESt5tupleIJNSA_6TensorESF_SF_EERKSF_lbbbEUlllE_EE10hipError_tT0_T1_T2_T3_mRjT4_P12ihipStream_tbNS1_7vsmem_tEEUlT_E_NS1_11comp_targetILNS1_3genE0ELNS1_11target_archE4294967295ELNS1_3gpuE0ELNS1_3repE0EEENS1_30default_config_static_selectorELNS0_4arch9wavefront6targetE1EEEvSM_,comdat
	.globl	_ZN7rocprim17ROCPRIM_400000_NS6detail17trampoline_kernelINS0_14default_configENS1_37merge_sort_block_sort_config_selectorIlNS0_10empty_typeEEEZNS1_21merge_sort_block_sortIS3_PlS8_PS5_S9_ZN2at6native12_GLOBAL__N_124unique_dim_cuda_templateIaEESt5tupleIJNSA_6TensorESF_SF_EERKSF_lbbbEUlllE_EE10hipError_tT0_T1_T2_T3_mRjT4_P12ihipStream_tbNS1_7vsmem_tEEUlT_E_NS1_11comp_targetILNS1_3genE0ELNS1_11target_archE4294967295ELNS1_3gpuE0ELNS1_3repE0EEENS1_30default_config_static_selectorELNS0_4arch9wavefront6targetE1EEEvSM_ ; -- Begin function _ZN7rocprim17ROCPRIM_400000_NS6detail17trampoline_kernelINS0_14default_configENS1_37merge_sort_block_sort_config_selectorIlNS0_10empty_typeEEEZNS1_21merge_sort_block_sortIS3_PlS8_PS5_S9_ZN2at6native12_GLOBAL__N_124unique_dim_cuda_templateIaEESt5tupleIJNSA_6TensorESF_SF_EERKSF_lbbbEUlllE_EE10hipError_tT0_T1_T2_T3_mRjT4_P12ihipStream_tbNS1_7vsmem_tEEUlT_E_NS1_11comp_targetILNS1_3genE0ELNS1_11target_archE4294967295ELNS1_3gpuE0ELNS1_3repE0EEENS1_30default_config_static_selectorELNS0_4arch9wavefront6targetE1EEEvSM_
	.p2align	8
	.type	_ZN7rocprim17ROCPRIM_400000_NS6detail17trampoline_kernelINS0_14default_configENS1_37merge_sort_block_sort_config_selectorIlNS0_10empty_typeEEEZNS1_21merge_sort_block_sortIS3_PlS8_PS5_S9_ZN2at6native12_GLOBAL__N_124unique_dim_cuda_templateIaEESt5tupleIJNSA_6TensorESF_SF_EERKSF_lbbbEUlllE_EE10hipError_tT0_T1_T2_T3_mRjT4_P12ihipStream_tbNS1_7vsmem_tEEUlT_E_NS1_11comp_targetILNS1_3genE0ELNS1_11target_archE4294967295ELNS1_3gpuE0ELNS1_3repE0EEENS1_30default_config_static_selectorELNS0_4arch9wavefront6targetE1EEEvSM_,@function
_ZN7rocprim17ROCPRIM_400000_NS6detail17trampoline_kernelINS0_14default_configENS1_37merge_sort_block_sort_config_selectorIlNS0_10empty_typeEEEZNS1_21merge_sort_block_sortIS3_PlS8_PS5_S9_ZN2at6native12_GLOBAL__N_124unique_dim_cuda_templateIaEESt5tupleIJNSA_6TensorESF_SF_EERKSF_lbbbEUlllE_EE10hipError_tT0_T1_T2_T3_mRjT4_P12ihipStream_tbNS1_7vsmem_tEEUlT_E_NS1_11comp_targetILNS1_3genE0ELNS1_11target_archE4294967295ELNS1_3gpuE0ELNS1_3repE0EEENS1_30default_config_static_selectorELNS0_4arch9wavefront6targetE1EEEvSM_: ; @_ZN7rocprim17ROCPRIM_400000_NS6detail17trampoline_kernelINS0_14default_configENS1_37merge_sort_block_sort_config_selectorIlNS0_10empty_typeEEEZNS1_21merge_sort_block_sortIS3_PlS8_PS5_S9_ZN2at6native12_GLOBAL__N_124unique_dim_cuda_templateIaEESt5tupleIJNSA_6TensorESF_SF_EERKSF_lbbbEUlllE_EE10hipError_tT0_T1_T2_T3_mRjT4_P12ihipStream_tbNS1_7vsmem_tEEUlT_E_NS1_11comp_targetILNS1_3genE0ELNS1_11target_archE4294967295ELNS1_3gpuE0ELNS1_3repE0EEENS1_30default_config_static_selectorELNS0_4arch9wavefront6targetE1EEEvSM_
; %bb.0:
	.section	.rodata,"a",@progbits
	.p2align	6, 0x0
	.amdhsa_kernel _ZN7rocprim17ROCPRIM_400000_NS6detail17trampoline_kernelINS0_14default_configENS1_37merge_sort_block_sort_config_selectorIlNS0_10empty_typeEEEZNS1_21merge_sort_block_sortIS3_PlS8_PS5_S9_ZN2at6native12_GLOBAL__N_124unique_dim_cuda_templateIaEESt5tupleIJNSA_6TensorESF_SF_EERKSF_lbbbEUlllE_EE10hipError_tT0_T1_T2_T3_mRjT4_P12ihipStream_tbNS1_7vsmem_tEEUlT_E_NS1_11comp_targetILNS1_3genE0ELNS1_11target_archE4294967295ELNS1_3gpuE0ELNS1_3repE0EEENS1_30default_config_static_selectorELNS0_4arch9wavefront6targetE1EEEvSM_
		.amdhsa_group_segment_fixed_size 0
		.amdhsa_private_segment_fixed_size 0
		.amdhsa_kernarg_size 72
		.amdhsa_user_sgpr_count 6
		.amdhsa_user_sgpr_private_segment_buffer 1
		.amdhsa_user_sgpr_dispatch_ptr 0
		.amdhsa_user_sgpr_queue_ptr 0
		.amdhsa_user_sgpr_kernarg_segment_ptr 1
		.amdhsa_user_sgpr_dispatch_id 0
		.amdhsa_user_sgpr_flat_scratch_init 0
		.amdhsa_user_sgpr_kernarg_preload_length 0
		.amdhsa_user_sgpr_kernarg_preload_offset 0
		.amdhsa_user_sgpr_private_segment_size 0
		.amdhsa_uses_dynamic_stack 0
		.amdhsa_system_sgpr_private_segment_wavefront_offset 0
		.amdhsa_system_sgpr_workgroup_id_x 1
		.amdhsa_system_sgpr_workgroup_id_y 0
		.amdhsa_system_sgpr_workgroup_id_z 0
		.amdhsa_system_sgpr_workgroup_info 0
		.amdhsa_system_vgpr_workitem_id 0
		.amdhsa_next_free_vgpr 1
		.amdhsa_next_free_sgpr 0
		.amdhsa_accum_offset 4
		.amdhsa_reserve_vcc 0
		.amdhsa_reserve_flat_scratch 0
		.amdhsa_float_round_mode_32 0
		.amdhsa_float_round_mode_16_64 0
		.amdhsa_float_denorm_mode_32 3
		.amdhsa_float_denorm_mode_16_64 3
		.amdhsa_dx10_clamp 1
		.amdhsa_ieee_mode 1
		.amdhsa_fp16_overflow 0
		.amdhsa_tg_split 0
		.amdhsa_exception_fp_ieee_invalid_op 0
		.amdhsa_exception_fp_denorm_src 0
		.amdhsa_exception_fp_ieee_div_zero 0
		.amdhsa_exception_fp_ieee_overflow 0
		.amdhsa_exception_fp_ieee_underflow 0
		.amdhsa_exception_fp_ieee_inexact 0
		.amdhsa_exception_int_div_zero 0
	.end_amdhsa_kernel
	.section	.text._ZN7rocprim17ROCPRIM_400000_NS6detail17trampoline_kernelINS0_14default_configENS1_37merge_sort_block_sort_config_selectorIlNS0_10empty_typeEEEZNS1_21merge_sort_block_sortIS3_PlS8_PS5_S9_ZN2at6native12_GLOBAL__N_124unique_dim_cuda_templateIaEESt5tupleIJNSA_6TensorESF_SF_EERKSF_lbbbEUlllE_EE10hipError_tT0_T1_T2_T3_mRjT4_P12ihipStream_tbNS1_7vsmem_tEEUlT_E_NS1_11comp_targetILNS1_3genE0ELNS1_11target_archE4294967295ELNS1_3gpuE0ELNS1_3repE0EEENS1_30default_config_static_selectorELNS0_4arch9wavefront6targetE1EEEvSM_,"axG",@progbits,_ZN7rocprim17ROCPRIM_400000_NS6detail17trampoline_kernelINS0_14default_configENS1_37merge_sort_block_sort_config_selectorIlNS0_10empty_typeEEEZNS1_21merge_sort_block_sortIS3_PlS8_PS5_S9_ZN2at6native12_GLOBAL__N_124unique_dim_cuda_templateIaEESt5tupleIJNSA_6TensorESF_SF_EERKSF_lbbbEUlllE_EE10hipError_tT0_T1_T2_T3_mRjT4_P12ihipStream_tbNS1_7vsmem_tEEUlT_E_NS1_11comp_targetILNS1_3genE0ELNS1_11target_archE4294967295ELNS1_3gpuE0ELNS1_3repE0EEENS1_30default_config_static_selectorELNS0_4arch9wavefront6targetE1EEEvSM_,comdat
.Lfunc_end261:
	.size	_ZN7rocprim17ROCPRIM_400000_NS6detail17trampoline_kernelINS0_14default_configENS1_37merge_sort_block_sort_config_selectorIlNS0_10empty_typeEEEZNS1_21merge_sort_block_sortIS3_PlS8_PS5_S9_ZN2at6native12_GLOBAL__N_124unique_dim_cuda_templateIaEESt5tupleIJNSA_6TensorESF_SF_EERKSF_lbbbEUlllE_EE10hipError_tT0_T1_T2_T3_mRjT4_P12ihipStream_tbNS1_7vsmem_tEEUlT_E_NS1_11comp_targetILNS1_3genE0ELNS1_11target_archE4294967295ELNS1_3gpuE0ELNS1_3repE0EEENS1_30default_config_static_selectorELNS0_4arch9wavefront6targetE1EEEvSM_, .Lfunc_end261-_ZN7rocprim17ROCPRIM_400000_NS6detail17trampoline_kernelINS0_14default_configENS1_37merge_sort_block_sort_config_selectorIlNS0_10empty_typeEEEZNS1_21merge_sort_block_sortIS3_PlS8_PS5_S9_ZN2at6native12_GLOBAL__N_124unique_dim_cuda_templateIaEESt5tupleIJNSA_6TensorESF_SF_EERKSF_lbbbEUlllE_EE10hipError_tT0_T1_T2_T3_mRjT4_P12ihipStream_tbNS1_7vsmem_tEEUlT_E_NS1_11comp_targetILNS1_3genE0ELNS1_11target_archE4294967295ELNS1_3gpuE0ELNS1_3repE0EEENS1_30default_config_static_selectorELNS0_4arch9wavefront6targetE1EEEvSM_
                                        ; -- End function
	.section	.AMDGPU.csdata,"",@progbits
; Kernel info:
; codeLenInByte = 0
; NumSgprs: 4
; NumVgprs: 0
; NumAgprs: 0
; TotalNumVgprs: 0
; ScratchSize: 0
; MemoryBound: 0
; FloatMode: 240
; IeeeMode: 1
; LDSByteSize: 0 bytes/workgroup (compile time only)
; SGPRBlocks: 0
; VGPRBlocks: 0
; NumSGPRsForWavesPerEU: 4
; NumVGPRsForWavesPerEU: 1
; AccumOffset: 4
; Occupancy: 8
; WaveLimiterHint : 0
; COMPUTE_PGM_RSRC2:SCRATCH_EN: 0
; COMPUTE_PGM_RSRC2:USER_SGPR: 6
; COMPUTE_PGM_RSRC2:TRAP_HANDLER: 0
; COMPUTE_PGM_RSRC2:TGID_X_EN: 1
; COMPUTE_PGM_RSRC2:TGID_Y_EN: 0
; COMPUTE_PGM_RSRC2:TGID_Z_EN: 0
; COMPUTE_PGM_RSRC2:TIDIG_COMP_CNT: 0
; COMPUTE_PGM_RSRC3_GFX90A:ACCUM_OFFSET: 0
; COMPUTE_PGM_RSRC3_GFX90A:TG_SPLIT: 0
	.section	.text._ZN7rocprim17ROCPRIM_400000_NS6detail17trampoline_kernelINS0_14default_configENS1_37merge_sort_block_sort_config_selectorIlNS0_10empty_typeEEEZNS1_21merge_sort_block_sortIS3_PlS8_PS5_S9_ZN2at6native12_GLOBAL__N_124unique_dim_cuda_templateIaEESt5tupleIJNSA_6TensorESF_SF_EERKSF_lbbbEUlllE_EE10hipError_tT0_T1_T2_T3_mRjT4_P12ihipStream_tbNS1_7vsmem_tEEUlT_E_NS1_11comp_targetILNS1_3genE5ELNS1_11target_archE942ELNS1_3gpuE9ELNS1_3repE0EEENS1_30default_config_static_selectorELNS0_4arch9wavefront6targetE1EEEvSM_,"axG",@progbits,_ZN7rocprim17ROCPRIM_400000_NS6detail17trampoline_kernelINS0_14default_configENS1_37merge_sort_block_sort_config_selectorIlNS0_10empty_typeEEEZNS1_21merge_sort_block_sortIS3_PlS8_PS5_S9_ZN2at6native12_GLOBAL__N_124unique_dim_cuda_templateIaEESt5tupleIJNSA_6TensorESF_SF_EERKSF_lbbbEUlllE_EE10hipError_tT0_T1_T2_T3_mRjT4_P12ihipStream_tbNS1_7vsmem_tEEUlT_E_NS1_11comp_targetILNS1_3genE5ELNS1_11target_archE942ELNS1_3gpuE9ELNS1_3repE0EEENS1_30default_config_static_selectorELNS0_4arch9wavefront6targetE1EEEvSM_,comdat
	.globl	_ZN7rocprim17ROCPRIM_400000_NS6detail17trampoline_kernelINS0_14default_configENS1_37merge_sort_block_sort_config_selectorIlNS0_10empty_typeEEEZNS1_21merge_sort_block_sortIS3_PlS8_PS5_S9_ZN2at6native12_GLOBAL__N_124unique_dim_cuda_templateIaEESt5tupleIJNSA_6TensorESF_SF_EERKSF_lbbbEUlllE_EE10hipError_tT0_T1_T2_T3_mRjT4_P12ihipStream_tbNS1_7vsmem_tEEUlT_E_NS1_11comp_targetILNS1_3genE5ELNS1_11target_archE942ELNS1_3gpuE9ELNS1_3repE0EEENS1_30default_config_static_selectorELNS0_4arch9wavefront6targetE1EEEvSM_ ; -- Begin function _ZN7rocprim17ROCPRIM_400000_NS6detail17trampoline_kernelINS0_14default_configENS1_37merge_sort_block_sort_config_selectorIlNS0_10empty_typeEEEZNS1_21merge_sort_block_sortIS3_PlS8_PS5_S9_ZN2at6native12_GLOBAL__N_124unique_dim_cuda_templateIaEESt5tupleIJNSA_6TensorESF_SF_EERKSF_lbbbEUlllE_EE10hipError_tT0_T1_T2_T3_mRjT4_P12ihipStream_tbNS1_7vsmem_tEEUlT_E_NS1_11comp_targetILNS1_3genE5ELNS1_11target_archE942ELNS1_3gpuE9ELNS1_3repE0EEENS1_30default_config_static_selectorELNS0_4arch9wavefront6targetE1EEEvSM_
	.p2align	8
	.type	_ZN7rocprim17ROCPRIM_400000_NS6detail17trampoline_kernelINS0_14default_configENS1_37merge_sort_block_sort_config_selectorIlNS0_10empty_typeEEEZNS1_21merge_sort_block_sortIS3_PlS8_PS5_S9_ZN2at6native12_GLOBAL__N_124unique_dim_cuda_templateIaEESt5tupleIJNSA_6TensorESF_SF_EERKSF_lbbbEUlllE_EE10hipError_tT0_T1_T2_T3_mRjT4_P12ihipStream_tbNS1_7vsmem_tEEUlT_E_NS1_11comp_targetILNS1_3genE5ELNS1_11target_archE942ELNS1_3gpuE9ELNS1_3repE0EEENS1_30default_config_static_selectorELNS0_4arch9wavefront6targetE1EEEvSM_,@function
_ZN7rocprim17ROCPRIM_400000_NS6detail17trampoline_kernelINS0_14default_configENS1_37merge_sort_block_sort_config_selectorIlNS0_10empty_typeEEEZNS1_21merge_sort_block_sortIS3_PlS8_PS5_S9_ZN2at6native12_GLOBAL__N_124unique_dim_cuda_templateIaEESt5tupleIJNSA_6TensorESF_SF_EERKSF_lbbbEUlllE_EE10hipError_tT0_T1_T2_T3_mRjT4_P12ihipStream_tbNS1_7vsmem_tEEUlT_E_NS1_11comp_targetILNS1_3genE5ELNS1_11target_archE942ELNS1_3gpuE9ELNS1_3repE0EEENS1_30default_config_static_selectorELNS0_4arch9wavefront6targetE1EEEvSM_: ; @_ZN7rocprim17ROCPRIM_400000_NS6detail17trampoline_kernelINS0_14default_configENS1_37merge_sort_block_sort_config_selectorIlNS0_10empty_typeEEEZNS1_21merge_sort_block_sortIS3_PlS8_PS5_S9_ZN2at6native12_GLOBAL__N_124unique_dim_cuda_templateIaEESt5tupleIJNSA_6TensorESF_SF_EERKSF_lbbbEUlllE_EE10hipError_tT0_T1_T2_T3_mRjT4_P12ihipStream_tbNS1_7vsmem_tEEUlT_E_NS1_11comp_targetILNS1_3genE5ELNS1_11target_archE942ELNS1_3gpuE9ELNS1_3repE0EEENS1_30default_config_static_selectorELNS0_4arch9wavefront6targetE1EEEvSM_
; %bb.0:
	.section	.rodata,"a",@progbits
	.p2align	6, 0x0
	.amdhsa_kernel _ZN7rocprim17ROCPRIM_400000_NS6detail17trampoline_kernelINS0_14default_configENS1_37merge_sort_block_sort_config_selectorIlNS0_10empty_typeEEEZNS1_21merge_sort_block_sortIS3_PlS8_PS5_S9_ZN2at6native12_GLOBAL__N_124unique_dim_cuda_templateIaEESt5tupleIJNSA_6TensorESF_SF_EERKSF_lbbbEUlllE_EE10hipError_tT0_T1_T2_T3_mRjT4_P12ihipStream_tbNS1_7vsmem_tEEUlT_E_NS1_11comp_targetILNS1_3genE5ELNS1_11target_archE942ELNS1_3gpuE9ELNS1_3repE0EEENS1_30default_config_static_selectorELNS0_4arch9wavefront6targetE1EEEvSM_
		.amdhsa_group_segment_fixed_size 0
		.amdhsa_private_segment_fixed_size 0
		.amdhsa_kernarg_size 72
		.amdhsa_user_sgpr_count 6
		.amdhsa_user_sgpr_private_segment_buffer 1
		.amdhsa_user_sgpr_dispatch_ptr 0
		.amdhsa_user_sgpr_queue_ptr 0
		.amdhsa_user_sgpr_kernarg_segment_ptr 1
		.amdhsa_user_sgpr_dispatch_id 0
		.amdhsa_user_sgpr_flat_scratch_init 0
		.amdhsa_user_sgpr_kernarg_preload_length 0
		.amdhsa_user_sgpr_kernarg_preload_offset 0
		.amdhsa_user_sgpr_private_segment_size 0
		.amdhsa_uses_dynamic_stack 0
		.amdhsa_system_sgpr_private_segment_wavefront_offset 0
		.amdhsa_system_sgpr_workgroup_id_x 1
		.amdhsa_system_sgpr_workgroup_id_y 0
		.amdhsa_system_sgpr_workgroup_id_z 0
		.amdhsa_system_sgpr_workgroup_info 0
		.amdhsa_system_vgpr_workitem_id 0
		.amdhsa_next_free_vgpr 1
		.amdhsa_next_free_sgpr 0
		.amdhsa_accum_offset 4
		.amdhsa_reserve_vcc 0
		.amdhsa_reserve_flat_scratch 0
		.amdhsa_float_round_mode_32 0
		.amdhsa_float_round_mode_16_64 0
		.amdhsa_float_denorm_mode_32 3
		.amdhsa_float_denorm_mode_16_64 3
		.amdhsa_dx10_clamp 1
		.amdhsa_ieee_mode 1
		.amdhsa_fp16_overflow 0
		.amdhsa_tg_split 0
		.amdhsa_exception_fp_ieee_invalid_op 0
		.amdhsa_exception_fp_denorm_src 0
		.amdhsa_exception_fp_ieee_div_zero 0
		.amdhsa_exception_fp_ieee_overflow 0
		.amdhsa_exception_fp_ieee_underflow 0
		.amdhsa_exception_fp_ieee_inexact 0
		.amdhsa_exception_int_div_zero 0
	.end_amdhsa_kernel
	.section	.text._ZN7rocprim17ROCPRIM_400000_NS6detail17trampoline_kernelINS0_14default_configENS1_37merge_sort_block_sort_config_selectorIlNS0_10empty_typeEEEZNS1_21merge_sort_block_sortIS3_PlS8_PS5_S9_ZN2at6native12_GLOBAL__N_124unique_dim_cuda_templateIaEESt5tupleIJNSA_6TensorESF_SF_EERKSF_lbbbEUlllE_EE10hipError_tT0_T1_T2_T3_mRjT4_P12ihipStream_tbNS1_7vsmem_tEEUlT_E_NS1_11comp_targetILNS1_3genE5ELNS1_11target_archE942ELNS1_3gpuE9ELNS1_3repE0EEENS1_30default_config_static_selectorELNS0_4arch9wavefront6targetE1EEEvSM_,"axG",@progbits,_ZN7rocprim17ROCPRIM_400000_NS6detail17trampoline_kernelINS0_14default_configENS1_37merge_sort_block_sort_config_selectorIlNS0_10empty_typeEEEZNS1_21merge_sort_block_sortIS3_PlS8_PS5_S9_ZN2at6native12_GLOBAL__N_124unique_dim_cuda_templateIaEESt5tupleIJNSA_6TensorESF_SF_EERKSF_lbbbEUlllE_EE10hipError_tT0_T1_T2_T3_mRjT4_P12ihipStream_tbNS1_7vsmem_tEEUlT_E_NS1_11comp_targetILNS1_3genE5ELNS1_11target_archE942ELNS1_3gpuE9ELNS1_3repE0EEENS1_30default_config_static_selectorELNS0_4arch9wavefront6targetE1EEEvSM_,comdat
.Lfunc_end262:
	.size	_ZN7rocprim17ROCPRIM_400000_NS6detail17trampoline_kernelINS0_14default_configENS1_37merge_sort_block_sort_config_selectorIlNS0_10empty_typeEEEZNS1_21merge_sort_block_sortIS3_PlS8_PS5_S9_ZN2at6native12_GLOBAL__N_124unique_dim_cuda_templateIaEESt5tupleIJNSA_6TensorESF_SF_EERKSF_lbbbEUlllE_EE10hipError_tT0_T1_T2_T3_mRjT4_P12ihipStream_tbNS1_7vsmem_tEEUlT_E_NS1_11comp_targetILNS1_3genE5ELNS1_11target_archE942ELNS1_3gpuE9ELNS1_3repE0EEENS1_30default_config_static_selectorELNS0_4arch9wavefront6targetE1EEEvSM_, .Lfunc_end262-_ZN7rocprim17ROCPRIM_400000_NS6detail17trampoline_kernelINS0_14default_configENS1_37merge_sort_block_sort_config_selectorIlNS0_10empty_typeEEEZNS1_21merge_sort_block_sortIS3_PlS8_PS5_S9_ZN2at6native12_GLOBAL__N_124unique_dim_cuda_templateIaEESt5tupleIJNSA_6TensorESF_SF_EERKSF_lbbbEUlllE_EE10hipError_tT0_T1_T2_T3_mRjT4_P12ihipStream_tbNS1_7vsmem_tEEUlT_E_NS1_11comp_targetILNS1_3genE5ELNS1_11target_archE942ELNS1_3gpuE9ELNS1_3repE0EEENS1_30default_config_static_selectorELNS0_4arch9wavefront6targetE1EEEvSM_
                                        ; -- End function
	.section	.AMDGPU.csdata,"",@progbits
; Kernel info:
; codeLenInByte = 0
; NumSgprs: 4
; NumVgprs: 0
; NumAgprs: 0
; TotalNumVgprs: 0
; ScratchSize: 0
; MemoryBound: 0
; FloatMode: 240
; IeeeMode: 1
; LDSByteSize: 0 bytes/workgroup (compile time only)
; SGPRBlocks: 0
; VGPRBlocks: 0
; NumSGPRsForWavesPerEU: 4
; NumVGPRsForWavesPerEU: 1
; AccumOffset: 4
; Occupancy: 8
; WaveLimiterHint : 0
; COMPUTE_PGM_RSRC2:SCRATCH_EN: 0
; COMPUTE_PGM_RSRC2:USER_SGPR: 6
; COMPUTE_PGM_RSRC2:TRAP_HANDLER: 0
; COMPUTE_PGM_RSRC2:TGID_X_EN: 1
; COMPUTE_PGM_RSRC2:TGID_Y_EN: 0
; COMPUTE_PGM_RSRC2:TGID_Z_EN: 0
; COMPUTE_PGM_RSRC2:TIDIG_COMP_CNT: 0
; COMPUTE_PGM_RSRC3_GFX90A:ACCUM_OFFSET: 0
; COMPUTE_PGM_RSRC3_GFX90A:TG_SPLIT: 0
	.section	.text._ZN7rocprim17ROCPRIM_400000_NS6detail17trampoline_kernelINS0_14default_configENS1_37merge_sort_block_sort_config_selectorIlNS0_10empty_typeEEEZNS1_21merge_sort_block_sortIS3_PlS8_PS5_S9_ZN2at6native12_GLOBAL__N_124unique_dim_cuda_templateIaEESt5tupleIJNSA_6TensorESF_SF_EERKSF_lbbbEUlllE_EE10hipError_tT0_T1_T2_T3_mRjT4_P12ihipStream_tbNS1_7vsmem_tEEUlT_E_NS1_11comp_targetILNS1_3genE4ELNS1_11target_archE910ELNS1_3gpuE8ELNS1_3repE0EEENS1_30default_config_static_selectorELNS0_4arch9wavefront6targetE1EEEvSM_,"axG",@progbits,_ZN7rocprim17ROCPRIM_400000_NS6detail17trampoline_kernelINS0_14default_configENS1_37merge_sort_block_sort_config_selectorIlNS0_10empty_typeEEEZNS1_21merge_sort_block_sortIS3_PlS8_PS5_S9_ZN2at6native12_GLOBAL__N_124unique_dim_cuda_templateIaEESt5tupleIJNSA_6TensorESF_SF_EERKSF_lbbbEUlllE_EE10hipError_tT0_T1_T2_T3_mRjT4_P12ihipStream_tbNS1_7vsmem_tEEUlT_E_NS1_11comp_targetILNS1_3genE4ELNS1_11target_archE910ELNS1_3gpuE8ELNS1_3repE0EEENS1_30default_config_static_selectorELNS0_4arch9wavefront6targetE1EEEvSM_,comdat
	.globl	_ZN7rocprim17ROCPRIM_400000_NS6detail17trampoline_kernelINS0_14default_configENS1_37merge_sort_block_sort_config_selectorIlNS0_10empty_typeEEEZNS1_21merge_sort_block_sortIS3_PlS8_PS5_S9_ZN2at6native12_GLOBAL__N_124unique_dim_cuda_templateIaEESt5tupleIJNSA_6TensorESF_SF_EERKSF_lbbbEUlllE_EE10hipError_tT0_T1_T2_T3_mRjT4_P12ihipStream_tbNS1_7vsmem_tEEUlT_E_NS1_11comp_targetILNS1_3genE4ELNS1_11target_archE910ELNS1_3gpuE8ELNS1_3repE0EEENS1_30default_config_static_selectorELNS0_4arch9wavefront6targetE1EEEvSM_ ; -- Begin function _ZN7rocprim17ROCPRIM_400000_NS6detail17trampoline_kernelINS0_14default_configENS1_37merge_sort_block_sort_config_selectorIlNS0_10empty_typeEEEZNS1_21merge_sort_block_sortIS3_PlS8_PS5_S9_ZN2at6native12_GLOBAL__N_124unique_dim_cuda_templateIaEESt5tupleIJNSA_6TensorESF_SF_EERKSF_lbbbEUlllE_EE10hipError_tT0_T1_T2_T3_mRjT4_P12ihipStream_tbNS1_7vsmem_tEEUlT_E_NS1_11comp_targetILNS1_3genE4ELNS1_11target_archE910ELNS1_3gpuE8ELNS1_3repE0EEENS1_30default_config_static_selectorELNS0_4arch9wavefront6targetE1EEEvSM_
	.p2align	8
	.type	_ZN7rocprim17ROCPRIM_400000_NS6detail17trampoline_kernelINS0_14default_configENS1_37merge_sort_block_sort_config_selectorIlNS0_10empty_typeEEEZNS1_21merge_sort_block_sortIS3_PlS8_PS5_S9_ZN2at6native12_GLOBAL__N_124unique_dim_cuda_templateIaEESt5tupleIJNSA_6TensorESF_SF_EERKSF_lbbbEUlllE_EE10hipError_tT0_T1_T2_T3_mRjT4_P12ihipStream_tbNS1_7vsmem_tEEUlT_E_NS1_11comp_targetILNS1_3genE4ELNS1_11target_archE910ELNS1_3gpuE8ELNS1_3repE0EEENS1_30default_config_static_selectorELNS0_4arch9wavefront6targetE1EEEvSM_,@function
_ZN7rocprim17ROCPRIM_400000_NS6detail17trampoline_kernelINS0_14default_configENS1_37merge_sort_block_sort_config_selectorIlNS0_10empty_typeEEEZNS1_21merge_sort_block_sortIS3_PlS8_PS5_S9_ZN2at6native12_GLOBAL__N_124unique_dim_cuda_templateIaEESt5tupleIJNSA_6TensorESF_SF_EERKSF_lbbbEUlllE_EE10hipError_tT0_T1_T2_T3_mRjT4_P12ihipStream_tbNS1_7vsmem_tEEUlT_E_NS1_11comp_targetILNS1_3genE4ELNS1_11target_archE910ELNS1_3gpuE8ELNS1_3repE0EEENS1_30default_config_static_selectorELNS0_4arch9wavefront6targetE1EEEvSM_: ; @_ZN7rocprim17ROCPRIM_400000_NS6detail17trampoline_kernelINS0_14default_configENS1_37merge_sort_block_sort_config_selectorIlNS0_10empty_typeEEEZNS1_21merge_sort_block_sortIS3_PlS8_PS5_S9_ZN2at6native12_GLOBAL__N_124unique_dim_cuda_templateIaEESt5tupleIJNSA_6TensorESF_SF_EERKSF_lbbbEUlllE_EE10hipError_tT0_T1_T2_T3_mRjT4_P12ihipStream_tbNS1_7vsmem_tEEUlT_E_NS1_11comp_targetILNS1_3genE4ELNS1_11target_archE910ELNS1_3gpuE8ELNS1_3repE0EEENS1_30default_config_static_selectorELNS0_4arch9wavefront6targetE1EEEvSM_
; %bb.0:
	s_load_dwordx2 s[18:19], s[4:5], 0x48
	s_load_dword s0, s[4:5], 0x0
	s_add_u32 s10, s4, 0x48
	s_addc_u32 s11, s5, 0
	s_waitcnt lgkmcnt(0)
	s_mul_i32 s1, s19, s8
	s_add_i32 s1, s1, s7
	s_mul_i32 s1, s1, s18
	s_add_i32 s2, s1, s6
	s_cmp_ge_u32 s2, s0
	s_cbranch_scc1 .LBB263_876
; %bb.1:
	s_load_dwordx2 s[20:21], s[4:5], 0x8
	s_load_dwordx4 s[24:27], s[4:5], 0x18
	s_load_dwordx4 s[12:15], s[4:5], 0x38
	s_mov_b32 s3, 0
	s_lshl_b64 s[0:1], s[2:3], 13
	s_waitcnt lgkmcnt(0)
	s_lshr_b64 s[4:5], s[20:21], 10
	s_add_u32 s8, s24, s0
	s_addc_u32 s9, s25, s1
	s_add_u32 s16, s26, s0
	s_addc_u32 s17, s27, s1
	v_and_b32_e32 v12, 0x3ff, v0
	s_cmp_lg_u64 s[4:5], s[2:3]
	v_bfe_u32 v28, v0, 10, 10
	v_bfe_u32 v29, v0, 20, 10
	v_lshlrev_b32_e32 v26, 3, v12
	v_lshrrev_b32_e32 v31, 2, v12
	v_lshlrev_b32_e32 v27, 2, v12
	v_lshrrev_b32_e32 v30, 3, v12
	v_cmp_gt_i64_e64 s[4:5], s[12:13], 0
	s_cbranch_scc0 .LBB263_8
; %bb.2:
	v_mov_b32_e32 v0, s9
	v_add_co_u32_e32 v4, vcc, s8, v26
	v_addc_co_u32_e32 v5, vcc, 0, v0, vcc
	v_add_co_u32_e32 v4, vcc, 0x1000, v4
	v_addc_co_u32_e32 v5, vcc, 0, v5, vcc
	global_load_dwordx2 v[0:1], v26, s[8:9]
	global_load_dwordx2 v[2:3], v26, s[8:9] offset:2048
	global_load_dwordx2 v[6:7], v[4:5], off
	global_load_dwordx2 v[8:9], v[4:5], off offset:2048
	v_and_b32_e32 v4, 0xf8, v31
	v_add_u32_e32 v5, 0x100, v12
	v_add_u32_e32 v10, 0x200, v12
	v_add_u32_e32 v11, 0x300, v12
	v_add_u32_e32 v32, v4, v26
	v_lshrrev_b32_e32 v4, 2, v5
	v_lshrrev_b32_e32 v5, 2, v10
	;; [unrolled: 1-line block ×3, first 2 shown]
	v_add_lshl_u32 v33, v30, v27, 3
	v_and_b32_e32 v4, 0x1f8, v4
	v_and_b32_e32 v5, 0x1f8, v5
	;; [unrolled: 1-line block ×3, first 2 shown]
	v_add_u32_e32 v34, v4, v26
	v_add_u32_e32 v35, v5, v26
	;; [unrolled: 1-line block ×3, first 2 shown]
	v_mov_b32_e32 v13, 0
	s_waitcnt vmcnt(3)
	ds_write_b64 v32, v[0:1]
	s_waitcnt vmcnt(2)
	ds_write_b64 v34, v[2:3] offset:2048
	s_waitcnt vmcnt(1)
	ds_write_b64 v35, v[6:7] offset:4096
	;; [unrolled: 2-line block ×3, first 2 shown]
	s_waitcnt lgkmcnt(0)
	s_barrier
	ds_read2_b64 v[8:11], v33 offset1:1
	ds_read2_b64 v[4:7], v33 offset0:2 offset1:3
	s_waitcnt lgkmcnt(0)
	s_barrier
	s_load_dword s0, s[10:11], 0xc
	v_mov_b32_e32 v0, v8
	v_mov_b32_e32 v1, v9
	;; [unrolled: 1-line block ×4, first 2 shown]
	s_waitcnt lgkmcnt(0)
	s_lshr_b32 s7, s0, 16
	s_cmp_lt_u32 s6, s18
	s_cselect_b32 s0, 12, 18
	s_add_u32 s0, s10, s0
	s_addc_u32 s1, s11, 0
	global_load_ushort v14, v13, s[0:1]
	v_mad_u32_u24 v15, v29, s7, v28
	s_movk_i32 s0, 0x400
	s_waitcnt vmcnt(0)
	v_mul_lo_u32 v14, v15, v14
	v_add_lshl_u32 v37, v14, v12, 2
	v_cmp_gt_u32_e32 vcc, s0, v37
	s_and_saveexec_b64 s[22:23], vcc
	s_cbranch_execz .LBB263_62
; %bb.3:
	v_cndmask_b32_e64 v14, 0, 1, s[4:5]
	v_cmp_ne_u32_e64 s[0:1], 1, v14
	s_andn2_b64 vcc, exec, s[4:5]
	s_cbranch_vccnz .LBB263_14
; %bb.4:
	v_pk_mov_b32 v[16:17], s[14:15], s[14:15] op_sel:[0,1]
	v_mad_u64_u32 v[14:15], s[24:25], v10, s12, v[16:17]
	v_mul_lo_u32 v18, v10, s13
	v_mul_lo_u32 v19, v11, s12
	v_add3_u32 v15, v19, v15, v18
	v_mad_u64_u32 v[16:17], s[24:25], v8, s12, v[16:17]
	v_mul_lo_u32 v18, v8, s13
	v_mul_lo_u32 v19, v9, s12
	v_add3_u32 v17, v19, v17, v18
	s_mov_b64 s[26:27], 0
	s_mov_b64 s[38:39], s[12:13]
                                        ; implicit-def: $sgpr24_sgpr25
                                        ; implicit-def: $sgpr28_sgpr29
                                        ; implicit-def: $sgpr34_sgpr35
                                        ; implicit-def: $sgpr30_sgpr31
                                        ; implicit-def: $sgpr36_sgpr37
                                        ; implicit-def: $sgpr40_sgpr41
	s_branch .LBB263_6
.LBB263_5:                              ;   in Loop: Header=BB263_6 Depth=1
	s_or_b64 exec, exec, s[44:45]
	s_and_b64 s[44:45], exec, s[34:35]
	s_or_b64 s[26:27], s[44:45], s[26:27]
	s_andn2_b64 s[40:41], s[40:41], exec
	s_and_b64 s[44:45], s[36:37], exec
	s_or_b64 s[40:41], s[40:41], s[44:45]
	s_andn2_b64 s[28:29], s[28:29], exec
	s_and_b64 s[44:45], s[30:31], exec
	s_andn2_b64 s[24:25], s[24:25], exec
	s_and_b64 s[42:43], s[42:43], exec
	s_or_b64 s[28:29], s[28:29], s[44:45]
	s_or_b64 s[24:25], s[24:25], s[42:43]
	s_andn2_b64 exec, exec, s[26:27]
	s_cbranch_execz .LBB263_9
.LBB263_6:                              ; =>This Inner Loop Header: Depth=1
	global_load_ubyte v18, v[14:15], off
	global_load_ubyte v19, v[16:17], off
	s_andn2_b64 s[36:37], s[36:37], exec
	s_or_b64 s[30:31], s[30:31], exec
	s_or_b64 s[34:35], s[34:35], exec
	s_waitcnt vmcnt(0)
	v_cmp_le_i16_sdwa s[44:45], sext(v18), sext(v19) src0_sel:BYTE_0 src1_sel:BYTE_0
	v_cmp_lt_i16_sdwa s[42:43], sext(v18), sext(v19) src0_sel:BYTE_0 src1_sel:BYTE_0
	s_and_b64 s[44:45], s[44:45], s[40:41]
	v_cmp_eq_u16_sdwa s[46:47], v18, v19 src0_sel:BYTE_0 src1_sel:BYTE_0
	s_or_b64 s[42:43], s[42:43], s[44:45]
	s_and_saveexec_b64 s[44:45], s[46:47]
	s_cbranch_execz .LBB263_5
; %bb.7:                                ;   in Loop: Header=BB263_6 Depth=1
	s_add_u32 s38, s38, -1
	s_addc_u32 s39, s39, -1
	v_add_co_u32_e32 v14, vcc, 1, v14
	s_cmp_eq_u64 s[38:39], 0
	v_addc_co_u32_e32 v15, vcc, 0, v15, vcc
	s_cselect_b64 s[40:41], -1, 0
	v_add_co_u32_e32 v16, vcc, 1, v16
	s_andn2_b64 s[36:37], s[36:37], exec
	s_and_b64 s[46:47], s[42:43], exec
	s_andn2_b64 s[34:35], s[34:35], exec
	s_and_b64 s[40:41], s[40:41], exec
	v_addc_co_u32_e32 v17, vcc, 0, v17, vcc
	s_or_b64 s[36:37], s[36:37], s[46:47]
	s_andn2_b64 s[30:31], s[30:31], exec
	s_or_b64 s[34:35], s[34:35], s[40:41]
                                        ; implicit-def: $sgpr40_sgpr41
	s_branch .LBB263_5
.LBB263_8:
	s_mov_b64 s[22:23], 0
                                        ; implicit-def: $vgpr0_vgpr1
	s_cbranch_execnz .LBB263_519
	s_branch .LBB263_874
.LBB263_9:
	s_or_b64 exec, exec, s[26:27]
	s_and_saveexec_b64 s[26:27], s[28:29]
	s_xor_b64 s[26:27], exec, s[26:27]
	s_cbranch_execz .LBB263_13
; %bb.10:
	v_pk_mov_b32 v[14:15], v[10:11], v[10:11] op_sel:[0,1]
	s_and_saveexec_b64 s[28:29], s[24:25]
; %bb.11:
	v_mov_b32_e32 v0, v10
	v_mov_b32_e32 v1, v11
	;; [unrolled: 1-line block ×4, first 2 shown]
	v_pk_mov_b32 v[14:15], v[8:9], v[8:9] op_sel:[0,1]
	v_pk_mov_b32 v[8:9], v[10:11], v[10:11] op_sel:[0,1]
; %bb.12:
	s_or_b64 exec, exec, s[28:29]
	v_pk_mov_b32 v[10:11], v[14:15], v[14:15] op_sel:[0,1]
.LBB263_13:
	s_or_b64 exec, exec, s[26:27]
.LBB263_14:
	v_mul_lo_u32 v20, v5, s12
	v_mul_lo_u32 v21, v4, s13
	v_mad_u64_u32 v[18:19], s[24:25], v4, s12, 0
	v_mov_b32_e32 v16, v6
	v_mov_b32_e32 v17, v7
	;; [unrolled: 1-line block ×4, first 2 shown]
	s_and_b64 vcc, exec, s[0:1]
	v_add3_u32 v19, v19, v21, v20
	s_cbranch_vccnz .LBB263_24
; %bb.15:
	v_pk_mov_b32 v[22:23], s[14:15], s[14:15] op_sel:[0,1]
	v_mul_lo_u32 v24, v7, s12
	v_mul_lo_u32 v25, v6, s13
	v_mad_u64_u32 v[20:21], s[24:25], v6, s12, 0
	v_mad_u64_u32 v[22:23], s[24:25], v6, s12, v[22:23]
	v_add3_u32 v21, v21, v25, v24
	v_add3_u32 v23, v24, v23, v25
	v_mov_b32_e32 v25, s15
	v_add_co_u32_e32 v24, vcc, s14, v18
	v_addc_co_u32_e32 v25, vcc, v25, v19, vcc
	s_mov_b64 s[28:29], 0
	s_mov_b64 s[38:39], s[12:13]
                                        ; implicit-def: $sgpr24_sgpr25
                                        ; implicit-def: $sgpr26_sgpr27
                                        ; implicit-def: $sgpr34_sgpr35
                                        ; implicit-def: $sgpr30_sgpr31
                                        ; implicit-def: $sgpr36_sgpr37
                                        ; implicit-def: $sgpr40_sgpr41
	s_branch .LBB263_17
.LBB263_16:                             ;   in Loop: Header=BB263_17 Depth=1
	s_or_b64 exec, exec, s[44:45]
	s_and_b64 s[44:45], exec, s[34:35]
	s_or_b64 s[28:29], s[44:45], s[28:29]
	s_andn2_b64 s[40:41], s[40:41], exec
	s_and_b64 s[44:45], s[36:37], exec
	s_or_b64 s[40:41], s[40:41], s[44:45]
	s_andn2_b64 s[26:27], s[26:27], exec
	s_and_b64 s[44:45], s[30:31], exec
	s_andn2_b64 s[24:25], s[24:25], exec
	s_and_b64 s[42:43], s[42:43], exec
	s_or_b64 s[26:27], s[26:27], s[44:45]
	s_or_b64 s[24:25], s[24:25], s[42:43]
	s_andn2_b64 exec, exec, s[28:29]
	s_cbranch_execz .LBB263_19
.LBB263_17:                             ; =>This Inner Loop Header: Depth=1
	global_load_ubyte v38, v[22:23], off
	global_load_ubyte v39, v[24:25], off
	s_andn2_b64 s[36:37], s[36:37], exec
	s_or_b64 s[30:31], s[30:31], exec
	s_or_b64 s[34:35], s[34:35], exec
	s_waitcnt vmcnt(0)
	v_cmp_le_i16_sdwa s[44:45], sext(v38), sext(v39) src0_sel:BYTE_0 src1_sel:BYTE_0
	v_cmp_lt_i16_sdwa s[42:43], sext(v38), sext(v39) src0_sel:BYTE_0 src1_sel:BYTE_0
	s_and_b64 s[44:45], s[44:45], s[40:41]
	v_cmp_eq_u16_sdwa s[46:47], v38, v39 src0_sel:BYTE_0 src1_sel:BYTE_0
	s_or_b64 s[42:43], s[42:43], s[44:45]
	s_and_saveexec_b64 s[44:45], s[46:47]
	s_cbranch_execz .LBB263_16
; %bb.18:                               ;   in Loop: Header=BB263_17 Depth=1
	s_add_u32 s38, s38, -1
	s_addc_u32 s39, s39, -1
	v_add_co_u32_e32 v22, vcc, 1, v22
	s_cmp_eq_u64 s[38:39], 0
	v_addc_co_u32_e32 v23, vcc, 0, v23, vcc
	s_cselect_b64 s[40:41], -1, 0
	v_add_co_u32_e32 v24, vcc, 1, v24
	s_andn2_b64 s[36:37], s[36:37], exec
	s_and_b64 s[46:47], s[42:43], exec
	s_andn2_b64 s[34:35], s[34:35], exec
	s_and_b64 s[40:41], s[40:41], exec
	v_addc_co_u32_e32 v25, vcc, 0, v25, vcc
	s_or_b64 s[36:37], s[36:37], s[46:47]
	s_andn2_b64 s[30:31], s[30:31], exec
	s_or_b64 s[34:35], s[34:35], s[40:41]
                                        ; implicit-def: $sgpr40_sgpr41
	s_branch .LBB263_16
.LBB263_19:
	s_or_b64 exec, exec, s[28:29]
	s_and_saveexec_b64 s[28:29], s[26:27]
	s_xor_b64 s[26:27], exec, s[28:29]
	s_cbranch_execz .LBB263_23
; %bb.20:
	s_and_saveexec_b64 s[28:29], s[24:25]
	s_cbranch_execz .LBB263_22
; %bb.21:
	v_mov_b32_e32 v38, v0
	v_mov_b32_e32 v39, v1
	;; [unrolled: 1-line block ×8, first 2 shown]
	v_pk_mov_b32 v[22:23], v[16:17], v[16:17] op_sel:[0,1]
	v_pk_mov_b32 v[0:1], v[38:39], v[38:39] op_sel:[0,1]
	;; [unrolled: 1-line block ×8, first 2 shown]
.LBB263_22:
	s_or_b64 exec, exec, s[28:29]
.LBB263_23:
	s_or_b64 exec, exec, s[26:27]
.LBB263_24:
	v_mul_lo_u32 v22, v11, s12
	v_mul_lo_u32 v23, v10, s13
	v_mad_u64_u32 v[20:21], s[24:25], v10, s12, 0
	s_and_b64 vcc, exec, s[0:1]
	v_add3_u32 v21, v21, v23, v22
	s_cbranch_vccnz .LBB263_34
; %bb.25:
	s_mov_b64 s[28:29], 0
	s_mov_b64 s[38:39], s[12:13]
	;; [unrolled: 1-line block ×3, first 2 shown]
                                        ; implicit-def: $sgpr24_sgpr25
                                        ; implicit-def: $sgpr26_sgpr27
                                        ; implicit-def: $sgpr34_sgpr35
                                        ; implicit-def: $sgpr30_sgpr31
                                        ; implicit-def: $sgpr36_sgpr37
                                        ; implicit-def: $sgpr42_sgpr43
	s_branch .LBB263_27
.LBB263_26:                             ;   in Loop: Header=BB263_27 Depth=1
	s_or_b64 exec, exec, s[46:47]
	s_and_b64 s[46:47], exec, s[34:35]
	s_or_b64 s[28:29], s[46:47], s[28:29]
	s_andn2_b64 s[42:43], s[42:43], exec
	s_and_b64 s[46:47], s[36:37], exec
	s_or_b64 s[42:43], s[42:43], s[46:47]
	s_andn2_b64 s[26:27], s[26:27], exec
	s_and_b64 s[46:47], s[30:31], exec
	s_andn2_b64 s[24:25], s[24:25], exec
	s_and_b64 s[44:45], s[44:45], exec
	s_or_b64 s[26:27], s[26:27], s[46:47]
	s_or_b64 s[24:25], s[24:25], s[44:45]
	s_andn2_b64 exec, exec, s[28:29]
	s_cbranch_execz .LBB263_29
.LBB263_27:                             ; =>This Inner Loop Header: Depth=1
	v_mov_b32_e32 v25, s41
	v_add_co_u32_e32 v22, vcc, s40, v18
	v_addc_co_u32_e32 v23, vcc, v25, v19, vcc
	v_add_co_u32_e32 v24, vcc, s40, v20
	v_addc_co_u32_e32 v25, vcc, v25, v21, vcc
	global_load_ubyte v38, v[22:23], off
	global_load_ubyte v39, v[24:25], off
	s_andn2_b64 s[36:37], s[36:37], exec
	s_or_b64 s[30:31], s[30:31], exec
	s_or_b64 s[34:35], s[34:35], exec
	s_waitcnt vmcnt(0)
	v_cmp_le_i16_sdwa s[46:47], sext(v38), sext(v39) src0_sel:BYTE_0 src1_sel:BYTE_0
	v_cmp_lt_i16_sdwa s[44:45], sext(v38), sext(v39) src0_sel:BYTE_0 src1_sel:BYTE_0
	s_and_b64 s[46:47], s[46:47], s[42:43]
	v_cmp_eq_u16_sdwa s[48:49], v38, v39 src0_sel:BYTE_0 src1_sel:BYTE_0
	s_or_b64 s[44:45], s[44:45], s[46:47]
	s_and_saveexec_b64 s[46:47], s[48:49]
	s_cbranch_execz .LBB263_26
; %bb.28:                               ;   in Loop: Header=BB263_27 Depth=1
	s_add_u32 s40, s40, 1
	s_addc_u32 s41, s41, 0
	s_add_u32 s38, s38, -1
	s_addc_u32 s39, s39, -1
	s_cmp_eq_u64 s[38:39], 0
	s_cselect_b64 s[42:43], -1, 0
	s_andn2_b64 s[36:37], s[36:37], exec
	s_and_b64 s[48:49], s[44:45], exec
	s_andn2_b64 s[34:35], s[34:35], exec
	s_and_b64 s[42:43], s[42:43], exec
	s_or_b64 s[36:37], s[36:37], s[48:49]
	s_andn2_b64 s[30:31], s[30:31], exec
	s_or_b64 s[34:35], s[34:35], s[42:43]
                                        ; implicit-def: $sgpr42_sgpr43
	s_branch .LBB263_26
.LBB263_29:
	s_or_b64 exec, exec, s[28:29]
	s_and_saveexec_b64 s[28:29], s[26:27]
	s_xor_b64 s[26:27], exec, s[28:29]
	s_cbranch_execz .LBB263_33
; %bb.30:
	v_pk_mov_b32 v[22:23], v[10:11], v[10:11] op_sel:[0,1]
	s_and_saveexec_b64 s[28:29], s[24:25]
; %bb.31:
	v_mov_b32_e32 v2, v14
	v_mov_b32_e32 v3, v15
	;; [unrolled: 1-line block ×4, first 2 shown]
	v_pk_mov_b32 v[22:23], v[14:15], v[14:15] op_sel:[0,1]
	v_pk_mov_b32 v[14:15], v[10:11], v[10:11] op_sel:[0,1]
	;; [unrolled: 1-line block ×3, first 2 shown]
; %bb.32:
	s_or_b64 exec, exec, s[28:29]
	v_pk_mov_b32 v[10:11], v[22:23], v[22:23] op_sel:[0,1]
.LBB263_33:
	s_or_b64 exec, exec, s[26:27]
.LBB263_34:
	s_and_b64 vcc, exec, s[0:1]
	s_cbranch_vccnz .LBB263_44
; %bb.35:
	v_mov_b32_e32 v19, s15
	v_add_co_u32_e32 v18, vcc, s14, v20
	v_addc_co_u32_e32 v19, vcc, v19, v21, vcc
	v_pk_mov_b32 v[20:21], s[14:15], s[14:15] op_sel:[0,1]
	v_mad_u64_u32 v[20:21], s[24:25], v8, s12, v[20:21]
	v_mul_lo_u32 v22, v8, s13
	v_mul_lo_u32 v23, v9, s12
	v_add3_u32 v21, v23, v21, v22
	s_mov_b64 s[26:27], 0
	s_mov_b64 s[38:39], s[12:13]
                                        ; implicit-def: $sgpr24_sgpr25
                                        ; implicit-def: $sgpr28_sgpr29
                                        ; implicit-def: $sgpr34_sgpr35
                                        ; implicit-def: $sgpr30_sgpr31
                                        ; implicit-def: $sgpr36_sgpr37
                                        ; implicit-def: $sgpr40_sgpr41
	s_branch .LBB263_37
.LBB263_36:                             ;   in Loop: Header=BB263_37 Depth=1
	s_or_b64 exec, exec, s[44:45]
	s_and_b64 s[44:45], exec, s[34:35]
	s_or_b64 s[26:27], s[44:45], s[26:27]
	s_andn2_b64 s[40:41], s[40:41], exec
	s_and_b64 s[44:45], s[36:37], exec
	s_or_b64 s[40:41], s[40:41], s[44:45]
	s_andn2_b64 s[28:29], s[28:29], exec
	s_and_b64 s[44:45], s[30:31], exec
	s_andn2_b64 s[24:25], s[24:25], exec
	s_and_b64 s[42:43], s[42:43], exec
	s_or_b64 s[28:29], s[28:29], s[44:45]
	s_or_b64 s[24:25], s[24:25], s[42:43]
	s_andn2_b64 exec, exec, s[26:27]
	s_cbranch_execz .LBB263_39
.LBB263_37:                             ; =>This Inner Loop Header: Depth=1
	global_load_ubyte v22, v[18:19], off
	global_load_ubyte v23, v[20:21], off
	s_andn2_b64 s[36:37], s[36:37], exec
	s_or_b64 s[30:31], s[30:31], exec
	s_or_b64 s[34:35], s[34:35], exec
	s_waitcnt vmcnt(0)
	v_cmp_le_i16_sdwa s[44:45], sext(v22), sext(v23) src0_sel:BYTE_0 src1_sel:BYTE_0
	v_cmp_lt_i16_sdwa s[42:43], sext(v22), sext(v23) src0_sel:BYTE_0 src1_sel:BYTE_0
	s_and_b64 s[44:45], s[44:45], s[40:41]
	v_cmp_eq_u16_sdwa s[46:47], v22, v23 src0_sel:BYTE_0 src1_sel:BYTE_0
	s_or_b64 s[42:43], s[42:43], s[44:45]
	s_and_saveexec_b64 s[44:45], s[46:47]
	s_cbranch_execz .LBB263_36
; %bb.38:                               ;   in Loop: Header=BB263_37 Depth=1
	s_add_u32 s38, s38, -1
	s_addc_u32 s39, s39, -1
	v_add_co_u32_e32 v18, vcc, 1, v18
	s_cmp_eq_u64 s[38:39], 0
	v_addc_co_u32_e32 v19, vcc, 0, v19, vcc
	s_cselect_b64 s[40:41], -1, 0
	v_add_co_u32_e32 v20, vcc, 1, v20
	s_andn2_b64 s[36:37], s[36:37], exec
	s_and_b64 s[46:47], s[42:43], exec
	s_andn2_b64 s[34:35], s[34:35], exec
	s_and_b64 s[40:41], s[40:41], exec
	v_addc_co_u32_e32 v21, vcc, 0, v21, vcc
	s_or_b64 s[36:37], s[36:37], s[46:47]
	s_andn2_b64 s[30:31], s[30:31], exec
	s_or_b64 s[34:35], s[34:35], s[40:41]
                                        ; implicit-def: $sgpr40_sgpr41
	s_branch .LBB263_36
.LBB263_39:
	s_or_b64 exec, exec, s[26:27]
	s_and_saveexec_b64 s[26:27], s[28:29]
	s_xor_b64 s[26:27], exec, s[26:27]
	s_cbranch_execz .LBB263_43
; %bb.40:
	v_pk_mov_b32 v[18:19], v[10:11], v[10:11] op_sel:[0,1]
	s_and_saveexec_b64 s[28:29], s[24:25]
; %bb.41:
	v_mov_b32_e32 v0, v10
	v_mov_b32_e32 v1, v11
	;; [unrolled: 1-line block ×4, first 2 shown]
	v_pk_mov_b32 v[18:19], v[8:9], v[8:9] op_sel:[0,1]
	v_pk_mov_b32 v[8:9], v[10:11], v[10:11] op_sel:[0,1]
; %bb.42:
	s_or_b64 exec, exec, s[28:29]
	v_pk_mov_b32 v[10:11], v[18:19], v[18:19] op_sel:[0,1]
.LBB263_43:
	s_or_b64 exec, exec, s[26:27]
.LBB263_44:
	v_mul_lo_u32 v20, v15, s12
	v_mul_lo_u32 v21, v14, s13
	v_mad_u64_u32 v[18:19], s[24:25], v14, s12, 0
	s_and_b64 vcc, exec, s[0:1]
	v_add3_u32 v19, v19, v21, v20
	s_cbranch_vccnz .LBB263_54
; %bb.45:
	v_pk_mov_b32 v[22:23], s[14:15], s[14:15] op_sel:[0,1]
	v_mul_lo_u32 v24, v17, s12
	v_mul_lo_u32 v25, v16, s13
	v_mad_u64_u32 v[20:21], s[24:25], v16, s12, 0
	v_mad_u64_u32 v[22:23], s[24:25], v16, s12, v[22:23]
	v_add3_u32 v21, v21, v25, v24
	v_add3_u32 v23, v24, v23, v25
	v_mov_b32_e32 v25, s15
	v_add_co_u32_e32 v24, vcc, s14, v18
	v_addc_co_u32_e32 v25, vcc, v25, v19, vcc
	s_mov_b64 s[28:29], 0
	s_mov_b64 s[38:39], s[12:13]
                                        ; implicit-def: $sgpr24_sgpr25
                                        ; implicit-def: $sgpr26_sgpr27
                                        ; implicit-def: $sgpr34_sgpr35
                                        ; implicit-def: $sgpr30_sgpr31
                                        ; implicit-def: $sgpr36_sgpr37
                                        ; implicit-def: $sgpr40_sgpr41
	s_branch .LBB263_47
.LBB263_46:                             ;   in Loop: Header=BB263_47 Depth=1
	s_or_b64 exec, exec, s[44:45]
	s_and_b64 s[44:45], exec, s[34:35]
	s_or_b64 s[28:29], s[44:45], s[28:29]
	s_andn2_b64 s[40:41], s[40:41], exec
	s_and_b64 s[44:45], s[36:37], exec
	s_or_b64 s[40:41], s[40:41], s[44:45]
	s_andn2_b64 s[26:27], s[26:27], exec
	s_and_b64 s[44:45], s[30:31], exec
	s_andn2_b64 s[24:25], s[24:25], exec
	s_and_b64 s[42:43], s[42:43], exec
	s_or_b64 s[26:27], s[26:27], s[44:45]
	s_or_b64 s[24:25], s[24:25], s[42:43]
	s_andn2_b64 exec, exec, s[28:29]
	s_cbranch_execz .LBB263_49
.LBB263_47:                             ; =>This Inner Loop Header: Depth=1
	global_load_ubyte v38, v[22:23], off
	global_load_ubyte v39, v[24:25], off
	s_andn2_b64 s[36:37], s[36:37], exec
	s_or_b64 s[30:31], s[30:31], exec
	s_or_b64 s[34:35], s[34:35], exec
	s_waitcnt vmcnt(0)
	v_cmp_le_i16_sdwa s[44:45], sext(v38), sext(v39) src0_sel:BYTE_0 src1_sel:BYTE_0
	v_cmp_lt_i16_sdwa s[42:43], sext(v38), sext(v39) src0_sel:BYTE_0 src1_sel:BYTE_0
	s_and_b64 s[44:45], s[44:45], s[40:41]
	v_cmp_eq_u16_sdwa s[46:47], v38, v39 src0_sel:BYTE_0 src1_sel:BYTE_0
	s_or_b64 s[42:43], s[42:43], s[44:45]
	s_and_saveexec_b64 s[44:45], s[46:47]
	s_cbranch_execz .LBB263_46
; %bb.48:                               ;   in Loop: Header=BB263_47 Depth=1
	s_add_u32 s38, s38, -1
	s_addc_u32 s39, s39, -1
	v_add_co_u32_e32 v22, vcc, 1, v22
	s_cmp_eq_u64 s[38:39], 0
	v_addc_co_u32_e32 v23, vcc, 0, v23, vcc
	s_cselect_b64 s[40:41], -1, 0
	v_add_co_u32_e32 v24, vcc, 1, v24
	s_andn2_b64 s[36:37], s[36:37], exec
	s_and_b64 s[46:47], s[42:43], exec
	s_andn2_b64 s[34:35], s[34:35], exec
	s_and_b64 s[40:41], s[40:41], exec
	v_addc_co_u32_e32 v25, vcc, 0, v25, vcc
	s_or_b64 s[36:37], s[36:37], s[46:47]
	s_andn2_b64 s[30:31], s[30:31], exec
	s_or_b64 s[34:35], s[34:35], s[40:41]
                                        ; implicit-def: $sgpr40_sgpr41
	s_branch .LBB263_46
.LBB263_49:
	s_or_b64 exec, exec, s[28:29]
	s_and_saveexec_b64 s[28:29], s[26:27]
	s_xor_b64 s[26:27], exec, s[28:29]
	s_cbranch_execz .LBB263_53
; %bb.50:
	s_and_saveexec_b64 s[28:29], s[24:25]
; %bb.51:
	v_mov_b32_e32 v4, v16
	v_mov_b32_e32 v5, v17
	v_mov_b32_e32 v6, v14
	v_mov_b32_e32 v7, v15
	v_pk_mov_b32 v[14:15], v[16:17], v[16:17] op_sel:[0,1]
	v_pk_mov_b32 v[18:19], v[20:21], v[20:21] op_sel:[0,1]
; %bb.52:
	s_or_b64 exec, exec, s[28:29]
.LBB263_53:
	s_or_b64 exec, exec, s[26:27]
.LBB263_54:
	s_and_b64 vcc, exec, s[0:1]
	s_cbranch_vccnz .LBB263_62
; %bb.55:
	v_mov_b32_e32 v17, s15
	v_add_co_u32_e32 v16, vcc, s14, v18
	v_addc_co_u32_e32 v17, vcc, v17, v19, vcc
	v_pk_mov_b32 v[18:19], s[14:15], s[14:15] op_sel:[0,1]
	v_mad_u64_u32 v[18:19], s[0:1], v10, s12, v[18:19]
	v_mul_lo_u32 v20, v10, s13
	v_mul_lo_u32 v21, v11, s12
	v_add3_u32 v19, v21, v19, v20
	s_mov_b64 s[24:25], 0
	s_mov_b64 s[36:37], s[12:13]
                                        ; implicit-def: $sgpr0_sgpr1
                                        ; implicit-def: $sgpr26_sgpr27
                                        ; implicit-def: $sgpr30_sgpr31
                                        ; implicit-def: $sgpr28_sgpr29
                                        ; implicit-def: $sgpr34_sgpr35
                                        ; implicit-def: $sgpr38_sgpr39
	s_branch .LBB263_57
.LBB263_56:                             ;   in Loop: Header=BB263_57 Depth=1
	s_or_b64 exec, exec, s[42:43]
	s_and_b64 s[42:43], exec, s[30:31]
	s_or_b64 s[24:25], s[42:43], s[24:25]
	s_andn2_b64 s[38:39], s[38:39], exec
	s_and_b64 s[42:43], s[34:35], exec
	s_or_b64 s[38:39], s[38:39], s[42:43]
	s_andn2_b64 s[26:27], s[26:27], exec
	s_and_b64 s[42:43], s[28:29], exec
	s_andn2_b64 s[0:1], s[0:1], exec
	s_and_b64 s[40:41], s[40:41], exec
	s_or_b64 s[26:27], s[26:27], s[42:43]
	s_or_b64 s[0:1], s[0:1], s[40:41]
	s_andn2_b64 exec, exec, s[24:25]
	s_cbranch_execz .LBB263_59
.LBB263_57:                             ; =>This Inner Loop Header: Depth=1
	global_load_ubyte v20, v[16:17], off
	global_load_ubyte v21, v[18:19], off
	s_andn2_b64 s[34:35], s[34:35], exec
	s_or_b64 s[28:29], s[28:29], exec
	s_or_b64 s[30:31], s[30:31], exec
	s_waitcnt vmcnt(0)
	v_cmp_le_i16_sdwa s[42:43], sext(v20), sext(v21) src0_sel:BYTE_0 src1_sel:BYTE_0
	v_cmp_lt_i16_sdwa s[40:41], sext(v20), sext(v21) src0_sel:BYTE_0 src1_sel:BYTE_0
	s_and_b64 s[42:43], s[42:43], s[38:39]
	v_cmp_eq_u16_sdwa s[44:45], v20, v21 src0_sel:BYTE_0 src1_sel:BYTE_0
	s_or_b64 s[40:41], s[40:41], s[42:43]
	s_and_saveexec_b64 s[42:43], s[44:45]
	s_cbranch_execz .LBB263_56
; %bb.58:                               ;   in Loop: Header=BB263_57 Depth=1
	s_add_u32 s36, s36, -1
	s_addc_u32 s37, s37, -1
	v_add_co_u32_e32 v16, vcc, 1, v16
	s_cmp_eq_u64 s[36:37], 0
	v_addc_co_u32_e32 v17, vcc, 0, v17, vcc
	s_cselect_b64 s[38:39], -1, 0
	v_add_co_u32_e32 v18, vcc, 1, v18
	s_andn2_b64 s[34:35], s[34:35], exec
	s_and_b64 s[44:45], s[40:41], exec
	s_andn2_b64 s[30:31], s[30:31], exec
	s_and_b64 s[38:39], s[38:39], exec
	v_addc_co_u32_e32 v19, vcc, 0, v19, vcc
	s_or_b64 s[34:35], s[34:35], s[44:45]
	s_andn2_b64 s[28:29], s[28:29], exec
	s_or_b64 s[30:31], s[30:31], s[38:39]
                                        ; implicit-def: $sgpr38_sgpr39
	s_branch .LBB263_56
.LBB263_59:
	s_or_b64 exec, exec, s[24:25]
	s_and_saveexec_b64 s[24:25], s[26:27]
	s_xor_b64 s[24:25], exec, s[24:25]
; %bb.60:
	v_cndmask_b32_e64 v5, v5, v11, s[0:1]
	v_cndmask_b32_e64 v4, v4, v10, s[0:1]
	;; [unrolled: 1-line block ×4, first 2 shown]
; %bb.61:
	s_or_b64 exec, exec, s[24:25]
.LBB263_62:
	s_or_b64 exec, exec, s[22:23]
	v_mbcnt_lo_u32_b32 v10, -1, 0
	v_and_b32_e32 v11, 0xffffff00, v37
	v_mbcnt_hi_u32_b32 v10, -1, v10
	s_movk_i32 s0, 0x400
	v_lshlrev_b32_e32 v16, 3, v11
	v_sub_u32_e64 v17, s0, v11 clamp
	v_lshlrev_b32_e32 v18, 2, v10
	v_lshl_add_u32 v19, v10, 5, v16
	v_mov_b32_e32 v10, v2
	v_mov_b32_e32 v11, v3
	ds_write_b128 v19, v[8:11]
	ds_write_b128 v19, v[4:7] offset:16
	v_or_b32_e32 v8, 4, v18
	v_min_u32_e32 v14, v17, v8
	v_add_u32_e32 v8, 4, v14
	v_and_b32_e32 v22, 0x1f8, v18
	v_min_u32_e32 v15, v17, v8
	v_and_b32_e32 v8, 4, v18
	v_min_u32_e32 v23, v17, v8
	v_sub_u32_e32 v8, v14, v22
	v_sub_u32_e32 v9, v15, v14
	v_sub_u32_e64 v21, v23, v9 clamp
	v_min_u32_e32 v24, v23, v8
	v_lshl_add_u32 v20, v22, 3, v16
	v_cmp_lt_u32_e32 vcc, v21, v24
	; wave barrier
	s_and_saveexec_b64 s[22:23], vcc
	s_cbranch_execz .LBB263_72
; %bb.63:
	v_lshlrev_b32_e32 v8, 3, v14
	v_lshlrev_b32_e32 v9, 3, v23
	v_add3_u32 v25, v16, v8, v9
	v_cndmask_b32_e64 v8, 0, 1, s[4:5]
	s_mov_b64 s[24:25], 0
	v_cmp_ne_u32_e64 s[0:1], 1, v8
	s_branch .LBB263_66
.LBB263_64:                             ;   in Loop: Header=BB263_66 Depth=1
	s_or_b64 exec, exec, s[28:29]
.LBB263_65:                             ;   in Loop: Header=BB263_66 Depth=1
	v_add_u32_e32 v8, 1, v37
	v_cndmask_b32_e64 v24, v24, v37, s[26:27]
	v_cndmask_b32_e64 v21, v8, v21, s[26:27]
	v_cmp_ge_u32_e32 vcc, v21, v24
	s_or_b64 s[24:25], vcc, s[24:25]
	s_andn2_b64 exec, exec, s[24:25]
	s_cbranch_execz .LBB263_71
.LBB263_66:                             ; =>This Loop Header: Depth=1
                                        ;     Child Loop BB263_69 Depth 2
	v_add_u32_e32 v8, v24, v21
	v_lshrrev_b32_e32 v37, 1, v8
	s_and_b64 vcc, exec, s[0:1]
	s_mov_b64 s[26:27], 0
	s_cbranch_vccnz .LBB263_65
; %bb.67:                               ;   in Loop: Header=BB263_66 Depth=1
	v_not_b32_e32 v8, v37
	v_lshl_add_u32 v8, v8, 3, v25
	ds_read_b64 v[8:9], v8
	v_lshl_add_u32 v38, v37, 3, v20
	ds_read_b64 v[38:39], v38
	v_pk_mov_b32 v[10:11], s[14:15], s[14:15] op_sel:[0,1]
	s_mov_b64 s[28:29], 0
	s_waitcnt lgkmcnt(1)
	v_mul_lo_u32 v40, v8, s13
	v_mul_lo_u32 v41, v9, s12
	v_mad_u64_u32 v[8:9], s[26:27], v8, s12, v[10:11]
	v_add3_u32 v9, v41, v9, v40
	s_waitcnt lgkmcnt(0)
	v_mul_lo_u32 v40, v38, s13
	v_mul_lo_u32 v39, v39, s12
	v_mad_u64_u32 v[10:11], s[26:27], v38, s12, v[10:11]
	v_add3_u32 v11, v39, v11, v40
	s_mov_b64 s[36:37], s[12:13]
                                        ; implicit-def: $sgpr26_sgpr27
                                        ; implicit-def: $sgpr30_sgpr31
                                        ; implicit-def: $sgpr34_sgpr35
                                        ; implicit-def: $sgpr38_sgpr39
                                        ; implicit-def: $sgpr40_sgpr41
	s_branch .LBB263_69
.LBB263_68:                             ;   in Loop: Header=BB263_69 Depth=2
	s_or_b64 exec, exec, s[42:43]
	s_and_b64 s[42:43], exec, s[30:31]
	s_or_b64 s[28:29], s[42:43], s[28:29]
	s_andn2_b64 s[40:41], s[40:41], exec
	s_and_b64 s[42:43], s[34:35], exec
	s_or_b64 s[40:41], s[40:41], s[42:43]
	s_andn2_b64 s[26:27], s[26:27], exec
	s_and_b64 s[42:43], s[38:39], exec
	s_or_b64 s[26:27], s[26:27], s[42:43]
	s_andn2_b64 exec, exec, s[28:29]
	s_cbranch_execz .LBB263_64
.LBB263_69:                             ;   Parent Loop BB263_66 Depth=1
                                        ; =>  This Inner Loop Header: Depth=2
	global_load_ubyte v38, v[8:9], off
	global_load_ubyte v39, v[10:11], off
	s_andn2_b64 s[38:39], s[38:39], exec
	s_andn2_b64 s[34:35], s[34:35], exec
	s_or_b64 s[30:31], s[30:31], exec
	s_waitcnt vmcnt(0)
	v_cmp_le_i16_sdwa s[44:45], sext(v38), sext(v39) src0_sel:BYTE_0 src1_sel:BYTE_0
	v_cmp_lt_i16_sdwa s[42:43], sext(v38), sext(v39) src0_sel:BYTE_0 src1_sel:BYTE_0
	s_and_b64 s[44:45], s[44:45], s[40:41]
	s_or_b64 s[44:45], s[42:43], s[44:45]
	s_and_b64 s[42:43], s[44:45], exec
	v_cmp_eq_u16_sdwa s[46:47], v38, v39 src0_sel:BYTE_0 src1_sel:BYTE_0
	s_or_b64 s[38:39], s[38:39], s[42:43]
	s_and_saveexec_b64 s[42:43], s[46:47]
	s_cbranch_execz .LBB263_68
; %bb.70:                               ;   in Loop: Header=BB263_69 Depth=2
	s_add_u32 s36, s36, -1
	s_addc_u32 s37, s37, -1
	v_add_co_u32_e32 v8, vcc, 1, v8
	s_cmp_eq_u64 s[36:37], 0
	v_addc_co_u32_e32 v9, vcc, 0, v9, vcc
	s_cselect_b64 s[40:41], -1, 0
	v_add_co_u32_e32 v10, vcc, 1, v10
	s_andn2_b64 s[34:35], s[34:35], exec
	s_and_b64 s[44:45], s[44:45], exec
	s_andn2_b64 s[30:31], s[30:31], exec
	s_and_b64 s[40:41], s[40:41], exec
	v_addc_co_u32_e32 v11, vcc, 0, v11, vcc
	s_andn2_b64 s[38:39], s[38:39], exec
	s_or_b64 s[34:35], s[34:35], s[44:45]
	s_or_b64 s[30:31], s[30:31], s[40:41]
                                        ; implicit-def: $sgpr40_sgpr41
	s_branch .LBB263_68
.LBB263_71:
	s_or_b64 exec, exec, s[24:25]
.LBB263_72:
	s_or_b64 exec, exec, s[22:23]
	v_add_u32_e32 v9, v14, v23
	v_add_u32_e32 v8, v21, v22
	v_sub_u32_e32 v9, v9, v21
	v_cmp_le_u32_e32 vcc, v8, v14
	v_cmp_le_u32_e64 s[0:1], v9, v15
	s_or_b64 s[0:1], vcc, s[0:1]
	s_and_saveexec_b64 s[22:23], s[0:1]
	s_cbranch_execz .LBB263_119
; %bb.73:
	v_cmp_ge_u32_e32 vcc, v8, v14
	v_cmp_lt_u32_e64 s[0:1], v8, v14
                                        ; implicit-def: $vgpr0_vgpr1
	s_and_saveexec_b64 s[24:25], s[0:1]
	s_cbranch_execz .LBB263_75
; %bb.74:
	v_lshl_add_u32 v0, v21, 3, v20
	ds_read_b64 v[0:1], v0
.LBB263_75:
	s_or_b64 exec, exec, s[24:25]
	v_cmp_ge_u32_e64 s[24:25], v9, v15
	v_cmp_lt_u32_e64 s[0:1], v9, v15
                                        ; implicit-def: $vgpr2_vgpr3
	s_and_saveexec_b64 s[26:27], s[0:1]
	s_cbranch_execz .LBB263_77
; %bb.76:
	v_lshl_add_u32 v2, v9, 3, v16
	ds_read_b64 v[2:3], v2
.LBB263_77:
	s_or_b64 exec, exec, s[26:27]
	s_or_b64 s[26:27], vcc, s[24:25]
	s_mov_b64 s[0:1], -1
	s_xor_b64 s[28:29], s[26:27], -1
	s_and_saveexec_b64 s[26:27], s[28:29]
	s_cbranch_execz .LBB263_86
; %bb.78:
	s_andn2_b64 vcc, exec, s[4:5]
	s_cbranch_vccnz .LBB263_84
; %bb.79:
	v_pk_mov_b32 v[6:7], s[14:15], s[14:15] op_sel:[0,1]
	s_waitcnt lgkmcnt(0)
	v_mad_u64_u32 v[4:5], s[28:29], v2, s12, v[6:7]
	v_mul_lo_u32 v10, v2, s13
	v_mul_lo_u32 v11, v3, s12
	v_add3_u32 v5, v11, v5, v10
	v_mad_u64_u32 v[6:7], s[28:29], v0, s12, v[6:7]
	v_mul_lo_u32 v10, v0, s13
	v_mul_lo_u32 v11, v1, s12
	v_add3_u32 v7, v11, v7, v10
	s_mov_b64 s[28:29], 0
	s_mov_b64 s[38:39], s[12:13]
                                        ; implicit-def: $sgpr30_sgpr31
                                        ; implicit-def: $sgpr34_sgpr35
                                        ; implicit-def: $sgpr40_sgpr41
                                        ; implicit-def: $sgpr36_sgpr37
                                        ; implicit-def: $sgpr42_sgpr43
	s_branch .LBB263_81
.LBB263_80:                             ;   in Loop: Header=BB263_81 Depth=1
	s_or_b64 exec, exec, s[44:45]
	s_and_b64 s[44:45], exec, s[34:35]
	s_or_b64 s[28:29], s[44:45], s[28:29]
	s_andn2_b64 s[42:43], s[42:43], exec
	s_and_b64 s[44:45], s[36:37], exec
	s_or_b64 s[42:43], s[42:43], s[44:45]
	s_andn2_b64 s[30:31], s[30:31], exec
	s_and_b64 s[44:45], s[40:41], exec
	s_or_b64 s[30:31], s[30:31], s[44:45]
	s_andn2_b64 exec, exec, s[28:29]
	s_cbranch_execz .LBB263_83
.LBB263_81:                             ; =>This Inner Loop Header: Depth=1
	global_load_ubyte v10, v[4:5], off
	global_load_ubyte v11, v[6:7], off
	s_andn2_b64 s[40:41], s[40:41], exec
	s_andn2_b64 s[36:37], s[36:37], exec
	s_or_b64 s[34:35], s[34:35], exec
	s_waitcnt vmcnt(0)
	v_cmp_le_i16_sdwa s[46:47], sext(v10), sext(v11) src0_sel:BYTE_0 src1_sel:BYTE_0
	v_cmp_lt_i16_sdwa s[44:45], sext(v10), sext(v11) src0_sel:BYTE_0 src1_sel:BYTE_0
	s_and_b64 s[46:47], s[46:47], s[42:43]
	s_or_b64 s[46:47], s[44:45], s[46:47]
	s_and_b64 s[44:45], s[46:47], exec
	v_cmp_eq_u16_sdwa s[48:49], v10, v11 src0_sel:BYTE_0 src1_sel:BYTE_0
	s_or_b64 s[40:41], s[40:41], s[44:45]
	s_and_saveexec_b64 s[44:45], s[48:49]
	s_cbranch_execz .LBB263_80
; %bb.82:                               ;   in Loop: Header=BB263_81 Depth=1
	s_add_u32 s38, s38, -1
	s_addc_u32 s39, s39, -1
	v_add_co_u32_e32 v4, vcc, 1, v4
	s_cmp_eq_u64 s[38:39], 0
	v_addc_co_u32_e32 v5, vcc, 0, v5, vcc
	s_cselect_b64 s[42:43], -1, 0
	v_add_co_u32_e32 v6, vcc, 1, v6
	s_andn2_b64 s[36:37], s[36:37], exec
	s_and_b64 s[46:47], s[46:47], exec
	s_andn2_b64 s[34:35], s[34:35], exec
	s_and_b64 s[42:43], s[42:43], exec
	v_addc_co_u32_e32 v7, vcc, 0, v7, vcc
	s_or_b64 s[36:37], s[36:37], s[46:47]
	s_andn2_b64 s[40:41], s[40:41], exec
	s_or_b64 s[34:35], s[34:35], s[42:43]
                                        ; implicit-def: $sgpr42_sgpr43
	s_branch .LBB263_80
.LBB263_83:
	s_or_b64 exec, exec, s[28:29]
	s_xor_b64 s[28:29], s[30:31], -1
	s_branch .LBB263_85
.LBB263_84:
	s_mov_b64 s[28:29], -1
.LBB263_85:
	s_andn2_b64 s[24:25], s[24:25], exec
	s_and_b64 s[28:29], s[28:29], exec
	s_or_b64 s[24:25], s[24:25], s[28:29]
.LBB263_86:
	s_or_b64 exec, exec, s[26:27]
	v_cndmask_b32_e64 v4, v9, v8, s[24:25]
	v_cndmask_b32_e64 v5, v15, v14, s[24:25]
	v_add_u32_e32 v6, 1, v4
	v_add_u32_e32 v4, -1, v5
	v_min_u32_e32 v4, v6, v4
	v_lshl_add_u32 v4, v4, 3, v16
	ds_read_b64 v[4:5], v4
	v_cndmask_b32_e64 v9, v6, v9, s[24:25]
	v_cndmask_b32_e64 v8, v8, v6, s[24:25]
	v_cmp_lt_u32_e32 vcc, v9, v15
	s_waitcnt lgkmcnt(0)
	v_cndmask_b32_e64 v20, v5, v3, s[24:25]
	v_cndmask_b32_e64 v21, v4, v2, s[24:25]
	;; [unrolled: 1-line block ×4, first 2 shown]
	s_and_saveexec_b64 s[26:27], vcc
	s_cbranch_execz .LBB263_97
; %bb.87:
	v_cmp_lt_u32_e32 vcc, v8, v14
	s_mov_b64 s[28:29], 0
	s_and_saveexec_b64 s[0:1], vcc
	s_cbranch_execz .LBB263_96
; %bb.88:
	s_andn2_b64 vcc, exec, s[4:5]
	s_cbranch_vccnz .LBB263_94
; %bb.89:
	v_pk_mov_b32 v[6:7], s[14:15], s[14:15] op_sel:[0,1]
	v_mad_u64_u32 v[4:5], s[28:29], v21, s12, v[6:7]
	v_mul_lo_u32 v10, v21, s13
	v_mul_lo_u32 v11, v20, s12
	v_add3_u32 v5, v11, v5, v10
	v_mad_u64_u32 v[6:7], s[28:29], v23, s12, v[6:7]
	v_mul_lo_u32 v10, v23, s13
	v_mul_lo_u32 v11, v22, s12
	v_add3_u32 v7, v11, v7, v10
	s_mov_b64 s[28:29], 0
	s_mov_b64 s[38:39], s[12:13]
                                        ; implicit-def: $sgpr30_sgpr31
                                        ; implicit-def: $sgpr34_sgpr35
                                        ; implicit-def: $sgpr40_sgpr41
                                        ; implicit-def: $sgpr36_sgpr37
                                        ; implicit-def: $sgpr42_sgpr43
	s_branch .LBB263_91
.LBB263_90:                             ;   in Loop: Header=BB263_91 Depth=1
	s_or_b64 exec, exec, s[44:45]
	s_and_b64 s[44:45], exec, s[34:35]
	s_or_b64 s[28:29], s[44:45], s[28:29]
	s_andn2_b64 s[42:43], s[42:43], exec
	s_and_b64 s[44:45], s[36:37], exec
	s_or_b64 s[42:43], s[42:43], s[44:45]
	s_andn2_b64 s[30:31], s[30:31], exec
	s_and_b64 s[44:45], s[40:41], exec
	s_or_b64 s[30:31], s[30:31], s[44:45]
	s_andn2_b64 exec, exec, s[28:29]
	s_cbranch_execz .LBB263_93
.LBB263_91:                             ; =>This Inner Loop Header: Depth=1
	global_load_ubyte v10, v[4:5], off
	global_load_ubyte v11, v[6:7], off
	s_andn2_b64 s[40:41], s[40:41], exec
	s_andn2_b64 s[36:37], s[36:37], exec
	s_or_b64 s[34:35], s[34:35], exec
	s_waitcnt vmcnt(0)
	v_cmp_le_i16_sdwa s[46:47], sext(v10), sext(v11) src0_sel:BYTE_0 src1_sel:BYTE_0
	v_cmp_lt_i16_sdwa s[44:45], sext(v10), sext(v11) src0_sel:BYTE_0 src1_sel:BYTE_0
	s_and_b64 s[46:47], s[46:47], s[42:43]
	s_or_b64 s[46:47], s[44:45], s[46:47]
	s_and_b64 s[44:45], s[46:47], exec
	v_cmp_eq_u16_sdwa s[48:49], v10, v11 src0_sel:BYTE_0 src1_sel:BYTE_0
	s_or_b64 s[40:41], s[40:41], s[44:45]
	s_and_saveexec_b64 s[44:45], s[48:49]
	s_cbranch_execz .LBB263_90
; %bb.92:                               ;   in Loop: Header=BB263_91 Depth=1
	s_add_u32 s38, s38, -1
	s_addc_u32 s39, s39, -1
	v_add_co_u32_e32 v4, vcc, 1, v4
	s_cmp_eq_u64 s[38:39], 0
	v_addc_co_u32_e32 v5, vcc, 0, v5, vcc
	s_cselect_b64 s[42:43], -1, 0
	v_add_co_u32_e32 v6, vcc, 1, v6
	s_andn2_b64 s[36:37], s[36:37], exec
	s_and_b64 s[46:47], s[46:47], exec
	s_andn2_b64 s[34:35], s[34:35], exec
	s_and_b64 s[42:43], s[42:43], exec
	v_addc_co_u32_e32 v7, vcc, 0, v7, vcc
	s_or_b64 s[36:37], s[36:37], s[46:47]
	s_andn2_b64 s[40:41], s[40:41], exec
	s_or_b64 s[34:35], s[34:35], s[42:43]
                                        ; implicit-def: $sgpr42_sgpr43
	s_branch .LBB263_90
.LBB263_93:
	s_or_b64 exec, exec, s[28:29]
	s_xor_b64 s[28:29], s[30:31], -1
	s_branch .LBB263_95
.LBB263_94:
	s_mov_b64 s[28:29], -1
.LBB263_95:
	s_and_b64 s[28:29], s[28:29], exec
.LBB263_96:
	s_or_b64 exec, exec, s[0:1]
	s_orn2_b64 s[0:1], s[28:29], exec
.LBB263_97:
	s_or_b64 exec, exec, s[26:27]
	v_cndmask_b32_e64 v4, v9, v8, s[0:1]
	v_cndmask_b32_e64 v5, v15, v14, s[0:1]
	v_add_u32_e32 v6, 1, v4
	v_add_u32_e32 v4, -1, v5
	v_min_u32_e32 v4, v6, v4
	v_lshl_add_u32 v4, v4, 3, v16
	ds_read_b64 v[4:5], v4
	v_cndmask_b32_e64 v9, v6, v9, s[0:1]
	v_cndmask_b32_e64 v8, v8, v6, s[0:1]
	v_cmp_lt_u32_e32 vcc, v9, v15
	s_mov_b64 s[26:27], -1
	s_waitcnt lgkmcnt(0)
	v_cndmask_b32_e64 v24, v5, v20, s[0:1]
	v_cndmask_b32_e64 v25, v4, v21, s[0:1]
	v_cndmask_b32_e64 v37, v22, v5, s[0:1]
	v_cndmask_b32_e64 v38, v23, v4, s[0:1]
	s_and_saveexec_b64 s[28:29], vcc
	s_cbranch_execz .LBB263_108
; %bb.98:
	v_cmp_lt_u32_e32 vcc, v8, v14
	s_mov_b64 s[30:31], 0
	s_and_saveexec_b64 s[26:27], vcc
	s_cbranch_execz .LBB263_107
; %bb.99:
	s_andn2_b64 vcc, exec, s[4:5]
	s_cbranch_vccnz .LBB263_105
; %bb.100:
	v_pk_mov_b32 v[6:7], s[14:15], s[14:15] op_sel:[0,1]
	v_mad_u64_u32 v[4:5], s[30:31], v25, s12, v[6:7]
	v_mul_lo_u32 v10, v25, s13
	v_mul_lo_u32 v11, v24, s12
	v_add3_u32 v5, v11, v5, v10
	v_mad_u64_u32 v[6:7], s[30:31], v38, s12, v[6:7]
	v_mul_lo_u32 v10, v38, s13
	v_mul_lo_u32 v11, v37, s12
	v_add3_u32 v7, v11, v7, v10
	s_mov_b64 s[30:31], 0
	s_mov_b64 s[40:41], s[12:13]
                                        ; implicit-def: $sgpr34_sgpr35
                                        ; implicit-def: $sgpr36_sgpr37
                                        ; implicit-def: $sgpr42_sgpr43
                                        ; implicit-def: $sgpr38_sgpr39
                                        ; implicit-def: $sgpr44_sgpr45
	s_branch .LBB263_102
.LBB263_101:                            ;   in Loop: Header=BB263_102 Depth=1
	s_or_b64 exec, exec, s[46:47]
	s_and_b64 s[46:47], exec, s[36:37]
	s_or_b64 s[30:31], s[46:47], s[30:31]
	s_andn2_b64 s[44:45], s[44:45], exec
	s_and_b64 s[46:47], s[38:39], exec
	s_or_b64 s[44:45], s[44:45], s[46:47]
	s_andn2_b64 s[34:35], s[34:35], exec
	s_and_b64 s[46:47], s[42:43], exec
	s_or_b64 s[34:35], s[34:35], s[46:47]
	s_andn2_b64 exec, exec, s[30:31]
	s_cbranch_execz .LBB263_104
.LBB263_102:                            ; =>This Inner Loop Header: Depth=1
	global_load_ubyte v10, v[4:5], off
	global_load_ubyte v11, v[6:7], off
	s_andn2_b64 s[42:43], s[42:43], exec
	s_andn2_b64 s[38:39], s[38:39], exec
	s_or_b64 s[36:37], s[36:37], exec
	s_waitcnt vmcnt(0)
	v_cmp_le_i16_sdwa s[48:49], sext(v10), sext(v11) src0_sel:BYTE_0 src1_sel:BYTE_0
	v_cmp_lt_i16_sdwa s[46:47], sext(v10), sext(v11) src0_sel:BYTE_0 src1_sel:BYTE_0
	s_and_b64 s[48:49], s[48:49], s[44:45]
	s_or_b64 s[48:49], s[46:47], s[48:49]
	s_and_b64 s[46:47], s[48:49], exec
	v_cmp_eq_u16_sdwa s[50:51], v10, v11 src0_sel:BYTE_0 src1_sel:BYTE_0
	s_or_b64 s[42:43], s[42:43], s[46:47]
	s_and_saveexec_b64 s[46:47], s[50:51]
	s_cbranch_execz .LBB263_101
; %bb.103:                              ;   in Loop: Header=BB263_102 Depth=1
	s_add_u32 s40, s40, -1
	s_addc_u32 s41, s41, -1
	v_add_co_u32_e32 v4, vcc, 1, v4
	s_cmp_eq_u64 s[40:41], 0
	v_addc_co_u32_e32 v5, vcc, 0, v5, vcc
	s_cselect_b64 s[44:45], -1, 0
	v_add_co_u32_e32 v6, vcc, 1, v6
	s_andn2_b64 s[38:39], s[38:39], exec
	s_and_b64 s[48:49], s[48:49], exec
	s_andn2_b64 s[36:37], s[36:37], exec
	s_and_b64 s[44:45], s[44:45], exec
	v_addc_co_u32_e32 v7, vcc, 0, v7, vcc
	s_or_b64 s[38:39], s[38:39], s[48:49]
	s_andn2_b64 s[42:43], s[42:43], exec
	s_or_b64 s[36:37], s[36:37], s[44:45]
                                        ; implicit-def: $sgpr44_sgpr45
	s_branch .LBB263_101
.LBB263_104:
	s_or_b64 exec, exec, s[30:31]
	s_xor_b64 s[30:31], s[34:35], -1
	s_branch .LBB263_106
.LBB263_105:
	s_mov_b64 s[30:31], -1
.LBB263_106:
	s_and_b64 s[30:31], s[30:31], exec
.LBB263_107:
	s_or_b64 exec, exec, s[26:27]
	s_orn2_b64 s[26:27], s[30:31], exec
.LBB263_108:
	s_or_b64 exec, exec, s[28:29]
	v_cndmask_b32_e64 v4, v9, v8, s[26:27]
	v_cndmask_b32_e64 v5, v15, v14, s[26:27]
	v_add_u32_e32 v10, 1, v4
	v_add_u32_e32 v4, -1, v5
	v_min_u32_e32 v4, v10, v4
	v_lshl_add_u32 v4, v4, 3, v16
	ds_read_b64 v[4:5], v4
	v_cndmask_b32_e64 v9, v10, v9, s[26:27]
	v_cmp_lt_u32_e32 vcc, v9, v15
	s_waitcnt lgkmcnt(0)
	v_cndmask_b32_e64 v7, v37, v5, s[26:27]
	v_cndmask_b32_e64 v6, v38, v4, s[26:27]
	s_and_saveexec_b64 s[28:29], vcc
	s_cbranch_execz .LBB263_118
; %bb.109:
	v_cndmask_b32_e64 v8, v8, v10, s[26:27]
	v_cndmask_b32_e64 v5, v5, v24, s[26:27]
	;; [unrolled: 1-line block ×3, first 2 shown]
	v_cmp_lt_u32_e32 vcc, v8, v14
	s_and_saveexec_b64 s[30:31], vcc
	s_cbranch_execz .LBB263_117
; %bb.110:
	s_andn2_b64 vcc, exec, s[4:5]
	s_cbranch_vccnz .LBB263_116
; %bb.111:
	v_pk_mov_b32 v[10:11], s[14:15], s[14:15] op_sel:[0,1]
	v_mad_u64_u32 v[8:9], s[34:35], v4, s12, v[10:11]
	v_mul_lo_u32 v14, v4, s13
	v_mul_lo_u32 v15, v5, s12
	v_add3_u32 v9, v15, v9, v14
	v_mad_u64_u32 v[10:11], s[34:35], v6, s12, v[10:11]
	v_mul_lo_u32 v14, v6, s13
	v_mul_lo_u32 v15, v7, s12
	v_add3_u32 v11, v15, v11, v14
	s_mov_b64 s[34:35], 0
	s_mov_b64 s[42:43], s[12:13]
                                        ; implicit-def: $sgpr36_sgpr37
                                        ; implicit-def: $sgpr38_sgpr39
                                        ; implicit-def: $sgpr44_sgpr45
                                        ; implicit-def: $sgpr40_sgpr41
                                        ; implicit-def: $sgpr46_sgpr47
	s_branch .LBB263_113
.LBB263_112:                            ;   in Loop: Header=BB263_113 Depth=1
	s_or_b64 exec, exec, s[48:49]
	s_and_b64 s[48:49], exec, s[38:39]
	s_or_b64 s[34:35], s[48:49], s[34:35]
	s_andn2_b64 s[46:47], s[46:47], exec
	s_and_b64 s[48:49], s[40:41], exec
	s_or_b64 s[46:47], s[46:47], s[48:49]
	s_andn2_b64 s[36:37], s[36:37], exec
	s_and_b64 s[48:49], s[44:45], exec
	s_or_b64 s[36:37], s[36:37], s[48:49]
	s_andn2_b64 exec, exec, s[34:35]
	s_cbranch_execz .LBB263_115
.LBB263_113:                            ; =>This Inner Loop Header: Depth=1
	global_load_ubyte v14, v[8:9], off
	global_load_ubyte v15, v[10:11], off
	s_andn2_b64 s[44:45], s[44:45], exec
	s_andn2_b64 s[40:41], s[40:41], exec
	s_or_b64 s[38:39], s[38:39], exec
	s_waitcnt vmcnt(0)
	v_cmp_le_i16_sdwa s[50:51], sext(v14), sext(v15) src0_sel:BYTE_0 src1_sel:BYTE_0
	v_cmp_lt_i16_sdwa s[48:49], sext(v14), sext(v15) src0_sel:BYTE_0 src1_sel:BYTE_0
	s_and_b64 s[50:51], s[50:51], s[46:47]
	s_or_b64 s[50:51], s[48:49], s[50:51]
	s_and_b64 s[48:49], s[50:51], exec
	v_cmp_eq_u16_sdwa s[52:53], v14, v15 src0_sel:BYTE_0 src1_sel:BYTE_0
	s_or_b64 s[44:45], s[44:45], s[48:49]
	s_and_saveexec_b64 s[48:49], s[52:53]
	s_cbranch_execz .LBB263_112
; %bb.114:                              ;   in Loop: Header=BB263_113 Depth=1
	s_add_u32 s42, s42, -1
	s_addc_u32 s43, s43, -1
	v_add_co_u32_e32 v8, vcc, 1, v8
	s_cmp_eq_u64 s[42:43], 0
	v_addc_co_u32_e32 v9, vcc, 0, v9, vcc
	s_cselect_b64 s[46:47], -1, 0
	v_add_co_u32_e32 v10, vcc, 1, v10
	s_andn2_b64 s[40:41], s[40:41], exec
	s_and_b64 s[50:51], s[50:51], exec
	s_andn2_b64 s[38:39], s[38:39], exec
	s_and_b64 s[46:47], s[46:47], exec
	v_addc_co_u32_e32 v11, vcc, 0, v11, vcc
	s_or_b64 s[40:41], s[40:41], s[50:51]
	s_andn2_b64 s[44:45], s[44:45], exec
	s_or_b64 s[38:39], s[38:39], s[46:47]
                                        ; implicit-def: $sgpr46_sgpr47
	s_branch .LBB263_112
.LBB263_115:
	s_or_b64 exec, exec, s[34:35]
	v_cndmask_b32_e64 v7, v7, v5, s[36:37]
	v_cndmask_b32_e64 v6, v6, v4, s[36:37]
.LBB263_116:
	v_pk_mov_b32 v[4:5], v[6:7], v[6:7] op_sel:[0,1]
.LBB263_117:
	s_or_b64 exec, exec, s[30:31]
	v_pk_mov_b32 v[6:7], v[4:5], v[4:5] op_sel:[0,1]
.LBB263_118:
	s_or_b64 exec, exec, s[28:29]
	v_cndmask_b32_e64 v1, v3, v1, s[24:25]
	v_cndmask_b32_e64 v0, v2, v0, s[24:25]
	;; [unrolled: 1-line block ×6, first 2 shown]
.LBB263_119:
	s_or_b64 exec, exec, s[22:23]
	v_and_b32_e32 v22, 0x1f0, v18
	v_or_b32_e32 v8, 8, v22
	v_min_u32_e32 v14, v17, v8
	v_add_u32_e32 v8, 8, v14
	v_min_u32_e32 v15, v17, v8
	v_and_b32_e32 v8, 12, v18
	v_min_u32_e32 v23, v17, v8
	v_sub_u32_e32 v8, v14, v22
	v_sub_u32_e32 v9, v15, v14
	v_sub_u32_e64 v21, v23, v9 clamp
	v_min_u32_e32 v24, v23, v8
	v_lshl_add_u32 v20, v22, 3, v16
	v_cmp_lt_u32_e32 vcc, v21, v24
	; wave barrier
	ds_write_b128 v19, v[0:3]
	ds_write_b128 v19, v[4:7] offset:16
	; wave barrier
	s_and_saveexec_b64 s[22:23], vcc
	s_cbranch_execz .LBB263_129
; %bb.120:
	v_lshlrev_b32_e32 v8, 3, v14
	v_lshlrev_b32_e32 v9, 3, v23
	v_add3_u32 v25, v16, v8, v9
	v_cndmask_b32_e64 v8, 0, 1, s[4:5]
	s_mov_b64 s[24:25], 0
	v_cmp_ne_u32_e64 s[0:1], 1, v8
	s_branch .LBB263_123
.LBB263_121:                            ;   in Loop: Header=BB263_123 Depth=1
	s_or_b64 exec, exec, s[28:29]
.LBB263_122:                            ;   in Loop: Header=BB263_123 Depth=1
	v_add_u32_e32 v8, 1, v37
	v_cndmask_b32_e64 v24, v24, v37, s[26:27]
	v_cndmask_b32_e64 v21, v8, v21, s[26:27]
	v_cmp_ge_u32_e32 vcc, v21, v24
	s_or_b64 s[24:25], vcc, s[24:25]
	s_andn2_b64 exec, exec, s[24:25]
	s_cbranch_execz .LBB263_128
.LBB263_123:                            ; =>This Loop Header: Depth=1
                                        ;     Child Loop BB263_126 Depth 2
	v_add_u32_e32 v8, v24, v21
	v_lshrrev_b32_e32 v37, 1, v8
	s_and_b64 vcc, exec, s[0:1]
	s_mov_b64 s[26:27], 0
	s_cbranch_vccnz .LBB263_122
; %bb.124:                              ;   in Loop: Header=BB263_123 Depth=1
	v_not_b32_e32 v8, v37
	v_lshl_add_u32 v8, v8, 3, v25
	ds_read_b64 v[8:9], v8
	v_lshl_add_u32 v38, v37, 3, v20
	ds_read_b64 v[38:39], v38
	v_pk_mov_b32 v[10:11], s[14:15], s[14:15] op_sel:[0,1]
	s_mov_b64 s[28:29], 0
	s_waitcnt lgkmcnt(1)
	v_mul_lo_u32 v40, v8, s13
	v_mul_lo_u32 v41, v9, s12
	v_mad_u64_u32 v[8:9], s[26:27], v8, s12, v[10:11]
	v_add3_u32 v9, v41, v9, v40
	s_waitcnt lgkmcnt(0)
	v_mul_lo_u32 v40, v38, s13
	v_mul_lo_u32 v39, v39, s12
	v_mad_u64_u32 v[10:11], s[26:27], v38, s12, v[10:11]
	v_add3_u32 v11, v39, v11, v40
	s_mov_b64 s[36:37], s[12:13]
                                        ; implicit-def: $sgpr26_sgpr27
                                        ; implicit-def: $sgpr30_sgpr31
                                        ; implicit-def: $sgpr34_sgpr35
                                        ; implicit-def: $sgpr38_sgpr39
                                        ; implicit-def: $sgpr40_sgpr41
	s_branch .LBB263_126
.LBB263_125:                            ;   in Loop: Header=BB263_126 Depth=2
	s_or_b64 exec, exec, s[42:43]
	s_and_b64 s[42:43], exec, s[30:31]
	s_or_b64 s[28:29], s[42:43], s[28:29]
	s_andn2_b64 s[40:41], s[40:41], exec
	s_and_b64 s[42:43], s[34:35], exec
	s_or_b64 s[40:41], s[40:41], s[42:43]
	s_andn2_b64 s[26:27], s[26:27], exec
	s_and_b64 s[42:43], s[38:39], exec
	s_or_b64 s[26:27], s[26:27], s[42:43]
	s_andn2_b64 exec, exec, s[28:29]
	s_cbranch_execz .LBB263_121
.LBB263_126:                            ;   Parent Loop BB263_123 Depth=1
                                        ; =>  This Inner Loop Header: Depth=2
	global_load_ubyte v38, v[8:9], off
	global_load_ubyte v39, v[10:11], off
	s_andn2_b64 s[38:39], s[38:39], exec
	s_andn2_b64 s[34:35], s[34:35], exec
	s_or_b64 s[30:31], s[30:31], exec
	s_waitcnt vmcnt(0)
	v_cmp_le_i16_sdwa s[44:45], sext(v38), sext(v39) src0_sel:BYTE_0 src1_sel:BYTE_0
	v_cmp_lt_i16_sdwa s[42:43], sext(v38), sext(v39) src0_sel:BYTE_0 src1_sel:BYTE_0
	s_and_b64 s[44:45], s[44:45], s[40:41]
	s_or_b64 s[44:45], s[42:43], s[44:45]
	s_and_b64 s[42:43], s[44:45], exec
	v_cmp_eq_u16_sdwa s[46:47], v38, v39 src0_sel:BYTE_0 src1_sel:BYTE_0
	s_or_b64 s[38:39], s[38:39], s[42:43]
	s_and_saveexec_b64 s[42:43], s[46:47]
	s_cbranch_execz .LBB263_125
; %bb.127:                              ;   in Loop: Header=BB263_126 Depth=2
	s_add_u32 s36, s36, -1
	s_addc_u32 s37, s37, -1
	v_add_co_u32_e32 v8, vcc, 1, v8
	s_cmp_eq_u64 s[36:37], 0
	v_addc_co_u32_e32 v9, vcc, 0, v9, vcc
	s_cselect_b64 s[40:41], -1, 0
	v_add_co_u32_e32 v10, vcc, 1, v10
	s_andn2_b64 s[34:35], s[34:35], exec
	s_and_b64 s[44:45], s[44:45], exec
	s_andn2_b64 s[30:31], s[30:31], exec
	s_and_b64 s[40:41], s[40:41], exec
	v_addc_co_u32_e32 v11, vcc, 0, v11, vcc
	s_andn2_b64 s[38:39], s[38:39], exec
	s_or_b64 s[34:35], s[34:35], s[44:45]
	s_or_b64 s[30:31], s[30:31], s[40:41]
                                        ; implicit-def: $sgpr40_sgpr41
	s_branch .LBB263_125
.LBB263_128:
	s_or_b64 exec, exec, s[24:25]
.LBB263_129:
	s_or_b64 exec, exec, s[22:23]
	v_add_u32_e32 v8, v14, v23
	v_add_u32_e32 v22, v21, v22
	v_sub_u32_e32 v23, v8, v21
	v_cmp_le_u32_e32 vcc, v22, v14
	v_cmp_le_u32_e64 s[0:1], v23, v15
	s_or_b64 s[0:1], vcc, s[0:1]
	s_and_saveexec_b64 s[22:23], s[0:1]
	s_cbranch_execz .LBB263_176
; %bb.130:
	v_cmp_ge_u32_e32 vcc, v22, v14
	v_cmp_lt_u32_e64 s[0:1], v22, v14
                                        ; implicit-def: $vgpr0_vgpr1
	s_and_saveexec_b64 s[24:25], s[0:1]
	s_cbranch_execz .LBB263_132
; %bb.131:
	v_lshl_add_u32 v0, v21, 3, v20
	ds_read_b64 v[0:1], v0
.LBB263_132:
	s_or_b64 exec, exec, s[24:25]
	v_cmp_ge_u32_e64 s[24:25], v23, v15
	v_cmp_lt_u32_e64 s[0:1], v23, v15
                                        ; implicit-def: $vgpr4_vgpr5
	s_and_saveexec_b64 s[26:27], s[0:1]
	s_cbranch_execz .LBB263_134
; %bb.133:
	v_lshl_add_u32 v2, v23, 3, v16
	ds_read_b64 v[4:5], v2
.LBB263_134:
	s_or_b64 exec, exec, s[26:27]
	s_or_b64 s[26:27], vcc, s[24:25]
	s_mov_b64 s[0:1], -1
	s_xor_b64 s[28:29], s[26:27], -1
	s_and_saveexec_b64 s[26:27], s[28:29]
	s_cbranch_execz .LBB263_143
; %bb.135:
	s_andn2_b64 vcc, exec, s[4:5]
	s_cbranch_vccnz .LBB263_141
; %bb.136:
	v_pk_mov_b32 v[6:7], s[14:15], s[14:15] op_sel:[0,1]
	s_waitcnt lgkmcnt(0)
	v_mad_u64_u32 v[2:3], s[28:29], v4, s12, v[6:7]
	v_mul_lo_u32 v8, v4, s13
	v_mul_lo_u32 v9, v5, s12
	v_add3_u32 v3, v9, v3, v8
	v_mad_u64_u32 v[6:7], s[28:29], v0, s12, v[6:7]
	v_mul_lo_u32 v8, v0, s13
	v_mul_lo_u32 v9, v1, s12
	v_add3_u32 v7, v9, v7, v8
	s_mov_b64 s[28:29], 0
	s_mov_b64 s[38:39], s[12:13]
                                        ; implicit-def: $sgpr30_sgpr31
                                        ; implicit-def: $sgpr34_sgpr35
                                        ; implicit-def: $sgpr40_sgpr41
                                        ; implicit-def: $sgpr36_sgpr37
                                        ; implicit-def: $sgpr42_sgpr43
	s_branch .LBB263_138
.LBB263_137:                            ;   in Loop: Header=BB263_138 Depth=1
	s_or_b64 exec, exec, s[44:45]
	s_and_b64 s[44:45], exec, s[34:35]
	s_or_b64 s[28:29], s[44:45], s[28:29]
	s_andn2_b64 s[42:43], s[42:43], exec
	s_and_b64 s[44:45], s[36:37], exec
	s_or_b64 s[42:43], s[42:43], s[44:45]
	s_andn2_b64 s[30:31], s[30:31], exec
	s_and_b64 s[44:45], s[40:41], exec
	s_or_b64 s[30:31], s[30:31], s[44:45]
	s_andn2_b64 exec, exec, s[28:29]
	s_cbranch_execz .LBB263_140
.LBB263_138:                            ; =>This Inner Loop Header: Depth=1
	global_load_ubyte v8, v[2:3], off
	global_load_ubyte v9, v[6:7], off
	s_andn2_b64 s[40:41], s[40:41], exec
	s_andn2_b64 s[36:37], s[36:37], exec
	s_or_b64 s[34:35], s[34:35], exec
	s_waitcnt vmcnt(0)
	v_cmp_le_i16_sdwa s[46:47], sext(v8), sext(v9) src0_sel:BYTE_0 src1_sel:BYTE_0
	v_cmp_lt_i16_sdwa s[44:45], sext(v8), sext(v9) src0_sel:BYTE_0 src1_sel:BYTE_0
	s_and_b64 s[46:47], s[46:47], s[42:43]
	s_or_b64 s[46:47], s[44:45], s[46:47]
	s_and_b64 s[44:45], s[46:47], exec
	v_cmp_eq_u16_sdwa s[48:49], v8, v9 src0_sel:BYTE_0 src1_sel:BYTE_0
	s_or_b64 s[40:41], s[40:41], s[44:45]
	s_and_saveexec_b64 s[44:45], s[48:49]
	s_cbranch_execz .LBB263_137
; %bb.139:                              ;   in Loop: Header=BB263_138 Depth=1
	s_add_u32 s38, s38, -1
	s_addc_u32 s39, s39, -1
	v_add_co_u32_e32 v2, vcc, 1, v2
	s_cmp_eq_u64 s[38:39], 0
	v_addc_co_u32_e32 v3, vcc, 0, v3, vcc
	s_cselect_b64 s[42:43], -1, 0
	v_add_co_u32_e32 v6, vcc, 1, v6
	s_andn2_b64 s[36:37], s[36:37], exec
	s_and_b64 s[46:47], s[46:47], exec
	s_andn2_b64 s[34:35], s[34:35], exec
	s_and_b64 s[42:43], s[42:43], exec
	v_addc_co_u32_e32 v7, vcc, 0, v7, vcc
	s_or_b64 s[36:37], s[36:37], s[46:47]
	s_andn2_b64 s[40:41], s[40:41], exec
	s_or_b64 s[34:35], s[34:35], s[42:43]
                                        ; implicit-def: $sgpr42_sgpr43
	s_branch .LBB263_137
.LBB263_140:
	s_or_b64 exec, exec, s[28:29]
	s_xor_b64 s[28:29], s[30:31], -1
	s_branch .LBB263_142
.LBB263_141:
	s_mov_b64 s[28:29], -1
.LBB263_142:
	s_andn2_b64 s[24:25], s[24:25], exec
	s_and_b64 s[28:29], s[28:29], exec
	s_or_b64 s[24:25], s[24:25], s[28:29]
.LBB263_143:
	s_or_b64 exec, exec, s[26:27]
	v_cndmask_b32_e64 v2, v23, v22, s[24:25]
	v_cndmask_b32_e64 v3, v15, v14, s[24:25]
	v_add_u32_e32 v6, 1, v2
	v_add_u32_e32 v2, -1, v3
	v_min_u32_e32 v2, v6, v2
	v_lshl_add_u32 v2, v2, 3, v16
	ds_read_b64 v[2:3], v2
	v_cndmask_b32_e64 v23, v6, v23, s[24:25]
	v_cndmask_b32_e64 v22, v22, v6, s[24:25]
	v_cmp_lt_u32_e32 vcc, v23, v15
	s_waitcnt lgkmcnt(0)
	v_cndmask_b32_e64 v8, v3, v5, s[24:25]
	v_cndmask_b32_e64 v9, v2, v4, s[24:25]
	;; [unrolled: 1-line block ×4, first 2 shown]
	s_and_saveexec_b64 s[26:27], vcc
	s_cbranch_execz .LBB263_154
; %bb.144:
	v_cmp_lt_u32_e32 vcc, v22, v14
	s_mov_b64 s[28:29], 0
	s_and_saveexec_b64 s[0:1], vcc
	s_cbranch_execz .LBB263_153
; %bb.145:
	s_andn2_b64 vcc, exec, s[4:5]
	s_cbranch_vccnz .LBB263_151
; %bb.146:
	v_pk_mov_b32 v[6:7], s[14:15], s[14:15] op_sel:[0,1]
	v_mad_u64_u32 v[2:3], s[28:29], v9, s12, v[6:7]
	v_mul_lo_u32 v20, v9, s13
	v_mul_lo_u32 v21, v8, s12
	v_add3_u32 v3, v21, v3, v20
	v_mad_u64_u32 v[6:7], s[28:29], v11, s12, v[6:7]
	v_mul_lo_u32 v20, v11, s13
	v_mul_lo_u32 v21, v10, s12
	v_add3_u32 v7, v21, v7, v20
	s_mov_b64 s[28:29], 0
	s_mov_b64 s[38:39], s[12:13]
                                        ; implicit-def: $sgpr30_sgpr31
                                        ; implicit-def: $sgpr34_sgpr35
                                        ; implicit-def: $sgpr40_sgpr41
                                        ; implicit-def: $sgpr36_sgpr37
                                        ; implicit-def: $sgpr42_sgpr43
	s_branch .LBB263_148
.LBB263_147:                            ;   in Loop: Header=BB263_148 Depth=1
	s_or_b64 exec, exec, s[44:45]
	s_and_b64 s[44:45], exec, s[34:35]
	s_or_b64 s[28:29], s[44:45], s[28:29]
	s_andn2_b64 s[42:43], s[42:43], exec
	s_and_b64 s[44:45], s[36:37], exec
	s_or_b64 s[42:43], s[42:43], s[44:45]
	s_andn2_b64 s[30:31], s[30:31], exec
	s_and_b64 s[44:45], s[40:41], exec
	s_or_b64 s[30:31], s[30:31], s[44:45]
	s_andn2_b64 exec, exec, s[28:29]
	s_cbranch_execz .LBB263_150
.LBB263_148:                            ; =>This Inner Loop Header: Depth=1
	global_load_ubyte v20, v[2:3], off
	global_load_ubyte v21, v[6:7], off
	s_andn2_b64 s[40:41], s[40:41], exec
	s_andn2_b64 s[36:37], s[36:37], exec
	s_or_b64 s[34:35], s[34:35], exec
	s_waitcnt vmcnt(0)
	v_cmp_le_i16_sdwa s[46:47], sext(v20), sext(v21) src0_sel:BYTE_0 src1_sel:BYTE_0
	v_cmp_lt_i16_sdwa s[44:45], sext(v20), sext(v21) src0_sel:BYTE_0 src1_sel:BYTE_0
	s_and_b64 s[46:47], s[46:47], s[42:43]
	s_or_b64 s[46:47], s[44:45], s[46:47]
	s_and_b64 s[44:45], s[46:47], exec
	v_cmp_eq_u16_sdwa s[48:49], v20, v21 src0_sel:BYTE_0 src1_sel:BYTE_0
	s_or_b64 s[40:41], s[40:41], s[44:45]
	s_and_saveexec_b64 s[44:45], s[48:49]
	s_cbranch_execz .LBB263_147
; %bb.149:                              ;   in Loop: Header=BB263_148 Depth=1
	s_add_u32 s38, s38, -1
	s_addc_u32 s39, s39, -1
	v_add_co_u32_e32 v2, vcc, 1, v2
	s_cmp_eq_u64 s[38:39], 0
	v_addc_co_u32_e32 v3, vcc, 0, v3, vcc
	s_cselect_b64 s[42:43], -1, 0
	v_add_co_u32_e32 v6, vcc, 1, v6
	s_andn2_b64 s[36:37], s[36:37], exec
	s_and_b64 s[46:47], s[46:47], exec
	s_andn2_b64 s[34:35], s[34:35], exec
	s_and_b64 s[42:43], s[42:43], exec
	v_addc_co_u32_e32 v7, vcc, 0, v7, vcc
	s_or_b64 s[36:37], s[36:37], s[46:47]
	s_andn2_b64 s[40:41], s[40:41], exec
	s_or_b64 s[34:35], s[34:35], s[42:43]
                                        ; implicit-def: $sgpr42_sgpr43
	s_branch .LBB263_147
.LBB263_150:
	s_or_b64 exec, exec, s[28:29]
	s_xor_b64 s[28:29], s[30:31], -1
	s_branch .LBB263_152
.LBB263_151:
	s_mov_b64 s[28:29], -1
.LBB263_152:
	s_and_b64 s[28:29], s[28:29], exec
.LBB263_153:
	s_or_b64 exec, exec, s[0:1]
	s_orn2_b64 s[0:1], s[28:29], exec
.LBB263_154:
	s_or_b64 exec, exec, s[26:27]
	v_cndmask_b32_e64 v2, v23, v22, s[0:1]
	v_cndmask_b32_e64 v3, v15, v14, s[0:1]
	v_add_u32_e32 v6, 1, v2
	v_add_u32_e32 v2, -1, v3
	v_min_u32_e32 v2, v6, v2
	v_lshl_add_u32 v2, v2, 3, v16
	ds_read_b64 v[2:3], v2
	v_cndmask_b32_e64 v23, v6, v23, s[0:1]
	v_cndmask_b32_e64 v22, v22, v6, s[0:1]
	v_cmp_lt_u32_e32 vcc, v23, v15
	s_mov_b64 s[28:29], -1
	s_waitcnt lgkmcnt(0)
	v_cndmask_b32_e64 v20, v3, v8, s[0:1]
	v_cndmask_b32_e64 v21, v2, v9, s[0:1]
	;; [unrolled: 1-line block ×4, first 2 shown]
	s_and_saveexec_b64 s[26:27], vcc
	s_cbranch_execz .LBB263_165
; %bb.155:
	v_cmp_lt_u32_e32 vcc, v22, v14
	s_mov_b64 s[30:31], 0
	s_and_saveexec_b64 s[28:29], vcc
	s_cbranch_execz .LBB263_164
; %bb.156:
	s_andn2_b64 vcc, exec, s[4:5]
	s_cbranch_vccnz .LBB263_162
; %bb.157:
	v_pk_mov_b32 v[6:7], s[14:15], s[14:15] op_sel:[0,1]
	v_mad_u64_u32 v[2:3], s[30:31], v21, s12, v[6:7]
	v_mul_lo_u32 v37, v21, s13
	v_mul_lo_u32 v38, v20, s12
	v_add3_u32 v3, v38, v3, v37
	v_mad_u64_u32 v[6:7], s[30:31], v25, s12, v[6:7]
	v_mul_lo_u32 v37, v25, s13
	v_mul_lo_u32 v38, v24, s12
	v_add3_u32 v7, v38, v7, v37
	s_mov_b64 s[30:31], 0
	s_mov_b64 s[40:41], s[12:13]
                                        ; implicit-def: $sgpr34_sgpr35
                                        ; implicit-def: $sgpr36_sgpr37
                                        ; implicit-def: $sgpr42_sgpr43
                                        ; implicit-def: $sgpr38_sgpr39
                                        ; implicit-def: $sgpr44_sgpr45
	s_branch .LBB263_159
.LBB263_158:                            ;   in Loop: Header=BB263_159 Depth=1
	s_or_b64 exec, exec, s[46:47]
	s_and_b64 s[46:47], exec, s[36:37]
	s_or_b64 s[30:31], s[46:47], s[30:31]
	s_andn2_b64 s[44:45], s[44:45], exec
	s_and_b64 s[46:47], s[38:39], exec
	s_or_b64 s[44:45], s[44:45], s[46:47]
	s_andn2_b64 s[34:35], s[34:35], exec
	s_and_b64 s[46:47], s[42:43], exec
	s_or_b64 s[34:35], s[34:35], s[46:47]
	s_andn2_b64 exec, exec, s[30:31]
	s_cbranch_execz .LBB263_161
.LBB263_159:                            ; =>This Inner Loop Header: Depth=1
	global_load_ubyte v37, v[2:3], off
	global_load_ubyte v38, v[6:7], off
	s_andn2_b64 s[42:43], s[42:43], exec
	s_andn2_b64 s[38:39], s[38:39], exec
	s_or_b64 s[36:37], s[36:37], exec
	s_waitcnt vmcnt(0)
	v_cmp_le_i16_sdwa s[48:49], sext(v37), sext(v38) src0_sel:BYTE_0 src1_sel:BYTE_0
	v_cmp_lt_i16_sdwa s[46:47], sext(v37), sext(v38) src0_sel:BYTE_0 src1_sel:BYTE_0
	s_and_b64 s[48:49], s[48:49], s[44:45]
	s_or_b64 s[48:49], s[46:47], s[48:49]
	s_and_b64 s[46:47], s[48:49], exec
	v_cmp_eq_u16_sdwa s[50:51], v37, v38 src0_sel:BYTE_0 src1_sel:BYTE_0
	s_or_b64 s[42:43], s[42:43], s[46:47]
	s_and_saveexec_b64 s[46:47], s[50:51]
	s_cbranch_execz .LBB263_158
; %bb.160:                              ;   in Loop: Header=BB263_159 Depth=1
	s_add_u32 s40, s40, -1
	s_addc_u32 s41, s41, -1
	v_add_co_u32_e32 v2, vcc, 1, v2
	s_cmp_eq_u64 s[40:41], 0
	v_addc_co_u32_e32 v3, vcc, 0, v3, vcc
	s_cselect_b64 s[44:45], -1, 0
	v_add_co_u32_e32 v6, vcc, 1, v6
	s_andn2_b64 s[38:39], s[38:39], exec
	s_and_b64 s[48:49], s[48:49], exec
	s_andn2_b64 s[36:37], s[36:37], exec
	s_and_b64 s[44:45], s[44:45], exec
	v_addc_co_u32_e32 v7, vcc, 0, v7, vcc
	s_or_b64 s[38:39], s[38:39], s[48:49]
	s_andn2_b64 s[42:43], s[42:43], exec
	s_or_b64 s[36:37], s[36:37], s[44:45]
                                        ; implicit-def: $sgpr44_sgpr45
	s_branch .LBB263_158
.LBB263_161:
	s_or_b64 exec, exec, s[30:31]
	s_xor_b64 s[30:31], s[34:35], -1
	s_branch .LBB263_163
.LBB263_162:
	s_mov_b64 s[30:31], -1
.LBB263_163:
	s_and_b64 s[30:31], s[30:31], exec
.LBB263_164:
	s_or_b64 exec, exec, s[28:29]
	s_orn2_b64 s[28:29], s[30:31], exec
.LBB263_165:
	s_or_b64 exec, exec, s[26:27]
	v_cndmask_b32_e64 v6, v23, v22, s[28:29]
	v_cndmask_b32_e64 v7, v15, v14, s[28:29]
	;; [unrolled: 1-line block ×3, first 2 shown]
	v_add_u32_e32 v10, 1, v6
	v_add_u32_e32 v6, -1, v7
	v_min_u32_e32 v6, v10, v6
	v_lshl_add_u32 v6, v6, 3, v16
	v_cndmask_b32_e64 v2, v9, v11, s[0:1]
	ds_read_b64 v[8:9], v6
	v_cndmask_b32_e64 v11, v10, v23, s[28:29]
	v_cndmask_b32_e64 v1, v5, v1, s[24:25]
	;; [unrolled: 1-line block ×5, first 2 shown]
	s_waitcnt lgkmcnt(0)
	v_cndmask_b32_e64 v7, v24, v9, s[28:29]
	v_cndmask_b32_e64 v6, v25, v8, s[28:29]
	v_cmp_lt_u32_e32 vcc, v11, v15
	s_and_saveexec_b64 s[0:1], vcc
	s_cbranch_execz .LBB263_175
; %bb.166:
	v_cndmask_b32_e64 v10, v22, v10, s[28:29]
	v_cndmask_b32_e64 v9, v9, v20, s[28:29]
	;; [unrolled: 1-line block ×3, first 2 shown]
	v_cmp_lt_u32_e32 vcc, v10, v14
	s_and_saveexec_b64 s[24:25], vcc
	s_cbranch_execz .LBB263_174
; %bb.167:
	s_andn2_b64 vcc, exec, s[4:5]
	s_cbranch_vccnz .LBB263_173
; %bb.168:
	v_pk_mov_b32 v[14:15], s[14:15], s[14:15] op_sel:[0,1]
	v_mad_u64_u32 v[10:11], s[26:27], v8, s12, v[14:15]
	v_mul_lo_u32 v20, v8, s13
	v_mul_lo_u32 v21, v9, s12
	v_add3_u32 v11, v21, v11, v20
	v_mad_u64_u32 v[14:15], s[26:27], v6, s12, v[14:15]
	v_mul_lo_u32 v20, v6, s13
	v_mul_lo_u32 v21, v7, s12
	v_add3_u32 v15, v21, v15, v20
	s_mov_b64 s[26:27], 0
	s_mov_b64 s[36:37], s[12:13]
                                        ; implicit-def: $sgpr28_sgpr29
                                        ; implicit-def: $sgpr30_sgpr31
                                        ; implicit-def: $sgpr38_sgpr39
                                        ; implicit-def: $sgpr34_sgpr35
                                        ; implicit-def: $sgpr40_sgpr41
	s_branch .LBB263_170
.LBB263_169:                            ;   in Loop: Header=BB263_170 Depth=1
	s_or_b64 exec, exec, s[42:43]
	s_and_b64 s[42:43], exec, s[30:31]
	s_or_b64 s[26:27], s[42:43], s[26:27]
	s_andn2_b64 s[40:41], s[40:41], exec
	s_and_b64 s[42:43], s[34:35], exec
	s_or_b64 s[40:41], s[40:41], s[42:43]
	s_andn2_b64 s[28:29], s[28:29], exec
	s_and_b64 s[42:43], s[38:39], exec
	s_or_b64 s[28:29], s[28:29], s[42:43]
	s_andn2_b64 exec, exec, s[26:27]
	s_cbranch_execz .LBB263_172
.LBB263_170:                            ; =>This Inner Loop Header: Depth=1
	global_load_ubyte v20, v[10:11], off
	global_load_ubyte v21, v[14:15], off
	s_andn2_b64 s[38:39], s[38:39], exec
	s_andn2_b64 s[34:35], s[34:35], exec
	s_or_b64 s[30:31], s[30:31], exec
	s_waitcnt vmcnt(0)
	v_cmp_le_i16_sdwa s[44:45], sext(v20), sext(v21) src0_sel:BYTE_0 src1_sel:BYTE_0
	v_cmp_lt_i16_sdwa s[42:43], sext(v20), sext(v21) src0_sel:BYTE_0 src1_sel:BYTE_0
	s_and_b64 s[44:45], s[44:45], s[40:41]
	s_or_b64 s[44:45], s[42:43], s[44:45]
	s_and_b64 s[42:43], s[44:45], exec
	v_cmp_eq_u16_sdwa s[46:47], v20, v21 src0_sel:BYTE_0 src1_sel:BYTE_0
	s_or_b64 s[38:39], s[38:39], s[42:43]
	s_and_saveexec_b64 s[42:43], s[46:47]
	s_cbranch_execz .LBB263_169
; %bb.171:                              ;   in Loop: Header=BB263_170 Depth=1
	s_add_u32 s36, s36, -1
	s_addc_u32 s37, s37, -1
	v_add_co_u32_e32 v10, vcc, 1, v10
	s_cmp_eq_u64 s[36:37], 0
	v_addc_co_u32_e32 v11, vcc, 0, v11, vcc
	s_cselect_b64 s[40:41], -1, 0
	v_add_co_u32_e32 v14, vcc, 1, v14
	s_andn2_b64 s[34:35], s[34:35], exec
	s_and_b64 s[44:45], s[44:45], exec
	s_andn2_b64 s[30:31], s[30:31], exec
	s_and_b64 s[40:41], s[40:41], exec
	v_addc_co_u32_e32 v15, vcc, 0, v15, vcc
	s_or_b64 s[34:35], s[34:35], s[44:45]
	s_andn2_b64 s[38:39], s[38:39], exec
	s_or_b64 s[30:31], s[30:31], s[40:41]
                                        ; implicit-def: $sgpr40_sgpr41
	s_branch .LBB263_169
.LBB263_172:
	s_or_b64 exec, exec, s[26:27]
	v_cndmask_b32_e64 v7, v7, v9, s[28:29]
	v_cndmask_b32_e64 v6, v6, v8, s[28:29]
.LBB263_173:
	v_pk_mov_b32 v[8:9], v[6:7], v[6:7] op_sel:[0,1]
.LBB263_174:
	s_or_b64 exec, exec, s[24:25]
	v_pk_mov_b32 v[6:7], v[8:9], v[8:9] op_sel:[0,1]
.LBB263_175:
	s_or_b64 exec, exec, s[0:1]
.LBB263_176:
	s_or_b64 exec, exec, s[22:23]
	v_and_b32_e32 v22, 0x1e0, v18
	v_or_b32_e32 v8, 16, v22
	v_min_u32_e32 v14, v17, v8
	v_add_u32_e32 v8, 16, v14
	v_min_u32_e32 v15, v17, v8
	v_and_b32_e32 v8, 28, v18
	v_min_u32_e32 v23, v17, v8
	v_sub_u32_e32 v8, v14, v22
	v_sub_u32_e32 v9, v15, v14
	v_sub_u32_e64 v21, v23, v9 clamp
	v_min_u32_e32 v24, v23, v8
	v_lshl_add_u32 v20, v22, 3, v16
	v_cmp_lt_u32_e32 vcc, v21, v24
	; wave barrier
	ds_write_b128 v19, v[0:3]
	ds_write_b128 v19, v[4:7] offset:16
	; wave barrier
	s_and_saveexec_b64 s[22:23], vcc
	s_cbranch_execz .LBB263_186
; %bb.177:
	v_lshlrev_b32_e32 v8, 3, v14
	v_lshlrev_b32_e32 v9, 3, v23
	v_add3_u32 v25, v16, v8, v9
	v_cndmask_b32_e64 v8, 0, 1, s[4:5]
	s_mov_b64 s[24:25], 0
	v_cmp_ne_u32_e64 s[0:1], 1, v8
	s_branch .LBB263_180
.LBB263_178:                            ;   in Loop: Header=BB263_180 Depth=1
	s_or_b64 exec, exec, s[28:29]
.LBB263_179:                            ;   in Loop: Header=BB263_180 Depth=1
	v_add_u32_e32 v8, 1, v37
	v_cndmask_b32_e64 v24, v24, v37, s[26:27]
	v_cndmask_b32_e64 v21, v8, v21, s[26:27]
	v_cmp_ge_u32_e32 vcc, v21, v24
	s_or_b64 s[24:25], vcc, s[24:25]
	s_andn2_b64 exec, exec, s[24:25]
	s_cbranch_execz .LBB263_185
.LBB263_180:                            ; =>This Loop Header: Depth=1
                                        ;     Child Loop BB263_183 Depth 2
	v_add_u32_e32 v8, v24, v21
	v_lshrrev_b32_e32 v37, 1, v8
	s_and_b64 vcc, exec, s[0:1]
	s_mov_b64 s[26:27], 0
	s_cbranch_vccnz .LBB263_179
; %bb.181:                              ;   in Loop: Header=BB263_180 Depth=1
	v_not_b32_e32 v8, v37
	v_lshl_add_u32 v8, v8, 3, v25
	ds_read_b64 v[8:9], v8
	v_lshl_add_u32 v38, v37, 3, v20
	ds_read_b64 v[38:39], v38
	v_pk_mov_b32 v[10:11], s[14:15], s[14:15] op_sel:[0,1]
	s_mov_b64 s[28:29], 0
	s_waitcnt lgkmcnt(1)
	v_mul_lo_u32 v40, v8, s13
	v_mul_lo_u32 v41, v9, s12
	v_mad_u64_u32 v[8:9], s[26:27], v8, s12, v[10:11]
	v_add3_u32 v9, v41, v9, v40
	s_waitcnt lgkmcnt(0)
	v_mul_lo_u32 v40, v38, s13
	v_mul_lo_u32 v39, v39, s12
	v_mad_u64_u32 v[10:11], s[26:27], v38, s12, v[10:11]
	v_add3_u32 v11, v39, v11, v40
	s_mov_b64 s[36:37], s[12:13]
                                        ; implicit-def: $sgpr26_sgpr27
                                        ; implicit-def: $sgpr30_sgpr31
                                        ; implicit-def: $sgpr34_sgpr35
                                        ; implicit-def: $sgpr38_sgpr39
                                        ; implicit-def: $sgpr40_sgpr41
	s_branch .LBB263_183
.LBB263_182:                            ;   in Loop: Header=BB263_183 Depth=2
	s_or_b64 exec, exec, s[42:43]
	s_and_b64 s[42:43], exec, s[30:31]
	s_or_b64 s[28:29], s[42:43], s[28:29]
	s_andn2_b64 s[40:41], s[40:41], exec
	s_and_b64 s[42:43], s[34:35], exec
	s_or_b64 s[40:41], s[40:41], s[42:43]
	s_andn2_b64 s[26:27], s[26:27], exec
	s_and_b64 s[42:43], s[38:39], exec
	s_or_b64 s[26:27], s[26:27], s[42:43]
	s_andn2_b64 exec, exec, s[28:29]
	s_cbranch_execz .LBB263_178
.LBB263_183:                            ;   Parent Loop BB263_180 Depth=1
                                        ; =>  This Inner Loop Header: Depth=2
	global_load_ubyte v38, v[8:9], off
	global_load_ubyte v39, v[10:11], off
	s_andn2_b64 s[38:39], s[38:39], exec
	s_andn2_b64 s[34:35], s[34:35], exec
	s_or_b64 s[30:31], s[30:31], exec
	s_waitcnt vmcnt(0)
	v_cmp_le_i16_sdwa s[44:45], sext(v38), sext(v39) src0_sel:BYTE_0 src1_sel:BYTE_0
	v_cmp_lt_i16_sdwa s[42:43], sext(v38), sext(v39) src0_sel:BYTE_0 src1_sel:BYTE_0
	s_and_b64 s[44:45], s[44:45], s[40:41]
	s_or_b64 s[44:45], s[42:43], s[44:45]
	s_and_b64 s[42:43], s[44:45], exec
	v_cmp_eq_u16_sdwa s[46:47], v38, v39 src0_sel:BYTE_0 src1_sel:BYTE_0
	s_or_b64 s[38:39], s[38:39], s[42:43]
	s_and_saveexec_b64 s[42:43], s[46:47]
	s_cbranch_execz .LBB263_182
; %bb.184:                              ;   in Loop: Header=BB263_183 Depth=2
	s_add_u32 s36, s36, -1
	s_addc_u32 s37, s37, -1
	v_add_co_u32_e32 v8, vcc, 1, v8
	s_cmp_eq_u64 s[36:37], 0
	v_addc_co_u32_e32 v9, vcc, 0, v9, vcc
	s_cselect_b64 s[40:41], -1, 0
	v_add_co_u32_e32 v10, vcc, 1, v10
	s_andn2_b64 s[34:35], s[34:35], exec
	s_and_b64 s[44:45], s[44:45], exec
	s_andn2_b64 s[30:31], s[30:31], exec
	s_and_b64 s[40:41], s[40:41], exec
	v_addc_co_u32_e32 v11, vcc, 0, v11, vcc
	s_andn2_b64 s[38:39], s[38:39], exec
	s_or_b64 s[34:35], s[34:35], s[44:45]
	s_or_b64 s[30:31], s[30:31], s[40:41]
                                        ; implicit-def: $sgpr40_sgpr41
	s_branch .LBB263_182
.LBB263_185:
	s_or_b64 exec, exec, s[24:25]
.LBB263_186:
	s_or_b64 exec, exec, s[22:23]
	v_add_u32_e32 v8, v14, v23
	v_add_u32_e32 v22, v21, v22
	v_sub_u32_e32 v23, v8, v21
	v_cmp_le_u32_e32 vcc, v22, v14
	v_cmp_le_u32_e64 s[0:1], v23, v15
	s_or_b64 s[0:1], vcc, s[0:1]
	s_and_saveexec_b64 s[22:23], s[0:1]
	s_cbranch_execz .LBB263_233
; %bb.187:
	v_cmp_ge_u32_e32 vcc, v22, v14
	v_cmp_lt_u32_e64 s[0:1], v22, v14
                                        ; implicit-def: $vgpr0_vgpr1
	s_and_saveexec_b64 s[24:25], s[0:1]
	s_cbranch_execz .LBB263_189
; %bb.188:
	v_lshl_add_u32 v0, v21, 3, v20
	ds_read_b64 v[0:1], v0
.LBB263_189:
	s_or_b64 exec, exec, s[24:25]
	v_cmp_ge_u32_e64 s[24:25], v23, v15
	v_cmp_lt_u32_e64 s[0:1], v23, v15
                                        ; implicit-def: $vgpr4_vgpr5
	s_and_saveexec_b64 s[26:27], s[0:1]
	s_cbranch_execz .LBB263_191
; %bb.190:
	v_lshl_add_u32 v2, v23, 3, v16
	ds_read_b64 v[4:5], v2
.LBB263_191:
	s_or_b64 exec, exec, s[26:27]
	s_or_b64 s[26:27], vcc, s[24:25]
	s_mov_b64 s[0:1], -1
	s_xor_b64 s[28:29], s[26:27], -1
	s_and_saveexec_b64 s[26:27], s[28:29]
	s_cbranch_execz .LBB263_200
; %bb.192:
	s_andn2_b64 vcc, exec, s[4:5]
	s_cbranch_vccnz .LBB263_198
; %bb.193:
	v_pk_mov_b32 v[6:7], s[14:15], s[14:15] op_sel:[0,1]
	s_waitcnt lgkmcnt(0)
	v_mad_u64_u32 v[2:3], s[28:29], v4, s12, v[6:7]
	v_mul_lo_u32 v8, v4, s13
	v_mul_lo_u32 v9, v5, s12
	v_add3_u32 v3, v9, v3, v8
	v_mad_u64_u32 v[6:7], s[28:29], v0, s12, v[6:7]
	v_mul_lo_u32 v8, v0, s13
	v_mul_lo_u32 v9, v1, s12
	v_add3_u32 v7, v9, v7, v8
	s_mov_b64 s[28:29], 0
	s_mov_b64 s[38:39], s[12:13]
                                        ; implicit-def: $sgpr30_sgpr31
                                        ; implicit-def: $sgpr34_sgpr35
                                        ; implicit-def: $sgpr40_sgpr41
                                        ; implicit-def: $sgpr36_sgpr37
                                        ; implicit-def: $sgpr42_sgpr43
	s_branch .LBB263_195
.LBB263_194:                            ;   in Loop: Header=BB263_195 Depth=1
	s_or_b64 exec, exec, s[44:45]
	s_and_b64 s[44:45], exec, s[34:35]
	s_or_b64 s[28:29], s[44:45], s[28:29]
	s_andn2_b64 s[42:43], s[42:43], exec
	s_and_b64 s[44:45], s[36:37], exec
	s_or_b64 s[42:43], s[42:43], s[44:45]
	s_andn2_b64 s[30:31], s[30:31], exec
	s_and_b64 s[44:45], s[40:41], exec
	s_or_b64 s[30:31], s[30:31], s[44:45]
	s_andn2_b64 exec, exec, s[28:29]
	s_cbranch_execz .LBB263_197
.LBB263_195:                            ; =>This Inner Loop Header: Depth=1
	global_load_ubyte v8, v[2:3], off
	global_load_ubyte v9, v[6:7], off
	s_andn2_b64 s[40:41], s[40:41], exec
	s_andn2_b64 s[36:37], s[36:37], exec
	s_or_b64 s[34:35], s[34:35], exec
	s_waitcnt vmcnt(0)
	v_cmp_le_i16_sdwa s[46:47], sext(v8), sext(v9) src0_sel:BYTE_0 src1_sel:BYTE_0
	v_cmp_lt_i16_sdwa s[44:45], sext(v8), sext(v9) src0_sel:BYTE_0 src1_sel:BYTE_0
	s_and_b64 s[46:47], s[46:47], s[42:43]
	s_or_b64 s[46:47], s[44:45], s[46:47]
	s_and_b64 s[44:45], s[46:47], exec
	v_cmp_eq_u16_sdwa s[48:49], v8, v9 src0_sel:BYTE_0 src1_sel:BYTE_0
	s_or_b64 s[40:41], s[40:41], s[44:45]
	s_and_saveexec_b64 s[44:45], s[48:49]
	s_cbranch_execz .LBB263_194
; %bb.196:                              ;   in Loop: Header=BB263_195 Depth=1
	s_add_u32 s38, s38, -1
	s_addc_u32 s39, s39, -1
	v_add_co_u32_e32 v2, vcc, 1, v2
	s_cmp_eq_u64 s[38:39], 0
	v_addc_co_u32_e32 v3, vcc, 0, v3, vcc
	s_cselect_b64 s[42:43], -1, 0
	v_add_co_u32_e32 v6, vcc, 1, v6
	s_andn2_b64 s[36:37], s[36:37], exec
	s_and_b64 s[46:47], s[46:47], exec
	s_andn2_b64 s[34:35], s[34:35], exec
	s_and_b64 s[42:43], s[42:43], exec
	v_addc_co_u32_e32 v7, vcc, 0, v7, vcc
	s_or_b64 s[36:37], s[36:37], s[46:47]
	s_andn2_b64 s[40:41], s[40:41], exec
	s_or_b64 s[34:35], s[34:35], s[42:43]
                                        ; implicit-def: $sgpr42_sgpr43
	s_branch .LBB263_194
.LBB263_197:
	s_or_b64 exec, exec, s[28:29]
	s_xor_b64 s[28:29], s[30:31], -1
	s_branch .LBB263_199
.LBB263_198:
	s_mov_b64 s[28:29], -1
.LBB263_199:
	s_andn2_b64 s[24:25], s[24:25], exec
	s_and_b64 s[28:29], s[28:29], exec
	s_or_b64 s[24:25], s[24:25], s[28:29]
.LBB263_200:
	s_or_b64 exec, exec, s[26:27]
	v_cndmask_b32_e64 v2, v23, v22, s[24:25]
	v_cndmask_b32_e64 v3, v15, v14, s[24:25]
	v_add_u32_e32 v6, 1, v2
	v_add_u32_e32 v2, -1, v3
	v_min_u32_e32 v2, v6, v2
	v_lshl_add_u32 v2, v2, 3, v16
	ds_read_b64 v[2:3], v2
	v_cndmask_b32_e64 v23, v6, v23, s[24:25]
	v_cndmask_b32_e64 v22, v22, v6, s[24:25]
	v_cmp_lt_u32_e32 vcc, v23, v15
	s_waitcnt lgkmcnt(0)
	v_cndmask_b32_e64 v8, v3, v5, s[24:25]
	v_cndmask_b32_e64 v9, v2, v4, s[24:25]
	;; [unrolled: 1-line block ×4, first 2 shown]
	s_and_saveexec_b64 s[26:27], vcc
	s_cbranch_execz .LBB263_211
; %bb.201:
	v_cmp_lt_u32_e32 vcc, v22, v14
	s_mov_b64 s[28:29], 0
	s_and_saveexec_b64 s[0:1], vcc
	s_cbranch_execz .LBB263_210
; %bb.202:
	s_andn2_b64 vcc, exec, s[4:5]
	s_cbranch_vccnz .LBB263_208
; %bb.203:
	v_pk_mov_b32 v[6:7], s[14:15], s[14:15] op_sel:[0,1]
	v_mad_u64_u32 v[2:3], s[28:29], v9, s12, v[6:7]
	v_mul_lo_u32 v20, v9, s13
	v_mul_lo_u32 v21, v8, s12
	v_add3_u32 v3, v21, v3, v20
	v_mad_u64_u32 v[6:7], s[28:29], v11, s12, v[6:7]
	v_mul_lo_u32 v20, v11, s13
	v_mul_lo_u32 v21, v10, s12
	v_add3_u32 v7, v21, v7, v20
	s_mov_b64 s[28:29], 0
	s_mov_b64 s[38:39], s[12:13]
                                        ; implicit-def: $sgpr30_sgpr31
                                        ; implicit-def: $sgpr34_sgpr35
                                        ; implicit-def: $sgpr40_sgpr41
                                        ; implicit-def: $sgpr36_sgpr37
                                        ; implicit-def: $sgpr42_sgpr43
	s_branch .LBB263_205
.LBB263_204:                            ;   in Loop: Header=BB263_205 Depth=1
	s_or_b64 exec, exec, s[44:45]
	s_and_b64 s[44:45], exec, s[34:35]
	s_or_b64 s[28:29], s[44:45], s[28:29]
	s_andn2_b64 s[42:43], s[42:43], exec
	s_and_b64 s[44:45], s[36:37], exec
	s_or_b64 s[42:43], s[42:43], s[44:45]
	s_andn2_b64 s[30:31], s[30:31], exec
	s_and_b64 s[44:45], s[40:41], exec
	s_or_b64 s[30:31], s[30:31], s[44:45]
	s_andn2_b64 exec, exec, s[28:29]
	s_cbranch_execz .LBB263_207
.LBB263_205:                            ; =>This Inner Loop Header: Depth=1
	global_load_ubyte v20, v[2:3], off
	global_load_ubyte v21, v[6:7], off
	s_andn2_b64 s[40:41], s[40:41], exec
	s_andn2_b64 s[36:37], s[36:37], exec
	s_or_b64 s[34:35], s[34:35], exec
	s_waitcnt vmcnt(0)
	v_cmp_le_i16_sdwa s[46:47], sext(v20), sext(v21) src0_sel:BYTE_0 src1_sel:BYTE_0
	v_cmp_lt_i16_sdwa s[44:45], sext(v20), sext(v21) src0_sel:BYTE_0 src1_sel:BYTE_0
	s_and_b64 s[46:47], s[46:47], s[42:43]
	s_or_b64 s[46:47], s[44:45], s[46:47]
	s_and_b64 s[44:45], s[46:47], exec
	v_cmp_eq_u16_sdwa s[48:49], v20, v21 src0_sel:BYTE_0 src1_sel:BYTE_0
	s_or_b64 s[40:41], s[40:41], s[44:45]
	s_and_saveexec_b64 s[44:45], s[48:49]
	s_cbranch_execz .LBB263_204
; %bb.206:                              ;   in Loop: Header=BB263_205 Depth=1
	s_add_u32 s38, s38, -1
	s_addc_u32 s39, s39, -1
	v_add_co_u32_e32 v2, vcc, 1, v2
	s_cmp_eq_u64 s[38:39], 0
	v_addc_co_u32_e32 v3, vcc, 0, v3, vcc
	s_cselect_b64 s[42:43], -1, 0
	v_add_co_u32_e32 v6, vcc, 1, v6
	s_andn2_b64 s[36:37], s[36:37], exec
	s_and_b64 s[46:47], s[46:47], exec
	s_andn2_b64 s[34:35], s[34:35], exec
	s_and_b64 s[42:43], s[42:43], exec
	v_addc_co_u32_e32 v7, vcc, 0, v7, vcc
	s_or_b64 s[36:37], s[36:37], s[46:47]
	s_andn2_b64 s[40:41], s[40:41], exec
	s_or_b64 s[34:35], s[34:35], s[42:43]
                                        ; implicit-def: $sgpr42_sgpr43
	s_branch .LBB263_204
.LBB263_207:
	s_or_b64 exec, exec, s[28:29]
	s_xor_b64 s[28:29], s[30:31], -1
	s_branch .LBB263_209
.LBB263_208:
	s_mov_b64 s[28:29], -1
.LBB263_209:
	s_and_b64 s[28:29], s[28:29], exec
.LBB263_210:
	s_or_b64 exec, exec, s[0:1]
	s_orn2_b64 s[0:1], s[28:29], exec
.LBB263_211:
	s_or_b64 exec, exec, s[26:27]
	v_cndmask_b32_e64 v2, v23, v22, s[0:1]
	v_cndmask_b32_e64 v3, v15, v14, s[0:1]
	v_add_u32_e32 v6, 1, v2
	v_add_u32_e32 v2, -1, v3
	v_min_u32_e32 v2, v6, v2
	v_lshl_add_u32 v2, v2, 3, v16
	ds_read_b64 v[2:3], v2
	v_cndmask_b32_e64 v23, v6, v23, s[0:1]
	v_cndmask_b32_e64 v22, v22, v6, s[0:1]
	v_cmp_lt_u32_e32 vcc, v23, v15
	s_mov_b64 s[28:29], -1
	s_waitcnt lgkmcnt(0)
	v_cndmask_b32_e64 v20, v3, v8, s[0:1]
	v_cndmask_b32_e64 v21, v2, v9, s[0:1]
	v_cndmask_b32_e64 v24, v10, v3, s[0:1]
	v_cndmask_b32_e64 v25, v11, v2, s[0:1]
	s_and_saveexec_b64 s[26:27], vcc
	s_cbranch_execz .LBB263_222
; %bb.212:
	v_cmp_lt_u32_e32 vcc, v22, v14
	s_mov_b64 s[30:31], 0
	s_and_saveexec_b64 s[28:29], vcc
	s_cbranch_execz .LBB263_221
; %bb.213:
	s_andn2_b64 vcc, exec, s[4:5]
	s_cbranch_vccnz .LBB263_219
; %bb.214:
	v_pk_mov_b32 v[6:7], s[14:15], s[14:15] op_sel:[0,1]
	v_mad_u64_u32 v[2:3], s[30:31], v21, s12, v[6:7]
	v_mul_lo_u32 v37, v21, s13
	v_mul_lo_u32 v38, v20, s12
	v_add3_u32 v3, v38, v3, v37
	v_mad_u64_u32 v[6:7], s[30:31], v25, s12, v[6:7]
	v_mul_lo_u32 v37, v25, s13
	v_mul_lo_u32 v38, v24, s12
	v_add3_u32 v7, v38, v7, v37
	s_mov_b64 s[30:31], 0
	s_mov_b64 s[40:41], s[12:13]
                                        ; implicit-def: $sgpr34_sgpr35
                                        ; implicit-def: $sgpr36_sgpr37
                                        ; implicit-def: $sgpr42_sgpr43
                                        ; implicit-def: $sgpr38_sgpr39
                                        ; implicit-def: $sgpr44_sgpr45
	s_branch .LBB263_216
.LBB263_215:                            ;   in Loop: Header=BB263_216 Depth=1
	s_or_b64 exec, exec, s[46:47]
	s_and_b64 s[46:47], exec, s[36:37]
	s_or_b64 s[30:31], s[46:47], s[30:31]
	s_andn2_b64 s[44:45], s[44:45], exec
	s_and_b64 s[46:47], s[38:39], exec
	s_or_b64 s[44:45], s[44:45], s[46:47]
	s_andn2_b64 s[34:35], s[34:35], exec
	s_and_b64 s[46:47], s[42:43], exec
	s_or_b64 s[34:35], s[34:35], s[46:47]
	s_andn2_b64 exec, exec, s[30:31]
	s_cbranch_execz .LBB263_218
.LBB263_216:                            ; =>This Inner Loop Header: Depth=1
	global_load_ubyte v37, v[2:3], off
	global_load_ubyte v38, v[6:7], off
	s_andn2_b64 s[42:43], s[42:43], exec
	s_andn2_b64 s[38:39], s[38:39], exec
	s_or_b64 s[36:37], s[36:37], exec
	s_waitcnt vmcnt(0)
	v_cmp_le_i16_sdwa s[48:49], sext(v37), sext(v38) src0_sel:BYTE_0 src1_sel:BYTE_0
	v_cmp_lt_i16_sdwa s[46:47], sext(v37), sext(v38) src0_sel:BYTE_0 src1_sel:BYTE_0
	s_and_b64 s[48:49], s[48:49], s[44:45]
	s_or_b64 s[48:49], s[46:47], s[48:49]
	s_and_b64 s[46:47], s[48:49], exec
	v_cmp_eq_u16_sdwa s[50:51], v37, v38 src0_sel:BYTE_0 src1_sel:BYTE_0
	s_or_b64 s[42:43], s[42:43], s[46:47]
	s_and_saveexec_b64 s[46:47], s[50:51]
	s_cbranch_execz .LBB263_215
; %bb.217:                              ;   in Loop: Header=BB263_216 Depth=1
	s_add_u32 s40, s40, -1
	s_addc_u32 s41, s41, -1
	v_add_co_u32_e32 v2, vcc, 1, v2
	s_cmp_eq_u64 s[40:41], 0
	v_addc_co_u32_e32 v3, vcc, 0, v3, vcc
	s_cselect_b64 s[44:45], -1, 0
	v_add_co_u32_e32 v6, vcc, 1, v6
	s_andn2_b64 s[38:39], s[38:39], exec
	s_and_b64 s[48:49], s[48:49], exec
	s_andn2_b64 s[36:37], s[36:37], exec
	s_and_b64 s[44:45], s[44:45], exec
	v_addc_co_u32_e32 v7, vcc, 0, v7, vcc
	s_or_b64 s[38:39], s[38:39], s[48:49]
	s_andn2_b64 s[42:43], s[42:43], exec
	s_or_b64 s[36:37], s[36:37], s[44:45]
                                        ; implicit-def: $sgpr44_sgpr45
	s_branch .LBB263_215
.LBB263_218:
	s_or_b64 exec, exec, s[30:31]
	s_xor_b64 s[30:31], s[34:35], -1
	s_branch .LBB263_220
.LBB263_219:
	s_mov_b64 s[30:31], -1
.LBB263_220:
	s_and_b64 s[30:31], s[30:31], exec
.LBB263_221:
	s_or_b64 exec, exec, s[28:29]
	s_orn2_b64 s[28:29], s[30:31], exec
.LBB263_222:
	s_or_b64 exec, exec, s[26:27]
	v_cndmask_b32_e64 v6, v23, v22, s[28:29]
	v_cndmask_b32_e64 v7, v15, v14, s[28:29]
	;; [unrolled: 1-line block ×3, first 2 shown]
	v_add_u32_e32 v10, 1, v6
	v_add_u32_e32 v6, -1, v7
	v_min_u32_e32 v6, v10, v6
	v_lshl_add_u32 v6, v6, 3, v16
	v_cndmask_b32_e64 v2, v9, v11, s[0:1]
	ds_read_b64 v[8:9], v6
	v_cndmask_b32_e64 v11, v10, v23, s[28:29]
	v_cndmask_b32_e64 v1, v5, v1, s[24:25]
	;; [unrolled: 1-line block ×5, first 2 shown]
	s_waitcnt lgkmcnt(0)
	v_cndmask_b32_e64 v7, v24, v9, s[28:29]
	v_cndmask_b32_e64 v6, v25, v8, s[28:29]
	v_cmp_lt_u32_e32 vcc, v11, v15
	s_and_saveexec_b64 s[0:1], vcc
	s_cbranch_execz .LBB263_232
; %bb.223:
	v_cndmask_b32_e64 v10, v22, v10, s[28:29]
	v_cndmask_b32_e64 v9, v9, v20, s[28:29]
	;; [unrolled: 1-line block ×3, first 2 shown]
	v_cmp_lt_u32_e32 vcc, v10, v14
	s_and_saveexec_b64 s[24:25], vcc
	s_cbranch_execz .LBB263_231
; %bb.224:
	s_andn2_b64 vcc, exec, s[4:5]
	s_cbranch_vccnz .LBB263_230
; %bb.225:
	v_pk_mov_b32 v[14:15], s[14:15], s[14:15] op_sel:[0,1]
	v_mad_u64_u32 v[10:11], s[26:27], v8, s12, v[14:15]
	v_mul_lo_u32 v20, v8, s13
	v_mul_lo_u32 v21, v9, s12
	v_add3_u32 v11, v21, v11, v20
	v_mad_u64_u32 v[14:15], s[26:27], v6, s12, v[14:15]
	v_mul_lo_u32 v20, v6, s13
	v_mul_lo_u32 v21, v7, s12
	v_add3_u32 v15, v21, v15, v20
	s_mov_b64 s[26:27], 0
	s_mov_b64 s[36:37], s[12:13]
                                        ; implicit-def: $sgpr28_sgpr29
                                        ; implicit-def: $sgpr30_sgpr31
                                        ; implicit-def: $sgpr38_sgpr39
                                        ; implicit-def: $sgpr34_sgpr35
                                        ; implicit-def: $sgpr40_sgpr41
	s_branch .LBB263_227
.LBB263_226:                            ;   in Loop: Header=BB263_227 Depth=1
	s_or_b64 exec, exec, s[42:43]
	s_and_b64 s[42:43], exec, s[30:31]
	s_or_b64 s[26:27], s[42:43], s[26:27]
	s_andn2_b64 s[40:41], s[40:41], exec
	s_and_b64 s[42:43], s[34:35], exec
	s_or_b64 s[40:41], s[40:41], s[42:43]
	s_andn2_b64 s[28:29], s[28:29], exec
	s_and_b64 s[42:43], s[38:39], exec
	s_or_b64 s[28:29], s[28:29], s[42:43]
	s_andn2_b64 exec, exec, s[26:27]
	s_cbranch_execz .LBB263_229
.LBB263_227:                            ; =>This Inner Loop Header: Depth=1
	global_load_ubyte v20, v[10:11], off
	global_load_ubyte v21, v[14:15], off
	s_andn2_b64 s[38:39], s[38:39], exec
	s_andn2_b64 s[34:35], s[34:35], exec
	s_or_b64 s[30:31], s[30:31], exec
	s_waitcnt vmcnt(0)
	v_cmp_le_i16_sdwa s[44:45], sext(v20), sext(v21) src0_sel:BYTE_0 src1_sel:BYTE_0
	v_cmp_lt_i16_sdwa s[42:43], sext(v20), sext(v21) src0_sel:BYTE_0 src1_sel:BYTE_0
	s_and_b64 s[44:45], s[44:45], s[40:41]
	s_or_b64 s[44:45], s[42:43], s[44:45]
	s_and_b64 s[42:43], s[44:45], exec
	v_cmp_eq_u16_sdwa s[46:47], v20, v21 src0_sel:BYTE_0 src1_sel:BYTE_0
	s_or_b64 s[38:39], s[38:39], s[42:43]
	s_and_saveexec_b64 s[42:43], s[46:47]
	s_cbranch_execz .LBB263_226
; %bb.228:                              ;   in Loop: Header=BB263_227 Depth=1
	s_add_u32 s36, s36, -1
	s_addc_u32 s37, s37, -1
	v_add_co_u32_e32 v10, vcc, 1, v10
	s_cmp_eq_u64 s[36:37], 0
	v_addc_co_u32_e32 v11, vcc, 0, v11, vcc
	s_cselect_b64 s[40:41], -1, 0
	v_add_co_u32_e32 v14, vcc, 1, v14
	s_andn2_b64 s[34:35], s[34:35], exec
	s_and_b64 s[44:45], s[44:45], exec
	s_andn2_b64 s[30:31], s[30:31], exec
	s_and_b64 s[40:41], s[40:41], exec
	v_addc_co_u32_e32 v15, vcc, 0, v15, vcc
	s_or_b64 s[34:35], s[34:35], s[44:45]
	s_andn2_b64 s[38:39], s[38:39], exec
	s_or_b64 s[30:31], s[30:31], s[40:41]
                                        ; implicit-def: $sgpr40_sgpr41
	s_branch .LBB263_226
.LBB263_229:
	s_or_b64 exec, exec, s[26:27]
	v_cndmask_b32_e64 v7, v7, v9, s[28:29]
	v_cndmask_b32_e64 v6, v6, v8, s[28:29]
.LBB263_230:
	v_pk_mov_b32 v[8:9], v[6:7], v[6:7] op_sel:[0,1]
.LBB263_231:
	s_or_b64 exec, exec, s[24:25]
	v_pk_mov_b32 v[6:7], v[8:9], v[8:9] op_sel:[0,1]
.LBB263_232:
	s_or_b64 exec, exec, s[0:1]
.LBB263_233:
	s_or_b64 exec, exec, s[22:23]
	; wave barrier
	ds_write_b128 v19, v[0:3]
	ds_write_b128 v19, v[4:7] offset:16
	v_and_b32_e32 v19, 0x1c0, v18
	v_or_b32_e32 v8, 32, v19
	v_min_u32_e32 v14, v17, v8
	v_add_u32_e32 v8, 32, v14
	v_min_u32_e32 v15, v17, v8
	v_and_b32_e32 v8, 60, v18
	v_min_u32_e32 v20, v17, v8
	v_sub_u32_e32 v8, v14, v19
	v_sub_u32_e32 v9, v15, v14
	v_sub_u32_e64 v18, v20, v9 clamp
	v_min_u32_e32 v21, v20, v8
	v_lshl_add_u32 v17, v19, 3, v16
	v_cmp_lt_u32_e32 vcc, v18, v21
	; wave barrier
	s_and_saveexec_b64 s[22:23], vcc
	s_cbranch_execz .LBB263_243
; %bb.234:
	v_lshlrev_b32_e32 v8, 3, v14
	v_lshlrev_b32_e32 v9, 3, v20
	v_add3_u32 v22, v16, v8, v9
	v_cndmask_b32_e64 v8, 0, 1, s[4:5]
	s_mov_b64 s[24:25], 0
	v_cmp_ne_u32_e64 s[0:1], 1, v8
	s_branch .LBB263_237
.LBB263_235:                            ;   in Loop: Header=BB263_237 Depth=1
	s_or_b64 exec, exec, s[28:29]
.LBB263_236:                            ;   in Loop: Header=BB263_237 Depth=1
	v_add_u32_e32 v8, 1, v23
	v_cndmask_b32_e64 v21, v21, v23, s[26:27]
	v_cndmask_b32_e64 v18, v8, v18, s[26:27]
	v_cmp_ge_u32_e32 vcc, v18, v21
	s_or_b64 s[24:25], vcc, s[24:25]
	s_andn2_b64 exec, exec, s[24:25]
	s_cbranch_execz .LBB263_242
.LBB263_237:                            ; =>This Loop Header: Depth=1
                                        ;     Child Loop BB263_240 Depth 2
	v_add_u32_e32 v8, v21, v18
	v_lshrrev_b32_e32 v23, 1, v8
	s_and_b64 vcc, exec, s[0:1]
	s_mov_b64 s[26:27], 0
	s_cbranch_vccnz .LBB263_236
; %bb.238:                              ;   in Loop: Header=BB263_237 Depth=1
	v_not_b32_e32 v8, v23
	v_lshl_add_u32 v8, v8, 3, v22
	ds_read_b64 v[8:9], v8
	v_lshl_add_u32 v24, v23, 3, v17
	ds_read_b64 v[24:25], v24
	v_pk_mov_b32 v[10:11], s[14:15], s[14:15] op_sel:[0,1]
	s_mov_b64 s[28:29], 0
	s_waitcnt lgkmcnt(1)
	v_mul_lo_u32 v37, v8, s13
	v_mul_lo_u32 v38, v9, s12
	v_mad_u64_u32 v[8:9], s[26:27], v8, s12, v[10:11]
	v_add3_u32 v9, v38, v9, v37
	s_waitcnt lgkmcnt(0)
	v_mul_lo_u32 v37, v24, s13
	v_mul_lo_u32 v25, v25, s12
	v_mad_u64_u32 v[10:11], s[26:27], v24, s12, v[10:11]
	v_add3_u32 v11, v25, v11, v37
	s_mov_b64 s[36:37], s[12:13]
                                        ; implicit-def: $sgpr26_sgpr27
                                        ; implicit-def: $sgpr30_sgpr31
                                        ; implicit-def: $sgpr34_sgpr35
                                        ; implicit-def: $sgpr38_sgpr39
                                        ; implicit-def: $sgpr40_sgpr41
	s_branch .LBB263_240
.LBB263_239:                            ;   in Loop: Header=BB263_240 Depth=2
	s_or_b64 exec, exec, s[42:43]
	s_and_b64 s[42:43], exec, s[30:31]
	s_or_b64 s[28:29], s[42:43], s[28:29]
	s_andn2_b64 s[40:41], s[40:41], exec
	s_and_b64 s[42:43], s[34:35], exec
	s_or_b64 s[40:41], s[40:41], s[42:43]
	s_andn2_b64 s[26:27], s[26:27], exec
	s_and_b64 s[42:43], s[38:39], exec
	s_or_b64 s[26:27], s[26:27], s[42:43]
	s_andn2_b64 exec, exec, s[28:29]
	s_cbranch_execz .LBB263_235
.LBB263_240:                            ;   Parent Loop BB263_237 Depth=1
                                        ; =>  This Inner Loop Header: Depth=2
	global_load_ubyte v24, v[8:9], off
	global_load_ubyte v25, v[10:11], off
	s_andn2_b64 s[38:39], s[38:39], exec
	s_andn2_b64 s[34:35], s[34:35], exec
	s_or_b64 s[30:31], s[30:31], exec
	s_waitcnt vmcnt(0)
	v_cmp_le_i16_sdwa s[44:45], sext(v24), sext(v25) src0_sel:BYTE_0 src1_sel:BYTE_0
	v_cmp_lt_i16_sdwa s[42:43], sext(v24), sext(v25) src0_sel:BYTE_0 src1_sel:BYTE_0
	s_and_b64 s[44:45], s[44:45], s[40:41]
	s_or_b64 s[44:45], s[42:43], s[44:45]
	s_and_b64 s[42:43], s[44:45], exec
	v_cmp_eq_u16_sdwa s[46:47], v24, v25 src0_sel:BYTE_0 src1_sel:BYTE_0
	s_or_b64 s[38:39], s[38:39], s[42:43]
	s_and_saveexec_b64 s[42:43], s[46:47]
	s_cbranch_execz .LBB263_239
; %bb.241:                              ;   in Loop: Header=BB263_240 Depth=2
	s_add_u32 s36, s36, -1
	s_addc_u32 s37, s37, -1
	v_add_co_u32_e32 v8, vcc, 1, v8
	s_cmp_eq_u64 s[36:37], 0
	v_addc_co_u32_e32 v9, vcc, 0, v9, vcc
	s_cselect_b64 s[40:41], -1, 0
	v_add_co_u32_e32 v10, vcc, 1, v10
	s_andn2_b64 s[34:35], s[34:35], exec
	s_and_b64 s[44:45], s[44:45], exec
	s_andn2_b64 s[30:31], s[30:31], exec
	s_and_b64 s[40:41], s[40:41], exec
	v_addc_co_u32_e32 v11, vcc, 0, v11, vcc
	s_andn2_b64 s[38:39], s[38:39], exec
	s_or_b64 s[34:35], s[34:35], s[44:45]
	s_or_b64 s[30:31], s[30:31], s[40:41]
                                        ; implicit-def: $sgpr40_sgpr41
	s_branch .LBB263_239
.LBB263_242:
	s_or_b64 exec, exec, s[24:25]
.LBB263_243:
	s_or_b64 exec, exec, s[22:23]
	v_add_u32_e32 v8, v14, v20
	v_add_u32_e32 v19, v18, v19
	v_sub_u32_e32 v20, v8, v18
	v_cmp_le_u32_e32 vcc, v19, v14
	v_cmp_le_u32_e64 s[0:1], v20, v15
	s_or_b64 s[0:1], vcc, s[0:1]
	s_and_saveexec_b64 s[22:23], s[0:1]
	s_cbranch_execz .LBB263_290
; %bb.244:
	v_cmp_ge_u32_e32 vcc, v19, v14
	v_cmp_lt_u32_e64 s[0:1], v19, v14
                                        ; implicit-def: $vgpr0_vgpr1
	s_and_saveexec_b64 s[24:25], s[0:1]
	s_cbranch_execz .LBB263_246
; %bb.245:
	v_lshl_add_u32 v0, v18, 3, v17
	ds_read_b64 v[0:1], v0
.LBB263_246:
	s_or_b64 exec, exec, s[24:25]
	v_cmp_ge_u32_e64 s[24:25], v20, v15
	v_cmp_lt_u32_e64 s[0:1], v20, v15
                                        ; implicit-def: $vgpr4_vgpr5
	s_and_saveexec_b64 s[26:27], s[0:1]
	s_cbranch_execz .LBB263_248
; %bb.247:
	v_lshl_add_u32 v2, v20, 3, v16
	ds_read_b64 v[4:5], v2
.LBB263_248:
	s_or_b64 exec, exec, s[26:27]
	s_or_b64 s[26:27], vcc, s[24:25]
	s_mov_b64 s[0:1], -1
	s_xor_b64 s[28:29], s[26:27], -1
	s_and_saveexec_b64 s[26:27], s[28:29]
	s_cbranch_execz .LBB263_257
; %bb.249:
	s_andn2_b64 vcc, exec, s[4:5]
	s_cbranch_vccnz .LBB263_255
; %bb.250:
	v_pk_mov_b32 v[6:7], s[14:15], s[14:15] op_sel:[0,1]
	s_waitcnt lgkmcnt(0)
	v_mad_u64_u32 v[2:3], s[28:29], v4, s12, v[6:7]
	v_mul_lo_u32 v8, v4, s13
	v_mul_lo_u32 v9, v5, s12
	v_add3_u32 v3, v9, v3, v8
	v_mad_u64_u32 v[6:7], s[28:29], v0, s12, v[6:7]
	v_mul_lo_u32 v8, v0, s13
	v_mul_lo_u32 v9, v1, s12
	v_add3_u32 v7, v9, v7, v8
	s_mov_b64 s[28:29], 0
	s_mov_b64 s[38:39], s[12:13]
                                        ; implicit-def: $sgpr30_sgpr31
                                        ; implicit-def: $sgpr34_sgpr35
                                        ; implicit-def: $sgpr40_sgpr41
                                        ; implicit-def: $sgpr36_sgpr37
                                        ; implicit-def: $sgpr42_sgpr43
	s_branch .LBB263_252
.LBB263_251:                            ;   in Loop: Header=BB263_252 Depth=1
	s_or_b64 exec, exec, s[44:45]
	s_and_b64 s[44:45], exec, s[34:35]
	s_or_b64 s[28:29], s[44:45], s[28:29]
	s_andn2_b64 s[42:43], s[42:43], exec
	s_and_b64 s[44:45], s[36:37], exec
	s_or_b64 s[42:43], s[42:43], s[44:45]
	s_andn2_b64 s[30:31], s[30:31], exec
	s_and_b64 s[44:45], s[40:41], exec
	s_or_b64 s[30:31], s[30:31], s[44:45]
	s_andn2_b64 exec, exec, s[28:29]
	s_cbranch_execz .LBB263_254
.LBB263_252:                            ; =>This Inner Loop Header: Depth=1
	global_load_ubyte v8, v[2:3], off
	global_load_ubyte v9, v[6:7], off
	s_andn2_b64 s[40:41], s[40:41], exec
	s_andn2_b64 s[36:37], s[36:37], exec
	s_or_b64 s[34:35], s[34:35], exec
	s_waitcnt vmcnt(0)
	v_cmp_le_i16_sdwa s[46:47], sext(v8), sext(v9) src0_sel:BYTE_0 src1_sel:BYTE_0
	v_cmp_lt_i16_sdwa s[44:45], sext(v8), sext(v9) src0_sel:BYTE_0 src1_sel:BYTE_0
	s_and_b64 s[46:47], s[46:47], s[42:43]
	s_or_b64 s[46:47], s[44:45], s[46:47]
	s_and_b64 s[44:45], s[46:47], exec
	v_cmp_eq_u16_sdwa s[48:49], v8, v9 src0_sel:BYTE_0 src1_sel:BYTE_0
	s_or_b64 s[40:41], s[40:41], s[44:45]
	s_and_saveexec_b64 s[44:45], s[48:49]
	s_cbranch_execz .LBB263_251
; %bb.253:                              ;   in Loop: Header=BB263_252 Depth=1
	s_add_u32 s38, s38, -1
	s_addc_u32 s39, s39, -1
	v_add_co_u32_e32 v2, vcc, 1, v2
	s_cmp_eq_u64 s[38:39], 0
	v_addc_co_u32_e32 v3, vcc, 0, v3, vcc
	s_cselect_b64 s[42:43], -1, 0
	v_add_co_u32_e32 v6, vcc, 1, v6
	s_andn2_b64 s[36:37], s[36:37], exec
	s_and_b64 s[46:47], s[46:47], exec
	s_andn2_b64 s[34:35], s[34:35], exec
	s_and_b64 s[42:43], s[42:43], exec
	v_addc_co_u32_e32 v7, vcc, 0, v7, vcc
	s_or_b64 s[36:37], s[36:37], s[46:47]
	s_andn2_b64 s[40:41], s[40:41], exec
	s_or_b64 s[34:35], s[34:35], s[42:43]
                                        ; implicit-def: $sgpr42_sgpr43
	s_branch .LBB263_251
.LBB263_254:
	s_or_b64 exec, exec, s[28:29]
	s_xor_b64 s[28:29], s[30:31], -1
	s_branch .LBB263_256
.LBB263_255:
	s_mov_b64 s[28:29], -1
.LBB263_256:
	s_andn2_b64 s[24:25], s[24:25], exec
	s_and_b64 s[28:29], s[28:29], exec
	s_or_b64 s[24:25], s[24:25], s[28:29]
.LBB263_257:
	s_or_b64 exec, exec, s[26:27]
	v_cndmask_b32_e64 v2, v20, v19, s[24:25]
	v_cndmask_b32_e64 v3, v15, v14, s[24:25]
	v_add_u32_e32 v6, 1, v2
	v_add_u32_e32 v2, -1, v3
	v_min_u32_e32 v2, v6, v2
	v_lshl_add_u32 v2, v2, 3, v16
	ds_read_b64 v[2:3], v2
	v_cndmask_b32_e64 v20, v6, v20, s[24:25]
	v_cndmask_b32_e64 v19, v19, v6, s[24:25]
	v_cmp_lt_u32_e32 vcc, v20, v15
	s_waitcnt lgkmcnt(0)
	v_cndmask_b32_e64 v8, v3, v5, s[24:25]
	v_cndmask_b32_e64 v9, v2, v4, s[24:25]
	;; [unrolled: 1-line block ×4, first 2 shown]
	s_and_saveexec_b64 s[26:27], vcc
	s_cbranch_execz .LBB263_268
; %bb.258:
	v_cmp_lt_u32_e32 vcc, v19, v14
	s_mov_b64 s[28:29], 0
	s_and_saveexec_b64 s[0:1], vcc
	s_cbranch_execz .LBB263_267
; %bb.259:
	s_andn2_b64 vcc, exec, s[4:5]
	s_cbranch_vccnz .LBB263_265
; %bb.260:
	v_pk_mov_b32 v[6:7], s[14:15], s[14:15] op_sel:[0,1]
	v_mad_u64_u32 v[2:3], s[28:29], v9, s12, v[6:7]
	v_mul_lo_u32 v17, v9, s13
	v_mul_lo_u32 v18, v8, s12
	v_add3_u32 v3, v18, v3, v17
	v_mad_u64_u32 v[6:7], s[28:29], v11, s12, v[6:7]
	v_mul_lo_u32 v17, v11, s13
	v_mul_lo_u32 v18, v10, s12
	v_add3_u32 v7, v18, v7, v17
	s_mov_b64 s[28:29], 0
	s_mov_b64 s[38:39], s[12:13]
                                        ; implicit-def: $sgpr30_sgpr31
                                        ; implicit-def: $sgpr34_sgpr35
                                        ; implicit-def: $sgpr40_sgpr41
                                        ; implicit-def: $sgpr36_sgpr37
                                        ; implicit-def: $sgpr42_sgpr43
	s_branch .LBB263_262
.LBB263_261:                            ;   in Loop: Header=BB263_262 Depth=1
	s_or_b64 exec, exec, s[44:45]
	s_and_b64 s[44:45], exec, s[34:35]
	s_or_b64 s[28:29], s[44:45], s[28:29]
	s_andn2_b64 s[42:43], s[42:43], exec
	s_and_b64 s[44:45], s[36:37], exec
	s_or_b64 s[42:43], s[42:43], s[44:45]
	s_andn2_b64 s[30:31], s[30:31], exec
	s_and_b64 s[44:45], s[40:41], exec
	s_or_b64 s[30:31], s[30:31], s[44:45]
	s_andn2_b64 exec, exec, s[28:29]
	s_cbranch_execz .LBB263_264
.LBB263_262:                            ; =>This Inner Loop Header: Depth=1
	global_load_ubyte v17, v[2:3], off
	global_load_ubyte v18, v[6:7], off
	s_andn2_b64 s[40:41], s[40:41], exec
	s_andn2_b64 s[36:37], s[36:37], exec
	s_or_b64 s[34:35], s[34:35], exec
	s_waitcnt vmcnt(0)
	v_cmp_le_i16_sdwa s[46:47], sext(v17), sext(v18) src0_sel:BYTE_0 src1_sel:BYTE_0
	v_cmp_lt_i16_sdwa s[44:45], sext(v17), sext(v18) src0_sel:BYTE_0 src1_sel:BYTE_0
	s_and_b64 s[46:47], s[46:47], s[42:43]
	s_or_b64 s[46:47], s[44:45], s[46:47]
	s_and_b64 s[44:45], s[46:47], exec
	v_cmp_eq_u16_sdwa s[48:49], v17, v18 src0_sel:BYTE_0 src1_sel:BYTE_0
	s_or_b64 s[40:41], s[40:41], s[44:45]
	s_and_saveexec_b64 s[44:45], s[48:49]
	s_cbranch_execz .LBB263_261
; %bb.263:                              ;   in Loop: Header=BB263_262 Depth=1
	s_add_u32 s38, s38, -1
	s_addc_u32 s39, s39, -1
	v_add_co_u32_e32 v2, vcc, 1, v2
	s_cmp_eq_u64 s[38:39], 0
	v_addc_co_u32_e32 v3, vcc, 0, v3, vcc
	s_cselect_b64 s[42:43], -1, 0
	v_add_co_u32_e32 v6, vcc, 1, v6
	s_andn2_b64 s[36:37], s[36:37], exec
	s_and_b64 s[46:47], s[46:47], exec
	s_andn2_b64 s[34:35], s[34:35], exec
	s_and_b64 s[42:43], s[42:43], exec
	v_addc_co_u32_e32 v7, vcc, 0, v7, vcc
	s_or_b64 s[36:37], s[36:37], s[46:47]
	s_andn2_b64 s[40:41], s[40:41], exec
	s_or_b64 s[34:35], s[34:35], s[42:43]
                                        ; implicit-def: $sgpr42_sgpr43
	s_branch .LBB263_261
.LBB263_264:
	s_or_b64 exec, exec, s[28:29]
	s_xor_b64 s[28:29], s[30:31], -1
	s_branch .LBB263_266
.LBB263_265:
	s_mov_b64 s[28:29], -1
.LBB263_266:
	s_and_b64 s[28:29], s[28:29], exec
.LBB263_267:
	s_or_b64 exec, exec, s[0:1]
	s_orn2_b64 s[0:1], s[28:29], exec
.LBB263_268:
	s_or_b64 exec, exec, s[26:27]
	v_cndmask_b32_e64 v2, v20, v19, s[0:1]
	v_cndmask_b32_e64 v3, v15, v14, s[0:1]
	v_add_u32_e32 v6, 1, v2
	v_add_u32_e32 v2, -1, v3
	v_min_u32_e32 v2, v6, v2
	v_lshl_add_u32 v2, v2, 3, v16
	ds_read_b64 v[2:3], v2
	v_cndmask_b32_e64 v20, v6, v20, s[0:1]
	v_cndmask_b32_e64 v19, v19, v6, s[0:1]
	v_cmp_lt_u32_e32 vcc, v20, v15
	s_mov_b64 s[28:29], -1
	s_waitcnt lgkmcnt(0)
	v_cndmask_b32_e64 v17, v3, v8, s[0:1]
	v_cndmask_b32_e64 v18, v2, v9, s[0:1]
	;; [unrolled: 1-line block ×4, first 2 shown]
	s_and_saveexec_b64 s[26:27], vcc
	s_cbranch_execz .LBB263_279
; %bb.269:
	v_cmp_lt_u32_e32 vcc, v19, v14
	s_mov_b64 s[30:31], 0
	s_and_saveexec_b64 s[28:29], vcc
	s_cbranch_execz .LBB263_278
; %bb.270:
	s_andn2_b64 vcc, exec, s[4:5]
	s_cbranch_vccnz .LBB263_276
; %bb.271:
	v_pk_mov_b32 v[6:7], s[14:15], s[14:15] op_sel:[0,1]
	v_mad_u64_u32 v[2:3], s[30:31], v18, s12, v[6:7]
	v_mul_lo_u32 v23, v18, s13
	v_mul_lo_u32 v24, v17, s12
	v_add3_u32 v3, v24, v3, v23
	v_mad_u64_u32 v[6:7], s[30:31], v22, s12, v[6:7]
	v_mul_lo_u32 v23, v22, s13
	v_mul_lo_u32 v24, v21, s12
	v_add3_u32 v7, v24, v7, v23
	s_mov_b64 s[30:31], 0
	s_mov_b64 s[40:41], s[12:13]
                                        ; implicit-def: $sgpr34_sgpr35
                                        ; implicit-def: $sgpr36_sgpr37
                                        ; implicit-def: $sgpr42_sgpr43
                                        ; implicit-def: $sgpr38_sgpr39
                                        ; implicit-def: $sgpr44_sgpr45
	s_branch .LBB263_273
.LBB263_272:                            ;   in Loop: Header=BB263_273 Depth=1
	s_or_b64 exec, exec, s[46:47]
	s_and_b64 s[46:47], exec, s[36:37]
	s_or_b64 s[30:31], s[46:47], s[30:31]
	s_andn2_b64 s[44:45], s[44:45], exec
	s_and_b64 s[46:47], s[38:39], exec
	s_or_b64 s[44:45], s[44:45], s[46:47]
	s_andn2_b64 s[34:35], s[34:35], exec
	s_and_b64 s[46:47], s[42:43], exec
	s_or_b64 s[34:35], s[34:35], s[46:47]
	s_andn2_b64 exec, exec, s[30:31]
	s_cbranch_execz .LBB263_275
.LBB263_273:                            ; =>This Inner Loop Header: Depth=1
	global_load_ubyte v23, v[2:3], off
	global_load_ubyte v24, v[6:7], off
	s_andn2_b64 s[42:43], s[42:43], exec
	s_andn2_b64 s[38:39], s[38:39], exec
	s_or_b64 s[36:37], s[36:37], exec
	s_waitcnt vmcnt(0)
	v_cmp_le_i16_sdwa s[48:49], sext(v23), sext(v24) src0_sel:BYTE_0 src1_sel:BYTE_0
	v_cmp_lt_i16_sdwa s[46:47], sext(v23), sext(v24) src0_sel:BYTE_0 src1_sel:BYTE_0
	s_and_b64 s[48:49], s[48:49], s[44:45]
	s_or_b64 s[48:49], s[46:47], s[48:49]
	s_and_b64 s[46:47], s[48:49], exec
	v_cmp_eq_u16_sdwa s[50:51], v23, v24 src0_sel:BYTE_0 src1_sel:BYTE_0
	s_or_b64 s[42:43], s[42:43], s[46:47]
	s_and_saveexec_b64 s[46:47], s[50:51]
	s_cbranch_execz .LBB263_272
; %bb.274:                              ;   in Loop: Header=BB263_273 Depth=1
	s_add_u32 s40, s40, -1
	s_addc_u32 s41, s41, -1
	v_add_co_u32_e32 v2, vcc, 1, v2
	s_cmp_eq_u64 s[40:41], 0
	v_addc_co_u32_e32 v3, vcc, 0, v3, vcc
	s_cselect_b64 s[44:45], -1, 0
	v_add_co_u32_e32 v6, vcc, 1, v6
	s_andn2_b64 s[38:39], s[38:39], exec
	s_and_b64 s[48:49], s[48:49], exec
	s_andn2_b64 s[36:37], s[36:37], exec
	s_and_b64 s[44:45], s[44:45], exec
	v_addc_co_u32_e32 v7, vcc, 0, v7, vcc
	s_or_b64 s[38:39], s[38:39], s[48:49]
	s_andn2_b64 s[42:43], s[42:43], exec
	s_or_b64 s[36:37], s[36:37], s[44:45]
                                        ; implicit-def: $sgpr44_sgpr45
	s_branch .LBB263_272
.LBB263_275:
	s_or_b64 exec, exec, s[30:31]
	s_xor_b64 s[30:31], s[34:35], -1
	s_branch .LBB263_277
.LBB263_276:
	s_mov_b64 s[30:31], -1
.LBB263_277:
	s_and_b64 s[30:31], s[30:31], exec
.LBB263_278:
	s_or_b64 exec, exec, s[28:29]
	s_orn2_b64 s[28:29], s[30:31], exec
.LBB263_279:
	s_or_b64 exec, exec, s[26:27]
	v_cndmask_b32_e64 v6, v20, v19, s[28:29]
	v_cndmask_b32_e64 v7, v15, v14, s[28:29]
	;; [unrolled: 1-line block ×3, first 2 shown]
	v_add_u32_e32 v10, 1, v6
	v_add_u32_e32 v6, -1, v7
	v_min_u32_e32 v6, v10, v6
	v_lshl_add_u32 v6, v6, 3, v16
	v_cndmask_b32_e64 v2, v9, v11, s[0:1]
	ds_read_b64 v[8:9], v6
	v_cndmask_b32_e64 v11, v10, v20, s[28:29]
	v_cndmask_b32_e64 v1, v5, v1, s[24:25]
	;; [unrolled: 1-line block ×5, first 2 shown]
	s_waitcnt lgkmcnt(0)
	v_cndmask_b32_e64 v7, v21, v9, s[28:29]
	v_cndmask_b32_e64 v6, v22, v8, s[28:29]
	v_cmp_lt_u32_e32 vcc, v11, v15
	s_and_saveexec_b64 s[0:1], vcc
	s_cbranch_execz .LBB263_289
; %bb.280:
	v_cndmask_b32_e64 v10, v19, v10, s[28:29]
	v_cndmask_b32_e64 v9, v9, v17, s[28:29]
	;; [unrolled: 1-line block ×3, first 2 shown]
	v_cmp_lt_u32_e32 vcc, v10, v14
	s_and_saveexec_b64 s[24:25], vcc
	s_cbranch_execz .LBB263_288
; %bb.281:
	s_andn2_b64 vcc, exec, s[4:5]
	s_cbranch_vccnz .LBB263_287
; %bb.282:
	v_pk_mov_b32 v[14:15], s[14:15], s[14:15] op_sel:[0,1]
	v_mad_u64_u32 v[10:11], s[26:27], v8, s12, v[14:15]
	v_mul_lo_u32 v16, v8, s13
	v_mul_lo_u32 v17, v9, s12
	v_add3_u32 v11, v17, v11, v16
	v_mad_u64_u32 v[14:15], s[26:27], v6, s12, v[14:15]
	v_mul_lo_u32 v16, v6, s13
	v_mul_lo_u32 v17, v7, s12
	v_add3_u32 v15, v17, v15, v16
	s_mov_b64 s[26:27], 0
	s_mov_b64 s[36:37], s[12:13]
                                        ; implicit-def: $sgpr28_sgpr29
                                        ; implicit-def: $sgpr30_sgpr31
                                        ; implicit-def: $sgpr38_sgpr39
                                        ; implicit-def: $sgpr34_sgpr35
                                        ; implicit-def: $sgpr40_sgpr41
	s_branch .LBB263_284
.LBB263_283:                            ;   in Loop: Header=BB263_284 Depth=1
	s_or_b64 exec, exec, s[42:43]
	s_and_b64 s[42:43], exec, s[30:31]
	s_or_b64 s[26:27], s[42:43], s[26:27]
	s_andn2_b64 s[40:41], s[40:41], exec
	s_and_b64 s[42:43], s[34:35], exec
	s_or_b64 s[40:41], s[40:41], s[42:43]
	s_andn2_b64 s[28:29], s[28:29], exec
	s_and_b64 s[42:43], s[38:39], exec
	s_or_b64 s[28:29], s[28:29], s[42:43]
	s_andn2_b64 exec, exec, s[26:27]
	s_cbranch_execz .LBB263_286
.LBB263_284:                            ; =>This Inner Loop Header: Depth=1
	global_load_ubyte v16, v[10:11], off
	global_load_ubyte v17, v[14:15], off
	s_andn2_b64 s[38:39], s[38:39], exec
	s_andn2_b64 s[34:35], s[34:35], exec
	s_or_b64 s[30:31], s[30:31], exec
	s_waitcnt vmcnt(0)
	v_cmp_le_i16_sdwa s[44:45], sext(v16), sext(v17) src0_sel:BYTE_0 src1_sel:BYTE_0
	v_cmp_lt_i16_sdwa s[42:43], sext(v16), sext(v17) src0_sel:BYTE_0 src1_sel:BYTE_0
	s_and_b64 s[44:45], s[44:45], s[40:41]
	s_or_b64 s[44:45], s[42:43], s[44:45]
	s_and_b64 s[42:43], s[44:45], exec
	v_cmp_eq_u16_sdwa s[46:47], v16, v17 src0_sel:BYTE_0 src1_sel:BYTE_0
	s_or_b64 s[38:39], s[38:39], s[42:43]
	s_and_saveexec_b64 s[42:43], s[46:47]
	s_cbranch_execz .LBB263_283
; %bb.285:                              ;   in Loop: Header=BB263_284 Depth=1
	s_add_u32 s36, s36, -1
	s_addc_u32 s37, s37, -1
	v_add_co_u32_e32 v10, vcc, 1, v10
	s_cmp_eq_u64 s[36:37], 0
	v_addc_co_u32_e32 v11, vcc, 0, v11, vcc
	s_cselect_b64 s[40:41], -1, 0
	v_add_co_u32_e32 v14, vcc, 1, v14
	s_andn2_b64 s[34:35], s[34:35], exec
	s_and_b64 s[44:45], s[44:45], exec
	s_andn2_b64 s[30:31], s[30:31], exec
	s_and_b64 s[40:41], s[40:41], exec
	v_addc_co_u32_e32 v15, vcc, 0, v15, vcc
	s_or_b64 s[34:35], s[34:35], s[44:45]
	s_andn2_b64 s[38:39], s[38:39], exec
	s_or_b64 s[30:31], s[30:31], s[40:41]
                                        ; implicit-def: $sgpr40_sgpr41
	s_branch .LBB263_283
.LBB263_286:
	s_or_b64 exec, exec, s[26:27]
	v_cndmask_b32_e64 v7, v7, v9, s[28:29]
	v_cndmask_b32_e64 v6, v6, v8, s[28:29]
.LBB263_287:
	v_pk_mov_b32 v[8:9], v[6:7], v[6:7] op_sel:[0,1]
.LBB263_288:
	s_or_b64 exec, exec, s[24:25]
	v_pk_mov_b32 v[6:7], v[8:9], v[8:9] op_sel:[0,1]
.LBB263_289:
	s_or_b64 exec, exec, s[0:1]
.LBB263_290:
	s_or_b64 exec, exec, s[22:23]
	v_and_b32_e32 v19, 0xf80, v27
	v_or_b32_e32 v8, 64, v19
	v_min_u32_e32 v14, 0x400, v8
	v_min_u32_e32 v8, 0x3c0, v8
	v_add_u32_e32 v15, 64, v8
	v_and_b32_e32 v20, 0x7c, v27
	v_sub_u32_e32 v8, v14, v19
	v_sub_u32_e32 v9, v15, v14
	v_sub_u32_e64 v18, v20, v9 clamp
	v_min_u32_e32 v21, v20, v8
	v_lshlrev_b32_e32 v16, 3, v27
	v_lshlrev_b32_e32 v17, 3, v19
	v_cmp_lt_u32_e32 vcc, v18, v21
	; wave barrier
	s_waitcnt lgkmcnt(0)
	s_barrier
	ds_write_b128 v16, v[0:3]
	ds_write_b128 v16, v[4:7] offset:16
	s_waitcnt lgkmcnt(0)
	s_barrier
	s_and_saveexec_b64 s[22:23], vcc
	s_cbranch_execz .LBB263_300
; %bb.291:
	v_lshlrev_b32_e32 v8, 3, v20
	v_lshl_add_u32 v22, v14, 3, v8
	v_cndmask_b32_e64 v8, 0, 1, s[4:5]
	s_mov_b64 s[24:25], 0
	v_cmp_ne_u32_e64 s[0:1], 1, v8
	s_branch .LBB263_294
.LBB263_292:                            ;   in Loop: Header=BB263_294 Depth=1
	s_or_b64 exec, exec, s[28:29]
.LBB263_293:                            ;   in Loop: Header=BB263_294 Depth=1
	v_add_u32_e32 v8, 1, v23
	v_cndmask_b32_e64 v21, v21, v23, s[26:27]
	v_cndmask_b32_e64 v18, v8, v18, s[26:27]
	v_cmp_ge_u32_e32 vcc, v18, v21
	s_or_b64 s[24:25], vcc, s[24:25]
	s_andn2_b64 exec, exec, s[24:25]
	s_cbranch_execz .LBB263_299
.LBB263_294:                            ; =>This Loop Header: Depth=1
                                        ;     Child Loop BB263_297 Depth 2
	v_add_u32_e32 v8, v21, v18
	v_lshrrev_b32_e32 v23, 1, v8
	s_and_b64 vcc, exec, s[0:1]
	s_mov_b64 s[26:27], 0
	s_cbranch_vccnz .LBB263_293
; %bb.295:                              ;   in Loop: Header=BB263_294 Depth=1
	v_not_b32_e32 v8, v23
	v_lshl_add_u32 v8, v8, 3, v22
	ds_read_b64 v[8:9], v8
	v_lshl_add_u32 v24, v23, 3, v17
	ds_read_b64 v[24:25], v24
	v_pk_mov_b32 v[10:11], s[14:15], s[14:15] op_sel:[0,1]
	s_mov_b64 s[28:29], 0
	s_waitcnt lgkmcnt(1)
	v_mul_lo_u32 v37, v8, s13
	v_mul_lo_u32 v38, v9, s12
	v_mad_u64_u32 v[8:9], s[26:27], v8, s12, v[10:11]
	v_add3_u32 v9, v38, v9, v37
	s_waitcnt lgkmcnt(0)
	v_mul_lo_u32 v37, v24, s13
	v_mul_lo_u32 v25, v25, s12
	v_mad_u64_u32 v[10:11], s[26:27], v24, s12, v[10:11]
	v_add3_u32 v11, v25, v11, v37
	s_mov_b64 s[36:37], s[12:13]
                                        ; implicit-def: $sgpr26_sgpr27
                                        ; implicit-def: $sgpr30_sgpr31
                                        ; implicit-def: $sgpr34_sgpr35
                                        ; implicit-def: $sgpr38_sgpr39
                                        ; implicit-def: $sgpr40_sgpr41
	s_branch .LBB263_297
.LBB263_296:                            ;   in Loop: Header=BB263_297 Depth=2
	s_or_b64 exec, exec, s[42:43]
	s_and_b64 s[42:43], exec, s[30:31]
	s_or_b64 s[28:29], s[42:43], s[28:29]
	s_andn2_b64 s[40:41], s[40:41], exec
	s_and_b64 s[42:43], s[34:35], exec
	s_or_b64 s[40:41], s[40:41], s[42:43]
	s_andn2_b64 s[26:27], s[26:27], exec
	s_and_b64 s[42:43], s[38:39], exec
	s_or_b64 s[26:27], s[26:27], s[42:43]
	s_andn2_b64 exec, exec, s[28:29]
	s_cbranch_execz .LBB263_292
.LBB263_297:                            ;   Parent Loop BB263_294 Depth=1
                                        ; =>  This Inner Loop Header: Depth=2
	global_load_ubyte v24, v[8:9], off
	global_load_ubyte v25, v[10:11], off
	s_andn2_b64 s[38:39], s[38:39], exec
	s_andn2_b64 s[34:35], s[34:35], exec
	s_or_b64 s[30:31], s[30:31], exec
	s_waitcnt vmcnt(0)
	v_cmp_le_i16_sdwa s[44:45], sext(v24), sext(v25) src0_sel:BYTE_0 src1_sel:BYTE_0
	v_cmp_lt_i16_sdwa s[42:43], sext(v24), sext(v25) src0_sel:BYTE_0 src1_sel:BYTE_0
	s_and_b64 s[44:45], s[44:45], s[40:41]
	s_or_b64 s[44:45], s[42:43], s[44:45]
	s_and_b64 s[42:43], s[44:45], exec
	v_cmp_eq_u16_sdwa s[46:47], v24, v25 src0_sel:BYTE_0 src1_sel:BYTE_0
	s_or_b64 s[38:39], s[38:39], s[42:43]
	s_and_saveexec_b64 s[42:43], s[46:47]
	s_cbranch_execz .LBB263_296
; %bb.298:                              ;   in Loop: Header=BB263_297 Depth=2
	s_add_u32 s36, s36, -1
	s_addc_u32 s37, s37, -1
	v_add_co_u32_e32 v8, vcc, 1, v8
	s_cmp_eq_u64 s[36:37], 0
	v_addc_co_u32_e32 v9, vcc, 0, v9, vcc
	s_cselect_b64 s[40:41], -1, 0
	v_add_co_u32_e32 v10, vcc, 1, v10
	s_andn2_b64 s[34:35], s[34:35], exec
	s_and_b64 s[44:45], s[44:45], exec
	s_andn2_b64 s[30:31], s[30:31], exec
	s_and_b64 s[40:41], s[40:41], exec
	v_addc_co_u32_e32 v11, vcc, 0, v11, vcc
	s_andn2_b64 s[38:39], s[38:39], exec
	s_or_b64 s[34:35], s[34:35], s[44:45]
	s_or_b64 s[30:31], s[30:31], s[40:41]
                                        ; implicit-def: $sgpr40_sgpr41
	s_branch .LBB263_296
.LBB263_299:
	s_or_b64 exec, exec, s[24:25]
.LBB263_300:
	s_or_b64 exec, exec, s[22:23]
	v_sub_u32_e32 v8, v20, v18
	v_add_u32_e32 v19, v18, v19
	v_add_u32_e32 v20, v8, v14
	v_cmp_le_u32_e32 vcc, v19, v14
	v_cmp_le_u32_e64 s[0:1], v20, v15
	s_or_b64 s[0:1], vcc, s[0:1]
	s_and_saveexec_b64 s[22:23], s[0:1]
	s_cbranch_execz .LBB263_347
; %bb.301:
	v_cmp_ge_u32_e32 vcc, v19, v14
	v_cmp_lt_u32_e64 s[0:1], v19, v14
                                        ; implicit-def: $vgpr0_vgpr1
	s_and_saveexec_b64 s[24:25], s[0:1]
	s_cbranch_execz .LBB263_303
; %bb.302:
	v_lshl_add_u32 v0, v18, 3, v17
	ds_read_b64 v[0:1], v0
.LBB263_303:
	s_or_b64 exec, exec, s[24:25]
	v_cmp_ge_u32_e64 s[24:25], v20, v15
	v_cmp_lt_u32_e64 s[0:1], v20, v15
                                        ; implicit-def: $vgpr4_vgpr5
	s_and_saveexec_b64 s[26:27], s[0:1]
	s_cbranch_execz .LBB263_305
; %bb.304:
	v_lshlrev_b32_e32 v2, 3, v20
	ds_read_b64 v[4:5], v2
.LBB263_305:
	s_or_b64 exec, exec, s[26:27]
	s_or_b64 s[26:27], vcc, s[24:25]
	s_mov_b64 s[0:1], -1
	s_xor_b64 s[28:29], s[26:27], -1
	s_and_saveexec_b64 s[26:27], s[28:29]
	s_cbranch_execz .LBB263_314
; %bb.306:
	s_andn2_b64 vcc, exec, s[4:5]
	s_cbranch_vccnz .LBB263_312
; %bb.307:
	v_pk_mov_b32 v[6:7], s[14:15], s[14:15] op_sel:[0,1]
	s_waitcnt lgkmcnt(0)
	v_mad_u64_u32 v[2:3], s[28:29], v4, s12, v[6:7]
	v_mul_lo_u32 v8, v4, s13
	v_mul_lo_u32 v9, v5, s12
	v_add3_u32 v3, v9, v3, v8
	v_mad_u64_u32 v[6:7], s[28:29], v0, s12, v[6:7]
	v_mul_lo_u32 v8, v0, s13
	v_mul_lo_u32 v9, v1, s12
	v_add3_u32 v7, v9, v7, v8
	s_mov_b64 s[28:29], 0
	s_mov_b64 s[38:39], s[12:13]
                                        ; implicit-def: $sgpr30_sgpr31
                                        ; implicit-def: $sgpr34_sgpr35
                                        ; implicit-def: $sgpr40_sgpr41
                                        ; implicit-def: $sgpr36_sgpr37
                                        ; implicit-def: $sgpr42_sgpr43
	s_branch .LBB263_309
.LBB263_308:                            ;   in Loop: Header=BB263_309 Depth=1
	s_or_b64 exec, exec, s[44:45]
	s_and_b64 s[44:45], exec, s[34:35]
	s_or_b64 s[28:29], s[44:45], s[28:29]
	s_andn2_b64 s[42:43], s[42:43], exec
	s_and_b64 s[44:45], s[36:37], exec
	s_or_b64 s[42:43], s[42:43], s[44:45]
	s_andn2_b64 s[30:31], s[30:31], exec
	s_and_b64 s[44:45], s[40:41], exec
	s_or_b64 s[30:31], s[30:31], s[44:45]
	s_andn2_b64 exec, exec, s[28:29]
	s_cbranch_execz .LBB263_311
.LBB263_309:                            ; =>This Inner Loop Header: Depth=1
	global_load_ubyte v8, v[2:3], off
	global_load_ubyte v9, v[6:7], off
	s_andn2_b64 s[40:41], s[40:41], exec
	s_andn2_b64 s[36:37], s[36:37], exec
	s_or_b64 s[34:35], s[34:35], exec
	s_waitcnt vmcnt(0)
	v_cmp_le_i16_sdwa s[46:47], sext(v8), sext(v9) src0_sel:BYTE_0 src1_sel:BYTE_0
	v_cmp_lt_i16_sdwa s[44:45], sext(v8), sext(v9) src0_sel:BYTE_0 src1_sel:BYTE_0
	s_and_b64 s[46:47], s[46:47], s[42:43]
	s_or_b64 s[46:47], s[44:45], s[46:47]
	s_and_b64 s[44:45], s[46:47], exec
	v_cmp_eq_u16_sdwa s[48:49], v8, v9 src0_sel:BYTE_0 src1_sel:BYTE_0
	s_or_b64 s[40:41], s[40:41], s[44:45]
	s_and_saveexec_b64 s[44:45], s[48:49]
	s_cbranch_execz .LBB263_308
; %bb.310:                              ;   in Loop: Header=BB263_309 Depth=1
	s_add_u32 s38, s38, -1
	s_addc_u32 s39, s39, -1
	v_add_co_u32_e32 v2, vcc, 1, v2
	s_cmp_eq_u64 s[38:39], 0
	v_addc_co_u32_e32 v3, vcc, 0, v3, vcc
	s_cselect_b64 s[42:43], -1, 0
	v_add_co_u32_e32 v6, vcc, 1, v6
	s_andn2_b64 s[36:37], s[36:37], exec
	s_and_b64 s[46:47], s[46:47], exec
	s_andn2_b64 s[34:35], s[34:35], exec
	s_and_b64 s[42:43], s[42:43], exec
	v_addc_co_u32_e32 v7, vcc, 0, v7, vcc
	s_or_b64 s[36:37], s[36:37], s[46:47]
	s_andn2_b64 s[40:41], s[40:41], exec
	s_or_b64 s[34:35], s[34:35], s[42:43]
                                        ; implicit-def: $sgpr42_sgpr43
	s_branch .LBB263_308
.LBB263_311:
	s_or_b64 exec, exec, s[28:29]
	s_xor_b64 s[28:29], s[30:31], -1
	s_branch .LBB263_313
.LBB263_312:
	s_mov_b64 s[28:29], -1
.LBB263_313:
	s_andn2_b64 s[24:25], s[24:25], exec
	s_and_b64 s[28:29], s[28:29], exec
	s_or_b64 s[24:25], s[24:25], s[28:29]
.LBB263_314:
	s_or_b64 exec, exec, s[26:27]
	v_cndmask_b32_e64 v2, v20, v19, s[24:25]
	v_cndmask_b32_e64 v3, v15, v14, s[24:25]
	v_add_u32_e32 v6, 1, v2
	v_add_u32_e32 v2, -1, v3
	v_min_u32_e32 v2, v6, v2
	v_lshlrev_b32_e32 v2, 3, v2
	ds_read_b64 v[2:3], v2
	v_cndmask_b32_e64 v20, v6, v20, s[24:25]
	v_cndmask_b32_e64 v19, v19, v6, s[24:25]
	v_cmp_lt_u32_e32 vcc, v20, v15
	s_waitcnt lgkmcnt(0)
	v_cndmask_b32_e64 v8, v3, v5, s[24:25]
	v_cndmask_b32_e64 v9, v2, v4, s[24:25]
	;; [unrolled: 1-line block ×4, first 2 shown]
	s_and_saveexec_b64 s[26:27], vcc
	s_cbranch_execz .LBB263_325
; %bb.315:
	v_cmp_lt_u32_e32 vcc, v19, v14
	s_mov_b64 s[28:29], 0
	s_and_saveexec_b64 s[0:1], vcc
	s_cbranch_execz .LBB263_324
; %bb.316:
	s_andn2_b64 vcc, exec, s[4:5]
	s_cbranch_vccnz .LBB263_322
; %bb.317:
	v_pk_mov_b32 v[6:7], s[14:15], s[14:15] op_sel:[0,1]
	v_mad_u64_u32 v[2:3], s[28:29], v9, s12, v[6:7]
	v_mul_lo_u32 v17, v9, s13
	v_mul_lo_u32 v18, v8, s12
	v_add3_u32 v3, v18, v3, v17
	v_mad_u64_u32 v[6:7], s[28:29], v11, s12, v[6:7]
	v_mul_lo_u32 v17, v11, s13
	v_mul_lo_u32 v18, v10, s12
	v_add3_u32 v7, v18, v7, v17
	s_mov_b64 s[28:29], 0
	s_mov_b64 s[38:39], s[12:13]
                                        ; implicit-def: $sgpr30_sgpr31
                                        ; implicit-def: $sgpr34_sgpr35
                                        ; implicit-def: $sgpr40_sgpr41
                                        ; implicit-def: $sgpr36_sgpr37
                                        ; implicit-def: $sgpr42_sgpr43
	s_branch .LBB263_319
.LBB263_318:                            ;   in Loop: Header=BB263_319 Depth=1
	s_or_b64 exec, exec, s[44:45]
	s_and_b64 s[44:45], exec, s[34:35]
	s_or_b64 s[28:29], s[44:45], s[28:29]
	s_andn2_b64 s[42:43], s[42:43], exec
	s_and_b64 s[44:45], s[36:37], exec
	s_or_b64 s[42:43], s[42:43], s[44:45]
	s_andn2_b64 s[30:31], s[30:31], exec
	s_and_b64 s[44:45], s[40:41], exec
	s_or_b64 s[30:31], s[30:31], s[44:45]
	s_andn2_b64 exec, exec, s[28:29]
	s_cbranch_execz .LBB263_321
.LBB263_319:                            ; =>This Inner Loop Header: Depth=1
	global_load_ubyte v17, v[2:3], off
	global_load_ubyte v18, v[6:7], off
	s_andn2_b64 s[40:41], s[40:41], exec
	s_andn2_b64 s[36:37], s[36:37], exec
	s_or_b64 s[34:35], s[34:35], exec
	s_waitcnt vmcnt(0)
	v_cmp_le_i16_sdwa s[46:47], sext(v17), sext(v18) src0_sel:BYTE_0 src1_sel:BYTE_0
	v_cmp_lt_i16_sdwa s[44:45], sext(v17), sext(v18) src0_sel:BYTE_0 src1_sel:BYTE_0
	s_and_b64 s[46:47], s[46:47], s[42:43]
	s_or_b64 s[46:47], s[44:45], s[46:47]
	s_and_b64 s[44:45], s[46:47], exec
	v_cmp_eq_u16_sdwa s[48:49], v17, v18 src0_sel:BYTE_0 src1_sel:BYTE_0
	s_or_b64 s[40:41], s[40:41], s[44:45]
	s_and_saveexec_b64 s[44:45], s[48:49]
	s_cbranch_execz .LBB263_318
; %bb.320:                              ;   in Loop: Header=BB263_319 Depth=1
	s_add_u32 s38, s38, -1
	s_addc_u32 s39, s39, -1
	v_add_co_u32_e32 v2, vcc, 1, v2
	s_cmp_eq_u64 s[38:39], 0
	v_addc_co_u32_e32 v3, vcc, 0, v3, vcc
	s_cselect_b64 s[42:43], -1, 0
	v_add_co_u32_e32 v6, vcc, 1, v6
	s_andn2_b64 s[36:37], s[36:37], exec
	s_and_b64 s[46:47], s[46:47], exec
	s_andn2_b64 s[34:35], s[34:35], exec
	s_and_b64 s[42:43], s[42:43], exec
	v_addc_co_u32_e32 v7, vcc, 0, v7, vcc
	s_or_b64 s[36:37], s[36:37], s[46:47]
	s_andn2_b64 s[40:41], s[40:41], exec
	s_or_b64 s[34:35], s[34:35], s[42:43]
                                        ; implicit-def: $sgpr42_sgpr43
	s_branch .LBB263_318
.LBB263_321:
	s_or_b64 exec, exec, s[28:29]
	s_xor_b64 s[28:29], s[30:31], -1
	s_branch .LBB263_323
.LBB263_322:
	s_mov_b64 s[28:29], -1
.LBB263_323:
	s_and_b64 s[28:29], s[28:29], exec
.LBB263_324:
	s_or_b64 exec, exec, s[0:1]
	s_orn2_b64 s[0:1], s[28:29], exec
.LBB263_325:
	s_or_b64 exec, exec, s[26:27]
	v_cndmask_b32_e64 v2, v20, v19, s[0:1]
	v_cndmask_b32_e64 v3, v15, v14, s[0:1]
	v_add_u32_e32 v6, 1, v2
	v_add_u32_e32 v2, -1, v3
	v_min_u32_e32 v2, v6, v2
	v_lshlrev_b32_e32 v2, 3, v2
	ds_read_b64 v[2:3], v2
	v_cndmask_b32_e64 v20, v6, v20, s[0:1]
	v_cndmask_b32_e64 v19, v19, v6, s[0:1]
	v_cmp_lt_u32_e32 vcc, v20, v15
	s_mov_b64 s[28:29], -1
	s_waitcnt lgkmcnt(0)
	v_cndmask_b32_e64 v17, v3, v8, s[0:1]
	v_cndmask_b32_e64 v18, v2, v9, s[0:1]
	;; [unrolled: 1-line block ×4, first 2 shown]
	s_and_saveexec_b64 s[26:27], vcc
	s_cbranch_execz .LBB263_336
; %bb.326:
	v_cmp_lt_u32_e32 vcc, v19, v14
	s_mov_b64 s[30:31], 0
	s_and_saveexec_b64 s[28:29], vcc
	s_cbranch_execz .LBB263_335
; %bb.327:
	s_andn2_b64 vcc, exec, s[4:5]
	s_cbranch_vccnz .LBB263_333
; %bb.328:
	v_pk_mov_b32 v[6:7], s[14:15], s[14:15] op_sel:[0,1]
	v_mad_u64_u32 v[2:3], s[30:31], v18, s12, v[6:7]
	v_mul_lo_u32 v23, v18, s13
	v_mul_lo_u32 v24, v17, s12
	v_add3_u32 v3, v24, v3, v23
	v_mad_u64_u32 v[6:7], s[30:31], v22, s12, v[6:7]
	v_mul_lo_u32 v23, v22, s13
	v_mul_lo_u32 v24, v21, s12
	v_add3_u32 v7, v24, v7, v23
	s_mov_b64 s[30:31], 0
	s_mov_b64 s[40:41], s[12:13]
                                        ; implicit-def: $sgpr34_sgpr35
                                        ; implicit-def: $sgpr36_sgpr37
                                        ; implicit-def: $sgpr42_sgpr43
                                        ; implicit-def: $sgpr38_sgpr39
                                        ; implicit-def: $sgpr44_sgpr45
	s_branch .LBB263_330
.LBB263_329:                            ;   in Loop: Header=BB263_330 Depth=1
	s_or_b64 exec, exec, s[46:47]
	s_and_b64 s[46:47], exec, s[36:37]
	s_or_b64 s[30:31], s[46:47], s[30:31]
	s_andn2_b64 s[44:45], s[44:45], exec
	s_and_b64 s[46:47], s[38:39], exec
	s_or_b64 s[44:45], s[44:45], s[46:47]
	s_andn2_b64 s[34:35], s[34:35], exec
	s_and_b64 s[46:47], s[42:43], exec
	s_or_b64 s[34:35], s[34:35], s[46:47]
	s_andn2_b64 exec, exec, s[30:31]
	s_cbranch_execz .LBB263_332
.LBB263_330:                            ; =>This Inner Loop Header: Depth=1
	global_load_ubyte v23, v[2:3], off
	global_load_ubyte v24, v[6:7], off
	s_andn2_b64 s[42:43], s[42:43], exec
	s_andn2_b64 s[38:39], s[38:39], exec
	s_or_b64 s[36:37], s[36:37], exec
	s_waitcnt vmcnt(0)
	v_cmp_le_i16_sdwa s[48:49], sext(v23), sext(v24) src0_sel:BYTE_0 src1_sel:BYTE_0
	v_cmp_lt_i16_sdwa s[46:47], sext(v23), sext(v24) src0_sel:BYTE_0 src1_sel:BYTE_0
	s_and_b64 s[48:49], s[48:49], s[44:45]
	s_or_b64 s[48:49], s[46:47], s[48:49]
	s_and_b64 s[46:47], s[48:49], exec
	v_cmp_eq_u16_sdwa s[50:51], v23, v24 src0_sel:BYTE_0 src1_sel:BYTE_0
	s_or_b64 s[42:43], s[42:43], s[46:47]
	s_and_saveexec_b64 s[46:47], s[50:51]
	s_cbranch_execz .LBB263_329
; %bb.331:                              ;   in Loop: Header=BB263_330 Depth=1
	s_add_u32 s40, s40, -1
	s_addc_u32 s41, s41, -1
	v_add_co_u32_e32 v2, vcc, 1, v2
	s_cmp_eq_u64 s[40:41], 0
	v_addc_co_u32_e32 v3, vcc, 0, v3, vcc
	s_cselect_b64 s[44:45], -1, 0
	v_add_co_u32_e32 v6, vcc, 1, v6
	s_andn2_b64 s[38:39], s[38:39], exec
	s_and_b64 s[48:49], s[48:49], exec
	s_andn2_b64 s[36:37], s[36:37], exec
	s_and_b64 s[44:45], s[44:45], exec
	v_addc_co_u32_e32 v7, vcc, 0, v7, vcc
	s_or_b64 s[38:39], s[38:39], s[48:49]
	s_andn2_b64 s[42:43], s[42:43], exec
	s_or_b64 s[36:37], s[36:37], s[44:45]
                                        ; implicit-def: $sgpr44_sgpr45
	s_branch .LBB263_329
.LBB263_332:
	s_or_b64 exec, exec, s[30:31]
	s_xor_b64 s[30:31], s[34:35], -1
	s_branch .LBB263_334
.LBB263_333:
	s_mov_b64 s[30:31], -1
.LBB263_334:
	s_and_b64 s[30:31], s[30:31], exec
.LBB263_335:
	s_or_b64 exec, exec, s[28:29]
	s_orn2_b64 s[28:29], s[30:31], exec
.LBB263_336:
	s_or_b64 exec, exec, s[26:27]
	v_cndmask_b32_e64 v6, v20, v19, s[28:29]
	v_cndmask_b32_e64 v7, v15, v14, s[28:29]
	;; [unrolled: 1-line block ×3, first 2 shown]
	v_add_u32_e32 v10, 1, v6
	v_add_u32_e32 v6, -1, v7
	v_min_u32_e32 v6, v10, v6
	v_lshlrev_b32_e32 v6, 3, v6
	v_cndmask_b32_e64 v2, v9, v11, s[0:1]
	ds_read_b64 v[8:9], v6
	v_cndmask_b32_e64 v11, v10, v20, s[28:29]
	v_cndmask_b32_e64 v1, v5, v1, s[24:25]
	;; [unrolled: 1-line block ×5, first 2 shown]
	s_waitcnt lgkmcnt(0)
	v_cndmask_b32_e64 v7, v21, v9, s[28:29]
	v_cndmask_b32_e64 v6, v22, v8, s[28:29]
	v_cmp_lt_u32_e32 vcc, v11, v15
	s_and_saveexec_b64 s[0:1], vcc
	s_cbranch_execz .LBB263_346
; %bb.337:
	v_cndmask_b32_e64 v10, v19, v10, s[28:29]
	v_cndmask_b32_e64 v9, v9, v17, s[28:29]
	;; [unrolled: 1-line block ×3, first 2 shown]
	v_cmp_lt_u32_e32 vcc, v10, v14
	s_and_saveexec_b64 s[24:25], vcc
	s_cbranch_execz .LBB263_345
; %bb.338:
	s_andn2_b64 vcc, exec, s[4:5]
	s_cbranch_vccnz .LBB263_344
; %bb.339:
	v_pk_mov_b32 v[14:15], s[14:15], s[14:15] op_sel:[0,1]
	v_mad_u64_u32 v[10:11], s[26:27], v8, s12, v[14:15]
	v_mul_lo_u32 v17, v8, s13
	v_mul_lo_u32 v18, v9, s12
	v_add3_u32 v11, v18, v11, v17
	v_mad_u64_u32 v[14:15], s[26:27], v6, s12, v[14:15]
	v_mul_lo_u32 v17, v6, s13
	v_mul_lo_u32 v18, v7, s12
	v_add3_u32 v15, v18, v15, v17
	s_mov_b64 s[26:27], 0
	s_mov_b64 s[36:37], s[12:13]
                                        ; implicit-def: $sgpr28_sgpr29
                                        ; implicit-def: $sgpr30_sgpr31
                                        ; implicit-def: $sgpr38_sgpr39
                                        ; implicit-def: $sgpr34_sgpr35
                                        ; implicit-def: $sgpr40_sgpr41
	s_branch .LBB263_341
.LBB263_340:                            ;   in Loop: Header=BB263_341 Depth=1
	s_or_b64 exec, exec, s[42:43]
	s_and_b64 s[42:43], exec, s[30:31]
	s_or_b64 s[26:27], s[42:43], s[26:27]
	s_andn2_b64 s[40:41], s[40:41], exec
	s_and_b64 s[42:43], s[34:35], exec
	s_or_b64 s[40:41], s[40:41], s[42:43]
	s_andn2_b64 s[28:29], s[28:29], exec
	s_and_b64 s[42:43], s[38:39], exec
	s_or_b64 s[28:29], s[28:29], s[42:43]
	s_andn2_b64 exec, exec, s[26:27]
	s_cbranch_execz .LBB263_343
.LBB263_341:                            ; =>This Inner Loop Header: Depth=1
	global_load_ubyte v17, v[10:11], off
	global_load_ubyte v18, v[14:15], off
	s_andn2_b64 s[38:39], s[38:39], exec
	s_andn2_b64 s[34:35], s[34:35], exec
	s_or_b64 s[30:31], s[30:31], exec
	s_waitcnt vmcnt(0)
	v_cmp_le_i16_sdwa s[44:45], sext(v17), sext(v18) src0_sel:BYTE_0 src1_sel:BYTE_0
	v_cmp_lt_i16_sdwa s[42:43], sext(v17), sext(v18) src0_sel:BYTE_0 src1_sel:BYTE_0
	s_and_b64 s[44:45], s[44:45], s[40:41]
	s_or_b64 s[44:45], s[42:43], s[44:45]
	s_and_b64 s[42:43], s[44:45], exec
	v_cmp_eq_u16_sdwa s[46:47], v17, v18 src0_sel:BYTE_0 src1_sel:BYTE_0
	s_or_b64 s[38:39], s[38:39], s[42:43]
	s_and_saveexec_b64 s[42:43], s[46:47]
	s_cbranch_execz .LBB263_340
; %bb.342:                              ;   in Loop: Header=BB263_341 Depth=1
	s_add_u32 s36, s36, -1
	s_addc_u32 s37, s37, -1
	v_add_co_u32_e32 v10, vcc, 1, v10
	s_cmp_eq_u64 s[36:37], 0
	v_addc_co_u32_e32 v11, vcc, 0, v11, vcc
	s_cselect_b64 s[40:41], -1, 0
	v_add_co_u32_e32 v14, vcc, 1, v14
	s_andn2_b64 s[34:35], s[34:35], exec
	s_and_b64 s[44:45], s[44:45], exec
	s_andn2_b64 s[30:31], s[30:31], exec
	s_and_b64 s[40:41], s[40:41], exec
	v_addc_co_u32_e32 v15, vcc, 0, v15, vcc
	s_or_b64 s[34:35], s[34:35], s[44:45]
	s_andn2_b64 s[38:39], s[38:39], exec
	s_or_b64 s[30:31], s[30:31], s[40:41]
                                        ; implicit-def: $sgpr40_sgpr41
	s_branch .LBB263_340
.LBB263_343:
	s_or_b64 exec, exec, s[26:27]
	v_cndmask_b32_e64 v7, v7, v9, s[28:29]
	v_cndmask_b32_e64 v6, v6, v8, s[28:29]
.LBB263_344:
	v_pk_mov_b32 v[8:9], v[6:7], v[6:7] op_sel:[0,1]
.LBB263_345:
	s_or_b64 exec, exec, s[24:25]
	v_pk_mov_b32 v[6:7], v[8:9], v[8:9] op_sel:[0,1]
.LBB263_346:
	s_or_b64 exec, exec, s[0:1]
.LBB263_347:
	s_or_b64 exec, exec, s[22:23]
	v_and_b32_e32 v19, 0xf00, v27
	v_or_b32_e32 v8, 0x80, v19
	v_min_u32_e32 v14, 0x400, v8
	v_min_u32_e32 v8, 0x380, v8
	v_add_u32_e32 v15, 0x80, v8
	v_and_b32_e32 v20, 0xfc, v27
	v_sub_u32_e32 v8, v14, v19
	v_sub_u32_e32 v9, v15, v14
	v_sub_u32_e64 v18, v20, v9 clamp
	v_min_u32_e32 v21, v20, v8
	v_lshlrev_b32_e32 v17, 3, v19
	v_cmp_lt_u32_e32 vcc, v18, v21
	s_barrier
	ds_write_b128 v16, v[0:3]
	ds_write_b128 v16, v[4:7] offset:16
	s_waitcnt lgkmcnt(0)
	s_barrier
	s_and_saveexec_b64 s[22:23], vcc
	s_cbranch_execz .LBB263_357
; %bb.348:
	v_lshlrev_b32_e32 v8, 3, v20
	v_lshl_add_u32 v22, v14, 3, v8
	v_cndmask_b32_e64 v8, 0, 1, s[4:5]
	s_mov_b64 s[24:25], 0
	v_cmp_ne_u32_e64 s[0:1], 1, v8
	s_branch .LBB263_351
.LBB263_349:                            ;   in Loop: Header=BB263_351 Depth=1
	s_or_b64 exec, exec, s[28:29]
.LBB263_350:                            ;   in Loop: Header=BB263_351 Depth=1
	v_add_u32_e32 v8, 1, v23
	v_cndmask_b32_e64 v21, v21, v23, s[26:27]
	v_cndmask_b32_e64 v18, v8, v18, s[26:27]
	v_cmp_ge_u32_e32 vcc, v18, v21
	s_or_b64 s[24:25], vcc, s[24:25]
	s_andn2_b64 exec, exec, s[24:25]
	s_cbranch_execz .LBB263_356
.LBB263_351:                            ; =>This Loop Header: Depth=1
                                        ;     Child Loop BB263_354 Depth 2
	v_add_u32_e32 v8, v21, v18
	v_lshrrev_b32_e32 v23, 1, v8
	s_and_b64 vcc, exec, s[0:1]
	s_mov_b64 s[26:27], 0
	s_cbranch_vccnz .LBB263_350
; %bb.352:                              ;   in Loop: Header=BB263_351 Depth=1
	v_not_b32_e32 v8, v23
	v_lshl_add_u32 v8, v8, 3, v22
	ds_read_b64 v[8:9], v8
	v_lshl_add_u32 v24, v23, 3, v17
	ds_read_b64 v[24:25], v24
	v_pk_mov_b32 v[10:11], s[14:15], s[14:15] op_sel:[0,1]
	s_mov_b64 s[28:29], 0
	s_waitcnt lgkmcnt(1)
	v_mul_lo_u32 v37, v8, s13
	v_mul_lo_u32 v38, v9, s12
	v_mad_u64_u32 v[8:9], s[26:27], v8, s12, v[10:11]
	v_add3_u32 v9, v38, v9, v37
	s_waitcnt lgkmcnt(0)
	v_mul_lo_u32 v37, v24, s13
	v_mul_lo_u32 v25, v25, s12
	v_mad_u64_u32 v[10:11], s[26:27], v24, s12, v[10:11]
	v_add3_u32 v11, v25, v11, v37
	s_mov_b64 s[36:37], s[12:13]
                                        ; implicit-def: $sgpr26_sgpr27
                                        ; implicit-def: $sgpr30_sgpr31
                                        ; implicit-def: $sgpr34_sgpr35
                                        ; implicit-def: $sgpr38_sgpr39
                                        ; implicit-def: $sgpr40_sgpr41
	s_branch .LBB263_354
.LBB263_353:                            ;   in Loop: Header=BB263_354 Depth=2
	s_or_b64 exec, exec, s[42:43]
	s_and_b64 s[42:43], exec, s[30:31]
	s_or_b64 s[28:29], s[42:43], s[28:29]
	s_andn2_b64 s[40:41], s[40:41], exec
	s_and_b64 s[42:43], s[34:35], exec
	s_or_b64 s[40:41], s[40:41], s[42:43]
	s_andn2_b64 s[26:27], s[26:27], exec
	s_and_b64 s[42:43], s[38:39], exec
	s_or_b64 s[26:27], s[26:27], s[42:43]
	s_andn2_b64 exec, exec, s[28:29]
	s_cbranch_execz .LBB263_349
.LBB263_354:                            ;   Parent Loop BB263_351 Depth=1
                                        ; =>  This Inner Loop Header: Depth=2
	global_load_ubyte v24, v[8:9], off
	global_load_ubyte v25, v[10:11], off
	s_andn2_b64 s[38:39], s[38:39], exec
	s_andn2_b64 s[34:35], s[34:35], exec
	s_or_b64 s[30:31], s[30:31], exec
	s_waitcnt vmcnt(0)
	v_cmp_le_i16_sdwa s[44:45], sext(v24), sext(v25) src0_sel:BYTE_0 src1_sel:BYTE_0
	v_cmp_lt_i16_sdwa s[42:43], sext(v24), sext(v25) src0_sel:BYTE_0 src1_sel:BYTE_0
	s_and_b64 s[44:45], s[44:45], s[40:41]
	s_or_b64 s[44:45], s[42:43], s[44:45]
	s_and_b64 s[42:43], s[44:45], exec
	v_cmp_eq_u16_sdwa s[46:47], v24, v25 src0_sel:BYTE_0 src1_sel:BYTE_0
	s_or_b64 s[38:39], s[38:39], s[42:43]
	s_and_saveexec_b64 s[42:43], s[46:47]
	s_cbranch_execz .LBB263_353
; %bb.355:                              ;   in Loop: Header=BB263_354 Depth=2
	s_add_u32 s36, s36, -1
	s_addc_u32 s37, s37, -1
	v_add_co_u32_e32 v8, vcc, 1, v8
	s_cmp_eq_u64 s[36:37], 0
	v_addc_co_u32_e32 v9, vcc, 0, v9, vcc
	s_cselect_b64 s[40:41], -1, 0
	v_add_co_u32_e32 v10, vcc, 1, v10
	s_andn2_b64 s[34:35], s[34:35], exec
	s_and_b64 s[44:45], s[44:45], exec
	s_andn2_b64 s[30:31], s[30:31], exec
	s_and_b64 s[40:41], s[40:41], exec
	v_addc_co_u32_e32 v11, vcc, 0, v11, vcc
	s_andn2_b64 s[38:39], s[38:39], exec
	s_or_b64 s[34:35], s[34:35], s[44:45]
	s_or_b64 s[30:31], s[30:31], s[40:41]
                                        ; implicit-def: $sgpr40_sgpr41
	s_branch .LBB263_353
.LBB263_356:
	s_or_b64 exec, exec, s[24:25]
.LBB263_357:
	s_or_b64 exec, exec, s[22:23]
	v_sub_u32_e32 v8, v20, v18
	v_add_u32_e32 v19, v18, v19
	v_add_u32_e32 v20, v8, v14
	v_cmp_le_u32_e32 vcc, v19, v14
	v_cmp_le_u32_e64 s[0:1], v20, v15
	s_or_b64 s[0:1], vcc, s[0:1]
	s_and_saveexec_b64 s[22:23], s[0:1]
	s_cbranch_execz .LBB263_404
; %bb.358:
	v_cmp_ge_u32_e32 vcc, v19, v14
	v_cmp_lt_u32_e64 s[0:1], v19, v14
                                        ; implicit-def: $vgpr0_vgpr1
	s_and_saveexec_b64 s[24:25], s[0:1]
	s_cbranch_execz .LBB263_360
; %bb.359:
	v_lshl_add_u32 v0, v18, 3, v17
	ds_read_b64 v[0:1], v0
.LBB263_360:
	s_or_b64 exec, exec, s[24:25]
	v_cmp_ge_u32_e64 s[24:25], v20, v15
	v_cmp_lt_u32_e64 s[0:1], v20, v15
                                        ; implicit-def: $vgpr4_vgpr5
	s_and_saveexec_b64 s[26:27], s[0:1]
	s_cbranch_execz .LBB263_362
; %bb.361:
	v_lshlrev_b32_e32 v2, 3, v20
	ds_read_b64 v[4:5], v2
.LBB263_362:
	s_or_b64 exec, exec, s[26:27]
	s_or_b64 s[26:27], vcc, s[24:25]
	s_mov_b64 s[0:1], -1
	s_xor_b64 s[28:29], s[26:27], -1
	s_and_saveexec_b64 s[26:27], s[28:29]
	s_cbranch_execz .LBB263_371
; %bb.363:
	s_andn2_b64 vcc, exec, s[4:5]
	s_cbranch_vccnz .LBB263_369
; %bb.364:
	v_pk_mov_b32 v[6:7], s[14:15], s[14:15] op_sel:[0,1]
	s_waitcnt lgkmcnt(0)
	v_mad_u64_u32 v[2:3], s[28:29], v4, s12, v[6:7]
	v_mul_lo_u32 v8, v4, s13
	v_mul_lo_u32 v9, v5, s12
	v_add3_u32 v3, v9, v3, v8
	v_mad_u64_u32 v[6:7], s[28:29], v0, s12, v[6:7]
	v_mul_lo_u32 v8, v0, s13
	v_mul_lo_u32 v9, v1, s12
	v_add3_u32 v7, v9, v7, v8
	s_mov_b64 s[28:29], 0
	s_mov_b64 s[38:39], s[12:13]
                                        ; implicit-def: $sgpr30_sgpr31
                                        ; implicit-def: $sgpr34_sgpr35
                                        ; implicit-def: $sgpr40_sgpr41
                                        ; implicit-def: $sgpr36_sgpr37
                                        ; implicit-def: $sgpr42_sgpr43
	s_branch .LBB263_366
.LBB263_365:                            ;   in Loop: Header=BB263_366 Depth=1
	s_or_b64 exec, exec, s[44:45]
	s_and_b64 s[44:45], exec, s[34:35]
	s_or_b64 s[28:29], s[44:45], s[28:29]
	s_andn2_b64 s[42:43], s[42:43], exec
	s_and_b64 s[44:45], s[36:37], exec
	s_or_b64 s[42:43], s[42:43], s[44:45]
	s_andn2_b64 s[30:31], s[30:31], exec
	s_and_b64 s[44:45], s[40:41], exec
	s_or_b64 s[30:31], s[30:31], s[44:45]
	s_andn2_b64 exec, exec, s[28:29]
	s_cbranch_execz .LBB263_368
.LBB263_366:                            ; =>This Inner Loop Header: Depth=1
	global_load_ubyte v8, v[2:3], off
	global_load_ubyte v9, v[6:7], off
	s_andn2_b64 s[40:41], s[40:41], exec
	s_andn2_b64 s[36:37], s[36:37], exec
	s_or_b64 s[34:35], s[34:35], exec
	s_waitcnt vmcnt(0)
	v_cmp_le_i16_sdwa s[46:47], sext(v8), sext(v9) src0_sel:BYTE_0 src1_sel:BYTE_0
	v_cmp_lt_i16_sdwa s[44:45], sext(v8), sext(v9) src0_sel:BYTE_0 src1_sel:BYTE_0
	s_and_b64 s[46:47], s[46:47], s[42:43]
	s_or_b64 s[46:47], s[44:45], s[46:47]
	s_and_b64 s[44:45], s[46:47], exec
	v_cmp_eq_u16_sdwa s[48:49], v8, v9 src0_sel:BYTE_0 src1_sel:BYTE_0
	s_or_b64 s[40:41], s[40:41], s[44:45]
	s_and_saveexec_b64 s[44:45], s[48:49]
	s_cbranch_execz .LBB263_365
; %bb.367:                              ;   in Loop: Header=BB263_366 Depth=1
	s_add_u32 s38, s38, -1
	s_addc_u32 s39, s39, -1
	v_add_co_u32_e32 v2, vcc, 1, v2
	s_cmp_eq_u64 s[38:39], 0
	v_addc_co_u32_e32 v3, vcc, 0, v3, vcc
	s_cselect_b64 s[42:43], -1, 0
	v_add_co_u32_e32 v6, vcc, 1, v6
	s_andn2_b64 s[36:37], s[36:37], exec
	s_and_b64 s[46:47], s[46:47], exec
	s_andn2_b64 s[34:35], s[34:35], exec
	s_and_b64 s[42:43], s[42:43], exec
	v_addc_co_u32_e32 v7, vcc, 0, v7, vcc
	s_or_b64 s[36:37], s[36:37], s[46:47]
	s_andn2_b64 s[40:41], s[40:41], exec
	s_or_b64 s[34:35], s[34:35], s[42:43]
                                        ; implicit-def: $sgpr42_sgpr43
	s_branch .LBB263_365
.LBB263_368:
	s_or_b64 exec, exec, s[28:29]
	s_xor_b64 s[28:29], s[30:31], -1
	s_branch .LBB263_370
.LBB263_369:
	s_mov_b64 s[28:29], -1
.LBB263_370:
	s_andn2_b64 s[24:25], s[24:25], exec
	s_and_b64 s[28:29], s[28:29], exec
	s_or_b64 s[24:25], s[24:25], s[28:29]
.LBB263_371:
	s_or_b64 exec, exec, s[26:27]
	v_cndmask_b32_e64 v2, v20, v19, s[24:25]
	v_cndmask_b32_e64 v3, v15, v14, s[24:25]
	v_add_u32_e32 v6, 1, v2
	v_add_u32_e32 v2, -1, v3
	v_min_u32_e32 v2, v6, v2
	v_lshlrev_b32_e32 v2, 3, v2
	ds_read_b64 v[2:3], v2
	v_cndmask_b32_e64 v20, v6, v20, s[24:25]
	v_cndmask_b32_e64 v19, v19, v6, s[24:25]
	v_cmp_lt_u32_e32 vcc, v20, v15
	s_waitcnt lgkmcnt(0)
	v_cndmask_b32_e64 v8, v3, v5, s[24:25]
	v_cndmask_b32_e64 v9, v2, v4, s[24:25]
	;; [unrolled: 1-line block ×4, first 2 shown]
	s_and_saveexec_b64 s[26:27], vcc
	s_cbranch_execz .LBB263_382
; %bb.372:
	v_cmp_lt_u32_e32 vcc, v19, v14
	s_mov_b64 s[28:29], 0
	s_and_saveexec_b64 s[0:1], vcc
	s_cbranch_execz .LBB263_381
; %bb.373:
	s_andn2_b64 vcc, exec, s[4:5]
	s_cbranch_vccnz .LBB263_379
; %bb.374:
	v_pk_mov_b32 v[6:7], s[14:15], s[14:15] op_sel:[0,1]
	v_mad_u64_u32 v[2:3], s[28:29], v9, s12, v[6:7]
	v_mul_lo_u32 v17, v9, s13
	v_mul_lo_u32 v18, v8, s12
	v_add3_u32 v3, v18, v3, v17
	v_mad_u64_u32 v[6:7], s[28:29], v11, s12, v[6:7]
	v_mul_lo_u32 v17, v11, s13
	v_mul_lo_u32 v18, v10, s12
	v_add3_u32 v7, v18, v7, v17
	s_mov_b64 s[28:29], 0
	s_mov_b64 s[38:39], s[12:13]
                                        ; implicit-def: $sgpr30_sgpr31
                                        ; implicit-def: $sgpr34_sgpr35
                                        ; implicit-def: $sgpr40_sgpr41
                                        ; implicit-def: $sgpr36_sgpr37
                                        ; implicit-def: $sgpr42_sgpr43
	s_branch .LBB263_376
.LBB263_375:                            ;   in Loop: Header=BB263_376 Depth=1
	s_or_b64 exec, exec, s[44:45]
	s_and_b64 s[44:45], exec, s[34:35]
	s_or_b64 s[28:29], s[44:45], s[28:29]
	s_andn2_b64 s[42:43], s[42:43], exec
	s_and_b64 s[44:45], s[36:37], exec
	s_or_b64 s[42:43], s[42:43], s[44:45]
	s_andn2_b64 s[30:31], s[30:31], exec
	s_and_b64 s[44:45], s[40:41], exec
	s_or_b64 s[30:31], s[30:31], s[44:45]
	s_andn2_b64 exec, exec, s[28:29]
	s_cbranch_execz .LBB263_378
.LBB263_376:                            ; =>This Inner Loop Header: Depth=1
	global_load_ubyte v17, v[2:3], off
	global_load_ubyte v18, v[6:7], off
	s_andn2_b64 s[40:41], s[40:41], exec
	s_andn2_b64 s[36:37], s[36:37], exec
	s_or_b64 s[34:35], s[34:35], exec
	s_waitcnt vmcnt(0)
	v_cmp_le_i16_sdwa s[46:47], sext(v17), sext(v18) src0_sel:BYTE_0 src1_sel:BYTE_0
	v_cmp_lt_i16_sdwa s[44:45], sext(v17), sext(v18) src0_sel:BYTE_0 src1_sel:BYTE_0
	s_and_b64 s[46:47], s[46:47], s[42:43]
	s_or_b64 s[46:47], s[44:45], s[46:47]
	s_and_b64 s[44:45], s[46:47], exec
	v_cmp_eq_u16_sdwa s[48:49], v17, v18 src0_sel:BYTE_0 src1_sel:BYTE_0
	s_or_b64 s[40:41], s[40:41], s[44:45]
	s_and_saveexec_b64 s[44:45], s[48:49]
	s_cbranch_execz .LBB263_375
; %bb.377:                              ;   in Loop: Header=BB263_376 Depth=1
	s_add_u32 s38, s38, -1
	s_addc_u32 s39, s39, -1
	v_add_co_u32_e32 v2, vcc, 1, v2
	s_cmp_eq_u64 s[38:39], 0
	v_addc_co_u32_e32 v3, vcc, 0, v3, vcc
	s_cselect_b64 s[42:43], -1, 0
	v_add_co_u32_e32 v6, vcc, 1, v6
	s_andn2_b64 s[36:37], s[36:37], exec
	s_and_b64 s[46:47], s[46:47], exec
	s_andn2_b64 s[34:35], s[34:35], exec
	s_and_b64 s[42:43], s[42:43], exec
	v_addc_co_u32_e32 v7, vcc, 0, v7, vcc
	s_or_b64 s[36:37], s[36:37], s[46:47]
	s_andn2_b64 s[40:41], s[40:41], exec
	s_or_b64 s[34:35], s[34:35], s[42:43]
                                        ; implicit-def: $sgpr42_sgpr43
	s_branch .LBB263_375
.LBB263_378:
	s_or_b64 exec, exec, s[28:29]
	s_xor_b64 s[28:29], s[30:31], -1
	s_branch .LBB263_380
.LBB263_379:
	s_mov_b64 s[28:29], -1
.LBB263_380:
	s_and_b64 s[28:29], s[28:29], exec
.LBB263_381:
	s_or_b64 exec, exec, s[0:1]
	s_orn2_b64 s[0:1], s[28:29], exec
.LBB263_382:
	s_or_b64 exec, exec, s[26:27]
	v_cndmask_b32_e64 v2, v20, v19, s[0:1]
	v_cndmask_b32_e64 v3, v15, v14, s[0:1]
	v_add_u32_e32 v6, 1, v2
	v_add_u32_e32 v2, -1, v3
	v_min_u32_e32 v2, v6, v2
	v_lshlrev_b32_e32 v2, 3, v2
	ds_read_b64 v[2:3], v2
	v_cndmask_b32_e64 v20, v6, v20, s[0:1]
	v_cndmask_b32_e64 v19, v19, v6, s[0:1]
	v_cmp_lt_u32_e32 vcc, v20, v15
	s_mov_b64 s[28:29], -1
	s_waitcnt lgkmcnt(0)
	v_cndmask_b32_e64 v17, v3, v8, s[0:1]
	v_cndmask_b32_e64 v18, v2, v9, s[0:1]
	;; [unrolled: 1-line block ×4, first 2 shown]
	s_and_saveexec_b64 s[26:27], vcc
	s_cbranch_execz .LBB263_393
; %bb.383:
	v_cmp_lt_u32_e32 vcc, v19, v14
	s_mov_b64 s[30:31], 0
	s_and_saveexec_b64 s[28:29], vcc
	s_cbranch_execz .LBB263_392
; %bb.384:
	s_andn2_b64 vcc, exec, s[4:5]
	s_cbranch_vccnz .LBB263_390
; %bb.385:
	v_pk_mov_b32 v[6:7], s[14:15], s[14:15] op_sel:[0,1]
	v_mad_u64_u32 v[2:3], s[30:31], v18, s12, v[6:7]
	v_mul_lo_u32 v23, v18, s13
	v_mul_lo_u32 v24, v17, s12
	v_add3_u32 v3, v24, v3, v23
	v_mad_u64_u32 v[6:7], s[30:31], v22, s12, v[6:7]
	v_mul_lo_u32 v23, v22, s13
	v_mul_lo_u32 v24, v21, s12
	v_add3_u32 v7, v24, v7, v23
	s_mov_b64 s[30:31], 0
	s_mov_b64 s[40:41], s[12:13]
                                        ; implicit-def: $sgpr34_sgpr35
                                        ; implicit-def: $sgpr36_sgpr37
                                        ; implicit-def: $sgpr42_sgpr43
                                        ; implicit-def: $sgpr38_sgpr39
                                        ; implicit-def: $sgpr44_sgpr45
	s_branch .LBB263_387
.LBB263_386:                            ;   in Loop: Header=BB263_387 Depth=1
	s_or_b64 exec, exec, s[46:47]
	s_and_b64 s[46:47], exec, s[36:37]
	s_or_b64 s[30:31], s[46:47], s[30:31]
	s_andn2_b64 s[44:45], s[44:45], exec
	s_and_b64 s[46:47], s[38:39], exec
	s_or_b64 s[44:45], s[44:45], s[46:47]
	s_andn2_b64 s[34:35], s[34:35], exec
	s_and_b64 s[46:47], s[42:43], exec
	s_or_b64 s[34:35], s[34:35], s[46:47]
	s_andn2_b64 exec, exec, s[30:31]
	s_cbranch_execz .LBB263_389
.LBB263_387:                            ; =>This Inner Loop Header: Depth=1
	global_load_ubyte v23, v[2:3], off
	global_load_ubyte v24, v[6:7], off
	s_andn2_b64 s[42:43], s[42:43], exec
	s_andn2_b64 s[38:39], s[38:39], exec
	s_or_b64 s[36:37], s[36:37], exec
	s_waitcnt vmcnt(0)
	v_cmp_le_i16_sdwa s[48:49], sext(v23), sext(v24) src0_sel:BYTE_0 src1_sel:BYTE_0
	v_cmp_lt_i16_sdwa s[46:47], sext(v23), sext(v24) src0_sel:BYTE_0 src1_sel:BYTE_0
	s_and_b64 s[48:49], s[48:49], s[44:45]
	s_or_b64 s[48:49], s[46:47], s[48:49]
	s_and_b64 s[46:47], s[48:49], exec
	v_cmp_eq_u16_sdwa s[50:51], v23, v24 src0_sel:BYTE_0 src1_sel:BYTE_0
	s_or_b64 s[42:43], s[42:43], s[46:47]
	s_and_saveexec_b64 s[46:47], s[50:51]
	s_cbranch_execz .LBB263_386
; %bb.388:                              ;   in Loop: Header=BB263_387 Depth=1
	s_add_u32 s40, s40, -1
	s_addc_u32 s41, s41, -1
	v_add_co_u32_e32 v2, vcc, 1, v2
	s_cmp_eq_u64 s[40:41], 0
	v_addc_co_u32_e32 v3, vcc, 0, v3, vcc
	s_cselect_b64 s[44:45], -1, 0
	v_add_co_u32_e32 v6, vcc, 1, v6
	s_andn2_b64 s[38:39], s[38:39], exec
	s_and_b64 s[48:49], s[48:49], exec
	s_andn2_b64 s[36:37], s[36:37], exec
	s_and_b64 s[44:45], s[44:45], exec
	v_addc_co_u32_e32 v7, vcc, 0, v7, vcc
	s_or_b64 s[38:39], s[38:39], s[48:49]
	s_andn2_b64 s[42:43], s[42:43], exec
	s_or_b64 s[36:37], s[36:37], s[44:45]
                                        ; implicit-def: $sgpr44_sgpr45
	s_branch .LBB263_386
.LBB263_389:
	s_or_b64 exec, exec, s[30:31]
	s_xor_b64 s[30:31], s[34:35], -1
	s_branch .LBB263_391
.LBB263_390:
	s_mov_b64 s[30:31], -1
.LBB263_391:
	s_and_b64 s[30:31], s[30:31], exec
.LBB263_392:
	s_or_b64 exec, exec, s[28:29]
	s_orn2_b64 s[28:29], s[30:31], exec
.LBB263_393:
	s_or_b64 exec, exec, s[26:27]
	v_cndmask_b32_e64 v6, v20, v19, s[28:29]
	v_cndmask_b32_e64 v7, v15, v14, s[28:29]
	v_cndmask_b32_e64 v3, v8, v10, s[0:1]
	v_add_u32_e32 v10, 1, v6
	v_add_u32_e32 v6, -1, v7
	v_min_u32_e32 v6, v10, v6
	v_lshlrev_b32_e32 v6, 3, v6
	v_cndmask_b32_e64 v2, v9, v11, s[0:1]
	ds_read_b64 v[8:9], v6
	v_cndmask_b32_e64 v11, v10, v20, s[28:29]
	v_cndmask_b32_e64 v1, v5, v1, s[24:25]
	v_cndmask_b32_e64 v0, v4, v0, s[24:25]
	v_cndmask_b32_e64 v5, v17, v21, s[28:29]
	v_cndmask_b32_e64 v4, v18, v22, s[28:29]
	s_waitcnt lgkmcnt(0)
	v_cndmask_b32_e64 v7, v21, v9, s[28:29]
	v_cndmask_b32_e64 v6, v22, v8, s[28:29]
	v_cmp_lt_u32_e32 vcc, v11, v15
	s_and_saveexec_b64 s[0:1], vcc
	s_cbranch_execz .LBB263_403
; %bb.394:
	v_cndmask_b32_e64 v10, v19, v10, s[28:29]
	v_cndmask_b32_e64 v9, v9, v17, s[28:29]
	;; [unrolled: 1-line block ×3, first 2 shown]
	v_cmp_lt_u32_e32 vcc, v10, v14
	s_and_saveexec_b64 s[24:25], vcc
	s_cbranch_execz .LBB263_402
; %bb.395:
	s_andn2_b64 vcc, exec, s[4:5]
	s_cbranch_vccnz .LBB263_401
; %bb.396:
	v_pk_mov_b32 v[14:15], s[14:15], s[14:15] op_sel:[0,1]
	v_mad_u64_u32 v[10:11], s[26:27], v8, s12, v[14:15]
	v_mul_lo_u32 v17, v8, s13
	v_mul_lo_u32 v18, v9, s12
	v_add3_u32 v11, v18, v11, v17
	v_mad_u64_u32 v[14:15], s[26:27], v6, s12, v[14:15]
	v_mul_lo_u32 v17, v6, s13
	v_mul_lo_u32 v18, v7, s12
	v_add3_u32 v15, v18, v15, v17
	s_mov_b64 s[26:27], 0
	s_mov_b64 s[36:37], s[12:13]
                                        ; implicit-def: $sgpr28_sgpr29
                                        ; implicit-def: $sgpr30_sgpr31
                                        ; implicit-def: $sgpr38_sgpr39
                                        ; implicit-def: $sgpr34_sgpr35
                                        ; implicit-def: $sgpr40_sgpr41
	s_branch .LBB263_398
.LBB263_397:                            ;   in Loop: Header=BB263_398 Depth=1
	s_or_b64 exec, exec, s[42:43]
	s_and_b64 s[42:43], exec, s[30:31]
	s_or_b64 s[26:27], s[42:43], s[26:27]
	s_andn2_b64 s[40:41], s[40:41], exec
	s_and_b64 s[42:43], s[34:35], exec
	s_or_b64 s[40:41], s[40:41], s[42:43]
	s_andn2_b64 s[28:29], s[28:29], exec
	s_and_b64 s[42:43], s[38:39], exec
	s_or_b64 s[28:29], s[28:29], s[42:43]
	s_andn2_b64 exec, exec, s[26:27]
	s_cbranch_execz .LBB263_400
.LBB263_398:                            ; =>This Inner Loop Header: Depth=1
	global_load_ubyte v17, v[10:11], off
	global_load_ubyte v18, v[14:15], off
	s_andn2_b64 s[38:39], s[38:39], exec
	s_andn2_b64 s[34:35], s[34:35], exec
	s_or_b64 s[30:31], s[30:31], exec
	s_waitcnt vmcnt(0)
	v_cmp_le_i16_sdwa s[44:45], sext(v17), sext(v18) src0_sel:BYTE_0 src1_sel:BYTE_0
	v_cmp_lt_i16_sdwa s[42:43], sext(v17), sext(v18) src0_sel:BYTE_0 src1_sel:BYTE_0
	s_and_b64 s[44:45], s[44:45], s[40:41]
	s_or_b64 s[44:45], s[42:43], s[44:45]
	s_and_b64 s[42:43], s[44:45], exec
	v_cmp_eq_u16_sdwa s[46:47], v17, v18 src0_sel:BYTE_0 src1_sel:BYTE_0
	s_or_b64 s[38:39], s[38:39], s[42:43]
	s_and_saveexec_b64 s[42:43], s[46:47]
	s_cbranch_execz .LBB263_397
; %bb.399:                              ;   in Loop: Header=BB263_398 Depth=1
	s_add_u32 s36, s36, -1
	s_addc_u32 s37, s37, -1
	v_add_co_u32_e32 v10, vcc, 1, v10
	s_cmp_eq_u64 s[36:37], 0
	v_addc_co_u32_e32 v11, vcc, 0, v11, vcc
	s_cselect_b64 s[40:41], -1, 0
	v_add_co_u32_e32 v14, vcc, 1, v14
	s_andn2_b64 s[34:35], s[34:35], exec
	s_and_b64 s[44:45], s[44:45], exec
	s_andn2_b64 s[30:31], s[30:31], exec
	s_and_b64 s[40:41], s[40:41], exec
	v_addc_co_u32_e32 v15, vcc, 0, v15, vcc
	s_or_b64 s[34:35], s[34:35], s[44:45]
	s_andn2_b64 s[38:39], s[38:39], exec
	s_or_b64 s[30:31], s[30:31], s[40:41]
                                        ; implicit-def: $sgpr40_sgpr41
	s_branch .LBB263_397
.LBB263_400:
	s_or_b64 exec, exec, s[26:27]
	v_cndmask_b32_e64 v7, v7, v9, s[28:29]
	v_cndmask_b32_e64 v6, v6, v8, s[28:29]
.LBB263_401:
	v_pk_mov_b32 v[8:9], v[6:7], v[6:7] op_sel:[0,1]
.LBB263_402:
	s_or_b64 exec, exec, s[24:25]
	v_pk_mov_b32 v[6:7], v[8:9], v[8:9] op_sel:[0,1]
.LBB263_403:
	s_or_b64 exec, exec, s[0:1]
.LBB263_404:
	s_or_b64 exec, exec, s[22:23]
	v_and_b32_e32 v19, 0xe00, v27
	v_or_b32_e32 v8, 0x100, v19
	v_min_u32_e32 v14, 0x400, v8
	v_min_u32_e32 v8, 0x300, v8
	v_add_u32_e32 v15, 0x100, v8
	v_and_b32_e32 v20, 0x1fc, v27
	v_sub_u32_e32 v8, v14, v19
	v_sub_u32_e32 v9, v15, v14
	v_sub_u32_e64 v18, v20, v9 clamp
	v_min_u32_e32 v21, v20, v8
	v_lshlrev_b32_e32 v17, 3, v19
	v_cmp_lt_u32_e32 vcc, v18, v21
	s_barrier
	ds_write_b128 v16, v[0:3]
	ds_write_b128 v16, v[4:7] offset:16
	s_waitcnt lgkmcnt(0)
	s_barrier
	s_and_saveexec_b64 s[22:23], vcc
	s_cbranch_execz .LBB263_414
; %bb.405:
	v_lshlrev_b32_e32 v8, 3, v20
	v_lshl_add_u32 v22, v14, 3, v8
	v_cndmask_b32_e64 v8, 0, 1, s[4:5]
	s_mov_b64 s[24:25], 0
	v_cmp_ne_u32_e64 s[0:1], 1, v8
	s_branch .LBB263_408
.LBB263_406:                            ;   in Loop: Header=BB263_408 Depth=1
	s_or_b64 exec, exec, s[28:29]
.LBB263_407:                            ;   in Loop: Header=BB263_408 Depth=1
	v_add_u32_e32 v8, 1, v23
	v_cndmask_b32_e64 v21, v21, v23, s[26:27]
	v_cndmask_b32_e64 v18, v8, v18, s[26:27]
	v_cmp_ge_u32_e32 vcc, v18, v21
	s_or_b64 s[24:25], vcc, s[24:25]
	s_andn2_b64 exec, exec, s[24:25]
	s_cbranch_execz .LBB263_413
.LBB263_408:                            ; =>This Loop Header: Depth=1
                                        ;     Child Loop BB263_411 Depth 2
	v_add_u32_e32 v8, v21, v18
	v_lshrrev_b32_e32 v23, 1, v8
	s_and_b64 vcc, exec, s[0:1]
	s_mov_b64 s[26:27], 0
	s_cbranch_vccnz .LBB263_407
; %bb.409:                              ;   in Loop: Header=BB263_408 Depth=1
	v_not_b32_e32 v8, v23
	v_lshl_add_u32 v8, v8, 3, v22
	ds_read_b64 v[8:9], v8
	v_lshl_add_u32 v24, v23, 3, v17
	ds_read_b64 v[24:25], v24
	v_pk_mov_b32 v[10:11], s[14:15], s[14:15] op_sel:[0,1]
	s_mov_b64 s[28:29], 0
	s_waitcnt lgkmcnt(1)
	v_mul_lo_u32 v37, v8, s13
	v_mul_lo_u32 v38, v9, s12
	v_mad_u64_u32 v[8:9], s[26:27], v8, s12, v[10:11]
	v_add3_u32 v9, v38, v9, v37
	s_waitcnt lgkmcnt(0)
	v_mul_lo_u32 v37, v24, s13
	v_mul_lo_u32 v25, v25, s12
	v_mad_u64_u32 v[10:11], s[26:27], v24, s12, v[10:11]
	v_add3_u32 v11, v25, v11, v37
	s_mov_b64 s[36:37], s[12:13]
                                        ; implicit-def: $sgpr26_sgpr27
                                        ; implicit-def: $sgpr30_sgpr31
                                        ; implicit-def: $sgpr34_sgpr35
                                        ; implicit-def: $sgpr38_sgpr39
                                        ; implicit-def: $sgpr40_sgpr41
	s_branch .LBB263_411
.LBB263_410:                            ;   in Loop: Header=BB263_411 Depth=2
	s_or_b64 exec, exec, s[42:43]
	s_and_b64 s[42:43], exec, s[30:31]
	s_or_b64 s[28:29], s[42:43], s[28:29]
	s_andn2_b64 s[40:41], s[40:41], exec
	s_and_b64 s[42:43], s[34:35], exec
	s_or_b64 s[40:41], s[40:41], s[42:43]
	s_andn2_b64 s[26:27], s[26:27], exec
	s_and_b64 s[42:43], s[38:39], exec
	s_or_b64 s[26:27], s[26:27], s[42:43]
	s_andn2_b64 exec, exec, s[28:29]
	s_cbranch_execz .LBB263_406
.LBB263_411:                            ;   Parent Loop BB263_408 Depth=1
                                        ; =>  This Inner Loop Header: Depth=2
	global_load_ubyte v24, v[8:9], off
	global_load_ubyte v25, v[10:11], off
	s_andn2_b64 s[38:39], s[38:39], exec
	s_andn2_b64 s[34:35], s[34:35], exec
	s_or_b64 s[30:31], s[30:31], exec
	s_waitcnt vmcnt(0)
	v_cmp_le_i16_sdwa s[44:45], sext(v24), sext(v25) src0_sel:BYTE_0 src1_sel:BYTE_0
	v_cmp_lt_i16_sdwa s[42:43], sext(v24), sext(v25) src0_sel:BYTE_0 src1_sel:BYTE_0
	s_and_b64 s[44:45], s[44:45], s[40:41]
	s_or_b64 s[44:45], s[42:43], s[44:45]
	s_and_b64 s[42:43], s[44:45], exec
	v_cmp_eq_u16_sdwa s[46:47], v24, v25 src0_sel:BYTE_0 src1_sel:BYTE_0
	s_or_b64 s[38:39], s[38:39], s[42:43]
	s_and_saveexec_b64 s[42:43], s[46:47]
	s_cbranch_execz .LBB263_410
; %bb.412:                              ;   in Loop: Header=BB263_411 Depth=2
	s_add_u32 s36, s36, -1
	s_addc_u32 s37, s37, -1
	v_add_co_u32_e32 v8, vcc, 1, v8
	s_cmp_eq_u64 s[36:37], 0
	v_addc_co_u32_e32 v9, vcc, 0, v9, vcc
	s_cselect_b64 s[40:41], -1, 0
	v_add_co_u32_e32 v10, vcc, 1, v10
	s_andn2_b64 s[34:35], s[34:35], exec
	s_and_b64 s[44:45], s[44:45], exec
	s_andn2_b64 s[30:31], s[30:31], exec
	s_and_b64 s[40:41], s[40:41], exec
	v_addc_co_u32_e32 v11, vcc, 0, v11, vcc
	s_andn2_b64 s[38:39], s[38:39], exec
	s_or_b64 s[34:35], s[34:35], s[44:45]
	s_or_b64 s[30:31], s[30:31], s[40:41]
                                        ; implicit-def: $sgpr40_sgpr41
	s_branch .LBB263_410
.LBB263_413:
	s_or_b64 exec, exec, s[24:25]
.LBB263_414:
	s_or_b64 exec, exec, s[22:23]
	v_sub_u32_e32 v8, v20, v18
	v_add_u32_e32 v19, v18, v19
	v_add_u32_e32 v20, v8, v14
	v_cmp_le_u32_e32 vcc, v19, v14
	v_cmp_le_u32_e64 s[0:1], v20, v15
	s_or_b64 s[0:1], vcc, s[0:1]
	s_and_saveexec_b64 s[22:23], s[0:1]
	s_cbranch_execz .LBB263_461
; %bb.415:
	v_cmp_ge_u32_e32 vcc, v19, v14
	v_cmp_lt_u32_e64 s[0:1], v19, v14
                                        ; implicit-def: $vgpr0_vgpr1
	s_and_saveexec_b64 s[24:25], s[0:1]
	s_cbranch_execz .LBB263_417
; %bb.416:
	v_lshl_add_u32 v0, v18, 3, v17
	ds_read_b64 v[0:1], v0
.LBB263_417:
	s_or_b64 exec, exec, s[24:25]
	v_cmp_ge_u32_e64 s[24:25], v20, v15
	v_cmp_lt_u32_e64 s[0:1], v20, v15
                                        ; implicit-def: $vgpr4_vgpr5
	s_and_saveexec_b64 s[26:27], s[0:1]
	s_cbranch_execz .LBB263_419
; %bb.418:
	v_lshlrev_b32_e32 v2, 3, v20
	ds_read_b64 v[4:5], v2
.LBB263_419:
	s_or_b64 exec, exec, s[26:27]
	s_or_b64 s[26:27], vcc, s[24:25]
	s_mov_b64 s[0:1], -1
	s_xor_b64 s[28:29], s[26:27], -1
	s_and_saveexec_b64 s[26:27], s[28:29]
	s_cbranch_execz .LBB263_428
; %bb.420:
	s_andn2_b64 vcc, exec, s[4:5]
	s_cbranch_vccnz .LBB263_426
; %bb.421:
	v_pk_mov_b32 v[6:7], s[14:15], s[14:15] op_sel:[0,1]
	s_waitcnt lgkmcnt(0)
	v_mad_u64_u32 v[2:3], s[28:29], v4, s12, v[6:7]
	v_mul_lo_u32 v8, v4, s13
	v_mul_lo_u32 v9, v5, s12
	v_add3_u32 v3, v9, v3, v8
	v_mad_u64_u32 v[6:7], s[28:29], v0, s12, v[6:7]
	v_mul_lo_u32 v8, v0, s13
	v_mul_lo_u32 v9, v1, s12
	v_add3_u32 v7, v9, v7, v8
	s_mov_b64 s[28:29], 0
	s_mov_b64 s[38:39], s[12:13]
                                        ; implicit-def: $sgpr30_sgpr31
                                        ; implicit-def: $sgpr34_sgpr35
                                        ; implicit-def: $sgpr40_sgpr41
                                        ; implicit-def: $sgpr36_sgpr37
                                        ; implicit-def: $sgpr42_sgpr43
	s_branch .LBB263_423
.LBB263_422:                            ;   in Loop: Header=BB263_423 Depth=1
	s_or_b64 exec, exec, s[44:45]
	s_and_b64 s[44:45], exec, s[34:35]
	s_or_b64 s[28:29], s[44:45], s[28:29]
	s_andn2_b64 s[42:43], s[42:43], exec
	s_and_b64 s[44:45], s[36:37], exec
	s_or_b64 s[42:43], s[42:43], s[44:45]
	s_andn2_b64 s[30:31], s[30:31], exec
	s_and_b64 s[44:45], s[40:41], exec
	s_or_b64 s[30:31], s[30:31], s[44:45]
	s_andn2_b64 exec, exec, s[28:29]
	s_cbranch_execz .LBB263_425
.LBB263_423:                            ; =>This Inner Loop Header: Depth=1
	global_load_ubyte v8, v[2:3], off
	global_load_ubyte v9, v[6:7], off
	s_andn2_b64 s[40:41], s[40:41], exec
	s_andn2_b64 s[36:37], s[36:37], exec
	s_or_b64 s[34:35], s[34:35], exec
	s_waitcnt vmcnt(0)
	v_cmp_le_i16_sdwa s[46:47], sext(v8), sext(v9) src0_sel:BYTE_0 src1_sel:BYTE_0
	v_cmp_lt_i16_sdwa s[44:45], sext(v8), sext(v9) src0_sel:BYTE_0 src1_sel:BYTE_0
	s_and_b64 s[46:47], s[46:47], s[42:43]
	s_or_b64 s[46:47], s[44:45], s[46:47]
	s_and_b64 s[44:45], s[46:47], exec
	v_cmp_eq_u16_sdwa s[48:49], v8, v9 src0_sel:BYTE_0 src1_sel:BYTE_0
	s_or_b64 s[40:41], s[40:41], s[44:45]
	s_and_saveexec_b64 s[44:45], s[48:49]
	s_cbranch_execz .LBB263_422
; %bb.424:                              ;   in Loop: Header=BB263_423 Depth=1
	s_add_u32 s38, s38, -1
	s_addc_u32 s39, s39, -1
	v_add_co_u32_e32 v2, vcc, 1, v2
	s_cmp_eq_u64 s[38:39], 0
	v_addc_co_u32_e32 v3, vcc, 0, v3, vcc
	s_cselect_b64 s[42:43], -1, 0
	v_add_co_u32_e32 v6, vcc, 1, v6
	s_andn2_b64 s[36:37], s[36:37], exec
	s_and_b64 s[46:47], s[46:47], exec
	s_andn2_b64 s[34:35], s[34:35], exec
	s_and_b64 s[42:43], s[42:43], exec
	v_addc_co_u32_e32 v7, vcc, 0, v7, vcc
	s_or_b64 s[36:37], s[36:37], s[46:47]
	s_andn2_b64 s[40:41], s[40:41], exec
	s_or_b64 s[34:35], s[34:35], s[42:43]
                                        ; implicit-def: $sgpr42_sgpr43
	s_branch .LBB263_422
.LBB263_425:
	s_or_b64 exec, exec, s[28:29]
	s_xor_b64 s[28:29], s[30:31], -1
	s_branch .LBB263_427
.LBB263_426:
	s_mov_b64 s[28:29], -1
.LBB263_427:
	s_andn2_b64 s[24:25], s[24:25], exec
	s_and_b64 s[28:29], s[28:29], exec
	s_or_b64 s[24:25], s[24:25], s[28:29]
.LBB263_428:
	s_or_b64 exec, exec, s[26:27]
	v_cndmask_b32_e64 v2, v20, v19, s[24:25]
	v_cndmask_b32_e64 v3, v15, v14, s[24:25]
	v_add_u32_e32 v6, 1, v2
	v_add_u32_e32 v2, -1, v3
	v_min_u32_e32 v2, v6, v2
	v_lshlrev_b32_e32 v2, 3, v2
	ds_read_b64 v[2:3], v2
	v_cndmask_b32_e64 v20, v6, v20, s[24:25]
	v_cndmask_b32_e64 v19, v19, v6, s[24:25]
	v_cmp_lt_u32_e32 vcc, v20, v15
	s_waitcnt lgkmcnt(0)
	v_cndmask_b32_e64 v8, v3, v5, s[24:25]
	v_cndmask_b32_e64 v9, v2, v4, s[24:25]
	;; [unrolled: 1-line block ×4, first 2 shown]
	s_and_saveexec_b64 s[26:27], vcc
	s_cbranch_execz .LBB263_439
; %bb.429:
	v_cmp_lt_u32_e32 vcc, v19, v14
	s_mov_b64 s[28:29], 0
	s_and_saveexec_b64 s[0:1], vcc
	s_cbranch_execz .LBB263_438
; %bb.430:
	s_andn2_b64 vcc, exec, s[4:5]
	s_cbranch_vccnz .LBB263_436
; %bb.431:
	v_pk_mov_b32 v[6:7], s[14:15], s[14:15] op_sel:[0,1]
	v_mad_u64_u32 v[2:3], s[28:29], v9, s12, v[6:7]
	v_mul_lo_u32 v17, v9, s13
	v_mul_lo_u32 v18, v8, s12
	v_add3_u32 v3, v18, v3, v17
	v_mad_u64_u32 v[6:7], s[28:29], v11, s12, v[6:7]
	v_mul_lo_u32 v17, v11, s13
	v_mul_lo_u32 v18, v10, s12
	v_add3_u32 v7, v18, v7, v17
	s_mov_b64 s[28:29], 0
	s_mov_b64 s[38:39], s[12:13]
                                        ; implicit-def: $sgpr30_sgpr31
                                        ; implicit-def: $sgpr34_sgpr35
                                        ; implicit-def: $sgpr40_sgpr41
                                        ; implicit-def: $sgpr36_sgpr37
                                        ; implicit-def: $sgpr42_sgpr43
	s_branch .LBB263_433
.LBB263_432:                            ;   in Loop: Header=BB263_433 Depth=1
	s_or_b64 exec, exec, s[44:45]
	s_and_b64 s[44:45], exec, s[34:35]
	s_or_b64 s[28:29], s[44:45], s[28:29]
	s_andn2_b64 s[42:43], s[42:43], exec
	s_and_b64 s[44:45], s[36:37], exec
	s_or_b64 s[42:43], s[42:43], s[44:45]
	s_andn2_b64 s[30:31], s[30:31], exec
	s_and_b64 s[44:45], s[40:41], exec
	s_or_b64 s[30:31], s[30:31], s[44:45]
	s_andn2_b64 exec, exec, s[28:29]
	s_cbranch_execz .LBB263_435
.LBB263_433:                            ; =>This Inner Loop Header: Depth=1
	global_load_ubyte v17, v[2:3], off
	global_load_ubyte v18, v[6:7], off
	s_andn2_b64 s[40:41], s[40:41], exec
	s_andn2_b64 s[36:37], s[36:37], exec
	s_or_b64 s[34:35], s[34:35], exec
	s_waitcnt vmcnt(0)
	v_cmp_le_i16_sdwa s[46:47], sext(v17), sext(v18) src0_sel:BYTE_0 src1_sel:BYTE_0
	v_cmp_lt_i16_sdwa s[44:45], sext(v17), sext(v18) src0_sel:BYTE_0 src1_sel:BYTE_0
	s_and_b64 s[46:47], s[46:47], s[42:43]
	s_or_b64 s[46:47], s[44:45], s[46:47]
	s_and_b64 s[44:45], s[46:47], exec
	v_cmp_eq_u16_sdwa s[48:49], v17, v18 src0_sel:BYTE_0 src1_sel:BYTE_0
	s_or_b64 s[40:41], s[40:41], s[44:45]
	s_and_saveexec_b64 s[44:45], s[48:49]
	s_cbranch_execz .LBB263_432
; %bb.434:                              ;   in Loop: Header=BB263_433 Depth=1
	s_add_u32 s38, s38, -1
	s_addc_u32 s39, s39, -1
	v_add_co_u32_e32 v2, vcc, 1, v2
	s_cmp_eq_u64 s[38:39], 0
	v_addc_co_u32_e32 v3, vcc, 0, v3, vcc
	s_cselect_b64 s[42:43], -1, 0
	v_add_co_u32_e32 v6, vcc, 1, v6
	s_andn2_b64 s[36:37], s[36:37], exec
	s_and_b64 s[46:47], s[46:47], exec
	s_andn2_b64 s[34:35], s[34:35], exec
	s_and_b64 s[42:43], s[42:43], exec
	v_addc_co_u32_e32 v7, vcc, 0, v7, vcc
	s_or_b64 s[36:37], s[36:37], s[46:47]
	s_andn2_b64 s[40:41], s[40:41], exec
	s_or_b64 s[34:35], s[34:35], s[42:43]
                                        ; implicit-def: $sgpr42_sgpr43
	s_branch .LBB263_432
.LBB263_435:
	s_or_b64 exec, exec, s[28:29]
	s_xor_b64 s[28:29], s[30:31], -1
	s_branch .LBB263_437
.LBB263_436:
	s_mov_b64 s[28:29], -1
.LBB263_437:
	s_and_b64 s[28:29], s[28:29], exec
.LBB263_438:
	s_or_b64 exec, exec, s[0:1]
	s_orn2_b64 s[0:1], s[28:29], exec
.LBB263_439:
	s_or_b64 exec, exec, s[26:27]
	v_cndmask_b32_e64 v2, v20, v19, s[0:1]
	v_cndmask_b32_e64 v3, v15, v14, s[0:1]
	v_add_u32_e32 v6, 1, v2
	v_add_u32_e32 v2, -1, v3
	v_min_u32_e32 v2, v6, v2
	v_lshlrev_b32_e32 v2, 3, v2
	ds_read_b64 v[2:3], v2
	v_cndmask_b32_e64 v20, v6, v20, s[0:1]
	v_cndmask_b32_e64 v19, v19, v6, s[0:1]
	v_cmp_lt_u32_e32 vcc, v20, v15
	s_mov_b64 s[28:29], -1
	s_waitcnt lgkmcnt(0)
	v_cndmask_b32_e64 v17, v3, v8, s[0:1]
	v_cndmask_b32_e64 v18, v2, v9, s[0:1]
	;; [unrolled: 1-line block ×4, first 2 shown]
	s_and_saveexec_b64 s[26:27], vcc
	s_cbranch_execz .LBB263_450
; %bb.440:
	v_cmp_lt_u32_e32 vcc, v19, v14
	s_mov_b64 s[30:31], 0
	s_and_saveexec_b64 s[28:29], vcc
	s_cbranch_execz .LBB263_449
; %bb.441:
	s_andn2_b64 vcc, exec, s[4:5]
	s_cbranch_vccnz .LBB263_447
; %bb.442:
	v_pk_mov_b32 v[6:7], s[14:15], s[14:15] op_sel:[0,1]
	v_mad_u64_u32 v[2:3], s[30:31], v18, s12, v[6:7]
	v_mul_lo_u32 v23, v18, s13
	v_mul_lo_u32 v24, v17, s12
	v_add3_u32 v3, v24, v3, v23
	v_mad_u64_u32 v[6:7], s[30:31], v22, s12, v[6:7]
	v_mul_lo_u32 v23, v22, s13
	v_mul_lo_u32 v24, v21, s12
	v_add3_u32 v7, v24, v7, v23
	s_mov_b64 s[30:31], 0
	s_mov_b64 s[40:41], s[12:13]
                                        ; implicit-def: $sgpr34_sgpr35
                                        ; implicit-def: $sgpr36_sgpr37
                                        ; implicit-def: $sgpr42_sgpr43
                                        ; implicit-def: $sgpr38_sgpr39
                                        ; implicit-def: $sgpr44_sgpr45
	s_branch .LBB263_444
.LBB263_443:                            ;   in Loop: Header=BB263_444 Depth=1
	s_or_b64 exec, exec, s[46:47]
	s_and_b64 s[46:47], exec, s[36:37]
	s_or_b64 s[30:31], s[46:47], s[30:31]
	s_andn2_b64 s[44:45], s[44:45], exec
	s_and_b64 s[46:47], s[38:39], exec
	s_or_b64 s[44:45], s[44:45], s[46:47]
	s_andn2_b64 s[34:35], s[34:35], exec
	s_and_b64 s[46:47], s[42:43], exec
	s_or_b64 s[34:35], s[34:35], s[46:47]
	s_andn2_b64 exec, exec, s[30:31]
	s_cbranch_execz .LBB263_446
.LBB263_444:                            ; =>This Inner Loop Header: Depth=1
	global_load_ubyte v23, v[2:3], off
	global_load_ubyte v24, v[6:7], off
	s_andn2_b64 s[42:43], s[42:43], exec
	s_andn2_b64 s[38:39], s[38:39], exec
	s_or_b64 s[36:37], s[36:37], exec
	s_waitcnt vmcnt(0)
	v_cmp_le_i16_sdwa s[48:49], sext(v23), sext(v24) src0_sel:BYTE_0 src1_sel:BYTE_0
	v_cmp_lt_i16_sdwa s[46:47], sext(v23), sext(v24) src0_sel:BYTE_0 src1_sel:BYTE_0
	s_and_b64 s[48:49], s[48:49], s[44:45]
	s_or_b64 s[48:49], s[46:47], s[48:49]
	s_and_b64 s[46:47], s[48:49], exec
	v_cmp_eq_u16_sdwa s[50:51], v23, v24 src0_sel:BYTE_0 src1_sel:BYTE_0
	s_or_b64 s[42:43], s[42:43], s[46:47]
	s_and_saveexec_b64 s[46:47], s[50:51]
	s_cbranch_execz .LBB263_443
; %bb.445:                              ;   in Loop: Header=BB263_444 Depth=1
	s_add_u32 s40, s40, -1
	s_addc_u32 s41, s41, -1
	v_add_co_u32_e32 v2, vcc, 1, v2
	s_cmp_eq_u64 s[40:41], 0
	v_addc_co_u32_e32 v3, vcc, 0, v3, vcc
	s_cselect_b64 s[44:45], -1, 0
	v_add_co_u32_e32 v6, vcc, 1, v6
	s_andn2_b64 s[38:39], s[38:39], exec
	s_and_b64 s[48:49], s[48:49], exec
	s_andn2_b64 s[36:37], s[36:37], exec
	s_and_b64 s[44:45], s[44:45], exec
	v_addc_co_u32_e32 v7, vcc, 0, v7, vcc
	s_or_b64 s[38:39], s[38:39], s[48:49]
	s_andn2_b64 s[42:43], s[42:43], exec
	s_or_b64 s[36:37], s[36:37], s[44:45]
                                        ; implicit-def: $sgpr44_sgpr45
	s_branch .LBB263_443
.LBB263_446:
	s_or_b64 exec, exec, s[30:31]
	s_xor_b64 s[30:31], s[34:35], -1
	s_branch .LBB263_448
.LBB263_447:
	s_mov_b64 s[30:31], -1
.LBB263_448:
	s_and_b64 s[30:31], s[30:31], exec
.LBB263_449:
	s_or_b64 exec, exec, s[28:29]
	s_orn2_b64 s[28:29], s[30:31], exec
.LBB263_450:
	s_or_b64 exec, exec, s[26:27]
	v_cndmask_b32_e64 v6, v20, v19, s[28:29]
	v_cndmask_b32_e64 v7, v15, v14, s[28:29]
	;; [unrolled: 1-line block ×3, first 2 shown]
	v_add_u32_e32 v10, 1, v6
	v_add_u32_e32 v6, -1, v7
	v_min_u32_e32 v6, v10, v6
	v_lshlrev_b32_e32 v6, 3, v6
	v_cndmask_b32_e64 v2, v9, v11, s[0:1]
	ds_read_b64 v[8:9], v6
	v_cndmask_b32_e64 v11, v10, v20, s[28:29]
	v_cndmask_b32_e64 v1, v5, v1, s[24:25]
	;; [unrolled: 1-line block ×5, first 2 shown]
	s_waitcnt lgkmcnt(0)
	v_cndmask_b32_e64 v7, v21, v9, s[28:29]
	v_cndmask_b32_e64 v6, v22, v8, s[28:29]
	v_cmp_lt_u32_e32 vcc, v11, v15
	s_and_saveexec_b64 s[0:1], vcc
	s_cbranch_execz .LBB263_460
; %bb.451:
	v_cndmask_b32_e64 v10, v19, v10, s[28:29]
	v_cndmask_b32_e64 v9, v9, v17, s[28:29]
	;; [unrolled: 1-line block ×3, first 2 shown]
	v_cmp_lt_u32_e32 vcc, v10, v14
	s_and_saveexec_b64 s[24:25], vcc
	s_cbranch_execz .LBB263_459
; %bb.452:
	s_andn2_b64 vcc, exec, s[4:5]
	s_cbranch_vccnz .LBB263_458
; %bb.453:
	v_pk_mov_b32 v[14:15], s[14:15], s[14:15] op_sel:[0,1]
	v_mad_u64_u32 v[10:11], s[26:27], v8, s12, v[14:15]
	v_mul_lo_u32 v17, v8, s13
	v_mul_lo_u32 v18, v9, s12
	v_add3_u32 v11, v18, v11, v17
	v_mad_u64_u32 v[14:15], s[26:27], v6, s12, v[14:15]
	v_mul_lo_u32 v17, v6, s13
	v_mul_lo_u32 v18, v7, s12
	v_add3_u32 v15, v18, v15, v17
	s_mov_b64 s[26:27], 0
	s_mov_b64 s[36:37], s[12:13]
                                        ; implicit-def: $sgpr28_sgpr29
                                        ; implicit-def: $sgpr30_sgpr31
                                        ; implicit-def: $sgpr38_sgpr39
                                        ; implicit-def: $sgpr34_sgpr35
                                        ; implicit-def: $sgpr40_sgpr41
	s_branch .LBB263_455
.LBB263_454:                            ;   in Loop: Header=BB263_455 Depth=1
	s_or_b64 exec, exec, s[42:43]
	s_and_b64 s[42:43], exec, s[30:31]
	s_or_b64 s[26:27], s[42:43], s[26:27]
	s_andn2_b64 s[40:41], s[40:41], exec
	s_and_b64 s[42:43], s[34:35], exec
	s_or_b64 s[40:41], s[40:41], s[42:43]
	s_andn2_b64 s[28:29], s[28:29], exec
	s_and_b64 s[42:43], s[38:39], exec
	s_or_b64 s[28:29], s[28:29], s[42:43]
	s_andn2_b64 exec, exec, s[26:27]
	s_cbranch_execz .LBB263_457
.LBB263_455:                            ; =>This Inner Loop Header: Depth=1
	global_load_ubyte v17, v[10:11], off
	global_load_ubyte v18, v[14:15], off
	s_andn2_b64 s[38:39], s[38:39], exec
	s_andn2_b64 s[34:35], s[34:35], exec
	s_or_b64 s[30:31], s[30:31], exec
	s_waitcnt vmcnt(0)
	v_cmp_le_i16_sdwa s[44:45], sext(v17), sext(v18) src0_sel:BYTE_0 src1_sel:BYTE_0
	v_cmp_lt_i16_sdwa s[42:43], sext(v17), sext(v18) src0_sel:BYTE_0 src1_sel:BYTE_0
	s_and_b64 s[44:45], s[44:45], s[40:41]
	s_or_b64 s[44:45], s[42:43], s[44:45]
	s_and_b64 s[42:43], s[44:45], exec
	v_cmp_eq_u16_sdwa s[46:47], v17, v18 src0_sel:BYTE_0 src1_sel:BYTE_0
	s_or_b64 s[38:39], s[38:39], s[42:43]
	s_and_saveexec_b64 s[42:43], s[46:47]
	s_cbranch_execz .LBB263_454
; %bb.456:                              ;   in Loop: Header=BB263_455 Depth=1
	s_add_u32 s36, s36, -1
	s_addc_u32 s37, s37, -1
	v_add_co_u32_e32 v10, vcc, 1, v10
	s_cmp_eq_u64 s[36:37], 0
	v_addc_co_u32_e32 v11, vcc, 0, v11, vcc
	s_cselect_b64 s[40:41], -1, 0
	v_add_co_u32_e32 v14, vcc, 1, v14
	s_andn2_b64 s[34:35], s[34:35], exec
	s_and_b64 s[44:45], s[44:45], exec
	s_andn2_b64 s[30:31], s[30:31], exec
	s_and_b64 s[40:41], s[40:41], exec
	v_addc_co_u32_e32 v15, vcc, 0, v15, vcc
	s_or_b64 s[34:35], s[34:35], s[44:45]
	s_andn2_b64 s[38:39], s[38:39], exec
	s_or_b64 s[30:31], s[30:31], s[40:41]
                                        ; implicit-def: $sgpr40_sgpr41
	s_branch .LBB263_454
.LBB263_457:
	s_or_b64 exec, exec, s[26:27]
	v_cndmask_b32_e64 v7, v7, v9, s[28:29]
	v_cndmask_b32_e64 v6, v6, v8, s[28:29]
.LBB263_458:
	v_pk_mov_b32 v[8:9], v[6:7], v[6:7] op_sel:[0,1]
.LBB263_459:
	s_or_b64 exec, exec, s[24:25]
	v_pk_mov_b32 v[6:7], v[8:9], v[8:9] op_sel:[0,1]
.LBB263_460:
	s_or_b64 exec, exec, s[0:1]
.LBB263_461:
	s_or_b64 exec, exec, s[22:23]
	s_barrier
	ds_write_b128 v16, v[0:3]
	ds_write_b128 v16, v[4:7] offset:16
	v_and_b32_e32 v16, 0xc00, v27
	v_or_b32_e32 v8, 0x200, v16
	v_min_u32_e32 v14, 0x400, v8
	v_and_b32_e32 v17, 0x3fc, v27
	v_sub_u32_e32 v8, v14, v16
	v_sub_u32_e32 v9, 0x400, v14
	v_sub_u32_e64 v18, v17, v9 clamp
	v_min_u32_e32 v19, v17, v8
	v_lshlrev_b32_e32 v15, 3, v16
	v_cmp_lt_u32_e32 vcc, v18, v19
	s_waitcnt lgkmcnt(0)
	s_barrier
	s_and_saveexec_b64 s[22:23], vcc
	s_cbranch_execz .LBB263_471
; %bb.462:
	v_lshlrev_b32_e32 v8, 3, v17
	v_lshl_add_u32 v20, v14, 3, v8
	v_cndmask_b32_e64 v8, 0, 1, s[4:5]
	s_mov_b64 s[24:25], 0
	v_cmp_ne_u32_e64 s[0:1], 1, v8
	s_branch .LBB263_465
.LBB263_463:                            ;   in Loop: Header=BB263_465 Depth=1
	s_or_b64 exec, exec, s[28:29]
.LBB263_464:                            ;   in Loop: Header=BB263_465 Depth=1
	v_add_u32_e32 v8, 1, v21
	v_cndmask_b32_e64 v19, v19, v21, s[26:27]
	v_cndmask_b32_e64 v18, v8, v18, s[26:27]
	v_cmp_ge_u32_e32 vcc, v18, v19
	s_or_b64 s[24:25], vcc, s[24:25]
	s_andn2_b64 exec, exec, s[24:25]
	s_cbranch_execz .LBB263_470
.LBB263_465:                            ; =>This Loop Header: Depth=1
                                        ;     Child Loop BB263_468 Depth 2
	v_add_u32_e32 v8, v19, v18
	v_lshrrev_b32_e32 v21, 1, v8
	s_and_b64 vcc, exec, s[0:1]
	s_mov_b64 s[26:27], 0
	s_cbranch_vccnz .LBB263_464
; %bb.466:                              ;   in Loop: Header=BB263_465 Depth=1
	v_not_b32_e32 v8, v21
	v_lshl_add_u32 v8, v8, 3, v20
	ds_read_b64 v[8:9], v8
	v_lshl_add_u32 v22, v21, 3, v15
	ds_read_b64 v[22:23], v22
	v_pk_mov_b32 v[10:11], s[14:15], s[14:15] op_sel:[0,1]
	s_mov_b64 s[28:29], 0
	s_waitcnt lgkmcnt(1)
	v_mul_lo_u32 v24, v8, s13
	v_mul_lo_u32 v25, v9, s12
	v_mad_u64_u32 v[8:9], s[26:27], v8, s12, v[10:11]
	v_add3_u32 v9, v25, v9, v24
	s_waitcnt lgkmcnt(0)
	v_mul_lo_u32 v24, v22, s13
	v_mul_lo_u32 v23, v23, s12
	v_mad_u64_u32 v[10:11], s[26:27], v22, s12, v[10:11]
	v_add3_u32 v11, v23, v11, v24
	s_mov_b64 s[36:37], s[12:13]
                                        ; implicit-def: $sgpr26_sgpr27
                                        ; implicit-def: $sgpr30_sgpr31
                                        ; implicit-def: $sgpr34_sgpr35
                                        ; implicit-def: $sgpr38_sgpr39
                                        ; implicit-def: $sgpr40_sgpr41
	s_branch .LBB263_468
.LBB263_467:                            ;   in Loop: Header=BB263_468 Depth=2
	s_or_b64 exec, exec, s[42:43]
	s_and_b64 s[42:43], exec, s[30:31]
	s_or_b64 s[28:29], s[42:43], s[28:29]
	s_andn2_b64 s[40:41], s[40:41], exec
	s_and_b64 s[42:43], s[34:35], exec
	s_or_b64 s[40:41], s[40:41], s[42:43]
	s_andn2_b64 s[26:27], s[26:27], exec
	s_and_b64 s[42:43], s[38:39], exec
	s_or_b64 s[26:27], s[26:27], s[42:43]
	s_andn2_b64 exec, exec, s[28:29]
	s_cbranch_execz .LBB263_463
.LBB263_468:                            ;   Parent Loop BB263_465 Depth=1
                                        ; =>  This Inner Loop Header: Depth=2
	global_load_ubyte v22, v[8:9], off
	global_load_ubyte v23, v[10:11], off
	s_andn2_b64 s[38:39], s[38:39], exec
	s_andn2_b64 s[34:35], s[34:35], exec
	s_or_b64 s[30:31], s[30:31], exec
	s_waitcnt vmcnt(0)
	v_cmp_le_i16_sdwa s[44:45], sext(v22), sext(v23) src0_sel:BYTE_0 src1_sel:BYTE_0
	v_cmp_lt_i16_sdwa s[42:43], sext(v22), sext(v23) src0_sel:BYTE_0 src1_sel:BYTE_0
	s_and_b64 s[44:45], s[44:45], s[40:41]
	s_or_b64 s[44:45], s[42:43], s[44:45]
	s_and_b64 s[42:43], s[44:45], exec
	v_cmp_eq_u16_sdwa s[46:47], v22, v23 src0_sel:BYTE_0 src1_sel:BYTE_0
	s_or_b64 s[38:39], s[38:39], s[42:43]
	s_and_saveexec_b64 s[42:43], s[46:47]
	s_cbranch_execz .LBB263_467
; %bb.469:                              ;   in Loop: Header=BB263_468 Depth=2
	s_add_u32 s36, s36, -1
	s_addc_u32 s37, s37, -1
	v_add_co_u32_e32 v8, vcc, 1, v8
	s_cmp_eq_u64 s[36:37], 0
	v_addc_co_u32_e32 v9, vcc, 0, v9, vcc
	s_cselect_b64 s[40:41], -1, 0
	v_add_co_u32_e32 v10, vcc, 1, v10
	s_andn2_b64 s[34:35], s[34:35], exec
	s_and_b64 s[44:45], s[44:45], exec
	s_andn2_b64 s[30:31], s[30:31], exec
	s_and_b64 s[40:41], s[40:41], exec
	v_addc_co_u32_e32 v11, vcc, 0, v11, vcc
	s_andn2_b64 s[38:39], s[38:39], exec
	s_or_b64 s[34:35], s[34:35], s[44:45]
	s_or_b64 s[30:31], s[30:31], s[40:41]
                                        ; implicit-def: $sgpr40_sgpr41
	s_branch .LBB263_467
.LBB263_470:
	s_or_b64 exec, exec, s[24:25]
.LBB263_471:
	s_or_b64 exec, exec, s[22:23]
	v_sub_u32_e32 v8, v17, v18
	v_add_u32_e32 v16, v18, v16
	v_add_u32_e32 v17, v8, v14
	s_movk_i32 s0, 0x401
	v_cmp_le_u32_e32 vcc, v16, v14
	v_cmp_gt_u32_e64 s[0:1], s0, v17
	s_or_b64 s[0:1], vcc, s[0:1]
	s_and_saveexec_b64 s[22:23], s[0:1]
	s_cbranch_execz .LBB263_518
; %bb.472:
	v_cmp_ge_u32_e32 vcc, v16, v14
	v_cmp_lt_u32_e64 s[0:1], v16, v14
                                        ; implicit-def: $vgpr0_vgpr1
	s_and_saveexec_b64 s[24:25], s[0:1]
	s_cbranch_execz .LBB263_474
; %bb.473:
	v_lshl_add_u32 v0, v18, 3, v15
	ds_read_b64 v[0:1], v0
.LBB263_474:
	s_or_b64 exec, exec, s[24:25]
	s_movk_i32 s0, 0x3ff
	v_cmp_lt_u32_e64 s[24:25], s0, v17
	s_movk_i32 s0, 0x400
	v_cmp_gt_u32_e64 s[0:1], s0, v17
                                        ; implicit-def: $vgpr4_vgpr5
	s_and_saveexec_b64 s[26:27], s[0:1]
	s_cbranch_execz .LBB263_476
; %bb.475:
	v_lshlrev_b32_e32 v2, 3, v17
	ds_read_b64 v[4:5], v2
.LBB263_476:
	s_or_b64 exec, exec, s[26:27]
	s_or_b64 s[26:27], vcc, s[24:25]
	s_mov_b64 s[0:1], -1
	s_xor_b64 s[28:29], s[26:27], -1
	s_and_saveexec_b64 s[26:27], s[28:29]
	s_cbranch_execz .LBB263_485
; %bb.477:
	s_andn2_b64 vcc, exec, s[4:5]
	s_cbranch_vccnz .LBB263_483
; %bb.478:
	v_pk_mov_b32 v[6:7], s[14:15], s[14:15] op_sel:[0,1]
	s_waitcnt lgkmcnt(0)
	v_mad_u64_u32 v[2:3], s[28:29], v4, s12, v[6:7]
	v_mul_lo_u32 v8, v4, s13
	v_mul_lo_u32 v9, v5, s12
	v_add3_u32 v3, v9, v3, v8
	v_mad_u64_u32 v[6:7], s[28:29], v0, s12, v[6:7]
	v_mul_lo_u32 v8, v0, s13
	v_mul_lo_u32 v9, v1, s12
	v_add3_u32 v7, v9, v7, v8
	s_mov_b64 s[28:29], 0
	s_mov_b64 s[38:39], s[12:13]
                                        ; implicit-def: $sgpr30_sgpr31
                                        ; implicit-def: $sgpr34_sgpr35
                                        ; implicit-def: $sgpr40_sgpr41
                                        ; implicit-def: $sgpr36_sgpr37
                                        ; implicit-def: $sgpr42_sgpr43
	s_branch .LBB263_480
.LBB263_479:                            ;   in Loop: Header=BB263_480 Depth=1
	s_or_b64 exec, exec, s[44:45]
	s_and_b64 s[44:45], exec, s[34:35]
	s_or_b64 s[28:29], s[44:45], s[28:29]
	s_andn2_b64 s[42:43], s[42:43], exec
	s_and_b64 s[44:45], s[36:37], exec
	s_or_b64 s[42:43], s[42:43], s[44:45]
	s_andn2_b64 s[30:31], s[30:31], exec
	s_and_b64 s[44:45], s[40:41], exec
	s_or_b64 s[30:31], s[30:31], s[44:45]
	s_andn2_b64 exec, exec, s[28:29]
	s_cbranch_execz .LBB263_482
.LBB263_480:                            ; =>This Inner Loop Header: Depth=1
	global_load_ubyte v8, v[2:3], off
	global_load_ubyte v9, v[6:7], off
	s_andn2_b64 s[40:41], s[40:41], exec
	s_andn2_b64 s[36:37], s[36:37], exec
	s_or_b64 s[34:35], s[34:35], exec
	s_waitcnt vmcnt(0)
	v_cmp_le_i16_sdwa s[46:47], sext(v8), sext(v9) src0_sel:BYTE_0 src1_sel:BYTE_0
	v_cmp_lt_i16_sdwa s[44:45], sext(v8), sext(v9) src0_sel:BYTE_0 src1_sel:BYTE_0
	s_and_b64 s[46:47], s[46:47], s[42:43]
	s_or_b64 s[46:47], s[44:45], s[46:47]
	s_and_b64 s[44:45], s[46:47], exec
	v_cmp_eq_u16_sdwa s[48:49], v8, v9 src0_sel:BYTE_0 src1_sel:BYTE_0
	s_or_b64 s[40:41], s[40:41], s[44:45]
	s_and_saveexec_b64 s[44:45], s[48:49]
	s_cbranch_execz .LBB263_479
; %bb.481:                              ;   in Loop: Header=BB263_480 Depth=1
	s_add_u32 s38, s38, -1
	s_addc_u32 s39, s39, -1
	v_add_co_u32_e32 v2, vcc, 1, v2
	s_cmp_eq_u64 s[38:39], 0
	v_addc_co_u32_e32 v3, vcc, 0, v3, vcc
	s_cselect_b64 s[42:43], -1, 0
	v_add_co_u32_e32 v6, vcc, 1, v6
	s_andn2_b64 s[36:37], s[36:37], exec
	s_and_b64 s[46:47], s[46:47], exec
	s_andn2_b64 s[34:35], s[34:35], exec
	s_and_b64 s[42:43], s[42:43], exec
	v_addc_co_u32_e32 v7, vcc, 0, v7, vcc
	s_or_b64 s[36:37], s[36:37], s[46:47]
	s_andn2_b64 s[40:41], s[40:41], exec
	s_or_b64 s[34:35], s[34:35], s[42:43]
                                        ; implicit-def: $sgpr42_sgpr43
	s_branch .LBB263_479
.LBB263_482:
	s_or_b64 exec, exec, s[28:29]
	s_xor_b64 s[28:29], s[30:31], -1
	s_branch .LBB263_484
.LBB263_483:
	s_mov_b64 s[28:29], -1
.LBB263_484:
	s_andn2_b64 s[24:25], s[24:25], exec
	s_and_b64 s[28:29], s[28:29], exec
	s_or_b64 s[24:25], s[24:25], s[28:29]
.LBB263_485:
	s_or_b64 exec, exec, s[26:27]
	v_cndmask_b32_e64 v2, v17, v16, s[24:25]
	v_add_u32_e32 v8, -1, v14
	v_mov_b32_e32 v18, 0x3ff
	v_add_u32_e32 v6, 1, v2
	v_cndmask_b32_e64 v2, v18, v8, s[24:25]
	v_min_u32_e32 v2, v6, v2
	v_lshlrev_b32_e32 v2, 3, v2
	ds_read_b64 v[2:3], v2
	v_cndmask_b32_e64 v19, v6, v17, s[24:25]
	s_movk_i32 s7, 0x400
	v_cndmask_b32_e64 v22, v16, v6, s[24:25]
	v_cmp_gt_u32_e32 vcc, s7, v19
	s_waitcnt lgkmcnt(0)
	v_cndmask_b32_e64 v9, v3, v5, s[24:25]
	v_cndmask_b32_e64 v10, v2, v4, s[24:25]
	;; [unrolled: 1-line block ×4, first 2 shown]
	s_and_saveexec_b64 s[26:27], vcc
	s_cbranch_execz .LBB263_496
; %bb.486:
	v_cmp_lt_u32_e32 vcc, v22, v14
	s_mov_b64 s[28:29], 0
	s_and_saveexec_b64 s[0:1], vcc
	s_cbranch_execz .LBB263_495
; %bb.487:
	s_andn2_b64 vcc, exec, s[4:5]
	s_cbranch_vccnz .LBB263_493
; %bb.488:
	v_pk_mov_b32 v[6:7], s[14:15], s[14:15] op_sel:[0,1]
	v_mad_u64_u32 v[2:3], s[28:29], v10, s12, v[6:7]
	v_mul_lo_u32 v16, v10, s13
	v_mul_lo_u32 v17, v9, s12
	v_add3_u32 v3, v17, v3, v16
	v_mad_u64_u32 v[6:7], s[28:29], v15, s12, v[6:7]
	v_mul_lo_u32 v16, v15, s13
	v_mul_lo_u32 v17, v11, s12
	v_add3_u32 v7, v17, v7, v16
	s_mov_b64 s[28:29], 0
	s_mov_b64 s[38:39], s[12:13]
                                        ; implicit-def: $sgpr30_sgpr31
                                        ; implicit-def: $sgpr34_sgpr35
                                        ; implicit-def: $sgpr40_sgpr41
                                        ; implicit-def: $sgpr36_sgpr37
                                        ; implicit-def: $sgpr42_sgpr43
	s_branch .LBB263_490
.LBB263_489:                            ;   in Loop: Header=BB263_490 Depth=1
	s_or_b64 exec, exec, s[44:45]
	s_and_b64 s[44:45], exec, s[34:35]
	s_or_b64 s[28:29], s[44:45], s[28:29]
	s_andn2_b64 s[42:43], s[42:43], exec
	s_and_b64 s[44:45], s[36:37], exec
	s_or_b64 s[42:43], s[42:43], s[44:45]
	s_andn2_b64 s[30:31], s[30:31], exec
	s_and_b64 s[44:45], s[40:41], exec
	s_or_b64 s[30:31], s[30:31], s[44:45]
	s_andn2_b64 exec, exec, s[28:29]
	s_cbranch_execz .LBB263_492
.LBB263_490:                            ; =>This Inner Loop Header: Depth=1
	global_load_ubyte v16, v[2:3], off
	global_load_ubyte v17, v[6:7], off
	s_andn2_b64 s[40:41], s[40:41], exec
	s_andn2_b64 s[36:37], s[36:37], exec
	s_or_b64 s[34:35], s[34:35], exec
	s_waitcnt vmcnt(0)
	v_cmp_le_i16_sdwa s[46:47], sext(v16), sext(v17) src0_sel:BYTE_0 src1_sel:BYTE_0
	v_cmp_lt_i16_sdwa s[44:45], sext(v16), sext(v17) src0_sel:BYTE_0 src1_sel:BYTE_0
	s_and_b64 s[46:47], s[46:47], s[42:43]
	s_or_b64 s[46:47], s[44:45], s[46:47]
	s_and_b64 s[44:45], s[46:47], exec
	v_cmp_eq_u16_sdwa s[48:49], v16, v17 src0_sel:BYTE_0 src1_sel:BYTE_0
	s_or_b64 s[40:41], s[40:41], s[44:45]
	s_and_saveexec_b64 s[44:45], s[48:49]
	s_cbranch_execz .LBB263_489
; %bb.491:                              ;   in Loop: Header=BB263_490 Depth=1
	s_add_u32 s38, s38, -1
	s_addc_u32 s39, s39, -1
	v_add_co_u32_e32 v2, vcc, 1, v2
	s_cmp_eq_u64 s[38:39], 0
	v_addc_co_u32_e32 v3, vcc, 0, v3, vcc
	s_cselect_b64 s[42:43], -1, 0
	v_add_co_u32_e32 v6, vcc, 1, v6
	s_andn2_b64 s[36:37], s[36:37], exec
	s_and_b64 s[46:47], s[46:47], exec
	s_andn2_b64 s[34:35], s[34:35], exec
	s_and_b64 s[42:43], s[42:43], exec
	v_addc_co_u32_e32 v7, vcc, 0, v7, vcc
	s_or_b64 s[36:37], s[36:37], s[46:47]
	s_andn2_b64 s[40:41], s[40:41], exec
	s_or_b64 s[34:35], s[34:35], s[42:43]
                                        ; implicit-def: $sgpr42_sgpr43
	s_branch .LBB263_489
.LBB263_492:
	s_or_b64 exec, exec, s[28:29]
	s_xor_b64 s[28:29], s[30:31], -1
	s_branch .LBB263_494
.LBB263_493:
	s_mov_b64 s[28:29], -1
.LBB263_494:
	s_and_b64 s[28:29], s[28:29], exec
.LBB263_495:
	s_or_b64 exec, exec, s[0:1]
	s_orn2_b64 s[0:1], s[28:29], exec
.LBB263_496:
	s_or_b64 exec, exec, s[26:27]
	v_cndmask_b32_e64 v2, v19, v22, s[0:1]
	v_add_u32_e32 v6, 1, v2
	v_cndmask_b32_e64 v2, v18, v8, s[0:1]
	v_min_u32_e32 v2, v6, v2
	v_lshlrev_b32_e32 v2, 3, v2
	ds_read_b64 v[2:3], v2
	v_cndmask_b32_e64 v19, v6, v19, s[0:1]
	v_cndmask_b32_e64 v18, v22, v6, s[0:1]
	v_cmp_gt_u32_e32 vcc, s7, v19
	s_mov_b64 s[28:29], -1
	s_waitcnt lgkmcnt(0)
	v_cndmask_b32_e64 v16, v3, v9, s[0:1]
	v_cndmask_b32_e64 v17, v2, v10, s[0:1]
	;; [unrolled: 1-line block ×4, first 2 shown]
	s_and_saveexec_b64 s[26:27], vcc
	s_cbranch_execz .LBB263_507
; %bb.497:
	v_cmp_lt_u32_e32 vcc, v18, v14
	s_mov_b64 s[30:31], 0
	s_and_saveexec_b64 s[28:29], vcc
	s_cbranch_execz .LBB263_506
; %bb.498:
	s_andn2_b64 vcc, exec, s[4:5]
	s_cbranch_vccnz .LBB263_504
; %bb.499:
	v_pk_mov_b32 v[6:7], s[14:15], s[14:15] op_sel:[0,1]
	v_mad_u64_u32 v[2:3], s[30:31], v17, s12, v[6:7]
	v_mul_lo_u32 v22, v17, s13
	v_mul_lo_u32 v23, v16, s12
	v_add3_u32 v3, v23, v3, v22
	v_mad_u64_u32 v[6:7], s[30:31], v21, s12, v[6:7]
	v_mul_lo_u32 v22, v21, s13
	v_mul_lo_u32 v23, v20, s12
	v_add3_u32 v7, v23, v7, v22
	s_mov_b64 s[30:31], 0
	s_mov_b64 s[40:41], s[12:13]
                                        ; implicit-def: $sgpr34_sgpr35
                                        ; implicit-def: $sgpr36_sgpr37
                                        ; implicit-def: $sgpr42_sgpr43
                                        ; implicit-def: $sgpr38_sgpr39
                                        ; implicit-def: $sgpr44_sgpr45
	s_branch .LBB263_501
.LBB263_500:                            ;   in Loop: Header=BB263_501 Depth=1
	s_or_b64 exec, exec, s[46:47]
	s_and_b64 s[46:47], exec, s[36:37]
	s_or_b64 s[30:31], s[46:47], s[30:31]
	s_andn2_b64 s[44:45], s[44:45], exec
	s_and_b64 s[46:47], s[38:39], exec
	s_or_b64 s[44:45], s[44:45], s[46:47]
	s_andn2_b64 s[34:35], s[34:35], exec
	s_and_b64 s[46:47], s[42:43], exec
	s_or_b64 s[34:35], s[34:35], s[46:47]
	s_andn2_b64 exec, exec, s[30:31]
	s_cbranch_execz .LBB263_503
.LBB263_501:                            ; =>This Inner Loop Header: Depth=1
	global_load_ubyte v22, v[2:3], off
	global_load_ubyte v23, v[6:7], off
	s_andn2_b64 s[42:43], s[42:43], exec
	s_andn2_b64 s[38:39], s[38:39], exec
	s_or_b64 s[36:37], s[36:37], exec
	s_waitcnt vmcnt(0)
	v_cmp_le_i16_sdwa s[48:49], sext(v22), sext(v23) src0_sel:BYTE_0 src1_sel:BYTE_0
	v_cmp_lt_i16_sdwa s[46:47], sext(v22), sext(v23) src0_sel:BYTE_0 src1_sel:BYTE_0
	s_and_b64 s[48:49], s[48:49], s[44:45]
	s_or_b64 s[48:49], s[46:47], s[48:49]
	s_and_b64 s[46:47], s[48:49], exec
	v_cmp_eq_u16_sdwa s[50:51], v22, v23 src0_sel:BYTE_0 src1_sel:BYTE_0
	s_or_b64 s[42:43], s[42:43], s[46:47]
	s_and_saveexec_b64 s[46:47], s[50:51]
	s_cbranch_execz .LBB263_500
; %bb.502:                              ;   in Loop: Header=BB263_501 Depth=1
	s_add_u32 s40, s40, -1
	s_addc_u32 s41, s41, -1
	v_add_co_u32_e32 v2, vcc, 1, v2
	s_cmp_eq_u64 s[40:41], 0
	v_addc_co_u32_e32 v3, vcc, 0, v3, vcc
	s_cselect_b64 s[44:45], -1, 0
	v_add_co_u32_e32 v6, vcc, 1, v6
	s_andn2_b64 s[38:39], s[38:39], exec
	s_and_b64 s[48:49], s[48:49], exec
	s_andn2_b64 s[36:37], s[36:37], exec
	s_and_b64 s[44:45], s[44:45], exec
	v_addc_co_u32_e32 v7, vcc, 0, v7, vcc
	s_or_b64 s[38:39], s[38:39], s[48:49]
	s_andn2_b64 s[42:43], s[42:43], exec
	s_or_b64 s[36:37], s[36:37], s[44:45]
                                        ; implicit-def: $sgpr44_sgpr45
	s_branch .LBB263_500
.LBB263_503:
	s_or_b64 exec, exec, s[30:31]
	s_xor_b64 s[30:31], s[34:35], -1
	s_branch .LBB263_505
.LBB263_504:
	s_mov_b64 s[30:31], -1
.LBB263_505:
	s_and_b64 s[30:31], s[30:31], exec
.LBB263_506:
	s_or_b64 exec, exec, s[28:29]
	s_orn2_b64 s[28:29], s[30:31], exec
.LBB263_507:
	s_or_b64 exec, exec, s[26:27]
	v_cndmask_b32_e64 v6, v19, v18, s[28:29]
	v_cndmask_b32_e64 v2, v10, v15, s[0:1]
	v_add_u32_e32 v10, 1, v6
	v_mov_b32_e32 v6, 0x3ff
	v_cndmask_b32_e64 v6, v6, v8, s[28:29]
	v_min_u32_e32 v6, v10, v6
	v_lshlrev_b32_e32 v6, 3, v6
	v_cndmask_b32_e64 v3, v9, v11, s[0:1]
	ds_read_b64 v[8:9], v6
	v_cndmask_b32_e64 v11, v10, v19, s[28:29]
	s_movk_i32 s0, 0x400
	v_cndmask_b32_e64 v1, v5, v1, s[24:25]
	v_cndmask_b32_e64 v0, v4, v0, s[24:25]
	;; [unrolled: 1-line block ×4, first 2 shown]
	s_waitcnt lgkmcnt(0)
	v_cndmask_b32_e64 v7, v20, v9, s[28:29]
	v_cndmask_b32_e64 v6, v21, v8, s[28:29]
	v_cmp_gt_u32_e32 vcc, s0, v11
	s_and_saveexec_b64 s[0:1], vcc
	s_cbranch_execz .LBB263_517
; %bb.508:
	v_cndmask_b32_e64 v10, v18, v10, s[28:29]
	v_cndmask_b32_e64 v9, v9, v16, s[28:29]
	;; [unrolled: 1-line block ×3, first 2 shown]
	v_cmp_lt_u32_e32 vcc, v10, v14
	s_and_saveexec_b64 s[24:25], vcc
	s_cbranch_execz .LBB263_516
; %bb.509:
	s_andn2_b64 vcc, exec, s[4:5]
	s_cbranch_vccnz .LBB263_515
; %bb.510:
	v_pk_mov_b32 v[14:15], s[14:15], s[14:15] op_sel:[0,1]
	v_mad_u64_u32 v[10:11], s[4:5], v8, s12, v[14:15]
	v_mul_lo_u32 v16, v8, s13
	v_mul_lo_u32 v17, v9, s12
	v_add3_u32 v11, v17, v11, v16
	v_mad_u64_u32 v[14:15], s[4:5], v6, s12, v[14:15]
	v_mul_lo_u32 v16, v6, s13
	v_mul_lo_u32 v17, v7, s12
	v_add3_u32 v15, v17, v15, v16
	s_mov_b64 s[4:5], 0
	s_mov_b64 s[34:35], s[12:13]
                                        ; implicit-def: $sgpr26_sgpr27
                                        ; implicit-def: $sgpr28_sgpr29
                                        ; implicit-def: $sgpr36_sgpr37
                                        ; implicit-def: $sgpr30_sgpr31
                                        ; implicit-def: $sgpr38_sgpr39
	s_branch .LBB263_512
.LBB263_511:                            ;   in Loop: Header=BB263_512 Depth=1
	s_or_b64 exec, exec, s[40:41]
	s_and_b64 s[40:41], exec, s[28:29]
	s_or_b64 s[4:5], s[40:41], s[4:5]
	s_andn2_b64 s[38:39], s[38:39], exec
	s_and_b64 s[40:41], s[30:31], exec
	s_or_b64 s[38:39], s[38:39], s[40:41]
	s_andn2_b64 s[26:27], s[26:27], exec
	s_and_b64 s[40:41], s[36:37], exec
	s_or_b64 s[26:27], s[26:27], s[40:41]
	s_andn2_b64 exec, exec, s[4:5]
	s_cbranch_execz .LBB263_514
.LBB263_512:                            ; =>This Inner Loop Header: Depth=1
	global_load_ubyte v16, v[10:11], off
	global_load_ubyte v17, v[14:15], off
	s_andn2_b64 s[36:37], s[36:37], exec
	s_andn2_b64 s[30:31], s[30:31], exec
	s_or_b64 s[28:29], s[28:29], exec
	s_waitcnt vmcnt(0)
	v_cmp_le_i16_sdwa s[42:43], sext(v16), sext(v17) src0_sel:BYTE_0 src1_sel:BYTE_0
	v_cmp_lt_i16_sdwa s[40:41], sext(v16), sext(v17) src0_sel:BYTE_0 src1_sel:BYTE_0
	s_and_b64 s[42:43], s[42:43], s[38:39]
	s_or_b64 s[42:43], s[40:41], s[42:43]
	s_and_b64 s[40:41], s[42:43], exec
	v_cmp_eq_u16_sdwa s[44:45], v16, v17 src0_sel:BYTE_0 src1_sel:BYTE_0
	s_or_b64 s[36:37], s[36:37], s[40:41]
	s_and_saveexec_b64 s[40:41], s[44:45]
	s_cbranch_execz .LBB263_511
; %bb.513:                              ;   in Loop: Header=BB263_512 Depth=1
	s_add_u32 s34, s34, -1
	s_addc_u32 s35, s35, -1
	v_add_co_u32_e32 v10, vcc, 1, v10
	s_cmp_eq_u64 s[34:35], 0
	v_addc_co_u32_e32 v11, vcc, 0, v11, vcc
	s_cselect_b64 s[38:39], -1, 0
	v_add_co_u32_e32 v14, vcc, 1, v14
	s_andn2_b64 s[30:31], s[30:31], exec
	s_and_b64 s[42:43], s[42:43], exec
	s_andn2_b64 s[28:29], s[28:29], exec
	s_and_b64 s[38:39], s[38:39], exec
	v_addc_co_u32_e32 v15, vcc, 0, v15, vcc
	s_or_b64 s[30:31], s[30:31], s[42:43]
	s_andn2_b64 s[36:37], s[36:37], exec
	s_or_b64 s[28:29], s[28:29], s[38:39]
                                        ; implicit-def: $sgpr38_sgpr39
	s_branch .LBB263_511
.LBB263_514:
	s_or_b64 exec, exec, s[4:5]
	v_cndmask_b32_e64 v7, v7, v9, s[26:27]
	v_cndmask_b32_e64 v6, v6, v8, s[26:27]
.LBB263_515:
	v_pk_mov_b32 v[8:9], v[6:7], v[6:7] op_sel:[0,1]
.LBB263_516:
	s_or_b64 exec, exec, s[24:25]
	v_pk_mov_b32 v[6:7], v[8:9], v[8:9] op_sel:[0,1]
.LBB263_517:
	s_or_b64 exec, exec, s[0:1]
.LBB263_518:
	s_or_b64 exec, exec, s[22:23]
	s_barrier
	s_barrier
	ds_write2_b64 v33, v[0:1], v[2:3] offset1:1
	ds_write2_b64 v33, v[4:5], v[6:7] offset0:2 offset1:3
	s_waitcnt lgkmcnt(0)
	s_barrier
	ds_read_b64 v[2:3], v32
	ds_read_b64 v[4:5], v34 offset:2048
	ds_read_b64 v[6:7], v35 offset:4096
	;; [unrolled: 1-line block ×3, first 2 shown]
	v_mov_b32_e32 v8, s17
	v_add_co_u32_e32 v9, vcc, s16, v26
	v_addc_co_u32_e32 v8, vcc, 0, v8, vcc
	s_waitcnt lgkmcnt(3)
	global_store_dwordx2 v26, v[2:3], s[16:17]
	s_waitcnt lgkmcnt(2)
	global_store_dwordx2 v26, v[4:5], s[16:17] offset:2048
	v_add_co_u32_e32 v2, vcc, 0x1000, v9
	v_addc_co_u32_e32 v3, vcc, 0, v8, vcc
	s_waitcnt lgkmcnt(1)
	global_store_dwordx2 v[2:3], v[6:7], off
	s_mov_b64 s[22:23], -1
	s_branch .LBB263_874
.LBB263_519:
	s_lshl_b64 s[0:1], s[2:3], 10
	s_sub_i32 s33, s20, s0
	v_cmp_gt_u32_e64 s[0:1], s33, v12
                                        ; implicit-def: $vgpr0_vgpr1_vgpr2_vgpr3_vgpr4_vgpr5_vgpr6_vgpr7
	s_and_saveexec_b64 s[2:3], s[0:1]
	s_cbranch_execz .LBB263_521
; %bb.520:
	s_waitcnt lgkmcnt(0)
	global_load_dwordx2 v[0:1], v26, s[8:9]
.LBB263_521:
	s_or_b64 exec, exec, s[2:3]
	v_add_u32_e32 v8, 0x100, v12
	v_cmp_gt_u32_e64 s[2:3], s33, v8
	s_and_saveexec_b64 s[4:5], s[2:3]
	s_cbranch_execz .LBB263_523
; %bb.522:
	global_load_dwordx2 v[2:3], v26, s[8:9] offset:2048
.LBB263_523:
	s_or_b64 exec, exec, s[4:5]
	v_add_u32_e32 v9, 0x200, v12
	v_cmp_gt_u32_e64 s[4:5], s33, v9
	s_and_saveexec_b64 s[20:21], s[4:5]
	s_cbranch_execz .LBB263_525
; %bb.524:
	v_lshlrev_b32_e32 v4, 3, v9
	global_load_dwordx2 v[4:5], v4, s[8:9]
.LBB263_525:
	s_or_b64 exec, exec, s[20:21]
	v_add_u32_e32 v10, 0x300, v12
	v_cmp_gt_u32_e64 s[22:23], s33, v10
	s_and_saveexec_b64 s[20:21], s[22:23]
	s_cbranch_execz .LBB263_527
; %bb.526:
	v_lshlrev_b32_e32 v6, 3, v10
	global_load_dwordx2 v[6:7], v6, s[8:9]
.LBB263_527:
	s_or_b64 exec, exec, s[20:21]
	v_and_b32_e32 v11, 0xf8, v31
	v_add_u32_e32 v14, v11, v26
	s_waitcnt vmcnt(0) lgkmcnt(0)
	ds_write_b64 v14, v[0:1]
	v_lshrrev_b32_e32 v0, 2, v8
	v_and_b32_e32 v0, 0x1f8, v0
	v_add_u32_e32 v13, v0, v26
	v_lshrrev_b32_e32 v0, 2, v9
	v_and_b32_e32 v0, 0x1f8, v0
	v_add_u32_e32 v15, v0, v26
	;; [unrolled: 3-line block ×3, first 2 shown]
	v_add_lshl_u32 v17, v30, v27, 3
	ds_write_b64 v13, v[2:3] offset:2048
	ds_write_b64 v15, v[4:5] offset:4096
	;; [unrolled: 1-line block ×3, first 2 shown]
	s_waitcnt lgkmcnt(0)
	s_barrier
	ds_read2_b64 v[0:3], v17 offset1:1
	ds_read2_b64 v[4:7], v17 offset0:2 offset1:3
	s_waitcnt lgkmcnt(0)
	s_barrier
	s_load_dword s7, s[10:11], 0xc
	v_mov_b32_e32 v8, 0
	s_waitcnt lgkmcnt(0)
	s_lshr_b32 s8, s7, 16
	s_cmp_lt_u32 s6, s18
	s_cselect_b32 s6, 12, 18
	s_add_u32 s6, s10, s6
	s_addc_u32 s7, s11, 0
	global_load_ushort v8, v8, s[6:7]
	v_mad_u32_u24 v9, v29, s8, v28
	v_cmp_gt_i64_e64 s[18:19], s[12:13], 0
	s_waitcnt vmcnt(0)
	v_mul_lo_u32 v8, v9, v8
	v_add_lshl_u32 v18, v8, v12, 2
	v_sub_u32_e64 v19, s33, v18 clamp
	v_cmp_lt_u32_e64 s[6:7], 1, v19
	s_and_saveexec_b64 s[8:9], s[6:7]
	s_cbranch_execz .LBB263_536
; %bb.528:
	s_andn2_b64 vcc, exec, s[18:19]
	s_cbranch_vccnz .LBB263_536
; %bb.529:
	v_pk_mov_b32 v[10:11], s[14:15], s[14:15] op_sel:[0,1]
	v_mad_u64_u32 v[8:9], s[10:11], v2, s12, v[10:11]
	v_mul_lo_u32 v20, v2, s13
	v_mul_lo_u32 v21, v3, s12
	v_add3_u32 v9, v21, v9, v20
	v_mad_u64_u32 v[10:11], s[10:11], v0, s12, v[10:11]
	v_mul_lo_u32 v20, v0, s13
	v_mul_lo_u32 v21, v1, s12
	v_add3_u32 v11, v21, v11, v20
	s_mov_b64 s[20:21], 0
	s_mov_b64 s[34:35], s[12:13]
                                        ; implicit-def: $sgpr10_sgpr11
                                        ; implicit-def: $sgpr24_sgpr25
                                        ; implicit-def: $sgpr28_sgpr29
                                        ; implicit-def: $sgpr26_sgpr27
                                        ; implicit-def: $sgpr30_sgpr31
                                        ; implicit-def: $sgpr36_sgpr37
	s_branch .LBB263_531
.LBB263_530:                            ;   in Loop: Header=BB263_531 Depth=1
	s_or_b64 exec, exec, s[40:41]
	s_and_b64 s[40:41], exec, s[28:29]
	s_or_b64 s[20:21], s[40:41], s[20:21]
	s_andn2_b64 s[36:37], s[36:37], exec
	s_and_b64 s[40:41], s[30:31], exec
	s_or_b64 s[36:37], s[36:37], s[40:41]
	s_andn2_b64 s[24:25], s[24:25], exec
	s_and_b64 s[40:41], s[26:27], exec
	s_andn2_b64 s[10:11], s[10:11], exec
	s_and_b64 s[38:39], s[38:39], exec
	s_or_b64 s[24:25], s[24:25], s[40:41]
	s_or_b64 s[10:11], s[10:11], s[38:39]
	s_andn2_b64 exec, exec, s[20:21]
	s_cbranch_execz .LBB263_533
.LBB263_531:                            ; =>This Inner Loop Header: Depth=1
	global_load_ubyte v20, v[8:9], off
	global_load_ubyte v21, v[10:11], off
	s_andn2_b64 s[30:31], s[30:31], exec
	s_or_b64 s[26:27], s[26:27], exec
	s_or_b64 s[28:29], s[28:29], exec
	s_waitcnt vmcnt(0)
	v_cmp_le_i16_sdwa s[40:41], sext(v20), sext(v21) src0_sel:BYTE_0 src1_sel:BYTE_0
	v_cmp_lt_i16_sdwa s[38:39], sext(v20), sext(v21) src0_sel:BYTE_0 src1_sel:BYTE_0
	s_and_b64 s[40:41], s[40:41], s[36:37]
	v_cmp_eq_u16_sdwa s[42:43], v20, v21 src0_sel:BYTE_0 src1_sel:BYTE_0
	s_or_b64 s[38:39], s[38:39], s[40:41]
	s_and_saveexec_b64 s[40:41], s[42:43]
	s_cbranch_execz .LBB263_530
; %bb.532:                              ;   in Loop: Header=BB263_531 Depth=1
	s_add_u32 s34, s34, -1
	s_addc_u32 s35, s35, -1
	v_add_co_u32_e32 v8, vcc, 1, v8
	s_cmp_eq_u64 s[34:35], 0
	v_addc_co_u32_e32 v9, vcc, 0, v9, vcc
	s_cselect_b64 s[36:37], -1, 0
	v_add_co_u32_e32 v10, vcc, 1, v10
	s_andn2_b64 s[30:31], s[30:31], exec
	s_and_b64 s[42:43], s[38:39], exec
	s_andn2_b64 s[28:29], s[28:29], exec
	s_and_b64 s[36:37], s[36:37], exec
	v_addc_co_u32_e32 v11, vcc, 0, v11, vcc
	s_or_b64 s[30:31], s[30:31], s[42:43]
	s_andn2_b64 s[26:27], s[26:27], exec
	s_or_b64 s[28:29], s[28:29], s[36:37]
                                        ; implicit-def: $sgpr36_sgpr37
	s_branch .LBB263_530
.LBB263_533:
	s_or_b64 exec, exec, s[20:21]
	s_and_saveexec_b64 s[20:21], s[24:25]
	s_xor_b64 s[20:21], exec, s[20:21]
	s_cbranch_execz .LBB263_535
; %bb.534:
	v_cndmask_b32_e64 v29, v1, v3, s[10:11]
	v_cndmask_b32_e64 v28, v0, v2, s[10:11]
	;; [unrolled: 1-line block ×4, first 2 shown]
	v_mov_b32_e32 v32, v4
	v_mov_b32_e32 v33, v5
	;; [unrolled: 1-line block ×4, first 2 shown]
	v_pk_mov_b32 v[0:1], v[28:29], v[28:29] op_sel:[0,1]
	v_pk_mov_b32 v[2:3], v[30:31], v[30:31] op_sel:[0,1]
	;; [unrolled: 1-line block ×4, first 2 shown]
.LBB263_535:
	s_or_b64 exec, exec, s[20:21]
.LBB263_536:
	s_or_b64 exec, exec, s[8:9]
	v_cmp_lt_u32_e64 s[8:9], 3, v19
	s_and_saveexec_b64 s[10:11], s[8:9]
	s_cbranch_execz .LBB263_545
; %bb.537:
	s_andn2_b64 vcc, exec, s[18:19]
	s_cbranch_vccnz .LBB263_545
; %bb.538:
	v_pk_mov_b32 v[10:11], s[14:15], s[14:15] op_sel:[0,1]
	v_mad_u64_u32 v[8:9], s[20:21], v6, s12, v[10:11]
	v_mul_lo_u32 v20, v6, s13
	v_mul_lo_u32 v21, v7, s12
	v_add3_u32 v9, v21, v9, v20
	v_mad_u64_u32 v[10:11], s[20:21], v4, s12, v[10:11]
	v_mul_lo_u32 v20, v4, s13
	v_mul_lo_u32 v21, v5, s12
	v_add3_u32 v11, v21, v11, v20
	s_mov_b64 s[24:25], 0
	s_mov_b64 s[36:37], s[12:13]
                                        ; implicit-def: $sgpr20_sgpr21
                                        ; implicit-def: $sgpr26_sgpr27
                                        ; implicit-def: $sgpr30_sgpr31
                                        ; implicit-def: $sgpr28_sgpr29
                                        ; implicit-def: $sgpr34_sgpr35
                                        ; implicit-def: $sgpr38_sgpr39
	s_branch .LBB263_540
.LBB263_539:                            ;   in Loop: Header=BB263_540 Depth=1
	s_or_b64 exec, exec, s[42:43]
	s_and_b64 s[42:43], exec, s[30:31]
	s_or_b64 s[24:25], s[42:43], s[24:25]
	s_andn2_b64 s[38:39], s[38:39], exec
	s_and_b64 s[42:43], s[34:35], exec
	s_or_b64 s[38:39], s[38:39], s[42:43]
	s_andn2_b64 s[26:27], s[26:27], exec
	s_and_b64 s[42:43], s[28:29], exec
	s_andn2_b64 s[20:21], s[20:21], exec
	s_and_b64 s[40:41], s[40:41], exec
	s_or_b64 s[26:27], s[26:27], s[42:43]
	s_or_b64 s[20:21], s[20:21], s[40:41]
	s_andn2_b64 exec, exec, s[24:25]
	s_cbranch_execz .LBB263_542
.LBB263_540:                            ; =>This Inner Loop Header: Depth=1
	global_load_ubyte v20, v[8:9], off
	global_load_ubyte v21, v[10:11], off
	s_andn2_b64 s[34:35], s[34:35], exec
	s_or_b64 s[28:29], s[28:29], exec
	s_or_b64 s[30:31], s[30:31], exec
	s_waitcnt vmcnt(0)
	v_cmp_le_i16_sdwa s[42:43], sext(v20), sext(v21) src0_sel:BYTE_0 src1_sel:BYTE_0
	v_cmp_lt_i16_sdwa s[40:41], sext(v20), sext(v21) src0_sel:BYTE_0 src1_sel:BYTE_0
	s_and_b64 s[42:43], s[42:43], s[38:39]
	v_cmp_eq_u16_sdwa s[44:45], v20, v21 src0_sel:BYTE_0 src1_sel:BYTE_0
	s_or_b64 s[40:41], s[40:41], s[42:43]
	s_and_saveexec_b64 s[42:43], s[44:45]
	s_cbranch_execz .LBB263_539
; %bb.541:                              ;   in Loop: Header=BB263_540 Depth=1
	s_add_u32 s36, s36, -1
	s_addc_u32 s37, s37, -1
	v_add_co_u32_e32 v8, vcc, 1, v8
	s_cmp_eq_u64 s[36:37], 0
	v_addc_co_u32_e32 v9, vcc, 0, v9, vcc
	s_cselect_b64 s[38:39], -1, 0
	v_add_co_u32_e32 v10, vcc, 1, v10
	s_andn2_b64 s[34:35], s[34:35], exec
	s_and_b64 s[44:45], s[40:41], exec
	s_andn2_b64 s[30:31], s[30:31], exec
	s_and_b64 s[38:39], s[38:39], exec
	v_addc_co_u32_e32 v11, vcc, 0, v11, vcc
	s_or_b64 s[34:35], s[34:35], s[44:45]
	s_andn2_b64 s[28:29], s[28:29], exec
	s_or_b64 s[30:31], s[30:31], s[38:39]
                                        ; implicit-def: $sgpr38_sgpr39
	s_branch .LBB263_539
.LBB263_542:
	s_or_b64 exec, exec, s[24:25]
	s_and_saveexec_b64 s[24:25], s[26:27]
	s_xor_b64 s[24:25], exec, s[24:25]
; %bb.543:
	v_cndmask_b32_e64 v8, v7, v5, s[20:21]
	v_cndmask_b32_e64 v9, v6, v4, s[20:21]
	;; [unrolled: 1-line block ×4, first 2 shown]
	v_mov_b32_e32 v6, v9
	v_mov_b32_e32 v7, v8
; %bb.544:
	s_or_b64 exec, exec, s[24:25]
.LBB263_545:
	s_or_b64 exec, exec, s[10:11]
	v_cmp_lt_u32_e64 s[10:11], 2, v19
	s_and_saveexec_b64 s[20:21], s[10:11]
	s_xor_b64 s[20:21], exec, s[20:21]
	s_cbranch_execz .LBB263_554
; %bb.546:
	s_andn2_b64 vcc, exec, s[18:19]
	s_cbranch_vccnz .LBB263_554
; %bb.547:
	v_pk_mov_b32 v[10:11], s[14:15], s[14:15] op_sel:[0,1]
	v_mad_u64_u32 v[8:9], s[24:25], v4, s12, v[10:11]
	v_mul_lo_u32 v19, v4, s13
	v_mul_lo_u32 v20, v5, s12
	v_add3_u32 v9, v20, v9, v19
	v_mad_u64_u32 v[10:11], s[24:25], v2, s12, v[10:11]
	v_mul_lo_u32 v19, v2, s13
	v_mul_lo_u32 v20, v3, s12
	v_add3_u32 v11, v20, v11, v19
	s_mov_b64 s[26:27], 0
	s_mov_b64 s[38:39], s[12:13]
                                        ; implicit-def: $sgpr24_sgpr25
                                        ; implicit-def: $sgpr28_sgpr29
                                        ; implicit-def: $sgpr34_sgpr35
                                        ; implicit-def: $sgpr30_sgpr31
                                        ; implicit-def: $sgpr36_sgpr37
                                        ; implicit-def: $sgpr40_sgpr41
	s_branch .LBB263_549
.LBB263_548:                            ;   in Loop: Header=BB263_549 Depth=1
	s_or_b64 exec, exec, s[44:45]
	s_and_b64 s[44:45], exec, s[34:35]
	s_or_b64 s[26:27], s[44:45], s[26:27]
	s_andn2_b64 s[40:41], s[40:41], exec
	s_and_b64 s[44:45], s[36:37], exec
	s_or_b64 s[40:41], s[40:41], s[44:45]
	s_andn2_b64 s[28:29], s[28:29], exec
	s_and_b64 s[44:45], s[30:31], exec
	s_andn2_b64 s[24:25], s[24:25], exec
	s_and_b64 s[42:43], s[42:43], exec
	s_or_b64 s[28:29], s[28:29], s[44:45]
	s_or_b64 s[24:25], s[24:25], s[42:43]
	s_andn2_b64 exec, exec, s[26:27]
	s_cbranch_execz .LBB263_551
.LBB263_549:                            ; =>This Inner Loop Header: Depth=1
	global_load_ubyte v19, v[8:9], off
	global_load_ubyte v20, v[10:11], off
	s_andn2_b64 s[36:37], s[36:37], exec
	s_or_b64 s[30:31], s[30:31], exec
	s_or_b64 s[34:35], s[34:35], exec
	s_waitcnt vmcnt(0)
	v_cmp_le_i16_sdwa s[44:45], sext(v19), sext(v20) src0_sel:BYTE_0 src1_sel:BYTE_0
	v_cmp_lt_i16_sdwa s[42:43], sext(v19), sext(v20) src0_sel:BYTE_0 src1_sel:BYTE_0
	s_and_b64 s[44:45], s[44:45], s[40:41]
	v_cmp_eq_u16_sdwa s[46:47], v19, v20 src0_sel:BYTE_0 src1_sel:BYTE_0
	s_or_b64 s[42:43], s[42:43], s[44:45]
	s_and_saveexec_b64 s[44:45], s[46:47]
	s_cbranch_execz .LBB263_548
; %bb.550:                              ;   in Loop: Header=BB263_549 Depth=1
	s_add_u32 s38, s38, -1
	s_addc_u32 s39, s39, -1
	v_add_co_u32_e32 v8, vcc, 1, v8
	s_cmp_eq_u64 s[38:39], 0
	v_addc_co_u32_e32 v9, vcc, 0, v9, vcc
	s_cselect_b64 s[40:41], -1, 0
	v_add_co_u32_e32 v10, vcc, 1, v10
	s_andn2_b64 s[36:37], s[36:37], exec
	s_and_b64 s[46:47], s[42:43], exec
	s_andn2_b64 s[34:35], s[34:35], exec
	s_and_b64 s[40:41], s[40:41], exec
	v_addc_co_u32_e32 v11, vcc, 0, v11, vcc
	s_or_b64 s[36:37], s[36:37], s[46:47]
	s_andn2_b64 s[30:31], s[30:31], exec
	s_or_b64 s[34:35], s[34:35], s[40:41]
                                        ; implicit-def: $sgpr40_sgpr41
	s_branch .LBB263_548
.LBB263_551:
	s_or_b64 exec, exec, s[26:27]
	s_and_saveexec_b64 s[26:27], s[28:29]
	s_xor_b64 s[26:27], exec, s[26:27]
; %bb.552:
	v_cndmask_b32_e64 v8, v5, v3, s[24:25]
	v_cndmask_b32_e64 v9, v4, v2, s[24:25]
	;; [unrolled: 1-line block ×4, first 2 shown]
	v_mov_b32_e32 v4, v9
	v_mov_b32_e32 v5, v8
; %bb.553:
	s_or_b64 exec, exec, s[26:27]
.LBB263_554:
	s_or_b64 exec, exec, s[20:21]
	s_and_saveexec_b64 s[20:21], s[6:7]
	s_cbranch_execz .LBB263_563
; %bb.555:
	s_andn2_b64 vcc, exec, s[18:19]
	s_cbranch_vccnz .LBB263_563
; %bb.556:
	v_pk_mov_b32 v[10:11], s[14:15], s[14:15] op_sel:[0,1]
	v_mad_u64_u32 v[8:9], s[6:7], v2, s12, v[10:11]
	v_mul_lo_u32 v19, v2, s13
	v_mul_lo_u32 v20, v3, s12
	v_add3_u32 v9, v20, v9, v19
	v_mad_u64_u32 v[10:11], s[6:7], v0, s12, v[10:11]
	v_mul_lo_u32 v19, v0, s13
	v_mul_lo_u32 v20, v1, s12
	v_add3_u32 v11, v20, v11, v19
	s_mov_b64 s[24:25], 0
	s_mov_b64 s[36:37], s[12:13]
                                        ; implicit-def: $sgpr6_sgpr7
                                        ; implicit-def: $sgpr26_sgpr27
                                        ; implicit-def: $sgpr30_sgpr31
                                        ; implicit-def: $sgpr28_sgpr29
                                        ; implicit-def: $sgpr34_sgpr35
                                        ; implicit-def: $sgpr38_sgpr39
	s_branch .LBB263_558
.LBB263_557:                            ;   in Loop: Header=BB263_558 Depth=1
	s_or_b64 exec, exec, s[42:43]
	s_and_b64 s[42:43], exec, s[30:31]
	s_or_b64 s[24:25], s[42:43], s[24:25]
	s_andn2_b64 s[38:39], s[38:39], exec
	s_and_b64 s[42:43], s[34:35], exec
	s_or_b64 s[38:39], s[38:39], s[42:43]
	s_andn2_b64 s[26:27], s[26:27], exec
	s_and_b64 s[42:43], s[28:29], exec
	s_andn2_b64 s[6:7], s[6:7], exec
	s_and_b64 s[40:41], s[40:41], exec
	s_or_b64 s[26:27], s[26:27], s[42:43]
	s_or_b64 s[6:7], s[6:7], s[40:41]
	s_andn2_b64 exec, exec, s[24:25]
	s_cbranch_execz .LBB263_560
.LBB263_558:                            ; =>This Inner Loop Header: Depth=1
	global_load_ubyte v19, v[8:9], off
	global_load_ubyte v20, v[10:11], off
	s_andn2_b64 s[34:35], s[34:35], exec
	s_or_b64 s[28:29], s[28:29], exec
	s_or_b64 s[30:31], s[30:31], exec
	s_waitcnt vmcnt(0)
	v_cmp_le_i16_sdwa s[42:43], sext(v19), sext(v20) src0_sel:BYTE_0 src1_sel:BYTE_0
	v_cmp_lt_i16_sdwa s[40:41], sext(v19), sext(v20) src0_sel:BYTE_0 src1_sel:BYTE_0
	s_and_b64 s[42:43], s[42:43], s[38:39]
	v_cmp_eq_u16_sdwa s[44:45], v19, v20 src0_sel:BYTE_0 src1_sel:BYTE_0
	s_or_b64 s[40:41], s[40:41], s[42:43]
	s_and_saveexec_b64 s[42:43], s[44:45]
	s_cbranch_execz .LBB263_557
; %bb.559:                              ;   in Loop: Header=BB263_558 Depth=1
	s_add_u32 s36, s36, -1
	s_addc_u32 s37, s37, -1
	v_add_co_u32_e32 v8, vcc, 1, v8
	s_cmp_eq_u64 s[36:37], 0
	v_addc_co_u32_e32 v9, vcc, 0, v9, vcc
	s_cselect_b64 s[38:39], -1, 0
	v_add_co_u32_e32 v10, vcc, 1, v10
	s_andn2_b64 s[34:35], s[34:35], exec
	s_and_b64 s[44:45], s[40:41], exec
	s_andn2_b64 s[30:31], s[30:31], exec
	s_and_b64 s[38:39], s[38:39], exec
	v_addc_co_u32_e32 v11, vcc, 0, v11, vcc
	s_or_b64 s[34:35], s[34:35], s[44:45]
	s_andn2_b64 s[28:29], s[28:29], exec
	s_or_b64 s[30:31], s[30:31], s[38:39]
                                        ; implicit-def: $sgpr38_sgpr39
	s_branch .LBB263_557
.LBB263_560:
	s_or_b64 exec, exec, s[24:25]
	s_and_saveexec_b64 s[24:25], s[26:27]
	s_xor_b64 s[24:25], exec, s[24:25]
	s_cbranch_execz .LBB263_562
; %bb.561:
	v_cndmask_b32_e64 v29, v1, v3, s[6:7]
	v_cndmask_b32_e64 v28, v0, v2, s[6:7]
	;; [unrolled: 1-line block ×4, first 2 shown]
	v_mov_b32_e32 v32, v4
	v_mov_b32_e32 v33, v5
	v_mov_b32_e32 v34, v6
	v_mov_b32_e32 v35, v7
	v_pk_mov_b32 v[0:1], v[28:29], v[28:29] op_sel:[0,1]
	v_pk_mov_b32 v[2:3], v[30:31], v[30:31] op_sel:[0,1]
	;; [unrolled: 1-line block ×4, first 2 shown]
.LBB263_562:
	s_or_b64 exec, exec, s[24:25]
.LBB263_563:
	s_or_b64 exec, exec, s[20:21]
	s_and_saveexec_b64 s[6:7], s[8:9]
	s_cbranch_execz .LBB263_572
; %bb.564:
	s_andn2_b64 vcc, exec, s[18:19]
	s_cbranch_vccnz .LBB263_572
; %bb.565:
	v_pk_mov_b32 v[10:11], s[14:15], s[14:15] op_sel:[0,1]
	v_mad_u64_u32 v[8:9], s[8:9], v6, s12, v[10:11]
	v_mul_lo_u32 v19, v6, s13
	v_mul_lo_u32 v20, v7, s12
	v_add3_u32 v9, v20, v9, v19
	v_mad_u64_u32 v[10:11], s[8:9], v4, s12, v[10:11]
	v_mul_lo_u32 v19, v4, s13
	v_mul_lo_u32 v20, v5, s12
	v_add3_u32 v11, v20, v11, v19
	s_mov_b64 s[20:21], 0
	s_mov_b64 s[34:35], s[12:13]
                                        ; implicit-def: $sgpr8_sgpr9
                                        ; implicit-def: $sgpr24_sgpr25
                                        ; implicit-def: $sgpr28_sgpr29
                                        ; implicit-def: $sgpr26_sgpr27
                                        ; implicit-def: $sgpr30_sgpr31
                                        ; implicit-def: $sgpr36_sgpr37
	s_branch .LBB263_567
.LBB263_566:                            ;   in Loop: Header=BB263_567 Depth=1
	s_or_b64 exec, exec, s[40:41]
	s_and_b64 s[40:41], exec, s[28:29]
	s_or_b64 s[20:21], s[40:41], s[20:21]
	s_andn2_b64 s[36:37], s[36:37], exec
	s_and_b64 s[40:41], s[30:31], exec
	s_or_b64 s[36:37], s[36:37], s[40:41]
	s_andn2_b64 s[24:25], s[24:25], exec
	s_and_b64 s[40:41], s[26:27], exec
	s_andn2_b64 s[8:9], s[8:9], exec
	s_and_b64 s[38:39], s[38:39], exec
	s_or_b64 s[24:25], s[24:25], s[40:41]
	s_or_b64 s[8:9], s[8:9], s[38:39]
	s_andn2_b64 exec, exec, s[20:21]
	s_cbranch_execz .LBB263_569
.LBB263_567:                            ; =>This Inner Loop Header: Depth=1
	global_load_ubyte v19, v[8:9], off
	global_load_ubyte v20, v[10:11], off
	s_andn2_b64 s[30:31], s[30:31], exec
	s_or_b64 s[26:27], s[26:27], exec
	s_or_b64 s[28:29], s[28:29], exec
	s_waitcnt vmcnt(0)
	v_cmp_le_i16_sdwa s[40:41], sext(v19), sext(v20) src0_sel:BYTE_0 src1_sel:BYTE_0
	v_cmp_lt_i16_sdwa s[38:39], sext(v19), sext(v20) src0_sel:BYTE_0 src1_sel:BYTE_0
	s_and_b64 s[40:41], s[40:41], s[36:37]
	v_cmp_eq_u16_sdwa s[42:43], v19, v20 src0_sel:BYTE_0 src1_sel:BYTE_0
	s_or_b64 s[38:39], s[38:39], s[40:41]
	s_and_saveexec_b64 s[40:41], s[42:43]
	s_cbranch_execz .LBB263_566
; %bb.568:                              ;   in Loop: Header=BB263_567 Depth=1
	s_add_u32 s34, s34, -1
	s_addc_u32 s35, s35, -1
	v_add_co_u32_e32 v8, vcc, 1, v8
	s_cmp_eq_u64 s[34:35], 0
	v_addc_co_u32_e32 v9, vcc, 0, v9, vcc
	s_cselect_b64 s[36:37], -1, 0
	v_add_co_u32_e32 v10, vcc, 1, v10
	s_andn2_b64 s[30:31], s[30:31], exec
	s_and_b64 s[42:43], s[38:39], exec
	s_andn2_b64 s[28:29], s[28:29], exec
	s_and_b64 s[36:37], s[36:37], exec
	v_addc_co_u32_e32 v11, vcc, 0, v11, vcc
	s_or_b64 s[30:31], s[30:31], s[42:43]
	s_andn2_b64 s[26:27], s[26:27], exec
	s_or_b64 s[28:29], s[28:29], s[36:37]
                                        ; implicit-def: $sgpr36_sgpr37
	s_branch .LBB263_566
.LBB263_569:
	s_or_b64 exec, exec, s[20:21]
	s_and_saveexec_b64 s[20:21], s[24:25]
	s_xor_b64 s[20:21], exec, s[20:21]
; %bb.570:
	v_cndmask_b32_e64 v8, v7, v5, s[8:9]
	v_cndmask_b32_e64 v9, v6, v4, s[8:9]
	;; [unrolled: 1-line block ×4, first 2 shown]
	v_mov_b32_e32 v6, v9
	v_mov_b32_e32 v7, v8
; %bb.571:
	s_or_b64 exec, exec, s[20:21]
.LBB263_572:
	s_or_b64 exec, exec, s[6:7]
	s_and_saveexec_b64 s[6:7], s[10:11]
	s_cbranch_execz .LBB263_581
; %bb.573:
	s_andn2_b64 vcc, exec, s[18:19]
	s_cbranch_vccnz .LBB263_581
; %bb.574:
	v_pk_mov_b32 v[10:11], s[14:15], s[14:15] op_sel:[0,1]
	v_mad_u64_u32 v[8:9], s[8:9], v4, s12, v[10:11]
	v_mul_lo_u32 v19, v4, s13
	v_mul_lo_u32 v20, v5, s12
	v_add3_u32 v9, v20, v9, v19
	v_mad_u64_u32 v[10:11], s[8:9], v2, s12, v[10:11]
	v_mul_lo_u32 v19, v2, s13
	v_mul_lo_u32 v20, v3, s12
	v_add3_u32 v11, v20, v11, v19
	s_mov_b64 s[10:11], 0
	s_mov_b64 s[30:31], s[12:13]
                                        ; implicit-def: $sgpr8_sgpr9
                                        ; implicit-def: $sgpr20_sgpr21
                                        ; implicit-def: $sgpr26_sgpr27
                                        ; implicit-def: $sgpr24_sgpr25
                                        ; implicit-def: $sgpr28_sgpr29
                                        ; implicit-def: $sgpr34_sgpr35
	s_branch .LBB263_576
.LBB263_575:                            ;   in Loop: Header=BB263_576 Depth=1
	s_or_b64 exec, exec, s[38:39]
	s_and_b64 s[38:39], exec, s[26:27]
	s_or_b64 s[10:11], s[38:39], s[10:11]
	s_andn2_b64 s[34:35], s[34:35], exec
	s_and_b64 s[38:39], s[28:29], exec
	s_or_b64 s[34:35], s[34:35], s[38:39]
	s_andn2_b64 s[20:21], s[20:21], exec
	s_and_b64 s[38:39], s[24:25], exec
	s_andn2_b64 s[8:9], s[8:9], exec
	s_and_b64 s[36:37], s[36:37], exec
	s_or_b64 s[20:21], s[20:21], s[38:39]
	s_or_b64 s[8:9], s[8:9], s[36:37]
	s_andn2_b64 exec, exec, s[10:11]
	s_cbranch_execz .LBB263_578
.LBB263_576:                            ; =>This Inner Loop Header: Depth=1
	global_load_ubyte v19, v[8:9], off
	global_load_ubyte v20, v[10:11], off
	s_andn2_b64 s[28:29], s[28:29], exec
	s_or_b64 s[24:25], s[24:25], exec
	s_or_b64 s[26:27], s[26:27], exec
	s_waitcnt vmcnt(0)
	v_cmp_le_i16_sdwa s[38:39], sext(v19), sext(v20) src0_sel:BYTE_0 src1_sel:BYTE_0
	v_cmp_lt_i16_sdwa s[36:37], sext(v19), sext(v20) src0_sel:BYTE_0 src1_sel:BYTE_0
	s_and_b64 s[38:39], s[38:39], s[34:35]
	v_cmp_eq_u16_sdwa s[40:41], v19, v20 src0_sel:BYTE_0 src1_sel:BYTE_0
	s_or_b64 s[36:37], s[36:37], s[38:39]
	s_and_saveexec_b64 s[38:39], s[40:41]
	s_cbranch_execz .LBB263_575
; %bb.577:                              ;   in Loop: Header=BB263_576 Depth=1
	s_add_u32 s30, s30, -1
	s_addc_u32 s31, s31, -1
	v_add_co_u32_e32 v8, vcc, 1, v8
	s_cmp_eq_u64 s[30:31], 0
	v_addc_co_u32_e32 v9, vcc, 0, v9, vcc
	s_cselect_b64 s[34:35], -1, 0
	v_add_co_u32_e32 v10, vcc, 1, v10
	s_andn2_b64 s[28:29], s[28:29], exec
	s_and_b64 s[40:41], s[36:37], exec
	s_andn2_b64 s[26:27], s[26:27], exec
	s_and_b64 s[34:35], s[34:35], exec
	v_addc_co_u32_e32 v11, vcc, 0, v11, vcc
	s_or_b64 s[28:29], s[28:29], s[40:41]
	s_andn2_b64 s[24:25], s[24:25], exec
	s_or_b64 s[26:27], s[26:27], s[34:35]
                                        ; implicit-def: $sgpr34_sgpr35
	s_branch .LBB263_575
.LBB263_578:
	s_or_b64 exec, exec, s[10:11]
	s_and_saveexec_b64 s[10:11], s[20:21]
	s_xor_b64 s[10:11], exec, s[10:11]
; %bb.579:
	v_cndmask_b32_e64 v8, v5, v3, s[8:9]
	v_cndmask_b32_e64 v9, v4, v2, s[8:9]
	;; [unrolled: 1-line block ×4, first 2 shown]
	v_mov_b32_e32 v4, v9
	v_mov_b32_e32 v5, v8
; %bb.580:
	s_or_b64 exec, exec, s[10:11]
.LBB263_581:
	s_or_b64 exec, exec, s[6:7]
	v_mbcnt_lo_u32_b32 v8, -1, 0
	v_mbcnt_hi_u32_b32 v8, -1, v8
	v_and_b32_e32 v9, 0xffffff00, v18
	v_lshlrev_b32_e32 v18, 3, v9
	v_lshlrev_b32_e32 v20, 2, v8
	v_sub_u32_e64 v19, s33, v9 clamp
	v_lshl_add_u32 v21, v8, 5, v18
	v_or_b32_e32 v8, 4, v20
	v_min_u32_e32 v22, v19, v8
	v_add_u32_e32 v8, 4, v22
	v_and_b32_e32 v28, 0x1f8, v20
	v_min_u32_e32 v23, v19, v8
	v_and_b32_e32 v8, 4, v20
	v_min_u32_e32 v29, v19, v8
	v_sub_u32_e32 v8, v22, v28
	v_sub_u32_e32 v9, v23, v22
	v_sub_u32_e64 v25, v29, v9 clamp
	v_min_u32_e32 v30, v29, v8
	v_lshl_add_u32 v24, v28, 3, v18
	v_cmp_lt_u32_e32 vcc, v25, v30
	ds_write_b128 v21, v[0:3]
	ds_write_b128 v21, v[4:7] offset:16
	; wave barrier
	s_and_saveexec_b64 s[8:9], vcc
	s_cbranch_execz .LBB263_591
; %bb.582:
	v_lshlrev_b32_e32 v8, 3, v22
	v_lshlrev_b32_e32 v9, 3, v29
	v_add3_u32 v31, v18, v8, v9
	v_cndmask_b32_e64 v8, 0, 1, s[18:19]
	s_mov_b64 s[10:11], 0
	v_cmp_ne_u32_e64 s[6:7], 1, v8
	s_branch .LBB263_585
.LBB263_583:                            ;   in Loop: Header=BB263_585 Depth=1
	s_or_b64 exec, exec, s[24:25]
.LBB263_584:                            ;   in Loop: Header=BB263_585 Depth=1
	v_add_u32_e32 v8, 1, v32
	v_cndmask_b32_e64 v30, v30, v32, s[20:21]
	v_cndmask_b32_e64 v25, v8, v25, s[20:21]
	v_cmp_ge_u32_e32 vcc, v25, v30
	s_or_b64 s[10:11], vcc, s[10:11]
	s_andn2_b64 exec, exec, s[10:11]
	s_cbranch_execz .LBB263_590
.LBB263_585:                            ; =>This Loop Header: Depth=1
                                        ;     Child Loop BB263_588 Depth 2
	v_add_u32_e32 v8, v30, v25
	v_lshrrev_b32_e32 v32, 1, v8
	s_and_b64 vcc, exec, s[6:7]
	s_mov_b64 s[20:21], 0
	s_cbranch_vccnz .LBB263_584
; %bb.586:                              ;   in Loop: Header=BB263_585 Depth=1
	v_not_b32_e32 v8, v32
	v_lshl_add_u32 v8, v8, 3, v31
	ds_read_b64 v[8:9], v8
	v_lshl_add_u32 v33, v32, 3, v24
	ds_read_b64 v[34:35], v33
	v_pk_mov_b32 v[10:11], s[14:15], s[14:15] op_sel:[0,1]
	s_mov_b64 s[24:25], 0
	s_waitcnt lgkmcnt(1)
	v_mul_lo_u32 v33, v8, s13
	v_mul_lo_u32 v36, v9, s12
	v_mad_u64_u32 v[8:9], s[20:21], v8, s12, v[10:11]
	v_add3_u32 v9, v36, v9, v33
	s_waitcnt lgkmcnt(0)
	v_mul_lo_u32 v33, v34, s13
	v_mul_lo_u32 v35, v35, s12
	v_mad_u64_u32 v[10:11], s[20:21], v34, s12, v[10:11]
	v_add3_u32 v11, v35, v11, v33
	s_mov_b64 s[30:31], s[12:13]
                                        ; implicit-def: $sgpr20_sgpr21
                                        ; implicit-def: $sgpr26_sgpr27
                                        ; implicit-def: $sgpr28_sgpr29
                                        ; implicit-def: $sgpr34_sgpr35
                                        ; implicit-def: $sgpr36_sgpr37
	s_branch .LBB263_588
.LBB263_587:                            ;   in Loop: Header=BB263_588 Depth=2
	s_or_b64 exec, exec, s[38:39]
	s_and_b64 s[38:39], exec, s[26:27]
	s_or_b64 s[24:25], s[38:39], s[24:25]
	s_andn2_b64 s[36:37], s[36:37], exec
	s_and_b64 s[38:39], s[28:29], exec
	s_or_b64 s[36:37], s[36:37], s[38:39]
	s_andn2_b64 s[20:21], s[20:21], exec
	s_and_b64 s[38:39], s[34:35], exec
	s_or_b64 s[20:21], s[20:21], s[38:39]
	s_andn2_b64 exec, exec, s[24:25]
	s_cbranch_execz .LBB263_583
.LBB263_588:                            ;   Parent Loop BB263_585 Depth=1
                                        ; =>  This Inner Loop Header: Depth=2
	global_load_ubyte v33, v[8:9], off
	global_load_ubyte v34, v[10:11], off
	s_andn2_b64 s[34:35], s[34:35], exec
	s_andn2_b64 s[28:29], s[28:29], exec
	s_or_b64 s[26:27], s[26:27], exec
	s_waitcnt vmcnt(0)
	v_cmp_le_i16_sdwa s[40:41], sext(v33), sext(v34) src0_sel:BYTE_0 src1_sel:BYTE_0
	v_cmp_lt_i16_sdwa s[38:39], sext(v33), sext(v34) src0_sel:BYTE_0 src1_sel:BYTE_0
	s_and_b64 s[40:41], s[40:41], s[36:37]
	s_or_b64 s[40:41], s[38:39], s[40:41]
	s_and_b64 s[38:39], s[40:41], exec
	v_cmp_eq_u16_sdwa s[42:43], v33, v34 src0_sel:BYTE_0 src1_sel:BYTE_0
	s_or_b64 s[34:35], s[34:35], s[38:39]
	s_and_saveexec_b64 s[38:39], s[42:43]
	s_cbranch_execz .LBB263_587
; %bb.589:                              ;   in Loop: Header=BB263_588 Depth=2
	s_add_u32 s30, s30, -1
	s_addc_u32 s31, s31, -1
	v_add_co_u32_e32 v8, vcc, 1, v8
	s_cmp_eq_u64 s[30:31], 0
	v_addc_co_u32_e32 v9, vcc, 0, v9, vcc
	s_cselect_b64 s[36:37], -1, 0
	v_add_co_u32_e32 v10, vcc, 1, v10
	s_andn2_b64 s[28:29], s[28:29], exec
	s_and_b64 s[40:41], s[40:41], exec
	s_andn2_b64 s[26:27], s[26:27], exec
	s_and_b64 s[36:37], s[36:37], exec
	v_addc_co_u32_e32 v11, vcc, 0, v11, vcc
	s_andn2_b64 s[34:35], s[34:35], exec
	s_or_b64 s[28:29], s[28:29], s[40:41]
	s_or_b64 s[26:27], s[26:27], s[36:37]
                                        ; implicit-def: $sgpr36_sgpr37
	s_branch .LBB263_587
.LBB263_590:
	s_or_b64 exec, exec, s[10:11]
.LBB263_591:
	s_or_b64 exec, exec, s[8:9]
	v_add_u32_e32 v9, v22, v29
	v_add_u32_e32 v8, v25, v28
	v_sub_u32_e32 v9, v9, v25
	v_cmp_le_u32_e32 vcc, v8, v22
	v_cmp_le_u32_e64 s[6:7], v9, v23
	s_or_b64 s[6:7], vcc, s[6:7]
	s_and_saveexec_b64 s[8:9], s[6:7]
	s_cbranch_execz .LBB263_638
; %bb.592:
	v_cmp_ge_u32_e32 vcc, v8, v22
	v_cmp_lt_u32_e64 s[6:7], v8, v22
                                        ; implicit-def: $vgpr0_vgpr1
	s_and_saveexec_b64 s[10:11], s[6:7]
	s_cbranch_execz .LBB263_594
; %bb.593:
	v_lshl_add_u32 v0, v25, 3, v24
	ds_read_b64 v[0:1], v0
.LBB263_594:
	s_or_b64 exec, exec, s[10:11]
	v_cmp_ge_u32_e64 s[10:11], v9, v23
	v_cmp_lt_u32_e64 s[6:7], v9, v23
                                        ; implicit-def: $vgpr2_vgpr3
	s_and_saveexec_b64 s[20:21], s[6:7]
	s_cbranch_execz .LBB263_596
; %bb.595:
	v_lshl_add_u32 v2, v9, 3, v18
	ds_read_b64 v[2:3], v2
.LBB263_596:
	s_or_b64 exec, exec, s[20:21]
	s_or_b64 s[20:21], vcc, s[10:11]
	s_mov_b64 s[6:7], -1
	s_xor_b64 s[24:25], s[20:21], -1
	s_and_saveexec_b64 s[20:21], s[24:25]
	s_cbranch_execz .LBB263_605
; %bb.597:
	s_andn2_b64 vcc, exec, s[18:19]
	s_cbranch_vccnz .LBB263_603
; %bb.598:
	v_pk_mov_b32 v[6:7], s[14:15], s[14:15] op_sel:[0,1]
	s_waitcnt lgkmcnt(0)
	v_mad_u64_u32 v[4:5], s[24:25], v2, s12, v[6:7]
	v_mul_lo_u32 v10, v2, s13
	v_mul_lo_u32 v11, v3, s12
	v_add3_u32 v5, v11, v5, v10
	v_mad_u64_u32 v[6:7], s[24:25], v0, s12, v[6:7]
	v_mul_lo_u32 v10, v0, s13
	v_mul_lo_u32 v11, v1, s12
	v_add3_u32 v7, v11, v7, v10
	s_mov_b64 s[24:25], 0
	s_mov_b64 s[34:35], s[12:13]
                                        ; implicit-def: $sgpr26_sgpr27
                                        ; implicit-def: $sgpr28_sgpr29
                                        ; implicit-def: $sgpr36_sgpr37
                                        ; implicit-def: $sgpr30_sgpr31
                                        ; implicit-def: $sgpr38_sgpr39
	s_branch .LBB263_600
.LBB263_599:                            ;   in Loop: Header=BB263_600 Depth=1
	s_or_b64 exec, exec, s[40:41]
	s_and_b64 s[40:41], exec, s[28:29]
	s_or_b64 s[24:25], s[40:41], s[24:25]
	s_andn2_b64 s[38:39], s[38:39], exec
	s_and_b64 s[40:41], s[30:31], exec
	s_or_b64 s[38:39], s[38:39], s[40:41]
	s_andn2_b64 s[26:27], s[26:27], exec
	s_and_b64 s[40:41], s[36:37], exec
	s_or_b64 s[26:27], s[26:27], s[40:41]
	s_andn2_b64 exec, exec, s[24:25]
	s_cbranch_execz .LBB263_602
.LBB263_600:                            ; =>This Inner Loop Header: Depth=1
	global_load_ubyte v10, v[4:5], off
	global_load_ubyte v11, v[6:7], off
	s_andn2_b64 s[36:37], s[36:37], exec
	s_andn2_b64 s[30:31], s[30:31], exec
	s_or_b64 s[28:29], s[28:29], exec
	s_waitcnt vmcnt(0)
	v_cmp_le_i16_sdwa s[42:43], sext(v10), sext(v11) src0_sel:BYTE_0 src1_sel:BYTE_0
	v_cmp_lt_i16_sdwa s[40:41], sext(v10), sext(v11) src0_sel:BYTE_0 src1_sel:BYTE_0
	s_and_b64 s[42:43], s[42:43], s[38:39]
	s_or_b64 s[42:43], s[40:41], s[42:43]
	s_and_b64 s[40:41], s[42:43], exec
	v_cmp_eq_u16_sdwa s[44:45], v10, v11 src0_sel:BYTE_0 src1_sel:BYTE_0
	s_or_b64 s[36:37], s[36:37], s[40:41]
	s_and_saveexec_b64 s[40:41], s[44:45]
	s_cbranch_execz .LBB263_599
; %bb.601:                              ;   in Loop: Header=BB263_600 Depth=1
	s_add_u32 s34, s34, -1
	s_addc_u32 s35, s35, -1
	v_add_co_u32_e32 v4, vcc, 1, v4
	s_cmp_eq_u64 s[34:35], 0
	v_addc_co_u32_e32 v5, vcc, 0, v5, vcc
	s_cselect_b64 s[38:39], -1, 0
	v_add_co_u32_e32 v6, vcc, 1, v6
	s_andn2_b64 s[30:31], s[30:31], exec
	s_and_b64 s[42:43], s[42:43], exec
	s_andn2_b64 s[28:29], s[28:29], exec
	s_and_b64 s[38:39], s[38:39], exec
	v_addc_co_u32_e32 v7, vcc, 0, v7, vcc
	s_or_b64 s[30:31], s[30:31], s[42:43]
	s_andn2_b64 s[36:37], s[36:37], exec
	s_or_b64 s[28:29], s[28:29], s[38:39]
                                        ; implicit-def: $sgpr38_sgpr39
	s_branch .LBB263_599
.LBB263_602:
	s_or_b64 exec, exec, s[24:25]
	s_xor_b64 s[24:25], s[26:27], -1
	s_branch .LBB263_604
.LBB263_603:
	s_mov_b64 s[24:25], -1
.LBB263_604:
	s_andn2_b64 s[10:11], s[10:11], exec
	s_and_b64 s[24:25], s[24:25], exec
	s_or_b64 s[10:11], s[10:11], s[24:25]
.LBB263_605:
	s_or_b64 exec, exec, s[20:21]
	v_cndmask_b32_e64 v4, v9, v8, s[10:11]
	v_cndmask_b32_e64 v5, v23, v22, s[10:11]
	v_add_u32_e32 v6, 1, v4
	v_add_u32_e32 v4, -1, v5
	v_min_u32_e32 v4, v6, v4
	v_lshl_add_u32 v4, v4, 3, v18
	ds_read_b64 v[4:5], v4
	v_cndmask_b32_e64 v9, v6, v9, s[10:11]
	v_cndmask_b32_e64 v8, v8, v6, s[10:11]
	v_cmp_lt_u32_e32 vcc, v9, v23
	s_waitcnt lgkmcnt(0)
	v_cndmask_b32_e64 v24, v5, v3, s[10:11]
	v_cndmask_b32_e64 v25, v4, v2, s[10:11]
	;; [unrolled: 1-line block ×4, first 2 shown]
	s_and_saveexec_b64 s[20:21], vcc
	s_cbranch_execz .LBB263_616
; %bb.606:
	v_cmp_lt_u32_e32 vcc, v8, v22
	s_mov_b64 s[24:25], 0
	s_and_saveexec_b64 s[6:7], vcc
	s_cbranch_execz .LBB263_615
; %bb.607:
	s_andn2_b64 vcc, exec, s[18:19]
	s_cbranch_vccnz .LBB263_613
; %bb.608:
	v_pk_mov_b32 v[6:7], s[14:15], s[14:15] op_sel:[0,1]
	v_mad_u64_u32 v[4:5], s[24:25], v25, s12, v[6:7]
	v_mul_lo_u32 v10, v25, s13
	v_mul_lo_u32 v11, v24, s12
	v_add3_u32 v5, v11, v5, v10
	v_mad_u64_u32 v[6:7], s[24:25], v29, s12, v[6:7]
	v_mul_lo_u32 v10, v29, s13
	v_mul_lo_u32 v11, v28, s12
	v_add3_u32 v7, v11, v7, v10
	s_mov_b64 s[24:25], 0
	s_mov_b64 s[34:35], s[12:13]
                                        ; implicit-def: $sgpr26_sgpr27
                                        ; implicit-def: $sgpr28_sgpr29
                                        ; implicit-def: $sgpr36_sgpr37
                                        ; implicit-def: $sgpr30_sgpr31
                                        ; implicit-def: $sgpr38_sgpr39
	s_branch .LBB263_610
.LBB263_609:                            ;   in Loop: Header=BB263_610 Depth=1
	s_or_b64 exec, exec, s[40:41]
	s_and_b64 s[40:41], exec, s[28:29]
	s_or_b64 s[24:25], s[40:41], s[24:25]
	s_andn2_b64 s[38:39], s[38:39], exec
	s_and_b64 s[40:41], s[30:31], exec
	s_or_b64 s[38:39], s[38:39], s[40:41]
	s_andn2_b64 s[26:27], s[26:27], exec
	s_and_b64 s[40:41], s[36:37], exec
	s_or_b64 s[26:27], s[26:27], s[40:41]
	s_andn2_b64 exec, exec, s[24:25]
	s_cbranch_execz .LBB263_612
.LBB263_610:                            ; =>This Inner Loop Header: Depth=1
	global_load_ubyte v10, v[4:5], off
	global_load_ubyte v11, v[6:7], off
	s_andn2_b64 s[36:37], s[36:37], exec
	s_andn2_b64 s[30:31], s[30:31], exec
	s_or_b64 s[28:29], s[28:29], exec
	s_waitcnt vmcnt(0)
	v_cmp_le_i16_sdwa s[42:43], sext(v10), sext(v11) src0_sel:BYTE_0 src1_sel:BYTE_0
	v_cmp_lt_i16_sdwa s[40:41], sext(v10), sext(v11) src0_sel:BYTE_0 src1_sel:BYTE_0
	s_and_b64 s[42:43], s[42:43], s[38:39]
	s_or_b64 s[42:43], s[40:41], s[42:43]
	s_and_b64 s[40:41], s[42:43], exec
	v_cmp_eq_u16_sdwa s[44:45], v10, v11 src0_sel:BYTE_0 src1_sel:BYTE_0
	s_or_b64 s[36:37], s[36:37], s[40:41]
	s_and_saveexec_b64 s[40:41], s[44:45]
	s_cbranch_execz .LBB263_609
; %bb.611:                              ;   in Loop: Header=BB263_610 Depth=1
	s_add_u32 s34, s34, -1
	s_addc_u32 s35, s35, -1
	v_add_co_u32_e32 v4, vcc, 1, v4
	s_cmp_eq_u64 s[34:35], 0
	v_addc_co_u32_e32 v5, vcc, 0, v5, vcc
	s_cselect_b64 s[38:39], -1, 0
	v_add_co_u32_e32 v6, vcc, 1, v6
	s_andn2_b64 s[30:31], s[30:31], exec
	s_and_b64 s[42:43], s[42:43], exec
	s_andn2_b64 s[28:29], s[28:29], exec
	s_and_b64 s[38:39], s[38:39], exec
	v_addc_co_u32_e32 v7, vcc, 0, v7, vcc
	s_or_b64 s[30:31], s[30:31], s[42:43]
	s_andn2_b64 s[36:37], s[36:37], exec
	s_or_b64 s[28:29], s[28:29], s[38:39]
                                        ; implicit-def: $sgpr38_sgpr39
	s_branch .LBB263_609
.LBB263_612:
	s_or_b64 exec, exec, s[24:25]
	s_xor_b64 s[24:25], s[26:27], -1
	s_branch .LBB263_614
.LBB263_613:
	s_mov_b64 s[24:25], -1
.LBB263_614:
	s_and_b64 s[24:25], s[24:25], exec
.LBB263_615:
	s_or_b64 exec, exec, s[6:7]
	s_orn2_b64 s[6:7], s[24:25], exec
.LBB263_616:
	s_or_b64 exec, exec, s[20:21]
	v_cndmask_b32_e64 v4, v9, v8, s[6:7]
	v_cndmask_b32_e64 v5, v23, v22, s[6:7]
	v_add_u32_e32 v6, 1, v4
	v_add_u32_e32 v4, -1, v5
	v_min_u32_e32 v4, v6, v4
	v_lshl_add_u32 v4, v4, 3, v18
	ds_read_b64 v[4:5], v4
	v_cndmask_b32_e64 v9, v6, v9, s[6:7]
	v_cndmask_b32_e64 v8, v8, v6, s[6:7]
	v_cmp_lt_u32_e32 vcc, v9, v23
	s_mov_b64 s[20:21], -1
	s_waitcnt lgkmcnt(0)
	v_cndmask_b32_e64 v30, v5, v24, s[6:7]
	v_cndmask_b32_e64 v31, v4, v25, s[6:7]
	v_cndmask_b32_e64 v32, v28, v5, s[6:7]
	v_cndmask_b32_e64 v33, v29, v4, s[6:7]
	s_and_saveexec_b64 s[24:25], vcc
	s_cbranch_execz .LBB263_627
; %bb.617:
	v_cmp_lt_u32_e32 vcc, v8, v22
	s_mov_b64 s[26:27], 0
	s_and_saveexec_b64 s[20:21], vcc
	s_cbranch_execz .LBB263_626
; %bb.618:
	s_andn2_b64 vcc, exec, s[18:19]
	s_cbranch_vccnz .LBB263_624
; %bb.619:
	v_pk_mov_b32 v[6:7], s[14:15], s[14:15] op_sel:[0,1]
	v_mad_u64_u32 v[4:5], s[26:27], v31, s12, v[6:7]
	v_mul_lo_u32 v10, v31, s13
	v_mul_lo_u32 v11, v30, s12
	v_add3_u32 v5, v11, v5, v10
	v_mad_u64_u32 v[6:7], s[26:27], v33, s12, v[6:7]
	v_mul_lo_u32 v10, v33, s13
	v_mul_lo_u32 v11, v32, s12
	v_add3_u32 v7, v11, v7, v10
	s_mov_b64 s[26:27], 0
	s_mov_b64 s[36:37], s[12:13]
                                        ; implicit-def: $sgpr28_sgpr29
                                        ; implicit-def: $sgpr30_sgpr31
                                        ; implicit-def: $sgpr38_sgpr39
                                        ; implicit-def: $sgpr34_sgpr35
                                        ; implicit-def: $sgpr40_sgpr41
	s_branch .LBB263_621
.LBB263_620:                            ;   in Loop: Header=BB263_621 Depth=1
	s_or_b64 exec, exec, s[42:43]
	s_and_b64 s[42:43], exec, s[30:31]
	s_or_b64 s[26:27], s[42:43], s[26:27]
	s_andn2_b64 s[40:41], s[40:41], exec
	s_and_b64 s[42:43], s[34:35], exec
	s_or_b64 s[40:41], s[40:41], s[42:43]
	s_andn2_b64 s[28:29], s[28:29], exec
	s_and_b64 s[42:43], s[38:39], exec
	s_or_b64 s[28:29], s[28:29], s[42:43]
	s_andn2_b64 exec, exec, s[26:27]
	s_cbranch_execz .LBB263_623
.LBB263_621:                            ; =>This Inner Loop Header: Depth=1
	global_load_ubyte v10, v[4:5], off
	global_load_ubyte v11, v[6:7], off
	s_andn2_b64 s[38:39], s[38:39], exec
	s_andn2_b64 s[34:35], s[34:35], exec
	s_or_b64 s[30:31], s[30:31], exec
	s_waitcnt vmcnt(0)
	v_cmp_le_i16_sdwa s[44:45], sext(v10), sext(v11) src0_sel:BYTE_0 src1_sel:BYTE_0
	v_cmp_lt_i16_sdwa s[42:43], sext(v10), sext(v11) src0_sel:BYTE_0 src1_sel:BYTE_0
	s_and_b64 s[44:45], s[44:45], s[40:41]
	s_or_b64 s[44:45], s[42:43], s[44:45]
	s_and_b64 s[42:43], s[44:45], exec
	v_cmp_eq_u16_sdwa s[46:47], v10, v11 src0_sel:BYTE_0 src1_sel:BYTE_0
	s_or_b64 s[38:39], s[38:39], s[42:43]
	s_and_saveexec_b64 s[42:43], s[46:47]
	s_cbranch_execz .LBB263_620
; %bb.622:                              ;   in Loop: Header=BB263_621 Depth=1
	s_add_u32 s36, s36, -1
	s_addc_u32 s37, s37, -1
	v_add_co_u32_e32 v4, vcc, 1, v4
	s_cmp_eq_u64 s[36:37], 0
	v_addc_co_u32_e32 v5, vcc, 0, v5, vcc
	s_cselect_b64 s[40:41], -1, 0
	v_add_co_u32_e32 v6, vcc, 1, v6
	s_andn2_b64 s[34:35], s[34:35], exec
	s_and_b64 s[44:45], s[44:45], exec
	s_andn2_b64 s[30:31], s[30:31], exec
	s_and_b64 s[40:41], s[40:41], exec
	v_addc_co_u32_e32 v7, vcc, 0, v7, vcc
	s_or_b64 s[34:35], s[34:35], s[44:45]
	s_andn2_b64 s[38:39], s[38:39], exec
	s_or_b64 s[30:31], s[30:31], s[40:41]
                                        ; implicit-def: $sgpr40_sgpr41
	s_branch .LBB263_620
.LBB263_623:
	s_or_b64 exec, exec, s[26:27]
	s_xor_b64 s[26:27], s[28:29], -1
	s_branch .LBB263_625
.LBB263_624:
	s_mov_b64 s[26:27], -1
.LBB263_625:
	s_and_b64 s[26:27], s[26:27], exec
.LBB263_626:
	s_or_b64 exec, exec, s[20:21]
	s_orn2_b64 s[20:21], s[26:27], exec
.LBB263_627:
	s_or_b64 exec, exec, s[24:25]
	v_cndmask_b32_e64 v4, v9, v8, s[20:21]
	v_cndmask_b32_e64 v5, v23, v22, s[20:21]
	v_add_u32_e32 v10, 1, v4
	v_add_u32_e32 v4, -1, v5
	v_min_u32_e32 v4, v10, v4
	v_lshl_add_u32 v4, v4, 3, v18
	ds_read_b64 v[4:5], v4
	v_cndmask_b32_e64 v9, v10, v9, s[20:21]
	v_cmp_lt_u32_e32 vcc, v9, v23
	s_waitcnt lgkmcnt(0)
	v_cndmask_b32_e64 v7, v32, v5, s[20:21]
	v_cndmask_b32_e64 v6, v33, v4, s[20:21]
	s_and_saveexec_b64 s[24:25], vcc
	s_cbranch_execz .LBB263_637
; %bb.628:
	v_cndmask_b32_e64 v8, v8, v10, s[20:21]
	v_cndmask_b32_e64 v5, v5, v30, s[20:21]
	;; [unrolled: 1-line block ×3, first 2 shown]
	v_cmp_lt_u32_e32 vcc, v8, v22
	s_and_saveexec_b64 s[26:27], vcc
	s_cbranch_execz .LBB263_636
; %bb.629:
	s_andn2_b64 vcc, exec, s[18:19]
	s_cbranch_vccnz .LBB263_635
; %bb.630:
	v_pk_mov_b32 v[10:11], s[14:15], s[14:15] op_sel:[0,1]
	v_mad_u64_u32 v[8:9], s[28:29], v4, s12, v[10:11]
	v_mul_lo_u32 v22, v4, s13
	v_mul_lo_u32 v23, v5, s12
	v_add3_u32 v9, v23, v9, v22
	v_mad_u64_u32 v[10:11], s[28:29], v6, s12, v[10:11]
	v_mul_lo_u32 v22, v6, s13
	v_mul_lo_u32 v23, v7, s12
	v_add3_u32 v11, v23, v11, v22
	s_mov_b64 s[28:29], 0
	s_mov_b64 s[38:39], s[12:13]
                                        ; implicit-def: $sgpr30_sgpr31
                                        ; implicit-def: $sgpr34_sgpr35
                                        ; implicit-def: $sgpr40_sgpr41
                                        ; implicit-def: $sgpr36_sgpr37
                                        ; implicit-def: $sgpr42_sgpr43
	s_branch .LBB263_632
.LBB263_631:                            ;   in Loop: Header=BB263_632 Depth=1
	s_or_b64 exec, exec, s[44:45]
	s_and_b64 s[44:45], exec, s[34:35]
	s_or_b64 s[28:29], s[44:45], s[28:29]
	s_andn2_b64 s[42:43], s[42:43], exec
	s_and_b64 s[44:45], s[36:37], exec
	s_or_b64 s[42:43], s[42:43], s[44:45]
	s_andn2_b64 s[30:31], s[30:31], exec
	s_and_b64 s[44:45], s[40:41], exec
	s_or_b64 s[30:31], s[30:31], s[44:45]
	s_andn2_b64 exec, exec, s[28:29]
	s_cbranch_execz .LBB263_634
.LBB263_632:                            ; =>This Inner Loop Header: Depth=1
	global_load_ubyte v22, v[8:9], off
	global_load_ubyte v23, v[10:11], off
	s_andn2_b64 s[40:41], s[40:41], exec
	s_andn2_b64 s[36:37], s[36:37], exec
	s_or_b64 s[34:35], s[34:35], exec
	s_waitcnt vmcnt(0)
	v_cmp_le_i16_sdwa s[46:47], sext(v22), sext(v23) src0_sel:BYTE_0 src1_sel:BYTE_0
	v_cmp_lt_i16_sdwa s[44:45], sext(v22), sext(v23) src0_sel:BYTE_0 src1_sel:BYTE_0
	s_and_b64 s[46:47], s[46:47], s[42:43]
	s_or_b64 s[46:47], s[44:45], s[46:47]
	s_and_b64 s[44:45], s[46:47], exec
	v_cmp_eq_u16_sdwa s[48:49], v22, v23 src0_sel:BYTE_0 src1_sel:BYTE_0
	s_or_b64 s[40:41], s[40:41], s[44:45]
	s_and_saveexec_b64 s[44:45], s[48:49]
	s_cbranch_execz .LBB263_631
; %bb.633:                              ;   in Loop: Header=BB263_632 Depth=1
	s_add_u32 s38, s38, -1
	s_addc_u32 s39, s39, -1
	v_add_co_u32_e32 v8, vcc, 1, v8
	s_cmp_eq_u64 s[38:39], 0
	v_addc_co_u32_e32 v9, vcc, 0, v9, vcc
	s_cselect_b64 s[42:43], -1, 0
	v_add_co_u32_e32 v10, vcc, 1, v10
	s_andn2_b64 s[36:37], s[36:37], exec
	s_and_b64 s[46:47], s[46:47], exec
	s_andn2_b64 s[34:35], s[34:35], exec
	s_and_b64 s[42:43], s[42:43], exec
	v_addc_co_u32_e32 v11, vcc, 0, v11, vcc
	s_or_b64 s[36:37], s[36:37], s[46:47]
	s_andn2_b64 s[40:41], s[40:41], exec
	s_or_b64 s[34:35], s[34:35], s[42:43]
                                        ; implicit-def: $sgpr42_sgpr43
	s_branch .LBB263_631
.LBB263_634:
	s_or_b64 exec, exec, s[28:29]
	v_cndmask_b32_e64 v7, v7, v5, s[30:31]
	v_cndmask_b32_e64 v6, v6, v4, s[30:31]
.LBB263_635:
	v_pk_mov_b32 v[4:5], v[6:7], v[6:7] op_sel:[0,1]
.LBB263_636:
	s_or_b64 exec, exec, s[26:27]
	v_pk_mov_b32 v[6:7], v[4:5], v[4:5] op_sel:[0,1]
.LBB263_637:
	s_or_b64 exec, exec, s[24:25]
	v_cndmask_b32_e64 v1, v3, v1, s[10:11]
	v_cndmask_b32_e64 v0, v2, v0, s[10:11]
	;; [unrolled: 1-line block ×6, first 2 shown]
.LBB263_638:
	s_or_b64 exec, exec, s[8:9]
	v_and_b32_e32 v28, 0x1f0, v20
	v_or_b32_e32 v8, 8, v28
	v_min_u32_e32 v22, v19, v8
	v_add_u32_e32 v8, 8, v22
	v_min_u32_e32 v23, v19, v8
	v_and_b32_e32 v8, 12, v20
	v_min_u32_e32 v29, v19, v8
	v_sub_u32_e32 v8, v22, v28
	v_sub_u32_e32 v9, v23, v22
	v_sub_u32_e64 v25, v29, v9 clamp
	v_min_u32_e32 v30, v29, v8
	v_lshl_add_u32 v24, v28, 3, v18
	v_cmp_lt_u32_e32 vcc, v25, v30
	; wave barrier
	ds_write_b128 v21, v[0:3]
	ds_write_b128 v21, v[4:7] offset:16
	; wave barrier
	s_and_saveexec_b64 s[8:9], vcc
	s_cbranch_execz .LBB263_648
; %bb.639:
	v_lshlrev_b32_e32 v8, 3, v22
	v_lshlrev_b32_e32 v9, 3, v29
	v_add3_u32 v31, v18, v8, v9
	v_cndmask_b32_e64 v8, 0, 1, s[18:19]
	s_mov_b64 s[10:11], 0
	v_cmp_ne_u32_e64 s[6:7], 1, v8
	s_branch .LBB263_642
.LBB263_640:                            ;   in Loop: Header=BB263_642 Depth=1
	s_or_b64 exec, exec, s[24:25]
.LBB263_641:                            ;   in Loop: Header=BB263_642 Depth=1
	v_add_u32_e32 v8, 1, v32
	v_cndmask_b32_e64 v30, v30, v32, s[20:21]
	v_cndmask_b32_e64 v25, v8, v25, s[20:21]
	v_cmp_ge_u32_e32 vcc, v25, v30
	s_or_b64 s[10:11], vcc, s[10:11]
	s_andn2_b64 exec, exec, s[10:11]
	s_cbranch_execz .LBB263_647
.LBB263_642:                            ; =>This Loop Header: Depth=1
                                        ;     Child Loop BB263_645 Depth 2
	v_add_u32_e32 v8, v30, v25
	v_lshrrev_b32_e32 v32, 1, v8
	s_and_b64 vcc, exec, s[6:7]
	s_mov_b64 s[20:21], 0
	s_cbranch_vccnz .LBB263_641
; %bb.643:                              ;   in Loop: Header=BB263_642 Depth=1
	v_not_b32_e32 v8, v32
	v_lshl_add_u32 v8, v8, 3, v31
	ds_read_b64 v[8:9], v8
	v_lshl_add_u32 v33, v32, 3, v24
	ds_read_b64 v[34:35], v33
	v_pk_mov_b32 v[10:11], s[14:15], s[14:15] op_sel:[0,1]
	s_mov_b64 s[24:25], 0
	s_waitcnt lgkmcnt(1)
	v_mul_lo_u32 v33, v8, s13
	v_mul_lo_u32 v36, v9, s12
	v_mad_u64_u32 v[8:9], s[20:21], v8, s12, v[10:11]
	v_add3_u32 v9, v36, v9, v33
	s_waitcnt lgkmcnt(0)
	v_mul_lo_u32 v33, v34, s13
	v_mul_lo_u32 v35, v35, s12
	v_mad_u64_u32 v[10:11], s[20:21], v34, s12, v[10:11]
	v_add3_u32 v11, v35, v11, v33
	s_mov_b64 s[30:31], s[12:13]
                                        ; implicit-def: $sgpr20_sgpr21
                                        ; implicit-def: $sgpr26_sgpr27
                                        ; implicit-def: $sgpr28_sgpr29
                                        ; implicit-def: $sgpr34_sgpr35
                                        ; implicit-def: $sgpr36_sgpr37
	s_branch .LBB263_645
.LBB263_644:                            ;   in Loop: Header=BB263_645 Depth=2
	s_or_b64 exec, exec, s[38:39]
	s_and_b64 s[38:39], exec, s[26:27]
	s_or_b64 s[24:25], s[38:39], s[24:25]
	s_andn2_b64 s[36:37], s[36:37], exec
	s_and_b64 s[38:39], s[28:29], exec
	s_or_b64 s[36:37], s[36:37], s[38:39]
	s_andn2_b64 s[20:21], s[20:21], exec
	s_and_b64 s[38:39], s[34:35], exec
	s_or_b64 s[20:21], s[20:21], s[38:39]
	s_andn2_b64 exec, exec, s[24:25]
	s_cbranch_execz .LBB263_640
.LBB263_645:                            ;   Parent Loop BB263_642 Depth=1
                                        ; =>  This Inner Loop Header: Depth=2
	global_load_ubyte v33, v[8:9], off
	global_load_ubyte v34, v[10:11], off
	s_andn2_b64 s[34:35], s[34:35], exec
	s_andn2_b64 s[28:29], s[28:29], exec
	s_or_b64 s[26:27], s[26:27], exec
	s_waitcnt vmcnt(0)
	v_cmp_le_i16_sdwa s[40:41], sext(v33), sext(v34) src0_sel:BYTE_0 src1_sel:BYTE_0
	v_cmp_lt_i16_sdwa s[38:39], sext(v33), sext(v34) src0_sel:BYTE_0 src1_sel:BYTE_0
	s_and_b64 s[40:41], s[40:41], s[36:37]
	s_or_b64 s[40:41], s[38:39], s[40:41]
	s_and_b64 s[38:39], s[40:41], exec
	v_cmp_eq_u16_sdwa s[42:43], v33, v34 src0_sel:BYTE_0 src1_sel:BYTE_0
	s_or_b64 s[34:35], s[34:35], s[38:39]
	s_and_saveexec_b64 s[38:39], s[42:43]
	s_cbranch_execz .LBB263_644
; %bb.646:                              ;   in Loop: Header=BB263_645 Depth=2
	s_add_u32 s30, s30, -1
	s_addc_u32 s31, s31, -1
	v_add_co_u32_e32 v8, vcc, 1, v8
	s_cmp_eq_u64 s[30:31], 0
	v_addc_co_u32_e32 v9, vcc, 0, v9, vcc
	s_cselect_b64 s[36:37], -1, 0
	v_add_co_u32_e32 v10, vcc, 1, v10
	s_andn2_b64 s[28:29], s[28:29], exec
	s_and_b64 s[40:41], s[40:41], exec
	s_andn2_b64 s[26:27], s[26:27], exec
	s_and_b64 s[36:37], s[36:37], exec
	v_addc_co_u32_e32 v11, vcc, 0, v11, vcc
	s_andn2_b64 s[34:35], s[34:35], exec
	s_or_b64 s[28:29], s[28:29], s[40:41]
	s_or_b64 s[26:27], s[26:27], s[36:37]
                                        ; implicit-def: $sgpr36_sgpr37
	s_branch .LBB263_644
.LBB263_647:
	s_or_b64 exec, exec, s[10:11]
.LBB263_648:
	s_or_b64 exec, exec, s[8:9]
	v_add_u32_e32 v9, v22, v29
	v_add_u32_e32 v8, v25, v28
	v_sub_u32_e32 v9, v9, v25
	v_cmp_le_u32_e32 vcc, v8, v22
	v_cmp_le_u32_e64 s[6:7], v9, v23
	s_or_b64 s[6:7], vcc, s[6:7]
	s_and_saveexec_b64 s[8:9], s[6:7]
	s_cbranch_execz .LBB263_695
; %bb.649:
	v_cmp_ge_u32_e32 vcc, v8, v22
	v_cmp_lt_u32_e64 s[6:7], v8, v22
                                        ; implicit-def: $vgpr0_vgpr1
	s_and_saveexec_b64 s[10:11], s[6:7]
	s_cbranch_execz .LBB263_651
; %bb.650:
	v_lshl_add_u32 v0, v25, 3, v24
	ds_read_b64 v[0:1], v0
.LBB263_651:
	s_or_b64 exec, exec, s[10:11]
	v_cmp_ge_u32_e64 s[10:11], v9, v23
	v_cmp_lt_u32_e64 s[6:7], v9, v23
                                        ; implicit-def: $vgpr2_vgpr3
	s_and_saveexec_b64 s[20:21], s[6:7]
	s_cbranch_execz .LBB263_653
; %bb.652:
	v_lshl_add_u32 v2, v9, 3, v18
	ds_read_b64 v[2:3], v2
.LBB263_653:
	s_or_b64 exec, exec, s[20:21]
	s_or_b64 s[20:21], vcc, s[10:11]
	s_mov_b64 s[6:7], -1
	s_xor_b64 s[24:25], s[20:21], -1
	s_and_saveexec_b64 s[20:21], s[24:25]
	s_cbranch_execz .LBB263_662
; %bb.654:
	s_andn2_b64 vcc, exec, s[18:19]
	s_cbranch_vccnz .LBB263_660
; %bb.655:
	v_pk_mov_b32 v[6:7], s[14:15], s[14:15] op_sel:[0,1]
	s_waitcnt lgkmcnt(0)
	v_mad_u64_u32 v[4:5], s[24:25], v2, s12, v[6:7]
	v_mul_lo_u32 v10, v2, s13
	v_mul_lo_u32 v11, v3, s12
	v_add3_u32 v5, v11, v5, v10
	v_mad_u64_u32 v[6:7], s[24:25], v0, s12, v[6:7]
	v_mul_lo_u32 v10, v0, s13
	v_mul_lo_u32 v11, v1, s12
	v_add3_u32 v7, v11, v7, v10
	s_mov_b64 s[24:25], 0
	s_mov_b64 s[34:35], s[12:13]
                                        ; implicit-def: $sgpr26_sgpr27
                                        ; implicit-def: $sgpr28_sgpr29
                                        ; implicit-def: $sgpr36_sgpr37
                                        ; implicit-def: $sgpr30_sgpr31
                                        ; implicit-def: $sgpr38_sgpr39
	s_branch .LBB263_657
.LBB263_656:                            ;   in Loop: Header=BB263_657 Depth=1
	s_or_b64 exec, exec, s[40:41]
	s_and_b64 s[40:41], exec, s[28:29]
	s_or_b64 s[24:25], s[40:41], s[24:25]
	s_andn2_b64 s[38:39], s[38:39], exec
	s_and_b64 s[40:41], s[30:31], exec
	s_or_b64 s[38:39], s[38:39], s[40:41]
	s_andn2_b64 s[26:27], s[26:27], exec
	s_and_b64 s[40:41], s[36:37], exec
	s_or_b64 s[26:27], s[26:27], s[40:41]
	s_andn2_b64 exec, exec, s[24:25]
	s_cbranch_execz .LBB263_659
.LBB263_657:                            ; =>This Inner Loop Header: Depth=1
	global_load_ubyte v10, v[4:5], off
	global_load_ubyte v11, v[6:7], off
	s_andn2_b64 s[36:37], s[36:37], exec
	s_andn2_b64 s[30:31], s[30:31], exec
	s_or_b64 s[28:29], s[28:29], exec
	s_waitcnt vmcnt(0)
	v_cmp_le_i16_sdwa s[42:43], sext(v10), sext(v11) src0_sel:BYTE_0 src1_sel:BYTE_0
	v_cmp_lt_i16_sdwa s[40:41], sext(v10), sext(v11) src0_sel:BYTE_0 src1_sel:BYTE_0
	s_and_b64 s[42:43], s[42:43], s[38:39]
	s_or_b64 s[42:43], s[40:41], s[42:43]
	s_and_b64 s[40:41], s[42:43], exec
	v_cmp_eq_u16_sdwa s[44:45], v10, v11 src0_sel:BYTE_0 src1_sel:BYTE_0
	s_or_b64 s[36:37], s[36:37], s[40:41]
	s_and_saveexec_b64 s[40:41], s[44:45]
	s_cbranch_execz .LBB263_656
; %bb.658:                              ;   in Loop: Header=BB263_657 Depth=1
	s_add_u32 s34, s34, -1
	s_addc_u32 s35, s35, -1
	v_add_co_u32_e32 v4, vcc, 1, v4
	s_cmp_eq_u64 s[34:35], 0
	v_addc_co_u32_e32 v5, vcc, 0, v5, vcc
	s_cselect_b64 s[38:39], -1, 0
	v_add_co_u32_e32 v6, vcc, 1, v6
	s_andn2_b64 s[30:31], s[30:31], exec
	s_and_b64 s[42:43], s[42:43], exec
	s_andn2_b64 s[28:29], s[28:29], exec
	s_and_b64 s[38:39], s[38:39], exec
	v_addc_co_u32_e32 v7, vcc, 0, v7, vcc
	s_or_b64 s[30:31], s[30:31], s[42:43]
	s_andn2_b64 s[36:37], s[36:37], exec
	s_or_b64 s[28:29], s[28:29], s[38:39]
                                        ; implicit-def: $sgpr38_sgpr39
	s_branch .LBB263_656
.LBB263_659:
	s_or_b64 exec, exec, s[24:25]
	s_xor_b64 s[24:25], s[26:27], -1
	s_branch .LBB263_661
.LBB263_660:
	s_mov_b64 s[24:25], -1
.LBB263_661:
	s_andn2_b64 s[10:11], s[10:11], exec
	s_and_b64 s[24:25], s[24:25], exec
	s_or_b64 s[10:11], s[10:11], s[24:25]
.LBB263_662:
	s_or_b64 exec, exec, s[20:21]
	v_cndmask_b32_e64 v4, v9, v8, s[10:11]
	v_cndmask_b32_e64 v5, v23, v22, s[10:11]
	v_add_u32_e32 v6, 1, v4
	v_add_u32_e32 v4, -1, v5
	v_min_u32_e32 v4, v6, v4
	v_lshl_add_u32 v4, v4, 3, v18
	ds_read_b64 v[4:5], v4
	v_cndmask_b32_e64 v9, v6, v9, s[10:11]
	v_cndmask_b32_e64 v8, v8, v6, s[10:11]
	v_cmp_lt_u32_e32 vcc, v9, v23
	s_waitcnt lgkmcnt(0)
	v_cndmask_b32_e64 v24, v5, v3, s[10:11]
	v_cndmask_b32_e64 v25, v4, v2, s[10:11]
	;; [unrolled: 1-line block ×4, first 2 shown]
	s_and_saveexec_b64 s[20:21], vcc
	s_cbranch_execz .LBB263_673
; %bb.663:
	v_cmp_lt_u32_e32 vcc, v8, v22
	s_mov_b64 s[24:25], 0
	s_and_saveexec_b64 s[6:7], vcc
	s_cbranch_execz .LBB263_672
; %bb.664:
	s_andn2_b64 vcc, exec, s[18:19]
	s_cbranch_vccnz .LBB263_670
; %bb.665:
	v_pk_mov_b32 v[6:7], s[14:15], s[14:15] op_sel:[0,1]
	v_mad_u64_u32 v[4:5], s[24:25], v25, s12, v[6:7]
	v_mul_lo_u32 v10, v25, s13
	v_mul_lo_u32 v11, v24, s12
	v_add3_u32 v5, v11, v5, v10
	v_mad_u64_u32 v[6:7], s[24:25], v29, s12, v[6:7]
	v_mul_lo_u32 v10, v29, s13
	v_mul_lo_u32 v11, v28, s12
	v_add3_u32 v7, v11, v7, v10
	s_mov_b64 s[24:25], 0
	s_mov_b64 s[34:35], s[12:13]
                                        ; implicit-def: $sgpr26_sgpr27
                                        ; implicit-def: $sgpr28_sgpr29
                                        ; implicit-def: $sgpr36_sgpr37
                                        ; implicit-def: $sgpr30_sgpr31
                                        ; implicit-def: $sgpr38_sgpr39
	s_branch .LBB263_667
.LBB263_666:                            ;   in Loop: Header=BB263_667 Depth=1
	s_or_b64 exec, exec, s[40:41]
	s_and_b64 s[40:41], exec, s[28:29]
	s_or_b64 s[24:25], s[40:41], s[24:25]
	s_andn2_b64 s[38:39], s[38:39], exec
	s_and_b64 s[40:41], s[30:31], exec
	s_or_b64 s[38:39], s[38:39], s[40:41]
	s_andn2_b64 s[26:27], s[26:27], exec
	s_and_b64 s[40:41], s[36:37], exec
	s_or_b64 s[26:27], s[26:27], s[40:41]
	s_andn2_b64 exec, exec, s[24:25]
	s_cbranch_execz .LBB263_669
.LBB263_667:                            ; =>This Inner Loop Header: Depth=1
	global_load_ubyte v10, v[4:5], off
	global_load_ubyte v11, v[6:7], off
	s_andn2_b64 s[36:37], s[36:37], exec
	s_andn2_b64 s[30:31], s[30:31], exec
	s_or_b64 s[28:29], s[28:29], exec
	s_waitcnt vmcnt(0)
	v_cmp_le_i16_sdwa s[42:43], sext(v10), sext(v11) src0_sel:BYTE_0 src1_sel:BYTE_0
	v_cmp_lt_i16_sdwa s[40:41], sext(v10), sext(v11) src0_sel:BYTE_0 src1_sel:BYTE_0
	s_and_b64 s[42:43], s[42:43], s[38:39]
	s_or_b64 s[42:43], s[40:41], s[42:43]
	s_and_b64 s[40:41], s[42:43], exec
	v_cmp_eq_u16_sdwa s[44:45], v10, v11 src0_sel:BYTE_0 src1_sel:BYTE_0
	s_or_b64 s[36:37], s[36:37], s[40:41]
	s_and_saveexec_b64 s[40:41], s[44:45]
	s_cbranch_execz .LBB263_666
; %bb.668:                              ;   in Loop: Header=BB263_667 Depth=1
	s_add_u32 s34, s34, -1
	s_addc_u32 s35, s35, -1
	v_add_co_u32_e32 v4, vcc, 1, v4
	s_cmp_eq_u64 s[34:35], 0
	v_addc_co_u32_e32 v5, vcc, 0, v5, vcc
	s_cselect_b64 s[38:39], -1, 0
	v_add_co_u32_e32 v6, vcc, 1, v6
	s_andn2_b64 s[30:31], s[30:31], exec
	s_and_b64 s[42:43], s[42:43], exec
	s_andn2_b64 s[28:29], s[28:29], exec
	s_and_b64 s[38:39], s[38:39], exec
	v_addc_co_u32_e32 v7, vcc, 0, v7, vcc
	s_or_b64 s[30:31], s[30:31], s[42:43]
	s_andn2_b64 s[36:37], s[36:37], exec
	s_or_b64 s[28:29], s[28:29], s[38:39]
                                        ; implicit-def: $sgpr38_sgpr39
	s_branch .LBB263_666
.LBB263_669:
	s_or_b64 exec, exec, s[24:25]
	s_xor_b64 s[24:25], s[26:27], -1
	s_branch .LBB263_671
.LBB263_670:
	s_mov_b64 s[24:25], -1
.LBB263_671:
	s_and_b64 s[24:25], s[24:25], exec
.LBB263_672:
	s_or_b64 exec, exec, s[6:7]
	s_orn2_b64 s[6:7], s[24:25], exec
.LBB263_673:
	s_or_b64 exec, exec, s[20:21]
	v_cndmask_b32_e64 v4, v9, v8, s[6:7]
	v_cndmask_b32_e64 v5, v23, v22, s[6:7]
	v_add_u32_e32 v6, 1, v4
	v_add_u32_e32 v4, -1, v5
	v_min_u32_e32 v4, v6, v4
	v_lshl_add_u32 v4, v4, 3, v18
	ds_read_b64 v[4:5], v4
	v_cndmask_b32_e64 v9, v6, v9, s[6:7]
	v_cndmask_b32_e64 v8, v8, v6, s[6:7]
	v_cmp_lt_u32_e32 vcc, v9, v23
	s_mov_b64 s[20:21], -1
	s_waitcnt lgkmcnt(0)
	v_cndmask_b32_e64 v30, v5, v24, s[6:7]
	v_cndmask_b32_e64 v31, v4, v25, s[6:7]
	;; [unrolled: 1-line block ×4, first 2 shown]
	s_and_saveexec_b64 s[24:25], vcc
	s_cbranch_execz .LBB263_684
; %bb.674:
	v_cmp_lt_u32_e32 vcc, v8, v22
	s_mov_b64 s[26:27], 0
	s_and_saveexec_b64 s[20:21], vcc
	s_cbranch_execz .LBB263_683
; %bb.675:
	s_andn2_b64 vcc, exec, s[18:19]
	s_cbranch_vccnz .LBB263_681
; %bb.676:
	v_pk_mov_b32 v[6:7], s[14:15], s[14:15] op_sel:[0,1]
	v_mad_u64_u32 v[4:5], s[26:27], v31, s12, v[6:7]
	v_mul_lo_u32 v10, v31, s13
	v_mul_lo_u32 v11, v30, s12
	v_add3_u32 v5, v11, v5, v10
	v_mad_u64_u32 v[6:7], s[26:27], v33, s12, v[6:7]
	v_mul_lo_u32 v10, v33, s13
	v_mul_lo_u32 v11, v32, s12
	v_add3_u32 v7, v11, v7, v10
	s_mov_b64 s[26:27], 0
	s_mov_b64 s[36:37], s[12:13]
                                        ; implicit-def: $sgpr28_sgpr29
                                        ; implicit-def: $sgpr30_sgpr31
                                        ; implicit-def: $sgpr38_sgpr39
                                        ; implicit-def: $sgpr34_sgpr35
                                        ; implicit-def: $sgpr40_sgpr41
	s_branch .LBB263_678
.LBB263_677:                            ;   in Loop: Header=BB263_678 Depth=1
	s_or_b64 exec, exec, s[42:43]
	s_and_b64 s[42:43], exec, s[30:31]
	s_or_b64 s[26:27], s[42:43], s[26:27]
	s_andn2_b64 s[40:41], s[40:41], exec
	s_and_b64 s[42:43], s[34:35], exec
	s_or_b64 s[40:41], s[40:41], s[42:43]
	s_andn2_b64 s[28:29], s[28:29], exec
	s_and_b64 s[42:43], s[38:39], exec
	s_or_b64 s[28:29], s[28:29], s[42:43]
	s_andn2_b64 exec, exec, s[26:27]
	s_cbranch_execz .LBB263_680
.LBB263_678:                            ; =>This Inner Loop Header: Depth=1
	global_load_ubyte v10, v[4:5], off
	global_load_ubyte v11, v[6:7], off
	s_andn2_b64 s[38:39], s[38:39], exec
	s_andn2_b64 s[34:35], s[34:35], exec
	s_or_b64 s[30:31], s[30:31], exec
	s_waitcnt vmcnt(0)
	v_cmp_le_i16_sdwa s[44:45], sext(v10), sext(v11) src0_sel:BYTE_0 src1_sel:BYTE_0
	v_cmp_lt_i16_sdwa s[42:43], sext(v10), sext(v11) src0_sel:BYTE_0 src1_sel:BYTE_0
	s_and_b64 s[44:45], s[44:45], s[40:41]
	s_or_b64 s[44:45], s[42:43], s[44:45]
	s_and_b64 s[42:43], s[44:45], exec
	v_cmp_eq_u16_sdwa s[46:47], v10, v11 src0_sel:BYTE_0 src1_sel:BYTE_0
	s_or_b64 s[38:39], s[38:39], s[42:43]
	s_and_saveexec_b64 s[42:43], s[46:47]
	s_cbranch_execz .LBB263_677
; %bb.679:                              ;   in Loop: Header=BB263_678 Depth=1
	s_add_u32 s36, s36, -1
	s_addc_u32 s37, s37, -1
	v_add_co_u32_e32 v4, vcc, 1, v4
	s_cmp_eq_u64 s[36:37], 0
	v_addc_co_u32_e32 v5, vcc, 0, v5, vcc
	s_cselect_b64 s[40:41], -1, 0
	v_add_co_u32_e32 v6, vcc, 1, v6
	s_andn2_b64 s[34:35], s[34:35], exec
	s_and_b64 s[44:45], s[44:45], exec
	s_andn2_b64 s[30:31], s[30:31], exec
	s_and_b64 s[40:41], s[40:41], exec
	v_addc_co_u32_e32 v7, vcc, 0, v7, vcc
	s_or_b64 s[34:35], s[34:35], s[44:45]
	s_andn2_b64 s[38:39], s[38:39], exec
	s_or_b64 s[30:31], s[30:31], s[40:41]
                                        ; implicit-def: $sgpr40_sgpr41
	s_branch .LBB263_677
.LBB263_680:
	s_or_b64 exec, exec, s[26:27]
	s_xor_b64 s[26:27], s[28:29], -1
	s_branch .LBB263_682
.LBB263_681:
	s_mov_b64 s[26:27], -1
.LBB263_682:
	s_and_b64 s[26:27], s[26:27], exec
.LBB263_683:
	s_or_b64 exec, exec, s[20:21]
	s_orn2_b64 s[20:21], s[26:27], exec
.LBB263_684:
	s_or_b64 exec, exec, s[24:25]
	v_cndmask_b32_e64 v4, v9, v8, s[20:21]
	v_cndmask_b32_e64 v5, v23, v22, s[20:21]
	v_add_u32_e32 v10, 1, v4
	v_add_u32_e32 v4, -1, v5
	v_min_u32_e32 v4, v10, v4
	v_lshl_add_u32 v4, v4, 3, v18
	ds_read_b64 v[4:5], v4
	v_cndmask_b32_e64 v9, v10, v9, s[20:21]
	v_cmp_lt_u32_e32 vcc, v9, v23
	s_waitcnt lgkmcnt(0)
	v_cndmask_b32_e64 v7, v32, v5, s[20:21]
	v_cndmask_b32_e64 v6, v33, v4, s[20:21]
	s_and_saveexec_b64 s[24:25], vcc
	s_cbranch_execz .LBB263_694
; %bb.685:
	v_cndmask_b32_e64 v8, v8, v10, s[20:21]
	v_cndmask_b32_e64 v5, v5, v30, s[20:21]
	;; [unrolled: 1-line block ×3, first 2 shown]
	v_cmp_lt_u32_e32 vcc, v8, v22
	s_and_saveexec_b64 s[26:27], vcc
	s_cbranch_execz .LBB263_693
; %bb.686:
	s_andn2_b64 vcc, exec, s[18:19]
	s_cbranch_vccnz .LBB263_692
; %bb.687:
	v_pk_mov_b32 v[10:11], s[14:15], s[14:15] op_sel:[0,1]
	v_mad_u64_u32 v[8:9], s[28:29], v4, s12, v[10:11]
	v_mul_lo_u32 v22, v4, s13
	v_mul_lo_u32 v23, v5, s12
	v_add3_u32 v9, v23, v9, v22
	v_mad_u64_u32 v[10:11], s[28:29], v6, s12, v[10:11]
	v_mul_lo_u32 v22, v6, s13
	v_mul_lo_u32 v23, v7, s12
	v_add3_u32 v11, v23, v11, v22
	s_mov_b64 s[28:29], 0
	s_mov_b64 s[38:39], s[12:13]
                                        ; implicit-def: $sgpr30_sgpr31
                                        ; implicit-def: $sgpr34_sgpr35
                                        ; implicit-def: $sgpr40_sgpr41
                                        ; implicit-def: $sgpr36_sgpr37
                                        ; implicit-def: $sgpr42_sgpr43
	s_branch .LBB263_689
.LBB263_688:                            ;   in Loop: Header=BB263_689 Depth=1
	s_or_b64 exec, exec, s[44:45]
	s_and_b64 s[44:45], exec, s[34:35]
	s_or_b64 s[28:29], s[44:45], s[28:29]
	s_andn2_b64 s[42:43], s[42:43], exec
	s_and_b64 s[44:45], s[36:37], exec
	s_or_b64 s[42:43], s[42:43], s[44:45]
	s_andn2_b64 s[30:31], s[30:31], exec
	s_and_b64 s[44:45], s[40:41], exec
	s_or_b64 s[30:31], s[30:31], s[44:45]
	s_andn2_b64 exec, exec, s[28:29]
	s_cbranch_execz .LBB263_691
.LBB263_689:                            ; =>This Inner Loop Header: Depth=1
	global_load_ubyte v22, v[8:9], off
	global_load_ubyte v23, v[10:11], off
	s_andn2_b64 s[40:41], s[40:41], exec
	s_andn2_b64 s[36:37], s[36:37], exec
	s_or_b64 s[34:35], s[34:35], exec
	s_waitcnt vmcnt(0)
	v_cmp_le_i16_sdwa s[46:47], sext(v22), sext(v23) src0_sel:BYTE_0 src1_sel:BYTE_0
	v_cmp_lt_i16_sdwa s[44:45], sext(v22), sext(v23) src0_sel:BYTE_0 src1_sel:BYTE_0
	s_and_b64 s[46:47], s[46:47], s[42:43]
	s_or_b64 s[46:47], s[44:45], s[46:47]
	s_and_b64 s[44:45], s[46:47], exec
	v_cmp_eq_u16_sdwa s[48:49], v22, v23 src0_sel:BYTE_0 src1_sel:BYTE_0
	s_or_b64 s[40:41], s[40:41], s[44:45]
	s_and_saveexec_b64 s[44:45], s[48:49]
	s_cbranch_execz .LBB263_688
; %bb.690:                              ;   in Loop: Header=BB263_689 Depth=1
	s_add_u32 s38, s38, -1
	s_addc_u32 s39, s39, -1
	v_add_co_u32_e32 v8, vcc, 1, v8
	s_cmp_eq_u64 s[38:39], 0
	v_addc_co_u32_e32 v9, vcc, 0, v9, vcc
	s_cselect_b64 s[42:43], -1, 0
	v_add_co_u32_e32 v10, vcc, 1, v10
	s_andn2_b64 s[36:37], s[36:37], exec
	s_and_b64 s[46:47], s[46:47], exec
	s_andn2_b64 s[34:35], s[34:35], exec
	s_and_b64 s[42:43], s[42:43], exec
	v_addc_co_u32_e32 v11, vcc, 0, v11, vcc
	s_or_b64 s[36:37], s[36:37], s[46:47]
	s_andn2_b64 s[40:41], s[40:41], exec
	s_or_b64 s[34:35], s[34:35], s[42:43]
                                        ; implicit-def: $sgpr42_sgpr43
	s_branch .LBB263_688
.LBB263_691:
	s_or_b64 exec, exec, s[28:29]
	v_cndmask_b32_e64 v7, v7, v5, s[30:31]
	v_cndmask_b32_e64 v6, v6, v4, s[30:31]
.LBB263_692:
	v_pk_mov_b32 v[4:5], v[6:7], v[6:7] op_sel:[0,1]
.LBB263_693:
	s_or_b64 exec, exec, s[26:27]
	v_pk_mov_b32 v[6:7], v[4:5], v[4:5] op_sel:[0,1]
.LBB263_694:
	s_or_b64 exec, exec, s[24:25]
	v_cndmask_b32_e64 v1, v3, v1, s[10:11]
	v_cndmask_b32_e64 v0, v2, v0, s[10:11]
	;; [unrolled: 1-line block ×6, first 2 shown]
.LBB263_695:
	s_or_b64 exec, exec, s[8:9]
	v_and_b32_e32 v28, 0x1e0, v20
	v_or_b32_e32 v8, 16, v28
	v_min_u32_e32 v22, v19, v8
	v_add_u32_e32 v8, 16, v22
	v_min_u32_e32 v23, v19, v8
	v_and_b32_e32 v8, 28, v20
	v_min_u32_e32 v29, v19, v8
	v_sub_u32_e32 v8, v22, v28
	v_sub_u32_e32 v9, v23, v22
	v_sub_u32_e64 v25, v29, v9 clamp
	v_min_u32_e32 v30, v29, v8
	v_lshl_add_u32 v24, v28, 3, v18
	v_cmp_lt_u32_e32 vcc, v25, v30
	; wave barrier
	ds_write_b128 v21, v[0:3]
	ds_write_b128 v21, v[4:7] offset:16
	; wave barrier
	s_and_saveexec_b64 s[8:9], vcc
	s_cbranch_execz .LBB263_705
; %bb.696:
	v_lshlrev_b32_e32 v8, 3, v22
	v_lshlrev_b32_e32 v9, 3, v29
	v_add3_u32 v31, v18, v8, v9
	v_cndmask_b32_e64 v8, 0, 1, s[18:19]
	s_mov_b64 s[10:11], 0
	v_cmp_ne_u32_e64 s[6:7], 1, v8
	s_branch .LBB263_699
.LBB263_697:                            ;   in Loop: Header=BB263_699 Depth=1
	s_or_b64 exec, exec, s[24:25]
.LBB263_698:                            ;   in Loop: Header=BB263_699 Depth=1
	v_add_u32_e32 v8, 1, v32
	v_cndmask_b32_e64 v30, v30, v32, s[20:21]
	v_cndmask_b32_e64 v25, v8, v25, s[20:21]
	v_cmp_ge_u32_e32 vcc, v25, v30
	s_or_b64 s[10:11], vcc, s[10:11]
	s_andn2_b64 exec, exec, s[10:11]
	s_cbranch_execz .LBB263_704
.LBB263_699:                            ; =>This Loop Header: Depth=1
                                        ;     Child Loop BB263_702 Depth 2
	v_add_u32_e32 v8, v30, v25
	v_lshrrev_b32_e32 v32, 1, v8
	s_and_b64 vcc, exec, s[6:7]
	s_mov_b64 s[20:21], 0
	s_cbranch_vccnz .LBB263_698
; %bb.700:                              ;   in Loop: Header=BB263_699 Depth=1
	v_not_b32_e32 v8, v32
	v_lshl_add_u32 v8, v8, 3, v31
	ds_read_b64 v[8:9], v8
	v_lshl_add_u32 v33, v32, 3, v24
	ds_read_b64 v[34:35], v33
	v_pk_mov_b32 v[10:11], s[14:15], s[14:15] op_sel:[0,1]
	s_mov_b64 s[24:25], 0
	s_waitcnt lgkmcnt(1)
	v_mul_lo_u32 v33, v8, s13
	v_mul_lo_u32 v36, v9, s12
	v_mad_u64_u32 v[8:9], s[20:21], v8, s12, v[10:11]
	v_add3_u32 v9, v36, v9, v33
	s_waitcnt lgkmcnt(0)
	v_mul_lo_u32 v33, v34, s13
	v_mul_lo_u32 v35, v35, s12
	v_mad_u64_u32 v[10:11], s[20:21], v34, s12, v[10:11]
	v_add3_u32 v11, v35, v11, v33
	s_mov_b64 s[30:31], s[12:13]
                                        ; implicit-def: $sgpr20_sgpr21
                                        ; implicit-def: $sgpr26_sgpr27
                                        ; implicit-def: $sgpr28_sgpr29
                                        ; implicit-def: $sgpr34_sgpr35
                                        ; implicit-def: $sgpr36_sgpr37
	s_branch .LBB263_702
.LBB263_701:                            ;   in Loop: Header=BB263_702 Depth=2
	s_or_b64 exec, exec, s[38:39]
	s_and_b64 s[38:39], exec, s[26:27]
	s_or_b64 s[24:25], s[38:39], s[24:25]
	s_andn2_b64 s[36:37], s[36:37], exec
	s_and_b64 s[38:39], s[28:29], exec
	s_or_b64 s[36:37], s[36:37], s[38:39]
	s_andn2_b64 s[20:21], s[20:21], exec
	s_and_b64 s[38:39], s[34:35], exec
	s_or_b64 s[20:21], s[20:21], s[38:39]
	s_andn2_b64 exec, exec, s[24:25]
	s_cbranch_execz .LBB263_697
.LBB263_702:                            ;   Parent Loop BB263_699 Depth=1
                                        ; =>  This Inner Loop Header: Depth=2
	global_load_ubyte v33, v[8:9], off
	global_load_ubyte v34, v[10:11], off
	s_andn2_b64 s[34:35], s[34:35], exec
	s_andn2_b64 s[28:29], s[28:29], exec
	s_or_b64 s[26:27], s[26:27], exec
	s_waitcnt vmcnt(0)
	v_cmp_le_i16_sdwa s[40:41], sext(v33), sext(v34) src0_sel:BYTE_0 src1_sel:BYTE_0
	v_cmp_lt_i16_sdwa s[38:39], sext(v33), sext(v34) src0_sel:BYTE_0 src1_sel:BYTE_0
	s_and_b64 s[40:41], s[40:41], s[36:37]
	s_or_b64 s[40:41], s[38:39], s[40:41]
	s_and_b64 s[38:39], s[40:41], exec
	v_cmp_eq_u16_sdwa s[42:43], v33, v34 src0_sel:BYTE_0 src1_sel:BYTE_0
	s_or_b64 s[34:35], s[34:35], s[38:39]
	s_and_saveexec_b64 s[38:39], s[42:43]
	s_cbranch_execz .LBB263_701
; %bb.703:                              ;   in Loop: Header=BB263_702 Depth=2
	s_add_u32 s30, s30, -1
	s_addc_u32 s31, s31, -1
	v_add_co_u32_e32 v8, vcc, 1, v8
	s_cmp_eq_u64 s[30:31], 0
	v_addc_co_u32_e32 v9, vcc, 0, v9, vcc
	s_cselect_b64 s[36:37], -1, 0
	v_add_co_u32_e32 v10, vcc, 1, v10
	s_andn2_b64 s[28:29], s[28:29], exec
	s_and_b64 s[40:41], s[40:41], exec
	s_andn2_b64 s[26:27], s[26:27], exec
	s_and_b64 s[36:37], s[36:37], exec
	v_addc_co_u32_e32 v11, vcc, 0, v11, vcc
	s_andn2_b64 s[34:35], s[34:35], exec
	s_or_b64 s[28:29], s[28:29], s[40:41]
	s_or_b64 s[26:27], s[26:27], s[36:37]
                                        ; implicit-def: $sgpr36_sgpr37
	s_branch .LBB263_701
.LBB263_704:
	s_or_b64 exec, exec, s[10:11]
.LBB263_705:
	s_or_b64 exec, exec, s[8:9]
	v_add_u32_e32 v9, v22, v29
	v_add_u32_e32 v8, v25, v28
	v_sub_u32_e32 v9, v9, v25
	v_cmp_le_u32_e32 vcc, v8, v22
	v_cmp_le_u32_e64 s[6:7], v9, v23
	s_or_b64 s[6:7], vcc, s[6:7]
	s_and_saveexec_b64 s[8:9], s[6:7]
	s_cbranch_execz .LBB263_752
; %bb.706:
	v_cmp_ge_u32_e32 vcc, v8, v22
	v_cmp_lt_u32_e64 s[6:7], v8, v22
                                        ; implicit-def: $vgpr0_vgpr1
	s_and_saveexec_b64 s[10:11], s[6:7]
	s_cbranch_execz .LBB263_708
; %bb.707:
	v_lshl_add_u32 v0, v25, 3, v24
	ds_read_b64 v[0:1], v0
.LBB263_708:
	s_or_b64 exec, exec, s[10:11]
	v_cmp_ge_u32_e64 s[10:11], v9, v23
	v_cmp_lt_u32_e64 s[6:7], v9, v23
                                        ; implicit-def: $vgpr2_vgpr3
	s_and_saveexec_b64 s[20:21], s[6:7]
	s_cbranch_execz .LBB263_710
; %bb.709:
	v_lshl_add_u32 v2, v9, 3, v18
	ds_read_b64 v[2:3], v2
.LBB263_710:
	s_or_b64 exec, exec, s[20:21]
	s_or_b64 s[20:21], vcc, s[10:11]
	s_mov_b64 s[6:7], -1
	s_xor_b64 s[24:25], s[20:21], -1
	s_and_saveexec_b64 s[20:21], s[24:25]
	s_cbranch_execz .LBB263_719
; %bb.711:
	s_andn2_b64 vcc, exec, s[18:19]
	s_cbranch_vccnz .LBB263_717
; %bb.712:
	v_pk_mov_b32 v[6:7], s[14:15], s[14:15] op_sel:[0,1]
	s_waitcnt lgkmcnt(0)
	v_mad_u64_u32 v[4:5], s[24:25], v2, s12, v[6:7]
	v_mul_lo_u32 v10, v2, s13
	v_mul_lo_u32 v11, v3, s12
	v_add3_u32 v5, v11, v5, v10
	v_mad_u64_u32 v[6:7], s[24:25], v0, s12, v[6:7]
	v_mul_lo_u32 v10, v0, s13
	v_mul_lo_u32 v11, v1, s12
	v_add3_u32 v7, v11, v7, v10
	s_mov_b64 s[24:25], 0
	s_mov_b64 s[34:35], s[12:13]
                                        ; implicit-def: $sgpr26_sgpr27
                                        ; implicit-def: $sgpr28_sgpr29
                                        ; implicit-def: $sgpr36_sgpr37
                                        ; implicit-def: $sgpr30_sgpr31
                                        ; implicit-def: $sgpr38_sgpr39
	s_branch .LBB263_714
.LBB263_713:                            ;   in Loop: Header=BB263_714 Depth=1
	s_or_b64 exec, exec, s[40:41]
	s_and_b64 s[40:41], exec, s[28:29]
	s_or_b64 s[24:25], s[40:41], s[24:25]
	s_andn2_b64 s[38:39], s[38:39], exec
	s_and_b64 s[40:41], s[30:31], exec
	s_or_b64 s[38:39], s[38:39], s[40:41]
	s_andn2_b64 s[26:27], s[26:27], exec
	s_and_b64 s[40:41], s[36:37], exec
	s_or_b64 s[26:27], s[26:27], s[40:41]
	s_andn2_b64 exec, exec, s[24:25]
	s_cbranch_execz .LBB263_716
.LBB263_714:                            ; =>This Inner Loop Header: Depth=1
	global_load_ubyte v10, v[4:5], off
	global_load_ubyte v11, v[6:7], off
	s_andn2_b64 s[36:37], s[36:37], exec
	s_andn2_b64 s[30:31], s[30:31], exec
	s_or_b64 s[28:29], s[28:29], exec
	s_waitcnt vmcnt(0)
	v_cmp_le_i16_sdwa s[42:43], sext(v10), sext(v11) src0_sel:BYTE_0 src1_sel:BYTE_0
	v_cmp_lt_i16_sdwa s[40:41], sext(v10), sext(v11) src0_sel:BYTE_0 src1_sel:BYTE_0
	s_and_b64 s[42:43], s[42:43], s[38:39]
	s_or_b64 s[42:43], s[40:41], s[42:43]
	s_and_b64 s[40:41], s[42:43], exec
	v_cmp_eq_u16_sdwa s[44:45], v10, v11 src0_sel:BYTE_0 src1_sel:BYTE_0
	s_or_b64 s[36:37], s[36:37], s[40:41]
	s_and_saveexec_b64 s[40:41], s[44:45]
	s_cbranch_execz .LBB263_713
; %bb.715:                              ;   in Loop: Header=BB263_714 Depth=1
	s_add_u32 s34, s34, -1
	s_addc_u32 s35, s35, -1
	v_add_co_u32_e32 v4, vcc, 1, v4
	s_cmp_eq_u64 s[34:35], 0
	v_addc_co_u32_e32 v5, vcc, 0, v5, vcc
	s_cselect_b64 s[38:39], -1, 0
	v_add_co_u32_e32 v6, vcc, 1, v6
	s_andn2_b64 s[30:31], s[30:31], exec
	s_and_b64 s[42:43], s[42:43], exec
	s_andn2_b64 s[28:29], s[28:29], exec
	s_and_b64 s[38:39], s[38:39], exec
	v_addc_co_u32_e32 v7, vcc, 0, v7, vcc
	s_or_b64 s[30:31], s[30:31], s[42:43]
	s_andn2_b64 s[36:37], s[36:37], exec
	s_or_b64 s[28:29], s[28:29], s[38:39]
                                        ; implicit-def: $sgpr38_sgpr39
	s_branch .LBB263_713
.LBB263_716:
	s_or_b64 exec, exec, s[24:25]
	s_xor_b64 s[24:25], s[26:27], -1
	s_branch .LBB263_718
.LBB263_717:
	s_mov_b64 s[24:25], -1
.LBB263_718:
	s_andn2_b64 s[10:11], s[10:11], exec
	s_and_b64 s[24:25], s[24:25], exec
	s_or_b64 s[10:11], s[10:11], s[24:25]
.LBB263_719:
	s_or_b64 exec, exec, s[20:21]
	v_cndmask_b32_e64 v4, v9, v8, s[10:11]
	v_cndmask_b32_e64 v5, v23, v22, s[10:11]
	v_add_u32_e32 v6, 1, v4
	v_add_u32_e32 v4, -1, v5
	v_min_u32_e32 v4, v6, v4
	v_lshl_add_u32 v4, v4, 3, v18
	ds_read_b64 v[4:5], v4
	v_cndmask_b32_e64 v9, v6, v9, s[10:11]
	v_cndmask_b32_e64 v8, v8, v6, s[10:11]
	v_cmp_lt_u32_e32 vcc, v9, v23
	s_waitcnt lgkmcnt(0)
	v_cndmask_b32_e64 v24, v5, v3, s[10:11]
	v_cndmask_b32_e64 v25, v4, v2, s[10:11]
	v_cndmask_b32_e64 v28, v1, v5, s[10:11]
	v_cndmask_b32_e64 v29, v0, v4, s[10:11]
	s_and_saveexec_b64 s[20:21], vcc
	s_cbranch_execz .LBB263_730
; %bb.720:
	v_cmp_lt_u32_e32 vcc, v8, v22
	s_mov_b64 s[24:25], 0
	s_and_saveexec_b64 s[6:7], vcc
	s_cbranch_execz .LBB263_729
; %bb.721:
	s_andn2_b64 vcc, exec, s[18:19]
	s_cbranch_vccnz .LBB263_727
; %bb.722:
	v_pk_mov_b32 v[6:7], s[14:15], s[14:15] op_sel:[0,1]
	v_mad_u64_u32 v[4:5], s[24:25], v25, s12, v[6:7]
	v_mul_lo_u32 v10, v25, s13
	v_mul_lo_u32 v11, v24, s12
	v_add3_u32 v5, v11, v5, v10
	v_mad_u64_u32 v[6:7], s[24:25], v29, s12, v[6:7]
	v_mul_lo_u32 v10, v29, s13
	v_mul_lo_u32 v11, v28, s12
	v_add3_u32 v7, v11, v7, v10
	s_mov_b64 s[24:25], 0
	s_mov_b64 s[34:35], s[12:13]
                                        ; implicit-def: $sgpr26_sgpr27
                                        ; implicit-def: $sgpr28_sgpr29
                                        ; implicit-def: $sgpr36_sgpr37
                                        ; implicit-def: $sgpr30_sgpr31
                                        ; implicit-def: $sgpr38_sgpr39
	s_branch .LBB263_724
.LBB263_723:                            ;   in Loop: Header=BB263_724 Depth=1
	s_or_b64 exec, exec, s[40:41]
	s_and_b64 s[40:41], exec, s[28:29]
	s_or_b64 s[24:25], s[40:41], s[24:25]
	s_andn2_b64 s[38:39], s[38:39], exec
	s_and_b64 s[40:41], s[30:31], exec
	s_or_b64 s[38:39], s[38:39], s[40:41]
	s_andn2_b64 s[26:27], s[26:27], exec
	s_and_b64 s[40:41], s[36:37], exec
	s_or_b64 s[26:27], s[26:27], s[40:41]
	s_andn2_b64 exec, exec, s[24:25]
	s_cbranch_execz .LBB263_726
.LBB263_724:                            ; =>This Inner Loop Header: Depth=1
	global_load_ubyte v10, v[4:5], off
	global_load_ubyte v11, v[6:7], off
	s_andn2_b64 s[36:37], s[36:37], exec
	s_andn2_b64 s[30:31], s[30:31], exec
	s_or_b64 s[28:29], s[28:29], exec
	s_waitcnt vmcnt(0)
	v_cmp_le_i16_sdwa s[42:43], sext(v10), sext(v11) src0_sel:BYTE_0 src1_sel:BYTE_0
	v_cmp_lt_i16_sdwa s[40:41], sext(v10), sext(v11) src0_sel:BYTE_0 src1_sel:BYTE_0
	s_and_b64 s[42:43], s[42:43], s[38:39]
	s_or_b64 s[42:43], s[40:41], s[42:43]
	s_and_b64 s[40:41], s[42:43], exec
	v_cmp_eq_u16_sdwa s[44:45], v10, v11 src0_sel:BYTE_0 src1_sel:BYTE_0
	s_or_b64 s[36:37], s[36:37], s[40:41]
	s_and_saveexec_b64 s[40:41], s[44:45]
	s_cbranch_execz .LBB263_723
; %bb.725:                              ;   in Loop: Header=BB263_724 Depth=1
	s_add_u32 s34, s34, -1
	s_addc_u32 s35, s35, -1
	v_add_co_u32_e32 v4, vcc, 1, v4
	s_cmp_eq_u64 s[34:35], 0
	v_addc_co_u32_e32 v5, vcc, 0, v5, vcc
	s_cselect_b64 s[38:39], -1, 0
	v_add_co_u32_e32 v6, vcc, 1, v6
	s_andn2_b64 s[30:31], s[30:31], exec
	s_and_b64 s[42:43], s[42:43], exec
	s_andn2_b64 s[28:29], s[28:29], exec
	s_and_b64 s[38:39], s[38:39], exec
	v_addc_co_u32_e32 v7, vcc, 0, v7, vcc
	s_or_b64 s[30:31], s[30:31], s[42:43]
	s_andn2_b64 s[36:37], s[36:37], exec
	s_or_b64 s[28:29], s[28:29], s[38:39]
                                        ; implicit-def: $sgpr38_sgpr39
	s_branch .LBB263_723
.LBB263_726:
	s_or_b64 exec, exec, s[24:25]
	s_xor_b64 s[24:25], s[26:27], -1
	s_branch .LBB263_728
.LBB263_727:
	s_mov_b64 s[24:25], -1
.LBB263_728:
	s_and_b64 s[24:25], s[24:25], exec
.LBB263_729:
	s_or_b64 exec, exec, s[6:7]
	s_orn2_b64 s[6:7], s[24:25], exec
.LBB263_730:
	s_or_b64 exec, exec, s[20:21]
	v_cndmask_b32_e64 v4, v9, v8, s[6:7]
	v_cndmask_b32_e64 v5, v23, v22, s[6:7]
	v_add_u32_e32 v6, 1, v4
	v_add_u32_e32 v4, -1, v5
	v_min_u32_e32 v4, v6, v4
	v_lshl_add_u32 v4, v4, 3, v18
	ds_read_b64 v[4:5], v4
	v_cndmask_b32_e64 v9, v6, v9, s[6:7]
	v_cndmask_b32_e64 v8, v8, v6, s[6:7]
	v_cmp_lt_u32_e32 vcc, v9, v23
	s_mov_b64 s[20:21], -1
	s_waitcnt lgkmcnt(0)
	v_cndmask_b32_e64 v30, v5, v24, s[6:7]
	v_cndmask_b32_e64 v31, v4, v25, s[6:7]
	;; [unrolled: 1-line block ×4, first 2 shown]
	s_and_saveexec_b64 s[24:25], vcc
	s_cbranch_execz .LBB263_741
; %bb.731:
	v_cmp_lt_u32_e32 vcc, v8, v22
	s_mov_b64 s[26:27], 0
	s_and_saveexec_b64 s[20:21], vcc
	s_cbranch_execz .LBB263_740
; %bb.732:
	s_andn2_b64 vcc, exec, s[18:19]
	s_cbranch_vccnz .LBB263_738
; %bb.733:
	v_pk_mov_b32 v[6:7], s[14:15], s[14:15] op_sel:[0,1]
	v_mad_u64_u32 v[4:5], s[26:27], v31, s12, v[6:7]
	v_mul_lo_u32 v10, v31, s13
	v_mul_lo_u32 v11, v30, s12
	v_add3_u32 v5, v11, v5, v10
	v_mad_u64_u32 v[6:7], s[26:27], v33, s12, v[6:7]
	v_mul_lo_u32 v10, v33, s13
	v_mul_lo_u32 v11, v32, s12
	v_add3_u32 v7, v11, v7, v10
	s_mov_b64 s[26:27], 0
	s_mov_b64 s[36:37], s[12:13]
                                        ; implicit-def: $sgpr28_sgpr29
                                        ; implicit-def: $sgpr30_sgpr31
                                        ; implicit-def: $sgpr38_sgpr39
                                        ; implicit-def: $sgpr34_sgpr35
                                        ; implicit-def: $sgpr40_sgpr41
	s_branch .LBB263_735
.LBB263_734:                            ;   in Loop: Header=BB263_735 Depth=1
	s_or_b64 exec, exec, s[42:43]
	s_and_b64 s[42:43], exec, s[30:31]
	s_or_b64 s[26:27], s[42:43], s[26:27]
	s_andn2_b64 s[40:41], s[40:41], exec
	s_and_b64 s[42:43], s[34:35], exec
	s_or_b64 s[40:41], s[40:41], s[42:43]
	s_andn2_b64 s[28:29], s[28:29], exec
	s_and_b64 s[42:43], s[38:39], exec
	s_or_b64 s[28:29], s[28:29], s[42:43]
	s_andn2_b64 exec, exec, s[26:27]
	s_cbranch_execz .LBB263_737
.LBB263_735:                            ; =>This Inner Loop Header: Depth=1
	global_load_ubyte v10, v[4:5], off
	global_load_ubyte v11, v[6:7], off
	s_andn2_b64 s[38:39], s[38:39], exec
	s_andn2_b64 s[34:35], s[34:35], exec
	s_or_b64 s[30:31], s[30:31], exec
	s_waitcnt vmcnt(0)
	v_cmp_le_i16_sdwa s[44:45], sext(v10), sext(v11) src0_sel:BYTE_0 src1_sel:BYTE_0
	v_cmp_lt_i16_sdwa s[42:43], sext(v10), sext(v11) src0_sel:BYTE_0 src1_sel:BYTE_0
	s_and_b64 s[44:45], s[44:45], s[40:41]
	s_or_b64 s[44:45], s[42:43], s[44:45]
	s_and_b64 s[42:43], s[44:45], exec
	v_cmp_eq_u16_sdwa s[46:47], v10, v11 src0_sel:BYTE_0 src1_sel:BYTE_0
	s_or_b64 s[38:39], s[38:39], s[42:43]
	s_and_saveexec_b64 s[42:43], s[46:47]
	s_cbranch_execz .LBB263_734
; %bb.736:                              ;   in Loop: Header=BB263_735 Depth=1
	s_add_u32 s36, s36, -1
	s_addc_u32 s37, s37, -1
	v_add_co_u32_e32 v4, vcc, 1, v4
	s_cmp_eq_u64 s[36:37], 0
	v_addc_co_u32_e32 v5, vcc, 0, v5, vcc
	s_cselect_b64 s[40:41], -1, 0
	v_add_co_u32_e32 v6, vcc, 1, v6
	s_andn2_b64 s[34:35], s[34:35], exec
	s_and_b64 s[44:45], s[44:45], exec
	s_andn2_b64 s[30:31], s[30:31], exec
	s_and_b64 s[40:41], s[40:41], exec
	v_addc_co_u32_e32 v7, vcc, 0, v7, vcc
	s_or_b64 s[34:35], s[34:35], s[44:45]
	s_andn2_b64 s[38:39], s[38:39], exec
	s_or_b64 s[30:31], s[30:31], s[40:41]
                                        ; implicit-def: $sgpr40_sgpr41
	s_branch .LBB263_734
.LBB263_737:
	s_or_b64 exec, exec, s[26:27]
	s_xor_b64 s[26:27], s[28:29], -1
	s_branch .LBB263_739
.LBB263_738:
	s_mov_b64 s[26:27], -1
.LBB263_739:
	s_and_b64 s[26:27], s[26:27], exec
.LBB263_740:
	s_or_b64 exec, exec, s[20:21]
	s_orn2_b64 s[20:21], s[26:27], exec
.LBB263_741:
	s_or_b64 exec, exec, s[24:25]
	v_cndmask_b32_e64 v4, v9, v8, s[20:21]
	v_cndmask_b32_e64 v5, v23, v22, s[20:21]
	v_add_u32_e32 v10, 1, v4
	v_add_u32_e32 v4, -1, v5
	v_min_u32_e32 v4, v10, v4
	v_lshl_add_u32 v4, v4, 3, v18
	ds_read_b64 v[4:5], v4
	v_cndmask_b32_e64 v9, v10, v9, s[20:21]
	v_cmp_lt_u32_e32 vcc, v9, v23
	s_waitcnt lgkmcnt(0)
	v_cndmask_b32_e64 v7, v32, v5, s[20:21]
	v_cndmask_b32_e64 v6, v33, v4, s[20:21]
	s_and_saveexec_b64 s[24:25], vcc
	s_cbranch_execz .LBB263_751
; %bb.742:
	v_cndmask_b32_e64 v8, v8, v10, s[20:21]
	v_cndmask_b32_e64 v5, v5, v30, s[20:21]
	;; [unrolled: 1-line block ×3, first 2 shown]
	v_cmp_lt_u32_e32 vcc, v8, v22
	s_and_saveexec_b64 s[26:27], vcc
	s_cbranch_execz .LBB263_750
; %bb.743:
	s_andn2_b64 vcc, exec, s[18:19]
	s_cbranch_vccnz .LBB263_749
; %bb.744:
	v_pk_mov_b32 v[10:11], s[14:15], s[14:15] op_sel:[0,1]
	v_mad_u64_u32 v[8:9], s[28:29], v4, s12, v[10:11]
	v_mul_lo_u32 v22, v4, s13
	v_mul_lo_u32 v23, v5, s12
	v_add3_u32 v9, v23, v9, v22
	v_mad_u64_u32 v[10:11], s[28:29], v6, s12, v[10:11]
	v_mul_lo_u32 v22, v6, s13
	v_mul_lo_u32 v23, v7, s12
	v_add3_u32 v11, v23, v11, v22
	s_mov_b64 s[28:29], 0
	s_mov_b64 s[38:39], s[12:13]
                                        ; implicit-def: $sgpr30_sgpr31
                                        ; implicit-def: $sgpr34_sgpr35
                                        ; implicit-def: $sgpr40_sgpr41
                                        ; implicit-def: $sgpr36_sgpr37
                                        ; implicit-def: $sgpr42_sgpr43
	s_branch .LBB263_746
.LBB263_745:                            ;   in Loop: Header=BB263_746 Depth=1
	s_or_b64 exec, exec, s[44:45]
	s_and_b64 s[44:45], exec, s[34:35]
	s_or_b64 s[28:29], s[44:45], s[28:29]
	s_andn2_b64 s[42:43], s[42:43], exec
	s_and_b64 s[44:45], s[36:37], exec
	s_or_b64 s[42:43], s[42:43], s[44:45]
	s_andn2_b64 s[30:31], s[30:31], exec
	s_and_b64 s[44:45], s[40:41], exec
	s_or_b64 s[30:31], s[30:31], s[44:45]
	s_andn2_b64 exec, exec, s[28:29]
	s_cbranch_execz .LBB263_748
.LBB263_746:                            ; =>This Inner Loop Header: Depth=1
	global_load_ubyte v22, v[8:9], off
	global_load_ubyte v23, v[10:11], off
	s_andn2_b64 s[40:41], s[40:41], exec
	s_andn2_b64 s[36:37], s[36:37], exec
	s_or_b64 s[34:35], s[34:35], exec
	s_waitcnt vmcnt(0)
	v_cmp_le_i16_sdwa s[46:47], sext(v22), sext(v23) src0_sel:BYTE_0 src1_sel:BYTE_0
	v_cmp_lt_i16_sdwa s[44:45], sext(v22), sext(v23) src0_sel:BYTE_0 src1_sel:BYTE_0
	s_and_b64 s[46:47], s[46:47], s[42:43]
	s_or_b64 s[46:47], s[44:45], s[46:47]
	s_and_b64 s[44:45], s[46:47], exec
	v_cmp_eq_u16_sdwa s[48:49], v22, v23 src0_sel:BYTE_0 src1_sel:BYTE_0
	s_or_b64 s[40:41], s[40:41], s[44:45]
	s_and_saveexec_b64 s[44:45], s[48:49]
	s_cbranch_execz .LBB263_745
; %bb.747:                              ;   in Loop: Header=BB263_746 Depth=1
	s_add_u32 s38, s38, -1
	s_addc_u32 s39, s39, -1
	v_add_co_u32_e32 v8, vcc, 1, v8
	s_cmp_eq_u64 s[38:39], 0
	v_addc_co_u32_e32 v9, vcc, 0, v9, vcc
	s_cselect_b64 s[42:43], -1, 0
	v_add_co_u32_e32 v10, vcc, 1, v10
	s_andn2_b64 s[36:37], s[36:37], exec
	s_and_b64 s[46:47], s[46:47], exec
	s_andn2_b64 s[34:35], s[34:35], exec
	s_and_b64 s[42:43], s[42:43], exec
	v_addc_co_u32_e32 v11, vcc, 0, v11, vcc
	s_or_b64 s[36:37], s[36:37], s[46:47]
	s_andn2_b64 s[40:41], s[40:41], exec
	s_or_b64 s[34:35], s[34:35], s[42:43]
                                        ; implicit-def: $sgpr42_sgpr43
	s_branch .LBB263_745
.LBB263_748:
	s_or_b64 exec, exec, s[28:29]
	v_cndmask_b32_e64 v7, v7, v5, s[30:31]
	v_cndmask_b32_e64 v6, v6, v4, s[30:31]
.LBB263_749:
	v_pk_mov_b32 v[4:5], v[6:7], v[6:7] op_sel:[0,1]
.LBB263_750:
	s_or_b64 exec, exec, s[26:27]
	v_pk_mov_b32 v[6:7], v[4:5], v[4:5] op_sel:[0,1]
.LBB263_751:
	s_or_b64 exec, exec, s[24:25]
	v_cndmask_b32_e64 v1, v3, v1, s[10:11]
	v_cndmask_b32_e64 v0, v2, v0, s[10:11]
	;; [unrolled: 1-line block ×6, first 2 shown]
.LBB263_752:
	s_or_b64 exec, exec, s[8:9]
	v_and_b32_e32 v23, 0x1c0, v20
	v_or_b32_e32 v8, 32, v23
	; wave barrier
	ds_write_b128 v21, v[0:3]
	ds_write_b128 v21, v[4:7] offset:16
	v_min_u32_e32 v21, v19, v8
	v_add_u32_e32 v8, 32, v21
	v_min_u32_e32 v22, v19, v8
	v_and_b32_e32 v8, 60, v20
	v_min_u32_e32 v24, v19, v8
	v_sub_u32_e32 v8, v21, v23
	v_sub_u32_e32 v9, v22, v21
	v_sub_u32_e64 v20, v24, v9 clamp
	v_min_u32_e32 v25, v24, v8
	v_lshl_add_u32 v19, v23, 3, v18
	v_cmp_lt_u32_e32 vcc, v20, v25
	; wave barrier
	s_and_saveexec_b64 s[8:9], vcc
	s_cbranch_execz .LBB263_762
; %bb.753:
	v_lshlrev_b32_e32 v8, 3, v21
	v_lshlrev_b32_e32 v9, 3, v24
	v_add3_u32 v28, v18, v8, v9
	v_cndmask_b32_e64 v8, 0, 1, s[18:19]
	s_mov_b64 s[10:11], 0
	v_cmp_ne_u32_e64 s[6:7], 1, v8
	s_branch .LBB263_756
.LBB263_754:                            ;   in Loop: Header=BB263_756 Depth=1
	s_or_b64 exec, exec, s[24:25]
.LBB263_755:                            ;   in Loop: Header=BB263_756 Depth=1
	v_add_u32_e32 v8, 1, v29
	v_cndmask_b32_e64 v25, v25, v29, s[20:21]
	v_cndmask_b32_e64 v20, v8, v20, s[20:21]
	v_cmp_ge_u32_e32 vcc, v20, v25
	s_or_b64 s[10:11], vcc, s[10:11]
	s_andn2_b64 exec, exec, s[10:11]
	s_cbranch_execz .LBB263_761
.LBB263_756:                            ; =>This Loop Header: Depth=1
                                        ;     Child Loop BB263_759 Depth 2
	v_add_u32_e32 v8, v25, v20
	v_lshrrev_b32_e32 v29, 1, v8
	s_and_b64 vcc, exec, s[6:7]
	s_mov_b64 s[20:21], 0
	s_cbranch_vccnz .LBB263_755
; %bb.757:                              ;   in Loop: Header=BB263_756 Depth=1
	v_not_b32_e32 v8, v29
	v_lshl_add_u32 v8, v8, 3, v28
	ds_read_b64 v[8:9], v8
	v_lshl_add_u32 v30, v29, 3, v19
	ds_read_b64 v[30:31], v30
	v_pk_mov_b32 v[10:11], s[14:15], s[14:15] op_sel:[0,1]
	s_mov_b64 s[24:25], 0
	s_waitcnt lgkmcnt(1)
	v_mul_lo_u32 v32, v8, s13
	v_mul_lo_u32 v33, v9, s12
	v_mad_u64_u32 v[8:9], s[20:21], v8, s12, v[10:11]
	v_add3_u32 v9, v33, v9, v32
	s_waitcnt lgkmcnt(0)
	v_mul_lo_u32 v32, v30, s13
	v_mul_lo_u32 v31, v31, s12
	v_mad_u64_u32 v[10:11], s[20:21], v30, s12, v[10:11]
	v_add3_u32 v11, v31, v11, v32
	s_mov_b64 s[30:31], s[12:13]
                                        ; implicit-def: $sgpr20_sgpr21
                                        ; implicit-def: $sgpr26_sgpr27
                                        ; implicit-def: $sgpr28_sgpr29
                                        ; implicit-def: $sgpr34_sgpr35
                                        ; implicit-def: $sgpr36_sgpr37
	s_branch .LBB263_759
.LBB263_758:                            ;   in Loop: Header=BB263_759 Depth=2
	s_or_b64 exec, exec, s[38:39]
	s_and_b64 s[38:39], exec, s[26:27]
	s_or_b64 s[24:25], s[38:39], s[24:25]
	s_andn2_b64 s[36:37], s[36:37], exec
	s_and_b64 s[38:39], s[28:29], exec
	s_or_b64 s[36:37], s[36:37], s[38:39]
	s_andn2_b64 s[20:21], s[20:21], exec
	s_and_b64 s[38:39], s[34:35], exec
	s_or_b64 s[20:21], s[20:21], s[38:39]
	s_andn2_b64 exec, exec, s[24:25]
	s_cbranch_execz .LBB263_754
.LBB263_759:                            ;   Parent Loop BB263_756 Depth=1
                                        ; =>  This Inner Loop Header: Depth=2
	global_load_ubyte v30, v[8:9], off
	global_load_ubyte v31, v[10:11], off
	s_andn2_b64 s[34:35], s[34:35], exec
	s_andn2_b64 s[28:29], s[28:29], exec
	s_or_b64 s[26:27], s[26:27], exec
	s_waitcnt vmcnt(0)
	v_cmp_le_i16_sdwa s[40:41], sext(v30), sext(v31) src0_sel:BYTE_0 src1_sel:BYTE_0
	v_cmp_lt_i16_sdwa s[38:39], sext(v30), sext(v31) src0_sel:BYTE_0 src1_sel:BYTE_0
	s_and_b64 s[40:41], s[40:41], s[36:37]
	s_or_b64 s[40:41], s[38:39], s[40:41]
	s_and_b64 s[38:39], s[40:41], exec
	v_cmp_eq_u16_sdwa s[42:43], v30, v31 src0_sel:BYTE_0 src1_sel:BYTE_0
	s_or_b64 s[34:35], s[34:35], s[38:39]
	s_and_saveexec_b64 s[38:39], s[42:43]
	s_cbranch_execz .LBB263_758
; %bb.760:                              ;   in Loop: Header=BB263_759 Depth=2
	s_add_u32 s30, s30, -1
	s_addc_u32 s31, s31, -1
	v_add_co_u32_e32 v8, vcc, 1, v8
	s_cmp_eq_u64 s[30:31], 0
	v_addc_co_u32_e32 v9, vcc, 0, v9, vcc
	s_cselect_b64 s[36:37], -1, 0
	v_add_co_u32_e32 v10, vcc, 1, v10
	s_andn2_b64 s[28:29], s[28:29], exec
	s_and_b64 s[40:41], s[40:41], exec
	s_andn2_b64 s[26:27], s[26:27], exec
	s_and_b64 s[36:37], s[36:37], exec
	v_addc_co_u32_e32 v11, vcc, 0, v11, vcc
	s_andn2_b64 s[34:35], s[34:35], exec
	s_or_b64 s[28:29], s[28:29], s[40:41]
	s_or_b64 s[26:27], s[26:27], s[36:37]
                                        ; implicit-def: $sgpr36_sgpr37
	s_branch .LBB263_758
.LBB263_761:
	s_or_b64 exec, exec, s[10:11]
.LBB263_762:
	s_or_b64 exec, exec, s[8:9]
	v_add_u32_e32 v9, v21, v24
	v_add_u32_e32 v8, v20, v23
	v_sub_u32_e32 v9, v9, v20
	v_cmp_le_u32_e32 vcc, v8, v21
	v_cmp_le_u32_e64 s[6:7], v9, v22
	s_or_b64 s[6:7], vcc, s[6:7]
	s_and_saveexec_b64 s[8:9], s[6:7]
	s_cbranch_execz .LBB263_809
; %bb.763:
	v_cmp_ge_u32_e32 vcc, v8, v21
	v_cmp_lt_u32_e64 s[6:7], v8, v21
                                        ; implicit-def: $vgpr0_vgpr1
	s_and_saveexec_b64 s[10:11], s[6:7]
	s_cbranch_execz .LBB263_765
; %bb.764:
	v_lshl_add_u32 v0, v20, 3, v19
	ds_read_b64 v[0:1], v0
.LBB263_765:
	s_or_b64 exec, exec, s[10:11]
	v_cmp_ge_u32_e64 s[10:11], v9, v22
	v_cmp_lt_u32_e64 s[6:7], v9, v22
                                        ; implicit-def: $vgpr2_vgpr3
	s_and_saveexec_b64 s[20:21], s[6:7]
	s_cbranch_execz .LBB263_767
; %bb.766:
	v_lshl_add_u32 v2, v9, 3, v18
	ds_read_b64 v[2:3], v2
.LBB263_767:
	s_or_b64 exec, exec, s[20:21]
	s_or_b64 s[20:21], vcc, s[10:11]
	s_mov_b64 s[6:7], -1
	s_xor_b64 s[24:25], s[20:21], -1
	s_and_saveexec_b64 s[20:21], s[24:25]
	s_cbranch_execz .LBB263_776
; %bb.768:
	s_andn2_b64 vcc, exec, s[18:19]
	s_cbranch_vccnz .LBB263_774
; %bb.769:
	v_pk_mov_b32 v[6:7], s[14:15], s[14:15] op_sel:[0,1]
	s_waitcnt lgkmcnt(0)
	v_mad_u64_u32 v[4:5], s[24:25], v2, s12, v[6:7]
	v_mul_lo_u32 v10, v2, s13
	v_mul_lo_u32 v11, v3, s12
	v_add3_u32 v5, v11, v5, v10
	v_mad_u64_u32 v[6:7], s[24:25], v0, s12, v[6:7]
	v_mul_lo_u32 v10, v0, s13
	v_mul_lo_u32 v11, v1, s12
	v_add3_u32 v7, v11, v7, v10
	s_mov_b64 s[24:25], 0
	s_mov_b64 s[34:35], s[12:13]
                                        ; implicit-def: $sgpr26_sgpr27
                                        ; implicit-def: $sgpr28_sgpr29
                                        ; implicit-def: $sgpr36_sgpr37
                                        ; implicit-def: $sgpr30_sgpr31
                                        ; implicit-def: $sgpr38_sgpr39
	s_branch .LBB263_771
.LBB263_770:                            ;   in Loop: Header=BB263_771 Depth=1
	s_or_b64 exec, exec, s[40:41]
	s_and_b64 s[40:41], exec, s[28:29]
	s_or_b64 s[24:25], s[40:41], s[24:25]
	s_andn2_b64 s[38:39], s[38:39], exec
	s_and_b64 s[40:41], s[30:31], exec
	s_or_b64 s[38:39], s[38:39], s[40:41]
	s_andn2_b64 s[26:27], s[26:27], exec
	s_and_b64 s[40:41], s[36:37], exec
	s_or_b64 s[26:27], s[26:27], s[40:41]
	s_andn2_b64 exec, exec, s[24:25]
	s_cbranch_execz .LBB263_773
.LBB263_771:                            ; =>This Inner Loop Header: Depth=1
	global_load_ubyte v10, v[4:5], off
	global_load_ubyte v11, v[6:7], off
	s_andn2_b64 s[36:37], s[36:37], exec
	s_andn2_b64 s[30:31], s[30:31], exec
	s_or_b64 s[28:29], s[28:29], exec
	s_waitcnt vmcnt(0)
	v_cmp_le_i16_sdwa s[42:43], sext(v10), sext(v11) src0_sel:BYTE_0 src1_sel:BYTE_0
	v_cmp_lt_i16_sdwa s[40:41], sext(v10), sext(v11) src0_sel:BYTE_0 src1_sel:BYTE_0
	s_and_b64 s[42:43], s[42:43], s[38:39]
	s_or_b64 s[42:43], s[40:41], s[42:43]
	s_and_b64 s[40:41], s[42:43], exec
	v_cmp_eq_u16_sdwa s[44:45], v10, v11 src0_sel:BYTE_0 src1_sel:BYTE_0
	s_or_b64 s[36:37], s[36:37], s[40:41]
	s_and_saveexec_b64 s[40:41], s[44:45]
	s_cbranch_execz .LBB263_770
; %bb.772:                              ;   in Loop: Header=BB263_771 Depth=1
	s_add_u32 s34, s34, -1
	s_addc_u32 s35, s35, -1
	v_add_co_u32_e32 v4, vcc, 1, v4
	s_cmp_eq_u64 s[34:35], 0
	v_addc_co_u32_e32 v5, vcc, 0, v5, vcc
	s_cselect_b64 s[38:39], -1, 0
	v_add_co_u32_e32 v6, vcc, 1, v6
	s_andn2_b64 s[30:31], s[30:31], exec
	s_and_b64 s[42:43], s[42:43], exec
	s_andn2_b64 s[28:29], s[28:29], exec
	s_and_b64 s[38:39], s[38:39], exec
	v_addc_co_u32_e32 v7, vcc, 0, v7, vcc
	s_or_b64 s[30:31], s[30:31], s[42:43]
	s_andn2_b64 s[36:37], s[36:37], exec
	s_or_b64 s[28:29], s[28:29], s[38:39]
                                        ; implicit-def: $sgpr38_sgpr39
	s_branch .LBB263_770
.LBB263_773:
	s_or_b64 exec, exec, s[24:25]
	s_xor_b64 s[24:25], s[26:27], -1
	s_branch .LBB263_775
.LBB263_774:
	s_mov_b64 s[24:25], -1
.LBB263_775:
	s_andn2_b64 s[10:11], s[10:11], exec
	s_and_b64 s[24:25], s[24:25], exec
	s_or_b64 s[10:11], s[10:11], s[24:25]
.LBB263_776:
	s_or_b64 exec, exec, s[20:21]
	v_cndmask_b32_e64 v4, v9, v8, s[10:11]
	v_cndmask_b32_e64 v5, v22, v21, s[10:11]
	v_add_u32_e32 v6, 1, v4
	v_add_u32_e32 v4, -1, v5
	v_min_u32_e32 v4, v6, v4
	v_lshl_add_u32 v4, v4, 3, v18
	ds_read_b64 v[4:5], v4
	v_cndmask_b32_e64 v9, v6, v9, s[10:11]
	v_cndmask_b32_e64 v8, v8, v6, s[10:11]
	v_cmp_lt_u32_e32 vcc, v9, v22
	s_waitcnt lgkmcnt(0)
	v_cndmask_b32_e64 v19, v5, v3, s[10:11]
	v_cndmask_b32_e64 v20, v4, v2, s[10:11]
	;; [unrolled: 1-line block ×4, first 2 shown]
	s_and_saveexec_b64 s[20:21], vcc
	s_cbranch_execz .LBB263_787
; %bb.777:
	v_cmp_lt_u32_e32 vcc, v8, v21
	s_mov_b64 s[24:25], 0
	s_and_saveexec_b64 s[6:7], vcc
	s_cbranch_execz .LBB263_786
; %bb.778:
	s_andn2_b64 vcc, exec, s[18:19]
	s_cbranch_vccnz .LBB263_784
; %bb.779:
	v_pk_mov_b32 v[6:7], s[14:15], s[14:15] op_sel:[0,1]
	v_mad_u64_u32 v[4:5], s[24:25], v20, s12, v[6:7]
	v_mul_lo_u32 v10, v20, s13
	v_mul_lo_u32 v11, v19, s12
	v_add3_u32 v5, v11, v5, v10
	v_mad_u64_u32 v[6:7], s[24:25], v24, s12, v[6:7]
	v_mul_lo_u32 v10, v24, s13
	v_mul_lo_u32 v11, v23, s12
	v_add3_u32 v7, v11, v7, v10
	s_mov_b64 s[24:25], 0
	s_mov_b64 s[34:35], s[12:13]
                                        ; implicit-def: $sgpr26_sgpr27
                                        ; implicit-def: $sgpr28_sgpr29
                                        ; implicit-def: $sgpr36_sgpr37
                                        ; implicit-def: $sgpr30_sgpr31
                                        ; implicit-def: $sgpr38_sgpr39
	s_branch .LBB263_781
.LBB263_780:                            ;   in Loop: Header=BB263_781 Depth=1
	s_or_b64 exec, exec, s[40:41]
	s_and_b64 s[40:41], exec, s[28:29]
	s_or_b64 s[24:25], s[40:41], s[24:25]
	s_andn2_b64 s[38:39], s[38:39], exec
	s_and_b64 s[40:41], s[30:31], exec
	s_or_b64 s[38:39], s[38:39], s[40:41]
	s_andn2_b64 s[26:27], s[26:27], exec
	s_and_b64 s[40:41], s[36:37], exec
	s_or_b64 s[26:27], s[26:27], s[40:41]
	s_andn2_b64 exec, exec, s[24:25]
	s_cbranch_execz .LBB263_783
.LBB263_781:                            ; =>This Inner Loop Header: Depth=1
	global_load_ubyte v10, v[4:5], off
	global_load_ubyte v11, v[6:7], off
	s_andn2_b64 s[36:37], s[36:37], exec
	s_andn2_b64 s[30:31], s[30:31], exec
	s_or_b64 s[28:29], s[28:29], exec
	s_waitcnt vmcnt(0)
	v_cmp_le_i16_sdwa s[42:43], sext(v10), sext(v11) src0_sel:BYTE_0 src1_sel:BYTE_0
	v_cmp_lt_i16_sdwa s[40:41], sext(v10), sext(v11) src0_sel:BYTE_0 src1_sel:BYTE_0
	s_and_b64 s[42:43], s[42:43], s[38:39]
	s_or_b64 s[42:43], s[40:41], s[42:43]
	s_and_b64 s[40:41], s[42:43], exec
	v_cmp_eq_u16_sdwa s[44:45], v10, v11 src0_sel:BYTE_0 src1_sel:BYTE_0
	s_or_b64 s[36:37], s[36:37], s[40:41]
	s_and_saveexec_b64 s[40:41], s[44:45]
	s_cbranch_execz .LBB263_780
; %bb.782:                              ;   in Loop: Header=BB263_781 Depth=1
	s_add_u32 s34, s34, -1
	s_addc_u32 s35, s35, -1
	v_add_co_u32_e32 v4, vcc, 1, v4
	s_cmp_eq_u64 s[34:35], 0
	v_addc_co_u32_e32 v5, vcc, 0, v5, vcc
	s_cselect_b64 s[38:39], -1, 0
	v_add_co_u32_e32 v6, vcc, 1, v6
	s_andn2_b64 s[30:31], s[30:31], exec
	s_and_b64 s[42:43], s[42:43], exec
	s_andn2_b64 s[28:29], s[28:29], exec
	s_and_b64 s[38:39], s[38:39], exec
	v_addc_co_u32_e32 v7, vcc, 0, v7, vcc
	s_or_b64 s[30:31], s[30:31], s[42:43]
	s_andn2_b64 s[36:37], s[36:37], exec
	s_or_b64 s[28:29], s[28:29], s[38:39]
                                        ; implicit-def: $sgpr38_sgpr39
	s_branch .LBB263_780
.LBB263_783:
	s_or_b64 exec, exec, s[24:25]
	s_xor_b64 s[24:25], s[26:27], -1
	s_branch .LBB263_785
.LBB263_784:
	s_mov_b64 s[24:25], -1
.LBB263_785:
	s_and_b64 s[24:25], s[24:25], exec
.LBB263_786:
	s_or_b64 exec, exec, s[6:7]
	s_orn2_b64 s[6:7], s[24:25], exec
.LBB263_787:
	s_or_b64 exec, exec, s[20:21]
	v_cndmask_b32_e64 v4, v9, v8, s[6:7]
	v_cndmask_b32_e64 v5, v22, v21, s[6:7]
	v_add_u32_e32 v6, 1, v4
	v_add_u32_e32 v4, -1, v5
	v_min_u32_e32 v4, v6, v4
	v_lshl_add_u32 v4, v4, 3, v18
	ds_read_b64 v[4:5], v4
	v_cndmask_b32_e64 v9, v6, v9, s[6:7]
	v_cndmask_b32_e64 v8, v8, v6, s[6:7]
	v_cmp_lt_u32_e32 vcc, v9, v22
	s_mov_b64 s[20:21], -1
	s_waitcnt lgkmcnt(0)
	v_cndmask_b32_e64 v25, v5, v19, s[6:7]
	v_cndmask_b32_e64 v28, v4, v20, s[6:7]
	;; [unrolled: 1-line block ×4, first 2 shown]
	s_and_saveexec_b64 s[24:25], vcc
	s_cbranch_execz .LBB263_798
; %bb.788:
	v_cmp_lt_u32_e32 vcc, v8, v21
	s_mov_b64 s[26:27], 0
	s_and_saveexec_b64 s[20:21], vcc
	s_cbranch_execz .LBB263_797
; %bb.789:
	s_andn2_b64 vcc, exec, s[18:19]
	s_cbranch_vccnz .LBB263_795
; %bb.790:
	v_pk_mov_b32 v[6:7], s[14:15], s[14:15] op_sel:[0,1]
	v_mad_u64_u32 v[4:5], s[26:27], v28, s12, v[6:7]
	v_mul_lo_u32 v10, v28, s13
	v_mul_lo_u32 v11, v25, s12
	v_add3_u32 v5, v11, v5, v10
	v_mad_u64_u32 v[6:7], s[26:27], v30, s12, v[6:7]
	v_mul_lo_u32 v10, v30, s13
	v_mul_lo_u32 v11, v29, s12
	v_add3_u32 v7, v11, v7, v10
	s_mov_b64 s[26:27], 0
	s_mov_b64 s[36:37], s[12:13]
                                        ; implicit-def: $sgpr28_sgpr29
                                        ; implicit-def: $sgpr30_sgpr31
                                        ; implicit-def: $sgpr38_sgpr39
                                        ; implicit-def: $sgpr34_sgpr35
                                        ; implicit-def: $sgpr40_sgpr41
	s_branch .LBB263_792
.LBB263_791:                            ;   in Loop: Header=BB263_792 Depth=1
	s_or_b64 exec, exec, s[42:43]
	s_and_b64 s[42:43], exec, s[30:31]
	s_or_b64 s[26:27], s[42:43], s[26:27]
	s_andn2_b64 s[40:41], s[40:41], exec
	s_and_b64 s[42:43], s[34:35], exec
	s_or_b64 s[40:41], s[40:41], s[42:43]
	s_andn2_b64 s[28:29], s[28:29], exec
	s_and_b64 s[42:43], s[38:39], exec
	s_or_b64 s[28:29], s[28:29], s[42:43]
	s_andn2_b64 exec, exec, s[26:27]
	s_cbranch_execz .LBB263_794
.LBB263_792:                            ; =>This Inner Loop Header: Depth=1
	global_load_ubyte v10, v[4:5], off
	global_load_ubyte v11, v[6:7], off
	s_andn2_b64 s[38:39], s[38:39], exec
	s_andn2_b64 s[34:35], s[34:35], exec
	s_or_b64 s[30:31], s[30:31], exec
	s_waitcnt vmcnt(0)
	v_cmp_le_i16_sdwa s[44:45], sext(v10), sext(v11) src0_sel:BYTE_0 src1_sel:BYTE_0
	v_cmp_lt_i16_sdwa s[42:43], sext(v10), sext(v11) src0_sel:BYTE_0 src1_sel:BYTE_0
	s_and_b64 s[44:45], s[44:45], s[40:41]
	s_or_b64 s[44:45], s[42:43], s[44:45]
	s_and_b64 s[42:43], s[44:45], exec
	v_cmp_eq_u16_sdwa s[46:47], v10, v11 src0_sel:BYTE_0 src1_sel:BYTE_0
	s_or_b64 s[38:39], s[38:39], s[42:43]
	s_and_saveexec_b64 s[42:43], s[46:47]
	s_cbranch_execz .LBB263_791
; %bb.793:                              ;   in Loop: Header=BB263_792 Depth=1
	s_add_u32 s36, s36, -1
	s_addc_u32 s37, s37, -1
	v_add_co_u32_e32 v4, vcc, 1, v4
	s_cmp_eq_u64 s[36:37], 0
	v_addc_co_u32_e32 v5, vcc, 0, v5, vcc
	s_cselect_b64 s[40:41], -1, 0
	v_add_co_u32_e32 v6, vcc, 1, v6
	s_andn2_b64 s[34:35], s[34:35], exec
	s_and_b64 s[44:45], s[44:45], exec
	s_andn2_b64 s[30:31], s[30:31], exec
	s_and_b64 s[40:41], s[40:41], exec
	v_addc_co_u32_e32 v7, vcc, 0, v7, vcc
	s_or_b64 s[34:35], s[34:35], s[44:45]
	s_andn2_b64 s[38:39], s[38:39], exec
	s_or_b64 s[30:31], s[30:31], s[40:41]
                                        ; implicit-def: $sgpr40_sgpr41
	s_branch .LBB263_791
.LBB263_794:
	s_or_b64 exec, exec, s[26:27]
	s_xor_b64 s[26:27], s[28:29], -1
	s_branch .LBB263_796
.LBB263_795:
	s_mov_b64 s[26:27], -1
.LBB263_796:
	s_and_b64 s[26:27], s[26:27], exec
.LBB263_797:
	s_or_b64 exec, exec, s[20:21]
	s_orn2_b64 s[20:21], s[26:27], exec
.LBB263_798:
	s_or_b64 exec, exec, s[24:25]
	v_cndmask_b32_e64 v4, v9, v8, s[20:21]
	v_cndmask_b32_e64 v5, v22, v21, s[20:21]
	v_add_u32_e32 v10, 1, v4
	v_add_u32_e32 v4, -1, v5
	v_min_u32_e32 v4, v10, v4
	v_lshl_add_u32 v4, v4, 3, v18
	ds_read_b64 v[4:5], v4
	v_cndmask_b32_e64 v9, v10, v9, s[20:21]
	v_cmp_lt_u32_e32 vcc, v9, v22
	s_waitcnt lgkmcnt(0)
	v_cndmask_b32_e64 v7, v29, v5, s[20:21]
	v_cndmask_b32_e64 v6, v30, v4, s[20:21]
	s_and_saveexec_b64 s[24:25], vcc
	s_cbranch_execz .LBB263_808
; %bb.799:
	v_cndmask_b32_e64 v8, v8, v10, s[20:21]
	v_cndmask_b32_e64 v5, v5, v25, s[20:21]
	;; [unrolled: 1-line block ×3, first 2 shown]
	v_cmp_lt_u32_e32 vcc, v8, v21
	s_and_saveexec_b64 s[26:27], vcc
	s_cbranch_execz .LBB263_807
; %bb.800:
	s_andn2_b64 vcc, exec, s[18:19]
	s_cbranch_vccnz .LBB263_806
; %bb.801:
	v_pk_mov_b32 v[10:11], s[14:15], s[14:15] op_sel:[0,1]
	v_mad_u64_u32 v[8:9], s[28:29], v4, s12, v[10:11]
	v_mul_lo_u32 v18, v4, s13
	v_mul_lo_u32 v21, v5, s12
	v_add3_u32 v9, v21, v9, v18
	v_mad_u64_u32 v[10:11], s[28:29], v6, s12, v[10:11]
	v_mul_lo_u32 v18, v6, s13
	v_mul_lo_u32 v21, v7, s12
	v_add3_u32 v11, v21, v11, v18
	s_mov_b64 s[28:29], 0
	s_mov_b64 s[38:39], s[12:13]
                                        ; implicit-def: $sgpr30_sgpr31
                                        ; implicit-def: $sgpr34_sgpr35
                                        ; implicit-def: $sgpr40_sgpr41
                                        ; implicit-def: $sgpr36_sgpr37
                                        ; implicit-def: $sgpr42_sgpr43
	s_branch .LBB263_803
.LBB263_802:                            ;   in Loop: Header=BB263_803 Depth=1
	s_or_b64 exec, exec, s[44:45]
	s_and_b64 s[44:45], exec, s[34:35]
	s_or_b64 s[28:29], s[44:45], s[28:29]
	s_andn2_b64 s[42:43], s[42:43], exec
	s_and_b64 s[44:45], s[36:37], exec
	s_or_b64 s[42:43], s[42:43], s[44:45]
	s_andn2_b64 s[30:31], s[30:31], exec
	s_and_b64 s[44:45], s[40:41], exec
	s_or_b64 s[30:31], s[30:31], s[44:45]
	s_andn2_b64 exec, exec, s[28:29]
	s_cbranch_execz .LBB263_805
.LBB263_803:                            ; =>This Inner Loop Header: Depth=1
	global_load_ubyte v18, v[8:9], off
	global_load_ubyte v21, v[10:11], off
	s_andn2_b64 s[40:41], s[40:41], exec
	s_andn2_b64 s[36:37], s[36:37], exec
	s_or_b64 s[34:35], s[34:35], exec
	s_waitcnt vmcnt(0)
	v_cmp_le_i16_sdwa s[46:47], sext(v18), sext(v21) src0_sel:BYTE_0 src1_sel:BYTE_0
	v_cmp_lt_i16_sdwa s[44:45], sext(v18), sext(v21) src0_sel:BYTE_0 src1_sel:BYTE_0
	s_and_b64 s[46:47], s[46:47], s[42:43]
	s_or_b64 s[46:47], s[44:45], s[46:47]
	s_and_b64 s[44:45], s[46:47], exec
	v_cmp_eq_u16_sdwa s[48:49], v18, v21 src0_sel:BYTE_0 src1_sel:BYTE_0
	s_or_b64 s[40:41], s[40:41], s[44:45]
	s_and_saveexec_b64 s[44:45], s[48:49]
	s_cbranch_execz .LBB263_802
; %bb.804:                              ;   in Loop: Header=BB263_803 Depth=1
	s_add_u32 s38, s38, -1
	s_addc_u32 s39, s39, -1
	v_add_co_u32_e32 v8, vcc, 1, v8
	s_cmp_eq_u64 s[38:39], 0
	v_addc_co_u32_e32 v9, vcc, 0, v9, vcc
	s_cselect_b64 s[42:43], -1, 0
	v_add_co_u32_e32 v10, vcc, 1, v10
	s_andn2_b64 s[36:37], s[36:37], exec
	s_and_b64 s[46:47], s[46:47], exec
	s_andn2_b64 s[34:35], s[34:35], exec
	s_and_b64 s[42:43], s[42:43], exec
	v_addc_co_u32_e32 v11, vcc, 0, v11, vcc
	s_or_b64 s[36:37], s[36:37], s[46:47]
	s_andn2_b64 s[40:41], s[40:41], exec
	s_or_b64 s[34:35], s[34:35], s[42:43]
                                        ; implicit-def: $sgpr42_sgpr43
	s_branch .LBB263_802
.LBB263_805:
	s_or_b64 exec, exec, s[28:29]
	v_cndmask_b32_e64 v7, v7, v5, s[30:31]
	v_cndmask_b32_e64 v6, v6, v4, s[30:31]
.LBB263_806:
	v_pk_mov_b32 v[4:5], v[6:7], v[6:7] op_sel:[0,1]
.LBB263_807:
	s_or_b64 exec, exec, s[26:27]
	v_pk_mov_b32 v[6:7], v[4:5], v[4:5] op_sel:[0,1]
.LBB263_808:
	s_or_b64 exec, exec, s[24:25]
	v_cndmask_b32_e64 v1, v3, v1, s[10:11]
	v_cndmask_b32_e64 v0, v2, v0, s[10:11]
	;; [unrolled: 1-line block ×6, first 2 shown]
.LBB263_809:
	s_or_b64 exec, exec, s[8:9]
	s_cmpk_lt_u32 s33, 0x41
	; wave barrier
	s_waitcnt lgkmcnt(0)
	s_barrier
	s_cbranch_scc1 .LBB263_869
; %bb.810:
	v_cndmask_b32_e64 v8, 0, 1, s[18:19]
	v_lshlrev_b32_e32 v18, 3, v27
	s_mov_b32 s48, 64
	v_cmp_ne_u32_e64 s[6:7], 1, v8
	s_branch .LBB263_816
.LBB263_811:                            ;   in Loop: Header=BB263_816 Depth=1
	s_or_b64 exec, exec, s[28:29]
	v_cndmask_b32_e64 v7, v7, v5, s[30:31]
	v_cndmask_b32_e64 v6, v6, v4, s[30:31]
.LBB263_812:                            ;   in Loop: Header=BB263_816 Depth=1
	v_pk_mov_b32 v[4:5], v[6:7], v[6:7] op_sel:[0,1]
.LBB263_813:                            ;   in Loop: Header=BB263_816 Depth=1
	s_or_b64 exec, exec, s[26:27]
	v_pk_mov_b32 v[6:7], v[4:5], v[4:5] op_sel:[0,1]
.LBB263_814:                            ;   in Loop: Header=BB263_816 Depth=1
	s_or_b64 exec, exec, s[24:25]
	v_cndmask_b32_e64 v1, v3, v1, s[18:19]
	v_cndmask_b32_e64 v0, v2, v0, s[18:19]
	;; [unrolled: 1-line block ×6, first 2 shown]
.LBB263_815:                            ;   in Loop: Header=BB263_816 Depth=1
	s_or_b64 exec, exec, s[10:11]
	s_cmp_lt_u32 s48, s33
	s_barrier
	s_cbranch_scc0 .LBB263_869
.LBB263_816:                            ; =>This Loop Header: Depth=1
                                        ;     Child Loop BB263_820 Depth 2
                                        ;       Child Loop BB263_823 Depth 3
                                        ;     Child Loop BB263_835 Depth 2
                                        ;     Child Loop BB263_845 Depth 2
	;; [unrolled: 1-line block ×4, first 2 shown]
	s_mov_b32 s8, s48
	s_lshl_b32 s48, s48, 1
	s_sub_i32 s10, 0, s48
	v_and_b32_e32 v23, s10, v27
	v_add_u32_e32 v8, s8, v23
	v_min_u32_e32 v19, s33, v8
	s_add_i32 s9, s48, -1
	v_add_u32_e32 v8, s8, v19
	v_min_u32_e32 v20, s33, v8
	v_and_b32_e32 v8, s9, v27
	v_min_u32_e32 v24, s33, v8
	v_sub_u32_e32 v8, v19, v23
	v_sub_u32_e32 v9, v20, v19
	v_sub_u32_e64 v22, v24, v9 clamp
	v_min_u32_e32 v25, v24, v8
	v_lshlrev_b32_e32 v21, 3, v23
	v_cmp_lt_u32_e32 vcc, v22, v25
	ds_write_b128 v18, v[0:3]
	ds_write_b128 v18, v[4:7] offset:16
	s_waitcnt lgkmcnt(0)
	s_barrier
	s_and_saveexec_b64 s[8:9], vcc
	s_cbranch_execz .LBB263_826
; %bb.817:                              ;   in Loop: Header=BB263_816 Depth=1
	v_lshlrev_b32_e32 v8, 3, v24
	v_lshl_add_u32 v28, v19, 3, v8
	s_mov_b64 s[10:11], 0
	s_branch .LBB263_820
.LBB263_818:                            ;   in Loop: Header=BB263_820 Depth=2
	s_or_b64 exec, exec, s[20:21]
.LBB263_819:                            ;   in Loop: Header=BB263_820 Depth=2
	v_add_u32_e32 v8, 1, v29
	v_cndmask_b32_e64 v25, v25, v29, s[18:19]
	v_cndmask_b32_e64 v22, v8, v22, s[18:19]
	v_cmp_ge_u32_e32 vcc, v22, v25
	s_or_b64 s[10:11], vcc, s[10:11]
	s_andn2_b64 exec, exec, s[10:11]
	s_cbranch_execz .LBB263_825
.LBB263_820:                            ;   Parent Loop BB263_816 Depth=1
                                        ; =>  This Loop Header: Depth=2
                                        ;       Child Loop BB263_823 Depth 3
	v_add_u32_e32 v8, v25, v22
	v_lshrrev_b32_e32 v29, 1, v8
	s_and_b64 vcc, exec, s[6:7]
	s_mov_b64 s[18:19], 0
	s_cbranch_vccnz .LBB263_819
; %bb.821:                              ;   in Loop: Header=BB263_820 Depth=2
	v_not_b32_e32 v8, v29
	v_lshl_add_u32 v8, v8, 3, v28
	ds_read_b64 v[8:9], v8
	v_lshl_add_u32 v30, v29, 3, v21
	ds_read_b64 v[30:31], v30
	v_pk_mov_b32 v[10:11], s[14:15], s[14:15] op_sel:[0,1]
	s_mov_b64 s[20:21], 0
	s_waitcnt lgkmcnt(1)
	v_mul_lo_u32 v32, v8, s13
	v_mul_lo_u32 v33, v9, s12
	v_mad_u64_u32 v[8:9], s[18:19], v8, s12, v[10:11]
	v_add3_u32 v9, v33, v9, v32
	s_waitcnt lgkmcnt(0)
	v_mul_lo_u32 v32, v30, s13
	v_mul_lo_u32 v31, v31, s12
	v_mad_u64_u32 v[10:11], s[18:19], v30, s12, v[10:11]
	v_add3_u32 v11, v31, v11, v32
	s_mov_b64 s[28:29], s[12:13]
                                        ; implicit-def: $sgpr18_sgpr19
                                        ; implicit-def: $sgpr24_sgpr25
                                        ; implicit-def: $sgpr26_sgpr27
                                        ; implicit-def: $sgpr30_sgpr31
                                        ; implicit-def: $sgpr34_sgpr35
	s_branch .LBB263_823
.LBB263_822:                            ;   in Loop: Header=BB263_823 Depth=3
	s_or_b64 exec, exec, s[36:37]
	s_and_b64 s[36:37], exec, s[24:25]
	s_or_b64 s[20:21], s[36:37], s[20:21]
	s_andn2_b64 s[34:35], s[34:35], exec
	s_and_b64 s[36:37], s[26:27], exec
	s_or_b64 s[34:35], s[34:35], s[36:37]
	s_andn2_b64 s[18:19], s[18:19], exec
	s_and_b64 s[36:37], s[30:31], exec
	s_or_b64 s[18:19], s[18:19], s[36:37]
	s_andn2_b64 exec, exec, s[20:21]
	s_cbranch_execz .LBB263_818
.LBB263_823:                            ;   Parent Loop BB263_816 Depth=1
                                        ;     Parent Loop BB263_820 Depth=2
                                        ; =>    This Inner Loop Header: Depth=3
	global_load_ubyte v30, v[8:9], off
	global_load_ubyte v31, v[10:11], off
	s_andn2_b64 s[30:31], s[30:31], exec
	s_andn2_b64 s[26:27], s[26:27], exec
	s_or_b64 s[24:25], s[24:25], exec
	s_waitcnt vmcnt(0)
	v_cmp_le_i16_sdwa s[38:39], sext(v30), sext(v31) src0_sel:BYTE_0 src1_sel:BYTE_0
	v_cmp_lt_i16_sdwa s[36:37], sext(v30), sext(v31) src0_sel:BYTE_0 src1_sel:BYTE_0
	s_and_b64 s[38:39], s[38:39], s[34:35]
	s_or_b64 s[38:39], s[36:37], s[38:39]
	s_and_b64 s[36:37], s[38:39], exec
	v_cmp_eq_u16_sdwa s[40:41], v30, v31 src0_sel:BYTE_0 src1_sel:BYTE_0
	s_or_b64 s[30:31], s[30:31], s[36:37]
	s_and_saveexec_b64 s[36:37], s[40:41]
	s_cbranch_execz .LBB263_822
; %bb.824:                              ;   in Loop: Header=BB263_823 Depth=3
	s_add_u32 s28, s28, -1
	s_addc_u32 s29, s29, -1
	v_add_co_u32_e32 v8, vcc, 1, v8
	s_cmp_eq_u64 s[28:29], 0
	v_addc_co_u32_e32 v9, vcc, 0, v9, vcc
	s_cselect_b64 s[34:35], -1, 0
	v_add_co_u32_e32 v10, vcc, 1, v10
	s_andn2_b64 s[26:27], s[26:27], exec
	s_and_b64 s[38:39], s[38:39], exec
	s_andn2_b64 s[24:25], s[24:25], exec
	s_and_b64 s[34:35], s[34:35], exec
	v_addc_co_u32_e32 v11, vcc, 0, v11, vcc
	s_andn2_b64 s[30:31], s[30:31], exec
	s_or_b64 s[26:27], s[26:27], s[38:39]
	s_or_b64 s[24:25], s[24:25], s[34:35]
                                        ; implicit-def: $sgpr34_sgpr35
	s_branch .LBB263_822
.LBB263_825:                            ;   in Loop: Header=BB263_816 Depth=1
	s_or_b64 exec, exec, s[10:11]
.LBB263_826:                            ;   in Loop: Header=BB263_816 Depth=1
	s_or_b64 exec, exec, s[8:9]
	v_sub_u32_e32 v9, v24, v22
	v_add_u32_e32 v8, v22, v23
	v_add_u32_e32 v9, v9, v19
	v_cmp_le_u32_e32 vcc, v8, v19
	v_cmp_le_u32_e64 s[8:9], v9, v20
	s_or_b64 s[8:9], vcc, s[8:9]
	s_and_saveexec_b64 s[10:11], s[8:9]
	s_cbranch_execz .LBB263_815
; %bb.827:                              ;   in Loop: Header=BB263_816 Depth=1
	v_cmp_ge_u32_e32 vcc, v8, v19
	v_cmp_lt_u32_e64 s[8:9], v8, v19
                                        ; implicit-def: $vgpr0_vgpr1
	s_and_saveexec_b64 s[18:19], s[8:9]
	s_cbranch_execz .LBB263_829
; %bb.828:                              ;   in Loop: Header=BB263_816 Depth=1
	v_lshl_add_u32 v0, v22, 3, v21
	ds_read_b64 v[0:1], v0
.LBB263_829:                            ;   in Loop: Header=BB263_816 Depth=1
	s_or_b64 exec, exec, s[18:19]
	v_cmp_ge_u32_e64 s[18:19], v9, v20
	v_cmp_lt_u32_e64 s[8:9], v9, v20
                                        ; implicit-def: $vgpr2_vgpr3
	s_and_saveexec_b64 s[20:21], s[8:9]
	s_cbranch_execz .LBB263_831
; %bb.830:                              ;   in Loop: Header=BB263_816 Depth=1
	v_lshlrev_b32_e32 v2, 3, v9
	ds_read_b64 v[2:3], v2
.LBB263_831:                            ;   in Loop: Header=BB263_816 Depth=1
	s_or_b64 exec, exec, s[20:21]
	s_or_b64 s[8:9], vcc, s[18:19]
	s_xor_b64 s[20:21], s[8:9], -1
	s_and_saveexec_b64 s[8:9], s[20:21]
	s_cbranch_execz .LBB263_840
; %bb.832:                              ;   in Loop: Header=BB263_816 Depth=1
	s_and_b64 vcc, exec, s[6:7]
	s_cbranch_vccnz .LBB263_838
; %bb.833:                              ;   in Loop: Header=BB263_816 Depth=1
	v_pk_mov_b32 v[6:7], s[14:15], s[14:15] op_sel:[0,1]
	s_waitcnt lgkmcnt(0)
	v_mad_u64_u32 v[4:5], s[20:21], v2, s12, v[6:7]
	v_mul_lo_u32 v10, v2, s13
	v_mul_lo_u32 v11, v3, s12
	v_add3_u32 v5, v11, v5, v10
	v_mad_u64_u32 v[6:7], s[20:21], v0, s12, v[6:7]
	v_mul_lo_u32 v10, v0, s13
	v_mul_lo_u32 v11, v1, s12
	v_add3_u32 v7, v11, v7, v10
	s_mov_b64 s[20:21], 0
	s_mov_b64 s[30:31], s[12:13]
                                        ; implicit-def: $sgpr24_sgpr25
                                        ; implicit-def: $sgpr26_sgpr27
                                        ; implicit-def: $sgpr34_sgpr35
                                        ; implicit-def: $sgpr28_sgpr29
                                        ; implicit-def: $sgpr36_sgpr37
	s_branch .LBB263_835
.LBB263_834:                            ;   in Loop: Header=BB263_835 Depth=2
	s_or_b64 exec, exec, s[38:39]
	s_and_b64 s[38:39], exec, s[26:27]
	s_or_b64 s[20:21], s[38:39], s[20:21]
	s_andn2_b64 s[36:37], s[36:37], exec
	s_and_b64 s[38:39], s[28:29], exec
	s_or_b64 s[36:37], s[36:37], s[38:39]
	s_andn2_b64 s[24:25], s[24:25], exec
	s_and_b64 s[38:39], s[34:35], exec
	s_or_b64 s[24:25], s[24:25], s[38:39]
	s_andn2_b64 exec, exec, s[20:21]
	s_cbranch_execz .LBB263_837
.LBB263_835:                            ;   Parent Loop BB263_816 Depth=1
                                        ; =>  This Inner Loop Header: Depth=2
	global_load_ubyte v10, v[4:5], off
	global_load_ubyte v11, v[6:7], off
	s_andn2_b64 s[34:35], s[34:35], exec
	s_andn2_b64 s[28:29], s[28:29], exec
	s_or_b64 s[26:27], s[26:27], exec
	s_waitcnt vmcnt(0)
	v_cmp_le_i16_sdwa s[40:41], sext(v10), sext(v11) src0_sel:BYTE_0 src1_sel:BYTE_0
	v_cmp_lt_i16_sdwa s[38:39], sext(v10), sext(v11) src0_sel:BYTE_0 src1_sel:BYTE_0
	s_and_b64 s[40:41], s[40:41], s[36:37]
	s_or_b64 s[40:41], s[38:39], s[40:41]
	s_and_b64 s[38:39], s[40:41], exec
	v_cmp_eq_u16_sdwa s[42:43], v10, v11 src0_sel:BYTE_0 src1_sel:BYTE_0
	s_or_b64 s[34:35], s[34:35], s[38:39]
	s_and_saveexec_b64 s[38:39], s[42:43]
	s_cbranch_execz .LBB263_834
; %bb.836:                              ;   in Loop: Header=BB263_835 Depth=2
	s_add_u32 s30, s30, -1
	s_addc_u32 s31, s31, -1
	v_add_co_u32_e32 v4, vcc, 1, v4
	s_cmp_eq_u64 s[30:31], 0
	v_addc_co_u32_e32 v5, vcc, 0, v5, vcc
	s_cselect_b64 s[36:37], -1, 0
	v_add_co_u32_e32 v6, vcc, 1, v6
	s_andn2_b64 s[28:29], s[28:29], exec
	s_and_b64 s[40:41], s[40:41], exec
	s_andn2_b64 s[26:27], s[26:27], exec
	s_and_b64 s[36:37], s[36:37], exec
	v_addc_co_u32_e32 v7, vcc, 0, v7, vcc
	s_or_b64 s[28:29], s[28:29], s[40:41]
	s_andn2_b64 s[34:35], s[34:35], exec
	s_or_b64 s[26:27], s[26:27], s[36:37]
                                        ; implicit-def: $sgpr36_sgpr37
	s_branch .LBB263_834
.LBB263_837:                            ;   in Loop: Header=BB263_816 Depth=1
	s_or_b64 exec, exec, s[20:21]
	s_xor_b64 s[20:21], s[24:25], -1
	s_branch .LBB263_839
.LBB263_838:                            ;   in Loop: Header=BB263_816 Depth=1
	s_mov_b64 s[20:21], -1
.LBB263_839:                            ;   in Loop: Header=BB263_816 Depth=1
	s_andn2_b64 s[18:19], s[18:19], exec
	s_and_b64 s[20:21], s[20:21], exec
	s_or_b64 s[18:19], s[18:19], s[20:21]
.LBB263_840:                            ;   in Loop: Header=BB263_816 Depth=1
	s_or_b64 exec, exec, s[8:9]
	v_cndmask_b32_e64 v4, v9, v8, s[18:19]
	v_cndmask_b32_e64 v5, v20, v19, s[18:19]
	v_add_u32_e32 v6, 1, v4
	v_add_u32_e32 v4, -1, v5
	v_min_u32_e32 v4, v6, v4
	v_lshlrev_b32_e32 v4, 3, v4
	ds_read_b64 v[4:5], v4
	v_cndmask_b32_e64 v9, v6, v9, s[18:19]
	v_cndmask_b32_e64 v8, v8, v6, s[18:19]
	v_cmp_lt_u32_e32 vcc, v9, v20
	s_mov_b64 s[8:9], -1
	s_waitcnt lgkmcnt(0)
	v_cndmask_b32_e64 v21, v5, v3, s[18:19]
	v_cndmask_b32_e64 v22, v4, v2, s[18:19]
	;; [unrolled: 1-line block ×4, first 2 shown]
	s_mov_b64 s[20:21], -1
	s_and_saveexec_b64 s[24:25], vcc
	s_cbranch_execz .LBB263_851
; %bb.841:                              ;   in Loop: Header=BB263_816 Depth=1
	v_cmp_lt_u32_e32 vcc, v8, v19
	s_mov_b64 s[26:27], 0
	s_and_saveexec_b64 s[20:21], vcc
	s_cbranch_execz .LBB263_850
; %bb.842:                              ;   in Loop: Header=BB263_816 Depth=1
	s_and_b64 vcc, exec, s[6:7]
	s_cbranch_vccnz .LBB263_848
; %bb.843:                              ;   in Loop: Header=BB263_816 Depth=1
	v_pk_mov_b32 v[6:7], s[14:15], s[14:15] op_sel:[0,1]
	v_mad_u64_u32 v[4:5], s[26:27], v22, s12, v[6:7]
	v_mul_lo_u32 v10, v22, s13
	v_mul_lo_u32 v11, v21, s12
	v_add3_u32 v5, v11, v5, v10
	v_mad_u64_u32 v[6:7], s[26:27], v24, s12, v[6:7]
	v_mul_lo_u32 v10, v24, s13
	v_mul_lo_u32 v11, v23, s12
	v_add3_u32 v7, v11, v7, v10
	s_mov_b64 s[26:27], 0
	s_mov_b64 s[36:37], s[12:13]
                                        ; implicit-def: $sgpr28_sgpr29
                                        ; implicit-def: $sgpr30_sgpr31
                                        ; implicit-def: $sgpr38_sgpr39
                                        ; implicit-def: $sgpr34_sgpr35
                                        ; implicit-def: $sgpr40_sgpr41
	s_branch .LBB263_845
.LBB263_844:                            ;   in Loop: Header=BB263_845 Depth=2
	s_or_b64 exec, exec, s[42:43]
	s_and_b64 s[42:43], exec, s[30:31]
	s_or_b64 s[26:27], s[42:43], s[26:27]
	s_andn2_b64 s[40:41], s[40:41], exec
	s_and_b64 s[42:43], s[34:35], exec
	s_or_b64 s[40:41], s[40:41], s[42:43]
	s_andn2_b64 s[28:29], s[28:29], exec
	s_and_b64 s[42:43], s[38:39], exec
	s_or_b64 s[28:29], s[28:29], s[42:43]
	s_andn2_b64 exec, exec, s[26:27]
	s_cbranch_execz .LBB263_847
.LBB263_845:                            ;   Parent Loop BB263_816 Depth=1
                                        ; =>  This Inner Loop Header: Depth=2
	global_load_ubyte v10, v[4:5], off
	global_load_ubyte v11, v[6:7], off
	s_andn2_b64 s[38:39], s[38:39], exec
	s_andn2_b64 s[34:35], s[34:35], exec
	s_or_b64 s[30:31], s[30:31], exec
	s_waitcnt vmcnt(0)
	v_cmp_le_i16_sdwa s[44:45], sext(v10), sext(v11) src0_sel:BYTE_0 src1_sel:BYTE_0
	v_cmp_lt_i16_sdwa s[42:43], sext(v10), sext(v11) src0_sel:BYTE_0 src1_sel:BYTE_0
	s_and_b64 s[44:45], s[44:45], s[40:41]
	s_or_b64 s[44:45], s[42:43], s[44:45]
	s_and_b64 s[42:43], s[44:45], exec
	v_cmp_eq_u16_sdwa s[46:47], v10, v11 src0_sel:BYTE_0 src1_sel:BYTE_0
	s_or_b64 s[38:39], s[38:39], s[42:43]
	s_and_saveexec_b64 s[42:43], s[46:47]
	s_cbranch_execz .LBB263_844
; %bb.846:                              ;   in Loop: Header=BB263_845 Depth=2
	s_add_u32 s36, s36, -1
	s_addc_u32 s37, s37, -1
	v_add_co_u32_e32 v4, vcc, 1, v4
	s_cmp_eq_u64 s[36:37], 0
	v_addc_co_u32_e32 v5, vcc, 0, v5, vcc
	s_cselect_b64 s[40:41], -1, 0
	v_add_co_u32_e32 v6, vcc, 1, v6
	s_andn2_b64 s[34:35], s[34:35], exec
	s_and_b64 s[44:45], s[44:45], exec
	s_andn2_b64 s[30:31], s[30:31], exec
	s_and_b64 s[40:41], s[40:41], exec
	v_addc_co_u32_e32 v7, vcc, 0, v7, vcc
	s_or_b64 s[34:35], s[34:35], s[44:45]
	s_andn2_b64 s[38:39], s[38:39], exec
	s_or_b64 s[30:31], s[30:31], s[40:41]
                                        ; implicit-def: $sgpr40_sgpr41
	s_branch .LBB263_844
.LBB263_847:                            ;   in Loop: Header=BB263_816 Depth=1
	s_or_b64 exec, exec, s[26:27]
	s_xor_b64 s[26:27], s[28:29], -1
	s_branch .LBB263_849
.LBB263_848:                            ;   in Loop: Header=BB263_816 Depth=1
	s_mov_b64 s[26:27], -1
.LBB263_849:                            ;   in Loop: Header=BB263_816 Depth=1
	s_and_b64 s[26:27], s[26:27], exec
.LBB263_850:                            ;   in Loop: Header=BB263_816 Depth=1
	s_or_b64 exec, exec, s[20:21]
	s_orn2_b64 s[20:21], s[26:27], exec
.LBB263_851:                            ;   in Loop: Header=BB263_816 Depth=1
	s_or_b64 exec, exec, s[24:25]
	v_cndmask_b32_e64 v4, v9, v8, s[20:21]
	v_cndmask_b32_e64 v5, v20, v19, s[20:21]
	v_add_u32_e32 v6, 1, v4
	v_add_u32_e32 v4, -1, v5
	v_min_u32_e32 v4, v6, v4
	v_lshlrev_b32_e32 v4, 3, v4
	ds_read_b64 v[4:5], v4
	v_cndmask_b32_e64 v9, v6, v9, s[20:21]
	v_cndmask_b32_e64 v8, v8, v6, s[20:21]
	v_cmp_lt_u32_e32 vcc, v9, v20
	s_waitcnt lgkmcnt(0)
	v_cndmask_b32_e64 v25, v5, v21, s[20:21]
	v_cndmask_b32_e64 v28, v4, v22, s[20:21]
	;; [unrolled: 1-line block ×4, first 2 shown]
	s_and_saveexec_b64 s[24:25], vcc
	s_cbranch_execz .LBB263_862
; %bb.852:                              ;   in Loop: Header=BB263_816 Depth=1
	v_cmp_lt_u32_e32 vcc, v8, v19
	s_mov_b64 s[26:27], 0
	s_and_saveexec_b64 s[8:9], vcc
	s_cbranch_execz .LBB263_861
; %bb.853:                              ;   in Loop: Header=BB263_816 Depth=1
	s_and_b64 vcc, exec, s[6:7]
	s_cbranch_vccnz .LBB263_859
; %bb.854:                              ;   in Loop: Header=BB263_816 Depth=1
	v_pk_mov_b32 v[6:7], s[14:15], s[14:15] op_sel:[0,1]
	v_mad_u64_u32 v[4:5], s[26:27], v28, s12, v[6:7]
	v_mul_lo_u32 v10, v28, s13
	v_mul_lo_u32 v11, v25, s12
	v_add3_u32 v5, v11, v5, v10
	v_mad_u64_u32 v[6:7], s[26:27], v30, s12, v[6:7]
	v_mul_lo_u32 v10, v30, s13
	v_mul_lo_u32 v11, v29, s12
	v_add3_u32 v7, v11, v7, v10
	s_mov_b64 s[26:27], 0
	s_mov_b64 s[36:37], s[12:13]
                                        ; implicit-def: $sgpr28_sgpr29
                                        ; implicit-def: $sgpr30_sgpr31
                                        ; implicit-def: $sgpr38_sgpr39
                                        ; implicit-def: $sgpr34_sgpr35
                                        ; implicit-def: $sgpr40_sgpr41
	s_branch .LBB263_856
.LBB263_855:                            ;   in Loop: Header=BB263_856 Depth=2
	s_or_b64 exec, exec, s[42:43]
	s_and_b64 s[42:43], exec, s[30:31]
	s_or_b64 s[26:27], s[42:43], s[26:27]
	s_andn2_b64 s[40:41], s[40:41], exec
	s_and_b64 s[42:43], s[34:35], exec
	s_or_b64 s[40:41], s[40:41], s[42:43]
	s_andn2_b64 s[28:29], s[28:29], exec
	s_and_b64 s[42:43], s[38:39], exec
	s_or_b64 s[28:29], s[28:29], s[42:43]
	s_andn2_b64 exec, exec, s[26:27]
	s_cbranch_execz .LBB263_858
.LBB263_856:                            ;   Parent Loop BB263_816 Depth=1
                                        ; =>  This Inner Loop Header: Depth=2
	global_load_ubyte v10, v[4:5], off
	global_load_ubyte v11, v[6:7], off
	s_andn2_b64 s[38:39], s[38:39], exec
	s_andn2_b64 s[34:35], s[34:35], exec
	s_or_b64 s[30:31], s[30:31], exec
	s_waitcnt vmcnt(0)
	v_cmp_le_i16_sdwa s[44:45], sext(v10), sext(v11) src0_sel:BYTE_0 src1_sel:BYTE_0
	v_cmp_lt_i16_sdwa s[42:43], sext(v10), sext(v11) src0_sel:BYTE_0 src1_sel:BYTE_0
	s_and_b64 s[44:45], s[44:45], s[40:41]
	s_or_b64 s[44:45], s[42:43], s[44:45]
	s_and_b64 s[42:43], s[44:45], exec
	v_cmp_eq_u16_sdwa s[46:47], v10, v11 src0_sel:BYTE_0 src1_sel:BYTE_0
	s_or_b64 s[38:39], s[38:39], s[42:43]
	s_and_saveexec_b64 s[42:43], s[46:47]
	s_cbranch_execz .LBB263_855
; %bb.857:                              ;   in Loop: Header=BB263_856 Depth=2
	s_add_u32 s36, s36, -1
	s_addc_u32 s37, s37, -1
	v_add_co_u32_e32 v4, vcc, 1, v4
	s_cmp_eq_u64 s[36:37], 0
	v_addc_co_u32_e32 v5, vcc, 0, v5, vcc
	s_cselect_b64 s[40:41], -1, 0
	v_add_co_u32_e32 v6, vcc, 1, v6
	s_andn2_b64 s[34:35], s[34:35], exec
	s_and_b64 s[44:45], s[44:45], exec
	s_andn2_b64 s[30:31], s[30:31], exec
	s_and_b64 s[40:41], s[40:41], exec
	v_addc_co_u32_e32 v7, vcc, 0, v7, vcc
	s_or_b64 s[34:35], s[34:35], s[44:45]
	s_andn2_b64 s[38:39], s[38:39], exec
	s_or_b64 s[30:31], s[30:31], s[40:41]
                                        ; implicit-def: $sgpr40_sgpr41
	s_branch .LBB263_855
.LBB263_858:                            ;   in Loop: Header=BB263_816 Depth=1
	s_or_b64 exec, exec, s[26:27]
	s_xor_b64 s[26:27], s[28:29], -1
	s_branch .LBB263_860
.LBB263_859:                            ;   in Loop: Header=BB263_816 Depth=1
	s_mov_b64 s[26:27], -1
.LBB263_860:                            ;   in Loop: Header=BB263_816 Depth=1
	s_and_b64 s[26:27], s[26:27], exec
.LBB263_861:                            ;   in Loop: Header=BB263_816 Depth=1
	s_or_b64 exec, exec, s[8:9]
	s_orn2_b64 s[8:9], s[26:27], exec
.LBB263_862:                            ;   in Loop: Header=BB263_816 Depth=1
	s_or_b64 exec, exec, s[24:25]
	v_cndmask_b32_e64 v4, v9, v8, s[8:9]
	v_cndmask_b32_e64 v5, v20, v19, s[8:9]
	v_add_u32_e32 v10, 1, v4
	v_add_u32_e32 v4, -1, v5
	v_min_u32_e32 v4, v10, v4
	v_lshlrev_b32_e32 v4, 3, v4
	ds_read_b64 v[4:5], v4
	v_cndmask_b32_e64 v9, v10, v9, s[8:9]
	v_cmp_lt_u32_e32 vcc, v9, v20
	s_waitcnt lgkmcnt(0)
	v_cndmask_b32_e64 v7, v29, v5, s[8:9]
	v_cndmask_b32_e64 v6, v30, v4, s[8:9]
	s_and_saveexec_b64 s[24:25], vcc
	s_cbranch_execz .LBB263_814
; %bb.863:                              ;   in Loop: Header=BB263_816 Depth=1
	v_cndmask_b32_e64 v8, v8, v10, s[8:9]
	v_cndmask_b32_e64 v5, v5, v25, s[8:9]
	;; [unrolled: 1-line block ×3, first 2 shown]
	v_cmp_lt_u32_e32 vcc, v8, v19
	s_and_saveexec_b64 s[26:27], vcc
	s_cbranch_execz .LBB263_813
; %bb.864:                              ;   in Loop: Header=BB263_816 Depth=1
	s_and_b64 vcc, exec, s[6:7]
	s_cbranch_vccnz .LBB263_812
; %bb.865:                              ;   in Loop: Header=BB263_816 Depth=1
	v_pk_mov_b32 v[10:11], s[14:15], s[14:15] op_sel:[0,1]
	v_mad_u64_u32 v[8:9], s[28:29], v4, s12, v[10:11]
	v_mul_lo_u32 v19, v4, s13
	v_mul_lo_u32 v20, v5, s12
	v_add3_u32 v9, v20, v9, v19
	v_mad_u64_u32 v[10:11], s[28:29], v6, s12, v[10:11]
	v_mul_lo_u32 v19, v6, s13
	v_mul_lo_u32 v20, v7, s12
	v_add3_u32 v11, v20, v11, v19
	s_mov_b64 s[28:29], 0
	s_mov_b64 s[38:39], s[12:13]
                                        ; implicit-def: $sgpr30_sgpr31
                                        ; implicit-def: $sgpr34_sgpr35
                                        ; implicit-def: $sgpr40_sgpr41
                                        ; implicit-def: $sgpr36_sgpr37
                                        ; implicit-def: $sgpr42_sgpr43
	s_branch .LBB263_867
.LBB263_866:                            ;   in Loop: Header=BB263_867 Depth=2
	s_or_b64 exec, exec, s[44:45]
	s_and_b64 s[44:45], exec, s[34:35]
	s_or_b64 s[28:29], s[44:45], s[28:29]
	s_andn2_b64 s[42:43], s[42:43], exec
	s_and_b64 s[44:45], s[36:37], exec
	s_or_b64 s[42:43], s[42:43], s[44:45]
	s_andn2_b64 s[30:31], s[30:31], exec
	s_and_b64 s[44:45], s[40:41], exec
	s_or_b64 s[30:31], s[30:31], s[44:45]
	s_andn2_b64 exec, exec, s[28:29]
	s_cbranch_execz .LBB263_811
.LBB263_867:                            ;   Parent Loop BB263_816 Depth=1
                                        ; =>  This Inner Loop Header: Depth=2
	global_load_ubyte v19, v[8:9], off
	global_load_ubyte v20, v[10:11], off
	s_andn2_b64 s[40:41], s[40:41], exec
	s_andn2_b64 s[36:37], s[36:37], exec
	s_or_b64 s[34:35], s[34:35], exec
	s_waitcnt vmcnt(0)
	v_cmp_le_i16_sdwa s[46:47], sext(v19), sext(v20) src0_sel:BYTE_0 src1_sel:BYTE_0
	v_cmp_lt_i16_sdwa s[44:45], sext(v19), sext(v20) src0_sel:BYTE_0 src1_sel:BYTE_0
	s_and_b64 s[46:47], s[46:47], s[42:43]
	s_or_b64 s[46:47], s[44:45], s[46:47]
	s_and_b64 s[44:45], s[46:47], exec
	v_cmp_eq_u16_sdwa s[50:51], v19, v20 src0_sel:BYTE_0 src1_sel:BYTE_0
	s_or_b64 s[40:41], s[40:41], s[44:45]
	s_and_saveexec_b64 s[44:45], s[50:51]
	s_cbranch_execz .LBB263_866
; %bb.868:                              ;   in Loop: Header=BB263_867 Depth=2
	s_add_u32 s38, s38, -1
	s_addc_u32 s39, s39, -1
	v_add_co_u32_e32 v8, vcc, 1, v8
	s_cmp_eq_u64 s[38:39], 0
	v_addc_co_u32_e32 v9, vcc, 0, v9, vcc
	s_cselect_b64 s[42:43], -1, 0
	v_add_co_u32_e32 v10, vcc, 1, v10
	s_andn2_b64 s[36:37], s[36:37], exec
	s_and_b64 s[46:47], s[46:47], exec
	s_andn2_b64 s[34:35], s[34:35], exec
	s_and_b64 s[42:43], s[42:43], exec
	v_addc_co_u32_e32 v11, vcc, 0, v11, vcc
	s_or_b64 s[36:37], s[36:37], s[46:47]
	s_andn2_b64 s[40:41], s[40:41], exec
	s_or_b64 s[34:35], s[34:35], s[42:43]
                                        ; implicit-def: $sgpr42_sgpr43
	s_branch .LBB263_866
.LBB263_869:
	s_barrier
	ds_write2_b64 v17, v[0:1], v[2:3] offset1:1
	ds_write2_b64 v17, v[4:5], v[6:7] offset0:2 offset1:3
	s_waitcnt lgkmcnt(0)
	s_barrier
	ds_read_b64 v[6:7], v13 offset:2048
	ds_read_b64 v[2:3], v15 offset:4096
	;; [unrolled: 1-line block ×3, first 2 shown]
	v_mov_b32_e32 v5, s17
	v_add_co_u32_e32 v4, vcc, s16, v26
	v_mov_b32_e32 v13, 0
	v_addc_co_u32_e32 v5, vcc, 0, v5, vcc
	s_and_saveexec_b64 s[6:7], s[0:1]
	s_cbranch_execnz .LBB263_877
; %bb.870:
	s_or_b64 exec, exec, s[6:7]
	s_and_saveexec_b64 s[0:1], s[2:3]
	s_cbranch_execnz .LBB263_878
.LBB263_871:
	s_or_b64 exec, exec, s[0:1]
	s_and_saveexec_b64 s[0:1], s[4:5]
	s_cbranch_execz .LBB263_873
.LBB263_872:
	v_add_co_u32_e32 v4, vcc, 0x1000, v4
	v_addc_co_u32_e32 v5, vcc, 0, v5, vcc
	s_waitcnt lgkmcnt(1)
	global_store_dwordx2 v[4:5], v[2:3], off
.LBB263_873:
	s_or_b64 exec, exec, s[0:1]
.LBB263_874:
	s_and_saveexec_b64 s[0:1], s[22:23]
	s_cbranch_execz .LBB263_876
; %bb.875:
	s_waitcnt lgkmcnt(1)
	v_lshlrev_b64 v[2:3], 3, v[12:13]
	v_mov_b32_e32 v4, s17
	v_add_co_u32_e32 v2, vcc, s16, v2
	v_addc_co_u32_e32 v3, vcc, v4, v3, vcc
	v_add_co_u32_e32 v2, vcc, 0x1000, v2
	v_addc_co_u32_e32 v3, vcc, 0, v3, vcc
	s_waitcnt lgkmcnt(0)
	global_store_dwordx2 v[2:3], v[0:1], off offset:2048
.LBB263_876:
	s_endpgm
.LBB263_877:
	ds_read_b64 v[8:9], v14
	s_waitcnt lgkmcnt(0)
	global_store_dwordx2 v[4:5], v[8:9], off
	s_or_b64 exec, exec, s[6:7]
	s_and_saveexec_b64 s[0:1], s[2:3]
	s_cbranch_execz .LBB263_871
.LBB263_878:
	s_waitcnt lgkmcnt(2)
	global_store_dwordx2 v[4:5], v[6:7], off offset:2048
	s_or_b64 exec, exec, s[0:1]
	s_and_saveexec_b64 s[0:1], s[4:5]
	s_cbranch_execnz .LBB263_872
	s_branch .LBB263_873
	.section	.rodata,"a",@progbits
	.p2align	6, 0x0
	.amdhsa_kernel _ZN7rocprim17ROCPRIM_400000_NS6detail17trampoline_kernelINS0_14default_configENS1_37merge_sort_block_sort_config_selectorIlNS0_10empty_typeEEEZNS1_21merge_sort_block_sortIS3_PlS8_PS5_S9_ZN2at6native12_GLOBAL__N_124unique_dim_cuda_templateIaEESt5tupleIJNSA_6TensorESF_SF_EERKSF_lbbbEUlllE_EE10hipError_tT0_T1_T2_T3_mRjT4_P12ihipStream_tbNS1_7vsmem_tEEUlT_E_NS1_11comp_targetILNS1_3genE4ELNS1_11target_archE910ELNS1_3gpuE8ELNS1_3repE0EEENS1_30default_config_static_selectorELNS0_4arch9wavefront6targetE1EEEvSM_
		.amdhsa_group_segment_fixed_size 8448
		.amdhsa_private_segment_fixed_size 0
		.amdhsa_kernarg_size 328
		.amdhsa_user_sgpr_count 6
		.amdhsa_user_sgpr_private_segment_buffer 1
		.amdhsa_user_sgpr_dispatch_ptr 0
		.amdhsa_user_sgpr_queue_ptr 0
		.amdhsa_user_sgpr_kernarg_segment_ptr 1
		.amdhsa_user_sgpr_dispatch_id 0
		.amdhsa_user_sgpr_flat_scratch_init 0
		.amdhsa_user_sgpr_kernarg_preload_length 0
		.amdhsa_user_sgpr_kernarg_preload_offset 0
		.amdhsa_user_sgpr_private_segment_size 0
		.amdhsa_uses_dynamic_stack 0
		.amdhsa_system_sgpr_private_segment_wavefront_offset 0
		.amdhsa_system_sgpr_workgroup_id_x 1
		.amdhsa_system_sgpr_workgroup_id_y 1
		.amdhsa_system_sgpr_workgroup_id_z 1
		.amdhsa_system_sgpr_workgroup_info 0
		.amdhsa_system_vgpr_workitem_id 2
		.amdhsa_next_free_vgpr 46
		.amdhsa_next_free_sgpr 54
		.amdhsa_accum_offset 48
		.amdhsa_reserve_vcc 1
		.amdhsa_reserve_flat_scratch 0
		.amdhsa_float_round_mode_32 0
		.amdhsa_float_round_mode_16_64 0
		.amdhsa_float_denorm_mode_32 3
		.amdhsa_float_denorm_mode_16_64 3
		.amdhsa_dx10_clamp 1
		.amdhsa_ieee_mode 1
		.amdhsa_fp16_overflow 0
		.amdhsa_tg_split 0
		.amdhsa_exception_fp_ieee_invalid_op 0
		.amdhsa_exception_fp_denorm_src 0
		.amdhsa_exception_fp_ieee_div_zero 0
		.amdhsa_exception_fp_ieee_overflow 0
		.amdhsa_exception_fp_ieee_underflow 0
		.amdhsa_exception_fp_ieee_inexact 0
		.amdhsa_exception_int_div_zero 0
	.end_amdhsa_kernel
	.section	.text._ZN7rocprim17ROCPRIM_400000_NS6detail17trampoline_kernelINS0_14default_configENS1_37merge_sort_block_sort_config_selectorIlNS0_10empty_typeEEEZNS1_21merge_sort_block_sortIS3_PlS8_PS5_S9_ZN2at6native12_GLOBAL__N_124unique_dim_cuda_templateIaEESt5tupleIJNSA_6TensorESF_SF_EERKSF_lbbbEUlllE_EE10hipError_tT0_T1_T2_T3_mRjT4_P12ihipStream_tbNS1_7vsmem_tEEUlT_E_NS1_11comp_targetILNS1_3genE4ELNS1_11target_archE910ELNS1_3gpuE8ELNS1_3repE0EEENS1_30default_config_static_selectorELNS0_4arch9wavefront6targetE1EEEvSM_,"axG",@progbits,_ZN7rocprim17ROCPRIM_400000_NS6detail17trampoline_kernelINS0_14default_configENS1_37merge_sort_block_sort_config_selectorIlNS0_10empty_typeEEEZNS1_21merge_sort_block_sortIS3_PlS8_PS5_S9_ZN2at6native12_GLOBAL__N_124unique_dim_cuda_templateIaEESt5tupleIJNSA_6TensorESF_SF_EERKSF_lbbbEUlllE_EE10hipError_tT0_T1_T2_T3_mRjT4_P12ihipStream_tbNS1_7vsmem_tEEUlT_E_NS1_11comp_targetILNS1_3genE4ELNS1_11target_archE910ELNS1_3gpuE8ELNS1_3repE0EEENS1_30default_config_static_selectorELNS0_4arch9wavefront6targetE1EEEvSM_,comdat
.Lfunc_end263:
	.size	_ZN7rocprim17ROCPRIM_400000_NS6detail17trampoline_kernelINS0_14default_configENS1_37merge_sort_block_sort_config_selectorIlNS0_10empty_typeEEEZNS1_21merge_sort_block_sortIS3_PlS8_PS5_S9_ZN2at6native12_GLOBAL__N_124unique_dim_cuda_templateIaEESt5tupleIJNSA_6TensorESF_SF_EERKSF_lbbbEUlllE_EE10hipError_tT0_T1_T2_T3_mRjT4_P12ihipStream_tbNS1_7vsmem_tEEUlT_E_NS1_11comp_targetILNS1_3genE4ELNS1_11target_archE910ELNS1_3gpuE8ELNS1_3repE0EEENS1_30default_config_static_selectorELNS0_4arch9wavefront6targetE1EEEvSM_, .Lfunc_end263-_ZN7rocprim17ROCPRIM_400000_NS6detail17trampoline_kernelINS0_14default_configENS1_37merge_sort_block_sort_config_selectorIlNS0_10empty_typeEEEZNS1_21merge_sort_block_sortIS3_PlS8_PS5_S9_ZN2at6native12_GLOBAL__N_124unique_dim_cuda_templateIaEESt5tupleIJNSA_6TensorESF_SF_EERKSF_lbbbEUlllE_EE10hipError_tT0_T1_T2_T3_mRjT4_P12ihipStream_tbNS1_7vsmem_tEEUlT_E_NS1_11comp_targetILNS1_3genE4ELNS1_11target_archE910ELNS1_3gpuE8ELNS1_3repE0EEENS1_30default_config_static_selectorELNS0_4arch9wavefront6targetE1EEEvSM_
                                        ; -- End function
	.section	.AMDGPU.csdata,"",@progbits
; Kernel info:
; codeLenInByte = 36300
; NumSgprs: 58
; NumVgprs: 46
; NumAgprs: 0
; TotalNumVgprs: 46
; ScratchSize: 0
; MemoryBound: 0
; FloatMode: 240
; IeeeMode: 1
; LDSByteSize: 8448 bytes/workgroup (compile time only)
; SGPRBlocks: 7
; VGPRBlocks: 5
; NumSGPRsForWavesPerEU: 58
; NumVGPRsForWavesPerEU: 46
; AccumOffset: 48
; Occupancy: 7
; WaveLimiterHint : 1
; COMPUTE_PGM_RSRC2:SCRATCH_EN: 0
; COMPUTE_PGM_RSRC2:USER_SGPR: 6
; COMPUTE_PGM_RSRC2:TRAP_HANDLER: 0
; COMPUTE_PGM_RSRC2:TGID_X_EN: 1
; COMPUTE_PGM_RSRC2:TGID_Y_EN: 1
; COMPUTE_PGM_RSRC2:TGID_Z_EN: 1
; COMPUTE_PGM_RSRC2:TIDIG_COMP_CNT: 2
; COMPUTE_PGM_RSRC3_GFX90A:ACCUM_OFFSET: 11
; COMPUTE_PGM_RSRC3_GFX90A:TG_SPLIT: 0
	.section	.text._ZN7rocprim17ROCPRIM_400000_NS6detail17trampoline_kernelINS0_14default_configENS1_37merge_sort_block_sort_config_selectorIlNS0_10empty_typeEEEZNS1_21merge_sort_block_sortIS3_PlS8_PS5_S9_ZN2at6native12_GLOBAL__N_124unique_dim_cuda_templateIaEESt5tupleIJNSA_6TensorESF_SF_EERKSF_lbbbEUlllE_EE10hipError_tT0_T1_T2_T3_mRjT4_P12ihipStream_tbNS1_7vsmem_tEEUlT_E_NS1_11comp_targetILNS1_3genE3ELNS1_11target_archE908ELNS1_3gpuE7ELNS1_3repE0EEENS1_30default_config_static_selectorELNS0_4arch9wavefront6targetE1EEEvSM_,"axG",@progbits,_ZN7rocprim17ROCPRIM_400000_NS6detail17trampoline_kernelINS0_14default_configENS1_37merge_sort_block_sort_config_selectorIlNS0_10empty_typeEEEZNS1_21merge_sort_block_sortIS3_PlS8_PS5_S9_ZN2at6native12_GLOBAL__N_124unique_dim_cuda_templateIaEESt5tupleIJNSA_6TensorESF_SF_EERKSF_lbbbEUlllE_EE10hipError_tT0_T1_T2_T3_mRjT4_P12ihipStream_tbNS1_7vsmem_tEEUlT_E_NS1_11comp_targetILNS1_3genE3ELNS1_11target_archE908ELNS1_3gpuE7ELNS1_3repE0EEENS1_30default_config_static_selectorELNS0_4arch9wavefront6targetE1EEEvSM_,comdat
	.globl	_ZN7rocprim17ROCPRIM_400000_NS6detail17trampoline_kernelINS0_14default_configENS1_37merge_sort_block_sort_config_selectorIlNS0_10empty_typeEEEZNS1_21merge_sort_block_sortIS3_PlS8_PS5_S9_ZN2at6native12_GLOBAL__N_124unique_dim_cuda_templateIaEESt5tupleIJNSA_6TensorESF_SF_EERKSF_lbbbEUlllE_EE10hipError_tT0_T1_T2_T3_mRjT4_P12ihipStream_tbNS1_7vsmem_tEEUlT_E_NS1_11comp_targetILNS1_3genE3ELNS1_11target_archE908ELNS1_3gpuE7ELNS1_3repE0EEENS1_30default_config_static_selectorELNS0_4arch9wavefront6targetE1EEEvSM_ ; -- Begin function _ZN7rocprim17ROCPRIM_400000_NS6detail17trampoline_kernelINS0_14default_configENS1_37merge_sort_block_sort_config_selectorIlNS0_10empty_typeEEEZNS1_21merge_sort_block_sortIS3_PlS8_PS5_S9_ZN2at6native12_GLOBAL__N_124unique_dim_cuda_templateIaEESt5tupleIJNSA_6TensorESF_SF_EERKSF_lbbbEUlllE_EE10hipError_tT0_T1_T2_T3_mRjT4_P12ihipStream_tbNS1_7vsmem_tEEUlT_E_NS1_11comp_targetILNS1_3genE3ELNS1_11target_archE908ELNS1_3gpuE7ELNS1_3repE0EEENS1_30default_config_static_selectorELNS0_4arch9wavefront6targetE1EEEvSM_
	.p2align	8
	.type	_ZN7rocprim17ROCPRIM_400000_NS6detail17trampoline_kernelINS0_14default_configENS1_37merge_sort_block_sort_config_selectorIlNS0_10empty_typeEEEZNS1_21merge_sort_block_sortIS3_PlS8_PS5_S9_ZN2at6native12_GLOBAL__N_124unique_dim_cuda_templateIaEESt5tupleIJNSA_6TensorESF_SF_EERKSF_lbbbEUlllE_EE10hipError_tT0_T1_T2_T3_mRjT4_P12ihipStream_tbNS1_7vsmem_tEEUlT_E_NS1_11comp_targetILNS1_3genE3ELNS1_11target_archE908ELNS1_3gpuE7ELNS1_3repE0EEENS1_30default_config_static_selectorELNS0_4arch9wavefront6targetE1EEEvSM_,@function
_ZN7rocprim17ROCPRIM_400000_NS6detail17trampoline_kernelINS0_14default_configENS1_37merge_sort_block_sort_config_selectorIlNS0_10empty_typeEEEZNS1_21merge_sort_block_sortIS3_PlS8_PS5_S9_ZN2at6native12_GLOBAL__N_124unique_dim_cuda_templateIaEESt5tupleIJNSA_6TensorESF_SF_EERKSF_lbbbEUlllE_EE10hipError_tT0_T1_T2_T3_mRjT4_P12ihipStream_tbNS1_7vsmem_tEEUlT_E_NS1_11comp_targetILNS1_3genE3ELNS1_11target_archE908ELNS1_3gpuE7ELNS1_3repE0EEENS1_30default_config_static_selectorELNS0_4arch9wavefront6targetE1EEEvSM_: ; @_ZN7rocprim17ROCPRIM_400000_NS6detail17trampoline_kernelINS0_14default_configENS1_37merge_sort_block_sort_config_selectorIlNS0_10empty_typeEEEZNS1_21merge_sort_block_sortIS3_PlS8_PS5_S9_ZN2at6native12_GLOBAL__N_124unique_dim_cuda_templateIaEESt5tupleIJNSA_6TensorESF_SF_EERKSF_lbbbEUlllE_EE10hipError_tT0_T1_T2_T3_mRjT4_P12ihipStream_tbNS1_7vsmem_tEEUlT_E_NS1_11comp_targetILNS1_3genE3ELNS1_11target_archE908ELNS1_3gpuE7ELNS1_3repE0EEENS1_30default_config_static_selectorELNS0_4arch9wavefront6targetE1EEEvSM_
; %bb.0:
	.section	.rodata,"a",@progbits
	.p2align	6, 0x0
	.amdhsa_kernel _ZN7rocprim17ROCPRIM_400000_NS6detail17trampoline_kernelINS0_14default_configENS1_37merge_sort_block_sort_config_selectorIlNS0_10empty_typeEEEZNS1_21merge_sort_block_sortIS3_PlS8_PS5_S9_ZN2at6native12_GLOBAL__N_124unique_dim_cuda_templateIaEESt5tupleIJNSA_6TensorESF_SF_EERKSF_lbbbEUlllE_EE10hipError_tT0_T1_T2_T3_mRjT4_P12ihipStream_tbNS1_7vsmem_tEEUlT_E_NS1_11comp_targetILNS1_3genE3ELNS1_11target_archE908ELNS1_3gpuE7ELNS1_3repE0EEENS1_30default_config_static_selectorELNS0_4arch9wavefront6targetE1EEEvSM_
		.amdhsa_group_segment_fixed_size 0
		.amdhsa_private_segment_fixed_size 0
		.amdhsa_kernarg_size 72
		.amdhsa_user_sgpr_count 6
		.amdhsa_user_sgpr_private_segment_buffer 1
		.amdhsa_user_sgpr_dispatch_ptr 0
		.amdhsa_user_sgpr_queue_ptr 0
		.amdhsa_user_sgpr_kernarg_segment_ptr 1
		.amdhsa_user_sgpr_dispatch_id 0
		.amdhsa_user_sgpr_flat_scratch_init 0
		.amdhsa_user_sgpr_kernarg_preload_length 0
		.amdhsa_user_sgpr_kernarg_preload_offset 0
		.amdhsa_user_sgpr_private_segment_size 0
		.amdhsa_uses_dynamic_stack 0
		.amdhsa_system_sgpr_private_segment_wavefront_offset 0
		.amdhsa_system_sgpr_workgroup_id_x 1
		.amdhsa_system_sgpr_workgroup_id_y 0
		.amdhsa_system_sgpr_workgroup_id_z 0
		.amdhsa_system_sgpr_workgroup_info 0
		.amdhsa_system_vgpr_workitem_id 0
		.amdhsa_next_free_vgpr 1
		.amdhsa_next_free_sgpr 0
		.amdhsa_accum_offset 4
		.amdhsa_reserve_vcc 0
		.amdhsa_reserve_flat_scratch 0
		.amdhsa_float_round_mode_32 0
		.amdhsa_float_round_mode_16_64 0
		.amdhsa_float_denorm_mode_32 3
		.amdhsa_float_denorm_mode_16_64 3
		.amdhsa_dx10_clamp 1
		.amdhsa_ieee_mode 1
		.amdhsa_fp16_overflow 0
		.amdhsa_tg_split 0
		.amdhsa_exception_fp_ieee_invalid_op 0
		.amdhsa_exception_fp_denorm_src 0
		.amdhsa_exception_fp_ieee_div_zero 0
		.amdhsa_exception_fp_ieee_overflow 0
		.amdhsa_exception_fp_ieee_underflow 0
		.amdhsa_exception_fp_ieee_inexact 0
		.amdhsa_exception_int_div_zero 0
	.end_amdhsa_kernel
	.section	.text._ZN7rocprim17ROCPRIM_400000_NS6detail17trampoline_kernelINS0_14default_configENS1_37merge_sort_block_sort_config_selectorIlNS0_10empty_typeEEEZNS1_21merge_sort_block_sortIS3_PlS8_PS5_S9_ZN2at6native12_GLOBAL__N_124unique_dim_cuda_templateIaEESt5tupleIJNSA_6TensorESF_SF_EERKSF_lbbbEUlllE_EE10hipError_tT0_T1_T2_T3_mRjT4_P12ihipStream_tbNS1_7vsmem_tEEUlT_E_NS1_11comp_targetILNS1_3genE3ELNS1_11target_archE908ELNS1_3gpuE7ELNS1_3repE0EEENS1_30default_config_static_selectorELNS0_4arch9wavefront6targetE1EEEvSM_,"axG",@progbits,_ZN7rocprim17ROCPRIM_400000_NS6detail17trampoline_kernelINS0_14default_configENS1_37merge_sort_block_sort_config_selectorIlNS0_10empty_typeEEEZNS1_21merge_sort_block_sortIS3_PlS8_PS5_S9_ZN2at6native12_GLOBAL__N_124unique_dim_cuda_templateIaEESt5tupleIJNSA_6TensorESF_SF_EERKSF_lbbbEUlllE_EE10hipError_tT0_T1_T2_T3_mRjT4_P12ihipStream_tbNS1_7vsmem_tEEUlT_E_NS1_11comp_targetILNS1_3genE3ELNS1_11target_archE908ELNS1_3gpuE7ELNS1_3repE0EEENS1_30default_config_static_selectorELNS0_4arch9wavefront6targetE1EEEvSM_,comdat
.Lfunc_end264:
	.size	_ZN7rocprim17ROCPRIM_400000_NS6detail17trampoline_kernelINS0_14default_configENS1_37merge_sort_block_sort_config_selectorIlNS0_10empty_typeEEEZNS1_21merge_sort_block_sortIS3_PlS8_PS5_S9_ZN2at6native12_GLOBAL__N_124unique_dim_cuda_templateIaEESt5tupleIJNSA_6TensorESF_SF_EERKSF_lbbbEUlllE_EE10hipError_tT0_T1_T2_T3_mRjT4_P12ihipStream_tbNS1_7vsmem_tEEUlT_E_NS1_11comp_targetILNS1_3genE3ELNS1_11target_archE908ELNS1_3gpuE7ELNS1_3repE0EEENS1_30default_config_static_selectorELNS0_4arch9wavefront6targetE1EEEvSM_, .Lfunc_end264-_ZN7rocprim17ROCPRIM_400000_NS6detail17trampoline_kernelINS0_14default_configENS1_37merge_sort_block_sort_config_selectorIlNS0_10empty_typeEEEZNS1_21merge_sort_block_sortIS3_PlS8_PS5_S9_ZN2at6native12_GLOBAL__N_124unique_dim_cuda_templateIaEESt5tupleIJNSA_6TensorESF_SF_EERKSF_lbbbEUlllE_EE10hipError_tT0_T1_T2_T3_mRjT4_P12ihipStream_tbNS1_7vsmem_tEEUlT_E_NS1_11comp_targetILNS1_3genE3ELNS1_11target_archE908ELNS1_3gpuE7ELNS1_3repE0EEENS1_30default_config_static_selectorELNS0_4arch9wavefront6targetE1EEEvSM_
                                        ; -- End function
	.section	.AMDGPU.csdata,"",@progbits
; Kernel info:
; codeLenInByte = 0
; NumSgprs: 4
; NumVgprs: 0
; NumAgprs: 0
; TotalNumVgprs: 0
; ScratchSize: 0
; MemoryBound: 0
; FloatMode: 240
; IeeeMode: 1
; LDSByteSize: 0 bytes/workgroup (compile time only)
; SGPRBlocks: 0
; VGPRBlocks: 0
; NumSGPRsForWavesPerEU: 4
; NumVGPRsForWavesPerEU: 1
; AccumOffset: 4
; Occupancy: 8
; WaveLimiterHint : 0
; COMPUTE_PGM_RSRC2:SCRATCH_EN: 0
; COMPUTE_PGM_RSRC2:USER_SGPR: 6
; COMPUTE_PGM_RSRC2:TRAP_HANDLER: 0
; COMPUTE_PGM_RSRC2:TGID_X_EN: 1
; COMPUTE_PGM_RSRC2:TGID_Y_EN: 0
; COMPUTE_PGM_RSRC2:TGID_Z_EN: 0
; COMPUTE_PGM_RSRC2:TIDIG_COMP_CNT: 0
; COMPUTE_PGM_RSRC3_GFX90A:ACCUM_OFFSET: 0
; COMPUTE_PGM_RSRC3_GFX90A:TG_SPLIT: 0
	.section	.text._ZN7rocprim17ROCPRIM_400000_NS6detail17trampoline_kernelINS0_14default_configENS1_37merge_sort_block_sort_config_selectorIlNS0_10empty_typeEEEZNS1_21merge_sort_block_sortIS3_PlS8_PS5_S9_ZN2at6native12_GLOBAL__N_124unique_dim_cuda_templateIaEESt5tupleIJNSA_6TensorESF_SF_EERKSF_lbbbEUlllE_EE10hipError_tT0_T1_T2_T3_mRjT4_P12ihipStream_tbNS1_7vsmem_tEEUlT_E_NS1_11comp_targetILNS1_3genE2ELNS1_11target_archE906ELNS1_3gpuE6ELNS1_3repE0EEENS1_30default_config_static_selectorELNS0_4arch9wavefront6targetE1EEEvSM_,"axG",@progbits,_ZN7rocprim17ROCPRIM_400000_NS6detail17trampoline_kernelINS0_14default_configENS1_37merge_sort_block_sort_config_selectorIlNS0_10empty_typeEEEZNS1_21merge_sort_block_sortIS3_PlS8_PS5_S9_ZN2at6native12_GLOBAL__N_124unique_dim_cuda_templateIaEESt5tupleIJNSA_6TensorESF_SF_EERKSF_lbbbEUlllE_EE10hipError_tT0_T1_T2_T3_mRjT4_P12ihipStream_tbNS1_7vsmem_tEEUlT_E_NS1_11comp_targetILNS1_3genE2ELNS1_11target_archE906ELNS1_3gpuE6ELNS1_3repE0EEENS1_30default_config_static_selectorELNS0_4arch9wavefront6targetE1EEEvSM_,comdat
	.globl	_ZN7rocprim17ROCPRIM_400000_NS6detail17trampoline_kernelINS0_14default_configENS1_37merge_sort_block_sort_config_selectorIlNS0_10empty_typeEEEZNS1_21merge_sort_block_sortIS3_PlS8_PS5_S9_ZN2at6native12_GLOBAL__N_124unique_dim_cuda_templateIaEESt5tupleIJNSA_6TensorESF_SF_EERKSF_lbbbEUlllE_EE10hipError_tT0_T1_T2_T3_mRjT4_P12ihipStream_tbNS1_7vsmem_tEEUlT_E_NS1_11comp_targetILNS1_3genE2ELNS1_11target_archE906ELNS1_3gpuE6ELNS1_3repE0EEENS1_30default_config_static_selectorELNS0_4arch9wavefront6targetE1EEEvSM_ ; -- Begin function _ZN7rocprim17ROCPRIM_400000_NS6detail17trampoline_kernelINS0_14default_configENS1_37merge_sort_block_sort_config_selectorIlNS0_10empty_typeEEEZNS1_21merge_sort_block_sortIS3_PlS8_PS5_S9_ZN2at6native12_GLOBAL__N_124unique_dim_cuda_templateIaEESt5tupleIJNSA_6TensorESF_SF_EERKSF_lbbbEUlllE_EE10hipError_tT0_T1_T2_T3_mRjT4_P12ihipStream_tbNS1_7vsmem_tEEUlT_E_NS1_11comp_targetILNS1_3genE2ELNS1_11target_archE906ELNS1_3gpuE6ELNS1_3repE0EEENS1_30default_config_static_selectorELNS0_4arch9wavefront6targetE1EEEvSM_
	.p2align	8
	.type	_ZN7rocprim17ROCPRIM_400000_NS6detail17trampoline_kernelINS0_14default_configENS1_37merge_sort_block_sort_config_selectorIlNS0_10empty_typeEEEZNS1_21merge_sort_block_sortIS3_PlS8_PS5_S9_ZN2at6native12_GLOBAL__N_124unique_dim_cuda_templateIaEESt5tupleIJNSA_6TensorESF_SF_EERKSF_lbbbEUlllE_EE10hipError_tT0_T1_T2_T3_mRjT4_P12ihipStream_tbNS1_7vsmem_tEEUlT_E_NS1_11comp_targetILNS1_3genE2ELNS1_11target_archE906ELNS1_3gpuE6ELNS1_3repE0EEENS1_30default_config_static_selectorELNS0_4arch9wavefront6targetE1EEEvSM_,@function
_ZN7rocprim17ROCPRIM_400000_NS6detail17trampoline_kernelINS0_14default_configENS1_37merge_sort_block_sort_config_selectorIlNS0_10empty_typeEEEZNS1_21merge_sort_block_sortIS3_PlS8_PS5_S9_ZN2at6native12_GLOBAL__N_124unique_dim_cuda_templateIaEESt5tupleIJNSA_6TensorESF_SF_EERKSF_lbbbEUlllE_EE10hipError_tT0_T1_T2_T3_mRjT4_P12ihipStream_tbNS1_7vsmem_tEEUlT_E_NS1_11comp_targetILNS1_3genE2ELNS1_11target_archE906ELNS1_3gpuE6ELNS1_3repE0EEENS1_30default_config_static_selectorELNS0_4arch9wavefront6targetE1EEEvSM_: ; @_ZN7rocprim17ROCPRIM_400000_NS6detail17trampoline_kernelINS0_14default_configENS1_37merge_sort_block_sort_config_selectorIlNS0_10empty_typeEEEZNS1_21merge_sort_block_sortIS3_PlS8_PS5_S9_ZN2at6native12_GLOBAL__N_124unique_dim_cuda_templateIaEESt5tupleIJNSA_6TensorESF_SF_EERKSF_lbbbEUlllE_EE10hipError_tT0_T1_T2_T3_mRjT4_P12ihipStream_tbNS1_7vsmem_tEEUlT_E_NS1_11comp_targetILNS1_3genE2ELNS1_11target_archE906ELNS1_3gpuE6ELNS1_3repE0EEENS1_30default_config_static_selectorELNS0_4arch9wavefront6targetE1EEEvSM_
; %bb.0:
	.section	.rodata,"a",@progbits
	.p2align	6, 0x0
	.amdhsa_kernel _ZN7rocprim17ROCPRIM_400000_NS6detail17trampoline_kernelINS0_14default_configENS1_37merge_sort_block_sort_config_selectorIlNS0_10empty_typeEEEZNS1_21merge_sort_block_sortIS3_PlS8_PS5_S9_ZN2at6native12_GLOBAL__N_124unique_dim_cuda_templateIaEESt5tupleIJNSA_6TensorESF_SF_EERKSF_lbbbEUlllE_EE10hipError_tT0_T1_T2_T3_mRjT4_P12ihipStream_tbNS1_7vsmem_tEEUlT_E_NS1_11comp_targetILNS1_3genE2ELNS1_11target_archE906ELNS1_3gpuE6ELNS1_3repE0EEENS1_30default_config_static_selectorELNS0_4arch9wavefront6targetE1EEEvSM_
		.amdhsa_group_segment_fixed_size 0
		.amdhsa_private_segment_fixed_size 0
		.amdhsa_kernarg_size 72
		.amdhsa_user_sgpr_count 6
		.amdhsa_user_sgpr_private_segment_buffer 1
		.amdhsa_user_sgpr_dispatch_ptr 0
		.amdhsa_user_sgpr_queue_ptr 0
		.amdhsa_user_sgpr_kernarg_segment_ptr 1
		.amdhsa_user_sgpr_dispatch_id 0
		.amdhsa_user_sgpr_flat_scratch_init 0
		.amdhsa_user_sgpr_kernarg_preload_length 0
		.amdhsa_user_sgpr_kernarg_preload_offset 0
		.amdhsa_user_sgpr_private_segment_size 0
		.amdhsa_uses_dynamic_stack 0
		.amdhsa_system_sgpr_private_segment_wavefront_offset 0
		.amdhsa_system_sgpr_workgroup_id_x 1
		.amdhsa_system_sgpr_workgroup_id_y 0
		.amdhsa_system_sgpr_workgroup_id_z 0
		.amdhsa_system_sgpr_workgroup_info 0
		.amdhsa_system_vgpr_workitem_id 0
		.amdhsa_next_free_vgpr 1
		.amdhsa_next_free_sgpr 0
		.amdhsa_accum_offset 4
		.amdhsa_reserve_vcc 0
		.amdhsa_reserve_flat_scratch 0
		.amdhsa_float_round_mode_32 0
		.amdhsa_float_round_mode_16_64 0
		.amdhsa_float_denorm_mode_32 3
		.amdhsa_float_denorm_mode_16_64 3
		.amdhsa_dx10_clamp 1
		.amdhsa_ieee_mode 1
		.amdhsa_fp16_overflow 0
		.amdhsa_tg_split 0
		.amdhsa_exception_fp_ieee_invalid_op 0
		.amdhsa_exception_fp_denorm_src 0
		.amdhsa_exception_fp_ieee_div_zero 0
		.amdhsa_exception_fp_ieee_overflow 0
		.amdhsa_exception_fp_ieee_underflow 0
		.amdhsa_exception_fp_ieee_inexact 0
		.amdhsa_exception_int_div_zero 0
	.end_amdhsa_kernel
	.section	.text._ZN7rocprim17ROCPRIM_400000_NS6detail17trampoline_kernelINS0_14default_configENS1_37merge_sort_block_sort_config_selectorIlNS0_10empty_typeEEEZNS1_21merge_sort_block_sortIS3_PlS8_PS5_S9_ZN2at6native12_GLOBAL__N_124unique_dim_cuda_templateIaEESt5tupleIJNSA_6TensorESF_SF_EERKSF_lbbbEUlllE_EE10hipError_tT0_T1_T2_T3_mRjT4_P12ihipStream_tbNS1_7vsmem_tEEUlT_E_NS1_11comp_targetILNS1_3genE2ELNS1_11target_archE906ELNS1_3gpuE6ELNS1_3repE0EEENS1_30default_config_static_selectorELNS0_4arch9wavefront6targetE1EEEvSM_,"axG",@progbits,_ZN7rocprim17ROCPRIM_400000_NS6detail17trampoline_kernelINS0_14default_configENS1_37merge_sort_block_sort_config_selectorIlNS0_10empty_typeEEEZNS1_21merge_sort_block_sortIS3_PlS8_PS5_S9_ZN2at6native12_GLOBAL__N_124unique_dim_cuda_templateIaEESt5tupleIJNSA_6TensorESF_SF_EERKSF_lbbbEUlllE_EE10hipError_tT0_T1_T2_T3_mRjT4_P12ihipStream_tbNS1_7vsmem_tEEUlT_E_NS1_11comp_targetILNS1_3genE2ELNS1_11target_archE906ELNS1_3gpuE6ELNS1_3repE0EEENS1_30default_config_static_selectorELNS0_4arch9wavefront6targetE1EEEvSM_,comdat
.Lfunc_end265:
	.size	_ZN7rocprim17ROCPRIM_400000_NS6detail17trampoline_kernelINS0_14default_configENS1_37merge_sort_block_sort_config_selectorIlNS0_10empty_typeEEEZNS1_21merge_sort_block_sortIS3_PlS8_PS5_S9_ZN2at6native12_GLOBAL__N_124unique_dim_cuda_templateIaEESt5tupleIJNSA_6TensorESF_SF_EERKSF_lbbbEUlllE_EE10hipError_tT0_T1_T2_T3_mRjT4_P12ihipStream_tbNS1_7vsmem_tEEUlT_E_NS1_11comp_targetILNS1_3genE2ELNS1_11target_archE906ELNS1_3gpuE6ELNS1_3repE0EEENS1_30default_config_static_selectorELNS0_4arch9wavefront6targetE1EEEvSM_, .Lfunc_end265-_ZN7rocprim17ROCPRIM_400000_NS6detail17trampoline_kernelINS0_14default_configENS1_37merge_sort_block_sort_config_selectorIlNS0_10empty_typeEEEZNS1_21merge_sort_block_sortIS3_PlS8_PS5_S9_ZN2at6native12_GLOBAL__N_124unique_dim_cuda_templateIaEESt5tupleIJNSA_6TensorESF_SF_EERKSF_lbbbEUlllE_EE10hipError_tT0_T1_T2_T3_mRjT4_P12ihipStream_tbNS1_7vsmem_tEEUlT_E_NS1_11comp_targetILNS1_3genE2ELNS1_11target_archE906ELNS1_3gpuE6ELNS1_3repE0EEENS1_30default_config_static_selectorELNS0_4arch9wavefront6targetE1EEEvSM_
                                        ; -- End function
	.section	.AMDGPU.csdata,"",@progbits
; Kernel info:
; codeLenInByte = 0
; NumSgprs: 4
; NumVgprs: 0
; NumAgprs: 0
; TotalNumVgprs: 0
; ScratchSize: 0
; MemoryBound: 0
; FloatMode: 240
; IeeeMode: 1
; LDSByteSize: 0 bytes/workgroup (compile time only)
; SGPRBlocks: 0
; VGPRBlocks: 0
; NumSGPRsForWavesPerEU: 4
; NumVGPRsForWavesPerEU: 1
; AccumOffset: 4
; Occupancy: 8
; WaveLimiterHint : 0
; COMPUTE_PGM_RSRC2:SCRATCH_EN: 0
; COMPUTE_PGM_RSRC2:USER_SGPR: 6
; COMPUTE_PGM_RSRC2:TRAP_HANDLER: 0
; COMPUTE_PGM_RSRC2:TGID_X_EN: 1
; COMPUTE_PGM_RSRC2:TGID_Y_EN: 0
; COMPUTE_PGM_RSRC2:TGID_Z_EN: 0
; COMPUTE_PGM_RSRC2:TIDIG_COMP_CNT: 0
; COMPUTE_PGM_RSRC3_GFX90A:ACCUM_OFFSET: 0
; COMPUTE_PGM_RSRC3_GFX90A:TG_SPLIT: 0
	.section	.text._ZN7rocprim17ROCPRIM_400000_NS6detail17trampoline_kernelINS0_14default_configENS1_37merge_sort_block_sort_config_selectorIlNS0_10empty_typeEEEZNS1_21merge_sort_block_sortIS3_PlS8_PS5_S9_ZN2at6native12_GLOBAL__N_124unique_dim_cuda_templateIaEESt5tupleIJNSA_6TensorESF_SF_EERKSF_lbbbEUlllE_EE10hipError_tT0_T1_T2_T3_mRjT4_P12ihipStream_tbNS1_7vsmem_tEEUlT_E_NS1_11comp_targetILNS1_3genE10ELNS1_11target_archE1201ELNS1_3gpuE5ELNS1_3repE0EEENS1_30default_config_static_selectorELNS0_4arch9wavefront6targetE1EEEvSM_,"axG",@progbits,_ZN7rocprim17ROCPRIM_400000_NS6detail17trampoline_kernelINS0_14default_configENS1_37merge_sort_block_sort_config_selectorIlNS0_10empty_typeEEEZNS1_21merge_sort_block_sortIS3_PlS8_PS5_S9_ZN2at6native12_GLOBAL__N_124unique_dim_cuda_templateIaEESt5tupleIJNSA_6TensorESF_SF_EERKSF_lbbbEUlllE_EE10hipError_tT0_T1_T2_T3_mRjT4_P12ihipStream_tbNS1_7vsmem_tEEUlT_E_NS1_11comp_targetILNS1_3genE10ELNS1_11target_archE1201ELNS1_3gpuE5ELNS1_3repE0EEENS1_30default_config_static_selectorELNS0_4arch9wavefront6targetE1EEEvSM_,comdat
	.globl	_ZN7rocprim17ROCPRIM_400000_NS6detail17trampoline_kernelINS0_14default_configENS1_37merge_sort_block_sort_config_selectorIlNS0_10empty_typeEEEZNS1_21merge_sort_block_sortIS3_PlS8_PS5_S9_ZN2at6native12_GLOBAL__N_124unique_dim_cuda_templateIaEESt5tupleIJNSA_6TensorESF_SF_EERKSF_lbbbEUlllE_EE10hipError_tT0_T1_T2_T3_mRjT4_P12ihipStream_tbNS1_7vsmem_tEEUlT_E_NS1_11comp_targetILNS1_3genE10ELNS1_11target_archE1201ELNS1_3gpuE5ELNS1_3repE0EEENS1_30default_config_static_selectorELNS0_4arch9wavefront6targetE1EEEvSM_ ; -- Begin function _ZN7rocprim17ROCPRIM_400000_NS6detail17trampoline_kernelINS0_14default_configENS1_37merge_sort_block_sort_config_selectorIlNS0_10empty_typeEEEZNS1_21merge_sort_block_sortIS3_PlS8_PS5_S9_ZN2at6native12_GLOBAL__N_124unique_dim_cuda_templateIaEESt5tupleIJNSA_6TensorESF_SF_EERKSF_lbbbEUlllE_EE10hipError_tT0_T1_T2_T3_mRjT4_P12ihipStream_tbNS1_7vsmem_tEEUlT_E_NS1_11comp_targetILNS1_3genE10ELNS1_11target_archE1201ELNS1_3gpuE5ELNS1_3repE0EEENS1_30default_config_static_selectorELNS0_4arch9wavefront6targetE1EEEvSM_
	.p2align	8
	.type	_ZN7rocprim17ROCPRIM_400000_NS6detail17trampoline_kernelINS0_14default_configENS1_37merge_sort_block_sort_config_selectorIlNS0_10empty_typeEEEZNS1_21merge_sort_block_sortIS3_PlS8_PS5_S9_ZN2at6native12_GLOBAL__N_124unique_dim_cuda_templateIaEESt5tupleIJNSA_6TensorESF_SF_EERKSF_lbbbEUlllE_EE10hipError_tT0_T1_T2_T3_mRjT4_P12ihipStream_tbNS1_7vsmem_tEEUlT_E_NS1_11comp_targetILNS1_3genE10ELNS1_11target_archE1201ELNS1_3gpuE5ELNS1_3repE0EEENS1_30default_config_static_selectorELNS0_4arch9wavefront6targetE1EEEvSM_,@function
_ZN7rocprim17ROCPRIM_400000_NS6detail17trampoline_kernelINS0_14default_configENS1_37merge_sort_block_sort_config_selectorIlNS0_10empty_typeEEEZNS1_21merge_sort_block_sortIS3_PlS8_PS5_S9_ZN2at6native12_GLOBAL__N_124unique_dim_cuda_templateIaEESt5tupleIJNSA_6TensorESF_SF_EERKSF_lbbbEUlllE_EE10hipError_tT0_T1_T2_T3_mRjT4_P12ihipStream_tbNS1_7vsmem_tEEUlT_E_NS1_11comp_targetILNS1_3genE10ELNS1_11target_archE1201ELNS1_3gpuE5ELNS1_3repE0EEENS1_30default_config_static_selectorELNS0_4arch9wavefront6targetE1EEEvSM_: ; @_ZN7rocprim17ROCPRIM_400000_NS6detail17trampoline_kernelINS0_14default_configENS1_37merge_sort_block_sort_config_selectorIlNS0_10empty_typeEEEZNS1_21merge_sort_block_sortIS3_PlS8_PS5_S9_ZN2at6native12_GLOBAL__N_124unique_dim_cuda_templateIaEESt5tupleIJNSA_6TensorESF_SF_EERKSF_lbbbEUlllE_EE10hipError_tT0_T1_T2_T3_mRjT4_P12ihipStream_tbNS1_7vsmem_tEEUlT_E_NS1_11comp_targetILNS1_3genE10ELNS1_11target_archE1201ELNS1_3gpuE5ELNS1_3repE0EEENS1_30default_config_static_selectorELNS0_4arch9wavefront6targetE1EEEvSM_
; %bb.0:
	.section	.rodata,"a",@progbits
	.p2align	6, 0x0
	.amdhsa_kernel _ZN7rocprim17ROCPRIM_400000_NS6detail17trampoline_kernelINS0_14default_configENS1_37merge_sort_block_sort_config_selectorIlNS0_10empty_typeEEEZNS1_21merge_sort_block_sortIS3_PlS8_PS5_S9_ZN2at6native12_GLOBAL__N_124unique_dim_cuda_templateIaEESt5tupleIJNSA_6TensorESF_SF_EERKSF_lbbbEUlllE_EE10hipError_tT0_T1_T2_T3_mRjT4_P12ihipStream_tbNS1_7vsmem_tEEUlT_E_NS1_11comp_targetILNS1_3genE10ELNS1_11target_archE1201ELNS1_3gpuE5ELNS1_3repE0EEENS1_30default_config_static_selectorELNS0_4arch9wavefront6targetE1EEEvSM_
		.amdhsa_group_segment_fixed_size 0
		.amdhsa_private_segment_fixed_size 0
		.amdhsa_kernarg_size 72
		.amdhsa_user_sgpr_count 6
		.amdhsa_user_sgpr_private_segment_buffer 1
		.amdhsa_user_sgpr_dispatch_ptr 0
		.amdhsa_user_sgpr_queue_ptr 0
		.amdhsa_user_sgpr_kernarg_segment_ptr 1
		.amdhsa_user_sgpr_dispatch_id 0
		.amdhsa_user_sgpr_flat_scratch_init 0
		.amdhsa_user_sgpr_kernarg_preload_length 0
		.amdhsa_user_sgpr_kernarg_preload_offset 0
		.amdhsa_user_sgpr_private_segment_size 0
		.amdhsa_uses_dynamic_stack 0
		.amdhsa_system_sgpr_private_segment_wavefront_offset 0
		.amdhsa_system_sgpr_workgroup_id_x 1
		.amdhsa_system_sgpr_workgroup_id_y 0
		.amdhsa_system_sgpr_workgroup_id_z 0
		.amdhsa_system_sgpr_workgroup_info 0
		.amdhsa_system_vgpr_workitem_id 0
		.amdhsa_next_free_vgpr 1
		.amdhsa_next_free_sgpr 0
		.amdhsa_accum_offset 4
		.amdhsa_reserve_vcc 0
		.amdhsa_reserve_flat_scratch 0
		.amdhsa_float_round_mode_32 0
		.amdhsa_float_round_mode_16_64 0
		.amdhsa_float_denorm_mode_32 3
		.amdhsa_float_denorm_mode_16_64 3
		.amdhsa_dx10_clamp 1
		.amdhsa_ieee_mode 1
		.amdhsa_fp16_overflow 0
		.amdhsa_tg_split 0
		.amdhsa_exception_fp_ieee_invalid_op 0
		.amdhsa_exception_fp_denorm_src 0
		.amdhsa_exception_fp_ieee_div_zero 0
		.amdhsa_exception_fp_ieee_overflow 0
		.amdhsa_exception_fp_ieee_underflow 0
		.amdhsa_exception_fp_ieee_inexact 0
		.amdhsa_exception_int_div_zero 0
	.end_amdhsa_kernel
	.section	.text._ZN7rocprim17ROCPRIM_400000_NS6detail17trampoline_kernelINS0_14default_configENS1_37merge_sort_block_sort_config_selectorIlNS0_10empty_typeEEEZNS1_21merge_sort_block_sortIS3_PlS8_PS5_S9_ZN2at6native12_GLOBAL__N_124unique_dim_cuda_templateIaEESt5tupleIJNSA_6TensorESF_SF_EERKSF_lbbbEUlllE_EE10hipError_tT0_T1_T2_T3_mRjT4_P12ihipStream_tbNS1_7vsmem_tEEUlT_E_NS1_11comp_targetILNS1_3genE10ELNS1_11target_archE1201ELNS1_3gpuE5ELNS1_3repE0EEENS1_30default_config_static_selectorELNS0_4arch9wavefront6targetE1EEEvSM_,"axG",@progbits,_ZN7rocprim17ROCPRIM_400000_NS6detail17trampoline_kernelINS0_14default_configENS1_37merge_sort_block_sort_config_selectorIlNS0_10empty_typeEEEZNS1_21merge_sort_block_sortIS3_PlS8_PS5_S9_ZN2at6native12_GLOBAL__N_124unique_dim_cuda_templateIaEESt5tupleIJNSA_6TensorESF_SF_EERKSF_lbbbEUlllE_EE10hipError_tT0_T1_T2_T3_mRjT4_P12ihipStream_tbNS1_7vsmem_tEEUlT_E_NS1_11comp_targetILNS1_3genE10ELNS1_11target_archE1201ELNS1_3gpuE5ELNS1_3repE0EEENS1_30default_config_static_selectorELNS0_4arch9wavefront6targetE1EEEvSM_,comdat
.Lfunc_end266:
	.size	_ZN7rocprim17ROCPRIM_400000_NS6detail17trampoline_kernelINS0_14default_configENS1_37merge_sort_block_sort_config_selectorIlNS0_10empty_typeEEEZNS1_21merge_sort_block_sortIS3_PlS8_PS5_S9_ZN2at6native12_GLOBAL__N_124unique_dim_cuda_templateIaEESt5tupleIJNSA_6TensorESF_SF_EERKSF_lbbbEUlllE_EE10hipError_tT0_T1_T2_T3_mRjT4_P12ihipStream_tbNS1_7vsmem_tEEUlT_E_NS1_11comp_targetILNS1_3genE10ELNS1_11target_archE1201ELNS1_3gpuE5ELNS1_3repE0EEENS1_30default_config_static_selectorELNS0_4arch9wavefront6targetE1EEEvSM_, .Lfunc_end266-_ZN7rocprim17ROCPRIM_400000_NS6detail17trampoline_kernelINS0_14default_configENS1_37merge_sort_block_sort_config_selectorIlNS0_10empty_typeEEEZNS1_21merge_sort_block_sortIS3_PlS8_PS5_S9_ZN2at6native12_GLOBAL__N_124unique_dim_cuda_templateIaEESt5tupleIJNSA_6TensorESF_SF_EERKSF_lbbbEUlllE_EE10hipError_tT0_T1_T2_T3_mRjT4_P12ihipStream_tbNS1_7vsmem_tEEUlT_E_NS1_11comp_targetILNS1_3genE10ELNS1_11target_archE1201ELNS1_3gpuE5ELNS1_3repE0EEENS1_30default_config_static_selectorELNS0_4arch9wavefront6targetE1EEEvSM_
                                        ; -- End function
	.section	.AMDGPU.csdata,"",@progbits
; Kernel info:
; codeLenInByte = 0
; NumSgprs: 4
; NumVgprs: 0
; NumAgprs: 0
; TotalNumVgprs: 0
; ScratchSize: 0
; MemoryBound: 0
; FloatMode: 240
; IeeeMode: 1
; LDSByteSize: 0 bytes/workgroup (compile time only)
; SGPRBlocks: 0
; VGPRBlocks: 0
; NumSGPRsForWavesPerEU: 4
; NumVGPRsForWavesPerEU: 1
; AccumOffset: 4
; Occupancy: 8
; WaveLimiterHint : 0
; COMPUTE_PGM_RSRC2:SCRATCH_EN: 0
; COMPUTE_PGM_RSRC2:USER_SGPR: 6
; COMPUTE_PGM_RSRC2:TRAP_HANDLER: 0
; COMPUTE_PGM_RSRC2:TGID_X_EN: 1
; COMPUTE_PGM_RSRC2:TGID_Y_EN: 0
; COMPUTE_PGM_RSRC2:TGID_Z_EN: 0
; COMPUTE_PGM_RSRC2:TIDIG_COMP_CNT: 0
; COMPUTE_PGM_RSRC3_GFX90A:ACCUM_OFFSET: 0
; COMPUTE_PGM_RSRC3_GFX90A:TG_SPLIT: 0
	.section	.text._ZN7rocprim17ROCPRIM_400000_NS6detail17trampoline_kernelINS0_14default_configENS1_37merge_sort_block_sort_config_selectorIlNS0_10empty_typeEEEZNS1_21merge_sort_block_sortIS3_PlS8_PS5_S9_ZN2at6native12_GLOBAL__N_124unique_dim_cuda_templateIaEESt5tupleIJNSA_6TensorESF_SF_EERKSF_lbbbEUlllE_EE10hipError_tT0_T1_T2_T3_mRjT4_P12ihipStream_tbNS1_7vsmem_tEEUlT_E_NS1_11comp_targetILNS1_3genE10ELNS1_11target_archE1200ELNS1_3gpuE4ELNS1_3repE0EEENS1_30default_config_static_selectorELNS0_4arch9wavefront6targetE1EEEvSM_,"axG",@progbits,_ZN7rocprim17ROCPRIM_400000_NS6detail17trampoline_kernelINS0_14default_configENS1_37merge_sort_block_sort_config_selectorIlNS0_10empty_typeEEEZNS1_21merge_sort_block_sortIS3_PlS8_PS5_S9_ZN2at6native12_GLOBAL__N_124unique_dim_cuda_templateIaEESt5tupleIJNSA_6TensorESF_SF_EERKSF_lbbbEUlllE_EE10hipError_tT0_T1_T2_T3_mRjT4_P12ihipStream_tbNS1_7vsmem_tEEUlT_E_NS1_11comp_targetILNS1_3genE10ELNS1_11target_archE1200ELNS1_3gpuE4ELNS1_3repE0EEENS1_30default_config_static_selectorELNS0_4arch9wavefront6targetE1EEEvSM_,comdat
	.globl	_ZN7rocprim17ROCPRIM_400000_NS6detail17trampoline_kernelINS0_14default_configENS1_37merge_sort_block_sort_config_selectorIlNS0_10empty_typeEEEZNS1_21merge_sort_block_sortIS3_PlS8_PS5_S9_ZN2at6native12_GLOBAL__N_124unique_dim_cuda_templateIaEESt5tupleIJNSA_6TensorESF_SF_EERKSF_lbbbEUlllE_EE10hipError_tT0_T1_T2_T3_mRjT4_P12ihipStream_tbNS1_7vsmem_tEEUlT_E_NS1_11comp_targetILNS1_3genE10ELNS1_11target_archE1200ELNS1_3gpuE4ELNS1_3repE0EEENS1_30default_config_static_selectorELNS0_4arch9wavefront6targetE1EEEvSM_ ; -- Begin function _ZN7rocprim17ROCPRIM_400000_NS6detail17trampoline_kernelINS0_14default_configENS1_37merge_sort_block_sort_config_selectorIlNS0_10empty_typeEEEZNS1_21merge_sort_block_sortIS3_PlS8_PS5_S9_ZN2at6native12_GLOBAL__N_124unique_dim_cuda_templateIaEESt5tupleIJNSA_6TensorESF_SF_EERKSF_lbbbEUlllE_EE10hipError_tT0_T1_T2_T3_mRjT4_P12ihipStream_tbNS1_7vsmem_tEEUlT_E_NS1_11comp_targetILNS1_3genE10ELNS1_11target_archE1200ELNS1_3gpuE4ELNS1_3repE0EEENS1_30default_config_static_selectorELNS0_4arch9wavefront6targetE1EEEvSM_
	.p2align	8
	.type	_ZN7rocprim17ROCPRIM_400000_NS6detail17trampoline_kernelINS0_14default_configENS1_37merge_sort_block_sort_config_selectorIlNS0_10empty_typeEEEZNS1_21merge_sort_block_sortIS3_PlS8_PS5_S9_ZN2at6native12_GLOBAL__N_124unique_dim_cuda_templateIaEESt5tupleIJNSA_6TensorESF_SF_EERKSF_lbbbEUlllE_EE10hipError_tT0_T1_T2_T3_mRjT4_P12ihipStream_tbNS1_7vsmem_tEEUlT_E_NS1_11comp_targetILNS1_3genE10ELNS1_11target_archE1200ELNS1_3gpuE4ELNS1_3repE0EEENS1_30default_config_static_selectorELNS0_4arch9wavefront6targetE1EEEvSM_,@function
_ZN7rocprim17ROCPRIM_400000_NS6detail17trampoline_kernelINS0_14default_configENS1_37merge_sort_block_sort_config_selectorIlNS0_10empty_typeEEEZNS1_21merge_sort_block_sortIS3_PlS8_PS5_S9_ZN2at6native12_GLOBAL__N_124unique_dim_cuda_templateIaEESt5tupleIJNSA_6TensorESF_SF_EERKSF_lbbbEUlllE_EE10hipError_tT0_T1_T2_T3_mRjT4_P12ihipStream_tbNS1_7vsmem_tEEUlT_E_NS1_11comp_targetILNS1_3genE10ELNS1_11target_archE1200ELNS1_3gpuE4ELNS1_3repE0EEENS1_30default_config_static_selectorELNS0_4arch9wavefront6targetE1EEEvSM_: ; @_ZN7rocprim17ROCPRIM_400000_NS6detail17trampoline_kernelINS0_14default_configENS1_37merge_sort_block_sort_config_selectorIlNS0_10empty_typeEEEZNS1_21merge_sort_block_sortIS3_PlS8_PS5_S9_ZN2at6native12_GLOBAL__N_124unique_dim_cuda_templateIaEESt5tupleIJNSA_6TensorESF_SF_EERKSF_lbbbEUlllE_EE10hipError_tT0_T1_T2_T3_mRjT4_P12ihipStream_tbNS1_7vsmem_tEEUlT_E_NS1_11comp_targetILNS1_3genE10ELNS1_11target_archE1200ELNS1_3gpuE4ELNS1_3repE0EEENS1_30default_config_static_selectorELNS0_4arch9wavefront6targetE1EEEvSM_
; %bb.0:
	.section	.rodata,"a",@progbits
	.p2align	6, 0x0
	.amdhsa_kernel _ZN7rocprim17ROCPRIM_400000_NS6detail17trampoline_kernelINS0_14default_configENS1_37merge_sort_block_sort_config_selectorIlNS0_10empty_typeEEEZNS1_21merge_sort_block_sortIS3_PlS8_PS5_S9_ZN2at6native12_GLOBAL__N_124unique_dim_cuda_templateIaEESt5tupleIJNSA_6TensorESF_SF_EERKSF_lbbbEUlllE_EE10hipError_tT0_T1_T2_T3_mRjT4_P12ihipStream_tbNS1_7vsmem_tEEUlT_E_NS1_11comp_targetILNS1_3genE10ELNS1_11target_archE1200ELNS1_3gpuE4ELNS1_3repE0EEENS1_30default_config_static_selectorELNS0_4arch9wavefront6targetE1EEEvSM_
		.amdhsa_group_segment_fixed_size 0
		.amdhsa_private_segment_fixed_size 0
		.amdhsa_kernarg_size 72
		.amdhsa_user_sgpr_count 6
		.amdhsa_user_sgpr_private_segment_buffer 1
		.amdhsa_user_sgpr_dispatch_ptr 0
		.amdhsa_user_sgpr_queue_ptr 0
		.amdhsa_user_sgpr_kernarg_segment_ptr 1
		.amdhsa_user_sgpr_dispatch_id 0
		.amdhsa_user_sgpr_flat_scratch_init 0
		.amdhsa_user_sgpr_kernarg_preload_length 0
		.amdhsa_user_sgpr_kernarg_preload_offset 0
		.amdhsa_user_sgpr_private_segment_size 0
		.amdhsa_uses_dynamic_stack 0
		.amdhsa_system_sgpr_private_segment_wavefront_offset 0
		.amdhsa_system_sgpr_workgroup_id_x 1
		.amdhsa_system_sgpr_workgroup_id_y 0
		.amdhsa_system_sgpr_workgroup_id_z 0
		.amdhsa_system_sgpr_workgroup_info 0
		.amdhsa_system_vgpr_workitem_id 0
		.amdhsa_next_free_vgpr 1
		.amdhsa_next_free_sgpr 0
		.amdhsa_accum_offset 4
		.amdhsa_reserve_vcc 0
		.amdhsa_reserve_flat_scratch 0
		.amdhsa_float_round_mode_32 0
		.amdhsa_float_round_mode_16_64 0
		.amdhsa_float_denorm_mode_32 3
		.amdhsa_float_denorm_mode_16_64 3
		.amdhsa_dx10_clamp 1
		.amdhsa_ieee_mode 1
		.amdhsa_fp16_overflow 0
		.amdhsa_tg_split 0
		.amdhsa_exception_fp_ieee_invalid_op 0
		.amdhsa_exception_fp_denorm_src 0
		.amdhsa_exception_fp_ieee_div_zero 0
		.amdhsa_exception_fp_ieee_overflow 0
		.amdhsa_exception_fp_ieee_underflow 0
		.amdhsa_exception_fp_ieee_inexact 0
		.amdhsa_exception_int_div_zero 0
	.end_amdhsa_kernel
	.section	.text._ZN7rocprim17ROCPRIM_400000_NS6detail17trampoline_kernelINS0_14default_configENS1_37merge_sort_block_sort_config_selectorIlNS0_10empty_typeEEEZNS1_21merge_sort_block_sortIS3_PlS8_PS5_S9_ZN2at6native12_GLOBAL__N_124unique_dim_cuda_templateIaEESt5tupleIJNSA_6TensorESF_SF_EERKSF_lbbbEUlllE_EE10hipError_tT0_T1_T2_T3_mRjT4_P12ihipStream_tbNS1_7vsmem_tEEUlT_E_NS1_11comp_targetILNS1_3genE10ELNS1_11target_archE1200ELNS1_3gpuE4ELNS1_3repE0EEENS1_30default_config_static_selectorELNS0_4arch9wavefront6targetE1EEEvSM_,"axG",@progbits,_ZN7rocprim17ROCPRIM_400000_NS6detail17trampoline_kernelINS0_14default_configENS1_37merge_sort_block_sort_config_selectorIlNS0_10empty_typeEEEZNS1_21merge_sort_block_sortIS3_PlS8_PS5_S9_ZN2at6native12_GLOBAL__N_124unique_dim_cuda_templateIaEESt5tupleIJNSA_6TensorESF_SF_EERKSF_lbbbEUlllE_EE10hipError_tT0_T1_T2_T3_mRjT4_P12ihipStream_tbNS1_7vsmem_tEEUlT_E_NS1_11comp_targetILNS1_3genE10ELNS1_11target_archE1200ELNS1_3gpuE4ELNS1_3repE0EEENS1_30default_config_static_selectorELNS0_4arch9wavefront6targetE1EEEvSM_,comdat
.Lfunc_end267:
	.size	_ZN7rocprim17ROCPRIM_400000_NS6detail17trampoline_kernelINS0_14default_configENS1_37merge_sort_block_sort_config_selectorIlNS0_10empty_typeEEEZNS1_21merge_sort_block_sortIS3_PlS8_PS5_S9_ZN2at6native12_GLOBAL__N_124unique_dim_cuda_templateIaEESt5tupleIJNSA_6TensorESF_SF_EERKSF_lbbbEUlllE_EE10hipError_tT0_T1_T2_T3_mRjT4_P12ihipStream_tbNS1_7vsmem_tEEUlT_E_NS1_11comp_targetILNS1_3genE10ELNS1_11target_archE1200ELNS1_3gpuE4ELNS1_3repE0EEENS1_30default_config_static_selectorELNS0_4arch9wavefront6targetE1EEEvSM_, .Lfunc_end267-_ZN7rocprim17ROCPRIM_400000_NS6detail17trampoline_kernelINS0_14default_configENS1_37merge_sort_block_sort_config_selectorIlNS0_10empty_typeEEEZNS1_21merge_sort_block_sortIS3_PlS8_PS5_S9_ZN2at6native12_GLOBAL__N_124unique_dim_cuda_templateIaEESt5tupleIJNSA_6TensorESF_SF_EERKSF_lbbbEUlllE_EE10hipError_tT0_T1_T2_T3_mRjT4_P12ihipStream_tbNS1_7vsmem_tEEUlT_E_NS1_11comp_targetILNS1_3genE10ELNS1_11target_archE1200ELNS1_3gpuE4ELNS1_3repE0EEENS1_30default_config_static_selectorELNS0_4arch9wavefront6targetE1EEEvSM_
                                        ; -- End function
	.section	.AMDGPU.csdata,"",@progbits
; Kernel info:
; codeLenInByte = 0
; NumSgprs: 4
; NumVgprs: 0
; NumAgprs: 0
; TotalNumVgprs: 0
; ScratchSize: 0
; MemoryBound: 0
; FloatMode: 240
; IeeeMode: 1
; LDSByteSize: 0 bytes/workgroup (compile time only)
; SGPRBlocks: 0
; VGPRBlocks: 0
; NumSGPRsForWavesPerEU: 4
; NumVGPRsForWavesPerEU: 1
; AccumOffset: 4
; Occupancy: 8
; WaveLimiterHint : 0
; COMPUTE_PGM_RSRC2:SCRATCH_EN: 0
; COMPUTE_PGM_RSRC2:USER_SGPR: 6
; COMPUTE_PGM_RSRC2:TRAP_HANDLER: 0
; COMPUTE_PGM_RSRC2:TGID_X_EN: 1
; COMPUTE_PGM_RSRC2:TGID_Y_EN: 0
; COMPUTE_PGM_RSRC2:TGID_Z_EN: 0
; COMPUTE_PGM_RSRC2:TIDIG_COMP_CNT: 0
; COMPUTE_PGM_RSRC3_GFX90A:ACCUM_OFFSET: 0
; COMPUTE_PGM_RSRC3_GFX90A:TG_SPLIT: 0
	.section	.text._ZN7rocprim17ROCPRIM_400000_NS6detail17trampoline_kernelINS0_14default_configENS1_37merge_sort_block_sort_config_selectorIlNS0_10empty_typeEEEZNS1_21merge_sort_block_sortIS3_PlS8_PS5_S9_ZN2at6native12_GLOBAL__N_124unique_dim_cuda_templateIaEESt5tupleIJNSA_6TensorESF_SF_EERKSF_lbbbEUlllE_EE10hipError_tT0_T1_T2_T3_mRjT4_P12ihipStream_tbNS1_7vsmem_tEEUlT_E_NS1_11comp_targetILNS1_3genE9ELNS1_11target_archE1100ELNS1_3gpuE3ELNS1_3repE0EEENS1_30default_config_static_selectorELNS0_4arch9wavefront6targetE1EEEvSM_,"axG",@progbits,_ZN7rocprim17ROCPRIM_400000_NS6detail17trampoline_kernelINS0_14default_configENS1_37merge_sort_block_sort_config_selectorIlNS0_10empty_typeEEEZNS1_21merge_sort_block_sortIS3_PlS8_PS5_S9_ZN2at6native12_GLOBAL__N_124unique_dim_cuda_templateIaEESt5tupleIJNSA_6TensorESF_SF_EERKSF_lbbbEUlllE_EE10hipError_tT0_T1_T2_T3_mRjT4_P12ihipStream_tbNS1_7vsmem_tEEUlT_E_NS1_11comp_targetILNS1_3genE9ELNS1_11target_archE1100ELNS1_3gpuE3ELNS1_3repE0EEENS1_30default_config_static_selectorELNS0_4arch9wavefront6targetE1EEEvSM_,comdat
	.globl	_ZN7rocprim17ROCPRIM_400000_NS6detail17trampoline_kernelINS0_14default_configENS1_37merge_sort_block_sort_config_selectorIlNS0_10empty_typeEEEZNS1_21merge_sort_block_sortIS3_PlS8_PS5_S9_ZN2at6native12_GLOBAL__N_124unique_dim_cuda_templateIaEESt5tupleIJNSA_6TensorESF_SF_EERKSF_lbbbEUlllE_EE10hipError_tT0_T1_T2_T3_mRjT4_P12ihipStream_tbNS1_7vsmem_tEEUlT_E_NS1_11comp_targetILNS1_3genE9ELNS1_11target_archE1100ELNS1_3gpuE3ELNS1_3repE0EEENS1_30default_config_static_selectorELNS0_4arch9wavefront6targetE1EEEvSM_ ; -- Begin function _ZN7rocprim17ROCPRIM_400000_NS6detail17trampoline_kernelINS0_14default_configENS1_37merge_sort_block_sort_config_selectorIlNS0_10empty_typeEEEZNS1_21merge_sort_block_sortIS3_PlS8_PS5_S9_ZN2at6native12_GLOBAL__N_124unique_dim_cuda_templateIaEESt5tupleIJNSA_6TensorESF_SF_EERKSF_lbbbEUlllE_EE10hipError_tT0_T1_T2_T3_mRjT4_P12ihipStream_tbNS1_7vsmem_tEEUlT_E_NS1_11comp_targetILNS1_3genE9ELNS1_11target_archE1100ELNS1_3gpuE3ELNS1_3repE0EEENS1_30default_config_static_selectorELNS0_4arch9wavefront6targetE1EEEvSM_
	.p2align	8
	.type	_ZN7rocprim17ROCPRIM_400000_NS6detail17trampoline_kernelINS0_14default_configENS1_37merge_sort_block_sort_config_selectorIlNS0_10empty_typeEEEZNS1_21merge_sort_block_sortIS3_PlS8_PS5_S9_ZN2at6native12_GLOBAL__N_124unique_dim_cuda_templateIaEESt5tupleIJNSA_6TensorESF_SF_EERKSF_lbbbEUlllE_EE10hipError_tT0_T1_T2_T3_mRjT4_P12ihipStream_tbNS1_7vsmem_tEEUlT_E_NS1_11comp_targetILNS1_3genE9ELNS1_11target_archE1100ELNS1_3gpuE3ELNS1_3repE0EEENS1_30default_config_static_selectorELNS0_4arch9wavefront6targetE1EEEvSM_,@function
_ZN7rocprim17ROCPRIM_400000_NS6detail17trampoline_kernelINS0_14default_configENS1_37merge_sort_block_sort_config_selectorIlNS0_10empty_typeEEEZNS1_21merge_sort_block_sortIS3_PlS8_PS5_S9_ZN2at6native12_GLOBAL__N_124unique_dim_cuda_templateIaEESt5tupleIJNSA_6TensorESF_SF_EERKSF_lbbbEUlllE_EE10hipError_tT0_T1_T2_T3_mRjT4_P12ihipStream_tbNS1_7vsmem_tEEUlT_E_NS1_11comp_targetILNS1_3genE9ELNS1_11target_archE1100ELNS1_3gpuE3ELNS1_3repE0EEENS1_30default_config_static_selectorELNS0_4arch9wavefront6targetE1EEEvSM_: ; @_ZN7rocprim17ROCPRIM_400000_NS6detail17trampoline_kernelINS0_14default_configENS1_37merge_sort_block_sort_config_selectorIlNS0_10empty_typeEEEZNS1_21merge_sort_block_sortIS3_PlS8_PS5_S9_ZN2at6native12_GLOBAL__N_124unique_dim_cuda_templateIaEESt5tupleIJNSA_6TensorESF_SF_EERKSF_lbbbEUlllE_EE10hipError_tT0_T1_T2_T3_mRjT4_P12ihipStream_tbNS1_7vsmem_tEEUlT_E_NS1_11comp_targetILNS1_3genE9ELNS1_11target_archE1100ELNS1_3gpuE3ELNS1_3repE0EEENS1_30default_config_static_selectorELNS0_4arch9wavefront6targetE1EEEvSM_
; %bb.0:
	.section	.rodata,"a",@progbits
	.p2align	6, 0x0
	.amdhsa_kernel _ZN7rocprim17ROCPRIM_400000_NS6detail17trampoline_kernelINS0_14default_configENS1_37merge_sort_block_sort_config_selectorIlNS0_10empty_typeEEEZNS1_21merge_sort_block_sortIS3_PlS8_PS5_S9_ZN2at6native12_GLOBAL__N_124unique_dim_cuda_templateIaEESt5tupleIJNSA_6TensorESF_SF_EERKSF_lbbbEUlllE_EE10hipError_tT0_T1_T2_T3_mRjT4_P12ihipStream_tbNS1_7vsmem_tEEUlT_E_NS1_11comp_targetILNS1_3genE9ELNS1_11target_archE1100ELNS1_3gpuE3ELNS1_3repE0EEENS1_30default_config_static_selectorELNS0_4arch9wavefront6targetE1EEEvSM_
		.amdhsa_group_segment_fixed_size 0
		.amdhsa_private_segment_fixed_size 0
		.amdhsa_kernarg_size 72
		.amdhsa_user_sgpr_count 6
		.amdhsa_user_sgpr_private_segment_buffer 1
		.amdhsa_user_sgpr_dispatch_ptr 0
		.amdhsa_user_sgpr_queue_ptr 0
		.amdhsa_user_sgpr_kernarg_segment_ptr 1
		.amdhsa_user_sgpr_dispatch_id 0
		.amdhsa_user_sgpr_flat_scratch_init 0
		.amdhsa_user_sgpr_kernarg_preload_length 0
		.amdhsa_user_sgpr_kernarg_preload_offset 0
		.amdhsa_user_sgpr_private_segment_size 0
		.amdhsa_uses_dynamic_stack 0
		.amdhsa_system_sgpr_private_segment_wavefront_offset 0
		.amdhsa_system_sgpr_workgroup_id_x 1
		.amdhsa_system_sgpr_workgroup_id_y 0
		.amdhsa_system_sgpr_workgroup_id_z 0
		.amdhsa_system_sgpr_workgroup_info 0
		.amdhsa_system_vgpr_workitem_id 0
		.amdhsa_next_free_vgpr 1
		.amdhsa_next_free_sgpr 0
		.amdhsa_accum_offset 4
		.amdhsa_reserve_vcc 0
		.amdhsa_reserve_flat_scratch 0
		.amdhsa_float_round_mode_32 0
		.amdhsa_float_round_mode_16_64 0
		.amdhsa_float_denorm_mode_32 3
		.amdhsa_float_denorm_mode_16_64 3
		.amdhsa_dx10_clamp 1
		.amdhsa_ieee_mode 1
		.amdhsa_fp16_overflow 0
		.amdhsa_tg_split 0
		.amdhsa_exception_fp_ieee_invalid_op 0
		.amdhsa_exception_fp_denorm_src 0
		.amdhsa_exception_fp_ieee_div_zero 0
		.amdhsa_exception_fp_ieee_overflow 0
		.amdhsa_exception_fp_ieee_underflow 0
		.amdhsa_exception_fp_ieee_inexact 0
		.amdhsa_exception_int_div_zero 0
	.end_amdhsa_kernel
	.section	.text._ZN7rocprim17ROCPRIM_400000_NS6detail17trampoline_kernelINS0_14default_configENS1_37merge_sort_block_sort_config_selectorIlNS0_10empty_typeEEEZNS1_21merge_sort_block_sortIS3_PlS8_PS5_S9_ZN2at6native12_GLOBAL__N_124unique_dim_cuda_templateIaEESt5tupleIJNSA_6TensorESF_SF_EERKSF_lbbbEUlllE_EE10hipError_tT0_T1_T2_T3_mRjT4_P12ihipStream_tbNS1_7vsmem_tEEUlT_E_NS1_11comp_targetILNS1_3genE9ELNS1_11target_archE1100ELNS1_3gpuE3ELNS1_3repE0EEENS1_30default_config_static_selectorELNS0_4arch9wavefront6targetE1EEEvSM_,"axG",@progbits,_ZN7rocprim17ROCPRIM_400000_NS6detail17trampoline_kernelINS0_14default_configENS1_37merge_sort_block_sort_config_selectorIlNS0_10empty_typeEEEZNS1_21merge_sort_block_sortIS3_PlS8_PS5_S9_ZN2at6native12_GLOBAL__N_124unique_dim_cuda_templateIaEESt5tupleIJNSA_6TensorESF_SF_EERKSF_lbbbEUlllE_EE10hipError_tT0_T1_T2_T3_mRjT4_P12ihipStream_tbNS1_7vsmem_tEEUlT_E_NS1_11comp_targetILNS1_3genE9ELNS1_11target_archE1100ELNS1_3gpuE3ELNS1_3repE0EEENS1_30default_config_static_selectorELNS0_4arch9wavefront6targetE1EEEvSM_,comdat
.Lfunc_end268:
	.size	_ZN7rocprim17ROCPRIM_400000_NS6detail17trampoline_kernelINS0_14default_configENS1_37merge_sort_block_sort_config_selectorIlNS0_10empty_typeEEEZNS1_21merge_sort_block_sortIS3_PlS8_PS5_S9_ZN2at6native12_GLOBAL__N_124unique_dim_cuda_templateIaEESt5tupleIJNSA_6TensorESF_SF_EERKSF_lbbbEUlllE_EE10hipError_tT0_T1_T2_T3_mRjT4_P12ihipStream_tbNS1_7vsmem_tEEUlT_E_NS1_11comp_targetILNS1_3genE9ELNS1_11target_archE1100ELNS1_3gpuE3ELNS1_3repE0EEENS1_30default_config_static_selectorELNS0_4arch9wavefront6targetE1EEEvSM_, .Lfunc_end268-_ZN7rocprim17ROCPRIM_400000_NS6detail17trampoline_kernelINS0_14default_configENS1_37merge_sort_block_sort_config_selectorIlNS0_10empty_typeEEEZNS1_21merge_sort_block_sortIS3_PlS8_PS5_S9_ZN2at6native12_GLOBAL__N_124unique_dim_cuda_templateIaEESt5tupleIJNSA_6TensorESF_SF_EERKSF_lbbbEUlllE_EE10hipError_tT0_T1_T2_T3_mRjT4_P12ihipStream_tbNS1_7vsmem_tEEUlT_E_NS1_11comp_targetILNS1_3genE9ELNS1_11target_archE1100ELNS1_3gpuE3ELNS1_3repE0EEENS1_30default_config_static_selectorELNS0_4arch9wavefront6targetE1EEEvSM_
                                        ; -- End function
	.section	.AMDGPU.csdata,"",@progbits
; Kernel info:
; codeLenInByte = 0
; NumSgprs: 4
; NumVgprs: 0
; NumAgprs: 0
; TotalNumVgprs: 0
; ScratchSize: 0
; MemoryBound: 0
; FloatMode: 240
; IeeeMode: 1
; LDSByteSize: 0 bytes/workgroup (compile time only)
; SGPRBlocks: 0
; VGPRBlocks: 0
; NumSGPRsForWavesPerEU: 4
; NumVGPRsForWavesPerEU: 1
; AccumOffset: 4
; Occupancy: 8
; WaveLimiterHint : 0
; COMPUTE_PGM_RSRC2:SCRATCH_EN: 0
; COMPUTE_PGM_RSRC2:USER_SGPR: 6
; COMPUTE_PGM_RSRC2:TRAP_HANDLER: 0
; COMPUTE_PGM_RSRC2:TGID_X_EN: 1
; COMPUTE_PGM_RSRC2:TGID_Y_EN: 0
; COMPUTE_PGM_RSRC2:TGID_Z_EN: 0
; COMPUTE_PGM_RSRC2:TIDIG_COMP_CNT: 0
; COMPUTE_PGM_RSRC3_GFX90A:ACCUM_OFFSET: 0
; COMPUTE_PGM_RSRC3_GFX90A:TG_SPLIT: 0
	.section	.text._ZN7rocprim17ROCPRIM_400000_NS6detail17trampoline_kernelINS0_14default_configENS1_37merge_sort_block_sort_config_selectorIlNS0_10empty_typeEEEZNS1_21merge_sort_block_sortIS3_PlS8_PS5_S9_ZN2at6native12_GLOBAL__N_124unique_dim_cuda_templateIaEESt5tupleIJNSA_6TensorESF_SF_EERKSF_lbbbEUlllE_EE10hipError_tT0_T1_T2_T3_mRjT4_P12ihipStream_tbNS1_7vsmem_tEEUlT_E_NS1_11comp_targetILNS1_3genE8ELNS1_11target_archE1030ELNS1_3gpuE2ELNS1_3repE0EEENS1_30default_config_static_selectorELNS0_4arch9wavefront6targetE1EEEvSM_,"axG",@progbits,_ZN7rocprim17ROCPRIM_400000_NS6detail17trampoline_kernelINS0_14default_configENS1_37merge_sort_block_sort_config_selectorIlNS0_10empty_typeEEEZNS1_21merge_sort_block_sortIS3_PlS8_PS5_S9_ZN2at6native12_GLOBAL__N_124unique_dim_cuda_templateIaEESt5tupleIJNSA_6TensorESF_SF_EERKSF_lbbbEUlllE_EE10hipError_tT0_T1_T2_T3_mRjT4_P12ihipStream_tbNS1_7vsmem_tEEUlT_E_NS1_11comp_targetILNS1_3genE8ELNS1_11target_archE1030ELNS1_3gpuE2ELNS1_3repE0EEENS1_30default_config_static_selectorELNS0_4arch9wavefront6targetE1EEEvSM_,comdat
	.globl	_ZN7rocprim17ROCPRIM_400000_NS6detail17trampoline_kernelINS0_14default_configENS1_37merge_sort_block_sort_config_selectorIlNS0_10empty_typeEEEZNS1_21merge_sort_block_sortIS3_PlS8_PS5_S9_ZN2at6native12_GLOBAL__N_124unique_dim_cuda_templateIaEESt5tupleIJNSA_6TensorESF_SF_EERKSF_lbbbEUlllE_EE10hipError_tT0_T1_T2_T3_mRjT4_P12ihipStream_tbNS1_7vsmem_tEEUlT_E_NS1_11comp_targetILNS1_3genE8ELNS1_11target_archE1030ELNS1_3gpuE2ELNS1_3repE0EEENS1_30default_config_static_selectorELNS0_4arch9wavefront6targetE1EEEvSM_ ; -- Begin function _ZN7rocprim17ROCPRIM_400000_NS6detail17trampoline_kernelINS0_14default_configENS1_37merge_sort_block_sort_config_selectorIlNS0_10empty_typeEEEZNS1_21merge_sort_block_sortIS3_PlS8_PS5_S9_ZN2at6native12_GLOBAL__N_124unique_dim_cuda_templateIaEESt5tupleIJNSA_6TensorESF_SF_EERKSF_lbbbEUlllE_EE10hipError_tT0_T1_T2_T3_mRjT4_P12ihipStream_tbNS1_7vsmem_tEEUlT_E_NS1_11comp_targetILNS1_3genE8ELNS1_11target_archE1030ELNS1_3gpuE2ELNS1_3repE0EEENS1_30default_config_static_selectorELNS0_4arch9wavefront6targetE1EEEvSM_
	.p2align	8
	.type	_ZN7rocprim17ROCPRIM_400000_NS6detail17trampoline_kernelINS0_14default_configENS1_37merge_sort_block_sort_config_selectorIlNS0_10empty_typeEEEZNS1_21merge_sort_block_sortIS3_PlS8_PS5_S9_ZN2at6native12_GLOBAL__N_124unique_dim_cuda_templateIaEESt5tupleIJNSA_6TensorESF_SF_EERKSF_lbbbEUlllE_EE10hipError_tT0_T1_T2_T3_mRjT4_P12ihipStream_tbNS1_7vsmem_tEEUlT_E_NS1_11comp_targetILNS1_3genE8ELNS1_11target_archE1030ELNS1_3gpuE2ELNS1_3repE0EEENS1_30default_config_static_selectorELNS0_4arch9wavefront6targetE1EEEvSM_,@function
_ZN7rocprim17ROCPRIM_400000_NS6detail17trampoline_kernelINS0_14default_configENS1_37merge_sort_block_sort_config_selectorIlNS0_10empty_typeEEEZNS1_21merge_sort_block_sortIS3_PlS8_PS5_S9_ZN2at6native12_GLOBAL__N_124unique_dim_cuda_templateIaEESt5tupleIJNSA_6TensorESF_SF_EERKSF_lbbbEUlllE_EE10hipError_tT0_T1_T2_T3_mRjT4_P12ihipStream_tbNS1_7vsmem_tEEUlT_E_NS1_11comp_targetILNS1_3genE8ELNS1_11target_archE1030ELNS1_3gpuE2ELNS1_3repE0EEENS1_30default_config_static_selectorELNS0_4arch9wavefront6targetE1EEEvSM_: ; @_ZN7rocprim17ROCPRIM_400000_NS6detail17trampoline_kernelINS0_14default_configENS1_37merge_sort_block_sort_config_selectorIlNS0_10empty_typeEEEZNS1_21merge_sort_block_sortIS3_PlS8_PS5_S9_ZN2at6native12_GLOBAL__N_124unique_dim_cuda_templateIaEESt5tupleIJNSA_6TensorESF_SF_EERKSF_lbbbEUlllE_EE10hipError_tT0_T1_T2_T3_mRjT4_P12ihipStream_tbNS1_7vsmem_tEEUlT_E_NS1_11comp_targetILNS1_3genE8ELNS1_11target_archE1030ELNS1_3gpuE2ELNS1_3repE0EEENS1_30default_config_static_selectorELNS0_4arch9wavefront6targetE1EEEvSM_
; %bb.0:
	.section	.rodata,"a",@progbits
	.p2align	6, 0x0
	.amdhsa_kernel _ZN7rocprim17ROCPRIM_400000_NS6detail17trampoline_kernelINS0_14default_configENS1_37merge_sort_block_sort_config_selectorIlNS0_10empty_typeEEEZNS1_21merge_sort_block_sortIS3_PlS8_PS5_S9_ZN2at6native12_GLOBAL__N_124unique_dim_cuda_templateIaEESt5tupleIJNSA_6TensorESF_SF_EERKSF_lbbbEUlllE_EE10hipError_tT0_T1_T2_T3_mRjT4_P12ihipStream_tbNS1_7vsmem_tEEUlT_E_NS1_11comp_targetILNS1_3genE8ELNS1_11target_archE1030ELNS1_3gpuE2ELNS1_3repE0EEENS1_30default_config_static_selectorELNS0_4arch9wavefront6targetE1EEEvSM_
		.amdhsa_group_segment_fixed_size 0
		.amdhsa_private_segment_fixed_size 0
		.amdhsa_kernarg_size 72
		.amdhsa_user_sgpr_count 6
		.amdhsa_user_sgpr_private_segment_buffer 1
		.amdhsa_user_sgpr_dispatch_ptr 0
		.amdhsa_user_sgpr_queue_ptr 0
		.amdhsa_user_sgpr_kernarg_segment_ptr 1
		.amdhsa_user_sgpr_dispatch_id 0
		.amdhsa_user_sgpr_flat_scratch_init 0
		.amdhsa_user_sgpr_kernarg_preload_length 0
		.amdhsa_user_sgpr_kernarg_preload_offset 0
		.amdhsa_user_sgpr_private_segment_size 0
		.amdhsa_uses_dynamic_stack 0
		.amdhsa_system_sgpr_private_segment_wavefront_offset 0
		.amdhsa_system_sgpr_workgroup_id_x 1
		.amdhsa_system_sgpr_workgroup_id_y 0
		.amdhsa_system_sgpr_workgroup_id_z 0
		.amdhsa_system_sgpr_workgroup_info 0
		.amdhsa_system_vgpr_workitem_id 0
		.amdhsa_next_free_vgpr 1
		.amdhsa_next_free_sgpr 0
		.amdhsa_accum_offset 4
		.amdhsa_reserve_vcc 0
		.amdhsa_reserve_flat_scratch 0
		.amdhsa_float_round_mode_32 0
		.amdhsa_float_round_mode_16_64 0
		.amdhsa_float_denorm_mode_32 3
		.amdhsa_float_denorm_mode_16_64 3
		.amdhsa_dx10_clamp 1
		.amdhsa_ieee_mode 1
		.amdhsa_fp16_overflow 0
		.amdhsa_tg_split 0
		.amdhsa_exception_fp_ieee_invalid_op 0
		.amdhsa_exception_fp_denorm_src 0
		.amdhsa_exception_fp_ieee_div_zero 0
		.amdhsa_exception_fp_ieee_overflow 0
		.amdhsa_exception_fp_ieee_underflow 0
		.amdhsa_exception_fp_ieee_inexact 0
		.amdhsa_exception_int_div_zero 0
	.end_amdhsa_kernel
	.section	.text._ZN7rocprim17ROCPRIM_400000_NS6detail17trampoline_kernelINS0_14default_configENS1_37merge_sort_block_sort_config_selectorIlNS0_10empty_typeEEEZNS1_21merge_sort_block_sortIS3_PlS8_PS5_S9_ZN2at6native12_GLOBAL__N_124unique_dim_cuda_templateIaEESt5tupleIJNSA_6TensorESF_SF_EERKSF_lbbbEUlllE_EE10hipError_tT0_T1_T2_T3_mRjT4_P12ihipStream_tbNS1_7vsmem_tEEUlT_E_NS1_11comp_targetILNS1_3genE8ELNS1_11target_archE1030ELNS1_3gpuE2ELNS1_3repE0EEENS1_30default_config_static_selectorELNS0_4arch9wavefront6targetE1EEEvSM_,"axG",@progbits,_ZN7rocprim17ROCPRIM_400000_NS6detail17trampoline_kernelINS0_14default_configENS1_37merge_sort_block_sort_config_selectorIlNS0_10empty_typeEEEZNS1_21merge_sort_block_sortIS3_PlS8_PS5_S9_ZN2at6native12_GLOBAL__N_124unique_dim_cuda_templateIaEESt5tupleIJNSA_6TensorESF_SF_EERKSF_lbbbEUlllE_EE10hipError_tT0_T1_T2_T3_mRjT4_P12ihipStream_tbNS1_7vsmem_tEEUlT_E_NS1_11comp_targetILNS1_3genE8ELNS1_11target_archE1030ELNS1_3gpuE2ELNS1_3repE0EEENS1_30default_config_static_selectorELNS0_4arch9wavefront6targetE1EEEvSM_,comdat
.Lfunc_end269:
	.size	_ZN7rocprim17ROCPRIM_400000_NS6detail17trampoline_kernelINS0_14default_configENS1_37merge_sort_block_sort_config_selectorIlNS0_10empty_typeEEEZNS1_21merge_sort_block_sortIS3_PlS8_PS5_S9_ZN2at6native12_GLOBAL__N_124unique_dim_cuda_templateIaEESt5tupleIJNSA_6TensorESF_SF_EERKSF_lbbbEUlllE_EE10hipError_tT0_T1_T2_T3_mRjT4_P12ihipStream_tbNS1_7vsmem_tEEUlT_E_NS1_11comp_targetILNS1_3genE8ELNS1_11target_archE1030ELNS1_3gpuE2ELNS1_3repE0EEENS1_30default_config_static_selectorELNS0_4arch9wavefront6targetE1EEEvSM_, .Lfunc_end269-_ZN7rocprim17ROCPRIM_400000_NS6detail17trampoline_kernelINS0_14default_configENS1_37merge_sort_block_sort_config_selectorIlNS0_10empty_typeEEEZNS1_21merge_sort_block_sortIS3_PlS8_PS5_S9_ZN2at6native12_GLOBAL__N_124unique_dim_cuda_templateIaEESt5tupleIJNSA_6TensorESF_SF_EERKSF_lbbbEUlllE_EE10hipError_tT0_T1_T2_T3_mRjT4_P12ihipStream_tbNS1_7vsmem_tEEUlT_E_NS1_11comp_targetILNS1_3genE8ELNS1_11target_archE1030ELNS1_3gpuE2ELNS1_3repE0EEENS1_30default_config_static_selectorELNS0_4arch9wavefront6targetE1EEEvSM_
                                        ; -- End function
	.section	.AMDGPU.csdata,"",@progbits
; Kernel info:
; codeLenInByte = 0
; NumSgprs: 4
; NumVgprs: 0
; NumAgprs: 0
; TotalNumVgprs: 0
; ScratchSize: 0
; MemoryBound: 0
; FloatMode: 240
; IeeeMode: 1
; LDSByteSize: 0 bytes/workgroup (compile time only)
; SGPRBlocks: 0
; VGPRBlocks: 0
; NumSGPRsForWavesPerEU: 4
; NumVGPRsForWavesPerEU: 1
; AccumOffset: 4
; Occupancy: 8
; WaveLimiterHint : 0
; COMPUTE_PGM_RSRC2:SCRATCH_EN: 0
; COMPUTE_PGM_RSRC2:USER_SGPR: 6
; COMPUTE_PGM_RSRC2:TRAP_HANDLER: 0
; COMPUTE_PGM_RSRC2:TGID_X_EN: 1
; COMPUTE_PGM_RSRC2:TGID_Y_EN: 0
; COMPUTE_PGM_RSRC2:TGID_Z_EN: 0
; COMPUTE_PGM_RSRC2:TIDIG_COMP_CNT: 0
; COMPUTE_PGM_RSRC3_GFX90A:ACCUM_OFFSET: 0
; COMPUTE_PGM_RSRC3_GFX90A:TG_SPLIT: 0
	.section	.text._ZN7rocprim17ROCPRIM_400000_NS6detail17trampoline_kernelINS0_14default_configENS1_38merge_sort_block_merge_config_selectorIlNS0_10empty_typeEEEZZNS1_27merge_sort_block_merge_implIS3_PlPS5_mZN2at6native12_GLOBAL__N_124unique_dim_cuda_templateIaEESt5tupleIJNSA_6TensorESF_SF_EERKSF_lbbbEUlllE_EE10hipError_tT0_T1_T2_jT3_P12ihipStream_tbPNSt15iterator_traitsISL_E10value_typeEPNSR_ISM_E10value_typeEPSN_NS1_7vsmem_tEENKUlT_SL_SM_SN_E_clIS8_S8_S9_S9_EESK_S10_SL_SM_SN_EUlS10_E_NS1_11comp_targetILNS1_3genE0ELNS1_11target_archE4294967295ELNS1_3gpuE0ELNS1_3repE0EEENS1_48merge_mergepath_partition_config_static_selectorELNS0_4arch9wavefront6targetE1EEEvSM_,"axG",@progbits,_ZN7rocprim17ROCPRIM_400000_NS6detail17trampoline_kernelINS0_14default_configENS1_38merge_sort_block_merge_config_selectorIlNS0_10empty_typeEEEZZNS1_27merge_sort_block_merge_implIS3_PlPS5_mZN2at6native12_GLOBAL__N_124unique_dim_cuda_templateIaEESt5tupleIJNSA_6TensorESF_SF_EERKSF_lbbbEUlllE_EE10hipError_tT0_T1_T2_jT3_P12ihipStream_tbPNSt15iterator_traitsISL_E10value_typeEPNSR_ISM_E10value_typeEPSN_NS1_7vsmem_tEENKUlT_SL_SM_SN_E_clIS8_S8_S9_S9_EESK_S10_SL_SM_SN_EUlS10_E_NS1_11comp_targetILNS1_3genE0ELNS1_11target_archE4294967295ELNS1_3gpuE0ELNS1_3repE0EEENS1_48merge_mergepath_partition_config_static_selectorELNS0_4arch9wavefront6targetE1EEEvSM_,comdat
	.globl	_ZN7rocprim17ROCPRIM_400000_NS6detail17trampoline_kernelINS0_14default_configENS1_38merge_sort_block_merge_config_selectorIlNS0_10empty_typeEEEZZNS1_27merge_sort_block_merge_implIS3_PlPS5_mZN2at6native12_GLOBAL__N_124unique_dim_cuda_templateIaEESt5tupleIJNSA_6TensorESF_SF_EERKSF_lbbbEUlllE_EE10hipError_tT0_T1_T2_jT3_P12ihipStream_tbPNSt15iterator_traitsISL_E10value_typeEPNSR_ISM_E10value_typeEPSN_NS1_7vsmem_tEENKUlT_SL_SM_SN_E_clIS8_S8_S9_S9_EESK_S10_SL_SM_SN_EUlS10_E_NS1_11comp_targetILNS1_3genE0ELNS1_11target_archE4294967295ELNS1_3gpuE0ELNS1_3repE0EEENS1_48merge_mergepath_partition_config_static_selectorELNS0_4arch9wavefront6targetE1EEEvSM_ ; -- Begin function _ZN7rocprim17ROCPRIM_400000_NS6detail17trampoline_kernelINS0_14default_configENS1_38merge_sort_block_merge_config_selectorIlNS0_10empty_typeEEEZZNS1_27merge_sort_block_merge_implIS3_PlPS5_mZN2at6native12_GLOBAL__N_124unique_dim_cuda_templateIaEESt5tupleIJNSA_6TensorESF_SF_EERKSF_lbbbEUlllE_EE10hipError_tT0_T1_T2_jT3_P12ihipStream_tbPNSt15iterator_traitsISL_E10value_typeEPNSR_ISM_E10value_typeEPSN_NS1_7vsmem_tEENKUlT_SL_SM_SN_E_clIS8_S8_S9_S9_EESK_S10_SL_SM_SN_EUlS10_E_NS1_11comp_targetILNS1_3genE0ELNS1_11target_archE4294967295ELNS1_3gpuE0ELNS1_3repE0EEENS1_48merge_mergepath_partition_config_static_selectorELNS0_4arch9wavefront6targetE1EEEvSM_
	.p2align	8
	.type	_ZN7rocprim17ROCPRIM_400000_NS6detail17trampoline_kernelINS0_14default_configENS1_38merge_sort_block_merge_config_selectorIlNS0_10empty_typeEEEZZNS1_27merge_sort_block_merge_implIS3_PlPS5_mZN2at6native12_GLOBAL__N_124unique_dim_cuda_templateIaEESt5tupleIJNSA_6TensorESF_SF_EERKSF_lbbbEUlllE_EE10hipError_tT0_T1_T2_jT3_P12ihipStream_tbPNSt15iterator_traitsISL_E10value_typeEPNSR_ISM_E10value_typeEPSN_NS1_7vsmem_tEENKUlT_SL_SM_SN_E_clIS8_S8_S9_S9_EESK_S10_SL_SM_SN_EUlS10_E_NS1_11comp_targetILNS1_3genE0ELNS1_11target_archE4294967295ELNS1_3gpuE0ELNS1_3repE0EEENS1_48merge_mergepath_partition_config_static_selectorELNS0_4arch9wavefront6targetE1EEEvSM_,@function
_ZN7rocprim17ROCPRIM_400000_NS6detail17trampoline_kernelINS0_14default_configENS1_38merge_sort_block_merge_config_selectorIlNS0_10empty_typeEEEZZNS1_27merge_sort_block_merge_implIS3_PlPS5_mZN2at6native12_GLOBAL__N_124unique_dim_cuda_templateIaEESt5tupleIJNSA_6TensorESF_SF_EERKSF_lbbbEUlllE_EE10hipError_tT0_T1_T2_jT3_P12ihipStream_tbPNSt15iterator_traitsISL_E10value_typeEPNSR_ISM_E10value_typeEPSN_NS1_7vsmem_tEENKUlT_SL_SM_SN_E_clIS8_S8_S9_S9_EESK_S10_SL_SM_SN_EUlS10_E_NS1_11comp_targetILNS1_3genE0ELNS1_11target_archE4294967295ELNS1_3gpuE0ELNS1_3repE0EEENS1_48merge_mergepath_partition_config_static_selectorELNS0_4arch9wavefront6targetE1EEEvSM_: ; @_ZN7rocprim17ROCPRIM_400000_NS6detail17trampoline_kernelINS0_14default_configENS1_38merge_sort_block_merge_config_selectorIlNS0_10empty_typeEEEZZNS1_27merge_sort_block_merge_implIS3_PlPS5_mZN2at6native12_GLOBAL__N_124unique_dim_cuda_templateIaEESt5tupleIJNSA_6TensorESF_SF_EERKSF_lbbbEUlllE_EE10hipError_tT0_T1_T2_jT3_P12ihipStream_tbPNSt15iterator_traitsISL_E10value_typeEPNSR_ISM_E10value_typeEPSN_NS1_7vsmem_tEENKUlT_SL_SM_SN_E_clIS8_S8_S9_S9_EESK_S10_SL_SM_SN_EUlS10_E_NS1_11comp_targetILNS1_3genE0ELNS1_11target_archE4294967295ELNS1_3gpuE0ELNS1_3repE0EEENS1_48merge_mergepath_partition_config_static_selectorELNS0_4arch9wavefront6targetE1EEEvSM_
; %bb.0:
	.section	.rodata,"a",@progbits
	.p2align	6, 0x0
	.amdhsa_kernel _ZN7rocprim17ROCPRIM_400000_NS6detail17trampoline_kernelINS0_14default_configENS1_38merge_sort_block_merge_config_selectorIlNS0_10empty_typeEEEZZNS1_27merge_sort_block_merge_implIS3_PlPS5_mZN2at6native12_GLOBAL__N_124unique_dim_cuda_templateIaEESt5tupleIJNSA_6TensorESF_SF_EERKSF_lbbbEUlllE_EE10hipError_tT0_T1_T2_jT3_P12ihipStream_tbPNSt15iterator_traitsISL_E10value_typeEPNSR_ISM_E10value_typeEPSN_NS1_7vsmem_tEENKUlT_SL_SM_SN_E_clIS8_S8_S9_S9_EESK_S10_SL_SM_SN_EUlS10_E_NS1_11comp_targetILNS1_3genE0ELNS1_11target_archE4294967295ELNS1_3gpuE0ELNS1_3repE0EEENS1_48merge_mergepath_partition_config_static_selectorELNS0_4arch9wavefront6targetE1EEEvSM_
		.amdhsa_group_segment_fixed_size 0
		.amdhsa_private_segment_fixed_size 0
		.amdhsa_kernarg_size 56
		.amdhsa_user_sgpr_count 6
		.amdhsa_user_sgpr_private_segment_buffer 1
		.amdhsa_user_sgpr_dispatch_ptr 0
		.amdhsa_user_sgpr_queue_ptr 0
		.amdhsa_user_sgpr_kernarg_segment_ptr 1
		.amdhsa_user_sgpr_dispatch_id 0
		.amdhsa_user_sgpr_flat_scratch_init 0
		.amdhsa_user_sgpr_kernarg_preload_length 0
		.amdhsa_user_sgpr_kernarg_preload_offset 0
		.amdhsa_user_sgpr_private_segment_size 0
		.amdhsa_uses_dynamic_stack 0
		.amdhsa_system_sgpr_private_segment_wavefront_offset 0
		.amdhsa_system_sgpr_workgroup_id_x 1
		.amdhsa_system_sgpr_workgroup_id_y 0
		.amdhsa_system_sgpr_workgroup_id_z 0
		.amdhsa_system_sgpr_workgroup_info 0
		.amdhsa_system_vgpr_workitem_id 0
		.amdhsa_next_free_vgpr 1
		.amdhsa_next_free_sgpr 0
		.amdhsa_accum_offset 4
		.amdhsa_reserve_vcc 0
		.amdhsa_reserve_flat_scratch 0
		.amdhsa_float_round_mode_32 0
		.amdhsa_float_round_mode_16_64 0
		.amdhsa_float_denorm_mode_32 3
		.amdhsa_float_denorm_mode_16_64 3
		.amdhsa_dx10_clamp 1
		.amdhsa_ieee_mode 1
		.amdhsa_fp16_overflow 0
		.amdhsa_tg_split 0
		.amdhsa_exception_fp_ieee_invalid_op 0
		.amdhsa_exception_fp_denorm_src 0
		.amdhsa_exception_fp_ieee_div_zero 0
		.amdhsa_exception_fp_ieee_overflow 0
		.amdhsa_exception_fp_ieee_underflow 0
		.amdhsa_exception_fp_ieee_inexact 0
		.amdhsa_exception_int_div_zero 0
	.end_amdhsa_kernel
	.section	.text._ZN7rocprim17ROCPRIM_400000_NS6detail17trampoline_kernelINS0_14default_configENS1_38merge_sort_block_merge_config_selectorIlNS0_10empty_typeEEEZZNS1_27merge_sort_block_merge_implIS3_PlPS5_mZN2at6native12_GLOBAL__N_124unique_dim_cuda_templateIaEESt5tupleIJNSA_6TensorESF_SF_EERKSF_lbbbEUlllE_EE10hipError_tT0_T1_T2_jT3_P12ihipStream_tbPNSt15iterator_traitsISL_E10value_typeEPNSR_ISM_E10value_typeEPSN_NS1_7vsmem_tEENKUlT_SL_SM_SN_E_clIS8_S8_S9_S9_EESK_S10_SL_SM_SN_EUlS10_E_NS1_11comp_targetILNS1_3genE0ELNS1_11target_archE4294967295ELNS1_3gpuE0ELNS1_3repE0EEENS1_48merge_mergepath_partition_config_static_selectorELNS0_4arch9wavefront6targetE1EEEvSM_,"axG",@progbits,_ZN7rocprim17ROCPRIM_400000_NS6detail17trampoline_kernelINS0_14default_configENS1_38merge_sort_block_merge_config_selectorIlNS0_10empty_typeEEEZZNS1_27merge_sort_block_merge_implIS3_PlPS5_mZN2at6native12_GLOBAL__N_124unique_dim_cuda_templateIaEESt5tupleIJNSA_6TensorESF_SF_EERKSF_lbbbEUlllE_EE10hipError_tT0_T1_T2_jT3_P12ihipStream_tbPNSt15iterator_traitsISL_E10value_typeEPNSR_ISM_E10value_typeEPSN_NS1_7vsmem_tEENKUlT_SL_SM_SN_E_clIS8_S8_S9_S9_EESK_S10_SL_SM_SN_EUlS10_E_NS1_11comp_targetILNS1_3genE0ELNS1_11target_archE4294967295ELNS1_3gpuE0ELNS1_3repE0EEENS1_48merge_mergepath_partition_config_static_selectorELNS0_4arch9wavefront6targetE1EEEvSM_,comdat
.Lfunc_end270:
	.size	_ZN7rocprim17ROCPRIM_400000_NS6detail17trampoline_kernelINS0_14default_configENS1_38merge_sort_block_merge_config_selectorIlNS0_10empty_typeEEEZZNS1_27merge_sort_block_merge_implIS3_PlPS5_mZN2at6native12_GLOBAL__N_124unique_dim_cuda_templateIaEESt5tupleIJNSA_6TensorESF_SF_EERKSF_lbbbEUlllE_EE10hipError_tT0_T1_T2_jT3_P12ihipStream_tbPNSt15iterator_traitsISL_E10value_typeEPNSR_ISM_E10value_typeEPSN_NS1_7vsmem_tEENKUlT_SL_SM_SN_E_clIS8_S8_S9_S9_EESK_S10_SL_SM_SN_EUlS10_E_NS1_11comp_targetILNS1_3genE0ELNS1_11target_archE4294967295ELNS1_3gpuE0ELNS1_3repE0EEENS1_48merge_mergepath_partition_config_static_selectorELNS0_4arch9wavefront6targetE1EEEvSM_, .Lfunc_end270-_ZN7rocprim17ROCPRIM_400000_NS6detail17trampoline_kernelINS0_14default_configENS1_38merge_sort_block_merge_config_selectorIlNS0_10empty_typeEEEZZNS1_27merge_sort_block_merge_implIS3_PlPS5_mZN2at6native12_GLOBAL__N_124unique_dim_cuda_templateIaEESt5tupleIJNSA_6TensorESF_SF_EERKSF_lbbbEUlllE_EE10hipError_tT0_T1_T2_jT3_P12ihipStream_tbPNSt15iterator_traitsISL_E10value_typeEPNSR_ISM_E10value_typeEPSN_NS1_7vsmem_tEENKUlT_SL_SM_SN_E_clIS8_S8_S9_S9_EESK_S10_SL_SM_SN_EUlS10_E_NS1_11comp_targetILNS1_3genE0ELNS1_11target_archE4294967295ELNS1_3gpuE0ELNS1_3repE0EEENS1_48merge_mergepath_partition_config_static_selectorELNS0_4arch9wavefront6targetE1EEEvSM_
                                        ; -- End function
	.section	.AMDGPU.csdata,"",@progbits
; Kernel info:
; codeLenInByte = 0
; NumSgprs: 4
; NumVgprs: 0
; NumAgprs: 0
; TotalNumVgprs: 0
; ScratchSize: 0
; MemoryBound: 0
; FloatMode: 240
; IeeeMode: 1
; LDSByteSize: 0 bytes/workgroup (compile time only)
; SGPRBlocks: 0
; VGPRBlocks: 0
; NumSGPRsForWavesPerEU: 4
; NumVGPRsForWavesPerEU: 1
; AccumOffset: 4
; Occupancy: 8
; WaveLimiterHint : 0
; COMPUTE_PGM_RSRC2:SCRATCH_EN: 0
; COMPUTE_PGM_RSRC2:USER_SGPR: 6
; COMPUTE_PGM_RSRC2:TRAP_HANDLER: 0
; COMPUTE_PGM_RSRC2:TGID_X_EN: 1
; COMPUTE_PGM_RSRC2:TGID_Y_EN: 0
; COMPUTE_PGM_RSRC2:TGID_Z_EN: 0
; COMPUTE_PGM_RSRC2:TIDIG_COMP_CNT: 0
; COMPUTE_PGM_RSRC3_GFX90A:ACCUM_OFFSET: 0
; COMPUTE_PGM_RSRC3_GFX90A:TG_SPLIT: 0
	.section	.text._ZN7rocprim17ROCPRIM_400000_NS6detail17trampoline_kernelINS0_14default_configENS1_38merge_sort_block_merge_config_selectorIlNS0_10empty_typeEEEZZNS1_27merge_sort_block_merge_implIS3_PlPS5_mZN2at6native12_GLOBAL__N_124unique_dim_cuda_templateIaEESt5tupleIJNSA_6TensorESF_SF_EERKSF_lbbbEUlllE_EE10hipError_tT0_T1_T2_jT3_P12ihipStream_tbPNSt15iterator_traitsISL_E10value_typeEPNSR_ISM_E10value_typeEPSN_NS1_7vsmem_tEENKUlT_SL_SM_SN_E_clIS8_S8_S9_S9_EESK_S10_SL_SM_SN_EUlS10_E_NS1_11comp_targetILNS1_3genE10ELNS1_11target_archE1201ELNS1_3gpuE5ELNS1_3repE0EEENS1_48merge_mergepath_partition_config_static_selectorELNS0_4arch9wavefront6targetE1EEEvSM_,"axG",@progbits,_ZN7rocprim17ROCPRIM_400000_NS6detail17trampoline_kernelINS0_14default_configENS1_38merge_sort_block_merge_config_selectorIlNS0_10empty_typeEEEZZNS1_27merge_sort_block_merge_implIS3_PlPS5_mZN2at6native12_GLOBAL__N_124unique_dim_cuda_templateIaEESt5tupleIJNSA_6TensorESF_SF_EERKSF_lbbbEUlllE_EE10hipError_tT0_T1_T2_jT3_P12ihipStream_tbPNSt15iterator_traitsISL_E10value_typeEPNSR_ISM_E10value_typeEPSN_NS1_7vsmem_tEENKUlT_SL_SM_SN_E_clIS8_S8_S9_S9_EESK_S10_SL_SM_SN_EUlS10_E_NS1_11comp_targetILNS1_3genE10ELNS1_11target_archE1201ELNS1_3gpuE5ELNS1_3repE0EEENS1_48merge_mergepath_partition_config_static_selectorELNS0_4arch9wavefront6targetE1EEEvSM_,comdat
	.globl	_ZN7rocprim17ROCPRIM_400000_NS6detail17trampoline_kernelINS0_14default_configENS1_38merge_sort_block_merge_config_selectorIlNS0_10empty_typeEEEZZNS1_27merge_sort_block_merge_implIS3_PlPS5_mZN2at6native12_GLOBAL__N_124unique_dim_cuda_templateIaEESt5tupleIJNSA_6TensorESF_SF_EERKSF_lbbbEUlllE_EE10hipError_tT0_T1_T2_jT3_P12ihipStream_tbPNSt15iterator_traitsISL_E10value_typeEPNSR_ISM_E10value_typeEPSN_NS1_7vsmem_tEENKUlT_SL_SM_SN_E_clIS8_S8_S9_S9_EESK_S10_SL_SM_SN_EUlS10_E_NS1_11comp_targetILNS1_3genE10ELNS1_11target_archE1201ELNS1_3gpuE5ELNS1_3repE0EEENS1_48merge_mergepath_partition_config_static_selectorELNS0_4arch9wavefront6targetE1EEEvSM_ ; -- Begin function _ZN7rocprim17ROCPRIM_400000_NS6detail17trampoline_kernelINS0_14default_configENS1_38merge_sort_block_merge_config_selectorIlNS0_10empty_typeEEEZZNS1_27merge_sort_block_merge_implIS3_PlPS5_mZN2at6native12_GLOBAL__N_124unique_dim_cuda_templateIaEESt5tupleIJNSA_6TensorESF_SF_EERKSF_lbbbEUlllE_EE10hipError_tT0_T1_T2_jT3_P12ihipStream_tbPNSt15iterator_traitsISL_E10value_typeEPNSR_ISM_E10value_typeEPSN_NS1_7vsmem_tEENKUlT_SL_SM_SN_E_clIS8_S8_S9_S9_EESK_S10_SL_SM_SN_EUlS10_E_NS1_11comp_targetILNS1_3genE10ELNS1_11target_archE1201ELNS1_3gpuE5ELNS1_3repE0EEENS1_48merge_mergepath_partition_config_static_selectorELNS0_4arch9wavefront6targetE1EEEvSM_
	.p2align	8
	.type	_ZN7rocprim17ROCPRIM_400000_NS6detail17trampoline_kernelINS0_14default_configENS1_38merge_sort_block_merge_config_selectorIlNS0_10empty_typeEEEZZNS1_27merge_sort_block_merge_implIS3_PlPS5_mZN2at6native12_GLOBAL__N_124unique_dim_cuda_templateIaEESt5tupleIJNSA_6TensorESF_SF_EERKSF_lbbbEUlllE_EE10hipError_tT0_T1_T2_jT3_P12ihipStream_tbPNSt15iterator_traitsISL_E10value_typeEPNSR_ISM_E10value_typeEPSN_NS1_7vsmem_tEENKUlT_SL_SM_SN_E_clIS8_S8_S9_S9_EESK_S10_SL_SM_SN_EUlS10_E_NS1_11comp_targetILNS1_3genE10ELNS1_11target_archE1201ELNS1_3gpuE5ELNS1_3repE0EEENS1_48merge_mergepath_partition_config_static_selectorELNS0_4arch9wavefront6targetE1EEEvSM_,@function
_ZN7rocprim17ROCPRIM_400000_NS6detail17trampoline_kernelINS0_14default_configENS1_38merge_sort_block_merge_config_selectorIlNS0_10empty_typeEEEZZNS1_27merge_sort_block_merge_implIS3_PlPS5_mZN2at6native12_GLOBAL__N_124unique_dim_cuda_templateIaEESt5tupleIJNSA_6TensorESF_SF_EERKSF_lbbbEUlllE_EE10hipError_tT0_T1_T2_jT3_P12ihipStream_tbPNSt15iterator_traitsISL_E10value_typeEPNSR_ISM_E10value_typeEPSN_NS1_7vsmem_tEENKUlT_SL_SM_SN_E_clIS8_S8_S9_S9_EESK_S10_SL_SM_SN_EUlS10_E_NS1_11comp_targetILNS1_3genE10ELNS1_11target_archE1201ELNS1_3gpuE5ELNS1_3repE0EEENS1_48merge_mergepath_partition_config_static_selectorELNS0_4arch9wavefront6targetE1EEEvSM_: ; @_ZN7rocprim17ROCPRIM_400000_NS6detail17trampoline_kernelINS0_14default_configENS1_38merge_sort_block_merge_config_selectorIlNS0_10empty_typeEEEZZNS1_27merge_sort_block_merge_implIS3_PlPS5_mZN2at6native12_GLOBAL__N_124unique_dim_cuda_templateIaEESt5tupleIJNSA_6TensorESF_SF_EERKSF_lbbbEUlllE_EE10hipError_tT0_T1_T2_jT3_P12ihipStream_tbPNSt15iterator_traitsISL_E10value_typeEPNSR_ISM_E10value_typeEPSN_NS1_7vsmem_tEENKUlT_SL_SM_SN_E_clIS8_S8_S9_S9_EESK_S10_SL_SM_SN_EUlS10_E_NS1_11comp_targetILNS1_3genE10ELNS1_11target_archE1201ELNS1_3gpuE5ELNS1_3repE0EEENS1_48merge_mergepath_partition_config_static_selectorELNS0_4arch9wavefront6targetE1EEEvSM_
; %bb.0:
	.section	.rodata,"a",@progbits
	.p2align	6, 0x0
	.amdhsa_kernel _ZN7rocprim17ROCPRIM_400000_NS6detail17trampoline_kernelINS0_14default_configENS1_38merge_sort_block_merge_config_selectorIlNS0_10empty_typeEEEZZNS1_27merge_sort_block_merge_implIS3_PlPS5_mZN2at6native12_GLOBAL__N_124unique_dim_cuda_templateIaEESt5tupleIJNSA_6TensorESF_SF_EERKSF_lbbbEUlllE_EE10hipError_tT0_T1_T2_jT3_P12ihipStream_tbPNSt15iterator_traitsISL_E10value_typeEPNSR_ISM_E10value_typeEPSN_NS1_7vsmem_tEENKUlT_SL_SM_SN_E_clIS8_S8_S9_S9_EESK_S10_SL_SM_SN_EUlS10_E_NS1_11comp_targetILNS1_3genE10ELNS1_11target_archE1201ELNS1_3gpuE5ELNS1_3repE0EEENS1_48merge_mergepath_partition_config_static_selectorELNS0_4arch9wavefront6targetE1EEEvSM_
		.amdhsa_group_segment_fixed_size 0
		.amdhsa_private_segment_fixed_size 0
		.amdhsa_kernarg_size 56
		.amdhsa_user_sgpr_count 6
		.amdhsa_user_sgpr_private_segment_buffer 1
		.amdhsa_user_sgpr_dispatch_ptr 0
		.amdhsa_user_sgpr_queue_ptr 0
		.amdhsa_user_sgpr_kernarg_segment_ptr 1
		.amdhsa_user_sgpr_dispatch_id 0
		.amdhsa_user_sgpr_flat_scratch_init 0
		.amdhsa_user_sgpr_kernarg_preload_length 0
		.amdhsa_user_sgpr_kernarg_preload_offset 0
		.amdhsa_user_sgpr_private_segment_size 0
		.amdhsa_uses_dynamic_stack 0
		.amdhsa_system_sgpr_private_segment_wavefront_offset 0
		.amdhsa_system_sgpr_workgroup_id_x 1
		.amdhsa_system_sgpr_workgroup_id_y 0
		.amdhsa_system_sgpr_workgroup_id_z 0
		.amdhsa_system_sgpr_workgroup_info 0
		.amdhsa_system_vgpr_workitem_id 0
		.amdhsa_next_free_vgpr 1
		.amdhsa_next_free_sgpr 0
		.amdhsa_accum_offset 4
		.amdhsa_reserve_vcc 0
		.amdhsa_reserve_flat_scratch 0
		.amdhsa_float_round_mode_32 0
		.amdhsa_float_round_mode_16_64 0
		.amdhsa_float_denorm_mode_32 3
		.amdhsa_float_denorm_mode_16_64 3
		.amdhsa_dx10_clamp 1
		.amdhsa_ieee_mode 1
		.amdhsa_fp16_overflow 0
		.amdhsa_tg_split 0
		.amdhsa_exception_fp_ieee_invalid_op 0
		.amdhsa_exception_fp_denorm_src 0
		.amdhsa_exception_fp_ieee_div_zero 0
		.amdhsa_exception_fp_ieee_overflow 0
		.amdhsa_exception_fp_ieee_underflow 0
		.amdhsa_exception_fp_ieee_inexact 0
		.amdhsa_exception_int_div_zero 0
	.end_amdhsa_kernel
	.section	.text._ZN7rocprim17ROCPRIM_400000_NS6detail17trampoline_kernelINS0_14default_configENS1_38merge_sort_block_merge_config_selectorIlNS0_10empty_typeEEEZZNS1_27merge_sort_block_merge_implIS3_PlPS5_mZN2at6native12_GLOBAL__N_124unique_dim_cuda_templateIaEESt5tupleIJNSA_6TensorESF_SF_EERKSF_lbbbEUlllE_EE10hipError_tT0_T1_T2_jT3_P12ihipStream_tbPNSt15iterator_traitsISL_E10value_typeEPNSR_ISM_E10value_typeEPSN_NS1_7vsmem_tEENKUlT_SL_SM_SN_E_clIS8_S8_S9_S9_EESK_S10_SL_SM_SN_EUlS10_E_NS1_11comp_targetILNS1_3genE10ELNS1_11target_archE1201ELNS1_3gpuE5ELNS1_3repE0EEENS1_48merge_mergepath_partition_config_static_selectorELNS0_4arch9wavefront6targetE1EEEvSM_,"axG",@progbits,_ZN7rocprim17ROCPRIM_400000_NS6detail17trampoline_kernelINS0_14default_configENS1_38merge_sort_block_merge_config_selectorIlNS0_10empty_typeEEEZZNS1_27merge_sort_block_merge_implIS3_PlPS5_mZN2at6native12_GLOBAL__N_124unique_dim_cuda_templateIaEESt5tupleIJNSA_6TensorESF_SF_EERKSF_lbbbEUlllE_EE10hipError_tT0_T1_T2_jT3_P12ihipStream_tbPNSt15iterator_traitsISL_E10value_typeEPNSR_ISM_E10value_typeEPSN_NS1_7vsmem_tEENKUlT_SL_SM_SN_E_clIS8_S8_S9_S9_EESK_S10_SL_SM_SN_EUlS10_E_NS1_11comp_targetILNS1_3genE10ELNS1_11target_archE1201ELNS1_3gpuE5ELNS1_3repE0EEENS1_48merge_mergepath_partition_config_static_selectorELNS0_4arch9wavefront6targetE1EEEvSM_,comdat
.Lfunc_end271:
	.size	_ZN7rocprim17ROCPRIM_400000_NS6detail17trampoline_kernelINS0_14default_configENS1_38merge_sort_block_merge_config_selectorIlNS0_10empty_typeEEEZZNS1_27merge_sort_block_merge_implIS3_PlPS5_mZN2at6native12_GLOBAL__N_124unique_dim_cuda_templateIaEESt5tupleIJNSA_6TensorESF_SF_EERKSF_lbbbEUlllE_EE10hipError_tT0_T1_T2_jT3_P12ihipStream_tbPNSt15iterator_traitsISL_E10value_typeEPNSR_ISM_E10value_typeEPSN_NS1_7vsmem_tEENKUlT_SL_SM_SN_E_clIS8_S8_S9_S9_EESK_S10_SL_SM_SN_EUlS10_E_NS1_11comp_targetILNS1_3genE10ELNS1_11target_archE1201ELNS1_3gpuE5ELNS1_3repE0EEENS1_48merge_mergepath_partition_config_static_selectorELNS0_4arch9wavefront6targetE1EEEvSM_, .Lfunc_end271-_ZN7rocprim17ROCPRIM_400000_NS6detail17trampoline_kernelINS0_14default_configENS1_38merge_sort_block_merge_config_selectorIlNS0_10empty_typeEEEZZNS1_27merge_sort_block_merge_implIS3_PlPS5_mZN2at6native12_GLOBAL__N_124unique_dim_cuda_templateIaEESt5tupleIJNSA_6TensorESF_SF_EERKSF_lbbbEUlllE_EE10hipError_tT0_T1_T2_jT3_P12ihipStream_tbPNSt15iterator_traitsISL_E10value_typeEPNSR_ISM_E10value_typeEPSN_NS1_7vsmem_tEENKUlT_SL_SM_SN_E_clIS8_S8_S9_S9_EESK_S10_SL_SM_SN_EUlS10_E_NS1_11comp_targetILNS1_3genE10ELNS1_11target_archE1201ELNS1_3gpuE5ELNS1_3repE0EEENS1_48merge_mergepath_partition_config_static_selectorELNS0_4arch9wavefront6targetE1EEEvSM_
                                        ; -- End function
	.section	.AMDGPU.csdata,"",@progbits
; Kernel info:
; codeLenInByte = 0
; NumSgprs: 4
; NumVgprs: 0
; NumAgprs: 0
; TotalNumVgprs: 0
; ScratchSize: 0
; MemoryBound: 0
; FloatMode: 240
; IeeeMode: 1
; LDSByteSize: 0 bytes/workgroup (compile time only)
; SGPRBlocks: 0
; VGPRBlocks: 0
; NumSGPRsForWavesPerEU: 4
; NumVGPRsForWavesPerEU: 1
; AccumOffset: 4
; Occupancy: 8
; WaveLimiterHint : 0
; COMPUTE_PGM_RSRC2:SCRATCH_EN: 0
; COMPUTE_PGM_RSRC2:USER_SGPR: 6
; COMPUTE_PGM_RSRC2:TRAP_HANDLER: 0
; COMPUTE_PGM_RSRC2:TGID_X_EN: 1
; COMPUTE_PGM_RSRC2:TGID_Y_EN: 0
; COMPUTE_PGM_RSRC2:TGID_Z_EN: 0
; COMPUTE_PGM_RSRC2:TIDIG_COMP_CNT: 0
; COMPUTE_PGM_RSRC3_GFX90A:ACCUM_OFFSET: 0
; COMPUTE_PGM_RSRC3_GFX90A:TG_SPLIT: 0
	.section	.text._ZN7rocprim17ROCPRIM_400000_NS6detail17trampoline_kernelINS0_14default_configENS1_38merge_sort_block_merge_config_selectorIlNS0_10empty_typeEEEZZNS1_27merge_sort_block_merge_implIS3_PlPS5_mZN2at6native12_GLOBAL__N_124unique_dim_cuda_templateIaEESt5tupleIJNSA_6TensorESF_SF_EERKSF_lbbbEUlllE_EE10hipError_tT0_T1_T2_jT3_P12ihipStream_tbPNSt15iterator_traitsISL_E10value_typeEPNSR_ISM_E10value_typeEPSN_NS1_7vsmem_tEENKUlT_SL_SM_SN_E_clIS8_S8_S9_S9_EESK_S10_SL_SM_SN_EUlS10_E_NS1_11comp_targetILNS1_3genE5ELNS1_11target_archE942ELNS1_3gpuE9ELNS1_3repE0EEENS1_48merge_mergepath_partition_config_static_selectorELNS0_4arch9wavefront6targetE1EEEvSM_,"axG",@progbits,_ZN7rocprim17ROCPRIM_400000_NS6detail17trampoline_kernelINS0_14default_configENS1_38merge_sort_block_merge_config_selectorIlNS0_10empty_typeEEEZZNS1_27merge_sort_block_merge_implIS3_PlPS5_mZN2at6native12_GLOBAL__N_124unique_dim_cuda_templateIaEESt5tupleIJNSA_6TensorESF_SF_EERKSF_lbbbEUlllE_EE10hipError_tT0_T1_T2_jT3_P12ihipStream_tbPNSt15iterator_traitsISL_E10value_typeEPNSR_ISM_E10value_typeEPSN_NS1_7vsmem_tEENKUlT_SL_SM_SN_E_clIS8_S8_S9_S9_EESK_S10_SL_SM_SN_EUlS10_E_NS1_11comp_targetILNS1_3genE5ELNS1_11target_archE942ELNS1_3gpuE9ELNS1_3repE0EEENS1_48merge_mergepath_partition_config_static_selectorELNS0_4arch9wavefront6targetE1EEEvSM_,comdat
	.globl	_ZN7rocprim17ROCPRIM_400000_NS6detail17trampoline_kernelINS0_14default_configENS1_38merge_sort_block_merge_config_selectorIlNS0_10empty_typeEEEZZNS1_27merge_sort_block_merge_implIS3_PlPS5_mZN2at6native12_GLOBAL__N_124unique_dim_cuda_templateIaEESt5tupleIJNSA_6TensorESF_SF_EERKSF_lbbbEUlllE_EE10hipError_tT0_T1_T2_jT3_P12ihipStream_tbPNSt15iterator_traitsISL_E10value_typeEPNSR_ISM_E10value_typeEPSN_NS1_7vsmem_tEENKUlT_SL_SM_SN_E_clIS8_S8_S9_S9_EESK_S10_SL_SM_SN_EUlS10_E_NS1_11comp_targetILNS1_3genE5ELNS1_11target_archE942ELNS1_3gpuE9ELNS1_3repE0EEENS1_48merge_mergepath_partition_config_static_selectorELNS0_4arch9wavefront6targetE1EEEvSM_ ; -- Begin function _ZN7rocprim17ROCPRIM_400000_NS6detail17trampoline_kernelINS0_14default_configENS1_38merge_sort_block_merge_config_selectorIlNS0_10empty_typeEEEZZNS1_27merge_sort_block_merge_implIS3_PlPS5_mZN2at6native12_GLOBAL__N_124unique_dim_cuda_templateIaEESt5tupleIJNSA_6TensorESF_SF_EERKSF_lbbbEUlllE_EE10hipError_tT0_T1_T2_jT3_P12ihipStream_tbPNSt15iterator_traitsISL_E10value_typeEPNSR_ISM_E10value_typeEPSN_NS1_7vsmem_tEENKUlT_SL_SM_SN_E_clIS8_S8_S9_S9_EESK_S10_SL_SM_SN_EUlS10_E_NS1_11comp_targetILNS1_3genE5ELNS1_11target_archE942ELNS1_3gpuE9ELNS1_3repE0EEENS1_48merge_mergepath_partition_config_static_selectorELNS0_4arch9wavefront6targetE1EEEvSM_
	.p2align	8
	.type	_ZN7rocprim17ROCPRIM_400000_NS6detail17trampoline_kernelINS0_14default_configENS1_38merge_sort_block_merge_config_selectorIlNS0_10empty_typeEEEZZNS1_27merge_sort_block_merge_implIS3_PlPS5_mZN2at6native12_GLOBAL__N_124unique_dim_cuda_templateIaEESt5tupleIJNSA_6TensorESF_SF_EERKSF_lbbbEUlllE_EE10hipError_tT0_T1_T2_jT3_P12ihipStream_tbPNSt15iterator_traitsISL_E10value_typeEPNSR_ISM_E10value_typeEPSN_NS1_7vsmem_tEENKUlT_SL_SM_SN_E_clIS8_S8_S9_S9_EESK_S10_SL_SM_SN_EUlS10_E_NS1_11comp_targetILNS1_3genE5ELNS1_11target_archE942ELNS1_3gpuE9ELNS1_3repE0EEENS1_48merge_mergepath_partition_config_static_selectorELNS0_4arch9wavefront6targetE1EEEvSM_,@function
_ZN7rocprim17ROCPRIM_400000_NS6detail17trampoline_kernelINS0_14default_configENS1_38merge_sort_block_merge_config_selectorIlNS0_10empty_typeEEEZZNS1_27merge_sort_block_merge_implIS3_PlPS5_mZN2at6native12_GLOBAL__N_124unique_dim_cuda_templateIaEESt5tupleIJNSA_6TensorESF_SF_EERKSF_lbbbEUlllE_EE10hipError_tT0_T1_T2_jT3_P12ihipStream_tbPNSt15iterator_traitsISL_E10value_typeEPNSR_ISM_E10value_typeEPSN_NS1_7vsmem_tEENKUlT_SL_SM_SN_E_clIS8_S8_S9_S9_EESK_S10_SL_SM_SN_EUlS10_E_NS1_11comp_targetILNS1_3genE5ELNS1_11target_archE942ELNS1_3gpuE9ELNS1_3repE0EEENS1_48merge_mergepath_partition_config_static_selectorELNS0_4arch9wavefront6targetE1EEEvSM_: ; @_ZN7rocprim17ROCPRIM_400000_NS6detail17trampoline_kernelINS0_14default_configENS1_38merge_sort_block_merge_config_selectorIlNS0_10empty_typeEEEZZNS1_27merge_sort_block_merge_implIS3_PlPS5_mZN2at6native12_GLOBAL__N_124unique_dim_cuda_templateIaEESt5tupleIJNSA_6TensorESF_SF_EERKSF_lbbbEUlllE_EE10hipError_tT0_T1_T2_jT3_P12ihipStream_tbPNSt15iterator_traitsISL_E10value_typeEPNSR_ISM_E10value_typeEPSN_NS1_7vsmem_tEENKUlT_SL_SM_SN_E_clIS8_S8_S9_S9_EESK_S10_SL_SM_SN_EUlS10_E_NS1_11comp_targetILNS1_3genE5ELNS1_11target_archE942ELNS1_3gpuE9ELNS1_3repE0EEENS1_48merge_mergepath_partition_config_static_selectorELNS0_4arch9wavefront6targetE1EEEvSM_
; %bb.0:
	.section	.rodata,"a",@progbits
	.p2align	6, 0x0
	.amdhsa_kernel _ZN7rocprim17ROCPRIM_400000_NS6detail17trampoline_kernelINS0_14default_configENS1_38merge_sort_block_merge_config_selectorIlNS0_10empty_typeEEEZZNS1_27merge_sort_block_merge_implIS3_PlPS5_mZN2at6native12_GLOBAL__N_124unique_dim_cuda_templateIaEESt5tupleIJNSA_6TensorESF_SF_EERKSF_lbbbEUlllE_EE10hipError_tT0_T1_T2_jT3_P12ihipStream_tbPNSt15iterator_traitsISL_E10value_typeEPNSR_ISM_E10value_typeEPSN_NS1_7vsmem_tEENKUlT_SL_SM_SN_E_clIS8_S8_S9_S9_EESK_S10_SL_SM_SN_EUlS10_E_NS1_11comp_targetILNS1_3genE5ELNS1_11target_archE942ELNS1_3gpuE9ELNS1_3repE0EEENS1_48merge_mergepath_partition_config_static_selectorELNS0_4arch9wavefront6targetE1EEEvSM_
		.amdhsa_group_segment_fixed_size 0
		.amdhsa_private_segment_fixed_size 0
		.amdhsa_kernarg_size 56
		.amdhsa_user_sgpr_count 6
		.amdhsa_user_sgpr_private_segment_buffer 1
		.amdhsa_user_sgpr_dispatch_ptr 0
		.amdhsa_user_sgpr_queue_ptr 0
		.amdhsa_user_sgpr_kernarg_segment_ptr 1
		.amdhsa_user_sgpr_dispatch_id 0
		.amdhsa_user_sgpr_flat_scratch_init 0
		.amdhsa_user_sgpr_kernarg_preload_length 0
		.amdhsa_user_sgpr_kernarg_preload_offset 0
		.amdhsa_user_sgpr_private_segment_size 0
		.amdhsa_uses_dynamic_stack 0
		.amdhsa_system_sgpr_private_segment_wavefront_offset 0
		.amdhsa_system_sgpr_workgroup_id_x 1
		.amdhsa_system_sgpr_workgroup_id_y 0
		.amdhsa_system_sgpr_workgroup_id_z 0
		.amdhsa_system_sgpr_workgroup_info 0
		.amdhsa_system_vgpr_workitem_id 0
		.amdhsa_next_free_vgpr 1
		.amdhsa_next_free_sgpr 0
		.amdhsa_accum_offset 4
		.amdhsa_reserve_vcc 0
		.amdhsa_reserve_flat_scratch 0
		.amdhsa_float_round_mode_32 0
		.amdhsa_float_round_mode_16_64 0
		.amdhsa_float_denorm_mode_32 3
		.amdhsa_float_denorm_mode_16_64 3
		.amdhsa_dx10_clamp 1
		.amdhsa_ieee_mode 1
		.amdhsa_fp16_overflow 0
		.amdhsa_tg_split 0
		.amdhsa_exception_fp_ieee_invalid_op 0
		.amdhsa_exception_fp_denorm_src 0
		.amdhsa_exception_fp_ieee_div_zero 0
		.amdhsa_exception_fp_ieee_overflow 0
		.amdhsa_exception_fp_ieee_underflow 0
		.amdhsa_exception_fp_ieee_inexact 0
		.amdhsa_exception_int_div_zero 0
	.end_amdhsa_kernel
	.section	.text._ZN7rocprim17ROCPRIM_400000_NS6detail17trampoline_kernelINS0_14default_configENS1_38merge_sort_block_merge_config_selectorIlNS0_10empty_typeEEEZZNS1_27merge_sort_block_merge_implIS3_PlPS5_mZN2at6native12_GLOBAL__N_124unique_dim_cuda_templateIaEESt5tupleIJNSA_6TensorESF_SF_EERKSF_lbbbEUlllE_EE10hipError_tT0_T1_T2_jT3_P12ihipStream_tbPNSt15iterator_traitsISL_E10value_typeEPNSR_ISM_E10value_typeEPSN_NS1_7vsmem_tEENKUlT_SL_SM_SN_E_clIS8_S8_S9_S9_EESK_S10_SL_SM_SN_EUlS10_E_NS1_11comp_targetILNS1_3genE5ELNS1_11target_archE942ELNS1_3gpuE9ELNS1_3repE0EEENS1_48merge_mergepath_partition_config_static_selectorELNS0_4arch9wavefront6targetE1EEEvSM_,"axG",@progbits,_ZN7rocprim17ROCPRIM_400000_NS6detail17trampoline_kernelINS0_14default_configENS1_38merge_sort_block_merge_config_selectorIlNS0_10empty_typeEEEZZNS1_27merge_sort_block_merge_implIS3_PlPS5_mZN2at6native12_GLOBAL__N_124unique_dim_cuda_templateIaEESt5tupleIJNSA_6TensorESF_SF_EERKSF_lbbbEUlllE_EE10hipError_tT0_T1_T2_jT3_P12ihipStream_tbPNSt15iterator_traitsISL_E10value_typeEPNSR_ISM_E10value_typeEPSN_NS1_7vsmem_tEENKUlT_SL_SM_SN_E_clIS8_S8_S9_S9_EESK_S10_SL_SM_SN_EUlS10_E_NS1_11comp_targetILNS1_3genE5ELNS1_11target_archE942ELNS1_3gpuE9ELNS1_3repE0EEENS1_48merge_mergepath_partition_config_static_selectorELNS0_4arch9wavefront6targetE1EEEvSM_,comdat
.Lfunc_end272:
	.size	_ZN7rocprim17ROCPRIM_400000_NS6detail17trampoline_kernelINS0_14default_configENS1_38merge_sort_block_merge_config_selectorIlNS0_10empty_typeEEEZZNS1_27merge_sort_block_merge_implIS3_PlPS5_mZN2at6native12_GLOBAL__N_124unique_dim_cuda_templateIaEESt5tupleIJNSA_6TensorESF_SF_EERKSF_lbbbEUlllE_EE10hipError_tT0_T1_T2_jT3_P12ihipStream_tbPNSt15iterator_traitsISL_E10value_typeEPNSR_ISM_E10value_typeEPSN_NS1_7vsmem_tEENKUlT_SL_SM_SN_E_clIS8_S8_S9_S9_EESK_S10_SL_SM_SN_EUlS10_E_NS1_11comp_targetILNS1_3genE5ELNS1_11target_archE942ELNS1_3gpuE9ELNS1_3repE0EEENS1_48merge_mergepath_partition_config_static_selectorELNS0_4arch9wavefront6targetE1EEEvSM_, .Lfunc_end272-_ZN7rocprim17ROCPRIM_400000_NS6detail17trampoline_kernelINS0_14default_configENS1_38merge_sort_block_merge_config_selectorIlNS0_10empty_typeEEEZZNS1_27merge_sort_block_merge_implIS3_PlPS5_mZN2at6native12_GLOBAL__N_124unique_dim_cuda_templateIaEESt5tupleIJNSA_6TensorESF_SF_EERKSF_lbbbEUlllE_EE10hipError_tT0_T1_T2_jT3_P12ihipStream_tbPNSt15iterator_traitsISL_E10value_typeEPNSR_ISM_E10value_typeEPSN_NS1_7vsmem_tEENKUlT_SL_SM_SN_E_clIS8_S8_S9_S9_EESK_S10_SL_SM_SN_EUlS10_E_NS1_11comp_targetILNS1_3genE5ELNS1_11target_archE942ELNS1_3gpuE9ELNS1_3repE0EEENS1_48merge_mergepath_partition_config_static_selectorELNS0_4arch9wavefront6targetE1EEEvSM_
                                        ; -- End function
	.section	.AMDGPU.csdata,"",@progbits
; Kernel info:
; codeLenInByte = 0
; NumSgprs: 4
; NumVgprs: 0
; NumAgprs: 0
; TotalNumVgprs: 0
; ScratchSize: 0
; MemoryBound: 0
; FloatMode: 240
; IeeeMode: 1
; LDSByteSize: 0 bytes/workgroup (compile time only)
; SGPRBlocks: 0
; VGPRBlocks: 0
; NumSGPRsForWavesPerEU: 4
; NumVGPRsForWavesPerEU: 1
; AccumOffset: 4
; Occupancy: 8
; WaveLimiterHint : 0
; COMPUTE_PGM_RSRC2:SCRATCH_EN: 0
; COMPUTE_PGM_RSRC2:USER_SGPR: 6
; COMPUTE_PGM_RSRC2:TRAP_HANDLER: 0
; COMPUTE_PGM_RSRC2:TGID_X_EN: 1
; COMPUTE_PGM_RSRC2:TGID_Y_EN: 0
; COMPUTE_PGM_RSRC2:TGID_Z_EN: 0
; COMPUTE_PGM_RSRC2:TIDIG_COMP_CNT: 0
; COMPUTE_PGM_RSRC3_GFX90A:ACCUM_OFFSET: 0
; COMPUTE_PGM_RSRC3_GFX90A:TG_SPLIT: 0
	.section	.text._ZN7rocprim17ROCPRIM_400000_NS6detail17trampoline_kernelINS0_14default_configENS1_38merge_sort_block_merge_config_selectorIlNS0_10empty_typeEEEZZNS1_27merge_sort_block_merge_implIS3_PlPS5_mZN2at6native12_GLOBAL__N_124unique_dim_cuda_templateIaEESt5tupleIJNSA_6TensorESF_SF_EERKSF_lbbbEUlllE_EE10hipError_tT0_T1_T2_jT3_P12ihipStream_tbPNSt15iterator_traitsISL_E10value_typeEPNSR_ISM_E10value_typeEPSN_NS1_7vsmem_tEENKUlT_SL_SM_SN_E_clIS8_S8_S9_S9_EESK_S10_SL_SM_SN_EUlS10_E_NS1_11comp_targetILNS1_3genE4ELNS1_11target_archE910ELNS1_3gpuE8ELNS1_3repE0EEENS1_48merge_mergepath_partition_config_static_selectorELNS0_4arch9wavefront6targetE1EEEvSM_,"axG",@progbits,_ZN7rocprim17ROCPRIM_400000_NS6detail17trampoline_kernelINS0_14default_configENS1_38merge_sort_block_merge_config_selectorIlNS0_10empty_typeEEEZZNS1_27merge_sort_block_merge_implIS3_PlPS5_mZN2at6native12_GLOBAL__N_124unique_dim_cuda_templateIaEESt5tupleIJNSA_6TensorESF_SF_EERKSF_lbbbEUlllE_EE10hipError_tT0_T1_T2_jT3_P12ihipStream_tbPNSt15iterator_traitsISL_E10value_typeEPNSR_ISM_E10value_typeEPSN_NS1_7vsmem_tEENKUlT_SL_SM_SN_E_clIS8_S8_S9_S9_EESK_S10_SL_SM_SN_EUlS10_E_NS1_11comp_targetILNS1_3genE4ELNS1_11target_archE910ELNS1_3gpuE8ELNS1_3repE0EEENS1_48merge_mergepath_partition_config_static_selectorELNS0_4arch9wavefront6targetE1EEEvSM_,comdat
	.globl	_ZN7rocprim17ROCPRIM_400000_NS6detail17trampoline_kernelINS0_14default_configENS1_38merge_sort_block_merge_config_selectorIlNS0_10empty_typeEEEZZNS1_27merge_sort_block_merge_implIS3_PlPS5_mZN2at6native12_GLOBAL__N_124unique_dim_cuda_templateIaEESt5tupleIJNSA_6TensorESF_SF_EERKSF_lbbbEUlllE_EE10hipError_tT0_T1_T2_jT3_P12ihipStream_tbPNSt15iterator_traitsISL_E10value_typeEPNSR_ISM_E10value_typeEPSN_NS1_7vsmem_tEENKUlT_SL_SM_SN_E_clIS8_S8_S9_S9_EESK_S10_SL_SM_SN_EUlS10_E_NS1_11comp_targetILNS1_3genE4ELNS1_11target_archE910ELNS1_3gpuE8ELNS1_3repE0EEENS1_48merge_mergepath_partition_config_static_selectorELNS0_4arch9wavefront6targetE1EEEvSM_ ; -- Begin function _ZN7rocprim17ROCPRIM_400000_NS6detail17trampoline_kernelINS0_14default_configENS1_38merge_sort_block_merge_config_selectorIlNS0_10empty_typeEEEZZNS1_27merge_sort_block_merge_implIS3_PlPS5_mZN2at6native12_GLOBAL__N_124unique_dim_cuda_templateIaEESt5tupleIJNSA_6TensorESF_SF_EERKSF_lbbbEUlllE_EE10hipError_tT0_T1_T2_jT3_P12ihipStream_tbPNSt15iterator_traitsISL_E10value_typeEPNSR_ISM_E10value_typeEPSN_NS1_7vsmem_tEENKUlT_SL_SM_SN_E_clIS8_S8_S9_S9_EESK_S10_SL_SM_SN_EUlS10_E_NS1_11comp_targetILNS1_3genE4ELNS1_11target_archE910ELNS1_3gpuE8ELNS1_3repE0EEENS1_48merge_mergepath_partition_config_static_selectorELNS0_4arch9wavefront6targetE1EEEvSM_
	.p2align	8
	.type	_ZN7rocprim17ROCPRIM_400000_NS6detail17trampoline_kernelINS0_14default_configENS1_38merge_sort_block_merge_config_selectorIlNS0_10empty_typeEEEZZNS1_27merge_sort_block_merge_implIS3_PlPS5_mZN2at6native12_GLOBAL__N_124unique_dim_cuda_templateIaEESt5tupleIJNSA_6TensorESF_SF_EERKSF_lbbbEUlllE_EE10hipError_tT0_T1_T2_jT3_P12ihipStream_tbPNSt15iterator_traitsISL_E10value_typeEPNSR_ISM_E10value_typeEPSN_NS1_7vsmem_tEENKUlT_SL_SM_SN_E_clIS8_S8_S9_S9_EESK_S10_SL_SM_SN_EUlS10_E_NS1_11comp_targetILNS1_3genE4ELNS1_11target_archE910ELNS1_3gpuE8ELNS1_3repE0EEENS1_48merge_mergepath_partition_config_static_selectorELNS0_4arch9wavefront6targetE1EEEvSM_,@function
_ZN7rocprim17ROCPRIM_400000_NS6detail17trampoline_kernelINS0_14default_configENS1_38merge_sort_block_merge_config_selectorIlNS0_10empty_typeEEEZZNS1_27merge_sort_block_merge_implIS3_PlPS5_mZN2at6native12_GLOBAL__N_124unique_dim_cuda_templateIaEESt5tupleIJNSA_6TensorESF_SF_EERKSF_lbbbEUlllE_EE10hipError_tT0_T1_T2_jT3_P12ihipStream_tbPNSt15iterator_traitsISL_E10value_typeEPNSR_ISM_E10value_typeEPSN_NS1_7vsmem_tEENKUlT_SL_SM_SN_E_clIS8_S8_S9_S9_EESK_S10_SL_SM_SN_EUlS10_E_NS1_11comp_targetILNS1_3genE4ELNS1_11target_archE910ELNS1_3gpuE8ELNS1_3repE0EEENS1_48merge_mergepath_partition_config_static_selectorELNS0_4arch9wavefront6targetE1EEEvSM_: ; @_ZN7rocprim17ROCPRIM_400000_NS6detail17trampoline_kernelINS0_14default_configENS1_38merge_sort_block_merge_config_selectorIlNS0_10empty_typeEEEZZNS1_27merge_sort_block_merge_implIS3_PlPS5_mZN2at6native12_GLOBAL__N_124unique_dim_cuda_templateIaEESt5tupleIJNSA_6TensorESF_SF_EERKSF_lbbbEUlllE_EE10hipError_tT0_T1_T2_jT3_P12ihipStream_tbPNSt15iterator_traitsISL_E10value_typeEPNSR_ISM_E10value_typeEPSN_NS1_7vsmem_tEENKUlT_SL_SM_SN_E_clIS8_S8_S9_S9_EESK_S10_SL_SM_SN_EUlS10_E_NS1_11comp_targetILNS1_3genE4ELNS1_11target_archE910ELNS1_3gpuE8ELNS1_3repE0EEENS1_48merge_mergepath_partition_config_static_selectorELNS0_4arch9wavefront6targetE1EEEvSM_
; %bb.0:
	s_load_dword s0, s[4:5], 0x0
	v_lshl_or_b32 v0, s6, 7, v0
	s_waitcnt lgkmcnt(0)
	v_cmp_gt_u32_e32 vcc, s0, v0
	s_and_saveexec_b64 s[0:1], vcc
	s_cbranch_execz .LBB273_12
; %bb.1:
	s_load_dwordx4 s[0:3], s[4:5], 0x8
	s_load_dwordx8 s[8:15], s[4:5], 0x18
	v_mov_b32_e32 v5, 0
	s_waitcnt lgkmcnt(0)
	v_mov_b32_e32 v1, s0
	v_alignbit_b32 v1, s1, v1, 9
	v_and_b32_e32 v1, -2, v1
	v_add_u32_e32 v2, -1, v1
	v_sub_u32_e32 v1, 0, v1
	v_and_b32_e32 v4, v0, v1
	v_lshlrev_b64 v[8:9], 10, v[4:5]
	v_mov_b32_e32 v1, s3
	v_cmp_lt_u64_e32 vcc, s[2:3], v[8:9]
	v_mov_b32_e32 v4, s2
	v_and_b32_e32 v6, v2, v0
	v_cndmask_b32_e32 v3, v9, v1, vcc
	v_cndmask_b32_e32 v2, v8, v4, vcc
	v_mov_b32_e32 v7, s1
	v_add_co_u32_e32 v8, vcc, s0, v8
	v_addc_co_u32_e32 v9, vcc, v9, v7, vcc
	v_cmp_lt_u64_e32 vcc, s[2:3], v[8:9]
	v_cndmask_b32_e32 v8, v8, v4, vcc
	v_cndmask_b32_e32 v9, v9, v1, vcc
	v_add_co_u32_e32 v10, vcc, s0, v8
	v_addc_co_u32_e32 v11, vcc, v9, v7, vcc
	v_cmp_lt_u64_e32 vcc, s[2:3], v[10:11]
	v_cndmask_b32_e32 v12, v10, v4, vcc
	v_cndmask_b32_e32 v1, v11, v1, vcc
	v_sub_co_u32_e32 v10, vcc, v12, v2
	v_mov_b32_e32 v7, v5
	v_subb_co_u32_e32 v11, vcc, v1, v3, vcc
	v_lshlrev_b64 v[4:5], 10, v[6:7]
	v_cmp_lt_u64_e32 vcc, v[10:11], v[4:5]
	v_cndmask_b32_e32 v11, v5, v11, vcc
	v_cndmask_b32_e32 v10, v4, v10, vcc
	v_sub_co_u32_e32 v6, vcc, v8, v2
	v_subb_co_u32_e32 v7, vcc, v9, v3, vcc
	v_sub_co_u32_e32 v4, vcc, v8, v12
	v_subb_co_u32_e32 v1, vcc, v9, v1, vcc
	v_add_co_u32_e32 v4, vcc, v10, v4
	v_addc_co_u32_e32 v5, vcc, v11, v1, vcc
	v_cmp_gt_u64_e32 vcc, v[4:5], v[10:11]
	v_cndmask_b32_e64 v5, v5, 0, vcc
	v_cndmask_b32_e64 v4, v4, 0, vcc
	v_cmp_lt_u64_e32 vcc, v[10:11], v[6:7]
	v_cndmask_b32_e32 v7, v7, v11, vcc
	v_cndmask_b32_e32 v6, v6, v10, vcc
	v_cmp_lt_u64_e32 vcc, v[4:5], v[6:7]
	s_and_saveexec_b64 s[2:3], vcc
	s_cbranch_execz .LBB273_11
; %bb.2:
	v_lshlrev_b64 v[12:13], 3, v[2:3]
	v_mov_b32_e32 v14, s9
	v_add_co_u32_e32 v1, vcc, s8, v12
	v_addc_co_u32_e32 v14, vcc, v14, v13, vcc
	v_lshlrev_b64 v[8:9], 3, v[8:9]
	v_mov_b32_e32 v12, s9
	v_add_co_u32_e32 v13, vcc, s8, v8
	v_addc_co_u32_e32 v12, vcc, v12, v9, vcc
	v_lshlrev_b64 v[8:9], 3, v[10:11]
	v_cmp_gt_i64_e64 s[0:1], s[10:11], 0
	v_add_co_u32_e32 v15, vcc, v13, v8
	v_cndmask_b32_e64 v8, 0, 1, s[0:1]
	v_addc_co_u32_e32 v16, vcc, v12, v9, vcc
	s_mov_b64 s[4:5], 0
	v_cmp_ne_u32_e64 s[0:1], 1, v8
	s_branch .LBB273_5
.LBB273_3:                              ;   in Loop: Header=BB273_5 Depth=1
	s_or_b64 exec, exec, s[8:9]
.LBB273_4:                              ;   in Loop: Header=BB273_5 Depth=1
	v_add_co_u32_e32 v10, vcc, 1, v8
	v_addc_co_u32_e32 v11, vcc, 0, v9, vcc
	v_cndmask_b32_e64 v7, v7, v9, s[6:7]
	v_cndmask_b32_e64 v6, v6, v8, s[6:7]
	;; [unrolled: 1-line block ×4, first 2 shown]
	v_cmp_ge_u64_e32 vcc, v[4:5], v[6:7]
	s_or_b64 s[4:5], vcc, s[4:5]
	s_andn2_b64 exec, exec, s[4:5]
	s_cbranch_execz .LBB273_10
.LBB273_5:                              ; =>This Loop Header: Depth=1
                                        ;     Child Loop BB273_8 Depth 2
	v_add_co_u32_e32 v8, vcc, v6, v4
	v_addc_co_u32_e32 v9, vcc, v7, v5, vcc
	v_lshrrev_b64 v[8:9], 1, v[8:9]
	s_and_b64 vcc, exec, s[0:1]
	s_mov_b64 s[6:7], 0
	s_cbranch_vccnz .LBB273_4
; %bb.6:                                ;   in Loop: Header=BB273_5 Depth=1
	v_not_b32_e32 v11, v9
	v_not_b32_e32 v10, v8
	v_lshlrev_b64 v[10:11], 3, v[10:11]
	v_add_co_u32_e32 v10, vcc, v15, v10
	v_addc_co_u32_e32 v11, vcc, v16, v11, vcc
	v_lshlrev_b64 v[12:13], 3, v[8:9]
	v_add_co_u32_e32 v12, vcc, v1, v12
	v_addc_co_u32_e32 v13, vcc, v14, v13, vcc
	global_load_dwordx2 v[10:11], v[10:11], off
	v_pk_mov_b32 v[18:19], s[12:13], s[12:13] op_sel:[0,1]
	global_load_dwordx2 v[12:13], v[12:13], off
	s_mov_b64 s[8:9], 0
                                        ; implicit-def: $sgpr6_sgpr7
                                        ; implicit-def: $sgpr16_sgpr17
                                        ; implicit-def: $sgpr18_sgpr19
                                        ; implicit-def: $sgpr20_sgpr21
                                        ; implicit-def: $sgpr24_sgpr25
	s_waitcnt vmcnt(1)
	v_mul_lo_u32 v17, v10, s11
	v_mul_lo_u32 v20, v11, s10
	v_mad_u64_u32 v[10:11], s[22:23], v10, s10, v[18:19]
	s_waitcnt vmcnt(0)
	v_mul_lo_u32 v21, v12, s11
	v_mul_lo_u32 v22, v13, s10
	v_mad_u64_u32 v[12:13], s[22:23], v12, s10, v[18:19]
	v_add3_u32 v11, v20, v11, v17
	v_add3_u32 v13, v22, v13, v21
	s_mov_b64 s[22:23], s[10:11]
	s_branch .LBB273_8
.LBB273_7:                              ;   in Loop: Header=BB273_8 Depth=2
	s_or_b64 exec, exec, s[26:27]
	s_and_b64 s[26:27], exec, s[16:17]
	s_or_b64 s[8:9], s[26:27], s[8:9]
	s_andn2_b64 s[24:25], s[24:25], exec
	s_and_b64 s[26:27], s[18:19], exec
	s_or_b64 s[24:25], s[24:25], s[26:27]
	s_andn2_b64 s[6:7], s[6:7], exec
	s_and_b64 s[26:27], s[20:21], exec
	s_or_b64 s[6:7], s[6:7], s[26:27]
	s_andn2_b64 exec, exec, s[8:9]
	s_cbranch_execz .LBB273_3
.LBB273_8:                              ;   Parent Loop BB273_5 Depth=1
                                        ; =>  This Inner Loop Header: Depth=2
	global_load_ubyte v17, v[10:11], off
	global_load_ubyte v18, v[12:13], off
	s_andn2_b64 s[20:21], s[20:21], exec
	s_andn2_b64 s[18:19], s[18:19], exec
	s_or_b64 s[16:17], s[16:17], exec
	s_waitcnt vmcnt(0)
	v_cmp_le_i16_sdwa s[28:29], sext(v17), sext(v18) src0_sel:BYTE_0 src1_sel:BYTE_0
	v_cmp_lt_i16_sdwa s[26:27], sext(v17), sext(v18) src0_sel:BYTE_0 src1_sel:BYTE_0
	s_and_b64 s[28:29], s[28:29], s[24:25]
	s_or_b64 s[28:29], s[26:27], s[28:29]
	s_and_b64 s[26:27], s[28:29], exec
	v_cmp_eq_u16_sdwa s[30:31], v17, v18 src0_sel:BYTE_0 src1_sel:BYTE_0
	s_or_b64 s[20:21], s[20:21], s[26:27]
	s_and_saveexec_b64 s[26:27], s[30:31]
	s_cbranch_execz .LBB273_7
; %bb.9:                                ;   in Loop: Header=BB273_8 Depth=2
	s_add_u32 s22, s22, -1
	s_addc_u32 s23, s23, -1
	v_add_co_u32_e32 v10, vcc, 1, v10
	s_cmp_eq_u64 s[22:23], 0
	v_addc_co_u32_e32 v11, vcc, 0, v11, vcc
	s_cselect_b64 s[24:25], -1, 0
	v_add_co_u32_e32 v12, vcc, 1, v12
	s_andn2_b64 s[18:19], s[18:19], exec
	s_and_b64 s[28:29], s[28:29], exec
	s_andn2_b64 s[16:17], s[16:17], exec
	s_and_b64 s[24:25], s[24:25], exec
	v_addc_co_u32_e32 v13, vcc, 0, v13, vcc
	s_andn2_b64 s[20:21], s[20:21], exec
	s_or_b64 s[18:19], s[18:19], s[28:29]
	s_or_b64 s[16:17], s[16:17], s[24:25]
                                        ; implicit-def: $sgpr24_sgpr25
	s_branch .LBB273_7
.LBB273_10:
	s_or_b64 exec, exec, s[4:5]
.LBB273_11:
	s_or_b64 exec, exec, s[2:3]
	v_add_co_u32_e32 v2, vcc, v4, v2
	v_mov_b32_e32 v1, 0
	v_addc_co_u32_e32 v3, vcc, v5, v3, vcc
	v_lshlrev_b64 v[0:1], 3, v[0:1]
	v_mov_b32_e32 v4, s15
	v_add_co_u32_e32 v0, vcc, s14, v0
	v_addc_co_u32_e32 v1, vcc, v4, v1, vcc
	global_store_dwordx2 v[0:1], v[2:3], off
.LBB273_12:
	s_endpgm
	.section	.rodata,"a",@progbits
	.p2align	6, 0x0
	.amdhsa_kernel _ZN7rocprim17ROCPRIM_400000_NS6detail17trampoline_kernelINS0_14default_configENS1_38merge_sort_block_merge_config_selectorIlNS0_10empty_typeEEEZZNS1_27merge_sort_block_merge_implIS3_PlPS5_mZN2at6native12_GLOBAL__N_124unique_dim_cuda_templateIaEESt5tupleIJNSA_6TensorESF_SF_EERKSF_lbbbEUlllE_EE10hipError_tT0_T1_T2_jT3_P12ihipStream_tbPNSt15iterator_traitsISL_E10value_typeEPNSR_ISM_E10value_typeEPSN_NS1_7vsmem_tEENKUlT_SL_SM_SN_E_clIS8_S8_S9_S9_EESK_S10_SL_SM_SN_EUlS10_E_NS1_11comp_targetILNS1_3genE4ELNS1_11target_archE910ELNS1_3gpuE8ELNS1_3repE0EEENS1_48merge_mergepath_partition_config_static_selectorELNS0_4arch9wavefront6targetE1EEEvSM_
		.amdhsa_group_segment_fixed_size 0
		.amdhsa_private_segment_fixed_size 0
		.amdhsa_kernarg_size 56
		.amdhsa_user_sgpr_count 6
		.amdhsa_user_sgpr_private_segment_buffer 1
		.amdhsa_user_sgpr_dispatch_ptr 0
		.amdhsa_user_sgpr_queue_ptr 0
		.amdhsa_user_sgpr_kernarg_segment_ptr 1
		.amdhsa_user_sgpr_dispatch_id 0
		.amdhsa_user_sgpr_flat_scratch_init 0
		.amdhsa_user_sgpr_kernarg_preload_length 0
		.amdhsa_user_sgpr_kernarg_preload_offset 0
		.amdhsa_user_sgpr_private_segment_size 0
		.amdhsa_uses_dynamic_stack 0
		.amdhsa_system_sgpr_private_segment_wavefront_offset 0
		.amdhsa_system_sgpr_workgroup_id_x 1
		.amdhsa_system_sgpr_workgroup_id_y 0
		.amdhsa_system_sgpr_workgroup_id_z 0
		.amdhsa_system_sgpr_workgroup_info 0
		.amdhsa_system_vgpr_workitem_id 0
		.amdhsa_next_free_vgpr 23
		.amdhsa_next_free_sgpr 32
		.amdhsa_accum_offset 24
		.amdhsa_reserve_vcc 1
		.amdhsa_reserve_flat_scratch 0
		.amdhsa_float_round_mode_32 0
		.amdhsa_float_round_mode_16_64 0
		.amdhsa_float_denorm_mode_32 3
		.amdhsa_float_denorm_mode_16_64 3
		.amdhsa_dx10_clamp 1
		.amdhsa_ieee_mode 1
		.amdhsa_fp16_overflow 0
		.amdhsa_tg_split 0
		.amdhsa_exception_fp_ieee_invalid_op 0
		.amdhsa_exception_fp_denorm_src 0
		.amdhsa_exception_fp_ieee_div_zero 0
		.amdhsa_exception_fp_ieee_overflow 0
		.amdhsa_exception_fp_ieee_underflow 0
		.amdhsa_exception_fp_ieee_inexact 0
		.amdhsa_exception_int_div_zero 0
	.end_amdhsa_kernel
	.section	.text._ZN7rocprim17ROCPRIM_400000_NS6detail17trampoline_kernelINS0_14default_configENS1_38merge_sort_block_merge_config_selectorIlNS0_10empty_typeEEEZZNS1_27merge_sort_block_merge_implIS3_PlPS5_mZN2at6native12_GLOBAL__N_124unique_dim_cuda_templateIaEESt5tupleIJNSA_6TensorESF_SF_EERKSF_lbbbEUlllE_EE10hipError_tT0_T1_T2_jT3_P12ihipStream_tbPNSt15iterator_traitsISL_E10value_typeEPNSR_ISM_E10value_typeEPSN_NS1_7vsmem_tEENKUlT_SL_SM_SN_E_clIS8_S8_S9_S9_EESK_S10_SL_SM_SN_EUlS10_E_NS1_11comp_targetILNS1_3genE4ELNS1_11target_archE910ELNS1_3gpuE8ELNS1_3repE0EEENS1_48merge_mergepath_partition_config_static_selectorELNS0_4arch9wavefront6targetE1EEEvSM_,"axG",@progbits,_ZN7rocprim17ROCPRIM_400000_NS6detail17trampoline_kernelINS0_14default_configENS1_38merge_sort_block_merge_config_selectorIlNS0_10empty_typeEEEZZNS1_27merge_sort_block_merge_implIS3_PlPS5_mZN2at6native12_GLOBAL__N_124unique_dim_cuda_templateIaEESt5tupleIJNSA_6TensorESF_SF_EERKSF_lbbbEUlllE_EE10hipError_tT0_T1_T2_jT3_P12ihipStream_tbPNSt15iterator_traitsISL_E10value_typeEPNSR_ISM_E10value_typeEPSN_NS1_7vsmem_tEENKUlT_SL_SM_SN_E_clIS8_S8_S9_S9_EESK_S10_SL_SM_SN_EUlS10_E_NS1_11comp_targetILNS1_3genE4ELNS1_11target_archE910ELNS1_3gpuE8ELNS1_3repE0EEENS1_48merge_mergepath_partition_config_static_selectorELNS0_4arch9wavefront6targetE1EEEvSM_,comdat
.Lfunc_end273:
	.size	_ZN7rocprim17ROCPRIM_400000_NS6detail17trampoline_kernelINS0_14default_configENS1_38merge_sort_block_merge_config_selectorIlNS0_10empty_typeEEEZZNS1_27merge_sort_block_merge_implIS3_PlPS5_mZN2at6native12_GLOBAL__N_124unique_dim_cuda_templateIaEESt5tupleIJNSA_6TensorESF_SF_EERKSF_lbbbEUlllE_EE10hipError_tT0_T1_T2_jT3_P12ihipStream_tbPNSt15iterator_traitsISL_E10value_typeEPNSR_ISM_E10value_typeEPSN_NS1_7vsmem_tEENKUlT_SL_SM_SN_E_clIS8_S8_S9_S9_EESK_S10_SL_SM_SN_EUlS10_E_NS1_11comp_targetILNS1_3genE4ELNS1_11target_archE910ELNS1_3gpuE8ELNS1_3repE0EEENS1_48merge_mergepath_partition_config_static_selectorELNS0_4arch9wavefront6targetE1EEEvSM_, .Lfunc_end273-_ZN7rocprim17ROCPRIM_400000_NS6detail17trampoline_kernelINS0_14default_configENS1_38merge_sort_block_merge_config_selectorIlNS0_10empty_typeEEEZZNS1_27merge_sort_block_merge_implIS3_PlPS5_mZN2at6native12_GLOBAL__N_124unique_dim_cuda_templateIaEESt5tupleIJNSA_6TensorESF_SF_EERKSF_lbbbEUlllE_EE10hipError_tT0_T1_T2_jT3_P12ihipStream_tbPNSt15iterator_traitsISL_E10value_typeEPNSR_ISM_E10value_typeEPSN_NS1_7vsmem_tEENKUlT_SL_SM_SN_E_clIS8_S8_S9_S9_EESK_S10_SL_SM_SN_EUlS10_E_NS1_11comp_targetILNS1_3genE4ELNS1_11target_archE910ELNS1_3gpuE8ELNS1_3repE0EEENS1_48merge_mergepath_partition_config_static_selectorELNS0_4arch9wavefront6targetE1EEEvSM_
                                        ; -- End function
	.section	.AMDGPU.csdata,"",@progbits
; Kernel info:
; codeLenInByte = 824
; NumSgprs: 36
; NumVgprs: 23
; NumAgprs: 0
; TotalNumVgprs: 23
; ScratchSize: 0
; MemoryBound: 0
; FloatMode: 240
; IeeeMode: 1
; LDSByteSize: 0 bytes/workgroup (compile time only)
; SGPRBlocks: 4
; VGPRBlocks: 2
; NumSGPRsForWavesPerEU: 36
; NumVGPRsForWavesPerEU: 23
; AccumOffset: 24
; Occupancy: 8
; WaveLimiterHint : 0
; COMPUTE_PGM_RSRC2:SCRATCH_EN: 0
; COMPUTE_PGM_RSRC2:USER_SGPR: 6
; COMPUTE_PGM_RSRC2:TRAP_HANDLER: 0
; COMPUTE_PGM_RSRC2:TGID_X_EN: 1
; COMPUTE_PGM_RSRC2:TGID_Y_EN: 0
; COMPUTE_PGM_RSRC2:TGID_Z_EN: 0
; COMPUTE_PGM_RSRC2:TIDIG_COMP_CNT: 0
; COMPUTE_PGM_RSRC3_GFX90A:ACCUM_OFFSET: 5
; COMPUTE_PGM_RSRC3_GFX90A:TG_SPLIT: 0
	.section	.text._ZN7rocprim17ROCPRIM_400000_NS6detail17trampoline_kernelINS0_14default_configENS1_38merge_sort_block_merge_config_selectorIlNS0_10empty_typeEEEZZNS1_27merge_sort_block_merge_implIS3_PlPS5_mZN2at6native12_GLOBAL__N_124unique_dim_cuda_templateIaEESt5tupleIJNSA_6TensorESF_SF_EERKSF_lbbbEUlllE_EE10hipError_tT0_T1_T2_jT3_P12ihipStream_tbPNSt15iterator_traitsISL_E10value_typeEPNSR_ISM_E10value_typeEPSN_NS1_7vsmem_tEENKUlT_SL_SM_SN_E_clIS8_S8_S9_S9_EESK_S10_SL_SM_SN_EUlS10_E_NS1_11comp_targetILNS1_3genE3ELNS1_11target_archE908ELNS1_3gpuE7ELNS1_3repE0EEENS1_48merge_mergepath_partition_config_static_selectorELNS0_4arch9wavefront6targetE1EEEvSM_,"axG",@progbits,_ZN7rocprim17ROCPRIM_400000_NS6detail17trampoline_kernelINS0_14default_configENS1_38merge_sort_block_merge_config_selectorIlNS0_10empty_typeEEEZZNS1_27merge_sort_block_merge_implIS3_PlPS5_mZN2at6native12_GLOBAL__N_124unique_dim_cuda_templateIaEESt5tupleIJNSA_6TensorESF_SF_EERKSF_lbbbEUlllE_EE10hipError_tT0_T1_T2_jT3_P12ihipStream_tbPNSt15iterator_traitsISL_E10value_typeEPNSR_ISM_E10value_typeEPSN_NS1_7vsmem_tEENKUlT_SL_SM_SN_E_clIS8_S8_S9_S9_EESK_S10_SL_SM_SN_EUlS10_E_NS1_11comp_targetILNS1_3genE3ELNS1_11target_archE908ELNS1_3gpuE7ELNS1_3repE0EEENS1_48merge_mergepath_partition_config_static_selectorELNS0_4arch9wavefront6targetE1EEEvSM_,comdat
	.globl	_ZN7rocprim17ROCPRIM_400000_NS6detail17trampoline_kernelINS0_14default_configENS1_38merge_sort_block_merge_config_selectorIlNS0_10empty_typeEEEZZNS1_27merge_sort_block_merge_implIS3_PlPS5_mZN2at6native12_GLOBAL__N_124unique_dim_cuda_templateIaEESt5tupleIJNSA_6TensorESF_SF_EERKSF_lbbbEUlllE_EE10hipError_tT0_T1_T2_jT3_P12ihipStream_tbPNSt15iterator_traitsISL_E10value_typeEPNSR_ISM_E10value_typeEPSN_NS1_7vsmem_tEENKUlT_SL_SM_SN_E_clIS8_S8_S9_S9_EESK_S10_SL_SM_SN_EUlS10_E_NS1_11comp_targetILNS1_3genE3ELNS1_11target_archE908ELNS1_3gpuE7ELNS1_3repE0EEENS1_48merge_mergepath_partition_config_static_selectorELNS0_4arch9wavefront6targetE1EEEvSM_ ; -- Begin function _ZN7rocprim17ROCPRIM_400000_NS6detail17trampoline_kernelINS0_14default_configENS1_38merge_sort_block_merge_config_selectorIlNS0_10empty_typeEEEZZNS1_27merge_sort_block_merge_implIS3_PlPS5_mZN2at6native12_GLOBAL__N_124unique_dim_cuda_templateIaEESt5tupleIJNSA_6TensorESF_SF_EERKSF_lbbbEUlllE_EE10hipError_tT0_T1_T2_jT3_P12ihipStream_tbPNSt15iterator_traitsISL_E10value_typeEPNSR_ISM_E10value_typeEPSN_NS1_7vsmem_tEENKUlT_SL_SM_SN_E_clIS8_S8_S9_S9_EESK_S10_SL_SM_SN_EUlS10_E_NS1_11comp_targetILNS1_3genE3ELNS1_11target_archE908ELNS1_3gpuE7ELNS1_3repE0EEENS1_48merge_mergepath_partition_config_static_selectorELNS0_4arch9wavefront6targetE1EEEvSM_
	.p2align	8
	.type	_ZN7rocprim17ROCPRIM_400000_NS6detail17trampoline_kernelINS0_14default_configENS1_38merge_sort_block_merge_config_selectorIlNS0_10empty_typeEEEZZNS1_27merge_sort_block_merge_implIS3_PlPS5_mZN2at6native12_GLOBAL__N_124unique_dim_cuda_templateIaEESt5tupleIJNSA_6TensorESF_SF_EERKSF_lbbbEUlllE_EE10hipError_tT0_T1_T2_jT3_P12ihipStream_tbPNSt15iterator_traitsISL_E10value_typeEPNSR_ISM_E10value_typeEPSN_NS1_7vsmem_tEENKUlT_SL_SM_SN_E_clIS8_S8_S9_S9_EESK_S10_SL_SM_SN_EUlS10_E_NS1_11comp_targetILNS1_3genE3ELNS1_11target_archE908ELNS1_3gpuE7ELNS1_3repE0EEENS1_48merge_mergepath_partition_config_static_selectorELNS0_4arch9wavefront6targetE1EEEvSM_,@function
_ZN7rocprim17ROCPRIM_400000_NS6detail17trampoline_kernelINS0_14default_configENS1_38merge_sort_block_merge_config_selectorIlNS0_10empty_typeEEEZZNS1_27merge_sort_block_merge_implIS3_PlPS5_mZN2at6native12_GLOBAL__N_124unique_dim_cuda_templateIaEESt5tupleIJNSA_6TensorESF_SF_EERKSF_lbbbEUlllE_EE10hipError_tT0_T1_T2_jT3_P12ihipStream_tbPNSt15iterator_traitsISL_E10value_typeEPNSR_ISM_E10value_typeEPSN_NS1_7vsmem_tEENKUlT_SL_SM_SN_E_clIS8_S8_S9_S9_EESK_S10_SL_SM_SN_EUlS10_E_NS1_11comp_targetILNS1_3genE3ELNS1_11target_archE908ELNS1_3gpuE7ELNS1_3repE0EEENS1_48merge_mergepath_partition_config_static_selectorELNS0_4arch9wavefront6targetE1EEEvSM_: ; @_ZN7rocprim17ROCPRIM_400000_NS6detail17trampoline_kernelINS0_14default_configENS1_38merge_sort_block_merge_config_selectorIlNS0_10empty_typeEEEZZNS1_27merge_sort_block_merge_implIS3_PlPS5_mZN2at6native12_GLOBAL__N_124unique_dim_cuda_templateIaEESt5tupleIJNSA_6TensorESF_SF_EERKSF_lbbbEUlllE_EE10hipError_tT0_T1_T2_jT3_P12ihipStream_tbPNSt15iterator_traitsISL_E10value_typeEPNSR_ISM_E10value_typeEPSN_NS1_7vsmem_tEENKUlT_SL_SM_SN_E_clIS8_S8_S9_S9_EESK_S10_SL_SM_SN_EUlS10_E_NS1_11comp_targetILNS1_3genE3ELNS1_11target_archE908ELNS1_3gpuE7ELNS1_3repE0EEENS1_48merge_mergepath_partition_config_static_selectorELNS0_4arch9wavefront6targetE1EEEvSM_
; %bb.0:
	.section	.rodata,"a",@progbits
	.p2align	6, 0x0
	.amdhsa_kernel _ZN7rocprim17ROCPRIM_400000_NS6detail17trampoline_kernelINS0_14default_configENS1_38merge_sort_block_merge_config_selectorIlNS0_10empty_typeEEEZZNS1_27merge_sort_block_merge_implIS3_PlPS5_mZN2at6native12_GLOBAL__N_124unique_dim_cuda_templateIaEESt5tupleIJNSA_6TensorESF_SF_EERKSF_lbbbEUlllE_EE10hipError_tT0_T1_T2_jT3_P12ihipStream_tbPNSt15iterator_traitsISL_E10value_typeEPNSR_ISM_E10value_typeEPSN_NS1_7vsmem_tEENKUlT_SL_SM_SN_E_clIS8_S8_S9_S9_EESK_S10_SL_SM_SN_EUlS10_E_NS1_11comp_targetILNS1_3genE3ELNS1_11target_archE908ELNS1_3gpuE7ELNS1_3repE0EEENS1_48merge_mergepath_partition_config_static_selectorELNS0_4arch9wavefront6targetE1EEEvSM_
		.amdhsa_group_segment_fixed_size 0
		.amdhsa_private_segment_fixed_size 0
		.amdhsa_kernarg_size 56
		.amdhsa_user_sgpr_count 6
		.amdhsa_user_sgpr_private_segment_buffer 1
		.amdhsa_user_sgpr_dispatch_ptr 0
		.amdhsa_user_sgpr_queue_ptr 0
		.amdhsa_user_sgpr_kernarg_segment_ptr 1
		.amdhsa_user_sgpr_dispatch_id 0
		.amdhsa_user_sgpr_flat_scratch_init 0
		.amdhsa_user_sgpr_kernarg_preload_length 0
		.amdhsa_user_sgpr_kernarg_preload_offset 0
		.amdhsa_user_sgpr_private_segment_size 0
		.amdhsa_uses_dynamic_stack 0
		.amdhsa_system_sgpr_private_segment_wavefront_offset 0
		.amdhsa_system_sgpr_workgroup_id_x 1
		.amdhsa_system_sgpr_workgroup_id_y 0
		.amdhsa_system_sgpr_workgroup_id_z 0
		.amdhsa_system_sgpr_workgroup_info 0
		.amdhsa_system_vgpr_workitem_id 0
		.amdhsa_next_free_vgpr 1
		.amdhsa_next_free_sgpr 0
		.amdhsa_accum_offset 4
		.amdhsa_reserve_vcc 0
		.amdhsa_reserve_flat_scratch 0
		.amdhsa_float_round_mode_32 0
		.amdhsa_float_round_mode_16_64 0
		.amdhsa_float_denorm_mode_32 3
		.amdhsa_float_denorm_mode_16_64 3
		.amdhsa_dx10_clamp 1
		.amdhsa_ieee_mode 1
		.amdhsa_fp16_overflow 0
		.amdhsa_tg_split 0
		.amdhsa_exception_fp_ieee_invalid_op 0
		.amdhsa_exception_fp_denorm_src 0
		.amdhsa_exception_fp_ieee_div_zero 0
		.amdhsa_exception_fp_ieee_overflow 0
		.amdhsa_exception_fp_ieee_underflow 0
		.amdhsa_exception_fp_ieee_inexact 0
		.amdhsa_exception_int_div_zero 0
	.end_amdhsa_kernel
	.section	.text._ZN7rocprim17ROCPRIM_400000_NS6detail17trampoline_kernelINS0_14default_configENS1_38merge_sort_block_merge_config_selectorIlNS0_10empty_typeEEEZZNS1_27merge_sort_block_merge_implIS3_PlPS5_mZN2at6native12_GLOBAL__N_124unique_dim_cuda_templateIaEESt5tupleIJNSA_6TensorESF_SF_EERKSF_lbbbEUlllE_EE10hipError_tT0_T1_T2_jT3_P12ihipStream_tbPNSt15iterator_traitsISL_E10value_typeEPNSR_ISM_E10value_typeEPSN_NS1_7vsmem_tEENKUlT_SL_SM_SN_E_clIS8_S8_S9_S9_EESK_S10_SL_SM_SN_EUlS10_E_NS1_11comp_targetILNS1_3genE3ELNS1_11target_archE908ELNS1_3gpuE7ELNS1_3repE0EEENS1_48merge_mergepath_partition_config_static_selectorELNS0_4arch9wavefront6targetE1EEEvSM_,"axG",@progbits,_ZN7rocprim17ROCPRIM_400000_NS6detail17trampoline_kernelINS0_14default_configENS1_38merge_sort_block_merge_config_selectorIlNS0_10empty_typeEEEZZNS1_27merge_sort_block_merge_implIS3_PlPS5_mZN2at6native12_GLOBAL__N_124unique_dim_cuda_templateIaEESt5tupleIJNSA_6TensorESF_SF_EERKSF_lbbbEUlllE_EE10hipError_tT0_T1_T2_jT3_P12ihipStream_tbPNSt15iterator_traitsISL_E10value_typeEPNSR_ISM_E10value_typeEPSN_NS1_7vsmem_tEENKUlT_SL_SM_SN_E_clIS8_S8_S9_S9_EESK_S10_SL_SM_SN_EUlS10_E_NS1_11comp_targetILNS1_3genE3ELNS1_11target_archE908ELNS1_3gpuE7ELNS1_3repE0EEENS1_48merge_mergepath_partition_config_static_selectorELNS0_4arch9wavefront6targetE1EEEvSM_,comdat
.Lfunc_end274:
	.size	_ZN7rocprim17ROCPRIM_400000_NS6detail17trampoline_kernelINS0_14default_configENS1_38merge_sort_block_merge_config_selectorIlNS0_10empty_typeEEEZZNS1_27merge_sort_block_merge_implIS3_PlPS5_mZN2at6native12_GLOBAL__N_124unique_dim_cuda_templateIaEESt5tupleIJNSA_6TensorESF_SF_EERKSF_lbbbEUlllE_EE10hipError_tT0_T1_T2_jT3_P12ihipStream_tbPNSt15iterator_traitsISL_E10value_typeEPNSR_ISM_E10value_typeEPSN_NS1_7vsmem_tEENKUlT_SL_SM_SN_E_clIS8_S8_S9_S9_EESK_S10_SL_SM_SN_EUlS10_E_NS1_11comp_targetILNS1_3genE3ELNS1_11target_archE908ELNS1_3gpuE7ELNS1_3repE0EEENS1_48merge_mergepath_partition_config_static_selectorELNS0_4arch9wavefront6targetE1EEEvSM_, .Lfunc_end274-_ZN7rocprim17ROCPRIM_400000_NS6detail17trampoline_kernelINS0_14default_configENS1_38merge_sort_block_merge_config_selectorIlNS0_10empty_typeEEEZZNS1_27merge_sort_block_merge_implIS3_PlPS5_mZN2at6native12_GLOBAL__N_124unique_dim_cuda_templateIaEESt5tupleIJNSA_6TensorESF_SF_EERKSF_lbbbEUlllE_EE10hipError_tT0_T1_T2_jT3_P12ihipStream_tbPNSt15iterator_traitsISL_E10value_typeEPNSR_ISM_E10value_typeEPSN_NS1_7vsmem_tEENKUlT_SL_SM_SN_E_clIS8_S8_S9_S9_EESK_S10_SL_SM_SN_EUlS10_E_NS1_11comp_targetILNS1_3genE3ELNS1_11target_archE908ELNS1_3gpuE7ELNS1_3repE0EEENS1_48merge_mergepath_partition_config_static_selectorELNS0_4arch9wavefront6targetE1EEEvSM_
                                        ; -- End function
	.section	.AMDGPU.csdata,"",@progbits
; Kernel info:
; codeLenInByte = 0
; NumSgprs: 4
; NumVgprs: 0
; NumAgprs: 0
; TotalNumVgprs: 0
; ScratchSize: 0
; MemoryBound: 0
; FloatMode: 240
; IeeeMode: 1
; LDSByteSize: 0 bytes/workgroup (compile time only)
; SGPRBlocks: 0
; VGPRBlocks: 0
; NumSGPRsForWavesPerEU: 4
; NumVGPRsForWavesPerEU: 1
; AccumOffset: 4
; Occupancy: 8
; WaveLimiterHint : 0
; COMPUTE_PGM_RSRC2:SCRATCH_EN: 0
; COMPUTE_PGM_RSRC2:USER_SGPR: 6
; COMPUTE_PGM_RSRC2:TRAP_HANDLER: 0
; COMPUTE_PGM_RSRC2:TGID_X_EN: 1
; COMPUTE_PGM_RSRC2:TGID_Y_EN: 0
; COMPUTE_PGM_RSRC2:TGID_Z_EN: 0
; COMPUTE_PGM_RSRC2:TIDIG_COMP_CNT: 0
; COMPUTE_PGM_RSRC3_GFX90A:ACCUM_OFFSET: 0
; COMPUTE_PGM_RSRC3_GFX90A:TG_SPLIT: 0
	.section	.text._ZN7rocprim17ROCPRIM_400000_NS6detail17trampoline_kernelINS0_14default_configENS1_38merge_sort_block_merge_config_selectorIlNS0_10empty_typeEEEZZNS1_27merge_sort_block_merge_implIS3_PlPS5_mZN2at6native12_GLOBAL__N_124unique_dim_cuda_templateIaEESt5tupleIJNSA_6TensorESF_SF_EERKSF_lbbbEUlllE_EE10hipError_tT0_T1_T2_jT3_P12ihipStream_tbPNSt15iterator_traitsISL_E10value_typeEPNSR_ISM_E10value_typeEPSN_NS1_7vsmem_tEENKUlT_SL_SM_SN_E_clIS8_S8_S9_S9_EESK_S10_SL_SM_SN_EUlS10_E_NS1_11comp_targetILNS1_3genE2ELNS1_11target_archE906ELNS1_3gpuE6ELNS1_3repE0EEENS1_48merge_mergepath_partition_config_static_selectorELNS0_4arch9wavefront6targetE1EEEvSM_,"axG",@progbits,_ZN7rocprim17ROCPRIM_400000_NS6detail17trampoline_kernelINS0_14default_configENS1_38merge_sort_block_merge_config_selectorIlNS0_10empty_typeEEEZZNS1_27merge_sort_block_merge_implIS3_PlPS5_mZN2at6native12_GLOBAL__N_124unique_dim_cuda_templateIaEESt5tupleIJNSA_6TensorESF_SF_EERKSF_lbbbEUlllE_EE10hipError_tT0_T1_T2_jT3_P12ihipStream_tbPNSt15iterator_traitsISL_E10value_typeEPNSR_ISM_E10value_typeEPSN_NS1_7vsmem_tEENKUlT_SL_SM_SN_E_clIS8_S8_S9_S9_EESK_S10_SL_SM_SN_EUlS10_E_NS1_11comp_targetILNS1_3genE2ELNS1_11target_archE906ELNS1_3gpuE6ELNS1_3repE0EEENS1_48merge_mergepath_partition_config_static_selectorELNS0_4arch9wavefront6targetE1EEEvSM_,comdat
	.globl	_ZN7rocprim17ROCPRIM_400000_NS6detail17trampoline_kernelINS0_14default_configENS1_38merge_sort_block_merge_config_selectorIlNS0_10empty_typeEEEZZNS1_27merge_sort_block_merge_implIS3_PlPS5_mZN2at6native12_GLOBAL__N_124unique_dim_cuda_templateIaEESt5tupleIJNSA_6TensorESF_SF_EERKSF_lbbbEUlllE_EE10hipError_tT0_T1_T2_jT3_P12ihipStream_tbPNSt15iterator_traitsISL_E10value_typeEPNSR_ISM_E10value_typeEPSN_NS1_7vsmem_tEENKUlT_SL_SM_SN_E_clIS8_S8_S9_S9_EESK_S10_SL_SM_SN_EUlS10_E_NS1_11comp_targetILNS1_3genE2ELNS1_11target_archE906ELNS1_3gpuE6ELNS1_3repE0EEENS1_48merge_mergepath_partition_config_static_selectorELNS0_4arch9wavefront6targetE1EEEvSM_ ; -- Begin function _ZN7rocprim17ROCPRIM_400000_NS6detail17trampoline_kernelINS0_14default_configENS1_38merge_sort_block_merge_config_selectorIlNS0_10empty_typeEEEZZNS1_27merge_sort_block_merge_implIS3_PlPS5_mZN2at6native12_GLOBAL__N_124unique_dim_cuda_templateIaEESt5tupleIJNSA_6TensorESF_SF_EERKSF_lbbbEUlllE_EE10hipError_tT0_T1_T2_jT3_P12ihipStream_tbPNSt15iterator_traitsISL_E10value_typeEPNSR_ISM_E10value_typeEPSN_NS1_7vsmem_tEENKUlT_SL_SM_SN_E_clIS8_S8_S9_S9_EESK_S10_SL_SM_SN_EUlS10_E_NS1_11comp_targetILNS1_3genE2ELNS1_11target_archE906ELNS1_3gpuE6ELNS1_3repE0EEENS1_48merge_mergepath_partition_config_static_selectorELNS0_4arch9wavefront6targetE1EEEvSM_
	.p2align	8
	.type	_ZN7rocprim17ROCPRIM_400000_NS6detail17trampoline_kernelINS0_14default_configENS1_38merge_sort_block_merge_config_selectorIlNS0_10empty_typeEEEZZNS1_27merge_sort_block_merge_implIS3_PlPS5_mZN2at6native12_GLOBAL__N_124unique_dim_cuda_templateIaEESt5tupleIJNSA_6TensorESF_SF_EERKSF_lbbbEUlllE_EE10hipError_tT0_T1_T2_jT3_P12ihipStream_tbPNSt15iterator_traitsISL_E10value_typeEPNSR_ISM_E10value_typeEPSN_NS1_7vsmem_tEENKUlT_SL_SM_SN_E_clIS8_S8_S9_S9_EESK_S10_SL_SM_SN_EUlS10_E_NS1_11comp_targetILNS1_3genE2ELNS1_11target_archE906ELNS1_3gpuE6ELNS1_3repE0EEENS1_48merge_mergepath_partition_config_static_selectorELNS0_4arch9wavefront6targetE1EEEvSM_,@function
_ZN7rocprim17ROCPRIM_400000_NS6detail17trampoline_kernelINS0_14default_configENS1_38merge_sort_block_merge_config_selectorIlNS0_10empty_typeEEEZZNS1_27merge_sort_block_merge_implIS3_PlPS5_mZN2at6native12_GLOBAL__N_124unique_dim_cuda_templateIaEESt5tupleIJNSA_6TensorESF_SF_EERKSF_lbbbEUlllE_EE10hipError_tT0_T1_T2_jT3_P12ihipStream_tbPNSt15iterator_traitsISL_E10value_typeEPNSR_ISM_E10value_typeEPSN_NS1_7vsmem_tEENKUlT_SL_SM_SN_E_clIS8_S8_S9_S9_EESK_S10_SL_SM_SN_EUlS10_E_NS1_11comp_targetILNS1_3genE2ELNS1_11target_archE906ELNS1_3gpuE6ELNS1_3repE0EEENS1_48merge_mergepath_partition_config_static_selectorELNS0_4arch9wavefront6targetE1EEEvSM_: ; @_ZN7rocprim17ROCPRIM_400000_NS6detail17trampoline_kernelINS0_14default_configENS1_38merge_sort_block_merge_config_selectorIlNS0_10empty_typeEEEZZNS1_27merge_sort_block_merge_implIS3_PlPS5_mZN2at6native12_GLOBAL__N_124unique_dim_cuda_templateIaEESt5tupleIJNSA_6TensorESF_SF_EERKSF_lbbbEUlllE_EE10hipError_tT0_T1_T2_jT3_P12ihipStream_tbPNSt15iterator_traitsISL_E10value_typeEPNSR_ISM_E10value_typeEPSN_NS1_7vsmem_tEENKUlT_SL_SM_SN_E_clIS8_S8_S9_S9_EESK_S10_SL_SM_SN_EUlS10_E_NS1_11comp_targetILNS1_3genE2ELNS1_11target_archE906ELNS1_3gpuE6ELNS1_3repE0EEENS1_48merge_mergepath_partition_config_static_selectorELNS0_4arch9wavefront6targetE1EEEvSM_
; %bb.0:
	.section	.rodata,"a",@progbits
	.p2align	6, 0x0
	.amdhsa_kernel _ZN7rocprim17ROCPRIM_400000_NS6detail17trampoline_kernelINS0_14default_configENS1_38merge_sort_block_merge_config_selectorIlNS0_10empty_typeEEEZZNS1_27merge_sort_block_merge_implIS3_PlPS5_mZN2at6native12_GLOBAL__N_124unique_dim_cuda_templateIaEESt5tupleIJNSA_6TensorESF_SF_EERKSF_lbbbEUlllE_EE10hipError_tT0_T1_T2_jT3_P12ihipStream_tbPNSt15iterator_traitsISL_E10value_typeEPNSR_ISM_E10value_typeEPSN_NS1_7vsmem_tEENKUlT_SL_SM_SN_E_clIS8_S8_S9_S9_EESK_S10_SL_SM_SN_EUlS10_E_NS1_11comp_targetILNS1_3genE2ELNS1_11target_archE906ELNS1_3gpuE6ELNS1_3repE0EEENS1_48merge_mergepath_partition_config_static_selectorELNS0_4arch9wavefront6targetE1EEEvSM_
		.amdhsa_group_segment_fixed_size 0
		.amdhsa_private_segment_fixed_size 0
		.amdhsa_kernarg_size 56
		.amdhsa_user_sgpr_count 6
		.amdhsa_user_sgpr_private_segment_buffer 1
		.amdhsa_user_sgpr_dispatch_ptr 0
		.amdhsa_user_sgpr_queue_ptr 0
		.amdhsa_user_sgpr_kernarg_segment_ptr 1
		.amdhsa_user_sgpr_dispatch_id 0
		.amdhsa_user_sgpr_flat_scratch_init 0
		.amdhsa_user_sgpr_kernarg_preload_length 0
		.amdhsa_user_sgpr_kernarg_preload_offset 0
		.amdhsa_user_sgpr_private_segment_size 0
		.amdhsa_uses_dynamic_stack 0
		.amdhsa_system_sgpr_private_segment_wavefront_offset 0
		.amdhsa_system_sgpr_workgroup_id_x 1
		.amdhsa_system_sgpr_workgroup_id_y 0
		.amdhsa_system_sgpr_workgroup_id_z 0
		.amdhsa_system_sgpr_workgroup_info 0
		.amdhsa_system_vgpr_workitem_id 0
		.amdhsa_next_free_vgpr 1
		.amdhsa_next_free_sgpr 0
		.amdhsa_accum_offset 4
		.amdhsa_reserve_vcc 0
		.amdhsa_reserve_flat_scratch 0
		.amdhsa_float_round_mode_32 0
		.amdhsa_float_round_mode_16_64 0
		.amdhsa_float_denorm_mode_32 3
		.amdhsa_float_denorm_mode_16_64 3
		.amdhsa_dx10_clamp 1
		.amdhsa_ieee_mode 1
		.amdhsa_fp16_overflow 0
		.amdhsa_tg_split 0
		.amdhsa_exception_fp_ieee_invalid_op 0
		.amdhsa_exception_fp_denorm_src 0
		.amdhsa_exception_fp_ieee_div_zero 0
		.amdhsa_exception_fp_ieee_overflow 0
		.amdhsa_exception_fp_ieee_underflow 0
		.amdhsa_exception_fp_ieee_inexact 0
		.amdhsa_exception_int_div_zero 0
	.end_amdhsa_kernel
	.section	.text._ZN7rocprim17ROCPRIM_400000_NS6detail17trampoline_kernelINS0_14default_configENS1_38merge_sort_block_merge_config_selectorIlNS0_10empty_typeEEEZZNS1_27merge_sort_block_merge_implIS3_PlPS5_mZN2at6native12_GLOBAL__N_124unique_dim_cuda_templateIaEESt5tupleIJNSA_6TensorESF_SF_EERKSF_lbbbEUlllE_EE10hipError_tT0_T1_T2_jT3_P12ihipStream_tbPNSt15iterator_traitsISL_E10value_typeEPNSR_ISM_E10value_typeEPSN_NS1_7vsmem_tEENKUlT_SL_SM_SN_E_clIS8_S8_S9_S9_EESK_S10_SL_SM_SN_EUlS10_E_NS1_11comp_targetILNS1_3genE2ELNS1_11target_archE906ELNS1_3gpuE6ELNS1_3repE0EEENS1_48merge_mergepath_partition_config_static_selectorELNS0_4arch9wavefront6targetE1EEEvSM_,"axG",@progbits,_ZN7rocprim17ROCPRIM_400000_NS6detail17trampoline_kernelINS0_14default_configENS1_38merge_sort_block_merge_config_selectorIlNS0_10empty_typeEEEZZNS1_27merge_sort_block_merge_implIS3_PlPS5_mZN2at6native12_GLOBAL__N_124unique_dim_cuda_templateIaEESt5tupleIJNSA_6TensorESF_SF_EERKSF_lbbbEUlllE_EE10hipError_tT0_T1_T2_jT3_P12ihipStream_tbPNSt15iterator_traitsISL_E10value_typeEPNSR_ISM_E10value_typeEPSN_NS1_7vsmem_tEENKUlT_SL_SM_SN_E_clIS8_S8_S9_S9_EESK_S10_SL_SM_SN_EUlS10_E_NS1_11comp_targetILNS1_3genE2ELNS1_11target_archE906ELNS1_3gpuE6ELNS1_3repE0EEENS1_48merge_mergepath_partition_config_static_selectorELNS0_4arch9wavefront6targetE1EEEvSM_,comdat
.Lfunc_end275:
	.size	_ZN7rocprim17ROCPRIM_400000_NS6detail17trampoline_kernelINS0_14default_configENS1_38merge_sort_block_merge_config_selectorIlNS0_10empty_typeEEEZZNS1_27merge_sort_block_merge_implIS3_PlPS5_mZN2at6native12_GLOBAL__N_124unique_dim_cuda_templateIaEESt5tupleIJNSA_6TensorESF_SF_EERKSF_lbbbEUlllE_EE10hipError_tT0_T1_T2_jT3_P12ihipStream_tbPNSt15iterator_traitsISL_E10value_typeEPNSR_ISM_E10value_typeEPSN_NS1_7vsmem_tEENKUlT_SL_SM_SN_E_clIS8_S8_S9_S9_EESK_S10_SL_SM_SN_EUlS10_E_NS1_11comp_targetILNS1_3genE2ELNS1_11target_archE906ELNS1_3gpuE6ELNS1_3repE0EEENS1_48merge_mergepath_partition_config_static_selectorELNS0_4arch9wavefront6targetE1EEEvSM_, .Lfunc_end275-_ZN7rocprim17ROCPRIM_400000_NS6detail17trampoline_kernelINS0_14default_configENS1_38merge_sort_block_merge_config_selectorIlNS0_10empty_typeEEEZZNS1_27merge_sort_block_merge_implIS3_PlPS5_mZN2at6native12_GLOBAL__N_124unique_dim_cuda_templateIaEESt5tupleIJNSA_6TensorESF_SF_EERKSF_lbbbEUlllE_EE10hipError_tT0_T1_T2_jT3_P12ihipStream_tbPNSt15iterator_traitsISL_E10value_typeEPNSR_ISM_E10value_typeEPSN_NS1_7vsmem_tEENKUlT_SL_SM_SN_E_clIS8_S8_S9_S9_EESK_S10_SL_SM_SN_EUlS10_E_NS1_11comp_targetILNS1_3genE2ELNS1_11target_archE906ELNS1_3gpuE6ELNS1_3repE0EEENS1_48merge_mergepath_partition_config_static_selectorELNS0_4arch9wavefront6targetE1EEEvSM_
                                        ; -- End function
	.section	.AMDGPU.csdata,"",@progbits
; Kernel info:
; codeLenInByte = 0
; NumSgprs: 4
; NumVgprs: 0
; NumAgprs: 0
; TotalNumVgprs: 0
; ScratchSize: 0
; MemoryBound: 0
; FloatMode: 240
; IeeeMode: 1
; LDSByteSize: 0 bytes/workgroup (compile time only)
; SGPRBlocks: 0
; VGPRBlocks: 0
; NumSGPRsForWavesPerEU: 4
; NumVGPRsForWavesPerEU: 1
; AccumOffset: 4
; Occupancy: 8
; WaveLimiterHint : 0
; COMPUTE_PGM_RSRC2:SCRATCH_EN: 0
; COMPUTE_PGM_RSRC2:USER_SGPR: 6
; COMPUTE_PGM_RSRC2:TRAP_HANDLER: 0
; COMPUTE_PGM_RSRC2:TGID_X_EN: 1
; COMPUTE_PGM_RSRC2:TGID_Y_EN: 0
; COMPUTE_PGM_RSRC2:TGID_Z_EN: 0
; COMPUTE_PGM_RSRC2:TIDIG_COMP_CNT: 0
; COMPUTE_PGM_RSRC3_GFX90A:ACCUM_OFFSET: 0
; COMPUTE_PGM_RSRC3_GFX90A:TG_SPLIT: 0
	.section	.text._ZN7rocprim17ROCPRIM_400000_NS6detail17trampoline_kernelINS0_14default_configENS1_38merge_sort_block_merge_config_selectorIlNS0_10empty_typeEEEZZNS1_27merge_sort_block_merge_implIS3_PlPS5_mZN2at6native12_GLOBAL__N_124unique_dim_cuda_templateIaEESt5tupleIJNSA_6TensorESF_SF_EERKSF_lbbbEUlllE_EE10hipError_tT0_T1_T2_jT3_P12ihipStream_tbPNSt15iterator_traitsISL_E10value_typeEPNSR_ISM_E10value_typeEPSN_NS1_7vsmem_tEENKUlT_SL_SM_SN_E_clIS8_S8_S9_S9_EESK_S10_SL_SM_SN_EUlS10_E_NS1_11comp_targetILNS1_3genE9ELNS1_11target_archE1100ELNS1_3gpuE3ELNS1_3repE0EEENS1_48merge_mergepath_partition_config_static_selectorELNS0_4arch9wavefront6targetE1EEEvSM_,"axG",@progbits,_ZN7rocprim17ROCPRIM_400000_NS6detail17trampoline_kernelINS0_14default_configENS1_38merge_sort_block_merge_config_selectorIlNS0_10empty_typeEEEZZNS1_27merge_sort_block_merge_implIS3_PlPS5_mZN2at6native12_GLOBAL__N_124unique_dim_cuda_templateIaEESt5tupleIJNSA_6TensorESF_SF_EERKSF_lbbbEUlllE_EE10hipError_tT0_T1_T2_jT3_P12ihipStream_tbPNSt15iterator_traitsISL_E10value_typeEPNSR_ISM_E10value_typeEPSN_NS1_7vsmem_tEENKUlT_SL_SM_SN_E_clIS8_S8_S9_S9_EESK_S10_SL_SM_SN_EUlS10_E_NS1_11comp_targetILNS1_3genE9ELNS1_11target_archE1100ELNS1_3gpuE3ELNS1_3repE0EEENS1_48merge_mergepath_partition_config_static_selectorELNS0_4arch9wavefront6targetE1EEEvSM_,comdat
	.globl	_ZN7rocprim17ROCPRIM_400000_NS6detail17trampoline_kernelINS0_14default_configENS1_38merge_sort_block_merge_config_selectorIlNS0_10empty_typeEEEZZNS1_27merge_sort_block_merge_implIS3_PlPS5_mZN2at6native12_GLOBAL__N_124unique_dim_cuda_templateIaEESt5tupleIJNSA_6TensorESF_SF_EERKSF_lbbbEUlllE_EE10hipError_tT0_T1_T2_jT3_P12ihipStream_tbPNSt15iterator_traitsISL_E10value_typeEPNSR_ISM_E10value_typeEPSN_NS1_7vsmem_tEENKUlT_SL_SM_SN_E_clIS8_S8_S9_S9_EESK_S10_SL_SM_SN_EUlS10_E_NS1_11comp_targetILNS1_3genE9ELNS1_11target_archE1100ELNS1_3gpuE3ELNS1_3repE0EEENS1_48merge_mergepath_partition_config_static_selectorELNS0_4arch9wavefront6targetE1EEEvSM_ ; -- Begin function _ZN7rocprim17ROCPRIM_400000_NS6detail17trampoline_kernelINS0_14default_configENS1_38merge_sort_block_merge_config_selectorIlNS0_10empty_typeEEEZZNS1_27merge_sort_block_merge_implIS3_PlPS5_mZN2at6native12_GLOBAL__N_124unique_dim_cuda_templateIaEESt5tupleIJNSA_6TensorESF_SF_EERKSF_lbbbEUlllE_EE10hipError_tT0_T1_T2_jT3_P12ihipStream_tbPNSt15iterator_traitsISL_E10value_typeEPNSR_ISM_E10value_typeEPSN_NS1_7vsmem_tEENKUlT_SL_SM_SN_E_clIS8_S8_S9_S9_EESK_S10_SL_SM_SN_EUlS10_E_NS1_11comp_targetILNS1_3genE9ELNS1_11target_archE1100ELNS1_3gpuE3ELNS1_3repE0EEENS1_48merge_mergepath_partition_config_static_selectorELNS0_4arch9wavefront6targetE1EEEvSM_
	.p2align	8
	.type	_ZN7rocprim17ROCPRIM_400000_NS6detail17trampoline_kernelINS0_14default_configENS1_38merge_sort_block_merge_config_selectorIlNS0_10empty_typeEEEZZNS1_27merge_sort_block_merge_implIS3_PlPS5_mZN2at6native12_GLOBAL__N_124unique_dim_cuda_templateIaEESt5tupleIJNSA_6TensorESF_SF_EERKSF_lbbbEUlllE_EE10hipError_tT0_T1_T2_jT3_P12ihipStream_tbPNSt15iterator_traitsISL_E10value_typeEPNSR_ISM_E10value_typeEPSN_NS1_7vsmem_tEENKUlT_SL_SM_SN_E_clIS8_S8_S9_S9_EESK_S10_SL_SM_SN_EUlS10_E_NS1_11comp_targetILNS1_3genE9ELNS1_11target_archE1100ELNS1_3gpuE3ELNS1_3repE0EEENS1_48merge_mergepath_partition_config_static_selectorELNS0_4arch9wavefront6targetE1EEEvSM_,@function
_ZN7rocprim17ROCPRIM_400000_NS6detail17trampoline_kernelINS0_14default_configENS1_38merge_sort_block_merge_config_selectorIlNS0_10empty_typeEEEZZNS1_27merge_sort_block_merge_implIS3_PlPS5_mZN2at6native12_GLOBAL__N_124unique_dim_cuda_templateIaEESt5tupleIJNSA_6TensorESF_SF_EERKSF_lbbbEUlllE_EE10hipError_tT0_T1_T2_jT3_P12ihipStream_tbPNSt15iterator_traitsISL_E10value_typeEPNSR_ISM_E10value_typeEPSN_NS1_7vsmem_tEENKUlT_SL_SM_SN_E_clIS8_S8_S9_S9_EESK_S10_SL_SM_SN_EUlS10_E_NS1_11comp_targetILNS1_3genE9ELNS1_11target_archE1100ELNS1_3gpuE3ELNS1_3repE0EEENS1_48merge_mergepath_partition_config_static_selectorELNS0_4arch9wavefront6targetE1EEEvSM_: ; @_ZN7rocprim17ROCPRIM_400000_NS6detail17trampoline_kernelINS0_14default_configENS1_38merge_sort_block_merge_config_selectorIlNS0_10empty_typeEEEZZNS1_27merge_sort_block_merge_implIS3_PlPS5_mZN2at6native12_GLOBAL__N_124unique_dim_cuda_templateIaEESt5tupleIJNSA_6TensorESF_SF_EERKSF_lbbbEUlllE_EE10hipError_tT0_T1_T2_jT3_P12ihipStream_tbPNSt15iterator_traitsISL_E10value_typeEPNSR_ISM_E10value_typeEPSN_NS1_7vsmem_tEENKUlT_SL_SM_SN_E_clIS8_S8_S9_S9_EESK_S10_SL_SM_SN_EUlS10_E_NS1_11comp_targetILNS1_3genE9ELNS1_11target_archE1100ELNS1_3gpuE3ELNS1_3repE0EEENS1_48merge_mergepath_partition_config_static_selectorELNS0_4arch9wavefront6targetE1EEEvSM_
; %bb.0:
	.section	.rodata,"a",@progbits
	.p2align	6, 0x0
	.amdhsa_kernel _ZN7rocprim17ROCPRIM_400000_NS6detail17trampoline_kernelINS0_14default_configENS1_38merge_sort_block_merge_config_selectorIlNS0_10empty_typeEEEZZNS1_27merge_sort_block_merge_implIS3_PlPS5_mZN2at6native12_GLOBAL__N_124unique_dim_cuda_templateIaEESt5tupleIJNSA_6TensorESF_SF_EERKSF_lbbbEUlllE_EE10hipError_tT0_T1_T2_jT3_P12ihipStream_tbPNSt15iterator_traitsISL_E10value_typeEPNSR_ISM_E10value_typeEPSN_NS1_7vsmem_tEENKUlT_SL_SM_SN_E_clIS8_S8_S9_S9_EESK_S10_SL_SM_SN_EUlS10_E_NS1_11comp_targetILNS1_3genE9ELNS1_11target_archE1100ELNS1_3gpuE3ELNS1_3repE0EEENS1_48merge_mergepath_partition_config_static_selectorELNS0_4arch9wavefront6targetE1EEEvSM_
		.amdhsa_group_segment_fixed_size 0
		.amdhsa_private_segment_fixed_size 0
		.amdhsa_kernarg_size 56
		.amdhsa_user_sgpr_count 6
		.amdhsa_user_sgpr_private_segment_buffer 1
		.amdhsa_user_sgpr_dispatch_ptr 0
		.amdhsa_user_sgpr_queue_ptr 0
		.amdhsa_user_sgpr_kernarg_segment_ptr 1
		.amdhsa_user_sgpr_dispatch_id 0
		.amdhsa_user_sgpr_flat_scratch_init 0
		.amdhsa_user_sgpr_kernarg_preload_length 0
		.amdhsa_user_sgpr_kernarg_preload_offset 0
		.amdhsa_user_sgpr_private_segment_size 0
		.amdhsa_uses_dynamic_stack 0
		.amdhsa_system_sgpr_private_segment_wavefront_offset 0
		.amdhsa_system_sgpr_workgroup_id_x 1
		.amdhsa_system_sgpr_workgroup_id_y 0
		.amdhsa_system_sgpr_workgroup_id_z 0
		.amdhsa_system_sgpr_workgroup_info 0
		.amdhsa_system_vgpr_workitem_id 0
		.amdhsa_next_free_vgpr 1
		.amdhsa_next_free_sgpr 0
		.amdhsa_accum_offset 4
		.amdhsa_reserve_vcc 0
		.amdhsa_reserve_flat_scratch 0
		.amdhsa_float_round_mode_32 0
		.amdhsa_float_round_mode_16_64 0
		.amdhsa_float_denorm_mode_32 3
		.amdhsa_float_denorm_mode_16_64 3
		.amdhsa_dx10_clamp 1
		.amdhsa_ieee_mode 1
		.amdhsa_fp16_overflow 0
		.amdhsa_tg_split 0
		.amdhsa_exception_fp_ieee_invalid_op 0
		.amdhsa_exception_fp_denorm_src 0
		.amdhsa_exception_fp_ieee_div_zero 0
		.amdhsa_exception_fp_ieee_overflow 0
		.amdhsa_exception_fp_ieee_underflow 0
		.amdhsa_exception_fp_ieee_inexact 0
		.amdhsa_exception_int_div_zero 0
	.end_amdhsa_kernel
	.section	.text._ZN7rocprim17ROCPRIM_400000_NS6detail17trampoline_kernelINS0_14default_configENS1_38merge_sort_block_merge_config_selectorIlNS0_10empty_typeEEEZZNS1_27merge_sort_block_merge_implIS3_PlPS5_mZN2at6native12_GLOBAL__N_124unique_dim_cuda_templateIaEESt5tupleIJNSA_6TensorESF_SF_EERKSF_lbbbEUlllE_EE10hipError_tT0_T1_T2_jT3_P12ihipStream_tbPNSt15iterator_traitsISL_E10value_typeEPNSR_ISM_E10value_typeEPSN_NS1_7vsmem_tEENKUlT_SL_SM_SN_E_clIS8_S8_S9_S9_EESK_S10_SL_SM_SN_EUlS10_E_NS1_11comp_targetILNS1_3genE9ELNS1_11target_archE1100ELNS1_3gpuE3ELNS1_3repE0EEENS1_48merge_mergepath_partition_config_static_selectorELNS0_4arch9wavefront6targetE1EEEvSM_,"axG",@progbits,_ZN7rocprim17ROCPRIM_400000_NS6detail17trampoline_kernelINS0_14default_configENS1_38merge_sort_block_merge_config_selectorIlNS0_10empty_typeEEEZZNS1_27merge_sort_block_merge_implIS3_PlPS5_mZN2at6native12_GLOBAL__N_124unique_dim_cuda_templateIaEESt5tupleIJNSA_6TensorESF_SF_EERKSF_lbbbEUlllE_EE10hipError_tT0_T1_T2_jT3_P12ihipStream_tbPNSt15iterator_traitsISL_E10value_typeEPNSR_ISM_E10value_typeEPSN_NS1_7vsmem_tEENKUlT_SL_SM_SN_E_clIS8_S8_S9_S9_EESK_S10_SL_SM_SN_EUlS10_E_NS1_11comp_targetILNS1_3genE9ELNS1_11target_archE1100ELNS1_3gpuE3ELNS1_3repE0EEENS1_48merge_mergepath_partition_config_static_selectorELNS0_4arch9wavefront6targetE1EEEvSM_,comdat
.Lfunc_end276:
	.size	_ZN7rocprim17ROCPRIM_400000_NS6detail17trampoline_kernelINS0_14default_configENS1_38merge_sort_block_merge_config_selectorIlNS0_10empty_typeEEEZZNS1_27merge_sort_block_merge_implIS3_PlPS5_mZN2at6native12_GLOBAL__N_124unique_dim_cuda_templateIaEESt5tupleIJNSA_6TensorESF_SF_EERKSF_lbbbEUlllE_EE10hipError_tT0_T1_T2_jT3_P12ihipStream_tbPNSt15iterator_traitsISL_E10value_typeEPNSR_ISM_E10value_typeEPSN_NS1_7vsmem_tEENKUlT_SL_SM_SN_E_clIS8_S8_S9_S9_EESK_S10_SL_SM_SN_EUlS10_E_NS1_11comp_targetILNS1_3genE9ELNS1_11target_archE1100ELNS1_3gpuE3ELNS1_3repE0EEENS1_48merge_mergepath_partition_config_static_selectorELNS0_4arch9wavefront6targetE1EEEvSM_, .Lfunc_end276-_ZN7rocprim17ROCPRIM_400000_NS6detail17trampoline_kernelINS0_14default_configENS1_38merge_sort_block_merge_config_selectorIlNS0_10empty_typeEEEZZNS1_27merge_sort_block_merge_implIS3_PlPS5_mZN2at6native12_GLOBAL__N_124unique_dim_cuda_templateIaEESt5tupleIJNSA_6TensorESF_SF_EERKSF_lbbbEUlllE_EE10hipError_tT0_T1_T2_jT3_P12ihipStream_tbPNSt15iterator_traitsISL_E10value_typeEPNSR_ISM_E10value_typeEPSN_NS1_7vsmem_tEENKUlT_SL_SM_SN_E_clIS8_S8_S9_S9_EESK_S10_SL_SM_SN_EUlS10_E_NS1_11comp_targetILNS1_3genE9ELNS1_11target_archE1100ELNS1_3gpuE3ELNS1_3repE0EEENS1_48merge_mergepath_partition_config_static_selectorELNS0_4arch9wavefront6targetE1EEEvSM_
                                        ; -- End function
	.section	.AMDGPU.csdata,"",@progbits
; Kernel info:
; codeLenInByte = 0
; NumSgprs: 4
; NumVgprs: 0
; NumAgprs: 0
; TotalNumVgprs: 0
; ScratchSize: 0
; MemoryBound: 0
; FloatMode: 240
; IeeeMode: 1
; LDSByteSize: 0 bytes/workgroup (compile time only)
; SGPRBlocks: 0
; VGPRBlocks: 0
; NumSGPRsForWavesPerEU: 4
; NumVGPRsForWavesPerEU: 1
; AccumOffset: 4
; Occupancy: 8
; WaveLimiterHint : 0
; COMPUTE_PGM_RSRC2:SCRATCH_EN: 0
; COMPUTE_PGM_RSRC2:USER_SGPR: 6
; COMPUTE_PGM_RSRC2:TRAP_HANDLER: 0
; COMPUTE_PGM_RSRC2:TGID_X_EN: 1
; COMPUTE_PGM_RSRC2:TGID_Y_EN: 0
; COMPUTE_PGM_RSRC2:TGID_Z_EN: 0
; COMPUTE_PGM_RSRC2:TIDIG_COMP_CNT: 0
; COMPUTE_PGM_RSRC3_GFX90A:ACCUM_OFFSET: 0
; COMPUTE_PGM_RSRC3_GFX90A:TG_SPLIT: 0
	.section	.text._ZN7rocprim17ROCPRIM_400000_NS6detail17trampoline_kernelINS0_14default_configENS1_38merge_sort_block_merge_config_selectorIlNS0_10empty_typeEEEZZNS1_27merge_sort_block_merge_implIS3_PlPS5_mZN2at6native12_GLOBAL__N_124unique_dim_cuda_templateIaEESt5tupleIJNSA_6TensorESF_SF_EERKSF_lbbbEUlllE_EE10hipError_tT0_T1_T2_jT3_P12ihipStream_tbPNSt15iterator_traitsISL_E10value_typeEPNSR_ISM_E10value_typeEPSN_NS1_7vsmem_tEENKUlT_SL_SM_SN_E_clIS8_S8_S9_S9_EESK_S10_SL_SM_SN_EUlS10_E_NS1_11comp_targetILNS1_3genE8ELNS1_11target_archE1030ELNS1_3gpuE2ELNS1_3repE0EEENS1_48merge_mergepath_partition_config_static_selectorELNS0_4arch9wavefront6targetE1EEEvSM_,"axG",@progbits,_ZN7rocprim17ROCPRIM_400000_NS6detail17trampoline_kernelINS0_14default_configENS1_38merge_sort_block_merge_config_selectorIlNS0_10empty_typeEEEZZNS1_27merge_sort_block_merge_implIS3_PlPS5_mZN2at6native12_GLOBAL__N_124unique_dim_cuda_templateIaEESt5tupleIJNSA_6TensorESF_SF_EERKSF_lbbbEUlllE_EE10hipError_tT0_T1_T2_jT3_P12ihipStream_tbPNSt15iterator_traitsISL_E10value_typeEPNSR_ISM_E10value_typeEPSN_NS1_7vsmem_tEENKUlT_SL_SM_SN_E_clIS8_S8_S9_S9_EESK_S10_SL_SM_SN_EUlS10_E_NS1_11comp_targetILNS1_3genE8ELNS1_11target_archE1030ELNS1_3gpuE2ELNS1_3repE0EEENS1_48merge_mergepath_partition_config_static_selectorELNS0_4arch9wavefront6targetE1EEEvSM_,comdat
	.globl	_ZN7rocprim17ROCPRIM_400000_NS6detail17trampoline_kernelINS0_14default_configENS1_38merge_sort_block_merge_config_selectorIlNS0_10empty_typeEEEZZNS1_27merge_sort_block_merge_implIS3_PlPS5_mZN2at6native12_GLOBAL__N_124unique_dim_cuda_templateIaEESt5tupleIJNSA_6TensorESF_SF_EERKSF_lbbbEUlllE_EE10hipError_tT0_T1_T2_jT3_P12ihipStream_tbPNSt15iterator_traitsISL_E10value_typeEPNSR_ISM_E10value_typeEPSN_NS1_7vsmem_tEENKUlT_SL_SM_SN_E_clIS8_S8_S9_S9_EESK_S10_SL_SM_SN_EUlS10_E_NS1_11comp_targetILNS1_3genE8ELNS1_11target_archE1030ELNS1_3gpuE2ELNS1_3repE0EEENS1_48merge_mergepath_partition_config_static_selectorELNS0_4arch9wavefront6targetE1EEEvSM_ ; -- Begin function _ZN7rocprim17ROCPRIM_400000_NS6detail17trampoline_kernelINS0_14default_configENS1_38merge_sort_block_merge_config_selectorIlNS0_10empty_typeEEEZZNS1_27merge_sort_block_merge_implIS3_PlPS5_mZN2at6native12_GLOBAL__N_124unique_dim_cuda_templateIaEESt5tupleIJNSA_6TensorESF_SF_EERKSF_lbbbEUlllE_EE10hipError_tT0_T1_T2_jT3_P12ihipStream_tbPNSt15iterator_traitsISL_E10value_typeEPNSR_ISM_E10value_typeEPSN_NS1_7vsmem_tEENKUlT_SL_SM_SN_E_clIS8_S8_S9_S9_EESK_S10_SL_SM_SN_EUlS10_E_NS1_11comp_targetILNS1_3genE8ELNS1_11target_archE1030ELNS1_3gpuE2ELNS1_3repE0EEENS1_48merge_mergepath_partition_config_static_selectorELNS0_4arch9wavefront6targetE1EEEvSM_
	.p2align	8
	.type	_ZN7rocprim17ROCPRIM_400000_NS6detail17trampoline_kernelINS0_14default_configENS1_38merge_sort_block_merge_config_selectorIlNS0_10empty_typeEEEZZNS1_27merge_sort_block_merge_implIS3_PlPS5_mZN2at6native12_GLOBAL__N_124unique_dim_cuda_templateIaEESt5tupleIJNSA_6TensorESF_SF_EERKSF_lbbbEUlllE_EE10hipError_tT0_T1_T2_jT3_P12ihipStream_tbPNSt15iterator_traitsISL_E10value_typeEPNSR_ISM_E10value_typeEPSN_NS1_7vsmem_tEENKUlT_SL_SM_SN_E_clIS8_S8_S9_S9_EESK_S10_SL_SM_SN_EUlS10_E_NS1_11comp_targetILNS1_3genE8ELNS1_11target_archE1030ELNS1_3gpuE2ELNS1_3repE0EEENS1_48merge_mergepath_partition_config_static_selectorELNS0_4arch9wavefront6targetE1EEEvSM_,@function
_ZN7rocprim17ROCPRIM_400000_NS6detail17trampoline_kernelINS0_14default_configENS1_38merge_sort_block_merge_config_selectorIlNS0_10empty_typeEEEZZNS1_27merge_sort_block_merge_implIS3_PlPS5_mZN2at6native12_GLOBAL__N_124unique_dim_cuda_templateIaEESt5tupleIJNSA_6TensorESF_SF_EERKSF_lbbbEUlllE_EE10hipError_tT0_T1_T2_jT3_P12ihipStream_tbPNSt15iterator_traitsISL_E10value_typeEPNSR_ISM_E10value_typeEPSN_NS1_7vsmem_tEENKUlT_SL_SM_SN_E_clIS8_S8_S9_S9_EESK_S10_SL_SM_SN_EUlS10_E_NS1_11comp_targetILNS1_3genE8ELNS1_11target_archE1030ELNS1_3gpuE2ELNS1_3repE0EEENS1_48merge_mergepath_partition_config_static_selectorELNS0_4arch9wavefront6targetE1EEEvSM_: ; @_ZN7rocprim17ROCPRIM_400000_NS6detail17trampoline_kernelINS0_14default_configENS1_38merge_sort_block_merge_config_selectorIlNS0_10empty_typeEEEZZNS1_27merge_sort_block_merge_implIS3_PlPS5_mZN2at6native12_GLOBAL__N_124unique_dim_cuda_templateIaEESt5tupleIJNSA_6TensorESF_SF_EERKSF_lbbbEUlllE_EE10hipError_tT0_T1_T2_jT3_P12ihipStream_tbPNSt15iterator_traitsISL_E10value_typeEPNSR_ISM_E10value_typeEPSN_NS1_7vsmem_tEENKUlT_SL_SM_SN_E_clIS8_S8_S9_S9_EESK_S10_SL_SM_SN_EUlS10_E_NS1_11comp_targetILNS1_3genE8ELNS1_11target_archE1030ELNS1_3gpuE2ELNS1_3repE0EEENS1_48merge_mergepath_partition_config_static_selectorELNS0_4arch9wavefront6targetE1EEEvSM_
; %bb.0:
	.section	.rodata,"a",@progbits
	.p2align	6, 0x0
	.amdhsa_kernel _ZN7rocprim17ROCPRIM_400000_NS6detail17trampoline_kernelINS0_14default_configENS1_38merge_sort_block_merge_config_selectorIlNS0_10empty_typeEEEZZNS1_27merge_sort_block_merge_implIS3_PlPS5_mZN2at6native12_GLOBAL__N_124unique_dim_cuda_templateIaEESt5tupleIJNSA_6TensorESF_SF_EERKSF_lbbbEUlllE_EE10hipError_tT0_T1_T2_jT3_P12ihipStream_tbPNSt15iterator_traitsISL_E10value_typeEPNSR_ISM_E10value_typeEPSN_NS1_7vsmem_tEENKUlT_SL_SM_SN_E_clIS8_S8_S9_S9_EESK_S10_SL_SM_SN_EUlS10_E_NS1_11comp_targetILNS1_3genE8ELNS1_11target_archE1030ELNS1_3gpuE2ELNS1_3repE0EEENS1_48merge_mergepath_partition_config_static_selectorELNS0_4arch9wavefront6targetE1EEEvSM_
		.amdhsa_group_segment_fixed_size 0
		.amdhsa_private_segment_fixed_size 0
		.amdhsa_kernarg_size 56
		.amdhsa_user_sgpr_count 6
		.amdhsa_user_sgpr_private_segment_buffer 1
		.amdhsa_user_sgpr_dispatch_ptr 0
		.amdhsa_user_sgpr_queue_ptr 0
		.amdhsa_user_sgpr_kernarg_segment_ptr 1
		.amdhsa_user_sgpr_dispatch_id 0
		.amdhsa_user_sgpr_flat_scratch_init 0
		.amdhsa_user_sgpr_kernarg_preload_length 0
		.amdhsa_user_sgpr_kernarg_preload_offset 0
		.amdhsa_user_sgpr_private_segment_size 0
		.amdhsa_uses_dynamic_stack 0
		.amdhsa_system_sgpr_private_segment_wavefront_offset 0
		.amdhsa_system_sgpr_workgroup_id_x 1
		.amdhsa_system_sgpr_workgroup_id_y 0
		.amdhsa_system_sgpr_workgroup_id_z 0
		.amdhsa_system_sgpr_workgroup_info 0
		.amdhsa_system_vgpr_workitem_id 0
		.amdhsa_next_free_vgpr 1
		.amdhsa_next_free_sgpr 0
		.amdhsa_accum_offset 4
		.amdhsa_reserve_vcc 0
		.amdhsa_reserve_flat_scratch 0
		.amdhsa_float_round_mode_32 0
		.amdhsa_float_round_mode_16_64 0
		.amdhsa_float_denorm_mode_32 3
		.amdhsa_float_denorm_mode_16_64 3
		.amdhsa_dx10_clamp 1
		.amdhsa_ieee_mode 1
		.amdhsa_fp16_overflow 0
		.amdhsa_tg_split 0
		.amdhsa_exception_fp_ieee_invalid_op 0
		.amdhsa_exception_fp_denorm_src 0
		.amdhsa_exception_fp_ieee_div_zero 0
		.amdhsa_exception_fp_ieee_overflow 0
		.amdhsa_exception_fp_ieee_underflow 0
		.amdhsa_exception_fp_ieee_inexact 0
		.amdhsa_exception_int_div_zero 0
	.end_amdhsa_kernel
	.section	.text._ZN7rocprim17ROCPRIM_400000_NS6detail17trampoline_kernelINS0_14default_configENS1_38merge_sort_block_merge_config_selectorIlNS0_10empty_typeEEEZZNS1_27merge_sort_block_merge_implIS3_PlPS5_mZN2at6native12_GLOBAL__N_124unique_dim_cuda_templateIaEESt5tupleIJNSA_6TensorESF_SF_EERKSF_lbbbEUlllE_EE10hipError_tT0_T1_T2_jT3_P12ihipStream_tbPNSt15iterator_traitsISL_E10value_typeEPNSR_ISM_E10value_typeEPSN_NS1_7vsmem_tEENKUlT_SL_SM_SN_E_clIS8_S8_S9_S9_EESK_S10_SL_SM_SN_EUlS10_E_NS1_11comp_targetILNS1_3genE8ELNS1_11target_archE1030ELNS1_3gpuE2ELNS1_3repE0EEENS1_48merge_mergepath_partition_config_static_selectorELNS0_4arch9wavefront6targetE1EEEvSM_,"axG",@progbits,_ZN7rocprim17ROCPRIM_400000_NS6detail17trampoline_kernelINS0_14default_configENS1_38merge_sort_block_merge_config_selectorIlNS0_10empty_typeEEEZZNS1_27merge_sort_block_merge_implIS3_PlPS5_mZN2at6native12_GLOBAL__N_124unique_dim_cuda_templateIaEESt5tupleIJNSA_6TensorESF_SF_EERKSF_lbbbEUlllE_EE10hipError_tT0_T1_T2_jT3_P12ihipStream_tbPNSt15iterator_traitsISL_E10value_typeEPNSR_ISM_E10value_typeEPSN_NS1_7vsmem_tEENKUlT_SL_SM_SN_E_clIS8_S8_S9_S9_EESK_S10_SL_SM_SN_EUlS10_E_NS1_11comp_targetILNS1_3genE8ELNS1_11target_archE1030ELNS1_3gpuE2ELNS1_3repE0EEENS1_48merge_mergepath_partition_config_static_selectorELNS0_4arch9wavefront6targetE1EEEvSM_,comdat
.Lfunc_end277:
	.size	_ZN7rocprim17ROCPRIM_400000_NS6detail17trampoline_kernelINS0_14default_configENS1_38merge_sort_block_merge_config_selectorIlNS0_10empty_typeEEEZZNS1_27merge_sort_block_merge_implIS3_PlPS5_mZN2at6native12_GLOBAL__N_124unique_dim_cuda_templateIaEESt5tupleIJNSA_6TensorESF_SF_EERKSF_lbbbEUlllE_EE10hipError_tT0_T1_T2_jT3_P12ihipStream_tbPNSt15iterator_traitsISL_E10value_typeEPNSR_ISM_E10value_typeEPSN_NS1_7vsmem_tEENKUlT_SL_SM_SN_E_clIS8_S8_S9_S9_EESK_S10_SL_SM_SN_EUlS10_E_NS1_11comp_targetILNS1_3genE8ELNS1_11target_archE1030ELNS1_3gpuE2ELNS1_3repE0EEENS1_48merge_mergepath_partition_config_static_selectorELNS0_4arch9wavefront6targetE1EEEvSM_, .Lfunc_end277-_ZN7rocprim17ROCPRIM_400000_NS6detail17trampoline_kernelINS0_14default_configENS1_38merge_sort_block_merge_config_selectorIlNS0_10empty_typeEEEZZNS1_27merge_sort_block_merge_implIS3_PlPS5_mZN2at6native12_GLOBAL__N_124unique_dim_cuda_templateIaEESt5tupleIJNSA_6TensorESF_SF_EERKSF_lbbbEUlllE_EE10hipError_tT0_T1_T2_jT3_P12ihipStream_tbPNSt15iterator_traitsISL_E10value_typeEPNSR_ISM_E10value_typeEPSN_NS1_7vsmem_tEENKUlT_SL_SM_SN_E_clIS8_S8_S9_S9_EESK_S10_SL_SM_SN_EUlS10_E_NS1_11comp_targetILNS1_3genE8ELNS1_11target_archE1030ELNS1_3gpuE2ELNS1_3repE0EEENS1_48merge_mergepath_partition_config_static_selectorELNS0_4arch9wavefront6targetE1EEEvSM_
                                        ; -- End function
	.section	.AMDGPU.csdata,"",@progbits
; Kernel info:
; codeLenInByte = 0
; NumSgprs: 4
; NumVgprs: 0
; NumAgprs: 0
; TotalNumVgprs: 0
; ScratchSize: 0
; MemoryBound: 0
; FloatMode: 240
; IeeeMode: 1
; LDSByteSize: 0 bytes/workgroup (compile time only)
; SGPRBlocks: 0
; VGPRBlocks: 0
; NumSGPRsForWavesPerEU: 4
; NumVGPRsForWavesPerEU: 1
; AccumOffset: 4
; Occupancy: 8
; WaveLimiterHint : 0
; COMPUTE_PGM_RSRC2:SCRATCH_EN: 0
; COMPUTE_PGM_RSRC2:USER_SGPR: 6
; COMPUTE_PGM_RSRC2:TRAP_HANDLER: 0
; COMPUTE_PGM_RSRC2:TGID_X_EN: 1
; COMPUTE_PGM_RSRC2:TGID_Y_EN: 0
; COMPUTE_PGM_RSRC2:TGID_Z_EN: 0
; COMPUTE_PGM_RSRC2:TIDIG_COMP_CNT: 0
; COMPUTE_PGM_RSRC3_GFX90A:ACCUM_OFFSET: 0
; COMPUTE_PGM_RSRC3_GFX90A:TG_SPLIT: 0
	.section	.text._ZN7rocprim17ROCPRIM_400000_NS6detail17trampoline_kernelINS0_14default_configENS1_38merge_sort_block_merge_config_selectorIlNS0_10empty_typeEEEZZNS1_27merge_sort_block_merge_implIS3_PlPS5_mZN2at6native12_GLOBAL__N_124unique_dim_cuda_templateIaEESt5tupleIJNSA_6TensorESF_SF_EERKSF_lbbbEUlllE_EE10hipError_tT0_T1_T2_jT3_P12ihipStream_tbPNSt15iterator_traitsISL_E10value_typeEPNSR_ISM_E10value_typeEPSN_NS1_7vsmem_tEENKUlT_SL_SM_SN_E_clIS8_S8_S9_S9_EESK_S10_SL_SM_SN_EUlS10_E0_NS1_11comp_targetILNS1_3genE0ELNS1_11target_archE4294967295ELNS1_3gpuE0ELNS1_3repE0EEENS1_38merge_mergepath_config_static_selectorELNS0_4arch9wavefront6targetE1EEEvSM_,"axG",@progbits,_ZN7rocprim17ROCPRIM_400000_NS6detail17trampoline_kernelINS0_14default_configENS1_38merge_sort_block_merge_config_selectorIlNS0_10empty_typeEEEZZNS1_27merge_sort_block_merge_implIS3_PlPS5_mZN2at6native12_GLOBAL__N_124unique_dim_cuda_templateIaEESt5tupleIJNSA_6TensorESF_SF_EERKSF_lbbbEUlllE_EE10hipError_tT0_T1_T2_jT3_P12ihipStream_tbPNSt15iterator_traitsISL_E10value_typeEPNSR_ISM_E10value_typeEPSN_NS1_7vsmem_tEENKUlT_SL_SM_SN_E_clIS8_S8_S9_S9_EESK_S10_SL_SM_SN_EUlS10_E0_NS1_11comp_targetILNS1_3genE0ELNS1_11target_archE4294967295ELNS1_3gpuE0ELNS1_3repE0EEENS1_38merge_mergepath_config_static_selectorELNS0_4arch9wavefront6targetE1EEEvSM_,comdat
	.globl	_ZN7rocprim17ROCPRIM_400000_NS6detail17trampoline_kernelINS0_14default_configENS1_38merge_sort_block_merge_config_selectorIlNS0_10empty_typeEEEZZNS1_27merge_sort_block_merge_implIS3_PlPS5_mZN2at6native12_GLOBAL__N_124unique_dim_cuda_templateIaEESt5tupleIJNSA_6TensorESF_SF_EERKSF_lbbbEUlllE_EE10hipError_tT0_T1_T2_jT3_P12ihipStream_tbPNSt15iterator_traitsISL_E10value_typeEPNSR_ISM_E10value_typeEPSN_NS1_7vsmem_tEENKUlT_SL_SM_SN_E_clIS8_S8_S9_S9_EESK_S10_SL_SM_SN_EUlS10_E0_NS1_11comp_targetILNS1_3genE0ELNS1_11target_archE4294967295ELNS1_3gpuE0ELNS1_3repE0EEENS1_38merge_mergepath_config_static_selectorELNS0_4arch9wavefront6targetE1EEEvSM_ ; -- Begin function _ZN7rocprim17ROCPRIM_400000_NS6detail17trampoline_kernelINS0_14default_configENS1_38merge_sort_block_merge_config_selectorIlNS0_10empty_typeEEEZZNS1_27merge_sort_block_merge_implIS3_PlPS5_mZN2at6native12_GLOBAL__N_124unique_dim_cuda_templateIaEESt5tupleIJNSA_6TensorESF_SF_EERKSF_lbbbEUlllE_EE10hipError_tT0_T1_T2_jT3_P12ihipStream_tbPNSt15iterator_traitsISL_E10value_typeEPNSR_ISM_E10value_typeEPSN_NS1_7vsmem_tEENKUlT_SL_SM_SN_E_clIS8_S8_S9_S9_EESK_S10_SL_SM_SN_EUlS10_E0_NS1_11comp_targetILNS1_3genE0ELNS1_11target_archE4294967295ELNS1_3gpuE0ELNS1_3repE0EEENS1_38merge_mergepath_config_static_selectorELNS0_4arch9wavefront6targetE1EEEvSM_
	.p2align	8
	.type	_ZN7rocprim17ROCPRIM_400000_NS6detail17trampoline_kernelINS0_14default_configENS1_38merge_sort_block_merge_config_selectorIlNS0_10empty_typeEEEZZNS1_27merge_sort_block_merge_implIS3_PlPS5_mZN2at6native12_GLOBAL__N_124unique_dim_cuda_templateIaEESt5tupleIJNSA_6TensorESF_SF_EERKSF_lbbbEUlllE_EE10hipError_tT0_T1_T2_jT3_P12ihipStream_tbPNSt15iterator_traitsISL_E10value_typeEPNSR_ISM_E10value_typeEPSN_NS1_7vsmem_tEENKUlT_SL_SM_SN_E_clIS8_S8_S9_S9_EESK_S10_SL_SM_SN_EUlS10_E0_NS1_11comp_targetILNS1_3genE0ELNS1_11target_archE4294967295ELNS1_3gpuE0ELNS1_3repE0EEENS1_38merge_mergepath_config_static_selectorELNS0_4arch9wavefront6targetE1EEEvSM_,@function
_ZN7rocprim17ROCPRIM_400000_NS6detail17trampoline_kernelINS0_14default_configENS1_38merge_sort_block_merge_config_selectorIlNS0_10empty_typeEEEZZNS1_27merge_sort_block_merge_implIS3_PlPS5_mZN2at6native12_GLOBAL__N_124unique_dim_cuda_templateIaEESt5tupleIJNSA_6TensorESF_SF_EERKSF_lbbbEUlllE_EE10hipError_tT0_T1_T2_jT3_P12ihipStream_tbPNSt15iterator_traitsISL_E10value_typeEPNSR_ISM_E10value_typeEPSN_NS1_7vsmem_tEENKUlT_SL_SM_SN_E_clIS8_S8_S9_S9_EESK_S10_SL_SM_SN_EUlS10_E0_NS1_11comp_targetILNS1_3genE0ELNS1_11target_archE4294967295ELNS1_3gpuE0ELNS1_3repE0EEENS1_38merge_mergepath_config_static_selectorELNS0_4arch9wavefront6targetE1EEEvSM_: ; @_ZN7rocprim17ROCPRIM_400000_NS6detail17trampoline_kernelINS0_14default_configENS1_38merge_sort_block_merge_config_selectorIlNS0_10empty_typeEEEZZNS1_27merge_sort_block_merge_implIS3_PlPS5_mZN2at6native12_GLOBAL__N_124unique_dim_cuda_templateIaEESt5tupleIJNSA_6TensorESF_SF_EERKSF_lbbbEUlllE_EE10hipError_tT0_T1_T2_jT3_P12ihipStream_tbPNSt15iterator_traitsISL_E10value_typeEPNSR_ISM_E10value_typeEPSN_NS1_7vsmem_tEENKUlT_SL_SM_SN_E_clIS8_S8_S9_S9_EESK_S10_SL_SM_SN_EUlS10_E0_NS1_11comp_targetILNS1_3genE0ELNS1_11target_archE4294967295ELNS1_3gpuE0ELNS1_3repE0EEENS1_38merge_mergepath_config_static_selectorELNS0_4arch9wavefront6targetE1EEEvSM_
; %bb.0:
	.section	.rodata,"a",@progbits
	.p2align	6, 0x0
	.amdhsa_kernel _ZN7rocprim17ROCPRIM_400000_NS6detail17trampoline_kernelINS0_14default_configENS1_38merge_sort_block_merge_config_selectorIlNS0_10empty_typeEEEZZNS1_27merge_sort_block_merge_implIS3_PlPS5_mZN2at6native12_GLOBAL__N_124unique_dim_cuda_templateIaEESt5tupleIJNSA_6TensorESF_SF_EERKSF_lbbbEUlllE_EE10hipError_tT0_T1_T2_jT3_P12ihipStream_tbPNSt15iterator_traitsISL_E10value_typeEPNSR_ISM_E10value_typeEPSN_NS1_7vsmem_tEENKUlT_SL_SM_SN_E_clIS8_S8_S9_S9_EESK_S10_SL_SM_SN_EUlS10_E0_NS1_11comp_targetILNS1_3genE0ELNS1_11target_archE4294967295ELNS1_3gpuE0ELNS1_3repE0EEENS1_38merge_mergepath_config_static_selectorELNS0_4arch9wavefront6targetE1EEEvSM_
		.amdhsa_group_segment_fixed_size 0
		.amdhsa_private_segment_fixed_size 0
		.amdhsa_kernarg_size 88
		.amdhsa_user_sgpr_count 6
		.amdhsa_user_sgpr_private_segment_buffer 1
		.amdhsa_user_sgpr_dispatch_ptr 0
		.amdhsa_user_sgpr_queue_ptr 0
		.amdhsa_user_sgpr_kernarg_segment_ptr 1
		.amdhsa_user_sgpr_dispatch_id 0
		.amdhsa_user_sgpr_flat_scratch_init 0
		.amdhsa_user_sgpr_kernarg_preload_length 0
		.amdhsa_user_sgpr_kernarg_preload_offset 0
		.amdhsa_user_sgpr_private_segment_size 0
		.amdhsa_uses_dynamic_stack 0
		.amdhsa_system_sgpr_private_segment_wavefront_offset 0
		.amdhsa_system_sgpr_workgroup_id_x 1
		.amdhsa_system_sgpr_workgroup_id_y 0
		.amdhsa_system_sgpr_workgroup_id_z 0
		.amdhsa_system_sgpr_workgroup_info 0
		.amdhsa_system_vgpr_workitem_id 0
		.amdhsa_next_free_vgpr 1
		.amdhsa_next_free_sgpr 0
		.amdhsa_accum_offset 4
		.amdhsa_reserve_vcc 0
		.amdhsa_reserve_flat_scratch 0
		.amdhsa_float_round_mode_32 0
		.amdhsa_float_round_mode_16_64 0
		.amdhsa_float_denorm_mode_32 3
		.amdhsa_float_denorm_mode_16_64 3
		.amdhsa_dx10_clamp 1
		.amdhsa_ieee_mode 1
		.amdhsa_fp16_overflow 0
		.amdhsa_tg_split 0
		.amdhsa_exception_fp_ieee_invalid_op 0
		.amdhsa_exception_fp_denorm_src 0
		.amdhsa_exception_fp_ieee_div_zero 0
		.amdhsa_exception_fp_ieee_overflow 0
		.amdhsa_exception_fp_ieee_underflow 0
		.amdhsa_exception_fp_ieee_inexact 0
		.amdhsa_exception_int_div_zero 0
	.end_amdhsa_kernel
	.section	.text._ZN7rocprim17ROCPRIM_400000_NS6detail17trampoline_kernelINS0_14default_configENS1_38merge_sort_block_merge_config_selectorIlNS0_10empty_typeEEEZZNS1_27merge_sort_block_merge_implIS3_PlPS5_mZN2at6native12_GLOBAL__N_124unique_dim_cuda_templateIaEESt5tupleIJNSA_6TensorESF_SF_EERKSF_lbbbEUlllE_EE10hipError_tT0_T1_T2_jT3_P12ihipStream_tbPNSt15iterator_traitsISL_E10value_typeEPNSR_ISM_E10value_typeEPSN_NS1_7vsmem_tEENKUlT_SL_SM_SN_E_clIS8_S8_S9_S9_EESK_S10_SL_SM_SN_EUlS10_E0_NS1_11comp_targetILNS1_3genE0ELNS1_11target_archE4294967295ELNS1_3gpuE0ELNS1_3repE0EEENS1_38merge_mergepath_config_static_selectorELNS0_4arch9wavefront6targetE1EEEvSM_,"axG",@progbits,_ZN7rocprim17ROCPRIM_400000_NS6detail17trampoline_kernelINS0_14default_configENS1_38merge_sort_block_merge_config_selectorIlNS0_10empty_typeEEEZZNS1_27merge_sort_block_merge_implIS3_PlPS5_mZN2at6native12_GLOBAL__N_124unique_dim_cuda_templateIaEESt5tupleIJNSA_6TensorESF_SF_EERKSF_lbbbEUlllE_EE10hipError_tT0_T1_T2_jT3_P12ihipStream_tbPNSt15iterator_traitsISL_E10value_typeEPNSR_ISM_E10value_typeEPSN_NS1_7vsmem_tEENKUlT_SL_SM_SN_E_clIS8_S8_S9_S9_EESK_S10_SL_SM_SN_EUlS10_E0_NS1_11comp_targetILNS1_3genE0ELNS1_11target_archE4294967295ELNS1_3gpuE0ELNS1_3repE0EEENS1_38merge_mergepath_config_static_selectorELNS0_4arch9wavefront6targetE1EEEvSM_,comdat
.Lfunc_end278:
	.size	_ZN7rocprim17ROCPRIM_400000_NS6detail17trampoline_kernelINS0_14default_configENS1_38merge_sort_block_merge_config_selectorIlNS0_10empty_typeEEEZZNS1_27merge_sort_block_merge_implIS3_PlPS5_mZN2at6native12_GLOBAL__N_124unique_dim_cuda_templateIaEESt5tupleIJNSA_6TensorESF_SF_EERKSF_lbbbEUlllE_EE10hipError_tT0_T1_T2_jT3_P12ihipStream_tbPNSt15iterator_traitsISL_E10value_typeEPNSR_ISM_E10value_typeEPSN_NS1_7vsmem_tEENKUlT_SL_SM_SN_E_clIS8_S8_S9_S9_EESK_S10_SL_SM_SN_EUlS10_E0_NS1_11comp_targetILNS1_3genE0ELNS1_11target_archE4294967295ELNS1_3gpuE0ELNS1_3repE0EEENS1_38merge_mergepath_config_static_selectorELNS0_4arch9wavefront6targetE1EEEvSM_, .Lfunc_end278-_ZN7rocprim17ROCPRIM_400000_NS6detail17trampoline_kernelINS0_14default_configENS1_38merge_sort_block_merge_config_selectorIlNS0_10empty_typeEEEZZNS1_27merge_sort_block_merge_implIS3_PlPS5_mZN2at6native12_GLOBAL__N_124unique_dim_cuda_templateIaEESt5tupleIJNSA_6TensorESF_SF_EERKSF_lbbbEUlllE_EE10hipError_tT0_T1_T2_jT3_P12ihipStream_tbPNSt15iterator_traitsISL_E10value_typeEPNSR_ISM_E10value_typeEPSN_NS1_7vsmem_tEENKUlT_SL_SM_SN_E_clIS8_S8_S9_S9_EESK_S10_SL_SM_SN_EUlS10_E0_NS1_11comp_targetILNS1_3genE0ELNS1_11target_archE4294967295ELNS1_3gpuE0ELNS1_3repE0EEENS1_38merge_mergepath_config_static_selectorELNS0_4arch9wavefront6targetE1EEEvSM_
                                        ; -- End function
	.section	.AMDGPU.csdata,"",@progbits
; Kernel info:
; codeLenInByte = 0
; NumSgprs: 4
; NumVgprs: 0
; NumAgprs: 0
; TotalNumVgprs: 0
; ScratchSize: 0
; MemoryBound: 0
; FloatMode: 240
; IeeeMode: 1
; LDSByteSize: 0 bytes/workgroup (compile time only)
; SGPRBlocks: 0
; VGPRBlocks: 0
; NumSGPRsForWavesPerEU: 4
; NumVGPRsForWavesPerEU: 1
; AccumOffset: 4
; Occupancy: 8
; WaveLimiterHint : 0
; COMPUTE_PGM_RSRC2:SCRATCH_EN: 0
; COMPUTE_PGM_RSRC2:USER_SGPR: 6
; COMPUTE_PGM_RSRC2:TRAP_HANDLER: 0
; COMPUTE_PGM_RSRC2:TGID_X_EN: 1
; COMPUTE_PGM_RSRC2:TGID_Y_EN: 0
; COMPUTE_PGM_RSRC2:TGID_Z_EN: 0
; COMPUTE_PGM_RSRC2:TIDIG_COMP_CNT: 0
; COMPUTE_PGM_RSRC3_GFX90A:ACCUM_OFFSET: 0
; COMPUTE_PGM_RSRC3_GFX90A:TG_SPLIT: 0
	.section	.text._ZN7rocprim17ROCPRIM_400000_NS6detail17trampoline_kernelINS0_14default_configENS1_38merge_sort_block_merge_config_selectorIlNS0_10empty_typeEEEZZNS1_27merge_sort_block_merge_implIS3_PlPS5_mZN2at6native12_GLOBAL__N_124unique_dim_cuda_templateIaEESt5tupleIJNSA_6TensorESF_SF_EERKSF_lbbbEUlllE_EE10hipError_tT0_T1_T2_jT3_P12ihipStream_tbPNSt15iterator_traitsISL_E10value_typeEPNSR_ISM_E10value_typeEPSN_NS1_7vsmem_tEENKUlT_SL_SM_SN_E_clIS8_S8_S9_S9_EESK_S10_SL_SM_SN_EUlS10_E0_NS1_11comp_targetILNS1_3genE10ELNS1_11target_archE1201ELNS1_3gpuE5ELNS1_3repE0EEENS1_38merge_mergepath_config_static_selectorELNS0_4arch9wavefront6targetE1EEEvSM_,"axG",@progbits,_ZN7rocprim17ROCPRIM_400000_NS6detail17trampoline_kernelINS0_14default_configENS1_38merge_sort_block_merge_config_selectorIlNS0_10empty_typeEEEZZNS1_27merge_sort_block_merge_implIS3_PlPS5_mZN2at6native12_GLOBAL__N_124unique_dim_cuda_templateIaEESt5tupleIJNSA_6TensorESF_SF_EERKSF_lbbbEUlllE_EE10hipError_tT0_T1_T2_jT3_P12ihipStream_tbPNSt15iterator_traitsISL_E10value_typeEPNSR_ISM_E10value_typeEPSN_NS1_7vsmem_tEENKUlT_SL_SM_SN_E_clIS8_S8_S9_S9_EESK_S10_SL_SM_SN_EUlS10_E0_NS1_11comp_targetILNS1_3genE10ELNS1_11target_archE1201ELNS1_3gpuE5ELNS1_3repE0EEENS1_38merge_mergepath_config_static_selectorELNS0_4arch9wavefront6targetE1EEEvSM_,comdat
	.globl	_ZN7rocprim17ROCPRIM_400000_NS6detail17trampoline_kernelINS0_14default_configENS1_38merge_sort_block_merge_config_selectorIlNS0_10empty_typeEEEZZNS1_27merge_sort_block_merge_implIS3_PlPS5_mZN2at6native12_GLOBAL__N_124unique_dim_cuda_templateIaEESt5tupleIJNSA_6TensorESF_SF_EERKSF_lbbbEUlllE_EE10hipError_tT0_T1_T2_jT3_P12ihipStream_tbPNSt15iterator_traitsISL_E10value_typeEPNSR_ISM_E10value_typeEPSN_NS1_7vsmem_tEENKUlT_SL_SM_SN_E_clIS8_S8_S9_S9_EESK_S10_SL_SM_SN_EUlS10_E0_NS1_11comp_targetILNS1_3genE10ELNS1_11target_archE1201ELNS1_3gpuE5ELNS1_3repE0EEENS1_38merge_mergepath_config_static_selectorELNS0_4arch9wavefront6targetE1EEEvSM_ ; -- Begin function _ZN7rocprim17ROCPRIM_400000_NS6detail17trampoline_kernelINS0_14default_configENS1_38merge_sort_block_merge_config_selectorIlNS0_10empty_typeEEEZZNS1_27merge_sort_block_merge_implIS3_PlPS5_mZN2at6native12_GLOBAL__N_124unique_dim_cuda_templateIaEESt5tupleIJNSA_6TensorESF_SF_EERKSF_lbbbEUlllE_EE10hipError_tT0_T1_T2_jT3_P12ihipStream_tbPNSt15iterator_traitsISL_E10value_typeEPNSR_ISM_E10value_typeEPSN_NS1_7vsmem_tEENKUlT_SL_SM_SN_E_clIS8_S8_S9_S9_EESK_S10_SL_SM_SN_EUlS10_E0_NS1_11comp_targetILNS1_3genE10ELNS1_11target_archE1201ELNS1_3gpuE5ELNS1_3repE0EEENS1_38merge_mergepath_config_static_selectorELNS0_4arch9wavefront6targetE1EEEvSM_
	.p2align	8
	.type	_ZN7rocprim17ROCPRIM_400000_NS6detail17trampoline_kernelINS0_14default_configENS1_38merge_sort_block_merge_config_selectorIlNS0_10empty_typeEEEZZNS1_27merge_sort_block_merge_implIS3_PlPS5_mZN2at6native12_GLOBAL__N_124unique_dim_cuda_templateIaEESt5tupleIJNSA_6TensorESF_SF_EERKSF_lbbbEUlllE_EE10hipError_tT0_T1_T2_jT3_P12ihipStream_tbPNSt15iterator_traitsISL_E10value_typeEPNSR_ISM_E10value_typeEPSN_NS1_7vsmem_tEENKUlT_SL_SM_SN_E_clIS8_S8_S9_S9_EESK_S10_SL_SM_SN_EUlS10_E0_NS1_11comp_targetILNS1_3genE10ELNS1_11target_archE1201ELNS1_3gpuE5ELNS1_3repE0EEENS1_38merge_mergepath_config_static_selectorELNS0_4arch9wavefront6targetE1EEEvSM_,@function
_ZN7rocprim17ROCPRIM_400000_NS6detail17trampoline_kernelINS0_14default_configENS1_38merge_sort_block_merge_config_selectorIlNS0_10empty_typeEEEZZNS1_27merge_sort_block_merge_implIS3_PlPS5_mZN2at6native12_GLOBAL__N_124unique_dim_cuda_templateIaEESt5tupleIJNSA_6TensorESF_SF_EERKSF_lbbbEUlllE_EE10hipError_tT0_T1_T2_jT3_P12ihipStream_tbPNSt15iterator_traitsISL_E10value_typeEPNSR_ISM_E10value_typeEPSN_NS1_7vsmem_tEENKUlT_SL_SM_SN_E_clIS8_S8_S9_S9_EESK_S10_SL_SM_SN_EUlS10_E0_NS1_11comp_targetILNS1_3genE10ELNS1_11target_archE1201ELNS1_3gpuE5ELNS1_3repE0EEENS1_38merge_mergepath_config_static_selectorELNS0_4arch9wavefront6targetE1EEEvSM_: ; @_ZN7rocprim17ROCPRIM_400000_NS6detail17trampoline_kernelINS0_14default_configENS1_38merge_sort_block_merge_config_selectorIlNS0_10empty_typeEEEZZNS1_27merge_sort_block_merge_implIS3_PlPS5_mZN2at6native12_GLOBAL__N_124unique_dim_cuda_templateIaEESt5tupleIJNSA_6TensorESF_SF_EERKSF_lbbbEUlllE_EE10hipError_tT0_T1_T2_jT3_P12ihipStream_tbPNSt15iterator_traitsISL_E10value_typeEPNSR_ISM_E10value_typeEPSN_NS1_7vsmem_tEENKUlT_SL_SM_SN_E_clIS8_S8_S9_S9_EESK_S10_SL_SM_SN_EUlS10_E0_NS1_11comp_targetILNS1_3genE10ELNS1_11target_archE1201ELNS1_3gpuE5ELNS1_3repE0EEENS1_38merge_mergepath_config_static_selectorELNS0_4arch9wavefront6targetE1EEEvSM_
; %bb.0:
	.section	.rodata,"a",@progbits
	.p2align	6, 0x0
	.amdhsa_kernel _ZN7rocprim17ROCPRIM_400000_NS6detail17trampoline_kernelINS0_14default_configENS1_38merge_sort_block_merge_config_selectorIlNS0_10empty_typeEEEZZNS1_27merge_sort_block_merge_implIS3_PlPS5_mZN2at6native12_GLOBAL__N_124unique_dim_cuda_templateIaEESt5tupleIJNSA_6TensorESF_SF_EERKSF_lbbbEUlllE_EE10hipError_tT0_T1_T2_jT3_P12ihipStream_tbPNSt15iterator_traitsISL_E10value_typeEPNSR_ISM_E10value_typeEPSN_NS1_7vsmem_tEENKUlT_SL_SM_SN_E_clIS8_S8_S9_S9_EESK_S10_SL_SM_SN_EUlS10_E0_NS1_11comp_targetILNS1_3genE10ELNS1_11target_archE1201ELNS1_3gpuE5ELNS1_3repE0EEENS1_38merge_mergepath_config_static_selectorELNS0_4arch9wavefront6targetE1EEEvSM_
		.amdhsa_group_segment_fixed_size 0
		.amdhsa_private_segment_fixed_size 0
		.amdhsa_kernarg_size 88
		.amdhsa_user_sgpr_count 6
		.amdhsa_user_sgpr_private_segment_buffer 1
		.amdhsa_user_sgpr_dispatch_ptr 0
		.amdhsa_user_sgpr_queue_ptr 0
		.amdhsa_user_sgpr_kernarg_segment_ptr 1
		.amdhsa_user_sgpr_dispatch_id 0
		.amdhsa_user_sgpr_flat_scratch_init 0
		.amdhsa_user_sgpr_kernarg_preload_length 0
		.amdhsa_user_sgpr_kernarg_preload_offset 0
		.amdhsa_user_sgpr_private_segment_size 0
		.amdhsa_uses_dynamic_stack 0
		.amdhsa_system_sgpr_private_segment_wavefront_offset 0
		.amdhsa_system_sgpr_workgroup_id_x 1
		.amdhsa_system_sgpr_workgroup_id_y 0
		.amdhsa_system_sgpr_workgroup_id_z 0
		.amdhsa_system_sgpr_workgroup_info 0
		.amdhsa_system_vgpr_workitem_id 0
		.amdhsa_next_free_vgpr 1
		.amdhsa_next_free_sgpr 0
		.amdhsa_accum_offset 4
		.amdhsa_reserve_vcc 0
		.amdhsa_reserve_flat_scratch 0
		.amdhsa_float_round_mode_32 0
		.amdhsa_float_round_mode_16_64 0
		.amdhsa_float_denorm_mode_32 3
		.amdhsa_float_denorm_mode_16_64 3
		.amdhsa_dx10_clamp 1
		.amdhsa_ieee_mode 1
		.amdhsa_fp16_overflow 0
		.amdhsa_tg_split 0
		.amdhsa_exception_fp_ieee_invalid_op 0
		.amdhsa_exception_fp_denorm_src 0
		.amdhsa_exception_fp_ieee_div_zero 0
		.amdhsa_exception_fp_ieee_overflow 0
		.amdhsa_exception_fp_ieee_underflow 0
		.amdhsa_exception_fp_ieee_inexact 0
		.amdhsa_exception_int_div_zero 0
	.end_amdhsa_kernel
	.section	.text._ZN7rocprim17ROCPRIM_400000_NS6detail17trampoline_kernelINS0_14default_configENS1_38merge_sort_block_merge_config_selectorIlNS0_10empty_typeEEEZZNS1_27merge_sort_block_merge_implIS3_PlPS5_mZN2at6native12_GLOBAL__N_124unique_dim_cuda_templateIaEESt5tupleIJNSA_6TensorESF_SF_EERKSF_lbbbEUlllE_EE10hipError_tT0_T1_T2_jT3_P12ihipStream_tbPNSt15iterator_traitsISL_E10value_typeEPNSR_ISM_E10value_typeEPSN_NS1_7vsmem_tEENKUlT_SL_SM_SN_E_clIS8_S8_S9_S9_EESK_S10_SL_SM_SN_EUlS10_E0_NS1_11comp_targetILNS1_3genE10ELNS1_11target_archE1201ELNS1_3gpuE5ELNS1_3repE0EEENS1_38merge_mergepath_config_static_selectorELNS0_4arch9wavefront6targetE1EEEvSM_,"axG",@progbits,_ZN7rocprim17ROCPRIM_400000_NS6detail17trampoline_kernelINS0_14default_configENS1_38merge_sort_block_merge_config_selectorIlNS0_10empty_typeEEEZZNS1_27merge_sort_block_merge_implIS3_PlPS5_mZN2at6native12_GLOBAL__N_124unique_dim_cuda_templateIaEESt5tupleIJNSA_6TensorESF_SF_EERKSF_lbbbEUlllE_EE10hipError_tT0_T1_T2_jT3_P12ihipStream_tbPNSt15iterator_traitsISL_E10value_typeEPNSR_ISM_E10value_typeEPSN_NS1_7vsmem_tEENKUlT_SL_SM_SN_E_clIS8_S8_S9_S9_EESK_S10_SL_SM_SN_EUlS10_E0_NS1_11comp_targetILNS1_3genE10ELNS1_11target_archE1201ELNS1_3gpuE5ELNS1_3repE0EEENS1_38merge_mergepath_config_static_selectorELNS0_4arch9wavefront6targetE1EEEvSM_,comdat
.Lfunc_end279:
	.size	_ZN7rocprim17ROCPRIM_400000_NS6detail17trampoline_kernelINS0_14default_configENS1_38merge_sort_block_merge_config_selectorIlNS0_10empty_typeEEEZZNS1_27merge_sort_block_merge_implIS3_PlPS5_mZN2at6native12_GLOBAL__N_124unique_dim_cuda_templateIaEESt5tupleIJNSA_6TensorESF_SF_EERKSF_lbbbEUlllE_EE10hipError_tT0_T1_T2_jT3_P12ihipStream_tbPNSt15iterator_traitsISL_E10value_typeEPNSR_ISM_E10value_typeEPSN_NS1_7vsmem_tEENKUlT_SL_SM_SN_E_clIS8_S8_S9_S9_EESK_S10_SL_SM_SN_EUlS10_E0_NS1_11comp_targetILNS1_3genE10ELNS1_11target_archE1201ELNS1_3gpuE5ELNS1_3repE0EEENS1_38merge_mergepath_config_static_selectorELNS0_4arch9wavefront6targetE1EEEvSM_, .Lfunc_end279-_ZN7rocprim17ROCPRIM_400000_NS6detail17trampoline_kernelINS0_14default_configENS1_38merge_sort_block_merge_config_selectorIlNS0_10empty_typeEEEZZNS1_27merge_sort_block_merge_implIS3_PlPS5_mZN2at6native12_GLOBAL__N_124unique_dim_cuda_templateIaEESt5tupleIJNSA_6TensorESF_SF_EERKSF_lbbbEUlllE_EE10hipError_tT0_T1_T2_jT3_P12ihipStream_tbPNSt15iterator_traitsISL_E10value_typeEPNSR_ISM_E10value_typeEPSN_NS1_7vsmem_tEENKUlT_SL_SM_SN_E_clIS8_S8_S9_S9_EESK_S10_SL_SM_SN_EUlS10_E0_NS1_11comp_targetILNS1_3genE10ELNS1_11target_archE1201ELNS1_3gpuE5ELNS1_3repE0EEENS1_38merge_mergepath_config_static_selectorELNS0_4arch9wavefront6targetE1EEEvSM_
                                        ; -- End function
	.section	.AMDGPU.csdata,"",@progbits
; Kernel info:
; codeLenInByte = 0
; NumSgprs: 4
; NumVgprs: 0
; NumAgprs: 0
; TotalNumVgprs: 0
; ScratchSize: 0
; MemoryBound: 0
; FloatMode: 240
; IeeeMode: 1
; LDSByteSize: 0 bytes/workgroup (compile time only)
; SGPRBlocks: 0
; VGPRBlocks: 0
; NumSGPRsForWavesPerEU: 4
; NumVGPRsForWavesPerEU: 1
; AccumOffset: 4
; Occupancy: 8
; WaveLimiterHint : 0
; COMPUTE_PGM_RSRC2:SCRATCH_EN: 0
; COMPUTE_PGM_RSRC2:USER_SGPR: 6
; COMPUTE_PGM_RSRC2:TRAP_HANDLER: 0
; COMPUTE_PGM_RSRC2:TGID_X_EN: 1
; COMPUTE_PGM_RSRC2:TGID_Y_EN: 0
; COMPUTE_PGM_RSRC2:TGID_Z_EN: 0
; COMPUTE_PGM_RSRC2:TIDIG_COMP_CNT: 0
; COMPUTE_PGM_RSRC3_GFX90A:ACCUM_OFFSET: 0
; COMPUTE_PGM_RSRC3_GFX90A:TG_SPLIT: 0
	.section	.text._ZN7rocprim17ROCPRIM_400000_NS6detail17trampoline_kernelINS0_14default_configENS1_38merge_sort_block_merge_config_selectorIlNS0_10empty_typeEEEZZNS1_27merge_sort_block_merge_implIS3_PlPS5_mZN2at6native12_GLOBAL__N_124unique_dim_cuda_templateIaEESt5tupleIJNSA_6TensorESF_SF_EERKSF_lbbbEUlllE_EE10hipError_tT0_T1_T2_jT3_P12ihipStream_tbPNSt15iterator_traitsISL_E10value_typeEPNSR_ISM_E10value_typeEPSN_NS1_7vsmem_tEENKUlT_SL_SM_SN_E_clIS8_S8_S9_S9_EESK_S10_SL_SM_SN_EUlS10_E0_NS1_11comp_targetILNS1_3genE5ELNS1_11target_archE942ELNS1_3gpuE9ELNS1_3repE0EEENS1_38merge_mergepath_config_static_selectorELNS0_4arch9wavefront6targetE1EEEvSM_,"axG",@progbits,_ZN7rocprim17ROCPRIM_400000_NS6detail17trampoline_kernelINS0_14default_configENS1_38merge_sort_block_merge_config_selectorIlNS0_10empty_typeEEEZZNS1_27merge_sort_block_merge_implIS3_PlPS5_mZN2at6native12_GLOBAL__N_124unique_dim_cuda_templateIaEESt5tupleIJNSA_6TensorESF_SF_EERKSF_lbbbEUlllE_EE10hipError_tT0_T1_T2_jT3_P12ihipStream_tbPNSt15iterator_traitsISL_E10value_typeEPNSR_ISM_E10value_typeEPSN_NS1_7vsmem_tEENKUlT_SL_SM_SN_E_clIS8_S8_S9_S9_EESK_S10_SL_SM_SN_EUlS10_E0_NS1_11comp_targetILNS1_3genE5ELNS1_11target_archE942ELNS1_3gpuE9ELNS1_3repE0EEENS1_38merge_mergepath_config_static_selectorELNS0_4arch9wavefront6targetE1EEEvSM_,comdat
	.globl	_ZN7rocprim17ROCPRIM_400000_NS6detail17trampoline_kernelINS0_14default_configENS1_38merge_sort_block_merge_config_selectorIlNS0_10empty_typeEEEZZNS1_27merge_sort_block_merge_implIS3_PlPS5_mZN2at6native12_GLOBAL__N_124unique_dim_cuda_templateIaEESt5tupleIJNSA_6TensorESF_SF_EERKSF_lbbbEUlllE_EE10hipError_tT0_T1_T2_jT3_P12ihipStream_tbPNSt15iterator_traitsISL_E10value_typeEPNSR_ISM_E10value_typeEPSN_NS1_7vsmem_tEENKUlT_SL_SM_SN_E_clIS8_S8_S9_S9_EESK_S10_SL_SM_SN_EUlS10_E0_NS1_11comp_targetILNS1_3genE5ELNS1_11target_archE942ELNS1_3gpuE9ELNS1_3repE0EEENS1_38merge_mergepath_config_static_selectorELNS0_4arch9wavefront6targetE1EEEvSM_ ; -- Begin function _ZN7rocprim17ROCPRIM_400000_NS6detail17trampoline_kernelINS0_14default_configENS1_38merge_sort_block_merge_config_selectorIlNS0_10empty_typeEEEZZNS1_27merge_sort_block_merge_implIS3_PlPS5_mZN2at6native12_GLOBAL__N_124unique_dim_cuda_templateIaEESt5tupleIJNSA_6TensorESF_SF_EERKSF_lbbbEUlllE_EE10hipError_tT0_T1_T2_jT3_P12ihipStream_tbPNSt15iterator_traitsISL_E10value_typeEPNSR_ISM_E10value_typeEPSN_NS1_7vsmem_tEENKUlT_SL_SM_SN_E_clIS8_S8_S9_S9_EESK_S10_SL_SM_SN_EUlS10_E0_NS1_11comp_targetILNS1_3genE5ELNS1_11target_archE942ELNS1_3gpuE9ELNS1_3repE0EEENS1_38merge_mergepath_config_static_selectorELNS0_4arch9wavefront6targetE1EEEvSM_
	.p2align	8
	.type	_ZN7rocprim17ROCPRIM_400000_NS6detail17trampoline_kernelINS0_14default_configENS1_38merge_sort_block_merge_config_selectorIlNS0_10empty_typeEEEZZNS1_27merge_sort_block_merge_implIS3_PlPS5_mZN2at6native12_GLOBAL__N_124unique_dim_cuda_templateIaEESt5tupleIJNSA_6TensorESF_SF_EERKSF_lbbbEUlllE_EE10hipError_tT0_T1_T2_jT3_P12ihipStream_tbPNSt15iterator_traitsISL_E10value_typeEPNSR_ISM_E10value_typeEPSN_NS1_7vsmem_tEENKUlT_SL_SM_SN_E_clIS8_S8_S9_S9_EESK_S10_SL_SM_SN_EUlS10_E0_NS1_11comp_targetILNS1_3genE5ELNS1_11target_archE942ELNS1_3gpuE9ELNS1_3repE0EEENS1_38merge_mergepath_config_static_selectorELNS0_4arch9wavefront6targetE1EEEvSM_,@function
_ZN7rocprim17ROCPRIM_400000_NS6detail17trampoline_kernelINS0_14default_configENS1_38merge_sort_block_merge_config_selectorIlNS0_10empty_typeEEEZZNS1_27merge_sort_block_merge_implIS3_PlPS5_mZN2at6native12_GLOBAL__N_124unique_dim_cuda_templateIaEESt5tupleIJNSA_6TensorESF_SF_EERKSF_lbbbEUlllE_EE10hipError_tT0_T1_T2_jT3_P12ihipStream_tbPNSt15iterator_traitsISL_E10value_typeEPNSR_ISM_E10value_typeEPSN_NS1_7vsmem_tEENKUlT_SL_SM_SN_E_clIS8_S8_S9_S9_EESK_S10_SL_SM_SN_EUlS10_E0_NS1_11comp_targetILNS1_3genE5ELNS1_11target_archE942ELNS1_3gpuE9ELNS1_3repE0EEENS1_38merge_mergepath_config_static_selectorELNS0_4arch9wavefront6targetE1EEEvSM_: ; @_ZN7rocprim17ROCPRIM_400000_NS6detail17trampoline_kernelINS0_14default_configENS1_38merge_sort_block_merge_config_selectorIlNS0_10empty_typeEEEZZNS1_27merge_sort_block_merge_implIS3_PlPS5_mZN2at6native12_GLOBAL__N_124unique_dim_cuda_templateIaEESt5tupleIJNSA_6TensorESF_SF_EERKSF_lbbbEUlllE_EE10hipError_tT0_T1_T2_jT3_P12ihipStream_tbPNSt15iterator_traitsISL_E10value_typeEPNSR_ISM_E10value_typeEPSN_NS1_7vsmem_tEENKUlT_SL_SM_SN_E_clIS8_S8_S9_S9_EESK_S10_SL_SM_SN_EUlS10_E0_NS1_11comp_targetILNS1_3genE5ELNS1_11target_archE942ELNS1_3gpuE9ELNS1_3repE0EEENS1_38merge_mergepath_config_static_selectorELNS0_4arch9wavefront6targetE1EEEvSM_
; %bb.0:
	.section	.rodata,"a",@progbits
	.p2align	6, 0x0
	.amdhsa_kernel _ZN7rocprim17ROCPRIM_400000_NS6detail17trampoline_kernelINS0_14default_configENS1_38merge_sort_block_merge_config_selectorIlNS0_10empty_typeEEEZZNS1_27merge_sort_block_merge_implIS3_PlPS5_mZN2at6native12_GLOBAL__N_124unique_dim_cuda_templateIaEESt5tupleIJNSA_6TensorESF_SF_EERKSF_lbbbEUlllE_EE10hipError_tT0_T1_T2_jT3_P12ihipStream_tbPNSt15iterator_traitsISL_E10value_typeEPNSR_ISM_E10value_typeEPSN_NS1_7vsmem_tEENKUlT_SL_SM_SN_E_clIS8_S8_S9_S9_EESK_S10_SL_SM_SN_EUlS10_E0_NS1_11comp_targetILNS1_3genE5ELNS1_11target_archE942ELNS1_3gpuE9ELNS1_3repE0EEENS1_38merge_mergepath_config_static_selectorELNS0_4arch9wavefront6targetE1EEEvSM_
		.amdhsa_group_segment_fixed_size 0
		.amdhsa_private_segment_fixed_size 0
		.amdhsa_kernarg_size 88
		.amdhsa_user_sgpr_count 6
		.amdhsa_user_sgpr_private_segment_buffer 1
		.amdhsa_user_sgpr_dispatch_ptr 0
		.amdhsa_user_sgpr_queue_ptr 0
		.amdhsa_user_sgpr_kernarg_segment_ptr 1
		.amdhsa_user_sgpr_dispatch_id 0
		.amdhsa_user_sgpr_flat_scratch_init 0
		.amdhsa_user_sgpr_kernarg_preload_length 0
		.amdhsa_user_sgpr_kernarg_preload_offset 0
		.amdhsa_user_sgpr_private_segment_size 0
		.amdhsa_uses_dynamic_stack 0
		.amdhsa_system_sgpr_private_segment_wavefront_offset 0
		.amdhsa_system_sgpr_workgroup_id_x 1
		.amdhsa_system_sgpr_workgroup_id_y 0
		.amdhsa_system_sgpr_workgroup_id_z 0
		.amdhsa_system_sgpr_workgroup_info 0
		.amdhsa_system_vgpr_workitem_id 0
		.amdhsa_next_free_vgpr 1
		.amdhsa_next_free_sgpr 0
		.amdhsa_accum_offset 4
		.amdhsa_reserve_vcc 0
		.amdhsa_reserve_flat_scratch 0
		.amdhsa_float_round_mode_32 0
		.amdhsa_float_round_mode_16_64 0
		.amdhsa_float_denorm_mode_32 3
		.amdhsa_float_denorm_mode_16_64 3
		.amdhsa_dx10_clamp 1
		.amdhsa_ieee_mode 1
		.amdhsa_fp16_overflow 0
		.amdhsa_tg_split 0
		.amdhsa_exception_fp_ieee_invalid_op 0
		.amdhsa_exception_fp_denorm_src 0
		.amdhsa_exception_fp_ieee_div_zero 0
		.amdhsa_exception_fp_ieee_overflow 0
		.amdhsa_exception_fp_ieee_underflow 0
		.amdhsa_exception_fp_ieee_inexact 0
		.amdhsa_exception_int_div_zero 0
	.end_amdhsa_kernel
	.section	.text._ZN7rocprim17ROCPRIM_400000_NS6detail17trampoline_kernelINS0_14default_configENS1_38merge_sort_block_merge_config_selectorIlNS0_10empty_typeEEEZZNS1_27merge_sort_block_merge_implIS3_PlPS5_mZN2at6native12_GLOBAL__N_124unique_dim_cuda_templateIaEESt5tupleIJNSA_6TensorESF_SF_EERKSF_lbbbEUlllE_EE10hipError_tT0_T1_T2_jT3_P12ihipStream_tbPNSt15iterator_traitsISL_E10value_typeEPNSR_ISM_E10value_typeEPSN_NS1_7vsmem_tEENKUlT_SL_SM_SN_E_clIS8_S8_S9_S9_EESK_S10_SL_SM_SN_EUlS10_E0_NS1_11comp_targetILNS1_3genE5ELNS1_11target_archE942ELNS1_3gpuE9ELNS1_3repE0EEENS1_38merge_mergepath_config_static_selectorELNS0_4arch9wavefront6targetE1EEEvSM_,"axG",@progbits,_ZN7rocprim17ROCPRIM_400000_NS6detail17trampoline_kernelINS0_14default_configENS1_38merge_sort_block_merge_config_selectorIlNS0_10empty_typeEEEZZNS1_27merge_sort_block_merge_implIS3_PlPS5_mZN2at6native12_GLOBAL__N_124unique_dim_cuda_templateIaEESt5tupleIJNSA_6TensorESF_SF_EERKSF_lbbbEUlllE_EE10hipError_tT0_T1_T2_jT3_P12ihipStream_tbPNSt15iterator_traitsISL_E10value_typeEPNSR_ISM_E10value_typeEPSN_NS1_7vsmem_tEENKUlT_SL_SM_SN_E_clIS8_S8_S9_S9_EESK_S10_SL_SM_SN_EUlS10_E0_NS1_11comp_targetILNS1_3genE5ELNS1_11target_archE942ELNS1_3gpuE9ELNS1_3repE0EEENS1_38merge_mergepath_config_static_selectorELNS0_4arch9wavefront6targetE1EEEvSM_,comdat
.Lfunc_end280:
	.size	_ZN7rocprim17ROCPRIM_400000_NS6detail17trampoline_kernelINS0_14default_configENS1_38merge_sort_block_merge_config_selectorIlNS0_10empty_typeEEEZZNS1_27merge_sort_block_merge_implIS3_PlPS5_mZN2at6native12_GLOBAL__N_124unique_dim_cuda_templateIaEESt5tupleIJNSA_6TensorESF_SF_EERKSF_lbbbEUlllE_EE10hipError_tT0_T1_T2_jT3_P12ihipStream_tbPNSt15iterator_traitsISL_E10value_typeEPNSR_ISM_E10value_typeEPSN_NS1_7vsmem_tEENKUlT_SL_SM_SN_E_clIS8_S8_S9_S9_EESK_S10_SL_SM_SN_EUlS10_E0_NS1_11comp_targetILNS1_3genE5ELNS1_11target_archE942ELNS1_3gpuE9ELNS1_3repE0EEENS1_38merge_mergepath_config_static_selectorELNS0_4arch9wavefront6targetE1EEEvSM_, .Lfunc_end280-_ZN7rocprim17ROCPRIM_400000_NS6detail17trampoline_kernelINS0_14default_configENS1_38merge_sort_block_merge_config_selectorIlNS0_10empty_typeEEEZZNS1_27merge_sort_block_merge_implIS3_PlPS5_mZN2at6native12_GLOBAL__N_124unique_dim_cuda_templateIaEESt5tupleIJNSA_6TensorESF_SF_EERKSF_lbbbEUlllE_EE10hipError_tT0_T1_T2_jT3_P12ihipStream_tbPNSt15iterator_traitsISL_E10value_typeEPNSR_ISM_E10value_typeEPSN_NS1_7vsmem_tEENKUlT_SL_SM_SN_E_clIS8_S8_S9_S9_EESK_S10_SL_SM_SN_EUlS10_E0_NS1_11comp_targetILNS1_3genE5ELNS1_11target_archE942ELNS1_3gpuE9ELNS1_3repE0EEENS1_38merge_mergepath_config_static_selectorELNS0_4arch9wavefront6targetE1EEEvSM_
                                        ; -- End function
	.section	.AMDGPU.csdata,"",@progbits
; Kernel info:
; codeLenInByte = 0
; NumSgprs: 4
; NumVgprs: 0
; NumAgprs: 0
; TotalNumVgprs: 0
; ScratchSize: 0
; MemoryBound: 0
; FloatMode: 240
; IeeeMode: 1
; LDSByteSize: 0 bytes/workgroup (compile time only)
; SGPRBlocks: 0
; VGPRBlocks: 0
; NumSGPRsForWavesPerEU: 4
; NumVGPRsForWavesPerEU: 1
; AccumOffset: 4
; Occupancy: 8
; WaveLimiterHint : 0
; COMPUTE_PGM_RSRC2:SCRATCH_EN: 0
; COMPUTE_PGM_RSRC2:USER_SGPR: 6
; COMPUTE_PGM_RSRC2:TRAP_HANDLER: 0
; COMPUTE_PGM_RSRC2:TGID_X_EN: 1
; COMPUTE_PGM_RSRC2:TGID_Y_EN: 0
; COMPUTE_PGM_RSRC2:TGID_Z_EN: 0
; COMPUTE_PGM_RSRC2:TIDIG_COMP_CNT: 0
; COMPUTE_PGM_RSRC3_GFX90A:ACCUM_OFFSET: 0
; COMPUTE_PGM_RSRC3_GFX90A:TG_SPLIT: 0
	.section	.text._ZN7rocprim17ROCPRIM_400000_NS6detail17trampoline_kernelINS0_14default_configENS1_38merge_sort_block_merge_config_selectorIlNS0_10empty_typeEEEZZNS1_27merge_sort_block_merge_implIS3_PlPS5_mZN2at6native12_GLOBAL__N_124unique_dim_cuda_templateIaEESt5tupleIJNSA_6TensorESF_SF_EERKSF_lbbbEUlllE_EE10hipError_tT0_T1_T2_jT3_P12ihipStream_tbPNSt15iterator_traitsISL_E10value_typeEPNSR_ISM_E10value_typeEPSN_NS1_7vsmem_tEENKUlT_SL_SM_SN_E_clIS8_S8_S9_S9_EESK_S10_SL_SM_SN_EUlS10_E0_NS1_11comp_targetILNS1_3genE4ELNS1_11target_archE910ELNS1_3gpuE8ELNS1_3repE0EEENS1_38merge_mergepath_config_static_selectorELNS0_4arch9wavefront6targetE1EEEvSM_,"axG",@progbits,_ZN7rocprim17ROCPRIM_400000_NS6detail17trampoline_kernelINS0_14default_configENS1_38merge_sort_block_merge_config_selectorIlNS0_10empty_typeEEEZZNS1_27merge_sort_block_merge_implIS3_PlPS5_mZN2at6native12_GLOBAL__N_124unique_dim_cuda_templateIaEESt5tupleIJNSA_6TensorESF_SF_EERKSF_lbbbEUlllE_EE10hipError_tT0_T1_T2_jT3_P12ihipStream_tbPNSt15iterator_traitsISL_E10value_typeEPNSR_ISM_E10value_typeEPSN_NS1_7vsmem_tEENKUlT_SL_SM_SN_E_clIS8_S8_S9_S9_EESK_S10_SL_SM_SN_EUlS10_E0_NS1_11comp_targetILNS1_3genE4ELNS1_11target_archE910ELNS1_3gpuE8ELNS1_3repE0EEENS1_38merge_mergepath_config_static_selectorELNS0_4arch9wavefront6targetE1EEEvSM_,comdat
	.globl	_ZN7rocprim17ROCPRIM_400000_NS6detail17trampoline_kernelINS0_14default_configENS1_38merge_sort_block_merge_config_selectorIlNS0_10empty_typeEEEZZNS1_27merge_sort_block_merge_implIS3_PlPS5_mZN2at6native12_GLOBAL__N_124unique_dim_cuda_templateIaEESt5tupleIJNSA_6TensorESF_SF_EERKSF_lbbbEUlllE_EE10hipError_tT0_T1_T2_jT3_P12ihipStream_tbPNSt15iterator_traitsISL_E10value_typeEPNSR_ISM_E10value_typeEPSN_NS1_7vsmem_tEENKUlT_SL_SM_SN_E_clIS8_S8_S9_S9_EESK_S10_SL_SM_SN_EUlS10_E0_NS1_11comp_targetILNS1_3genE4ELNS1_11target_archE910ELNS1_3gpuE8ELNS1_3repE0EEENS1_38merge_mergepath_config_static_selectorELNS0_4arch9wavefront6targetE1EEEvSM_ ; -- Begin function _ZN7rocprim17ROCPRIM_400000_NS6detail17trampoline_kernelINS0_14default_configENS1_38merge_sort_block_merge_config_selectorIlNS0_10empty_typeEEEZZNS1_27merge_sort_block_merge_implIS3_PlPS5_mZN2at6native12_GLOBAL__N_124unique_dim_cuda_templateIaEESt5tupleIJNSA_6TensorESF_SF_EERKSF_lbbbEUlllE_EE10hipError_tT0_T1_T2_jT3_P12ihipStream_tbPNSt15iterator_traitsISL_E10value_typeEPNSR_ISM_E10value_typeEPSN_NS1_7vsmem_tEENKUlT_SL_SM_SN_E_clIS8_S8_S9_S9_EESK_S10_SL_SM_SN_EUlS10_E0_NS1_11comp_targetILNS1_3genE4ELNS1_11target_archE910ELNS1_3gpuE8ELNS1_3repE0EEENS1_38merge_mergepath_config_static_selectorELNS0_4arch9wavefront6targetE1EEEvSM_
	.p2align	8
	.type	_ZN7rocprim17ROCPRIM_400000_NS6detail17trampoline_kernelINS0_14default_configENS1_38merge_sort_block_merge_config_selectorIlNS0_10empty_typeEEEZZNS1_27merge_sort_block_merge_implIS3_PlPS5_mZN2at6native12_GLOBAL__N_124unique_dim_cuda_templateIaEESt5tupleIJNSA_6TensorESF_SF_EERKSF_lbbbEUlllE_EE10hipError_tT0_T1_T2_jT3_P12ihipStream_tbPNSt15iterator_traitsISL_E10value_typeEPNSR_ISM_E10value_typeEPSN_NS1_7vsmem_tEENKUlT_SL_SM_SN_E_clIS8_S8_S9_S9_EESK_S10_SL_SM_SN_EUlS10_E0_NS1_11comp_targetILNS1_3genE4ELNS1_11target_archE910ELNS1_3gpuE8ELNS1_3repE0EEENS1_38merge_mergepath_config_static_selectorELNS0_4arch9wavefront6targetE1EEEvSM_,@function
_ZN7rocprim17ROCPRIM_400000_NS6detail17trampoline_kernelINS0_14default_configENS1_38merge_sort_block_merge_config_selectorIlNS0_10empty_typeEEEZZNS1_27merge_sort_block_merge_implIS3_PlPS5_mZN2at6native12_GLOBAL__N_124unique_dim_cuda_templateIaEESt5tupleIJNSA_6TensorESF_SF_EERKSF_lbbbEUlllE_EE10hipError_tT0_T1_T2_jT3_P12ihipStream_tbPNSt15iterator_traitsISL_E10value_typeEPNSR_ISM_E10value_typeEPSN_NS1_7vsmem_tEENKUlT_SL_SM_SN_E_clIS8_S8_S9_S9_EESK_S10_SL_SM_SN_EUlS10_E0_NS1_11comp_targetILNS1_3genE4ELNS1_11target_archE910ELNS1_3gpuE8ELNS1_3repE0EEENS1_38merge_mergepath_config_static_selectorELNS0_4arch9wavefront6targetE1EEEvSM_: ; @_ZN7rocprim17ROCPRIM_400000_NS6detail17trampoline_kernelINS0_14default_configENS1_38merge_sort_block_merge_config_selectorIlNS0_10empty_typeEEEZZNS1_27merge_sort_block_merge_implIS3_PlPS5_mZN2at6native12_GLOBAL__N_124unique_dim_cuda_templateIaEESt5tupleIJNSA_6TensorESF_SF_EERKSF_lbbbEUlllE_EE10hipError_tT0_T1_T2_jT3_P12ihipStream_tbPNSt15iterator_traitsISL_E10value_typeEPNSR_ISM_E10value_typeEPSN_NS1_7vsmem_tEENKUlT_SL_SM_SN_E_clIS8_S8_S9_S9_EESK_S10_SL_SM_SN_EUlS10_E0_NS1_11comp_targetILNS1_3genE4ELNS1_11target_archE910ELNS1_3gpuE8ELNS1_3repE0EEENS1_38merge_mergepath_config_static_selectorELNS0_4arch9wavefront6targetE1EEEvSM_
; %bb.0:
	s_load_dwordx2 s[22:23], s[4:5], 0x58
	s_load_dword s0, s[4:5], 0x38
	s_add_u32 s18, s4, 0x58
	s_addc_u32 s19, s5, 0
	s_waitcnt lgkmcnt(0)
	s_mul_i32 s1, s23, s8
	s_add_i32 s1, s1, s7
	s_mul_i32 s1, s1, s22
	s_add_i32 s20, s1, s6
	s_cmp_ge_u32 s20, s0
	s_cbranch_scc1 .LBB281_82
; %bb.1:
	s_load_dwordx2 s[12:13], s[4:5], 0x50
	s_load_dwordx4 s[0:3], s[4:5], 0x8
	s_load_dwordx4 s[8:11], s[4:5], 0x28
	s_mov_b32 s21, 0
	s_lshl_b64 s[14:15], s[20:21], 3
	s_waitcnt lgkmcnt(0)
	s_add_u32 s12, s12, s14
	s_addc_u32 s13, s13, s15
	v_mov_b32_e32 v1, s10
	v_alignbit_b32 v1, s11, v1, 9
	v_readfirstlane_b32 s7, v1
	s_and_b32 s7, s7, -2
	s_sub_i32 s33, 0, s7
	s_and_b32 s26, s20, s33
	s_mov_b32 s27, s21
	s_lshl_b64 s[24:25], s[26:27], 10
	s_lshl_b64 s[16:17], s[20:21], 10
	s_sub_u32 s7, s16, s24
	s_load_dwordx4 s[12:15], s[12:13], 0x0
	s_subb_u32 s23, s17, s25
	s_lshl_b64 s[26:27], s[26:27], 11
	s_add_u32 s26, s26, s10
	s_addc_u32 s27, s27, s11
	s_add_u32 s7, s26, s7
	s_addc_u32 s23, s27, s23
	s_waitcnt lgkmcnt(0)
	s_sub_u32 s28, s7, s14
	s_subb_u32 s15, s23, s15
	s_add_u32 s28, s28, 0x400
	s_addc_u32 s29, s15, 0
	v_pk_mov_b32 v[2:3], s[28:29], s[28:29] op_sel:[0,1]
	v_cmp_lt_u64_e32 vcc, s[8:9], v[2:3]
	s_and_b64 s[30:31], vcc, exec
	s_cselect_b32 s15, s8, s28
	s_or_b32 s28, s20, s33
	s_cmp_lg_u32 s28, -1
	s_cbranch_scc1 .LBB281_3
; %bb.2:
	s_sub_u32 s24, s26, s24
	s_subb_u32 s25, s27, s25
	v_pk_mov_b32 v[2:3], s[24:25], s[24:25] op_sel:[0,1]
	v_cmp_lt_u64_e32 vcc, s[8:9], v[2:3]
	s_and_b64 s[14:15], vcc, exec
	s_cselect_b32 s14, s8, s24
	s_add_u32 s10, s24, s10
	s_addc_u32 s11, s25, s11
	v_pk_mov_b32 v[2:3], s[10:11], s[10:11] op_sel:[0,1]
	v_cmp_lt_u64_e32 vcc, s[8:9], v[2:3]
	s_and_b64 s[24:25], vcc, exec
	s_cselect_b32 s15, s8, s10
.LBB281_3:
	s_lshr_b64 s[24:25], s[8:9], 10
	s_cmp_lg_u64 s[24:25], s[20:21]
	s_cselect_b64 s[10:11], -1, 0
	s_sub_u32 s26, s7, s12
	s_subb_u32 s27, s23, s13
	v_pk_mov_b32 v[2:3], s[26:27], s[26:27] op_sel:[0,1]
	v_cmp_lt_u64_e32 vcc, s[8:9], v[2:3]
	s_and_b64 s[28:29], vcc, exec
	s_cselect_b32 s26, s8, s26
	s_cselect_b32 s27, s9, s27
	s_sub_i32 s9, s14, s12
	s_sub_i32 s14, s15, s26
	s_lshl_b64 s[12:13], s[12:13], 3
	s_add_u32 s15, s0, s12
	s_addc_u32 s23, s1, s13
	s_lshl_b64 s[12:13], s[26:27], 3
	s_add_u32 s12, s0, s12
	s_addc_u32 s13, s1, s13
	s_cmp_lt_u32 s6, s22
	v_mov_b32_e32 v9, 0
	s_cselect_b32 s0, 12, 18
	global_load_dword v1, v9, s[18:19] offset:14
	s_add_u32 s0, s18, s0
	s_addc_u32 s1, s19, 0
	global_load_ushort v2, v9, s[0:1]
	s_cmp_eq_u64 s[24:25], s[20:21]
	s_waitcnt vmcnt(1)
	v_lshrrev_b32_e32 v3, 16, v1
	v_and_b32_e32 v1, 0xffff, v1
	v_mul_lo_u32 v1, v1, v3
	s_waitcnt vmcnt(0)
	v_mul_lo_u32 v12, v1, v2
	v_lshlrev_b32_e32 v1, 3, v0
	s_cbranch_scc1 .LBB281_5
; %bb.4:
	v_mov_b32_e32 v2, s23
	v_add_co_u32_e32 v4, vcc, s15, v1
	v_subrev_u32_e32 v8, s9, v0
	v_addc_co_u32_e32 v5, vcc, 0, v2, vcc
	v_lshlrev_b64 v[2:3], 3, v[8:9]
	v_mov_b32_e32 v6, s13
	v_add_co_u32_e32 v2, vcc, s12, v2
	v_addc_co_u32_e32 v3, vcc, v6, v3, vcc
	v_cmp_gt_u32_e32 vcc, s9, v0
	v_add_u32_e32 v8, v12, v0
	v_cndmask_b32_e32 v3, v3, v5, vcc
	v_cndmask_b32_e32 v2, v2, v4, vcc
	v_lshlrev_b64 v[4:5], 3, v[8:9]
	v_mov_b32_e32 v6, s23
	v_add_co_u32_e32 v7, vcc, s15, v4
	v_addc_co_u32_e32 v6, vcc, v6, v5, vcc
	v_subrev_u32_e32 v4, s9, v8
	v_mov_b32_e32 v5, v9
	v_lshlrev_b64 v[4:5], 3, v[4:5]
	v_mov_b32_e32 v10, s13
	v_add_co_u32_e32 v4, vcc, s12, v4
	v_addc_co_u32_e32 v5, vcc, v10, v5, vcc
	v_cmp_gt_u32_e32 vcc, s9, v8
	v_add_u32_e32 v8, v8, v12
	v_cndmask_b32_e32 v5, v5, v6, vcc
	v_cndmask_b32_e32 v4, v4, v7, vcc
	v_lshlrev_b64 v[6:7], 3, v[8:9]
	v_mov_b32_e32 v10, s23
	v_add_co_u32_e32 v11, vcc, s15, v6
	v_addc_co_u32_e32 v10, vcc, v10, v7, vcc
	v_subrev_u32_e32 v6, s9, v8
	v_mov_b32_e32 v7, v9
	v_lshlrev_b64 v[6:7], 3, v[6:7]
	v_mov_b32_e32 v13, s13
	v_add_co_u32_e32 v6, vcc, s12, v6
	v_addc_co_u32_e32 v7, vcc, v13, v7, vcc
	v_cmp_gt_u32_e32 vcc, s9, v8
	v_add_u32_e32 v8, v8, v12
	v_cndmask_b32_e32 v7, v7, v10, vcc
	v_cndmask_b32_e32 v6, v6, v11, vcc
	v_lshlrev_b64 v[10:11], 3, v[8:9]
	v_mov_b32_e32 v13, s23
	v_add_co_u32_e32 v10, vcc, s15, v10
	v_addc_co_u32_e32 v11, vcc, v13, v11, vcc
	v_cmp_gt_u32_e32 vcc, s9, v8
	v_subrev_u32_e32 v8, s9, v8
	v_lshlrev_b64 v[8:9], 3, v[8:9]
	v_mov_b32_e32 v13, s13
	v_add_co_u32_e64 v8, s[0:1], s12, v8
	v_addc_co_u32_e64 v9, s[0:1], v13, v9, s[0:1]
	v_cndmask_b32_e32 v9, v9, v11, vcc
	v_cndmask_b32_e32 v8, v8, v10, vcc
	global_load_dwordx2 v[2:3], v[2:3], off
	s_add_i32 s33, s9, s14
	global_load_dwordx2 v[4:5], v[4:5], off
	s_nop 0
	global_load_dwordx2 v[6:7], v[6:7], off
	s_nop 0
	global_load_dwordx2 v[8:9], v[8:9], off
	s_cbranch_execz .LBB281_6
	s_branch .LBB281_15
.LBB281_5:
                                        ; implicit-def: $vgpr2_vgpr3_vgpr4_vgpr5_vgpr6_vgpr7_vgpr8_vgpr9
                                        ; implicit-def: $sgpr33
.LBB281_6:
	s_add_i32 s33, s9, s14
	v_cmp_gt_u32_e32 vcc, s33, v0
                                        ; implicit-def: $vgpr2_vgpr3_vgpr4_vgpr5_vgpr6_vgpr7_vgpr8_vgpr9
	s_and_saveexec_b64 s[0:1], vcc
	s_cbranch_execz .LBB281_8
; %bb.7:
	s_waitcnt vmcnt(3)
	v_mov_b32_e32 v2, s23
	s_waitcnt vmcnt(2)
	v_add_co_u32_e32 v4, vcc, s15, v1
	v_mov_b32_e32 v3, 0
	v_addc_co_u32_e32 v5, vcc, 0, v2, vcc
	v_subrev_u32_e32 v2, s9, v0
	v_lshlrev_b64 v[2:3], 3, v[2:3]
	s_waitcnt vmcnt(1)
	v_mov_b32_e32 v6, s13
	v_add_co_u32_e32 v2, vcc, s12, v2
	v_addc_co_u32_e32 v3, vcc, v6, v3, vcc
	v_cmp_gt_u32_e32 vcc, s9, v0
	v_cndmask_b32_e32 v3, v3, v5, vcc
	v_cndmask_b32_e32 v2, v2, v4, vcc
	global_load_dwordx2 v[2:3], v[2:3], off
.LBB281_8:
	s_or_b64 exec, exec, s[0:1]
	v_add_u32_e32 v10, v12, v0
	v_cmp_gt_u32_e32 vcc, s33, v10
	s_and_saveexec_b64 s[0:1], vcc
	s_cbranch_execz .LBB281_10
; %bb.9:
	v_mov_b32_e32 v11, 0
	s_waitcnt vmcnt(2)
	v_lshlrev_b64 v[4:5], 3, v[10:11]
	v_mov_b32_e32 v13, s23
	v_add_co_u32_e32 v14, vcc, s15, v4
	v_addc_co_u32_e32 v13, vcc, v13, v5, vcc
	v_subrev_u32_e32 v4, s9, v10
	v_mov_b32_e32 v5, v11
	v_lshlrev_b64 v[4:5], 3, v[4:5]
	v_mov_b32_e32 v11, s13
	v_add_co_u32_e32 v4, vcc, s12, v4
	v_addc_co_u32_e32 v5, vcc, v11, v5, vcc
	v_cmp_gt_u32_e32 vcc, s9, v10
	v_cndmask_b32_e32 v5, v5, v13, vcc
	v_cndmask_b32_e32 v4, v4, v14, vcc
	global_load_dwordx2 v[4:5], v[4:5], off
.LBB281_10:
	s_or_b64 exec, exec, s[0:1]
	v_add_u32_e32 v10, v10, v12
	v_cmp_gt_u32_e32 vcc, s33, v10
	s_and_saveexec_b64 s[0:1], vcc
	s_cbranch_execz .LBB281_12
; %bb.11:
	v_mov_b32_e32 v11, 0
	s_waitcnt vmcnt(1)
	v_lshlrev_b64 v[6:7], 3, v[10:11]
	v_mov_b32_e32 v13, s23
	v_add_co_u32_e32 v14, vcc, s15, v6
	v_addc_co_u32_e32 v13, vcc, v13, v7, vcc
	v_subrev_u32_e32 v6, s9, v10
	v_mov_b32_e32 v7, v11
	v_lshlrev_b64 v[6:7], 3, v[6:7]
	v_mov_b32_e32 v11, s13
	v_add_co_u32_e32 v6, vcc, s12, v6
	v_addc_co_u32_e32 v7, vcc, v11, v7, vcc
	v_cmp_gt_u32_e32 vcc, s9, v10
	v_cndmask_b32_e32 v7, v7, v13, vcc
	v_cndmask_b32_e32 v6, v6, v14, vcc
	global_load_dwordx2 v[6:7], v[6:7], off
.LBB281_12:
	s_or_b64 exec, exec, s[0:1]
	v_add_u32_e32 v10, v10, v12
	v_cmp_gt_u32_e32 vcc, s33, v10
	s_and_saveexec_b64 s[6:7], vcc
	s_cbranch_execz .LBB281_14
; %bb.13:
	v_mov_b32_e32 v11, 0
	s_waitcnt vmcnt(0)
	v_lshlrev_b64 v[8:9], 3, v[10:11]
	v_mov_b32_e32 v12, s23
	v_add_co_u32_e32 v13, vcc, s15, v8
	v_addc_co_u32_e32 v12, vcc, v12, v9, vcc
	v_cmp_gt_u32_e32 vcc, s9, v10
	v_subrev_u32_e32 v10, s9, v10
	v_lshlrev_b64 v[8:9], 3, v[10:11]
	v_mov_b32_e32 v10, s13
	v_add_co_u32_e64 v8, s[0:1], s12, v8
	v_addc_co_u32_e64 v9, s[0:1], v10, v9, s[0:1]
	v_cndmask_b32_e32 v9, v9, v12, vcc
	v_cndmask_b32_e32 v8, v8, v13, vcc
	global_load_dwordx2 v[8:9], v[8:9], off
.LBB281_14:
	s_or_b64 exec, exec, s[6:7]
.LBB281_15:
	s_load_dwordx4 s[4:7], s[4:5], 0x40
	v_lshlrev_b32_e32 v16, 2, v0
	v_min_u32_e32 v15, s33, v16
	v_sub_u32_e64 v14, v15, s14 clamp
	v_min_u32_e32 v17, s9, v15
	v_cmp_lt_u32_e32 vcc, v14, v17
	s_waitcnt vmcnt(0)
	ds_write2st64_b64 v1, v[2:3], v[4:5] offset1:4
	ds_write2st64_b64 v1, v[6:7], v[8:9] offset0:8 offset1:12
	s_waitcnt lgkmcnt(0)
	s_barrier
	s_and_saveexec_b64 s[12:13], vcc
	s_cbranch_execz .LBB281_25
; %bb.16:
	v_lshlrev_b32_e32 v10, 3, v15
	v_cmp_gt_i64_e64 s[0:1], s[4:5], 0
	v_lshl_add_u32 v18, s9, 3, v10
	v_cndmask_b32_e64 v10, 0, 1, s[0:1]
	s_mov_b64 s[14:15], 0
	v_cmp_ne_u32_e64 s[0:1], 1, v10
	s_branch .LBB281_19
.LBB281_17:                             ;   in Loop: Header=BB281_19 Depth=1
	s_or_b64 exec, exec, s[20:21]
.LBB281_18:                             ;   in Loop: Header=BB281_19 Depth=1
	v_add_u32_e32 v10, 1, v19
	v_cndmask_b32_e64 v17, v17, v19, s[18:19]
	v_cndmask_b32_e64 v14, v10, v14, s[18:19]
	v_cmp_ge_u32_e32 vcc, v14, v17
	s_or_b64 s[14:15], vcc, s[14:15]
	s_andn2_b64 exec, exec, s[14:15]
	s_cbranch_execz .LBB281_24
.LBB281_19:                             ; =>This Loop Header: Depth=1
                                        ;     Child Loop BB281_22 Depth 2
	v_add_u32_e32 v10, v17, v14
	v_lshrrev_b32_e32 v19, 1, v10
	s_and_b64 vcc, exec, s[0:1]
	s_mov_b64 s[18:19], 0
	s_cbranch_vccnz .LBB281_18
; %bb.20:                               ;   in Loop: Header=BB281_19 Depth=1
	v_not_b32_e32 v10, v19
	v_lshl_add_u32 v10, v10, 3, v18
	ds_read_b64 v[10:11], v10
	v_lshlrev_b32_e32 v20, 3, v19
	ds_read_b64 v[20:21], v20
	v_pk_mov_b32 v[12:13], s[6:7], s[6:7] op_sel:[0,1]
	s_mov_b64 s[20:21], 0
	s_waitcnt lgkmcnt(1)
	v_mul_lo_u32 v22, v10, s5
	v_mul_lo_u32 v23, v11, s4
	v_mad_u64_u32 v[10:11], s[18:19], v10, s4, v[12:13]
	v_add3_u32 v11, v23, v11, v22
	s_waitcnt lgkmcnt(0)
	v_mul_lo_u32 v22, v20, s5
	v_mul_lo_u32 v21, v21, s4
	v_mad_u64_u32 v[12:13], s[18:19], v20, s4, v[12:13]
	v_add3_u32 v13, v21, v13, v22
	s_mov_b64 s[26:27], s[4:5]
                                        ; implicit-def: $sgpr18_sgpr19
                                        ; implicit-def: $sgpr22_sgpr23
                                        ; implicit-def: $sgpr24_sgpr25
                                        ; implicit-def: $sgpr28_sgpr29
                                        ; implicit-def: $sgpr30_sgpr31
	s_branch .LBB281_22
.LBB281_21:                             ;   in Loop: Header=BB281_22 Depth=2
	s_or_b64 exec, exec, s[34:35]
	s_and_b64 s[34:35], exec, s[22:23]
	s_or_b64 s[20:21], s[34:35], s[20:21]
	s_andn2_b64 s[30:31], s[30:31], exec
	s_and_b64 s[34:35], s[24:25], exec
	s_or_b64 s[30:31], s[30:31], s[34:35]
	s_andn2_b64 s[18:19], s[18:19], exec
	s_and_b64 s[34:35], s[28:29], exec
	s_or_b64 s[18:19], s[18:19], s[34:35]
	s_andn2_b64 exec, exec, s[20:21]
	s_cbranch_execz .LBB281_17
.LBB281_22:                             ;   Parent Loop BB281_19 Depth=1
                                        ; =>  This Inner Loop Header: Depth=2
	global_load_ubyte v20, v[10:11], off
	global_load_ubyte v21, v[12:13], off
	s_andn2_b64 s[28:29], s[28:29], exec
	s_andn2_b64 s[24:25], s[24:25], exec
	s_or_b64 s[22:23], s[22:23], exec
	s_waitcnt vmcnt(0)
	v_cmp_le_i16_sdwa s[36:37], sext(v20), sext(v21) src0_sel:BYTE_0 src1_sel:BYTE_0
	v_cmp_lt_i16_sdwa s[34:35], sext(v20), sext(v21) src0_sel:BYTE_0 src1_sel:BYTE_0
	s_and_b64 s[36:37], s[36:37], s[30:31]
	s_or_b64 s[36:37], s[34:35], s[36:37]
	s_and_b64 s[34:35], s[36:37], exec
	v_cmp_eq_u16_sdwa s[38:39], v20, v21 src0_sel:BYTE_0 src1_sel:BYTE_0
	s_or_b64 s[28:29], s[28:29], s[34:35]
	s_and_saveexec_b64 s[34:35], s[38:39]
	s_cbranch_execz .LBB281_21
; %bb.23:                               ;   in Loop: Header=BB281_22 Depth=2
	s_add_u32 s26, s26, -1
	s_addc_u32 s27, s27, -1
	v_add_co_u32_e32 v10, vcc, 1, v10
	s_cmp_eq_u64 s[26:27], 0
	v_addc_co_u32_e32 v11, vcc, 0, v11, vcc
	s_cselect_b64 s[30:31], -1, 0
	v_add_co_u32_e32 v12, vcc, 1, v12
	s_andn2_b64 s[24:25], s[24:25], exec
	s_and_b64 s[36:37], s[36:37], exec
	s_andn2_b64 s[22:23], s[22:23], exec
	s_and_b64 s[30:31], s[30:31], exec
	v_addc_co_u32_e32 v13, vcc, 0, v13, vcc
	s_andn2_b64 s[28:29], s[28:29], exec
	s_or_b64 s[24:25], s[24:25], s[36:37]
	s_or_b64 s[22:23], s[22:23], s[30:31]
                                        ; implicit-def: $sgpr30_sgpr31
	s_branch .LBB281_21
.LBB281_24:
	s_or_b64 exec, exec, s[14:15]
.LBB281_25:
	s_or_b64 exec, exec, s[12:13]
	v_sub_u32_e32 v10, v15, v14
	v_add_u32_e32 v15, s9, v10
	v_cmp_ge_u32_e32 vcc, s9, v14
	v_cmp_ge_u32_e64 s[0:1], s33, v15
	s_or_b64 s[0:1], vcc, s[0:1]
	s_and_saveexec_b64 s[12:13], s[0:1]
	s_cbranch_execz .LBB281_72
; %bb.26:
	v_cmp_le_u32_e32 vcc, s9, v14
	v_cmp_gt_u32_e64 s[0:1], s9, v14
                                        ; implicit-def: $vgpr2_vgpr3
	s_and_saveexec_b64 s[14:15], s[0:1]
	s_cbranch_execz .LBB281_28
; %bb.27:
	v_lshlrev_b32_e32 v2, 3, v14
	ds_read_b64 v[2:3], v2
.LBB281_28:
	s_or_b64 exec, exec, s[14:15]
	v_cmp_le_u32_e64 s[14:15], s33, v15
	v_cmp_gt_u32_e64 s[0:1], s33, v15
                                        ; implicit-def: $vgpr6_vgpr7
	s_and_saveexec_b64 s[18:19], s[0:1]
	s_cbranch_execz .LBB281_30
; %bb.29:
	v_lshlrev_b32_e32 v4, 3, v15
	ds_read_b64 v[6:7], v4
.LBB281_30:
	s_or_b64 exec, exec, s[18:19]
	s_or_b64 s[20:21], vcc, s[14:15]
	v_cmp_gt_i64_e64 s[0:1], s[4:5], 0
	s_mov_b64 s[18:19], -1
	s_xor_b64 s[22:23], s[20:21], -1
	s_and_saveexec_b64 s[20:21], s[22:23]
	s_cbranch_execz .LBB281_39
; %bb.31:
	s_andn2_b64 vcc, exec, s[0:1]
	s_cbranch_vccnz .LBB281_37
; %bb.32:
	v_pk_mov_b32 v[8:9], s[6:7], s[6:7] op_sel:[0,1]
	s_waitcnt lgkmcnt(0)
	v_mad_u64_u32 v[4:5], s[22:23], v6, s4, v[8:9]
	v_mul_lo_u32 v10, v6, s5
	v_mul_lo_u32 v11, v7, s4
	v_add3_u32 v5, v11, v5, v10
	v_mad_u64_u32 v[8:9], s[22:23], v2, s4, v[8:9]
	v_mul_lo_u32 v10, v2, s5
	v_mul_lo_u32 v11, v3, s4
	v_add3_u32 v9, v11, v9, v10
	s_mov_b64 s[22:23], 0
	s_mov_b64 s[30:31], s[4:5]
                                        ; implicit-def: $sgpr24_sgpr25
                                        ; implicit-def: $sgpr26_sgpr27
                                        ; implicit-def: $sgpr34_sgpr35
                                        ; implicit-def: $sgpr28_sgpr29
                                        ; implicit-def: $sgpr36_sgpr37
	s_branch .LBB281_34
.LBB281_33:                             ;   in Loop: Header=BB281_34 Depth=1
	s_or_b64 exec, exec, s[38:39]
	s_and_b64 s[38:39], exec, s[26:27]
	s_or_b64 s[22:23], s[38:39], s[22:23]
	s_andn2_b64 s[36:37], s[36:37], exec
	s_and_b64 s[38:39], s[28:29], exec
	s_or_b64 s[36:37], s[36:37], s[38:39]
	s_andn2_b64 s[24:25], s[24:25], exec
	s_and_b64 s[38:39], s[34:35], exec
	s_or_b64 s[24:25], s[24:25], s[38:39]
	s_andn2_b64 exec, exec, s[22:23]
	s_cbranch_execz .LBB281_36
.LBB281_34:                             ; =>This Inner Loop Header: Depth=1
	global_load_ubyte v10, v[4:5], off
	global_load_ubyte v11, v[8:9], off
	s_andn2_b64 s[34:35], s[34:35], exec
	s_andn2_b64 s[28:29], s[28:29], exec
	s_or_b64 s[26:27], s[26:27], exec
	s_waitcnt vmcnt(0)
	v_cmp_le_i16_sdwa s[40:41], sext(v10), sext(v11) src0_sel:BYTE_0 src1_sel:BYTE_0
	v_cmp_lt_i16_sdwa s[38:39], sext(v10), sext(v11) src0_sel:BYTE_0 src1_sel:BYTE_0
	s_and_b64 s[40:41], s[40:41], s[36:37]
	s_or_b64 s[40:41], s[38:39], s[40:41]
	s_and_b64 s[38:39], s[40:41], exec
	v_cmp_eq_u16_sdwa s[42:43], v10, v11 src0_sel:BYTE_0 src1_sel:BYTE_0
	s_or_b64 s[34:35], s[34:35], s[38:39]
	s_and_saveexec_b64 s[38:39], s[42:43]
	s_cbranch_execz .LBB281_33
; %bb.35:                               ;   in Loop: Header=BB281_34 Depth=1
	s_add_u32 s30, s30, -1
	s_addc_u32 s31, s31, -1
	v_add_co_u32_e32 v4, vcc, 1, v4
	s_cmp_eq_u64 s[30:31], 0
	v_addc_co_u32_e32 v5, vcc, 0, v5, vcc
	s_cselect_b64 s[36:37], -1, 0
	v_add_co_u32_e32 v8, vcc, 1, v8
	s_andn2_b64 s[28:29], s[28:29], exec
	s_and_b64 s[40:41], s[40:41], exec
	s_andn2_b64 s[26:27], s[26:27], exec
	s_and_b64 s[36:37], s[36:37], exec
	v_addc_co_u32_e32 v9, vcc, 0, v9, vcc
	s_or_b64 s[28:29], s[28:29], s[40:41]
	s_andn2_b64 s[34:35], s[34:35], exec
	s_or_b64 s[26:27], s[26:27], s[36:37]
                                        ; implicit-def: $sgpr36_sgpr37
	s_branch .LBB281_33
.LBB281_36:
	s_or_b64 exec, exec, s[22:23]
	s_xor_b64 s[22:23], s[24:25], -1
	s_branch .LBB281_38
.LBB281_37:
	s_mov_b64 s[22:23], -1
.LBB281_38:
	s_andn2_b64 s[14:15], s[14:15], exec
	s_and_b64 s[22:23], s[22:23], exec
	s_or_b64 s[14:15], s[14:15], s[22:23]
.LBB281_39:
	s_or_b64 exec, exec, s[20:21]
	v_mov_b32_e32 v5, s33
	v_mov_b32_e32 v8, s9
	v_cndmask_b32_e64 v4, v15, v14, s[14:15]
	v_cndmask_b32_e64 v5, v5, v8, s[14:15]
	v_add_u32_e32 v8, 1, v4
	v_add_u32_e32 v4, -1, v5
	v_min_u32_e32 v4, v8, v4
	v_lshlrev_b32_e32 v4, 3, v4
	ds_read_b64 v[4:5], v4
	v_cndmask_b32_e64 v17, v8, v15, s[14:15]
	v_cndmask_b32_e64 v21, v14, v8, s[14:15]
	v_cmp_gt_u32_e32 vcc, s33, v17
	s_waitcnt lgkmcnt(0)
	v_cndmask_b32_e64 v10, v5, v7, s[14:15]
	v_cndmask_b32_e64 v11, v4, v6, s[14:15]
	;; [unrolled: 1-line block ×4, first 2 shown]
	s_and_saveexec_b64 s[20:21], vcc
	s_cbranch_execz .LBB281_50
; %bb.40:
	v_cmp_gt_u32_e32 vcc, s9, v21
	s_mov_b64 s[22:23], 0
	s_and_saveexec_b64 s[18:19], vcc
	s_cbranch_execz .LBB281_49
; %bb.41:
	s_andn2_b64 vcc, exec, s[0:1]
	s_cbranch_vccnz .LBB281_47
; %bb.42:
	v_pk_mov_b32 v[8:9], s[6:7], s[6:7] op_sel:[0,1]
	v_mad_u64_u32 v[4:5], s[22:23], v11, s4, v[8:9]
	v_mul_lo_u32 v14, v11, s5
	v_mul_lo_u32 v15, v10, s4
	v_add3_u32 v5, v15, v5, v14
	v_mad_u64_u32 v[8:9], s[22:23], v13, s4, v[8:9]
	v_mul_lo_u32 v14, v13, s5
	v_mul_lo_u32 v15, v12, s4
	v_add3_u32 v9, v15, v9, v14
	s_mov_b64 s[22:23], 0
	s_mov_b64 s[30:31], s[4:5]
                                        ; implicit-def: $sgpr24_sgpr25
                                        ; implicit-def: $sgpr26_sgpr27
                                        ; implicit-def: $sgpr34_sgpr35
                                        ; implicit-def: $sgpr28_sgpr29
                                        ; implicit-def: $sgpr36_sgpr37
	s_branch .LBB281_44
.LBB281_43:                             ;   in Loop: Header=BB281_44 Depth=1
	s_or_b64 exec, exec, s[38:39]
	s_and_b64 s[38:39], exec, s[26:27]
	s_or_b64 s[22:23], s[38:39], s[22:23]
	s_andn2_b64 s[36:37], s[36:37], exec
	s_and_b64 s[38:39], s[28:29], exec
	s_or_b64 s[36:37], s[36:37], s[38:39]
	s_andn2_b64 s[24:25], s[24:25], exec
	s_and_b64 s[38:39], s[34:35], exec
	s_or_b64 s[24:25], s[24:25], s[38:39]
	s_andn2_b64 exec, exec, s[22:23]
	s_cbranch_execz .LBB281_46
.LBB281_44:                             ; =>This Inner Loop Header: Depth=1
	global_load_ubyte v14, v[4:5], off
	global_load_ubyte v15, v[8:9], off
	s_andn2_b64 s[34:35], s[34:35], exec
	s_andn2_b64 s[28:29], s[28:29], exec
	s_or_b64 s[26:27], s[26:27], exec
	s_waitcnt vmcnt(0)
	v_cmp_le_i16_sdwa s[40:41], sext(v14), sext(v15) src0_sel:BYTE_0 src1_sel:BYTE_0
	v_cmp_lt_i16_sdwa s[38:39], sext(v14), sext(v15) src0_sel:BYTE_0 src1_sel:BYTE_0
	s_and_b64 s[40:41], s[40:41], s[36:37]
	s_or_b64 s[40:41], s[38:39], s[40:41]
	s_and_b64 s[38:39], s[40:41], exec
	v_cmp_eq_u16_sdwa s[42:43], v14, v15 src0_sel:BYTE_0 src1_sel:BYTE_0
	s_or_b64 s[34:35], s[34:35], s[38:39]
	s_and_saveexec_b64 s[38:39], s[42:43]
	s_cbranch_execz .LBB281_43
; %bb.45:                               ;   in Loop: Header=BB281_44 Depth=1
	s_add_u32 s30, s30, -1
	s_addc_u32 s31, s31, -1
	v_add_co_u32_e32 v4, vcc, 1, v4
	s_cmp_eq_u64 s[30:31], 0
	v_addc_co_u32_e32 v5, vcc, 0, v5, vcc
	s_cselect_b64 s[36:37], -1, 0
	v_add_co_u32_e32 v8, vcc, 1, v8
	s_andn2_b64 s[28:29], s[28:29], exec
	s_and_b64 s[40:41], s[40:41], exec
	s_andn2_b64 s[26:27], s[26:27], exec
	s_and_b64 s[36:37], s[36:37], exec
	v_addc_co_u32_e32 v9, vcc, 0, v9, vcc
	s_or_b64 s[28:29], s[28:29], s[40:41]
	s_andn2_b64 s[34:35], s[34:35], exec
	s_or_b64 s[26:27], s[26:27], s[36:37]
                                        ; implicit-def: $sgpr36_sgpr37
	s_branch .LBB281_43
.LBB281_46:
	s_or_b64 exec, exec, s[22:23]
	s_xor_b64 s[22:23], s[24:25], -1
	s_branch .LBB281_48
.LBB281_47:
	s_mov_b64 s[22:23], -1
.LBB281_48:
	s_and_b64 s[22:23], s[22:23], exec
.LBB281_49:
	s_or_b64 exec, exec, s[18:19]
	s_orn2_b64 s[18:19], s[22:23], exec
.LBB281_50:
	s_or_b64 exec, exec, s[20:21]
	v_mov_b32_e32 v5, s33
	v_mov_b32_e32 v8, s9
	v_cndmask_b32_e64 v4, v17, v21, s[18:19]
	v_cndmask_b32_e64 v5, v5, v8, s[18:19]
	v_add_u32_e32 v8, 1, v4
	v_add_u32_e32 v4, -1, v5
	v_min_u32_e32 v4, v8, v4
	v_lshlrev_b32_e32 v4, 3, v4
	ds_read_b64 v[4:5], v4
	v_cndmask_b32_e64 v18, v8, v17, s[18:19]
	v_cndmask_b32_e64 v17, v21, v8, s[18:19]
	v_cmp_gt_u32_e32 vcc, s33, v18
	s_mov_b64 s[22:23], -1
	s_waitcnt lgkmcnt(0)
	v_cndmask_b32_e64 v14, v5, v10, s[18:19]
	v_cndmask_b32_e64 v15, v4, v11, s[18:19]
	;; [unrolled: 1-line block ×4, first 2 shown]
	s_and_saveexec_b64 s[20:21], vcc
	s_cbranch_execz .LBB281_61
; %bb.51:
	v_cmp_gt_u32_e32 vcc, s9, v17
	s_mov_b64 s[24:25], 0
	s_and_saveexec_b64 s[22:23], vcc
	s_cbranch_execz .LBB281_60
; %bb.52:
	s_andn2_b64 vcc, exec, s[0:1]
	s_cbranch_vccnz .LBB281_58
; %bb.53:
	v_pk_mov_b32 v[8:9], s[6:7], s[6:7] op_sel:[0,1]
	v_mad_u64_u32 v[4:5], s[24:25], v15, s4, v[8:9]
	v_mul_lo_u32 v21, v15, s5
	v_mul_lo_u32 v22, v14, s4
	v_add3_u32 v5, v22, v5, v21
	v_mad_u64_u32 v[8:9], s[24:25], v20, s4, v[8:9]
	v_mul_lo_u32 v21, v20, s5
	v_mul_lo_u32 v22, v19, s4
	v_add3_u32 v9, v22, v9, v21
	s_mov_b64 s[24:25], 0
	s_mov_b64 s[34:35], s[4:5]
                                        ; implicit-def: $sgpr26_sgpr27
                                        ; implicit-def: $sgpr28_sgpr29
                                        ; implicit-def: $sgpr36_sgpr37
                                        ; implicit-def: $sgpr30_sgpr31
                                        ; implicit-def: $sgpr38_sgpr39
	s_branch .LBB281_55
.LBB281_54:                             ;   in Loop: Header=BB281_55 Depth=1
	s_or_b64 exec, exec, s[40:41]
	s_and_b64 s[40:41], exec, s[28:29]
	s_or_b64 s[24:25], s[40:41], s[24:25]
	s_andn2_b64 s[38:39], s[38:39], exec
	s_and_b64 s[40:41], s[30:31], exec
	s_or_b64 s[38:39], s[38:39], s[40:41]
	s_andn2_b64 s[26:27], s[26:27], exec
	s_and_b64 s[40:41], s[36:37], exec
	s_or_b64 s[26:27], s[26:27], s[40:41]
	s_andn2_b64 exec, exec, s[24:25]
	s_cbranch_execz .LBB281_57
.LBB281_55:                             ; =>This Inner Loop Header: Depth=1
	global_load_ubyte v21, v[4:5], off
	global_load_ubyte v22, v[8:9], off
	s_andn2_b64 s[36:37], s[36:37], exec
	s_andn2_b64 s[30:31], s[30:31], exec
	s_or_b64 s[28:29], s[28:29], exec
	s_waitcnt vmcnt(0)
	v_cmp_le_i16_sdwa s[42:43], sext(v21), sext(v22) src0_sel:BYTE_0 src1_sel:BYTE_0
	v_cmp_lt_i16_sdwa s[40:41], sext(v21), sext(v22) src0_sel:BYTE_0 src1_sel:BYTE_0
	s_and_b64 s[42:43], s[42:43], s[38:39]
	s_or_b64 s[42:43], s[40:41], s[42:43]
	s_and_b64 s[40:41], s[42:43], exec
	v_cmp_eq_u16_sdwa s[44:45], v21, v22 src0_sel:BYTE_0 src1_sel:BYTE_0
	s_or_b64 s[36:37], s[36:37], s[40:41]
	s_and_saveexec_b64 s[40:41], s[44:45]
	s_cbranch_execz .LBB281_54
; %bb.56:                               ;   in Loop: Header=BB281_55 Depth=1
	s_add_u32 s34, s34, -1
	s_addc_u32 s35, s35, -1
	v_add_co_u32_e32 v4, vcc, 1, v4
	s_cmp_eq_u64 s[34:35], 0
	v_addc_co_u32_e32 v5, vcc, 0, v5, vcc
	s_cselect_b64 s[38:39], -1, 0
	v_add_co_u32_e32 v8, vcc, 1, v8
	s_andn2_b64 s[30:31], s[30:31], exec
	s_and_b64 s[42:43], s[42:43], exec
	s_andn2_b64 s[28:29], s[28:29], exec
	s_and_b64 s[38:39], s[38:39], exec
	v_addc_co_u32_e32 v9, vcc, 0, v9, vcc
	s_or_b64 s[30:31], s[30:31], s[42:43]
	s_andn2_b64 s[36:37], s[36:37], exec
	s_or_b64 s[28:29], s[28:29], s[38:39]
                                        ; implicit-def: $sgpr38_sgpr39
	s_branch .LBB281_54
.LBB281_57:
	s_or_b64 exec, exec, s[24:25]
	s_xor_b64 s[24:25], s[26:27], -1
	s_branch .LBB281_59
.LBB281_58:
	s_mov_b64 s[24:25], -1
.LBB281_59:
	s_and_b64 s[24:25], s[24:25], exec
.LBB281_60:
	s_or_b64 exec, exec, s[22:23]
	s_orn2_b64 s[22:23], s[24:25], exec
.LBB281_61:
	s_or_b64 exec, exec, s[20:21]
	v_cndmask_b32_e64 v5, v10, v12, s[18:19]
	v_mov_b32_e32 v9, s33
	v_mov_b32_e32 v10, s9
	v_cndmask_b32_e64 v8, v18, v17, s[22:23]
	v_cndmask_b32_e64 v9, v9, v10, s[22:23]
	v_add_u32_e32 v12, 1, v8
	v_add_u32_e32 v8, -1, v9
	v_min_u32_e32 v8, v12, v8
	v_lshlrev_b32_e32 v8, 3, v8
	v_cndmask_b32_e64 v4, v11, v13, s[18:19]
	ds_read_b64 v[10:11], v8
	v_cndmask_b32_e64 v13, v12, v18, s[22:23]
	v_cndmask_b32_e64 v3, v7, v3, s[14:15]
	;; [unrolled: 1-line block ×5, first 2 shown]
	s_waitcnt lgkmcnt(0)
	v_cndmask_b32_e64 v9, v19, v11, s[22:23]
	v_cndmask_b32_e64 v8, v20, v10, s[22:23]
	v_cmp_gt_u32_e32 vcc, s33, v13
	s_and_saveexec_b64 s[14:15], vcc
	s_cbranch_execz .LBB281_71
; %bb.62:
	v_cndmask_b32_e64 v12, v17, v12, s[22:23]
	v_cndmask_b32_e64 v11, v11, v14, s[22:23]
	;; [unrolled: 1-line block ×3, first 2 shown]
	v_cmp_gt_u32_e32 vcc, s9, v12
	s_and_saveexec_b64 s[18:19], vcc
	s_cbranch_execz .LBB281_70
; %bb.63:
	s_andn2_b64 vcc, exec, s[0:1]
	s_cbranch_vccnz .LBB281_69
; %bb.64:
	v_pk_mov_b32 v[14:15], s[6:7], s[6:7] op_sel:[0,1]
	v_mad_u64_u32 v[12:13], s[0:1], v10, s4, v[14:15]
	v_mul_lo_u32 v17, v10, s5
	v_mul_lo_u32 v18, v11, s4
	v_add3_u32 v13, v18, v13, v17
	v_mad_u64_u32 v[14:15], s[0:1], v8, s4, v[14:15]
	v_mul_lo_u32 v17, v8, s5
	v_mul_lo_u32 v18, v9, s4
	v_add3_u32 v15, v18, v15, v17
	s_mov_b64 s[0:1], 0
                                        ; implicit-def: $sgpr6_sgpr7
                                        ; implicit-def: $sgpr20_sgpr21
                                        ; implicit-def: $sgpr24_sgpr25
                                        ; implicit-def: $sgpr22_sgpr23
                                        ; implicit-def: $sgpr26_sgpr27
	s_branch .LBB281_66
.LBB281_65:                             ;   in Loop: Header=BB281_66 Depth=1
	s_or_b64 exec, exec, s[28:29]
	s_and_b64 s[28:29], exec, s[20:21]
	s_or_b64 s[0:1], s[28:29], s[0:1]
	s_andn2_b64 s[26:27], s[26:27], exec
	s_and_b64 s[28:29], s[22:23], exec
	s_or_b64 s[26:27], s[26:27], s[28:29]
	s_andn2_b64 s[6:7], s[6:7], exec
	s_and_b64 s[28:29], s[24:25], exec
	s_or_b64 s[6:7], s[6:7], s[28:29]
	s_andn2_b64 exec, exec, s[0:1]
	s_cbranch_execz .LBB281_68
.LBB281_66:                             ; =>This Inner Loop Header: Depth=1
	global_load_ubyte v17, v[12:13], off
	global_load_ubyte v18, v[14:15], off
	s_andn2_b64 s[24:25], s[24:25], exec
	s_andn2_b64 s[22:23], s[22:23], exec
	s_or_b64 s[20:21], s[20:21], exec
	s_waitcnt vmcnt(0)
	v_cmp_le_i16_sdwa s[30:31], sext(v17), sext(v18) src0_sel:BYTE_0 src1_sel:BYTE_0
	v_cmp_lt_i16_sdwa s[28:29], sext(v17), sext(v18) src0_sel:BYTE_0 src1_sel:BYTE_0
	s_and_b64 s[30:31], s[30:31], s[26:27]
	s_or_b64 s[30:31], s[28:29], s[30:31]
	s_and_b64 s[28:29], s[30:31], exec
	v_cmp_eq_u16_sdwa s[34:35], v17, v18 src0_sel:BYTE_0 src1_sel:BYTE_0
	s_or_b64 s[24:25], s[24:25], s[28:29]
	s_and_saveexec_b64 s[28:29], s[34:35]
	s_cbranch_execz .LBB281_65
; %bb.67:                               ;   in Loop: Header=BB281_66 Depth=1
	s_add_u32 s4, s4, -1
	s_addc_u32 s5, s5, -1
	v_add_co_u32_e32 v12, vcc, 1, v12
	s_cmp_eq_u64 s[4:5], 0
	v_addc_co_u32_e32 v13, vcc, 0, v13, vcc
	s_cselect_b64 s[26:27], -1, 0
	v_add_co_u32_e32 v14, vcc, 1, v14
	s_andn2_b64 s[22:23], s[22:23], exec
	s_and_b64 s[30:31], s[30:31], exec
	s_andn2_b64 s[20:21], s[20:21], exec
	s_and_b64 s[26:27], s[26:27], exec
	v_addc_co_u32_e32 v15, vcc, 0, v15, vcc
	s_or_b64 s[22:23], s[22:23], s[30:31]
	s_andn2_b64 s[24:25], s[24:25], exec
	s_or_b64 s[20:21], s[20:21], s[26:27]
                                        ; implicit-def: $sgpr26_sgpr27
	s_branch .LBB281_65
.LBB281_68:
	s_or_b64 exec, exec, s[0:1]
	v_cndmask_b32_e64 v9, v9, v11, s[6:7]
	v_cndmask_b32_e64 v8, v8, v10, s[6:7]
.LBB281_69:
	v_pk_mov_b32 v[10:11], v[8:9], v[8:9] op_sel:[0,1]
.LBB281_70:
	s_or_b64 exec, exec, s[18:19]
	v_pk_mov_b32 v[8:9], v[10:11], v[10:11] op_sel:[0,1]
.LBB281_71:
	s_or_b64 exec, exec, s[14:15]
.LBB281_72:
	s_or_b64 exec, exec, s[12:13]
	v_and_b32_e32 v10, 0xf8, v0
	v_lshl_add_u32 v10, v16, 3, v10
	s_barrier
	s_barrier
	ds_write2_b64 v10, v[2:3], v[4:5] offset1:1
	ds_write2_b64 v10, v[6:7], v[8:9] offset0:2 offset1:3
	v_lshrrev_b32_e32 v2, 2, v0
	v_and_b32_e32 v2, 56, v2
	v_or_b32_e32 v12, 0x100, v0
	v_add_u32_e32 v13, v1, v2
	v_lshrrev_b32_e32 v2, 2, v12
	v_and_b32_e32 v2, 0x78, v2
	v_or_b32_e32 v11, 0x200, v0
	v_add_u32_e32 v6, v1, v2
	v_lshrrev_b32_e32 v2, 2, v11
	s_lshl_b64 s[0:1], s[16:17], 3
	v_and_b32_e32 v2, 0xb8, v2
	v_or_b32_e32 v10, 0x300, v0
	s_add_u32 s0, s2, s0
	v_add_u32_e32 v7, v1, v2
	v_lshrrev_b32_e32 v2, 2, v10
	s_addc_u32 s1, s3, s1
	v_and_b32_e32 v2, 0xf8, v2
	v_add_u32_e32 v14, v1, v2
	v_mov_b32_e32 v3, s1
	v_add_co_u32_e32 v2, vcc, s0, v1
	v_addc_co_u32_e32 v3, vcc, 0, v3, vcc
	s_and_b64 vcc, exec, s[10:11]
	s_waitcnt lgkmcnt(0)
	s_cbranch_vccz .LBB281_74
; %bb.73:
	s_barrier
	ds_read_b64 v[8:9], v13
	ds_read_b64 v[16:17], v6 offset:2048
	ds_read_b64 v[18:19], v7 offset:4096
	;; [unrolled: 1-line block ×3, first 2 shown]
	s_waitcnt lgkmcnt(3)
	global_store_dwordx2 v[2:3], v[8:9], off
	s_waitcnt lgkmcnt(2)
	global_store_dwordx2 v[2:3], v[16:17], off offset:2048
	v_add_co_u32_e32 v8, vcc, 0x1000, v2
	v_addc_co_u32_e32 v9, vcc, 0, v3, vcc
	s_waitcnt lgkmcnt(1)
	global_store_dwordx2 v[8:9], v[18:19], off
	s_mov_b64 s[0:1], -1
	s_cbranch_execz .LBB281_75
	s_branch .LBB281_80
.LBB281_74:
	s_mov_b64 s[0:1], 0
                                        ; implicit-def: $vgpr4_vgpr5
.LBB281_75:
	s_barrier
	s_waitcnt lgkmcnt(0)
	ds_read_b64 v[8:9], v6 offset:2048
	ds_read_b64 v[6:7], v7 offset:4096
	;; [unrolled: 1-line block ×3, first 2 shown]
	s_sub_i32 s2, s8, s16
	v_cmp_gt_u32_e32 vcc, s2, v0
	s_and_saveexec_b64 s[0:1], vcc
	s_cbranch_execnz .LBB281_83
; %bb.76:
	s_or_b64 exec, exec, s[0:1]
	v_cmp_gt_u32_e32 vcc, s2, v12
	s_and_saveexec_b64 s[0:1], vcc
	s_cbranch_execnz .LBB281_84
.LBB281_77:
	s_or_b64 exec, exec, s[0:1]
	v_cmp_gt_u32_e32 vcc, s2, v11
	s_and_saveexec_b64 s[0:1], vcc
	s_cbranch_execz .LBB281_79
.LBB281_78:
	v_add_co_u32_e32 v0, vcc, 0x1000, v2
	v_addc_co_u32_e32 v1, vcc, 0, v3, vcc
	s_waitcnt lgkmcnt(1)
	global_store_dwordx2 v[0:1], v[6:7], off
.LBB281_79:
	s_or_b64 exec, exec, s[0:1]
	v_cmp_gt_u32_e64 s[0:1], s2, v10
.LBB281_80:
	s_and_saveexec_b64 s[2:3], s[0:1]
	s_cbranch_execz .LBB281_82
; %bb.81:
	v_add_co_u32_e32 v0, vcc, 0x1000, v2
	v_addc_co_u32_e32 v1, vcc, 0, v3, vcc
	s_waitcnt lgkmcnt(0)
	global_store_dwordx2 v[0:1], v[4:5], off offset:2048
.LBB281_82:
	s_endpgm
.LBB281_83:
	ds_read_b64 v[0:1], v13
	s_waitcnt lgkmcnt(0)
	global_store_dwordx2 v[2:3], v[0:1], off
	s_or_b64 exec, exec, s[0:1]
	v_cmp_gt_u32_e32 vcc, s2, v12
	s_and_saveexec_b64 s[0:1], vcc
	s_cbranch_execz .LBB281_77
.LBB281_84:
	s_waitcnt lgkmcnt(2)
	global_store_dwordx2 v[2:3], v[8:9], off offset:2048
	s_or_b64 exec, exec, s[0:1]
	v_cmp_gt_u32_e32 vcc, s2, v11
	s_and_saveexec_b64 s[0:1], vcc
	s_cbranch_execnz .LBB281_78
	s_branch .LBB281_79
	.section	.rodata,"a",@progbits
	.p2align	6, 0x0
	.amdhsa_kernel _ZN7rocprim17ROCPRIM_400000_NS6detail17trampoline_kernelINS0_14default_configENS1_38merge_sort_block_merge_config_selectorIlNS0_10empty_typeEEEZZNS1_27merge_sort_block_merge_implIS3_PlPS5_mZN2at6native12_GLOBAL__N_124unique_dim_cuda_templateIaEESt5tupleIJNSA_6TensorESF_SF_EERKSF_lbbbEUlllE_EE10hipError_tT0_T1_T2_jT3_P12ihipStream_tbPNSt15iterator_traitsISL_E10value_typeEPNSR_ISM_E10value_typeEPSN_NS1_7vsmem_tEENKUlT_SL_SM_SN_E_clIS8_S8_S9_S9_EESK_S10_SL_SM_SN_EUlS10_E0_NS1_11comp_targetILNS1_3genE4ELNS1_11target_archE910ELNS1_3gpuE8ELNS1_3repE0EEENS1_38merge_mergepath_config_static_selectorELNS0_4arch9wavefront6targetE1EEEvSM_
		.amdhsa_group_segment_fixed_size 8448
		.amdhsa_private_segment_fixed_size 0
		.amdhsa_kernarg_size 344
		.amdhsa_user_sgpr_count 6
		.amdhsa_user_sgpr_private_segment_buffer 1
		.amdhsa_user_sgpr_dispatch_ptr 0
		.amdhsa_user_sgpr_queue_ptr 0
		.amdhsa_user_sgpr_kernarg_segment_ptr 1
		.amdhsa_user_sgpr_dispatch_id 0
		.amdhsa_user_sgpr_flat_scratch_init 0
		.amdhsa_user_sgpr_kernarg_preload_length 0
		.amdhsa_user_sgpr_kernarg_preload_offset 0
		.amdhsa_user_sgpr_private_segment_size 0
		.amdhsa_uses_dynamic_stack 0
		.amdhsa_system_sgpr_private_segment_wavefront_offset 0
		.amdhsa_system_sgpr_workgroup_id_x 1
		.amdhsa_system_sgpr_workgroup_id_y 1
		.amdhsa_system_sgpr_workgroup_id_z 1
		.amdhsa_system_sgpr_workgroup_info 0
		.amdhsa_system_vgpr_workitem_id 0
		.amdhsa_next_free_vgpr 24
		.amdhsa_next_free_sgpr 46
		.amdhsa_accum_offset 24
		.amdhsa_reserve_vcc 1
		.amdhsa_reserve_flat_scratch 0
		.amdhsa_float_round_mode_32 0
		.amdhsa_float_round_mode_16_64 0
		.amdhsa_float_denorm_mode_32 3
		.amdhsa_float_denorm_mode_16_64 3
		.amdhsa_dx10_clamp 1
		.amdhsa_ieee_mode 1
		.amdhsa_fp16_overflow 0
		.amdhsa_tg_split 0
		.amdhsa_exception_fp_ieee_invalid_op 0
		.amdhsa_exception_fp_denorm_src 0
		.amdhsa_exception_fp_ieee_div_zero 0
		.amdhsa_exception_fp_ieee_overflow 0
		.amdhsa_exception_fp_ieee_underflow 0
		.amdhsa_exception_fp_ieee_inexact 0
		.amdhsa_exception_int_div_zero 0
	.end_amdhsa_kernel
	.section	.text._ZN7rocprim17ROCPRIM_400000_NS6detail17trampoline_kernelINS0_14default_configENS1_38merge_sort_block_merge_config_selectorIlNS0_10empty_typeEEEZZNS1_27merge_sort_block_merge_implIS3_PlPS5_mZN2at6native12_GLOBAL__N_124unique_dim_cuda_templateIaEESt5tupleIJNSA_6TensorESF_SF_EERKSF_lbbbEUlllE_EE10hipError_tT0_T1_T2_jT3_P12ihipStream_tbPNSt15iterator_traitsISL_E10value_typeEPNSR_ISM_E10value_typeEPSN_NS1_7vsmem_tEENKUlT_SL_SM_SN_E_clIS8_S8_S9_S9_EESK_S10_SL_SM_SN_EUlS10_E0_NS1_11comp_targetILNS1_3genE4ELNS1_11target_archE910ELNS1_3gpuE8ELNS1_3repE0EEENS1_38merge_mergepath_config_static_selectorELNS0_4arch9wavefront6targetE1EEEvSM_,"axG",@progbits,_ZN7rocprim17ROCPRIM_400000_NS6detail17trampoline_kernelINS0_14default_configENS1_38merge_sort_block_merge_config_selectorIlNS0_10empty_typeEEEZZNS1_27merge_sort_block_merge_implIS3_PlPS5_mZN2at6native12_GLOBAL__N_124unique_dim_cuda_templateIaEESt5tupleIJNSA_6TensorESF_SF_EERKSF_lbbbEUlllE_EE10hipError_tT0_T1_T2_jT3_P12ihipStream_tbPNSt15iterator_traitsISL_E10value_typeEPNSR_ISM_E10value_typeEPSN_NS1_7vsmem_tEENKUlT_SL_SM_SN_E_clIS8_S8_S9_S9_EESK_S10_SL_SM_SN_EUlS10_E0_NS1_11comp_targetILNS1_3genE4ELNS1_11target_archE910ELNS1_3gpuE8ELNS1_3repE0EEENS1_38merge_mergepath_config_static_selectorELNS0_4arch9wavefront6targetE1EEEvSM_,comdat
.Lfunc_end281:
	.size	_ZN7rocprim17ROCPRIM_400000_NS6detail17trampoline_kernelINS0_14default_configENS1_38merge_sort_block_merge_config_selectorIlNS0_10empty_typeEEEZZNS1_27merge_sort_block_merge_implIS3_PlPS5_mZN2at6native12_GLOBAL__N_124unique_dim_cuda_templateIaEESt5tupleIJNSA_6TensorESF_SF_EERKSF_lbbbEUlllE_EE10hipError_tT0_T1_T2_jT3_P12ihipStream_tbPNSt15iterator_traitsISL_E10value_typeEPNSR_ISM_E10value_typeEPSN_NS1_7vsmem_tEENKUlT_SL_SM_SN_E_clIS8_S8_S9_S9_EESK_S10_SL_SM_SN_EUlS10_E0_NS1_11comp_targetILNS1_3genE4ELNS1_11target_archE910ELNS1_3gpuE8ELNS1_3repE0EEENS1_38merge_mergepath_config_static_selectorELNS0_4arch9wavefront6targetE1EEEvSM_, .Lfunc_end281-_ZN7rocprim17ROCPRIM_400000_NS6detail17trampoline_kernelINS0_14default_configENS1_38merge_sort_block_merge_config_selectorIlNS0_10empty_typeEEEZZNS1_27merge_sort_block_merge_implIS3_PlPS5_mZN2at6native12_GLOBAL__N_124unique_dim_cuda_templateIaEESt5tupleIJNSA_6TensorESF_SF_EERKSF_lbbbEUlllE_EE10hipError_tT0_T1_T2_jT3_P12ihipStream_tbPNSt15iterator_traitsISL_E10value_typeEPNSR_ISM_E10value_typeEPSN_NS1_7vsmem_tEENKUlT_SL_SM_SN_E_clIS8_S8_S9_S9_EESK_S10_SL_SM_SN_EUlS10_E0_NS1_11comp_targetILNS1_3genE4ELNS1_11target_archE910ELNS1_3gpuE8ELNS1_3repE0EEENS1_38merge_mergepath_config_static_selectorELNS0_4arch9wavefront6targetE1EEEvSM_
                                        ; -- End function
	.section	.AMDGPU.csdata,"",@progbits
; Kernel info:
; codeLenInByte = 3932
; NumSgprs: 50
; NumVgprs: 24
; NumAgprs: 0
; TotalNumVgprs: 24
; ScratchSize: 0
; MemoryBound: 0
; FloatMode: 240
; IeeeMode: 1
; LDSByteSize: 8448 bytes/workgroup (compile time only)
; SGPRBlocks: 6
; VGPRBlocks: 2
; NumSGPRsForWavesPerEU: 50
; NumVGPRsForWavesPerEU: 24
; AccumOffset: 24
; Occupancy: 7
; WaveLimiterHint : 1
; COMPUTE_PGM_RSRC2:SCRATCH_EN: 0
; COMPUTE_PGM_RSRC2:USER_SGPR: 6
; COMPUTE_PGM_RSRC2:TRAP_HANDLER: 0
; COMPUTE_PGM_RSRC2:TGID_X_EN: 1
; COMPUTE_PGM_RSRC2:TGID_Y_EN: 1
; COMPUTE_PGM_RSRC2:TGID_Z_EN: 1
; COMPUTE_PGM_RSRC2:TIDIG_COMP_CNT: 0
; COMPUTE_PGM_RSRC3_GFX90A:ACCUM_OFFSET: 5
; COMPUTE_PGM_RSRC3_GFX90A:TG_SPLIT: 0
	.section	.text._ZN7rocprim17ROCPRIM_400000_NS6detail17trampoline_kernelINS0_14default_configENS1_38merge_sort_block_merge_config_selectorIlNS0_10empty_typeEEEZZNS1_27merge_sort_block_merge_implIS3_PlPS5_mZN2at6native12_GLOBAL__N_124unique_dim_cuda_templateIaEESt5tupleIJNSA_6TensorESF_SF_EERKSF_lbbbEUlllE_EE10hipError_tT0_T1_T2_jT3_P12ihipStream_tbPNSt15iterator_traitsISL_E10value_typeEPNSR_ISM_E10value_typeEPSN_NS1_7vsmem_tEENKUlT_SL_SM_SN_E_clIS8_S8_S9_S9_EESK_S10_SL_SM_SN_EUlS10_E0_NS1_11comp_targetILNS1_3genE3ELNS1_11target_archE908ELNS1_3gpuE7ELNS1_3repE0EEENS1_38merge_mergepath_config_static_selectorELNS0_4arch9wavefront6targetE1EEEvSM_,"axG",@progbits,_ZN7rocprim17ROCPRIM_400000_NS6detail17trampoline_kernelINS0_14default_configENS1_38merge_sort_block_merge_config_selectorIlNS0_10empty_typeEEEZZNS1_27merge_sort_block_merge_implIS3_PlPS5_mZN2at6native12_GLOBAL__N_124unique_dim_cuda_templateIaEESt5tupleIJNSA_6TensorESF_SF_EERKSF_lbbbEUlllE_EE10hipError_tT0_T1_T2_jT3_P12ihipStream_tbPNSt15iterator_traitsISL_E10value_typeEPNSR_ISM_E10value_typeEPSN_NS1_7vsmem_tEENKUlT_SL_SM_SN_E_clIS8_S8_S9_S9_EESK_S10_SL_SM_SN_EUlS10_E0_NS1_11comp_targetILNS1_3genE3ELNS1_11target_archE908ELNS1_3gpuE7ELNS1_3repE0EEENS1_38merge_mergepath_config_static_selectorELNS0_4arch9wavefront6targetE1EEEvSM_,comdat
	.globl	_ZN7rocprim17ROCPRIM_400000_NS6detail17trampoline_kernelINS0_14default_configENS1_38merge_sort_block_merge_config_selectorIlNS0_10empty_typeEEEZZNS1_27merge_sort_block_merge_implIS3_PlPS5_mZN2at6native12_GLOBAL__N_124unique_dim_cuda_templateIaEESt5tupleIJNSA_6TensorESF_SF_EERKSF_lbbbEUlllE_EE10hipError_tT0_T1_T2_jT3_P12ihipStream_tbPNSt15iterator_traitsISL_E10value_typeEPNSR_ISM_E10value_typeEPSN_NS1_7vsmem_tEENKUlT_SL_SM_SN_E_clIS8_S8_S9_S9_EESK_S10_SL_SM_SN_EUlS10_E0_NS1_11comp_targetILNS1_3genE3ELNS1_11target_archE908ELNS1_3gpuE7ELNS1_3repE0EEENS1_38merge_mergepath_config_static_selectorELNS0_4arch9wavefront6targetE1EEEvSM_ ; -- Begin function _ZN7rocprim17ROCPRIM_400000_NS6detail17trampoline_kernelINS0_14default_configENS1_38merge_sort_block_merge_config_selectorIlNS0_10empty_typeEEEZZNS1_27merge_sort_block_merge_implIS3_PlPS5_mZN2at6native12_GLOBAL__N_124unique_dim_cuda_templateIaEESt5tupleIJNSA_6TensorESF_SF_EERKSF_lbbbEUlllE_EE10hipError_tT0_T1_T2_jT3_P12ihipStream_tbPNSt15iterator_traitsISL_E10value_typeEPNSR_ISM_E10value_typeEPSN_NS1_7vsmem_tEENKUlT_SL_SM_SN_E_clIS8_S8_S9_S9_EESK_S10_SL_SM_SN_EUlS10_E0_NS1_11comp_targetILNS1_3genE3ELNS1_11target_archE908ELNS1_3gpuE7ELNS1_3repE0EEENS1_38merge_mergepath_config_static_selectorELNS0_4arch9wavefront6targetE1EEEvSM_
	.p2align	8
	.type	_ZN7rocprim17ROCPRIM_400000_NS6detail17trampoline_kernelINS0_14default_configENS1_38merge_sort_block_merge_config_selectorIlNS0_10empty_typeEEEZZNS1_27merge_sort_block_merge_implIS3_PlPS5_mZN2at6native12_GLOBAL__N_124unique_dim_cuda_templateIaEESt5tupleIJNSA_6TensorESF_SF_EERKSF_lbbbEUlllE_EE10hipError_tT0_T1_T2_jT3_P12ihipStream_tbPNSt15iterator_traitsISL_E10value_typeEPNSR_ISM_E10value_typeEPSN_NS1_7vsmem_tEENKUlT_SL_SM_SN_E_clIS8_S8_S9_S9_EESK_S10_SL_SM_SN_EUlS10_E0_NS1_11comp_targetILNS1_3genE3ELNS1_11target_archE908ELNS1_3gpuE7ELNS1_3repE0EEENS1_38merge_mergepath_config_static_selectorELNS0_4arch9wavefront6targetE1EEEvSM_,@function
_ZN7rocprim17ROCPRIM_400000_NS6detail17trampoline_kernelINS0_14default_configENS1_38merge_sort_block_merge_config_selectorIlNS0_10empty_typeEEEZZNS1_27merge_sort_block_merge_implIS3_PlPS5_mZN2at6native12_GLOBAL__N_124unique_dim_cuda_templateIaEESt5tupleIJNSA_6TensorESF_SF_EERKSF_lbbbEUlllE_EE10hipError_tT0_T1_T2_jT3_P12ihipStream_tbPNSt15iterator_traitsISL_E10value_typeEPNSR_ISM_E10value_typeEPSN_NS1_7vsmem_tEENKUlT_SL_SM_SN_E_clIS8_S8_S9_S9_EESK_S10_SL_SM_SN_EUlS10_E0_NS1_11comp_targetILNS1_3genE3ELNS1_11target_archE908ELNS1_3gpuE7ELNS1_3repE0EEENS1_38merge_mergepath_config_static_selectorELNS0_4arch9wavefront6targetE1EEEvSM_: ; @_ZN7rocprim17ROCPRIM_400000_NS6detail17trampoline_kernelINS0_14default_configENS1_38merge_sort_block_merge_config_selectorIlNS0_10empty_typeEEEZZNS1_27merge_sort_block_merge_implIS3_PlPS5_mZN2at6native12_GLOBAL__N_124unique_dim_cuda_templateIaEESt5tupleIJNSA_6TensorESF_SF_EERKSF_lbbbEUlllE_EE10hipError_tT0_T1_T2_jT3_P12ihipStream_tbPNSt15iterator_traitsISL_E10value_typeEPNSR_ISM_E10value_typeEPSN_NS1_7vsmem_tEENKUlT_SL_SM_SN_E_clIS8_S8_S9_S9_EESK_S10_SL_SM_SN_EUlS10_E0_NS1_11comp_targetILNS1_3genE3ELNS1_11target_archE908ELNS1_3gpuE7ELNS1_3repE0EEENS1_38merge_mergepath_config_static_selectorELNS0_4arch9wavefront6targetE1EEEvSM_
; %bb.0:
	.section	.rodata,"a",@progbits
	.p2align	6, 0x0
	.amdhsa_kernel _ZN7rocprim17ROCPRIM_400000_NS6detail17trampoline_kernelINS0_14default_configENS1_38merge_sort_block_merge_config_selectorIlNS0_10empty_typeEEEZZNS1_27merge_sort_block_merge_implIS3_PlPS5_mZN2at6native12_GLOBAL__N_124unique_dim_cuda_templateIaEESt5tupleIJNSA_6TensorESF_SF_EERKSF_lbbbEUlllE_EE10hipError_tT0_T1_T2_jT3_P12ihipStream_tbPNSt15iterator_traitsISL_E10value_typeEPNSR_ISM_E10value_typeEPSN_NS1_7vsmem_tEENKUlT_SL_SM_SN_E_clIS8_S8_S9_S9_EESK_S10_SL_SM_SN_EUlS10_E0_NS1_11comp_targetILNS1_3genE3ELNS1_11target_archE908ELNS1_3gpuE7ELNS1_3repE0EEENS1_38merge_mergepath_config_static_selectorELNS0_4arch9wavefront6targetE1EEEvSM_
		.amdhsa_group_segment_fixed_size 0
		.amdhsa_private_segment_fixed_size 0
		.amdhsa_kernarg_size 88
		.amdhsa_user_sgpr_count 6
		.amdhsa_user_sgpr_private_segment_buffer 1
		.amdhsa_user_sgpr_dispatch_ptr 0
		.amdhsa_user_sgpr_queue_ptr 0
		.amdhsa_user_sgpr_kernarg_segment_ptr 1
		.amdhsa_user_sgpr_dispatch_id 0
		.amdhsa_user_sgpr_flat_scratch_init 0
		.amdhsa_user_sgpr_kernarg_preload_length 0
		.amdhsa_user_sgpr_kernarg_preload_offset 0
		.amdhsa_user_sgpr_private_segment_size 0
		.amdhsa_uses_dynamic_stack 0
		.amdhsa_system_sgpr_private_segment_wavefront_offset 0
		.amdhsa_system_sgpr_workgroup_id_x 1
		.amdhsa_system_sgpr_workgroup_id_y 0
		.amdhsa_system_sgpr_workgroup_id_z 0
		.amdhsa_system_sgpr_workgroup_info 0
		.amdhsa_system_vgpr_workitem_id 0
		.amdhsa_next_free_vgpr 1
		.amdhsa_next_free_sgpr 0
		.amdhsa_accum_offset 4
		.amdhsa_reserve_vcc 0
		.amdhsa_reserve_flat_scratch 0
		.amdhsa_float_round_mode_32 0
		.amdhsa_float_round_mode_16_64 0
		.amdhsa_float_denorm_mode_32 3
		.amdhsa_float_denorm_mode_16_64 3
		.amdhsa_dx10_clamp 1
		.amdhsa_ieee_mode 1
		.amdhsa_fp16_overflow 0
		.amdhsa_tg_split 0
		.amdhsa_exception_fp_ieee_invalid_op 0
		.amdhsa_exception_fp_denorm_src 0
		.amdhsa_exception_fp_ieee_div_zero 0
		.amdhsa_exception_fp_ieee_overflow 0
		.amdhsa_exception_fp_ieee_underflow 0
		.amdhsa_exception_fp_ieee_inexact 0
		.amdhsa_exception_int_div_zero 0
	.end_amdhsa_kernel
	.section	.text._ZN7rocprim17ROCPRIM_400000_NS6detail17trampoline_kernelINS0_14default_configENS1_38merge_sort_block_merge_config_selectorIlNS0_10empty_typeEEEZZNS1_27merge_sort_block_merge_implIS3_PlPS5_mZN2at6native12_GLOBAL__N_124unique_dim_cuda_templateIaEESt5tupleIJNSA_6TensorESF_SF_EERKSF_lbbbEUlllE_EE10hipError_tT0_T1_T2_jT3_P12ihipStream_tbPNSt15iterator_traitsISL_E10value_typeEPNSR_ISM_E10value_typeEPSN_NS1_7vsmem_tEENKUlT_SL_SM_SN_E_clIS8_S8_S9_S9_EESK_S10_SL_SM_SN_EUlS10_E0_NS1_11comp_targetILNS1_3genE3ELNS1_11target_archE908ELNS1_3gpuE7ELNS1_3repE0EEENS1_38merge_mergepath_config_static_selectorELNS0_4arch9wavefront6targetE1EEEvSM_,"axG",@progbits,_ZN7rocprim17ROCPRIM_400000_NS6detail17trampoline_kernelINS0_14default_configENS1_38merge_sort_block_merge_config_selectorIlNS0_10empty_typeEEEZZNS1_27merge_sort_block_merge_implIS3_PlPS5_mZN2at6native12_GLOBAL__N_124unique_dim_cuda_templateIaEESt5tupleIJNSA_6TensorESF_SF_EERKSF_lbbbEUlllE_EE10hipError_tT0_T1_T2_jT3_P12ihipStream_tbPNSt15iterator_traitsISL_E10value_typeEPNSR_ISM_E10value_typeEPSN_NS1_7vsmem_tEENKUlT_SL_SM_SN_E_clIS8_S8_S9_S9_EESK_S10_SL_SM_SN_EUlS10_E0_NS1_11comp_targetILNS1_3genE3ELNS1_11target_archE908ELNS1_3gpuE7ELNS1_3repE0EEENS1_38merge_mergepath_config_static_selectorELNS0_4arch9wavefront6targetE1EEEvSM_,comdat
.Lfunc_end282:
	.size	_ZN7rocprim17ROCPRIM_400000_NS6detail17trampoline_kernelINS0_14default_configENS1_38merge_sort_block_merge_config_selectorIlNS0_10empty_typeEEEZZNS1_27merge_sort_block_merge_implIS3_PlPS5_mZN2at6native12_GLOBAL__N_124unique_dim_cuda_templateIaEESt5tupleIJNSA_6TensorESF_SF_EERKSF_lbbbEUlllE_EE10hipError_tT0_T1_T2_jT3_P12ihipStream_tbPNSt15iterator_traitsISL_E10value_typeEPNSR_ISM_E10value_typeEPSN_NS1_7vsmem_tEENKUlT_SL_SM_SN_E_clIS8_S8_S9_S9_EESK_S10_SL_SM_SN_EUlS10_E0_NS1_11comp_targetILNS1_3genE3ELNS1_11target_archE908ELNS1_3gpuE7ELNS1_3repE0EEENS1_38merge_mergepath_config_static_selectorELNS0_4arch9wavefront6targetE1EEEvSM_, .Lfunc_end282-_ZN7rocprim17ROCPRIM_400000_NS6detail17trampoline_kernelINS0_14default_configENS1_38merge_sort_block_merge_config_selectorIlNS0_10empty_typeEEEZZNS1_27merge_sort_block_merge_implIS3_PlPS5_mZN2at6native12_GLOBAL__N_124unique_dim_cuda_templateIaEESt5tupleIJNSA_6TensorESF_SF_EERKSF_lbbbEUlllE_EE10hipError_tT0_T1_T2_jT3_P12ihipStream_tbPNSt15iterator_traitsISL_E10value_typeEPNSR_ISM_E10value_typeEPSN_NS1_7vsmem_tEENKUlT_SL_SM_SN_E_clIS8_S8_S9_S9_EESK_S10_SL_SM_SN_EUlS10_E0_NS1_11comp_targetILNS1_3genE3ELNS1_11target_archE908ELNS1_3gpuE7ELNS1_3repE0EEENS1_38merge_mergepath_config_static_selectorELNS0_4arch9wavefront6targetE1EEEvSM_
                                        ; -- End function
	.section	.AMDGPU.csdata,"",@progbits
; Kernel info:
; codeLenInByte = 0
; NumSgprs: 4
; NumVgprs: 0
; NumAgprs: 0
; TotalNumVgprs: 0
; ScratchSize: 0
; MemoryBound: 0
; FloatMode: 240
; IeeeMode: 1
; LDSByteSize: 0 bytes/workgroup (compile time only)
; SGPRBlocks: 0
; VGPRBlocks: 0
; NumSGPRsForWavesPerEU: 4
; NumVGPRsForWavesPerEU: 1
; AccumOffset: 4
; Occupancy: 8
; WaveLimiterHint : 0
; COMPUTE_PGM_RSRC2:SCRATCH_EN: 0
; COMPUTE_PGM_RSRC2:USER_SGPR: 6
; COMPUTE_PGM_RSRC2:TRAP_HANDLER: 0
; COMPUTE_PGM_RSRC2:TGID_X_EN: 1
; COMPUTE_PGM_RSRC2:TGID_Y_EN: 0
; COMPUTE_PGM_RSRC2:TGID_Z_EN: 0
; COMPUTE_PGM_RSRC2:TIDIG_COMP_CNT: 0
; COMPUTE_PGM_RSRC3_GFX90A:ACCUM_OFFSET: 0
; COMPUTE_PGM_RSRC3_GFX90A:TG_SPLIT: 0
	.section	.text._ZN7rocprim17ROCPRIM_400000_NS6detail17trampoline_kernelINS0_14default_configENS1_38merge_sort_block_merge_config_selectorIlNS0_10empty_typeEEEZZNS1_27merge_sort_block_merge_implIS3_PlPS5_mZN2at6native12_GLOBAL__N_124unique_dim_cuda_templateIaEESt5tupleIJNSA_6TensorESF_SF_EERKSF_lbbbEUlllE_EE10hipError_tT0_T1_T2_jT3_P12ihipStream_tbPNSt15iterator_traitsISL_E10value_typeEPNSR_ISM_E10value_typeEPSN_NS1_7vsmem_tEENKUlT_SL_SM_SN_E_clIS8_S8_S9_S9_EESK_S10_SL_SM_SN_EUlS10_E0_NS1_11comp_targetILNS1_3genE2ELNS1_11target_archE906ELNS1_3gpuE6ELNS1_3repE0EEENS1_38merge_mergepath_config_static_selectorELNS0_4arch9wavefront6targetE1EEEvSM_,"axG",@progbits,_ZN7rocprim17ROCPRIM_400000_NS6detail17trampoline_kernelINS0_14default_configENS1_38merge_sort_block_merge_config_selectorIlNS0_10empty_typeEEEZZNS1_27merge_sort_block_merge_implIS3_PlPS5_mZN2at6native12_GLOBAL__N_124unique_dim_cuda_templateIaEESt5tupleIJNSA_6TensorESF_SF_EERKSF_lbbbEUlllE_EE10hipError_tT0_T1_T2_jT3_P12ihipStream_tbPNSt15iterator_traitsISL_E10value_typeEPNSR_ISM_E10value_typeEPSN_NS1_7vsmem_tEENKUlT_SL_SM_SN_E_clIS8_S8_S9_S9_EESK_S10_SL_SM_SN_EUlS10_E0_NS1_11comp_targetILNS1_3genE2ELNS1_11target_archE906ELNS1_3gpuE6ELNS1_3repE0EEENS1_38merge_mergepath_config_static_selectorELNS0_4arch9wavefront6targetE1EEEvSM_,comdat
	.globl	_ZN7rocprim17ROCPRIM_400000_NS6detail17trampoline_kernelINS0_14default_configENS1_38merge_sort_block_merge_config_selectorIlNS0_10empty_typeEEEZZNS1_27merge_sort_block_merge_implIS3_PlPS5_mZN2at6native12_GLOBAL__N_124unique_dim_cuda_templateIaEESt5tupleIJNSA_6TensorESF_SF_EERKSF_lbbbEUlllE_EE10hipError_tT0_T1_T2_jT3_P12ihipStream_tbPNSt15iterator_traitsISL_E10value_typeEPNSR_ISM_E10value_typeEPSN_NS1_7vsmem_tEENKUlT_SL_SM_SN_E_clIS8_S8_S9_S9_EESK_S10_SL_SM_SN_EUlS10_E0_NS1_11comp_targetILNS1_3genE2ELNS1_11target_archE906ELNS1_3gpuE6ELNS1_3repE0EEENS1_38merge_mergepath_config_static_selectorELNS0_4arch9wavefront6targetE1EEEvSM_ ; -- Begin function _ZN7rocprim17ROCPRIM_400000_NS6detail17trampoline_kernelINS0_14default_configENS1_38merge_sort_block_merge_config_selectorIlNS0_10empty_typeEEEZZNS1_27merge_sort_block_merge_implIS3_PlPS5_mZN2at6native12_GLOBAL__N_124unique_dim_cuda_templateIaEESt5tupleIJNSA_6TensorESF_SF_EERKSF_lbbbEUlllE_EE10hipError_tT0_T1_T2_jT3_P12ihipStream_tbPNSt15iterator_traitsISL_E10value_typeEPNSR_ISM_E10value_typeEPSN_NS1_7vsmem_tEENKUlT_SL_SM_SN_E_clIS8_S8_S9_S9_EESK_S10_SL_SM_SN_EUlS10_E0_NS1_11comp_targetILNS1_3genE2ELNS1_11target_archE906ELNS1_3gpuE6ELNS1_3repE0EEENS1_38merge_mergepath_config_static_selectorELNS0_4arch9wavefront6targetE1EEEvSM_
	.p2align	8
	.type	_ZN7rocprim17ROCPRIM_400000_NS6detail17trampoline_kernelINS0_14default_configENS1_38merge_sort_block_merge_config_selectorIlNS0_10empty_typeEEEZZNS1_27merge_sort_block_merge_implIS3_PlPS5_mZN2at6native12_GLOBAL__N_124unique_dim_cuda_templateIaEESt5tupleIJNSA_6TensorESF_SF_EERKSF_lbbbEUlllE_EE10hipError_tT0_T1_T2_jT3_P12ihipStream_tbPNSt15iterator_traitsISL_E10value_typeEPNSR_ISM_E10value_typeEPSN_NS1_7vsmem_tEENKUlT_SL_SM_SN_E_clIS8_S8_S9_S9_EESK_S10_SL_SM_SN_EUlS10_E0_NS1_11comp_targetILNS1_3genE2ELNS1_11target_archE906ELNS1_3gpuE6ELNS1_3repE0EEENS1_38merge_mergepath_config_static_selectorELNS0_4arch9wavefront6targetE1EEEvSM_,@function
_ZN7rocprim17ROCPRIM_400000_NS6detail17trampoline_kernelINS0_14default_configENS1_38merge_sort_block_merge_config_selectorIlNS0_10empty_typeEEEZZNS1_27merge_sort_block_merge_implIS3_PlPS5_mZN2at6native12_GLOBAL__N_124unique_dim_cuda_templateIaEESt5tupleIJNSA_6TensorESF_SF_EERKSF_lbbbEUlllE_EE10hipError_tT0_T1_T2_jT3_P12ihipStream_tbPNSt15iterator_traitsISL_E10value_typeEPNSR_ISM_E10value_typeEPSN_NS1_7vsmem_tEENKUlT_SL_SM_SN_E_clIS8_S8_S9_S9_EESK_S10_SL_SM_SN_EUlS10_E0_NS1_11comp_targetILNS1_3genE2ELNS1_11target_archE906ELNS1_3gpuE6ELNS1_3repE0EEENS1_38merge_mergepath_config_static_selectorELNS0_4arch9wavefront6targetE1EEEvSM_: ; @_ZN7rocprim17ROCPRIM_400000_NS6detail17trampoline_kernelINS0_14default_configENS1_38merge_sort_block_merge_config_selectorIlNS0_10empty_typeEEEZZNS1_27merge_sort_block_merge_implIS3_PlPS5_mZN2at6native12_GLOBAL__N_124unique_dim_cuda_templateIaEESt5tupleIJNSA_6TensorESF_SF_EERKSF_lbbbEUlllE_EE10hipError_tT0_T1_T2_jT3_P12ihipStream_tbPNSt15iterator_traitsISL_E10value_typeEPNSR_ISM_E10value_typeEPSN_NS1_7vsmem_tEENKUlT_SL_SM_SN_E_clIS8_S8_S9_S9_EESK_S10_SL_SM_SN_EUlS10_E0_NS1_11comp_targetILNS1_3genE2ELNS1_11target_archE906ELNS1_3gpuE6ELNS1_3repE0EEENS1_38merge_mergepath_config_static_selectorELNS0_4arch9wavefront6targetE1EEEvSM_
; %bb.0:
	.section	.rodata,"a",@progbits
	.p2align	6, 0x0
	.amdhsa_kernel _ZN7rocprim17ROCPRIM_400000_NS6detail17trampoline_kernelINS0_14default_configENS1_38merge_sort_block_merge_config_selectorIlNS0_10empty_typeEEEZZNS1_27merge_sort_block_merge_implIS3_PlPS5_mZN2at6native12_GLOBAL__N_124unique_dim_cuda_templateIaEESt5tupleIJNSA_6TensorESF_SF_EERKSF_lbbbEUlllE_EE10hipError_tT0_T1_T2_jT3_P12ihipStream_tbPNSt15iterator_traitsISL_E10value_typeEPNSR_ISM_E10value_typeEPSN_NS1_7vsmem_tEENKUlT_SL_SM_SN_E_clIS8_S8_S9_S9_EESK_S10_SL_SM_SN_EUlS10_E0_NS1_11comp_targetILNS1_3genE2ELNS1_11target_archE906ELNS1_3gpuE6ELNS1_3repE0EEENS1_38merge_mergepath_config_static_selectorELNS0_4arch9wavefront6targetE1EEEvSM_
		.amdhsa_group_segment_fixed_size 0
		.amdhsa_private_segment_fixed_size 0
		.amdhsa_kernarg_size 88
		.amdhsa_user_sgpr_count 6
		.amdhsa_user_sgpr_private_segment_buffer 1
		.amdhsa_user_sgpr_dispatch_ptr 0
		.amdhsa_user_sgpr_queue_ptr 0
		.amdhsa_user_sgpr_kernarg_segment_ptr 1
		.amdhsa_user_sgpr_dispatch_id 0
		.amdhsa_user_sgpr_flat_scratch_init 0
		.amdhsa_user_sgpr_kernarg_preload_length 0
		.amdhsa_user_sgpr_kernarg_preload_offset 0
		.amdhsa_user_sgpr_private_segment_size 0
		.amdhsa_uses_dynamic_stack 0
		.amdhsa_system_sgpr_private_segment_wavefront_offset 0
		.amdhsa_system_sgpr_workgroup_id_x 1
		.amdhsa_system_sgpr_workgroup_id_y 0
		.amdhsa_system_sgpr_workgroup_id_z 0
		.amdhsa_system_sgpr_workgroup_info 0
		.amdhsa_system_vgpr_workitem_id 0
		.amdhsa_next_free_vgpr 1
		.amdhsa_next_free_sgpr 0
		.amdhsa_accum_offset 4
		.amdhsa_reserve_vcc 0
		.amdhsa_reserve_flat_scratch 0
		.amdhsa_float_round_mode_32 0
		.amdhsa_float_round_mode_16_64 0
		.amdhsa_float_denorm_mode_32 3
		.amdhsa_float_denorm_mode_16_64 3
		.amdhsa_dx10_clamp 1
		.amdhsa_ieee_mode 1
		.amdhsa_fp16_overflow 0
		.amdhsa_tg_split 0
		.amdhsa_exception_fp_ieee_invalid_op 0
		.amdhsa_exception_fp_denorm_src 0
		.amdhsa_exception_fp_ieee_div_zero 0
		.amdhsa_exception_fp_ieee_overflow 0
		.amdhsa_exception_fp_ieee_underflow 0
		.amdhsa_exception_fp_ieee_inexact 0
		.amdhsa_exception_int_div_zero 0
	.end_amdhsa_kernel
	.section	.text._ZN7rocprim17ROCPRIM_400000_NS6detail17trampoline_kernelINS0_14default_configENS1_38merge_sort_block_merge_config_selectorIlNS0_10empty_typeEEEZZNS1_27merge_sort_block_merge_implIS3_PlPS5_mZN2at6native12_GLOBAL__N_124unique_dim_cuda_templateIaEESt5tupleIJNSA_6TensorESF_SF_EERKSF_lbbbEUlllE_EE10hipError_tT0_T1_T2_jT3_P12ihipStream_tbPNSt15iterator_traitsISL_E10value_typeEPNSR_ISM_E10value_typeEPSN_NS1_7vsmem_tEENKUlT_SL_SM_SN_E_clIS8_S8_S9_S9_EESK_S10_SL_SM_SN_EUlS10_E0_NS1_11comp_targetILNS1_3genE2ELNS1_11target_archE906ELNS1_3gpuE6ELNS1_3repE0EEENS1_38merge_mergepath_config_static_selectorELNS0_4arch9wavefront6targetE1EEEvSM_,"axG",@progbits,_ZN7rocprim17ROCPRIM_400000_NS6detail17trampoline_kernelINS0_14default_configENS1_38merge_sort_block_merge_config_selectorIlNS0_10empty_typeEEEZZNS1_27merge_sort_block_merge_implIS3_PlPS5_mZN2at6native12_GLOBAL__N_124unique_dim_cuda_templateIaEESt5tupleIJNSA_6TensorESF_SF_EERKSF_lbbbEUlllE_EE10hipError_tT0_T1_T2_jT3_P12ihipStream_tbPNSt15iterator_traitsISL_E10value_typeEPNSR_ISM_E10value_typeEPSN_NS1_7vsmem_tEENKUlT_SL_SM_SN_E_clIS8_S8_S9_S9_EESK_S10_SL_SM_SN_EUlS10_E0_NS1_11comp_targetILNS1_3genE2ELNS1_11target_archE906ELNS1_3gpuE6ELNS1_3repE0EEENS1_38merge_mergepath_config_static_selectorELNS0_4arch9wavefront6targetE1EEEvSM_,comdat
.Lfunc_end283:
	.size	_ZN7rocprim17ROCPRIM_400000_NS6detail17trampoline_kernelINS0_14default_configENS1_38merge_sort_block_merge_config_selectorIlNS0_10empty_typeEEEZZNS1_27merge_sort_block_merge_implIS3_PlPS5_mZN2at6native12_GLOBAL__N_124unique_dim_cuda_templateIaEESt5tupleIJNSA_6TensorESF_SF_EERKSF_lbbbEUlllE_EE10hipError_tT0_T1_T2_jT3_P12ihipStream_tbPNSt15iterator_traitsISL_E10value_typeEPNSR_ISM_E10value_typeEPSN_NS1_7vsmem_tEENKUlT_SL_SM_SN_E_clIS8_S8_S9_S9_EESK_S10_SL_SM_SN_EUlS10_E0_NS1_11comp_targetILNS1_3genE2ELNS1_11target_archE906ELNS1_3gpuE6ELNS1_3repE0EEENS1_38merge_mergepath_config_static_selectorELNS0_4arch9wavefront6targetE1EEEvSM_, .Lfunc_end283-_ZN7rocprim17ROCPRIM_400000_NS6detail17trampoline_kernelINS0_14default_configENS1_38merge_sort_block_merge_config_selectorIlNS0_10empty_typeEEEZZNS1_27merge_sort_block_merge_implIS3_PlPS5_mZN2at6native12_GLOBAL__N_124unique_dim_cuda_templateIaEESt5tupleIJNSA_6TensorESF_SF_EERKSF_lbbbEUlllE_EE10hipError_tT0_T1_T2_jT3_P12ihipStream_tbPNSt15iterator_traitsISL_E10value_typeEPNSR_ISM_E10value_typeEPSN_NS1_7vsmem_tEENKUlT_SL_SM_SN_E_clIS8_S8_S9_S9_EESK_S10_SL_SM_SN_EUlS10_E0_NS1_11comp_targetILNS1_3genE2ELNS1_11target_archE906ELNS1_3gpuE6ELNS1_3repE0EEENS1_38merge_mergepath_config_static_selectorELNS0_4arch9wavefront6targetE1EEEvSM_
                                        ; -- End function
	.section	.AMDGPU.csdata,"",@progbits
; Kernel info:
; codeLenInByte = 0
; NumSgprs: 4
; NumVgprs: 0
; NumAgprs: 0
; TotalNumVgprs: 0
; ScratchSize: 0
; MemoryBound: 0
; FloatMode: 240
; IeeeMode: 1
; LDSByteSize: 0 bytes/workgroup (compile time only)
; SGPRBlocks: 0
; VGPRBlocks: 0
; NumSGPRsForWavesPerEU: 4
; NumVGPRsForWavesPerEU: 1
; AccumOffset: 4
; Occupancy: 8
; WaveLimiterHint : 0
; COMPUTE_PGM_RSRC2:SCRATCH_EN: 0
; COMPUTE_PGM_RSRC2:USER_SGPR: 6
; COMPUTE_PGM_RSRC2:TRAP_HANDLER: 0
; COMPUTE_PGM_RSRC2:TGID_X_EN: 1
; COMPUTE_PGM_RSRC2:TGID_Y_EN: 0
; COMPUTE_PGM_RSRC2:TGID_Z_EN: 0
; COMPUTE_PGM_RSRC2:TIDIG_COMP_CNT: 0
; COMPUTE_PGM_RSRC3_GFX90A:ACCUM_OFFSET: 0
; COMPUTE_PGM_RSRC3_GFX90A:TG_SPLIT: 0
	.section	.text._ZN7rocprim17ROCPRIM_400000_NS6detail17trampoline_kernelINS0_14default_configENS1_38merge_sort_block_merge_config_selectorIlNS0_10empty_typeEEEZZNS1_27merge_sort_block_merge_implIS3_PlPS5_mZN2at6native12_GLOBAL__N_124unique_dim_cuda_templateIaEESt5tupleIJNSA_6TensorESF_SF_EERKSF_lbbbEUlllE_EE10hipError_tT0_T1_T2_jT3_P12ihipStream_tbPNSt15iterator_traitsISL_E10value_typeEPNSR_ISM_E10value_typeEPSN_NS1_7vsmem_tEENKUlT_SL_SM_SN_E_clIS8_S8_S9_S9_EESK_S10_SL_SM_SN_EUlS10_E0_NS1_11comp_targetILNS1_3genE9ELNS1_11target_archE1100ELNS1_3gpuE3ELNS1_3repE0EEENS1_38merge_mergepath_config_static_selectorELNS0_4arch9wavefront6targetE1EEEvSM_,"axG",@progbits,_ZN7rocprim17ROCPRIM_400000_NS6detail17trampoline_kernelINS0_14default_configENS1_38merge_sort_block_merge_config_selectorIlNS0_10empty_typeEEEZZNS1_27merge_sort_block_merge_implIS3_PlPS5_mZN2at6native12_GLOBAL__N_124unique_dim_cuda_templateIaEESt5tupleIJNSA_6TensorESF_SF_EERKSF_lbbbEUlllE_EE10hipError_tT0_T1_T2_jT3_P12ihipStream_tbPNSt15iterator_traitsISL_E10value_typeEPNSR_ISM_E10value_typeEPSN_NS1_7vsmem_tEENKUlT_SL_SM_SN_E_clIS8_S8_S9_S9_EESK_S10_SL_SM_SN_EUlS10_E0_NS1_11comp_targetILNS1_3genE9ELNS1_11target_archE1100ELNS1_3gpuE3ELNS1_3repE0EEENS1_38merge_mergepath_config_static_selectorELNS0_4arch9wavefront6targetE1EEEvSM_,comdat
	.globl	_ZN7rocprim17ROCPRIM_400000_NS6detail17trampoline_kernelINS0_14default_configENS1_38merge_sort_block_merge_config_selectorIlNS0_10empty_typeEEEZZNS1_27merge_sort_block_merge_implIS3_PlPS5_mZN2at6native12_GLOBAL__N_124unique_dim_cuda_templateIaEESt5tupleIJNSA_6TensorESF_SF_EERKSF_lbbbEUlllE_EE10hipError_tT0_T1_T2_jT3_P12ihipStream_tbPNSt15iterator_traitsISL_E10value_typeEPNSR_ISM_E10value_typeEPSN_NS1_7vsmem_tEENKUlT_SL_SM_SN_E_clIS8_S8_S9_S9_EESK_S10_SL_SM_SN_EUlS10_E0_NS1_11comp_targetILNS1_3genE9ELNS1_11target_archE1100ELNS1_3gpuE3ELNS1_3repE0EEENS1_38merge_mergepath_config_static_selectorELNS0_4arch9wavefront6targetE1EEEvSM_ ; -- Begin function _ZN7rocprim17ROCPRIM_400000_NS6detail17trampoline_kernelINS0_14default_configENS1_38merge_sort_block_merge_config_selectorIlNS0_10empty_typeEEEZZNS1_27merge_sort_block_merge_implIS3_PlPS5_mZN2at6native12_GLOBAL__N_124unique_dim_cuda_templateIaEESt5tupleIJNSA_6TensorESF_SF_EERKSF_lbbbEUlllE_EE10hipError_tT0_T1_T2_jT3_P12ihipStream_tbPNSt15iterator_traitsISL_E10value_typeEPNSR_ISM_E10value_typeEPSN_NS1_7vsmem_tEENKUlT_SL_SM_SN_E_clIS8_S8_S9_S9_EESK_S10_SL_SM_SN_EUlS10_E0_NS1_11comp_targetILNS1_3genE9ELNS1_11target_archE1100ELNS1_3gpuE3ELNS1_3repE0EEENS1_38merge_mergepath_config_static_selectorELNS0_4arch9wavefront6targetE1EEEvSM_
	.p2align	8
	.type	_ZN7rocprim17ROCPRIM_400000_NS6detail17trampoline_kernelINS0_14default_configENS1_38merge_sort_block_merge_config_selectorIlNS0_10empty_typeEEEZZNS1_27merge_sort_block_merge_implIS3_PlPS5_mZN2at6native12_GLOBAL__N_124unique_dim_cuda_templateIaEESt5tupleIJNSA_6TensorESF_SF_EERKSF_lbbbEUlllE_EE10hipError_tT0_T1_T2_jT3_P12ihipStream_tbPNSt15iterator_traitsISL_E10value_typeEPNSR_ISM_E10value_typeEPSN_NS1_7vsmem_tEENKUlT_SL_SM_SN_E_clIS8_S8_S9_S9_EESK_S10_SL_SM_SN_EUlS10_E0_NS1_11comp_targetILNS1_3genE9ELNS1_11target_archE1100ELNS1_3gpuE3ELNS1_3repE0EEENS1_38merge_mergepath_config_static_selectorELNS0_4arch9wavefront6targetE1EEEvSM_,@function
_ZN7rocprim17ROCPRIM_400000_NS6detail17trampoline_kernelINS0_14default_configENS1_38merge_sort_block_merge_config_selectorIlNS0_10empty_typeEEEZZNS1_27merge_sort_block_merge_implIS3_PlPS5_mZN2at6native12_GLOBAL__N_124unique_dim_cuda_templateIaEESt5tupleIJNSA_6TensorESF_SF_EERKSF_lbbbEUlllE_EE10hipError_tT0_T1_T2_jT3_P12ihipStream_tbPNSt15iterator_traitsISL_E10value_typeEPNSR_ISM_E10value_typeEPSN_NS1_7vsmem_tEENKUlT_SL_SM_SN_E_clIS8_S8_S9_S9_EESK_S10_SL_SM_SN_EUlS10_E0_NS1_11comp_targetILNS1_3genE9ELNS1_11target_archE1100ELNS1_3gpuE3ELNS1_3repE0EEENS1_38merge_mergepath_config_static_selectorELNS0_4arch9wavefront6targetE1EEEvSM_: ; @_ZN7rocprim17ROCPRIM_400000_NS6detail17trampoline_kernelINS0_14default_configENS1_38merge_sort_block_merge_config_selectorIlNS0_10empty_typeEEEZZNS1_27merge_sort_block_merge_implIS3_PlPS5_mZN2at6native12_GLOBAL__N_124unique_dim_cuda_templateIaEESt5tupleIJNSA_6TensorESF_SF_EERKSF_lbbbEUlllE_EE10hipError_tT0_T1_T2_jT3_P12ihipStream_tbPNSt15iterator_traitsISL_E10value_typeEPNSR_ISM_E10value_typeEPSN_NS1_7vsmem_tEENKUlT_SL_SM_SN_E_clIS8_S8_S9_S9_EESK_S10_SL_SM_SN_EUlS10_E0_NS1_11comp_targetILNS1_3genE9ELNS1_11target_archE1100ELNS1_3gpuE3ELNS1_3repE0EEENS1_38merge_mergepath_config_static_selectorELNS0_4arch9wavefront6targetE1EEEvSM_
; %bb.0:
	.section	.rodata,"a",@progbits
	.p2align	6, 0x0
	.amdhsa_kernel _ZN7rocprim17ROCPRIM_400000_NS6detail17trampoline_kernelINS0_14default_configENS1_38merge_sort_block_merge_config_selectorIlNS0_10empty_typeEEEZZNS1_27merge_sort_block_merge_implIS3_PlPS5_mZN2at6native12_GLOBAL__N_124unique_dim_cuda_templateIaEESt5tupleIJNSA_6TensorESF_SF_EERKSF_lbbbEUlllE_EE10hipError_tT0_T1_T2_jT3_P12ihipStream_tbPNSt15iterator_traitsISL_E10value_typeEPNSR_ISM_E10value_typeEPSN_NS1_7vsmem_tEENKUlT_SL_SM_SN_E_clIS8_S8_S9_S9_EESK_S10_SL_SM_SN_EUlS10_E0_NS1_11comp_targetILNS1_3genE9ELNS1_11target_archE1100ELNS1_3gpuE3ELNS1_3repE0EEENS1_38merge_mergepath_config_static_selectorELNS0_4arch9wavefront6targetE1EEEvSM_
		.amdhsa_group_segment_fixed_size 0
		.amdhsa_private_segment_fixed_size 0
		.amdhsa_kernarg_size 88
		.amdhsa_user_sgpr_count 6
		.amdhsa_user_sgpr_private_segment_buffer 1
		.amdhsa_user_sgpr_dispatch_ptr 0
		.amdhsa_user_sgpr_queue_ptr 0
		.amdhsa_user_sgpr_kernarg_segment_ptr 1
		.amdhsa_user_sgpr_dispatch_id 0
		.amdhsa_user_sgpr_flat_scratch_init 0
		.amdhsa_user_sgpr_kernarg_preload_length 0
		.amdhsa_user_sgpr_kernarg_preload_offset 0
		.amdhsa_user_sgpr_private_segment_size 0
		.amdhsa_uses_dynamic_stack 0
		.amdhsa_system_sgpr_private_segment_wavefront_offset 0
		.amdhsa_system_sgpr_workgroup_id_x 1
		.amdhsa_system_sgpr_workgroup_id_y 0
		.amdhsa_system_sgpr_workgroup_id_z 0
		.amdhsa_system_sgpr_workgroup_info 0
		.amdhsa_system_vgpr_workitem_id 0
		.amdhsa_next_free_vgpr 1
		.amdhsa_next_free_sgpr 0
		.amdhsa_accum_offset 4
		.amdhsa_reserve_vcc 0
		.amdhsa_reserve_flat_scratch 0
		.amdhsa_float_round_mode_32 0
		.amdhsa_float_round_mode_16_64 0
		.amdhsa_float_denorm_mode_32 3
		.amdhsa_float_denorm_mode_16_64 3
		.amdhsa_dx10_clamp 1
		.amdhsa_ieee_mode 1
		.amdhsa_fp16_overflow 0
		.amdhsa_tg_split 0
		.amdhsa_exception_fp_ieee_invalid_op 0
		.amdhsa_exception_fp_denorm_src 0
		.amdhsa_exception_fp_ieee_div_zero 0
		.amdhsa_exception_fp_ieee_overflow 0
		.amdhsa_exception_fp_ieee_underflow 0
		.amdhsa_exception_fp_ieee_inexact 0
		.amdhsa_exception_int_div_zero 0
	.end_amdhsa_kernel
	.section	.text._ZN7rocprim17ROCPRIM_400000_NS6detail17trampoline_kernelINS0_14default_configENS1_38merge_sort_block_merge_config_selectorIlNS0_10empty_typeEEEZZNS1_27merge_sort_block_merge_implIS3_PlPS5_mZN2at6native12_GLOBAL__N_124unique_dim_cuda_templateIaEESt5tupleIJNSA_6TensorESF_SF_EERKSF_lbbbEUlllE_EE10hipError_tT0_T1_T2_jT3_P12ihipStream_tbPNSt15iterator_traitsISL_E10value_typeEPNSR_ISM_E10value_typeEPSN_NS1_7vsmem_tEENKUlT_SL_SM_SN_E_clIS8_S8_S9_S9_EESK_S10_SL_SM_SN_EUlS10_E0_NS1_11comp_targetILNS1_3genE9ELNS1_11target_archE1100ELNS1_3gpuE3ELNS1_3repE0EEENS1_38merge_mergepath_config_static_selectorELNS0_4arch9wavefront6targetE1EEEvSM_,"axG",@progbits,_ZN7rocprim17ROCPRIM_400000_NS6detail17trampoline_kernelINS0_14default_configENS1_38merge_sort_block_merge_config_selectorIlNS0_10empty_typeEEEZZNS1_27merge_sort_block_merge_implIS3_PlPS5_mZN2at6native12_GLOBAL__N_124unique_dim_cuda_templateIaEESt5tupleIJNSA_6TensorESF_SF_EERKSF_lbbbEUlllE_EE10hipError_tT0_T1_T2_jT3_P12ihipStream_tbPNSt15iterator_traitsISL_E10value_typeEPNSR_ISM_E10value_typeEPSN_NS1_7vsmem_tEENKUlT_SL_SM_SN_E_clIS8_S8_S9_S9_EESK_S10_SL_SM_SN_EUlS10_E0_NS1_11comp_targetILNS1_3genE9ELNS1_11target_archE1100ELNS1_3gpuE3ELNS1_3repE0EEENS1_38merge_mergepath_config_static_selectorELNS0_4arch9wavefront6targetE1EEEvSM_,comdat
.Lfunc_end284:
	.size	_ZN7rocprim17ROCPRIM_400000_NS6detail17trampoline_kernelINS0_14default_configENS1_38merge_sort_block_merge_config_selectorIlNS0_10empty_typeEEEZZNS1_27merge_sort_block_merge_implIS3_PlPS5_mZN2at6native12_GLOBAL__N_124unique_dim_cuda_templateIaEESt5tupleIJNSA_6TensorESF_SF_EERKSF_lbbbEUlllE_EE10hipError_tT0_T1_T2_jT3_P12ihipStream_tbPNSt15iterator_traitsISL_E10value_typeEPNSR_ISM_E10value_typeEPSN_NS1_7vsmem_tEENKUlT_SL_SM_SN_E_clIS8_S8_S9_S9_EESK_S10_SL_SM_SN_EUlS10_E0_NS1_11comp_targetILNS1_3genE9ELNS1_11target_archE1100ELNS1_3gpuE3ELNS1_3repE0EEENS1_38merge_mergepath_config_static_selectorELNS0_4arch9wavefront6targetE1EEEvSM_, .Lfunc_end284-_ZN7rocprim17ROCPRIM_400000_NS6detail17trampoline_kernelINS0_14default_configENS1_38merge_sort_block_merge_config_selectorIlNS0_10empty_typeEEEZZNS1_27merge_sort_block_merge_implIS3_PlPS5_mZN2at6native12_GLOBAL__N_124unique_dim_cuda_templateIaEESt5tupleIJNSA_6TensorESF_SF_EERKSF_lbbbEUlllE_EE10hipError_tT0_T1_T2_jT3_P12ihipStream_tbPNSt15iterator_traitsISL_E10value_typeEPNSR_ISM_E10value_typeEPSN_NS1_7vsmem_tEENKUlT_SL_SM_SN_E_clIS8_S8_S9_S9_EESK_S10_SL_SM_SN_EUlS10_E0_NS1_11comp_targetILNS1_3genE9ELNS1_11target_archE1100ELNS1_3gpuE3ELNS1_3repE0EEENS1_38merge_mergepath_config_static_selectorELNS0_4arch9wavefront6targetE1EEEvSM_
                                        ; -- End function
	.section	.AMDGPU.csdata,"",@progbits
; Kernel info:
; codeLenInByte = 0
; NumSgprs: 4
; NumVgprs: 0
; NumAgprs: 0
; TotalNumVgprs: 0
; ScratchSize: 0
; MemoryBound: 0
; FloatMode: 240
; IeeeMode: 1
; LDSByteSize: 0 bytes/workgroup (compile time only)
; SGPRBlocks: 0
; VGPRBlocks: 0
; NumSGPRsForWavesPerEU: 4
; NumVGPRsForWavesPerEU: 1
; AccumOffset: 4
; Occupancy: 8
; WaveLimiterHint : 0
; COMPUTE_PGM_RSRC2:SCRATCH_EN: 0
; COMPUTE_PGM_RSRC2:USER_SGPR: 6
; COMPUTE_PGM_RSRC2:TRAP_HANDLER: 0
; COMPUTE_PGM_RSRC2:TGID_X_EN: 1
; COMPUTE_PGM_RSRC2:TGID_Y_EN: 0
; COMPUTE_PGM_RSRC2:TGID_Z_EN: 0
; COMPUTE_PGM_RSRC2:TIDIG_COMP_CNT: 0
; COMPUTE_PGM_RSRC3_GFX90A:ACCUM_OFFSET: 0
; COMPUTE_PGM_RSRC3_GFX90A:TG_SPLIT: 0
	.section	.text._ZN7rocprim17ROCPRIM_400000_NS6detail17trampoline_kernelINS0_14default_configENS1_38merge_sort_block_merge_config_selectorIlNS0_10empty_typeEEEZZNS1_27merge_sort_block_merge_implIS3_PlPS5_mZN2at6native12_GLOBAL__N_124unique_dim_cuda_templateIaEESt5tupleIJNSA_6TensorESF_SF_EERKSF_lbbbEUlllE_EE10hipError_tT0_T1_T2_jT3_P12ihipStream_tbPNSt15iterator_traitsISL_E10value_typeEPNSR_ISM_E10value_typeEPSN_NS1_7vsmem_tEENKUlT_SL_SM_SN_E_clIS8_S8_S9_S9_EESK_S10_SL_SM_SN_EUlS10_E0_NS1_11comp_targetILNS1_3genE8ELNS1_11target_archE1030ELNS1_3gpuE2ELNS1_3repE0EEENS1_38merge_mergepath_config_static_selectorELNS0_4arch9wavefront6targetE1EEEvSM_,"axG",@progbits,_ZN7rocprim17ROCPRIM_400000_NS6detail17trampoline_kernelINS0_14default_configENS1_38merge_sort_block_merge_config_selectorIlNS0_10empty_typeEEEZZNS1_27merge_sort_block_merge_implIS3_PlPS5_mZN2at6native12_GLOBAL__N_124unique_dim_cuda_templateIaEESt5tupleIJNSA_6TensorESF_SF_EERKSF_lbbbEUlllE_EE10hipError_tT0_T1_T2_jT3_P12ihipStream_tbPNSt15iterator_traitsISL_E10value_typeEPNSR_ISM_E10value_typeEPSN_NS1_7vsmem_tEENKUlT_SL_SM_SN_E_clIS8_S8_S9_S9_EESK_S10_SL_SM_SN_EUlS10_E0_NS1_11comp_targetILNS1_3genE8ELNS1_11target_archE1030ELNS1_3gpuE2ELNS1_3repE0EEENS1_38merge_mergepath_config_static_selectorELNS0_4arch9wavefront6targetE1EEEvSM_,comdat
	.globl	_ZN7rocprim17ROCPRIM_400000_NS6detail17trampoline_kernelINS0_14default_configENS1_38merge_sort_block_merge_config_selectorIlNS0_10empty_typeEEEZZNS1_27merge_sort_block_merge_implIS3_PlPS5_mZN2at6native12_GLOBAL__N_124unique_dim_cuda_templateIaEESt5tupleIJNSA_6TensorESF_SF_EERKSF_lbbbEUlllE_EE10hipError_tT0_T1_T2_jT3_P12ihipStream_tbPNSt15iterator_traitsISL_E10value_typeEPNSR_ISM_E10value_typeEPSN_NS1_7vsmem_tEENKUlT_SL_SM_SN_E_clIS8_S8_S9_S9_EESK_S10_SL_SM_SN_EUlS10_E0_NS1_11comp_targetILNS1_3genE8ELNS1_11target_archE1030ELNS1_3gpuE2ELNS1_3repE0EEENS1_38merge_mergepath_config_static_selectorELNS0_4arch9wavefront6targetE1EEEvSM_ ; -- Begin function _ZN7rocprim17ROCPRIM_400000_NS6detail17trampoline_kernelINS0_14default_configENS1_38merge_sort_block_merge_config_selectorIlNS0_10empty_typeEEEZZNS1_27merge_sort_block_merge_implIS3_PlPS5_mZN2at6native12_GLOBAL__N_124unique_dim_cuda_templateIaEESt5tupleIJNSA_6TensorESF_SF_EERKSF_lbbbEUlllE_EE10hipError_tT0_T1_T2_jT3_P12ihipStream_tbPNSt15iterator_traitsISL_E10value_typeEPNSR_ISM_E10value_typeEPSN_NS1_7vsmem_tEENKUlT_SL_SM_SN_E_clIS8_S8_S9_S9_EESK_S10_SL_SM_SN_EUlS10_E0_NS1_11comp_targetILNS1_3genE8ELNS1_11target_archE1030ELNS1_3gpuE2ELNS1_3repE0EEENS1_38merge_mergepath_config_static_selectorELNS0_4arch9wavefront6targetE1EEEvSM_
	.p2align	8
	.type	_ZN7rocprim17ROCPRIM_400000_NS6detail17trampoline_kernelINS0_14default_configENS1_38merge_sort_block_merge_config_selectorIlNS0_10empty_typeEEEZZNS1_27merge_sort_block_merge_implIS3_PlPS5_mZN2at6native12_GLOBAL__N_124unique_dim_cuda_templateIaEESt5tupleIJNSA_6TensorESF_SF_EERKSF_lbbbEUlllE_EE10hipError_tT0_T1_T2_jT3_P12ihipStream_tbPNSt15iterator_traitsISL_E10value_typeEPNSR_ISM_E10value_typeEPSN_NS1_7vsmem_tEENKUlT_SL_SM_SN_E_clIS8_S8_S9_S9_EESK_S10_SL_SM_SN_EUlS10_E0_NS1_11comp_targetILNS1_3genE8ELNS1_11target_archE1030ELNS1_3gpuE2ELNS1_3repE0EEENS1_38merge_mergepath_config_static_selectorELNS0_4arch9wavefront6targetE1EEEvSM_,@function
_ZN7rocprim17ROCPRIM_400000_NS6detail17trampoline_kernelINS0_14default_configENS1_38merge_sort_block_merge_config_selectorIlNS0_10empty_typeEEEZZNS1_27merge_sort_block_merge_implIS3_PlPS5_mZN2at6native12_GLOBAL__N_124unique_dim_cuda_templateIaEESt5tupleIJNSA_6TensorESF_SF_EERKSF_lbbbEUlllE_EE10hipError_tT0_T1_T2_jT3_P12ihipStream_tbPNSt15iterator_traitsISL_E10value_typeEPNSR_ISM_E10value_typeEPSN_NS1_7vsmem_tEENKUlT_SL_SM_SN_E_clIS8_S8_S9_S9_EESK_S10_SL_SM_SN_EUlS10_E0_NS1_11comp_targetILNS1_3genE8ELNS1_11target_archE1030ELNS1_3gpuE2ELNS1_3repE0EEENS1_38merge_mergepath_config_static_selectorELNS0_4arch9wavefront6targetE1EEEvSM_: ; @_ZN7rocprim17ROCPRIM_400000_NS6detail17trampoline_kernelINS0_14default_configENS1_38merge_sort_block_merge_config_selectorIlNS0_10empty_typeEEEZZNS1_27merge_sort_block_merge_implIS3_PlPS5_mZN2at6native12_GLOBAL__N_124unique_dim_cuda_templateIaEESt5tupleIJNSA_6TensorESF_SF_EERKSF_lbbbEUlllE_EE10hipError_tT0_T1_T2_jT3_P12ihipStream_tbPNSt15iterator_traitsISL_E10value_typeEPNSR_ISM_E10value_typeEPSN_NS1_7vsmem_tEENKUlT_SL_SM_SN_E_clIS8_S8_S9_S9_EESK_S10_SL_SM_SN_EUlS10_E0_NS1_11comp_targetILNS1_3genE8ELNS1_11target_archE1030ELNS1_3gpuE2ELNS1_3repE0EEENS1_38merge_mergepath_config_static_selectorELNS0_4arch9wavefront6targetE1EEEvSM_
; %bb.0:
	.section	.rodata,"a",@progbits
	.p2align	6, 0x0
	.amdhsa_kernel _ZN7rocprim17ROCPRIM_400000_NS6detail17trampoline_kernelINS0_14default_configENS1_38merge_sort_block_merge_config_selectorIlNS0_10empty_typeEEEZZNS1_27merge_sort_block_merge_implIS3_PlPS5_mZN2at6native12_GLOBAL__N_124unique_dim_cuda_templateIaEESt5tupleIJNSA_6TensorESF_SF_EERKSF_lbbbEUlllE_EE10hipError_tT0_T1_T2_jT3_P12ihipStream_tbPNSt15iterator_traitsISL_E10value_typeEPNSR_ISM_E10value_typeEPSN_NS1_7vsmem_tEENKUlT_SL_SM_SN_E_clIS8_S8_S9_S9_EESK_S10_SL_SM_SN_EUlS10_E0_NS1_11comp_targetILNS1_3genE8ELNS1_11target_archE1030ELNS1_3gpuE2ELNS1_3repE0EEENS1_38merge_mergepath_config_static_selectorELNS0_4arch9wavefront6targetE1EEEvSM_
		.amdhsa_group_segment_fixed_size 0
		.amdhsa_private_segment_fixed_size 0
		.amdhsa_kernarg_size 88
		.amdhsa_user_sgpr_count 6
		.amdhsa_user_sgpr_private_segment_buffer 1
		.amdhsa_user_sgpr_dispatch_ptr 0
		.amdhsa_user_sgpr_queue_ptr 0
		.amdhsa_user_sgpr_kernarg_segment_ptr 1
		.amdhsa_user_sgpr_dispatch_id 0
		.amdhsa_user_sgpr_flat_scratch_init 0
		.amdhsa_user_sgpr_kernarg_preload_length 0
		.amdhsa_user_sgpr_kernarg_preload_offset 0
		.amdhsa_user_sgpr_private_segment_size 0
		.amdhsa_uses_dynamic_stack 0
		.amdhsa_system_sgpr_private_segment_wavefront_offset 0
		.amdhsa_system_sgpr_workgroup_id_x 1
		.amdhsa_system_sgpr_workgroup_id_y 0
		.amdhsa_system_sgpr_workgroup_id_z 0
		.amdhsa_system_sgpr_workgroup_info 0
		.amdhsa_system_vgpr_workitem_id 0
		.amdhsa_next_free_vgpr 1
		.amdhsa_next_free_sgpr 0
		.amdhsa_accum_offset 4
		.amdhsa_reserve_vcc 0
		.amdhsa_reserve_flat_scratch 0
		.amdhsa_float_round_mode_32 0
		.amdhsa_float_round_mode_16_64 0
		.amdhsa_float_denorm_mode_32 3
		.amdhsa_float_denorm_mode_16_64 3
		.amdhsa_dx10_clamp 1
		.amdhsa_ieee_mode 1
		.amdhsa_fp16_overflow 0
		.amdhsa_tg_split 0
		.amdhsa_exception_fp_ieee_invalid_op 0
		.amdhsa_exception_fp_denorm_src 0
		.amdhsa_exception_fp_ieee_div_zero 0
		.amdhsa_exception_fp_ieee_overflow 0
		.amdhsa_exception_fp_ieee_underflow 0
		.amdhsa_exception_fp_ieee_inexact 0
		.amdhsa_exception_int_div_zero 0
	.end_amdhsa_kernel
	.section	.text._ZN7rocprim17ROCPRIM_400000_NS6detail17trampoline_kernelINS0_14default_configENS1_38merge_sort_block_merge_config_selectorIlNS0_10empty_typeEEEZZNS1_27merge_sort_block_merge_implIS3_PlPS5_mZN2at6native12_GLOBAL__N_124unique_dim_cuda_templateIaEESt5tupleIJNSA_6TensorESF_SF_EERKSF_lbbbEUlllE_EE10hipError_tT0_T1_T2_jT3_P12ihipStream_tbPNSt15iterator_traitsISL_E10value_typeEPNSR_ISM_E10value_typeEPSN_NS1_7vsmem_tEENKUlT_SL_SM_SN_E_clIS8_S8_S9_S9_EESK_S10_SL_SM_SN_EUlS10_E0_NS1_11comp_targetILNS1_3genE8ELNS1_11target_archE1030ELNS1_3gpuE2ELNS1_3repE0EEENS1_38merge_mergepath_config_static_selectorELNS0_4arch9wavefront6targetE1EEEvSM_,"axG",@progbits,_ZN7rocprim17ROCPRIM_400000_NS6detail17trampoline_kernelINS0_14default_configENS1_38merge_sort_block_merge_config_selectorIlNS0_10empty_typeEEEZZNS1_27merge_sort_block_merge_implIS3_PlPS5_mZN2at6native12_GLOBAL__N_124unique_dim_cuda_templateIaEESt5tupleIJNSA_6TensorESF_SF_EERKSF_lbbbEUlllE_EE10hipError_tT0_T1_T2_jT3_P12ihipStream_tbPNSt15iterator_traitsISL_E10value_typeEPNSR_ISM_E10value_typeEPSN_NS1_7vsmem_tEENKUlT_SL_SM_SN_E_clIS8_S8_S9_S9_EESK_S10_SL_SM_SN_EUlS10_E0_NS1_11comp_targetILNS1_3genE8ELNS1_11target_archE1030ELNS1_3gpuE2ELNS1_3repE0EEENS1_38merge_mergepath_config_static_selectorELNS0_4arch9wavefront6targetE1EEEvSM_,comdat
.Lfunc_end285:
	.size	_ZN7rocprim17ROCPRIM_400000_NS6detail17trampoline_kernelINS0_14default_configENS1_38merge_sort_block_merge_config_selectorIlNS0_10empty_typeEEEZZNS1_27merge_sort_block_merge_implIS3_PlPS5_mZN2at6native12_GLOBAL__N_124unique_dim_cuda_templateIaEESt5tupleIJNSA_6TensorESF_SF_EERKSF_lbbbEUlllE_EE10hipError_tT0_T1_T2_jT3_P12ihipStream_tbPNSt15iterator_traitsISL_E10value_typeEPNSR_ISM_E10value_typeEPSN_NS1_7vsmem_tEENKUlT_SL_SM_SN_E_clIS8_S8_S9_S9_EESK_S10_SL_SM_SN_EUlS10_E0_NS1_11comp_targetILNS1_3genE8ELNS1_11target_archE1030ELNS1_3gpuE2ELNS1_3repE0EEENS1_38merge_mergepath_config_static_selectorELNS0_4arch9wavefront6targetE1EEEvSM_, .Lfunc_end285-_ZN7rocprim17ROCPRIM_400000_NS6detail17trampoline_kernelINS0_14default_configENS1_38merge_sort_block_merge_config_selectorIlNS0_10empty_typeEEEZZNS1_27merge_sort_block_merge_implIS3_PlPS5_mZN2at6native12_GLOBAL__N_124unique_dim_cuda_templateIaEESt5tupleIJNSA_6TensorESF_SF_EERKSF_lbbbEUlllE_EE10hipError_tT0_T1_T2_jT3_P12ihipStream_tbPNSt15iterator_traitsISL_E10value_typeEPNSR_ISM_E10value_typeEPSN_NS1_7vsmem_tEENKUlT_SL_SM_SN_E_clIS8_S8_S9_S9_EESK_S10_SL_SM_SN_EUlS10_E0_NS1_11comp_targetILNS1_3genE8ELNS1_11target_archE1030ELNS1_3gpuE2ELNS1_3repE0EEENS1_38merge_mergepath_config_static_selectorELNS0_4arch9wavefront6targetE1EEEvSM_
                                        ; -- End function
	.section	.AMDGPU.csdata,"",@progbits
; Kernel info:
; codeLenInByte = 0
; NumSgprs: 4
; NumVgprs: 0
; NumAgprs: 0
; TotalNumVgprs: 0
; ScratchSize: 0
; MemoryBound: 0
; FloatMode: 240
; IeeeMode: 1
; LDSByteSize: 0 bytes/workgroup (compile time only)
; SGPRBlocks: 0
; VGPRBlocks: 0
; NumSGPRsForWavesPerEU: 4
; NumVGPRsForWavesPerEU: 1
; AccumOffset: 4
; Occupancy: 8
; WaveLimiterHint : 0
; COMPUTE_PGM_RSRC2:SCRATCH_EN: 0
; COMPUTE_PGM_RSRC2:USER_SGPR: 6
; COMPUTE_PGM_RSRC2:TRAP_HANDLER: 0
; COMPUTE_PGM_RSRC2:TGID_X_EN: 1
; COMPUTE_PGM_RSRC2:TGID_Y_EN: 0
; COMPUTE_PGM_RSRC2:TGID_Z_EN: 0
; COMPUTE_PGM_RSRC2:TIDIG_COMP_CNT: 0
; COMPUTE_PGM_RSRC3_GFX90A:ACCUM_OFFSET: 0
; COMPUTE_PGM_RSRC3_GFX90A:TG_SPLIT: 0
	.section	.text._ZN7rocprim17ROCPRIM_400000_NS6detail17trampoline_kernelINS0_14default_configENS1_38merge_sort_block_merge_config_selectorIlNS0_10empty_typeEEEZZNS1_27merge_sort_block_merge_implIS3_PlPS5_mZN2at6native12_GLOBAL__N_124unique_dim_cuda_templateIaEESt5tupleIJNSA_6TensorESF_SF_EERKSF_lbbbEUlllE_EE10hipError_tT0_T1_T2_jT3_P12ihipStream_tbPNSt15iterator_traitsISL_E10value_typeEPNSR_ISM_E10value_typeEPSN_NS1_7vsmem_tEENKUlT_SL_SM_SN_E_clIS8_S8_S9_S9_EESK_S10_SL_SM_SN_EUlS10_E1_NS1_11comp_targetILNS1_3genE0ELNS1_11target_archE4294967295ELNS1_3gpuE0ELNS1_3repE0EEENS1_36merge_oddeven_config_static_selectorELNS0_4arch9wavefront6targetE1EEEvSM_,"axG",@progbits,_ZN7rocprim17ROCPRIM_400000_NS6detail17trampoline_kernelINS0_14default_configENS1_38merge_sort_block_merge_config_selectorIlNS0_10empty_typeEEEZZNS1_27merge_sort_block_merge_implIS3_PlPS5_mZN2at6native12_GLOBAL__N_124unique_dim_cuda_templateIaEESt5tupleIJNSA_6TensorESF_SF_EERKSF_lbbbEUlllE_EE10hipError_tT0_T1_T2_jT3_P12ihipStream_tbPNSt15iterator_traitsISL_E10value_typeEPNSR_ISM_E10value_typeEPSN_NS1_7vsmem_tEENKUlT_SL_SM_SN_E_clIS8_S8_S9_S9_EESK_S10_SL_SM_SN_EUlS10_E1_NS1_11comp_targetILNS1_3genE0ELNS1_11target_archE4294967295ELNS1_3gpuE0ELNS1_3repE0EEENS1_36merge_oddeven_config_static_selectorELNS0_4arch9wavefront6targetE1EEEvSM_,comdat
	.globl	_ZN7rocprim17ROCPRIM_400000_NS6detail17trampoline_kernelINS0_14default_configENS1_38merge_sort_block_merge_config_selectorIlNS0_10empty_typeEEEZZNS1_27merge_sort_block_merge_implIS3_PlPS5_mZN2at6native12_GLOBAL__N_124unique_dim_cuda_templateIaEESt5tupleIJNSA_6TensorESF_SF_EERKSF_lbbbEUlllE_EE10hipError_tT0_T1_T2_jT3_P12ihipStream_tbPNSt15iterator_traitsISL_E10value_typeEPNSR_ISM_E10value_typeEPSN_NS1_7vsmem_tEENKUlT_SL_SM_SN_E_clIS8_S8_S9_S9_EESK_S10_SL_SM_SN_EUlS10_E1_NS1_11comp_targetILNS1_3genE0ELNS1_11target_archE4294967295ELNS1_3gpuE0ELNS1_3repE0EEENS1_36merge_oddeven_config_static_selectorELNS0_4arch9wavefront6targetE1EEEvSM_ ; -- Begin function _ZN7rocprim17ROCPRIM_400000_NS6detail17trampoline_kernelINS0_14default_configENS1_38merge_sort_block_merge_config_selectorIlNS0_10empty_typeEEEZZNS1_27merge_sort_block_merge_implIS3_PlPS5_mZN2at6native12_GLOBAL__N_124unique_dim_cuda_templateIaEESt5tupleIJNSA_6TensorESF_SF_EERKSF_lbbbEUlllE_EE10hipError_tT0_T1_T2_jT3_P12ihipStream_tbPNSt15iterator_traitsISL_E10value_typeEPNSR_ISM_E10value_typeEPSN_NS1_7vsmem_tEENKUlT_SL_SM_SN_E_clIS8_S8_S9_S9_EESK_S10_SL_SM_SN_EUlS10_E1_NS1_11comp_targetILNS1_3genE0ELNS1_11target_archE4294967295ELNS1_3gpuE0ELNS1_3repE0EEENS1_36merge_oddeven_config_static_selectorELNS0_4arch9wavefront6targetE1EEEvSM_
	.p2align	8
	.type	_ZN7rocprim17ROCPRIM_400000_NS6detail17trampoline_kernelINS0_14default_configENS1_38merge_sort_block_merge_config_selectorIlNS0_10empty_typeEEEZZNS1_27merge_sort_block_merge_implIS3_PlPS5_mZN2at6native12_GLOBAL__N_124unique_dim_cuda_templateIaEESt5tupleIJNSA_6TensorESF_SF_EERKSF_lbbbEUlllE_EE10hipError_tT0_T1_T2_jT3_P12ihipStream_tbPNSt15iterator_traitsISL_E10value_typeEPNSR_ISM_E10value_typeEPSN_NS1_7vsmem_tEENKUlT_SL_SM_SN_E_clIS8_S8_S9_S9_EESK_S10_SL_SM_SN_EUlS10_E1_NS1_11comp_targetILNS1_3genE0ELNS1_11target_archE4294967295ELNS1_3gpuE0ELNS1_3repE0EEENS1_36merge_oddeven_config_static_selectorELNS0_4arch9wavefront6targetE1EEEvSM_,@function
_ZN7rocprim17ROCPRIM_400000_NS6detail17trampoline_kernelINS0_14default_configENS1_38merge_sort_block_merge_config_selectorIlNS0_10empty_typeEEEZZNS1_27merge_sort_block_merge_implIS3_PlPS5_mZN2at6native12_GLOBAL__N_124unique_dim_cuda_templateIaEESt5tupleIJNSA_6TensorESF_SF_EERKSF_lbbbEUlllE_EE10hipError_tT0_T1_T2_jT3_P12ihipStream_tbPNSt15iterator_traitsISL_E10value_typeEPNSR_ISM_E10value_typeEPSN_NS1_7vsmem_tEENKUlT_SL_SM_SN_E_clIS8_S8_S9_S9_EESK_S10_SL_SM_SN_EUlS10_E1_NS1_11comp_targetILNS1_3genE0ELNS1_11target_archE4294967295ELNS1_3gpuE0ELNS1_3repE0EEENS1_36merge_oddeven_config_static_selectorELNS0_4arch9wavefront6targetE1EEEvSM_: ; @_ZN7rocprim17ROCPRIM_400000_NS6detail17trampoline_kernelINS0_14default_configENS1_38merge_sort_block_merge_config_selectorIlNS0_10empty_typeEEEZZNS1_27merge_sort_block_merge_implIS3_PlPS5_mZN2at6native12_GLOBAL__N_124unique_dim_cuda_templateIaEESt5tupleIJNSA_6TensorESF_SF_EERKSF_lbbbEUlllE_EE10hipError_tT0_T1_T2_jT3_P12ihipStream_tbPNSt15iterator_traitsISL_E10value_typeEPNSR_ISM_E10value_typeEPSN_NS1_7vsmem_tEENKUlT_SL_SM_SN_E_clIS8_S8_S9_S9_EESK_S10_SL_SM_SN_EUlS10_E1_NS1_11comp_targetILNS1_3genE0ELNS1_11target_archE4294967295ELNS1_3gpuE0ELNS1_3repE0EEENS1_36merge_oddeven_config_static_selectorELNS0_4arch9wavefront6targetE1EEEvSM_
; %bb.0:
	.section	.rodata,"a",@progbits
	.p2align	6, 0x0
	.amdhsa_kernel _ZN7rocprim17ROCPRIM_400000_NS6detail17trampoline_kernelINS0_14default_configENS1_38merge_sort_block_merge_config_selectorIlNS0_10empty_typeEEEZZNS1_27merge_sort_block_merge_implIS3_PlPS5_mZN2at6native12_GLOBAL__N_124unique_dim_cuda_templateIaEESt5tupleIJNSA_6TensorESF_SF_EERKSF_lbbbEUlllE_EE10hipError_tT0_T1_T2_jT3_P12ihipStream_tbPNSt15iterator_traitsISL_E10value_typeEPNSR_ISM_E10value_typeEPSN_NS1_7vsmem_tEENKUlT_SL_SM_SN_E_clIS8_S8_S9_S9_EESK_S10_SL_SM_SN_EUlS10_E1_NS1_11comp_targetILNS1_3genE0ELNS1_11target_archE4294967295ELNS1_3gpuE0ELNS1_3repE0EEENS1_36merge_oddeven_config_static_selectorELNS0_4arch9wavefront6targetE1EEEvSM_
		.amdhsa_group_segment_fixed_size 0
		.amdhsa_private_segment_fixed_size 0
		.amdhsa_kernarg_size 64
		.amdhsa_user_sgpr_count 6
		.amdhsa_user_sgpr_private_segment_buffer 1
		.amdhsa_user_sgpr_dispatch_ptr 0
		.amdhsa_user_sgpr_queue_ptr 0
		.amdhsa_user_sgpr_kernarg_segment_ptr 1
		.amdhsa_user_sgpr_dispatch_id 0
		.amdhsa_user_sgpr_flat_scratch_init 0
		.amdhsa_user_sgpr_kernarg_preload_length 0
		.amdhsa_user_sgpr_kernarg_preload_offset 0
		.amdhsa_user_sgpr_private_segment_size 0
		.amdhsa_uses_dynamic_stack 0
		.amdhsa_system_sgpr_private_segment_wavefront_offset 0
		.amdhsa_system_sgpr_workgroup_id_x 1
		.amdhsa_system_sgpr_workgroup_id_y 0
		.amdhsa_system_sgpr_workgroup_id_z 0
		.amdhsa_system_sgpr_workgroup_info 0
		.amdhsa_system_vgpr_workitem_id 0
		.amdhsa_next_free_vgpr 1
		.amdhsa_next_free_sgpr 0
		.amdhsa_accum_offset 4
		.amdhsa_reserve_vcc 0
		.amdhsa_reserve_flat_scratch 0
		.amdhsa_float_round_mode_32 0
		.amdhsa_float_round_mode_16_64 0
		.amdhsa_float_denorm_mode_32 3
		.amdhsa_float_denorm_mode_16_64 3
		.amdhsa_dx10_clamp 1
		.amdhsa_ieee_mode 1
		.amdhsa_fp16_overflow 0
		.amdhsa_tg_split 0
		.amdhsa_exception_fp_ieee_invalid_op 0
		.amdhsa_exception_fp_denorm_src 0
		.amdhsa_exception_fp_ieee_div_zero 0
		.amdhsa_exception_fp_ieee_overflow 0
		.amdhsa_exception_fp_ieee_underflow 0
		.amdhsa_exception_fp_ieee_inexact 0
		.amdhsa_exception_int_div_zero 0
	.end_amdhsa_kernel
	.section	.text._ZN7rocprim17ROCPRIM_400000_NS6detail17trampoline_kernelINS0_14default_configENS1_38merge_sort_block_merge_config_selectorIlNS0_10empty_typeEEEZZNS1_27merge_sort_block_merge_implIS3_PlPS5_mZN2at6native12_GLOBAL__N_124unique_dim_cuda_templateIaEESt5tupleIJNSA_6TensorESF_SF_EERKSF_lbbbEUlllE_EE10hipError_tT0_T1_T2_jT3_P12ihipStream_tbPNSt15iterator_traitsISL_E10value_typeEPNSR_ISM_E10value_typeEPSN_NS1_7vsmem_tEENKUlT_SL_SM_SN_E_clIS8_S8_S9_S9_EESK_S10_SL_SM_SN_EUlS10_E1_NS1_11comp_targetILNS1_3genE0ELNS1_11target_archE4294967295ELNS1_3gpuE0ELNS1_3repE0EEENS1_36merge_oddeven_config_static_selectorELNS0_4arch9wavefront6targetE1EEEvSM_,"axG",@progbits,_ZN7rocprim17ROCPRIM_400000_NS6detail17trampoline_kernelINS0_14default_configENS1_38merge_sort_block_merge_config_selectorIlNS0_10empty_typeEEEZZNS1_27merge_sort_block_merge_implIS3_PlPS5_mZN2at6native12_GLOBAL__N_124unique_dim_cuda_templateIaEESt5tupleIJNSA_6TensorESF_SF_EERKSF_lbbbEUlllE_EE10hipError_tT0_T1_T2_jT3_P12ihipStream_tbPNSt15iterator_traitsISL_E10value_typeEPNSR_ISM_E10value_typeEPSN_NS1_7vsmem_tEENKUlT_SL_SM_SN_E_clIS8_S8_S9_S9_EESK_S10_SL_SM_SN_EUlS10_E1_NS1_11comp_targetILNS1_3genE0ELNS1_11target_archE4294967295ELNS1_3gpuE0ELNS1_3repE0EEENS1_36merge_oddeven_config_static_selectorELNS0_4arch9wavefront6targetE1EEEvSM_,comdat
.Lfunc_end286:
	.size	_ZN7rocprim17ROCPRIM_400000_NS6detail17trampoline_kernelINS0_14default_configENS1_38merge_sort_block_merge_config_selectorIlNS0_10empty_typeEEEZZNS1_27merge_sort_block_merge_implIS3_PlPS5_mZN2at6native12_GLOBAL__N_124unique_dim_cuda_templateIaEESt5tupleIJNSA_6TensorESF_SF_EERKSF_lbbbEUlllE_EE10hipError_tT0_T1_T2_jT3_P12ihipStream_tbPNSt15iterator_traitsISL_E10value_typeEPNSR_ISM_E10value_typeEPSN_NS1_7vsmem_tEENKUlT_SL_SM_SN_E_clIS8_S8_S9_S9_EESK_S10_SL_SM_SN_EUlS10_E1_NS1_11comp_targetILNS1_3genE0ELNS1_11target_archE4294967295ELNS1_3gpuE0ELNS1_3repE0EEENS1_36merge_oddeven_config_static_selectorELNS0_4arch9wavefront6targetE1EEEvSM_, .Lfunc_end286-_ZN7rocprim17ROCPRIM_400000_NS6detail17trampoline_kernelINS0_14default_configENS1_38merge_sort_block_merge_config_selectorIlNS0_10empty_typeEEEZZNS1_27merge_sort_block_merge_implIS3_PlPS5_mZN2at6native12_GLOBAL__N_124unique_dim_cuda_templateIaEESt5tupleIJNSA_6TensorESF_SF_EERKSF_lbbbEUlllE_EE10hipError_tT0_T1_T2_jT3_P12ihipStream_tbPNSt15iterator_traitsISL_E10value_typeEPNSR_ISM_E10value_typeEPSN_NS1_7vsmem_tEENKUlT_SL_SM_SN_E_clIS8_S8_S9_S9_EESK_S10_SL_SM_SN_EUlS10_E1_NS1_11comp_targetILNS1_3genE0ELNS1_11target_archE4294967295ELNS1_3gpuE0ELNS1_3repE0EEENS1_36merge_oddeven_config_static_selectorELNS0_4arch9wavefront6targetE1EEEvSM_
                                        ; -- End function
	.section	.AMDGPU.csdata,"",@progbits
; Kernel info:
; codeLenInByte = 0
; NumSgprs: 4
; NumVgprs: 0
; NumAgprs: 0
; TotalNumVgprs: 0
; ScratchSize: 0
; MemoryBound: 0
; FloatMode: 240
; IeeeMode: 1
; LDSByteSize: 0 bytes/workgroup (compile time only)
; SGPRBlocks: 0
; VGPRBlocks: 0
; NumSGPRsForWavesPerEU: 4
; NumVGPRsForWavesPerEU: 1
; AccumOffset: 4
; Occupancy: 8
; WaveLimiterHint : 0
; COMPUTE_PGM_RSRC2:SCRATCH_EN: 0
; COMPUTE_PGM_RSRC2:USER_SGPR: 6
; COMPUTE_PGM_RSRC2:TRAP_HANDLER: 0
; COMPUTE_PGM_RSRC2:TGID_X_EN: 1
; COMPUTE_PGM_RSRC2:TGID_Y_EN: 0
; COMPUTE_PGM_RSRC2:TGID_Z_EN: 0
; COMPUTE_PGM_RSRC2:TIDIG_COMP_CNT: 0
; COMPUTE_PGM_RSRC3_GFX90A:ACCUM_OFFSET: 0
; COMPUTE_PGM_RSRC3_GFX90A:TG_SPLIT: 0
	.section	.text._ZN7rocprim17ROCPRIM_400000_NS6detail17trampoline_kernelINS0_14default_configENS1_38merge_sort_block_merge_config_selectorIlNS0_10empty_typeEEEZZNS1_27merge_sort_block_merge_implIS3_PlPS5_mZN2at6native12_GLOBAL__N_124unique_dim_cuda_templateIaEESt5tupleIJNSA_6TensorESF_SF_EERKSF_lbbbEUlllE_EE10hipError_tT0_T1_T2_jT3_P12ihipStream_tbPNSt15iterator_traitsISL_E10value_typeEPNSR_ISM_E10value_typeEPSN_NS1_7vsmem_tEENKUlT_SL_SM_SN_E_clIS8_S8_S9_S9_EESK_S10_SL_SM_SN_EUlS10_E1_NS1_11comp_targetILNS1_3genE10ELNS1_11target_archE1201ELNS1_3gpuE5ELNS1_3repE0EEENS1_36merge_oddeven_config_static_selectorELNS0_4arch9wavefront6targetE1EEEvSM_,"axG",@progbits,_ZN7rocprim17ROCPRIM_400000_NS6detail17trampoline_kernelINS0_14default_configENS1_38merge_sort_block_merge_config_selectorIlNS0_10empty_typeEEEZZNS1_27merge_sort_block_merge_implIS3_PlPS5_mZN2at6native12_GLOBAL__N_124unique_dim_cuda_templateIaEESt5tupleIJNSA_6TensorESF_SF_EERKSF_lbbbEUlllE_EE10hipError_tT0_T1_T2_jT3_P12ihipStream_tbPNSt15iterator_traitsISL_E10value_typeEPNSR_ISM_E10value_typeEPSN_NS1_7vsmem_tEENKUlT_SL_SM_SN_E_clIS8_S8_S9_S9_EESK_S10_SL_SM_SN_EUlS10_E1_NS1_11comp_targetILNS1_3genE10ELNS1_11target_archE1201ELNS1_3gpuE5ELNS1_3repE0EEENS1_36merge_oddeven_config_static_selectorELNS0_4arch9wavefront6targetE1EEEvSM_,comdat
	.globl	_ZN7rocprim17ROCPRIM_400000_NS6detail17trampoline_kernelINS0_14default_configENS1_38merge_sort_block_merge_config_selectorIlNS0_10empty_typeEEEZZNS1_27merge_sort_block_merge_implIS3_PlPS5_mZN2at6native12_GLOBAL__N_124unique_dim_cuda_templateIaEESt5tupleIJNSA_6TensorESF_SF_EERKSF_lbbbEUlllE_EE10hipError_tT0_T1_T2_jT3_P12ihipStream_tbPNSt15iterator_traitsISL_E10value_typeEPNSR_ISM_E10value_typeEPSN_NS1_7vsmem_tEENKUlT_SL_SM_SN_E_clIS8_S8_S9_S9_EESK_S10_SL_SM_SN_EUlS10_E1_NS1_11comp_targetILNS1_3genE10ELNS1_11target_archE1201ELNS1_3gpuE5ELNS1_3repE0EEENS1_36merge_oddeven_config_static_selectorELNS0_4arch9wavefront6targetE1EEEvSM_ ; -- Begin function _ZN7rocprim17ROCPRIM_400000_NS6detail17trampoline_kernelINS0_14default_configENS1_38merge_sort_block_merge_config_selectorIlNS0_10empty_typeEEEZZNS1_27merge_sort_block_merge_implIS3_PlPS5_mZN2at6native12_GLOBAL__N_124unique_dim_cuda_templateIaEESt5tupleIJNSA_6TensorESF_SF_EERKSF_lbbbEUlllE_EE10hipError_tT0_T1_T2_jT3_P12ihipStream_tbPNSt15iterator_traitsISL_E10value_typeEPNSR_ISM_E10value_typeEPSN_NS1_7vsmem_tEENKUlT_SL_SM_SN_E_clIS8_S8_S9_S9_EESK_S10_SL_SM_SN_EUlS10_E1_NS1_11comp_targetILNS1_3genE10ELNS1_11target_archE1201ELNS1_3gpuE5ELNS1_3repE0EEENS1_36merge_oddeven_config_static_selectorELNS0_4arch9wavefront6targetE1EEEvSM_
	.p2align	8
	.type	_ZN7rocprim17ROCPRIM_400000_NS6detail17trampoline_kernelINS0_14default_configENS1_38merge_sort_block_merge_config_selectorIlNS0_10empty_typeEEEZZNS1_27merge_sort_block_merge_implIS3_PlPS5_mZN2at6native12_GLOBAL__N_124unique_dim_cuda_templateIaEESt5tupleIJNSA_6TensorESF_SF_EERKSF_lbbbEUlllE_EE10hipError_tT0_T1_T2_jT3_P12ihipStream_tbPNSt15iterator_traitsISL_E10value_typeEPNSR_ISM_E10value_typeEPSN_NS1_7vsmem_tEENKUlT_SL_SM_SN_E_clIS8_S8_S9_S9_EESK_S10_SL_SM_SN_EUlS10_E1_NS1_11comp_targetILNS1_3genE10ELNS1_11target_archE1201ELNS1_3gpuE5ELNS1_3repE0EEENS1_36merge_oddeven_config_static_selectorELNS0_4arch9wavefront6targetE1EEEvSM_,@function
_ZN7rocprim17ROCPRIM_400000_NS6detail17trampoline_kernelINS0_14default_configENS1_38merge_sort_block_merge_config_selectorIlNS0_10empty_typeEEEZZNS1_27merge_sort_block_merge_implIS3_PlPS5_mZN2at6native12_GLOBAL__N_124unique_dim_cuda_templateIaEESt5tupleIJNSA_6TensorESF_SF_EERKSF_lbbbEUlllE_EE10hipError_tT0_T1_T2_jT3_P12ihipStream_tbPNSt15iterator_traitsISL_E10value_typeEPNSR_ISM_E10value_typeEPSN_NS1_7vsmem_tEENKUlT_SL_SM_SN_E_clIS8_S8_S9_S9_EESK_S10_SL_SM_SN_EUlS10_E1_NS1_11comp_targetILNS1_3genE10ELNS1_11target_archE1201ELNS1_3gpuE5ELNS1_3repE0EEENS1_36merge_oddeven_config_static_selectorELNS0_4arch9wavefront6targetE1EEEvSM_: ; @_ZN7rocprim17ROCPRIM_400000_NS6detail17trampoline_kernelINS0_14default_configENS1_38merge_sort_block_merge_config_selectorIlNS0_10empty_typeEEEZZNS1_27merge_sort_block_merge_implIS3_PlPS5_mZN2at6native12_GLOBAL__N_124unique_dim_cuda_templateIaEESt5tupleIJNSA_6TensorESF_SF_EERKSF_lbbbEUlllE_EE10hipError_tT0_T1_T2_jT3_P12ihipStream_tbPNSt15iterator_traitsISL_E10value_typeEPNSR_ISM_E10value_typeEPSN_NS1_7vsmem_tEENKUlT_SL_SM_SN_E_clIS8_S8_S9_S9_EESK_S10_SL_SM_SN_EUlS10_E1_NS1_11comp_targetILNS1_3genE10ELNS1_11target_archE1201ELNS1_3gpuE5ELNS1_3repE0EEENS1_36merge_oddeven_config_static_selectorELNS0_4arch9wavefront6targetE1EEEvSM_
; %bb.0:
	.section	.rodata,"a",@progbits
	.p2align	6, 0x0
	.amdhsa_kernel _ZN7rocprim17ROCPRIM_400000_NS6detail17trampoline_kernelINS0_14default_configENS1_38merge_sort_block_merge_config_selectorIlNS0_10empty_typeEEEZZNS1_27merge_sort_block_merge_implIS3_PlPS5_mZN2at6native12_GLOBAL__N_124unique_dim_cuda_templateIaEESt5tupleIJNSA_6TensorESF_SF_EERKSF_lbbbEUlllE_EE10hipError_tT0_T1_T2_jT3_P12ihipStream_tbPNSt15iterator_traitsISL_E10value_typeEPNSR_ISM_E10value_typeEPSN_NS1_7vsmem_tEENKUlT_SL_SM_SN_E_clIS8_S8_S9_S9_EESK_S10_SL_SM_SN_EUlS10_E1_NS1_11comp_targetILNS1_3genE10ELNS1_11target_archE1201ELNS1_3gpuE5ELNS1_3repE0EEENS1_36merge_oddeven_config_static_selectorELNS0_4arch9wavefront6targetE1EEEvSM_
		.amdhsa_group_segment_fixed_size 0
		.amdhsa_private_segment_fixed_size 0
		.amdhsa_kernarg_size 64
		.amdhsa_user_sgpr_count 6
		.amdhsa_user_sgpr_private_segment_buffer 1
		.amdhsa_user_sgpr_dispatch_ptr 0
		.amdhsa_user_sgpr_queue_ptr 0
		.amdhsa_user_sgpr_kernarg_segment_ptr 1
		.amdhsa_user_sgpr_dispatch_id 0
		.amdhsa_user_sgpr_flat_scratch_init 0
		.amdhsa_user_sgpr_kernarg_preload_length 0
		.amdhsa_user_sgpr_kernarg_preload_offset 0
		.amdhsa_user_sgpr_private_segment_size 0
		.amdhsa_uses_dynamic_stack 0
		.amdhsa_system_sgpr_private_segment_wavefront_offset 0
		.amdhsa_system_sgpr_workgroup_id_x 1
		.amdhsa_system_sgpr_workgroup_id_y 0
		.amdhsa_system_sgpr_workgroup_id_z 0
		.amdhsa_system_sgpr_workgroup_info 0
		.amdhsa_system_vgpr_workitem_id 0
		.amdhsa_next_free_vgpr 1
		.amdhsa_next_free_sgpr 0
		.amdhsa_accum_offset 4
		.amdhsa_reserve_vcc 0
		.amdhsa_reserve_flat_scratch 0
		.amdhsa_float_round_mode_32 0
		.amdhsa_float_round_mode_16_64 0
		.amdhsa_float_denorm_mode_32 3
		.amdhsa_float_denorm_mode_16_64 3
		.amdhsa_dx10_clamp 1
		.amdhsa_ieee_mode 1
		.amdhsa_fp16_overflow 0
		.amdhsa_tg_split 0
		.amdhsa_exception_fp_ieee_invalid_op 0
		.amdhsa_exception_fp_denorm_src 0
		.amdhsa_exception_fp_ieee_div_zero 0
		.amdhsa_exception_fp_ieee_overflow 0
		.amdhsa_exception_fp_ieee_underflow 0
		.amdhsa_exception_fp_ieee_inexact 0
		.amdhsa_exception_int_div_zero 0
	.end_amdhsa_kernel
	.section	.text._ZN7rocprim17ROCPRIM_400000_NS6detail17trampoline_kernelINS0_14default_configENS1_38merge_sort_block_merge_config_selectorIlNS0_10empty_typeEEEZZNS1_27merge_sort_block_merge_implIS3_PlPS5_mZN2at6native12_GLOBAL__N_124unique_dim_cuda_templateIaEESt5tupleIJNSA_6TensorESF_SF_EERKSF_lbbbEUlllE_EE10hipError_tT0_T1_T2_jT3_P12ihipStream_tbPNSt15iterator_traitsISL_E10value_typeEPNSR_ISM_E10value_typeEPSN_NS1_7vsmem_tEENKUlT_SL_SM_SN_E_clIS8_S8_S9_S9_EESK_S10_SL_SM_SN_EUlS10_E1_NS1_11comp_targetILNS1_3genE10ELNS1_11target_archE1201ELNS1_3gpuE5ELNS1_3repE0EEENS1_36merge_oddeven_config_static_selectorELNS0_4arch9wavefront6targetE1EEEvSM_,"axG",@progbits,_ZN7rocprim17ROCPRIM_400000_NS6detail17trampoline_kernelINS0_14default_configENS1_38merge_sort_block_merge_config_selectorIlNS0_10empty_typeEEEZZNS1_27merge_sort_block_merge_implIS3_PlPS5_mZN2at6native12_GLOBAL__N_124unique_dim_cuda_templateIaEESt5tupleIJNSA_6TensorESF_SF_EERKSF_lbbbEUlllE_EE10hipError_tT0_T1_T2_jT3_P12ihipStream_tbPNSt15iterator_traitsISL_E10value_typeEPNSR_ISM_E10value_typeEPSN_NS1_7vsmem_tEENKUlT_SL_SM_SN_E_clIS8_S8_S9_S9_EESK_S10_SL_SM_SN_EUlS10_E1_NS1_11comp_targetILNS1_3genE10ELNS1_11target_archE1201ELNS1_3gpuE5ELNS1_3repE0EEENS1_36merge_oddeven_config_static_selectorELNS0_4arch9wavefront6targetE1EEEvSM_,comdat
.Lfunc_end287:
	.size	_ZN7rocprim17ROCPRIM_400000_NS6detail17trampoline_kernelINS0_14default_configENS1_38merge_sort_block_merge_config_selectorIlNS0_10empty_typeEEEZZNS1_27merge_sort_block_merge_implIS3_PlPS5_mZN2at6native12_GLOBAL__N_124unique_dim_cuda_templateIaEESt5tupleIJNSA_6TensorESF_SF_EERKSF_lbbbEUlllE_EE10hipError_tT0_T1_T2_jT3_P12ihipStream_tbPNSt15iterator_traitsISL_E10value_typeEPNSR_ISM_E10value_typeEPSN_NS1_7vsmem_tEENKUlT_SL_SM_SN_E_clIS8_S8_S9_S9_EESK_S10_SL_SM_SN_EUlS10_E1_NS1_11comp_targetILNS1_3genE10ELNS1_11target_archE1201ELNS1_3gpuE5ELNS1_3repE0EEENS1_36merge_oddeven_config_static_selectorELNS0_4arch9wavefront6targetE1EEEvSM_, .Lfunc_end287-_ZN7rocprim17ROCPRIM_400000_NS6detail17trampoline_kernelINS0_14default_configENS1_38merge_sort_block_merge_config_selectorIlNS0_10empty_typeEEEZZNS1_27merge_sort_block_merge_implIS3_PlPS5_mZN2at6native12_GLOBAL__N_124unique_dim_cuda_templateIaEESt5tupleIJNSA_6TensorESF_SF_EERKSF_lbbbEUlllE_EE10hipError_tT0_T1_T2_jT3_P12ihipStream_tbPNSt15iterator_traitsISL_E10value_typeEPNSR_ISM_E10value_typeEPSN_NS1_7vsmem_tEENKUlT_SL_SM_SN_E_clIS8_S8_S9_S9_EESK_S10_SL_SM_SN_EUlS10_E1_NS1_11comp_targetILNS1_3genE10ELNS1_11target_archE1201ELNS1_3gpuE5ELNS1_3repE0EEENS1_36merge_oddeven_config_static_selectorELNS0_4arch9wavefront6targetE1EEEvSM_
                                        ; -- End function
	.section	.AMDGPU.csdata,"",@progbits
; Kernel info:
; codeLenInByte = 0
; NumSgprs: 4
; NumVgprs: 0
; NumAgprs: 0
; TotalNumVgprs: 0
; ScratchSize: 0
; MemoryBound: 0
; FloatMode: 240
; IeeeMode: 1
; LDSByteSize: 0 bytes/workgroup (compile time only)
; SGPRBlocks: 0
; VGPRBlocks: 0
; NumSGPRsForWavesPerEU: 4
; NumVGPRsForWavesPerEU: 1
; AccumOffset: 4
; Occupancy: 8
; WaveLimiterHint : 0
; COMPUTE_PGM_RSRC2:SCRATCH_EN: 0
; COMPUTE_PGM_RSRC2:USER_SGPR: 6
; COMPUTE_PGM_RSRC2:TRAP_HANDLER: 0
; COMPUTE_PGM_RSRC2:TGID_X_EN: 1
; COMPUTE_PGM_RSRC2:TGID_Y_EN: 0
; COMPUTE_PGM_RSRC2:TGID_Z_EN: 0
; COMPUTE_PGM_RSRC2:TIDIG_COMP_CNT: 0
; COMPUTE_PGM_RSRC3_GFX90A:ACCUM_OFFSET: 0
; COMPUTE_PGM_RSRC3_GFX90A:TG_SPLIT: 0
	.section	.text._ZN7rocprim17ROCPRIM_400000_NS6detail17trampoline_kernelINS0_14default_configENS1_38merge_sort_block_merge_config_selectorIlNS0_10empty_typeEEEZZNS1_27merge_sort_block_merge_implIS3_PlPS5_mZN2at6native12_GLOBAL__N_124unique_dim_cuda_templateIaEESt5tupleIJNSA_6TensorESF_SF_EERKSF_lbbbEUlllE_EE10hipError_tT0_T1_T2_jT3_P12ihipStream_tbPNSt15iterator_traitsISL_E10value_typeEPNSR_ISM_E10value_typeEPSN_NS1_7vsmem_tEENKUlT_SL_SM_SN_E_clIS8_S8_S9_S9_EESK_S10_SL_SM_SN_EUlS10_E1_NS1_11comp_targetILNS1_3genE5ELNS1_11target_archE942ELNS1_3gpuE9ELNS1_3repE0EEENS1_36merge_oddeven_config_static_selectorELNS0_4arch9wavefront6targetE1EEEvSM_,"axG",@progbits,_ZN7rocprim17ROCPRIM_400000_NS6detail17trampoline_kernelINS0_14default_configENS1_38merge_sort_block_merge_config_selectorIlNS0_10empty_typeEEEZZNS1_27merge_sort_block_merge_implIS3_PlPS5_mZN2at6native12_GLOBAL__N_124unique_dim_cuda_templateIaEESt5tupleIJNSA_6TensorESF_SF_EERKSF_lbbbEUlllE_EE10hipError_tT0_T1_T2_jT3_P12ihipStream_tbPNSt15iterator_traitsISL_E10value_typeEPNSR_ISM_E10value_typeEPSN_NS1_7vsmem_tEENKUlT_SL_SM_SN_E_clIS8_S8_S9_S9_EESK_S10_SL_SM_SN_EUlS10_E1_NS1_11comp_targetILNS1_3genE5ELNS1_11target_archE942ELNS1_3gpuE9ELNS1_3repE0EEENS1_36merge_oddeven_config_static_selectorELNS0_4arch9wavefront6targetE1EEEvSM_,comdat
	.globl	_ZN7rocprim17ROCPRIM_400000_NS6detail17trampoline_kernelINS0_14default_configENS1_38merge_sort_block_merge_config_selectorIlNS0_10empty_typeEEEZZNS1_27merge_sort_block_merge_implIS3_PlPS5_mZN2at6native12_GLOBAL__N_124unique_dim_cuda_templateIaEESt5tupleIJNSA_6TensorESF_SF_EERKSF_lbbbEUlllE_EE10hipError_tT0_T1_T2_jT3_P12ihipStream_tbPNSt15iterator_traitsISL_E10value_typeEPNSR_ISM_E10value_typeEPSN_NS1_7vsmem_tEENKUlT_SL_SM_SN_E_clIS8_S8_S9_S9_EESK_S10_SL_SM_SN_EUlS10_E1_NS1_11comp_targetILNS1_3genE5ELNS1_11target_archE942ELNS1_3gpuE9ELNS1_3repE0EEENS1_36merge_oddeven_config_static_selectorELNS0_4arch9wavefront6targetE1EEEvSM_ ; -- Begin function _ZN7rocprim17ROCPRIM_400000_NS6detail17trampoline_kernelINS0_14default_configENS1_38merge_sort_block_merge_config_selectorIlNS0_10empty_typeEEEZZNS1_27merge_sort_block_merge_implIS3_PlPS5_mZN2at6native12_GLOBAL__N_124unique_dim_cuda_templateIaEESt5tupleIJNSA_6TensorESF_SF_EERKSF_lbbbEUlllE_EE10hipError_tT0_T1_T2_jT3_P12ihipStream_tbPNSt15iterator_traitsISL_E10value_typeEPNSR_ISM_E10value_typeEPSN_NS1_7vsmem_tEENKUlT_SL_SM_SN_E_clIS8_S8_S9_S9_EESK_S10_SL_SM_SN_EUlS10_E1_NS1_11comp_targetILNS1_3genE5ELNS1_11target_archE942ELNS1_3gpuE9ELNS1_3repE0EEENS1_36merge_oddeven_config_static_selectorELNS0_4arch9wavefront6targetE1EEEvSM_
	.p2align	8
	.type	_ZN7rocprim17ROCPRIM_400000_NS6detail17trampoline_kernelINS0_14default_configENS1_38merge_sort_block_merge_config_selectorIlNS0_10empty_typeEEEZZNS1_27merge_sort_block_merge_implIS3_PlPS5_mZN2at6native12_GLOBAL__N_124unique_dim_cuda_templateIaEESt5tupleIJNSA_6TensorESF_SF_EERKSF_lbbbEUlllE_EE10hipError_tT0_T1_T2_jT3_P12ihipStream_tbPNSt15iterator_traitsISL_E10value_typeEPNSR_ISM_E10value_typeEPSN_NS1_7vsmem_tEENKUlT_SL_SM_SN_E_clIS8_S8_S9_S9_EESK_S10_SL_SM_SN_EUlS10_E1_NS1_11comp_targetILNS1_3genE5ELNS1_11target_archE942ELNS1_3gpuE9ELNS1_3repE0EEENS1_36merge_oddeven_config_static_selectorELNS0_4arch9wavefront6targetE1EEEvSM_,@function
_ZN7rocprim17ROCPRIM_400000_NS6detail17trampoline_kernelINS0_14default_configENS1_38merge_sort_block_merge_config_selectorIlNS0_10empty_typeEEEZZNS1_27merge_sort_block_merge_implIS3_PlPS5_mZN2at6native12_GLOBAL__N_124unique_dim_cuda_templateIaEESt5tupleIJNSA_6TensorESF_SF_EERKSF_lbbbEUlllE_EE10hipError_tT0_T1_T2_jT3_P12ihipStream_tbPNSt15iterator_traitsISL_E10value_typeEPNSR_ISM_E10value_typeEPSN_NS1_7vsmem_tEENKUlT_SL_SM_SN_E_clIS8_S8_S9_S9_EESK_S10_SL_SM_SN_EUlS10_E1_NS1_11comp_targetILNS1_3genE5ELNS1_11target_archE942ELNS1_3gpuE9ELNS1_3repE0EEENS1_36merge_oddeven_config_static_selectorELNS0_4arch9wavefront6targetE1EEEvSM_: ; @_ZN7rocprim17ROCPRIM_400000_NS6detail17trampoline_kernelINS0_14default_configENS1_38merge_sort_block_merge_config_selectorIlNS0_10empty_typeEEEZZNS1_27merge_sort_block_merge_implIS3_PlPS5_mZN2at6native12_GLOBAL__N_124unique_dim_cuda_templateIaEESt5tupleIJNSA_6TensorESF_SF_EERKSF_lbbbEUlllE_EE10hipError_tT0_T1_T2_jT3_P12ihipStream_tbPNSt15iterator_traitsISL_E10value_typeEPNSR_ISM_E10value_typeEPSN_NS1_7vsmem_tEENKUlT_SL_SM_SN_E_clIS8_S8_S9_S9_EESK_S10_SL_SM_SN_EUlS10_E1_NS1_11comp_targetILNS1_3genE5ELNS1_11target_archE942ELNS1_3gpuE9ELNS1_3repE0EEENS1_36merge_oddeven_config_static_selectorELNS0_4arch9wavefront6targetE1EEEvSM_
; %bb.0:
	.section	.rodata,"a",@progbits
	.p2align	6, 0x0
	.amdhsa_kernel _ZN7rocprim17ROCPRIM_400000_NS6detail17trampoline_kernelINS0_14default_configENS1_38merge_sort_block_merge_config_selectorIlNS0_10empty_typeEEEZZNS1_27merge_sort_block_merge_implIS3_PlPS5_mZN2at6native12_GLOBAL__N_124unique_dim_cuda_templateIaEESt5tupleIJNSA_6TensorESF_SF_EERKSF_lbbbEUlllE_EE10hipError_tT0_T1_T2_jT3_P12ihipStream_tbPNSt15iterator_traitsISL_E10value_typeEPNSR_ISM_E10value_typeEPSN_NS1_7vsmem_tEENKUlT_SL_SM_SN_E_clIS8_S8_S9_S9_EESK_S10_SL_SM_SN_EUlS10_E1_NS1_11comp_targetILNS1_3genE5ELNS1_11target_archE942ELNS1_3gpuE9ELNS1_3repE0EEENS1_36merge_oddeven_config_static_selectorELNS0_4arch9wavefront6targetE1EEEvSM_
		.amdhsa_group_segment_fixed_size 0
		.amdhsa_private_segment_fixed_size 0
		.amdhsa_kernarg_size 64
		.amdhsa_user_sgpr_count 6
		.amdhsa_user_sgpr_private_segment_buffer 1
		.amdhsa_user_sgpr_dispatch_ptr 0
		.amdhsa_user_sgpr_queue_ptr 0
		.amdhsa_user_sgpr_kernarg_segment_ptr 1
		.amdhsa_user_sgpr_dispatch_id 0
		.amdhsa_user_sgpr_flat_scratch_init 0
		.amdhsa_user_sgpr_kernarg_preload_length 0
		.amdhsa_user_sgpr_kernarg_preload_offset 0
		.amdhsa_user_sgpr_private_segment_size 0
		.amdhsa_uses_dynamic_stack 0
		.amdhsa_system_sgpr_private_segment_wavefront_offset 0
		.amdhsa_system_sgpr_workgroup_id_x 1
		.amdhsa_system_sgpr_workgroup_id_y 0
		.amdhsa_system_sgpr_workgroup_id_z 0
		.amdhsa_system_sgpr_workgroup_info 0
		.amdhsa_system_vgpr_workitem_id 0
		.amdhsa_next_free_vgpr 1
		.amdhsa_next_free_sgpr 0
		.amdhsa_accum_offset 4
		.amdhsa_reserve_vcc 0
		.amdhsa_reserve_flat_scratch 0
		.amdhsa_float_round_mode_32 0
		.amdhsa_float_round_mode_16_64 0
		.amdhsa_float_denorm_mode_32 3
		.amdhsa_float_denorm_mode_16_64 3
		.amdhsa_dx10_clamp 1
		.amdhsa_ieee_mode 1
		.amdhsa_fp16_overflow 0
		.amdhsa_tg_split 0
		.amdhsa_exception_fp_ieee_invalid_op 0
		.amdhsa_exception_fp_denorm_src 0
		.amdhsa_exception_fp_ieee_div_zero 0
		.amdhsa_exception_fp_ieee_overflow 0
		.amdhsa_exception_fp_ieee_underflow 0
		.amdhsa_exception_fp_ieee_inexact 0
		.amdhsa_exception_int_div_zero 0
	.end_amdhsa_kernel
	.section	.text._ZN7rocprim17ROCPRIM_400000_NS6detail17trampoline_kernelINS0_14default_configENS1_38merge_sort_block_merge_config_selectorIlNS0_10empty_typeEEEZZNS1_27merge_sort_block_merge_implIS3_PlPS5_mZN2at6native12_GLOBAL__N_124unique_dim_cuda_templateIaEESt5tupleIJNSA_6TensorESF_SF_EERKSF_lbbbEUlllE_EE10hipError_tT0_T1_T2_jT3_P12ihipStream_tbPNSt15iterator_traitsISL_E10value_typeEPNSR_ISM_E10value_typeEPSN_NS1_7vsmem_tEENKUlT_SL_SM_SN_E_clIS8_S8_S9_S9_EESK_S10_SL_SM_SN_EUlS10_E1_NS1_11comp_targetILNS1_3genE5ELNS1_11target_archE942ELNS1_3gpuE9ELNS1_3repE0EEENS1_36merge_oddeven_config_static_selectorELNS0_4arch9wavefront6targetE1EEEvSM_,"axG",@progbits,_ZN7rocprim17ROCPRIM_400000_NS6detail17trampoline_kernelINS0_14default_configENS1_38merge_sort_block_merge_config_selectorIlNS0_10empty_typeEEEZZNS1_27merge_sort_block_merge_implIS3_PlPS5_mZN2at6native12_GLOBAL__N_124unique_dim_cuda_templateIaEESt5tupleIJNSA_6TensorESF_SF_EERKSF_lbbbEUlllE_EE10hipError_tT0_T1_T2_jT3_P12ihipStream_tbPNSt15iterator_traitsISL_E10value_typeEPNSR_ISM_E10value_typeEPSN_NS1_7vsmem_tEENKUlT_SL_SM_SN_E_clIS8_S8_S9_S9_EESK_S10_SL_SM_SN_EUlS10_E1_NS1_11comp_targetILNS1_3genE5ELNS1_11target_archE942ELNS1_3gpuE9ELNS1_3repE0EEENS1_36merge_oddeven_config_static_selectorELNS0_4arch9wavefront6targetE1EEEvSM_,comdat
.Lfunc_end288:
	.size	_ZN7rocprim17ROCPRIM_400000_NS6detail17trampoline_kernelINS0_14default_configENS1_38merge_sort_block_merge_config_selectorIlNS0_10empty_typeEEEZZNS1_27merge_sort_block_merge_implIS3_PlPS5_mZN2at6native12_GLOBAL__N_124unique_dim_cuda_templateIaEESt5tupleIJNSA_6TensorESF_SF_EERKSF_lbbbEUlllE_EE10hipError_tT0_T1_T2_jT3_P12ihipStream_tbPNSt15iterator_traitsISL_E10value_typeEPNSR_ISM_E10value_typeEPSN_NS1_7vsmem_tEENKUlT_SL_SM_SN_E_clIS8_S8_S9_S9_EESK_S10_SL_SM_SN_EUlS10_E1_NS1_11comp_targetILNS1_3genE5ELNS1_11target_archE942ELNS1_3gpuE9ELNS1_3repE0EEENS1_36merge_oddeven_config_static_selectorELNS0_4arch9wavefront6targetE1EEEvSM_, .Lfunc_end288-_ZN7rocprim17ROCPRIM_400000_NS6detail17trampoline_kernelINS0_14default_configENS1_38merge_sort_block_merge_config_selectorIlNS0_10empty_typeEEEZZNS1_27merge_sort_block_merge_implIS3_PlPS5_mZN2at6native12_GLOBAL__N_124unique_dim_cuda_templateIaEESt5tupleIJNSA_6TensorESF_SF_EERKSF_lbbbEUlllE_EE10hipError_tT0_T1_T2_jT3_P12ihipStream_tbPNSt15iterator_traitsISL_E10value_typeEPNSR_ISM_E10value_typeEPSN_NS1_7vsmem_tEENKUlT_SL_SM_SN_E_clIS8_S8_S9_S9_EESK_S10_SL_SM_SN_EUlS10_E1_NS1_11comp_targetILNS1_3genE5ELNS1_11target_archE942ELNS1_3gpuE9ELNS1_3repE0EEENS1_36merge_oddeven_config_static_selectorELNS0_4arch9wavefront6targetE1EEEvSM_
                                        ; -- End function
	.section	.AMDGPU.csdata,"",@progbits
; Kernel info:
; codeLenInByte = 0
; NumSgprs: 4
; NumVgprs: 0
; NumAgprs: 0
; TotalNumVgprs: 0
; ScratchSize: 0
; MemoryBound: 0
; FloatMode: 240
; IeeeMode: 1
; LDSByteSize: 0 bytes/workgroup (compile time only)
; SGPRBlocks: 0
; VGPRBlocks: 0
; NumSGPRsForWavesPerEU: 4
; NumVGPRsForWavesPerEU: 1
; AccumOffset: 4
; Occupancy: 8
; WaveLimiterHint : 0
; COMPUTE_PGM_RSRC2:SCRATCH_EN: 0
; COMPUTE_PGM_RSRC2:USER_SGPR: 6
; COMPUTE_PGM_RSRC2:TRAP_HANDLER: 0
; COMPUTE_PGM_RSRC2:TGID_X_EN: 1
; COMPUTE_PGM_RSRC2:TGID_Y_EN: 0
; COMPUTE_PGM_RSRC2:TGID_Z_EN: 0
; COMPUTE_PGM_RSRC2:TIDIG_COMP_CNT: 0
; COMPUTE_PGM_RSRC3_GFX90A:ACCUM_OFFSET: 0
; COMPUTE_PGM_RSRC3_GFX90A:TG_SPLIT: 0
	.section	.text._ZN7rocprim17ROCPRIM_400000_NS6detail17trampoline_kernelINS0_14default_configENS1_38merge_sort_block_merge_config_selectorIlNS0_10empty_typeEEEZZNS1_27merge_sort_block_merge_implIS3_PlPS5_mZN2at6native12_GLOBAL__N_124unique_dim_cuda_templateIaEESt5tupleIJNSA_6TensorESF_SF_EERKSF_lbbbEUlllE_EE10hipError_tT0_T1_T2_jT3_P12ihipStream_tbPNSt15iterator_traitsISL_E10value_typeEPNSR_ISM_E10value_typeEPSN_NS1_7vsmem_tEENKUlT_SL_SM_SN_E_clIS8_S8_S9_S9_EESK_S10_SL_SM_SN_EUlS10_E1_NS1_11comp_targetILNS1_3genE4ELNS1_11target_archE910ELNS1_3gpuE8ELNS1_3repE0EEENS1_36merge_oddeven_config_static_selectorELNS0_4arch9wavefront6targetE1EEEvSM_,"axG",@progbits,_ZN7rocprim17ROCPRIM_400000_NS6detail17trampoline_kernelINS0_14default_configENS1_38merge_sort_block_merge_config_selectorIlNS0_10empty_typeEEEZZNS1_27merge_sort_block_merge_implIS3_PlPS5_mZN2at6native12_GLOBAL__N_124unique_dim_cuda_templateIaEESt5tupleIJNSA_6TensorESF_SF_EERKSF_lbbbEUlllE_EE10hipError_tT0_T1_T2_jT3_P12ihipStream_tbPNSt15iterator_traitsISL_E10value_typeEPNSR_ISM_E10value_typeEPSN_NS1_7vsmem_tEENKUlT_SL_SM_SN_E_clIS8_S8_S9_S9_EESK_S10_SL_SM_SN_EUlS10_E1_NS1_11comp_targetILNS1_3genE4ELNS1_11target_archE910ELNS1_3gpuE8ELNS1_3repE0EEENS1_36merge_oddeven_config_static_selectorELNS0_4arch9wavefront6targetE1EEEvSM_,comdat
	.globl	_ZN7rocprim17ROCPRIM_400000_NS6detail17trampoline_kernelINS0_14default_configENS1_38merge_sort_block_merge_config_selectorIlNS0_10empty_typeEEEZZNS1_27merge_sort_block_merge_implIS3_PlPS5_mZN2at6native12_GLOBAL__N_124unique_dim_cuda_templateIaEESt5tupleIJNSA_6TensorESF_SF_EERKSF_lbbbEUlllE_EE10hipError_tT0_T1_T2_jT3_P12ihipStream_tbPNSt15iterator_traitsISL_E10value_typeEPNSR_ISM_E10value_typeEPSN_NS1_7vsmem_tEENKUlT_SL_SM_SN_E_clIS8_S8_S9_S9_EESK_S10_SL_SM_SN_EUlS10_E1_NS1_11comp_targetILNS1_3genE4ELNS1_11target_archE910ELNS1_3gpuE8ELNS1_3repE0EEENS1_36merge_oddeven_config_static_selectorELNS0_4arch9wavefront6targetE1EEEvSM_ ; -- Begin function _ZN7rocprim17ROCPRIM_400000_NS6detail17trampoline_kernelINS0_14default_configENS1_38merge_sort_block_merge_config_selectorIlNS0_10empty_typeEEEZZNS1_27merge_sort_block_merge_implIS3_PlPS5_mZN2at6native12_GLOBAL__N_124unique_dim_cuda_templateIaEESt5tupleIJNSA_6TensorESF_SF_EERKSF_lbbbEUlllE_EE10hipError_tT0_T1_T2_jT3_P12ihipStream_tbPNSt15iterator_traitsISL_E10value_typeEPNSR_ISM_E10value_typeEPSN_NS1_7vsmem_tEENKUlT_SL_SM_SN_E_clIS8_S8_S9_S9_EESK_S10_SL_SM_SN_EUlS10_E1_NS1_11comp_targetILNS1_3genE4ELNS1_11target_archE910ELNS1_3gpuE8ELNS1_3repE0EEENS1_36merge_oddeven_config_static_selectorELNS0_4arch9wavefront6targetE1EEEvSM_
	.p2align	8
	.type	_ZN7rocprim17ROCPRIM_400000_NS6detail17trampoline_kernelINS0_14default_configENS1_38merge_sort_block_merge_config_selectorIlNS0_10empty_typeEEEZZNS1_27merge_sort_block_merge_implIS3_PlPS5_mZN2at6native12_GLOBAL__N_124unique_dim_cuda_templateIaEESt5tupleIJNSA_6TensorESF_SF_EERKSF_lbbbEUlllE_EE10hipError_tT0_T1_T2_jT3_P12ihipStream_tbPNSt15iterator_traitsISL_E10value_typeEPNSR_ISM_E10value_typeEPSN_NS1_7vsmem_tEENKUlT_SL_SM_SN_E_clIS8_S8_S9_S9_EESK_S10_SL_SM_SN_EUlS10_E1_NS1_11comp_targetILNS1_3genE4ELNS1_11target_archE910ELNS1_3gpuE8ELNS1_3repE0EEENS1_36merge_oddeven_config_static_selectorELNS0_4arch9wavefront6targetE1EEEvSM_,@function
_ZN7rocprim17ROCPRIM_400000_NS6detail17trampoline_kernelINS0_14default_configENS1_38merge_sort_block_merge_config_selectorIlNS0_10empty_typeEEEZZNS1_27merge_sort_block_merge_implIS3_PlPS5_mZN2at6native12_GLOBAL__N_124unique_dim_cuda_templateIaEESt5tupleIJNSA_6TensorESF_SF_EERKSF_lbbbEUlllE_EE10hipError_tT0_T1_T2_jT3_P12ihipStream_tbPNSt15iterator_traitsISL_E10value_typeEPNSR_ISM_E10value_typeEPSN_NS1_7vsmem_tEENKUlT_SL_SM_SN_E_clIS8_S8_S9_S9_EESK_S10_SL_SM_SN_EUlS10_E1_NS1_11comp_targetILNS1_3genE4ELNS1_11target_archE910ELNS1_3gpuE8ELNS1_3repE0EEENS1_36merge_oddeven_config_static_selectorELNS0_4arch9wavefront6targetE1EEEvSM_: ; @_ZN7rocprim17ROCPRIM_400000_NS6detail17trampoline_kernelINS0_14default_configENS1_38merge_sort_block_merge_config_selectorIlNS0_10empty_typeEEEZZNS1_27merge_sort_block_merge_implIS3_PlPS5_mZN2at6native12_GLOBAL__N_124unique_dim_cuda_templateIaEESt5tupleIJNSA_6TensorESF_SF_EERKSF_lbbbEUlllE_EE10hipError_tT0_T1_T2_jT3_P12ihipStream_tbPNSt15iterator_traitsISL_E10value_typeEPNSR_ISM_E10value_typeEPSN_NS1_7vsmem_tEENKUlT_SL_SM_SN_E_clIS8_S8_S9_S9_EESK_S10_SL_SM_SN_EUlS10_E1_NS1_11comp_targetILNS1_3genE4ELNS1_11target_archE910ELNS1_3gpuE8ELNS1_3repE0EEENS1_36merge_oddeven_config_static_selectorELNS0_4arch9wavefront6targetE1EEEvSM_
; %bb.0:
	s_load_dword s18, s[4:5], 0x20
	s_waitcnt lgkmcnt(0)
	s_lshr_b32 s0, s18, 8
	s_cmp_lg_u32 s6, s0
	s_cselect_b64 s[14:15], -1, 0
	s_cmp_eq_u32 s6, s0
	s_cselect_b64 s[2:3], -1, 0
	s_lshl_b32 s16, s6, 8
	s_sub_i32 s0, s18, s16
	v_cmp_gt_u32_e64 s[0:1], s0, v0
	s_or_b64 s[8:9], s[14:15], s[0:1]
	s_and_saveexec_b64 s[10:11], s[8:9]
	s_cbranch_execz .LBB289_54
; %bb.1:
	s_load_dwordx4 s[8:11], s[4:5], 0x0
	s_load_dword s19, s[4:5], 0x28
	s_mov_b32 s17, 0
	s_lshl_b64 s[12:13], s[16:17], 3
	v_lshlrev_b32_e32 v1, 3, v0
	s_waitcnt lgkmcnt(0)
	s_add_u32 s12, s8, s12
	s_addc_u32 s13, s9, s13
	global_load_dwordx2 v[2:3], v1, s[12:13]
	s_lshr_b32 s7, s19, 8
	s_sub_i32 s12, 0, s7
	s_and_b32 s6, s6, s12
	s_and_b32 s7, s6, s7
	s_cmp_lg_u32 s7, 0
	s_cselect_b64 s[12:13], -1, 0
	s_lshl_b32 s17, s6, 8
	s_sub_i32 s6, 0, s19
	s_cmp_eq_u32 s7, 0
	s_cselect_b32 s33, s19, s6
	s_add_i32 s33, s33, s17
	s_cmp_lt_u32 s33, s18
	s_cbranch_scc1 .LBB289_3
; %bb.2:
	v_add_u32_e32 v4, s16, v0
	v_cmp_gt_u32_e32 vcc, s18, v4
	s_or_b64 s[14:15], vcc, s[14:15]
	s_and_b64 s[14:15], s[14:15], exec
	s_cbranch_execz .LBB289_4
	s_branch .LBB289_52
.LBB289_3:
	s_mov_b64 s[14:15], 0
                                        ; implicit-def: $vgpr4
.LBB289_4:
	s_load_dwordx4 s[4:7], s[4:5], 0x30
	s_min_u32 s40, s33, s18
	s_add_i32 s19, s40, s19
	s_min_u32 s41, s19, s18
	s_min_u32 s18, s17, s40
	v_add_u32_e32 v0, s16, v0
	s_add_i32 s17, s17, s40
	v_subrev_u32_e32 v0, s17, v0
	v_add_u32_e32 v14, s18, v0
	s_and_b64 vcc, exec, s[2:3]
	s_cbranch_vccz .LBB289_26
; %bb.5:
                                        ; implicit-def: $vgpr4
	s_and_saveexec_b64 s[16:17], s[0:1]
	s_cbranch_execz .LBB289_29
; %bb.6:
	s_cmp_ge_u32 s33, s41
	v_mov_b32_e32 v15, s40
	s_cbranch_scc1 .LBB289_28
; %bb.7:
	s_waitcnt lgkmcnt(0)
	v_pk_mov_b32 v[0:1], s[6:7], s[6:7] op_sel:[0,1]
	s_waitcnt vmcnt(0)
	v_mad_u64_u32 v[4:5], s[0:1], v2, s4, v[0:1]
	v_mul_lo_u32 v6, v2, s5
	v_mul_lo_u32 v7, v3, s4
	v_add3_u32 v5, v7, v5, v6
	v_cndmask_b32_e64 v6, 0, 1, s[12:13]
	v_cmp_gt_i64_e64 s[2:3], s[4:5], 0
	v_cmp_ne_u32_e64 s[0:1], 1, v6
	v_cndmask_b32_e64 v6, 0, 1, s[2:3]
	s_mov_b64 s[18:19], 0
	v_mov_b32_e32 v16, s41
	v_mov_b32_e32 v15, s40
	;; [unrolled: 1-line block ×4, first 2 shown]
	v_cmp_ne_u32_e64 s[2:3], 1, v6
	s_branch .LBB289_10
.LBB289_8:                              ;   in Loop: Header=BB289_10 Depth=1
	s_or_b64 exec, exec, s[22:23]
.LBB289_9:                              ;   in Loop: Header=BB289_10 Depth=1
	s_waitcnt vmcnt(0)
	v_add_u32_e32 v8, 1, v6
	v_cndmask_b32_e64 v16, v6, v16, s[20:21]
	v_cndmask_b32_e64 v15, v15, v8, s[20:21]
	v_cmp_ge_u32_e32 vcc, v15, v16
	s_or_b64 s[18:19], vcc, s[18:19]
	s_andn2_b64 exec, exec, s[18:19]
	s_cbranch_execz .LBB289_27
.LBB289_10:                             ; =>This Loop Header: Depth=1
                                        ;     Child Loop BB289_14 Depth 2
                                        ;     Child Loop BB289_23 Depth 2
	v_add_u32_e32 v6, v15, v16
	v_lshrrev_b32_e32 v6, 1, v6
	v_lshlrev_b64 v[8:9], 3, v[6:7]
	v_add_co_u32_e32 v8, vcc, s8, v8
	v_addc_co_u32_e32 v9, vcc, v17, v9, vcc
	global_load_dwordx2 v[8:9], v[8:9], off
	s_and_b64 vcc, exec, s[0:1]
	s_mov_b64 s[22:23], -1
                                        ; implicit-def: $sgpr20_sgpr21
	s_cbranch_vccnz .LBB289_19
; %bb.11:                               ;   in Loop: Header=BB289_10 Depth=1
	s_and_b64 vcc, exec, s[2:3]
	s_cbranch_vccnz .LBB289_17
; %bb.12:                               ;   in Loop: Header=BB289_10 Depth=1
	s_waitcnt vmcnt(0)
	v_mad_u64_u32 v[10:11], s[20:21], v8, s4, v[0:1]
	v_mul_lo_u32 v12, v8, s5
	v_mul_lo_u32 v13, v9, s4
	v_add3_u32 v11, v13, v11, v12
	s_mov_b64 s[22:23], 0
	s_mov_b64 s[28:29], s[4:5]
	v_pk_mov_b32 v[12:13], v[4:5], v[4:5] op_sel:[0,1]
                                        ; implicit-def: $sgpr20_sgpr21
                                        ; implicit-def: $sgpr24_sgpr25
                                        ; implicit-def: $sgpr26_sgpr27
                                        ; implicit-def: $sgpr30_sgpr31
                                        ; implicit-def: $sgpr34_sgpr35
	s_branch .LBB289_14
.LBB289_13:                             ;   in Loop: Header=BB289_14 Depth=2
	s_or_b64 exec, exec, s[36:37]
	s_and_b64 s[36:37], exec, s[24:25]
	s_or_b64 s[22:23], s[36:37], s[22:23]
	s_andn2_b64 s[34:35], s[34:35], exec
	s_and_b64 s[36:37], s[26:27], exec
	s_or_b64 s[34:35], s[34:35], s[36:37]
	s_andn2_b64 s[20:21], s[20:21], exec
	s_and_b64 s[36:37], s[30:31], exec
	s_or_b64 s[20:21], s[20:21], s[36:37]
	s_andn2_b64 exec, exec, s[22:23]
	s_cbranch_execz .LBB289_16
.LBB289_14:                             ;   Parent Loop BB289_10 Depth=1
                                        ; =>  This Inner Loop Header: Depth=2
	global_load_ubyte v18, v[12:13], off
	global_load_ubyte v19, v[10:11], off
	s_andn2_b64 s[30:31], s[30:31], exec
	s_andn2_b64 s[26:27], s[26:27], exec
	s_or_b64 s[24:25], s[24:25], exec
	s_waitcnt vmcnt(0)
	v_cmp_le_i16_sdwa s[38:39], sext(v18), sext(v19) src0_sel:BYTE_0 src1_sel:BYTE_0
	v_cmp_lt_i16_sdwa s[36:37], sext(v18), sext(v19) src0_sel:BYTE_0 src1_sel:BYTE_0
	s_and_b64 s[38:39], s[38:39], s[34:35]
	s_or_b64 s[38:39], s[36:37], s[38:39]
	s_and_b64 s[36:37], s[38:39], exec
	v_cmp_eq_u16_sdwa s[42:43], v18, v19 src0_sel:BYTE_0 src1_sel:BYTE_0
	s_or_b64 s[30:31], s[30:31], s[36:37]
	s_and_saveexec_b64 s[36:37], s[42:43]
	s_cbranch_execz .LBB289_13
; %bb.15:                               ;   in Loop: Header=BB289_14 Depth=2
	s_add_u32 s28, s28, -1
	s_addc_u32 s29, s29, -1
	v_add_co_u32_e32 v12, vcc, 1, v12
	s_cmp_eq_u64 s[28:29], 0
	v_addc_co_u32_e32 v13, vcc, 0, v13, vcc
	s_cselect_b64 s[34:35], -1, 0
	v_add_co_u32_e32 v10, vcc, 1, v10
	s_andn2_b64 s[26:27], s[26:27], exec
	s_and_b64 s[38:39], s[38:39], exec
	s_andn2_b64 s[24:25], s[24:25], exec
	s_and_b64 s[34:35], s[34:35], exec
	v_addc_co_u32_e32 v11, vcc, 0, v11, vcc
	s_andn2_b64 s[30:31], s[30:31], exec
	s_or_b64 s[26:27], s[26:27], s[38:39]
	s_or_b64 s[24:25], s[24:25], s[34:35]
                                        ; implicit-def: $sgpr34_sgpr35
	s_branch .LBB289_13
.LBB289_16:                             ;   in Loop: Header=BB289_10 Depth=1
	s_or_b64 exec, exec, s[22:23]
	s_branch .LBB289_18
.LBB289_17:                             ;   in Loop: Header=BB289_10 Depth=1
	s_mov_b64 s[20:21], 0
.LBB289_18:                             ;   in Loop: Header=BB289_10 Depth=1
	s_xor_b64 s[20:21], s[20:21], -1
	s_mov_b64 s[22:23], 0
.LBB289_19:                             ;   in Loop: Header=BB289_10 Depth=1
	s_and_b64 vcc, exec, s[22:23]
	s_cbranch_vccz .LBB289_9
; %bb.20:                               ;   in Loop: Header=BB289_10 Depth=1
	s_and_b64 vcc, exec, s[2:3]
	s_cbranch_vccnz .LBB289_25
; %bb.21:                               ;   in Loop: Header=BB289_10 Depth=1
	s_waitcnt vmcnt(0)
	v_mad_u64_u32 v[10:11], s[20:21], v8, s4, v[0:1]
	v_mul_lo_u32 v8, v8, s5
	v_mul_lo_u32 v9, v9, s4
	v_add3_u32 v11, v9, v11, v8
	s_mov_b64 s[22:23], 0
	s_mov_b64 s[28:29], s[4:5]
	v_pk_mov_b32 v[8:9], v[4:5], v[4:5] op_sel:[0,1]
                                        ; implicit-def: $sgpr20_sgpr21
                                        ; implicit-def: $sgpr24_sgpr25
                                        ; implicit-def: $sgpr26_sgpr27
                                        ; implicit-def: $sgpr30_sgpr31
                                        ; implicit-def: $sgpr34_sgpr35
	s_branch .LBB289_23
.LBB289_22:                             ;   in Loop: Header=BB289_23 Depth=2
	s_or_b64 exec, exec, s[36:37]
	s_and_b64 s[36:37], exec, s[24:25]
	s_or_b64 s[22:23], s[36:37], s[22:23]
	s_andn2_b64 s[34:35], s[34:35], exec
	s_and_b64 s[36:37], s[26:27], exec
	s_or_b64 s[34:35], s[34:35], s[36:37]
	s_andn2_b64 s[20:21], s[20:21], exec
	s_and_b64 s[36:37], s[30:31], exec
	s_or_b64 s[20:21], s[20:21], s[36:37]
	s_andn2_b64 exec, exec, s[22:23]
	s_cbranch_execz .LBB289_8
.LBB289_23:                             ;   Parent Loop BB289_10 Depth=1
                                        ; =>  This Inner Loop Header: Depth=2
	global_load_ubyte v12, v[10:11], off
	global_load_ubyte v13, v[8:9], off
	s_andn2_b64 s[30:31], s[30:31], exec
	s_andn2_b64 s[26:27], s[26:27], exec
	s_or_b64 s[24:25], s[24:25], exec
	s_waitcnt vmcnt(0)
	v_cmp_le_i16_sdwa s[38:39], sext(v12), sext(v13) src0_sel:BYTE_0 src1_sel:BYTE_0
	v_cmp_lt_i16_sdwa s[36:37], sext(v12), sext(v13) src0_sel:BYTE_0 src1_sel:BYTE_0
	s_and_b64 s[38:39], s[38:39], s[34:35]
	s_or_b64 s[38:39], s[36:37], s[38:39]
	s_and_b64 s[36:37], s[38:39], exec
	v_cmp_eq_u16_sdwa s[42:43], v12, v13 src0_sel:BYTE_0 src1_sel:BYTE_0
	s_or_b64 s[30:31], s[30:31], s[36:37]
	s_and_saveexec_b64 s[36:37], s[42:43]
	s_cbranch_execz .LBB289_22
; %bb.24:                               ;   in Loop: Header=BB289_23 Depth=2
	s_add_u32 s28, s28, -1
	s_addc_u32 s29, s29, -1
	v_add_co_u32_e32 v10, vcc, 1, v10
	s_cmp_eq_u64 s[28:29], 0
	v_addc_co_u32_e32 v11, vcc, 0, v11, vcc
	s_cselect_b64 s[34:35], -1, 0
	v_add_co_u32_e32 v8, vcc, 1, v8
	s_andn2_b64 s[26:27], s[26:27], exec
	s_and_b64 s[38:39], s[38:39], exec
	s_andn2_b64 s[24:25], s[24:25], exec
	s_and_b64 s[34:35], s[34:35], exec
	v_addc_co_u32_e32 v9, vcc, 0, v9, vcc
	s_andn2_b64 s[30:31], s[30:31], exec
	s_or_b64 s[26:27], s[26:27], s[38:39]
	s_or_b64 s[24:25], s[24:25], s[34:35]
                                        ; implicit-def: $sgpr34_sgpr35
	s_branch .LBB289_22
.LBB289_25:                             ;   in Loop: Header=BB289_10 Depth=1
	s_mov_b64 s[20:21], 0
	s_branch .LBB289_9
.LBB289_26:
                                        ; implicit-def: $vgpr4
	s_cbranch_execnz .LBB289_30
	s_branch .LBB289_52
.LBB289_27:
	s_or_b64 exec, exec, s[18:19]
.LBB289_28:
	v_add_u32_e32 v4, v15, v14
	s_or_b64 s[14:15], s[14:15], exec
.LBB289_29:
	s_or_b64 exec, exec, s[16:17]
	s_branch .LBB289_52
.LBB289_30:
	s_cmp_ge_u32 s33, s41
	v_mov_b32_e32 v15, s40
	s_cbranch_scc1 .LBB289_51
; %bb.31:
	s_waitcnt lgkmcnt(0)
	v_pk_mov_b32 v[0:1], s[6:7], s[6:7] op_sel:[0,1]
	s_waitcnt vmcnt(0)
	v_mad_u64_u32 v[4:5], s[0:1], v2, s4, v[0:1]
	v_mul_lo_u32 v6, v2, s5
	v_mul_lo_u32 v7, v3, s4
	v_add3_u32 v5, v7, v5, v6
	v_cndmask_b32_e64 v6, 0, 1, s[12:13]
	v_cmp_gt_i64_e64 s[2:3], s[4:5], 0
	v_cmp_ne_u32_e64 s[0:1], 1, v6
	v_cndmask_b32_e64 v6, 0, 1, s[2:3]
	s_mov_b64 s[14:15], 0
	v_mov_b32_e32 v16, s41
	v_mov_b32_e32 v15, s40
	v_mov_b32_e32 v7, 0
	v_mov_b32_e32 v17, s9
	v_cmp_ne_u32_e64 s[2:3], 1, v6
	s_branch .LBB289_34
.LBB289_32:                             ;   in Loop: Header=BB289_34 Depth=1
	s_or_b64 exec, exec, s[12:13]
.LBB289_33:                             ;   in Loop: Header=BB289_34 Depth=1
	s_waitcnt vmcnt(0)
	v_add_u32_e32 v8, 1, v6
	v_cndmask_b32_e64 v16, v6, v16, s[6:7]
	v_cndmask_b32_e64 v15, v15, v8, s[6:7]
	v_cmp_ge_u32_e32 vcc, v15, v16
	s_or_b64 s[14:15], vcc, s[14:15]
	s_andn2_b64 exec, exec, s[14:15]
	s_cbranch_execz .LBB289_50
.LBB289_34:                             ; =>This Loop Header: Depth=1
                                        ;     Child Loop BB289_38 Depth 2
                                        ;     Child Loop BB289_47 Depth 2
	v_add_u32_e32 v6, v15, v16
	v_lshrrev_b32_e32 v6, 1, v6
	v_lshlrev_b64 v[8:9], 3, v[6:7]
	v_add_co_u32_e32 v8, vcc, s8, v8
	v_addc_co_u32_e32 v9, vcc, v17, v9, vcc
	global_load_dwordx2 v[8:9], v[8:9], off
	s_and_b64 vcc, exec, s[0:1]
	s_mov_b64 s[12:13], -1
                                        ; implicit-def: $sgpr6_sgpr7
	s_cbranch_vccnz .LBB289_43
; %bb.35:                               ;   in Loop: Header=BB289_34 Depth=1
	s_and_b64 vcc, exec, s[2:3]
	s_cbranch_vccnz .LBB289_41
; %bb.36:                               ;   in Loop: Header=BB289_34 Depth=1
	s_waitcnt vmcnt(0)
	v_mad_u64_u32 v[10:11], s[6:7], v8, s4, v[0:1]
	v_mul_lo_u32 v12, v8, s5
	v_mul_lo_u32 v13, v9, s4
	v_add3_u32 v11, v13, v11, v12
	s_mov_b64 s[12:13], 0
	s_mov_b64 s[20:21], s[4:5]
	v_pk_mov_b32 v[12:13], v[4:5], v[4:5] op_sel:[0,1]
                                        ; implicit-def: $sgpr6_sgpr7
                                        ; implicit-def: $sgpr16_sgpr17
                                        ; implicit-def: $sgpr18_sgpr19
                                        ; implicit-def: $sgpr22_sgpr23
                                        ; implicit-def: $sgpr24_sgpr25
	s_branch .LBB289_38
.LBB289_37:                             ;   in Loop: Header=BB289_38 Depth=2
	s_or_b64 exec, exec, s[26:27]
	s_and_b64 s[26:27], exec, s[16:17]
	s_or_b64 s[12:13], s[26:27], s[12:13]
	s_andn2_b64 s[24:25], s[24:25], exec
	s_and_b64 s[26:27], s[18:19], exec
	s_or_b64 s[24:25], s[24:25], s[26:27]
	s_andn2_b64 s[6:7], s[6:7], exec
	s_and_b64 s[26:27], s[22:23], exec
	s_or_b64 s[6:7], s[6:7], s[26:27]
	s_andn2_b64 exec, exec, s[12:13]
	s_cbranch_execz .LBB289_40
.LBB289_38:                             ;   Parent Loop BB289_34 Depth=1
                                        ; =>  This Inner Loop Header: Depth=2
	global_load_ubyte v18, v[12:13], off
	global_load_ubyte v19, v[10:11], off
	s_andn2_b64 s[22:23], s[22:23], exec
	s_andn2_b64 s[18:19], s[18:19], exec
	s_or_b64 s[16:17], s[16:17], exec
	s_waitcnt vmcnt(0)
	v_cmp_le_i16_sdwa s[28:29], sext(v18), sext(v19) src0_sel:BYTE_0 src1_sel:BYTE_0
	v_cmp_lt_i16_sdwa s[26:27], sext(v18), sext(v19) src0_sel:BYTE_0 src1_sel:BYTE_0
	s_and_b64 s[28:29], s[28:29], s[24:25]
	s_or_b64 s[28:29], s[26:27], s[28:29]
	s_and_b64 s[26:27], s[28:29], exec
	v_cmp_eq_u16_sdwa s[30:31], v18, v19 src0_sel:BYTE_0 src1_sel:BYTE_0
	s_or_b64 s[22:23], s[22:23], s[26:27]
	s_and_saveexec_b64 s[26:27], s[30:31]
	s_cbranch_execz .LBB289_37
; %bb.39:                               ;   in Loop: Header=BB289_38 Depth=2
	s_add_u32 s20, s20, -1
	s_addc_u32 s21, s21, -1
	v_add_co_u32_e32 v12, vcc, 1, v12
	s_cmp_eq_u64 s[20:21], 0
	v_addc_co_u32_e32 v13, vcc, 0, v13, vcc
	s_cselect_b64 s[24:25], -1, 0
	v_add_co_u32_e32 v10, vcc, 1, v10
	s_andn2_b64 s[18:19], s[18:19], exec
	s_and_b64 s[28:29], s[28:29], exec
	s_andn2_b64 s[16:17], s[16:17], exec
	s_and_b64 s[24:25], s[24:25], exec
	v_addc_co_u32_e32 v11, vcc, 0, v11, vcc
	s_andn2_b64 s[22:23], s[22:23], exec
	s_or_b64 s[18:19], s[18:19], s[28:29]
	s_or_b64 s[16:17], s[16:17], s[24:25]
                                        ; implicit-def: $sgpr24_sgpr25
	s_branch .LBB289_37
.LBB289_40:                             ;   in Loop: Header=BB289_34 Depth=1
	s_or_b64 exec, exec, s[12:13]
	s_branch .LBB289_42
.LBB289_41:                             ;   in Loop: Header=BB289_34 Depth=1
	s_mov_b64 s[6:7], 0
.LBB289_42:                             ;   in Loop: Header=BB289_34 Depth=1
	s_xor_b64 s[6:7], s[6:7], -1
	s_mov_b64 s[12:13], 0
.LBB289_43:                             ;   in Loop: Header=BB289_34 Depth=1
	s_and_b64 vcc, exec, s[12:13]
	s_cbranch_vccz .LBB289_33
; %bb.44:                               ;   in Loop: Header=BB289_34 Depth=1
	s_and_b64 vcc, exec, s[2:3]
	s_cbranch_vccnz .LBB289_49
; %bb.45:                               ;   in Loop: Header=BB289_34 Depth=1
	s_waitcnt vmcnt(0)
	v_mad_u64_u32 v[10:11], s[6:7], v8, s4, v[0:1]
	v_mul_lo_u32 v8, v8, s5
	v_mul_lo_u32 v9, v9, s4
	v_add3_u32 v11, v9, v11, v8
	s_mov_b64 s[12:13], 0
	s_mov_b64 s[20:21], s[4:5]
	v_pk_mov_b32 v[8:9], v[4:5], v[4:5] op_sel:[0,1]
                                        ; implicit-def: $sgpr6_sgpr7
                                        ; implicit-def: $sgpr16_sgpr17
                                        ; implicit-def: $sgpr18_sgpr19
                                        ; implicit-def: $sgpr22_sgpr23
                                        ; implicit-def: $sgpr24_sgpr25
	s_branch .LBB289_47
.LBB289_46:                             ;   in Loop: Header=BB289_47 Depth=2
	s_or_b64 exec, exec, s[26:27]
	s_and_b64 s[26:27], exec, s[16:17]
	s_or_b64 s[12:13], s[26:27], s[12:13]
	s_andn2_b64 s[24:25], s[24:25], exec
	s_and_b64 s[26:27], s[18:19], exec
	s_or_b64 s[24:25], s[24:25], s[26:27]
	s_andn2_b64 s[6:7], s[6:7], exec
	s_and_b64 s[26:27], s[22:23], exec
	s_or_b64 s[6:7], s[6:7], s[26:27]
	s_andn2_b64 exec, exec, s[12:13]
	s_cbranch_execz .LBB289_32
.LBB289_47:                             ;   Parent Loop BB289_34 Depth=1
                                        ; =>  This Inner Loop Header: Depth=2
	global_load_ubyte v12, v[10:11], off
	global_load_ubyte v13, v[8:9], off
	s_andn2_b64 s[22:23], s[22:23], exec
	s_andn2_b64 s[18:19], s[18:19], exec
	s_or_b64 s[16:17], s[16:17], exec
	s_waitcnt vmcnt(0)
	v_cmp_le_i16_sdwa s[28:29], sext(v12), sext(v13) src0_sel:BYTE_0 src1_sel:BYTE_0
	v_cmp_lt_i16_sdwa s[26:27], sext(v12), sext(v13) src0_sel:BYTE_0 src1_sel:BYTE_0
	s_and_b64 s[28:29], s[28:29], s[24:25]
	s_or_b64 s[28:29], s[26:27], s[28:29]
	s_and_b64 s[26:27], s[28:29], exec
	v_cmp_eq_u16_sdwa s[30:31], v12, v13 src0_sel:BYTE_0 src1_sel:BYTE_0
	s_or_b64 s[22:23], s[22:23], s[26:27]
	s_and_saveexec_b64 s[26:27], s[30:31]
	s_cbranch_execz .LBB289_46
; %bb.48:                               ;   in Loop: Header=BB289_47 Depth=2
	s_add_u32 s20, s20, -1
	s_addc_u32 s21, s21, -1
	v_add_co_u32_e32 v10, vcc, 1, v10
	s_cmp_eq_u64 s[20:21], 0
	v_addc_co_u32_e32 v11, vcc, 0, v11, vcc
	s_cselect_b64 s[24:25], -1, 0
	v_add_co_u32_e32 v8, vcc, 1, v8
	s_andn2_b64 s[18:19], s[18:19], exec
	s_and_b64 s[28:29], s[28:29], exec
	s_andn2_b64 s[16:17], s[16:17], exec
	s_and_b64 s[24:25], s[24:25], exec
	v_addc_co_u32_e32 v9, vcc, 0, v9, vcc
	s_andn2_b64 s[22:23], s[22:23], exec
	s_or_b64 s[18:19], s[18:19], s[28:29]
	s_or_b64 s[16:17], s[16:17], s[24:25]
                                        ; implicit-def: $sgpr24_sgpr25
	s_branch .LBB289_46
.LBB289_49:                             ;   in Loop: Header=BB289_34 Depth=1
	s_mov_b64 s[6:7], 0
	s_branch .LBB289_33
.LBB289_50:
	s_or_b64 exec, exec, s[14:15]
.LBB289_51:
	v_add_u32_e32 v4, v15, v14
	s_mov_b64 s[14:15], -1
.LBB289_52:
	s_and_b64 exec, exec, s[14:15]
	s_cbranch_execz .LBB289_54
; %bb.53:
	v_mov_b32_e32 v5, 0
	v_lshlrev_b64 v[0:1], 3, v[4:5]
	v_mov_b32_e32 v4, s11
	v_add_co_u32_e32 v0, vcc, s10, v0
	v_addc_co_u32_e32 v1, vcc, v4, v1, vcc
	s_waitcnt vmcnt(0)
	global_store_dwordx2 v[0:1], v[2:3], off
.LBB289_54:
	s_endpgm
	.section	.rodata,"a",@progbits
	.p2align	6, 0x0
	.amdhsa_kernel _ZN7rocprim17ROCPRIM_400000_NS6detail17trampoline_kernelINS0_14default_configENS1_38merge_sort_block_merge_config_selectorIlNS0_10empty_typeEEEZZNS1_27merge_sort_block_merge_implIS3_PlPS5_mZN2at6native12_GLOBAL__N_124unique_dim_cuda_templateIaEESt5tupleIJNSA_6TensorESF_SF_EERKSF_lbbbEUlllE_EE10hipError_tT0_T1_T2_jT3_P12ihipStream_tbPNSt15iterator_traitsISL_E10value_typeEPNSR_ISM_E10value_typeEPSN_NS1_7vsmem_tEENKUlT_SL_SM_SN_E_clIS8_S8_S9_S9_EESK_S10_SL_SM_SN_EUlS10_E1_NS1_11comp_targetILNS1_3genE4ELNS1_11target_archE910ELNS1_3gpuE8ELNS1_3repE0EEENS1_36merge_oddeven_config_static_selectorELNS0_4arch9wavefront6targetE1EEEvSM_
		.amdhsa_group_segment_fixed_size 0
		.amdhsa_private_segment_fixed_size 0
		.amdhsa_kernarg_size 64
		.amdhsa_user_sgpr_count 6
		.amdhsa_user_sgpr_private_segment_buffer 1
		.amdhsa_user_sgpr_dispatch_ptr 0
		.amdhsa_user_sgpr_queue_ptr 0
		.amdhsa_user_sgpr_kernarg_segment_ptr 1
		.amdhsa_user_sgpr_dispatch_id 0
		.amdhsa_user_sgpr_flat_scratch_init 0
		.amdhsa_user_sgpr_kernarg_preload_length 0
		.amdhsa_user_sgpr_kernarg_preload_offset 0
		.amdhsa_user_sgpr_private_segment_size 0
		.amdhsa_uses_dynamic_stack 0
		.amdhsa_system_sgpr_private_segment_wavefront_offset 0
		.amdhsa_system_sgpr_workgroup_id_x 1
		.amdhsa_system_sgpr_workgroup_id_y 0
		.amdhsa_system_sgpr_workgroup_id_z 0
		.amdhsa_system_sgpr_workgroup_info 0
		.amdhsa_system_vgpr_workitem_id 0
		.amdhsa_next_free_vgpr 20
		.amdhsa_next_free_sgpr 44
		.amdhsa_accum_offset 20
		.amdhsa_reserve_vcc 1
		.amdhsa_reserve_flat_scratch 0
		.amdhsa_float_round_mode_32 0
		.amdhsa_float_round_mode_16_64 0
		.amdhsa_float_denorm_mode_32 3
		.amdhsa_float_denorm_mode_16_64 3
		.amdhsa_dx10_clamp 1
		.amdhsa_ieee_mode 1
		.amdhsa_fp16_overflow 0
		.amdhsa_tg_split 0
		.amdhsa_exception_fp_ieee_invalid_op 0
		.amdhsa_exception_fp_denorm_src 0
		.amdhsa_exception_fp_ieee_div_zero 0
		.amdhsa_exception_fp_ieee_overflow 0
		.amdhsa_exception_fp_ieee_underflow 0
		.amdhsa_exception_fp_ieee_inexact 0
		.amdhsa_exception_int_div_zero 0
	.end_amdhsa_kernel
	.section	.text._ZN7rocprim17ROCPRIM_400000_NS6detail17trampoline_kernelINS0_14default_configENS1_38merge_sort_block_merge_config_selectorIlNS0_10empty_typeEEEZZNS1_27merge_sort_block_merge_implIS3_PlPS5_mZN2at6native12_GLOBAL__N_124unique_dim_cuda_templateIaEESt5tupleIJNSA_6TensorESF_SF_EERKSF_lbbbEUlllE_EE10hipError_tT0_T1_T2_jT3_P12ihipStream_tbPNSt15iterator_traitsISL_E10value_typeEPNSR_ISM_E10value_typeEPSN_NS1_7vsmem_tEENKUlT_SL_SM_SN_E_clIS8_S8_S9_S9_EESK_S10_SL_SM_SN_EUlS10_E1_NS1_11comp_targetILNS1_3genE4ELNS1_11target_archE910ELNS1_3gpuE8ELNS1_3repE0EEENS1_36merge_oddeven_config_static_selectorELNS0_4arch9wavefront6targetE1EEEvSM_,"axG",@progbits,_ZN7rocprim17ROCPRIM_400000_NS6detail17trampoline_kernelINS0_14default_configENS1_38merge_sort_block_merge_config_selectorIlNS0_10empty_typeEEEZZNS1_27merge_sort_block_merge_implIS3_PlPS5_mZN2at6native12_GLOBAL__N_124unique_dim_cuda_templateIaEESt5tupleIJNSA_6TensorESF_SF_EERKSF_lbbbEUlllE_EE10hipError_tT0_T1_T2_jT3_P12ihipStream_tbPNSt15iterator_traitsISL_E10value_typeEPNSR_ISM_E10value_typeEPSN_NS1_7vsmem_tEENKUlT_SL_SM_SN_E_clIS8_S8_S9_S9_EESK_S10_SL_SM_SN_EUlS10_E1_NS1_11comp_targetILNS1_3genE4ELNS1_11target_archE910ELNS1_3gpuE8ELNS1_3repE0EEENS1_36merge_oddeven_config_static_selectorELNS0_4arch9wavefront6targetE1EEEvSM_,comdat
.Lfunc_end289:
	.size	_ZN7rocprim17ROCPRIM_400000_NS6detail17trampoline_kernelINS0_14default_configENS1_38merge_sort_block_merge_config_selectorIlNS0_10empty_typeEEEZZNS1_27merge_sort_block_merge_implIS3_PlPS5_mZN2at6native12_GLOBAL__N_124unique_dim_cuda_templateIaEESt5tupleIJNSA_6TensorESF_SF_EERKSF_lbbbEUlllE_EE10hipError_tT0_T1_T2_jT3_P12ihipStream_tbPNSt15iterator_traitsISL_E10value_typeEPNSR_ISM_E10value_typeEPSN_NS1_7vsmem_tEENKUlT_SL_SM_SN_E_clIS8_S8_S9_S9_EESK_S10_SL_SM_SN_EUlS10_E1_NS1_11comp_targetILNS1_3genE4ELNS1_11target_archE910ELNS1_3gpuE8ELNS1_3repE0EEENS1_36merge_oddeven_config_static_selectorELNS0_4arch9wavefront6targetE1EEEvSM_, .Lfunc_end289-_ZN7rocprim17ROCPRIM_400000_NS6detail17trampoline_kernelINS0_14default_configENS1_38merge_sort_block_merge_config_selectorIlNS0_10empty_typeEEEZZNS1_27merge_sort_block_merge_implIS3_PlPS5_mZN2at6native12_GLOBAL__N_124unique_dim_cuda_templateIaEESt5tupleIJNSA_6TensorESF_SF_EERKSF_lbbbEUlllE_EE10hipError_tT0_T1_T2_jT3_P12ihipStream_tbPNSt15iterator_traitsISL_E10value_typeEPNSR_ISM_E10value_typeEPSN_NS1_7vsmem_tEENKUlT_SL_SM_SN_E_clIS8_S8_S9_S9_EESK_S10_SL_SM_SN_EUlS10_E1_NS1_11comp_targetILNS1_3genE4ELNS1_11target_archE910ELNS1_3gpuE8ELNS1_3repE0EEENS1_36merge_oddeven_config_static_selectorELNS0_4arch9wavefront6targetE1EEEvSM_
                                        ; -- End function
	.section	.AMDGPU.csdata,"",@progbits
; Kernel info:
; codeLenInByte = 1836
; NumSgprs: 48
; NumVgprs: 20
; NumAgprs: 0
; TotalNumVgprs: 20
; ScratchSize: 0
; MemoryBound: 0
; FloatMode: 240
; IeeeMode: 1
; LDSByteSize: 0 bytes/workgroup (compile time only)
; SGPRBlocks: 5
; VGPRBlocks: 2
; NumSGPRsForWavesPerEU: 48
; NumVGPRsForWavesPerEU: 20
; AccumOffset: 20
; Occupancy: 8
; WaveLimiterHint : 0
; COMPUTE_PGM_RSRC2:SCRATCH_EN: 0
; COMPUTE_PGM_RSRC2:USER_SGPR: 6
; COMPUTE_PGM_RSRC2:TRAP_HANDLER: 0
; COMPUTE_PGM_RSRC2:TGID_X_EN: 1
; COMPUTE_PGM_RSRC2:TGID_Y_EN: 0
; COMPUTE_PGM_RSRC2:TGID_Z_EN: 0
; COMPUTE_PGM_RSRC2:TIDIG_COMP_CNT: 0
; COMPUTE_PGM_RSRC3_GFX90A:ACCUM_OFFSET: 4
; COMPUTE_PGM_RSRC3_GFX90A:TG_SPLIT: 0
	.section	.text._ZN7rocprim17ROCPRIM_400000_NS6detail17trampoline_kernelINS0_14default_configENS1_38merge_sort_block_merge_config_selectorIlNS0_10empty_typeEEEZZNS1_27merge_sort_block_merge_implIS3_PlPS5_mZN2at6native12_GLOBAL__N_124unique_dim_cuda_templateIaEESt5tupleIJNSA_6TensorESF_SF_EERKSF_lbbbEUlllE_EE10hipError_tT0_T1_T2_jT3_P12ihipStream_tbPNSt15iterator_traitsISL_E10value_typeEPNSR_ISM_E10value_typeEPSN_NS1_7vsmem_tEENKUlT_SL_SM_SN_E_clIS8_S8_S9_S9_EESK_S10_SL_SM_SN_EUlS10_E1_NS1_11comp_targetILNS1_3genE3ELNS1_11target_archE908ELNS1_3gpuE7ELNS1_3repE0EEENS1_36merge_oddeven_config_static_selectorELNS0_4arch9wavefront6targetE1EEEvSM_,"axG",@progbits,_ZN7rocprim17ROCPRIM_400000_NS6detail17trampoline_kernelINS0_14default_configENS1_38merge_sort_block_merge_config_selectorIlNS0_10empty_typeEEEZZNS1_27merge_sort_block_merge_implIS3_PlPS5_mZN2at6native12_GLOBAL__N_124unique_dim_cuda_templateIaEESt5tupleIJNSA_6TensorESF_SF_EERKSF_lbbbEUlllE_EE10hipError_tT0_T1_T2_jT3_P12ihipStream_tbPNSt15iterator_traitsISL_E10value_typeEPNSR_ISM_E10value_typeEPSN_NS1_7vsmem_tEENKUlT_SL_SM_SN_E_clIS8_S8_S9_S9_EESK_S10_SL_SM_SN_EUlS10_E1_NS1_11comp_targetILNS1_3genE3ELNS1_11target_archE908ELNS1_3gpuE7ELNS1_3repE0EEENS1_36merge_oddeven_config_static_selectorELNS0_4arch9wavefront6targetE1EEEvSM_,comdat
	.globl	_ZN7rocprim17ROCPRIM_400000_NS6detail17trampoline_kernelINS0_14default_configENS1_38merge_sort_block_merge_config_selectorIlNS0_10empty_typeEEEZZNS1_27merge_sort_block_merge_implIS3_PlPS5_mZN2at6native12_GLOBAL__N_124unique_dim_cuda_templateIaEESt5tupleIJNSA_6TensorESF_SF_EERKSF_lbbbEUlllE_EE10hipError_tT0_T1_T2_jT3_P12ihipStream_tbPNSt15iterator_traitsISL_E10value_typeEPNSR_ISM_E10value_typeEPSN_NS1_7vsmem_tEENKUlT_SL_SM_SN_E_clIS8_S8_S9_S9_EESK_S10_SL_SM_SN_EUlS10_E1_NS1_11comp_targetILNS1_3genE3ELNS1_11target_archE908ELNS1_3gpuE7ELNS1_3repE0EEENS1_36merge_oddeven_config_static_selectorELNS0_4arch9wavefront6targetE1EEEvSM_ ; -- Begin function _ZN7rocprim17ROCPRIM_400000_NS6detail17trampoline_kernelINS0_14default_configENS1_38merge_sort_block_merge_config_selectorIlNS0_10empty_typeEEEZZNS1_27merge_sort_block_merge_implIS3_PlPS5_mZN2at6native12_GLOBAL__N_124unique_dim_cuda_templateIaEESt5tupleIJNSA_6TensorESF_SF_EERKSF_lbbbEUlllE_EE10hipError_tT0_T1_T2_jT3_P12ihipStream_tbPNSt15iterator_traitsISL_E10value_typeEPNSR_ISM_E10value_typeEPSN_NS1_7vsmem_tEENKUlT_SL_SM_SN_E_clIS8_S8_S9_S9_EESK_S10_SL_SM_SN_EUlS10_E1_NS1_11comp_targetILNS1_3genE3ELNS1_11target_archE908ELNS1_3gpuE7ELNS1_3repE0EEENS1_36merge_oddeven_config_static_selectorELNS0_4arch9wavefront6targetE1EEEvSM_
	.p2align	8
	.type	_ZN7rocprim17ROCPRIM_400000_NS6detail17trampoline_kernelINS0_14default_configENS1_38merge_sort_block_merge_config_selectorIlNS0_10empty_typeEEEZZNS1_27merge_sort_block_merge_implIS3_PlPS5_mZN2at6native12_GLOBAL__N_124unique_dim_cuda_templateIaEESt5tupleIJNSA_6TensorESF_SF_EERKSF_lbbbEUlllE_EE10hipError_tT0_T1_T2_jT3_P12ihipStream_tbPNSt15iterator_traitsISL_E10value_typeEPNSR_ISM_E10value_typeEPSN_NS1_7vsmem_tEENKUlT_SL_SM_SN_E_clIS8_S8_S9_S9_EESK_S10_SL_SM_SN_EUlS10_E1_NS1_11comp_targetILNS1_3genE3ELNS1_11target_archE908ELNS1_3gpuE7ELNS1_3repE0EEENS1_36merge_oddeven_config_static_selectorELNS0_4arch9wavefront6targetE1EEEvSM_,@function
_ZN7rocprim17ROCPRIM_400000_NS6detail17trampoline_kernelINS0_14default_configENS1_38merge_sort_block_merge_config_selectorIlNS0_10empty_typeEEEZZNS1_27merge_sort_block_merge_implIS3_PlPS5_mZN2at6native12_GLOBAL__N_124unique_dim_cuda_templateIaEESt5tupleIJNSA_6TensorESF_SF_EERKSF_lbbbEUlllE_EE10hipError_tT0_T1_T2_jT3_P12ihipStream_tbPNSt15iterator_traitsISL_E10value_typeEPNSR_ISM_E10value_typeEPSN_NS1_7vsmem_tEENKUlT_SL_SM_SN_E_clIS8_S8_S9_S9_EESK_S10_SL_SM_SN_EUlS10_E1_NS1_11comp_targetILNS1_3genE3ELNS1_11target_archE908ELNS1_3gpuE7ELNS1_3repE0EEENS1_36merge_oddeven_config_static_selectorELNS0_4arch9wavefront6targetE1EEEvSM_: ; @_ZN7rocprim17ROCPRIM_400000_NS6detail17trampoline_kernelINS0_14default_configENS1_38merge_sort_block_merge_config_selectorIlNS0_10empty_typeEEEZZNS1_27merge_sort_block_merge_implIS3_PlPS5_mZN2at6native12_GLOBAL__N_124unique_dim_cuda_templateIaEESt5tupleIJNSA_6TensorESF_SF_EERKSF_lbbbEUlllE_EE10hipError_tT0_T1_T2_jT3_P12ihipStream_tbPNSt15iterator_traitsISL_E10value_typeEPNSR_ISM_E10value_typeEPSN_NS1_7vsmem_tEENKUlT_SL_SM_SN_E_clIS8_S8_S9_S9_EESK_S10_SL_SM_SN_EUlS10_E1_NS1_11comp_targetILNS1_3genE3ELNS1_11target_archE908ELNS1_3gpuE7ELNS1_3repE0EEENS1_36merge_oddeven_config_static_selectorELNS0_4arch9wavefront6targetE1EEEvSM_
; %bb.0:
	.section	.rodata,"a",@progbits
	.p2align	6, 0x0
	.amdhsa_kernel _ZN7rocprim17ROCPRIM_400000_NS6detail17trampoline_kernelINS0_14default_configENS1_38merge_sort_block_merge_config_selectorIlNS0_10empty_typeEEEZZNS1_27merge_sort_block_merge_implIS3_PlPS5_mZN2at6native12_GLOBAL__N_124unique_dim_cuda_templateIaEESt5tupleIJNSA_6TensorESF_SF_EERKSF_lbbbEUlllE_EE10hipError_tT0_T1_T2_jT3_P12ihipStream_tbPNSt15iterator_traitsISL_E10value_typeEPNSR_ISM_E10value_typeEPSN_NS1_7vsmem_tEENKUlT_SL_SM_SN_E_clIS8_S8_S9_S9_EESK_S10_SL_SM_SN_EUlS10_E1_NS1_11comp_targetILNS1_3genE3ELNS1_11target_archE908ELNS1_3gpuE7ELNS1_3repE0EEENS1_36merge_oddeven_config_static_selectorELNS0_4arch9wavefront6targetE1EEEvSM_
		.amdhsa_group_segment_fixed_size 0
		.amdhsa_private_segment_fixed_size 0
		.amdhsa_kernarg_size 64
		.amdhsa_user_sgpr_count 6
		.amdhsa_user_sgpr_private_segment_buffer 1
		.amdhsa_user_sgpr_dispatch_ptr 0
		.amdhsa_user_sgpr_queue_ptr 0
		.amdhsa_user_sgpr_kernarg_segment_ptr 1
		.amdhsa_user_sgpr_dispatch_id 0
		.amdhsa_user_sgpr_flat_scratch_init 0
		.amdhsa_user_sgpr_kernarg_preload_length 0
		.amdhsa_user_sgpr_kernarg_preload_offset 0
		.amdhsa_user_sgpr_private_segment_size 0
		.amdhsa_uses_dynamic_stack 0
		.amdhsa_system_sgpr_private_segment_wavefront_offset 0
		.amdhsa_system_sgpr_workgroup_id_x 1
		.amdhsa_system_sgpr_workgroup_id_y 0
		.amdhsa_system_sgpr_workgroup_id_z 0
		.amdhsa_system_sgpr_workgroup_info 0
		.amdhsa_system_vgpr_workitem_id 0
		.amdhsa_next_free_vgpr 1
		.amdhsa_next_free_sgpr 0
		.amdhsa_accum_offset 4
		.amdhsa_reserve_vcc 0
		.amdhsa_reserve_flat_scratch 0
		.amdhsa_float_round_mode_32 0
		.amdhsa_float_round_mode_16_64 0
		.amdhsa_float_denorm_mode_32 3
		.amdhsa_float_denorm_mode_16_64 3
		.amdhsa_dx10_clamp 1
		.amdhsa_ieee_mode 1
		.amdhsa_fp16_overflow 0
		.amdhsa_tg_split 0
		.amdhsa_exception_fp_ieee_invalid_op 0
		.amdhsa_exception_fp_denorm_src 0
		.amdhsa_exception_fp_ieee_div_zero 0
		.amdhsa_exception_fp_ieee_overflow 0
		.amdhsa_exception_fp_ieee_underflow 0
		.amdhsa_exception_fp_ieee_inexact 0
		.amdhsa_exception_int_div_zero 0
	.end_amdhsa_kernel
	.section	.text._ZN7rocprim17ROCPRIM_400000_NS6detail17trampoline_kernelINS0_14default_configENS1_38merge_sort_block_merge_config_selectorIlNS0_10empty_typeEEEZZNS1_27merge_sort_block_merge_implIS3_PlPS5_mZN2at6native12_GLOBAL__N_124unique_dim_cuda_templateIaEESt5tupleIJNSA_6TensorESF_SF_EERKSF_lbbbEUlllE_EE10hipError_tT0_T1_T2_jT3_P12ihipStream_tbPNSt15iterator_traitsISL_E10value_typeEPNSR_ISM_E10value_typeEPSN_NS1_7vsmem_tEENKUlT_SL_SM_SN_E_clIS8_S8_S9_S9_EESK_S10_SL_SM_SN_EUlS10_E1_NS1_11comp_targetILNS1_3genE3ELNS1_11target_archE908ELNS1_3gpuE7ELNS1_3repE0EEENS1_36merge_oddeven_config_static_selectorELNS0_4arch9wavefront6targetE1EEEvSM_,"axG",@progbits,_ZN7rocprim17ROCPRIM_400000_NS6detail17trampoline_kernelINS0_14default_configENS1_38merge_sort_block_merge_config_selectorIlNS0_10empty_typeEEEZZNS1_27merge_sort_block_merge_implIS3_PlPS5_mZN2at6native12_GLOBAL__N_124unique_dim_cuda_templateIaEESt5tupleIJNSA_6TensorESF_SF_EERKSF_lbbbEUlllE_EE10hipError_tT0_T1_T2_jT3_P12ihipStream_tbPNSt15iterator_traitsISL_E10value_typeEPNSR_ISM_E10value_typeEPSN_NS1_7vsmem_tEENKUlT_SL_SM_SN_E_clIS8_S8_S9_S9_EESK_S10_SL_SM_SN_EUlS10_E1_NS1_11comp_targetILNS1_3genE3ELNS1_11target_archE908ELNS1_3gpuE7ELNS1_3repE0EEENS1_36merge_oddeven_config_static_selectorELNS0_4arch9wavefront6targetE1EEEvSM_,comdat
.Lfunc_end290:
	.size	_ZN7rocprim17ROCPRIM_400000_NS6detail17trampoline_kernelINS0_14default_configENS1_38merge_sort_block_merge_config_selectorIlNS0_10empty_typeEEEZZNS1_27merge_sort_block_merge_implIS3_PlPS5_mZN2at6native12_GLOBAL__N_124unique_dim_cuda_templateIaEESt5tupleIJNSA_6TensorESF_SF_EERKSF_lbbbEUlllE_EE10hipError_tT0_T1_T2_jT3_P12ihipStream_tbPNSt15iterator_traitsISL_E10value_typeEPNSR_ISM_E10value_typeEPSN_NS1_7vsmem_tEENKUlT_SL_SM_SN_E_clIS8_S8_S9_S9_EESK_S10_SL_SM_SN_EUlS10_E1_NS1_11comp_targetILNS1_3genE3ELNS1_11target_archE908ELNS1_3gpuE7ELNS1_3repE0EEENS1_36merge_oddeven_config_static_selectorELNS0_4arch9wavefront6targetE1EEEvSM_, .Lfunc_end290-_ZN7rocprim17ROCPRIM_400000_NS6detail17trampoline_kernelINS0_14default_configENS1_38merge_sort_block_merge_config_selectorIlNS0_10empty_typeEEEZZNS1_27merge_sort_block_merge_implIS3_PlPS5_mZN2at6native12_GLOBAL__N_124unique_dim_cuda_templateIaEESt5tupleIJNSA_6TensorESF_SF_EERKSF_lbbbEUlllE_EE10hipError_tT0_T1_T2_jT3_P12ihipStream_tbPNSt15iterator_traitsISL_E10value_typeEPNSR_ISM_E10value_typeEPSN_NS1_7vsmem_tEENKUlT_SL_SM_SN_E_clIS8_S8_S9_S9_EESK_S10_SL_SM_SN_EUlS10_E1_NS1_11comp_targetILNS1_3genE3ELNS1_11target_archE908ELNS1_3gpuE7ELNS1_3repE0EEENS1_36merge_oddeven_config_static_selectorELNS0_4arch9wavefront6targetE1EEEvSM_
                                        ; -- End function
	.section	.AMDGPU.csdata,"",@progbits
; Kernel info:
; codeLenInByte = 0
; NumSgprs: 4
; NumVgprs: 0
; NumAgprs: 0
; TotalNumVgprs: 0
; ScratchSize: 0
; MemoryBound: 0
; FloatMode: 240
; IeeeMode: 1
; LDSByteSize: 0 bytes/workgroup (compile time only)
; SGPRBlocks: 0
; VGPRBlocks: 0
; NumSGPRsForWavesPerEU: 4
; NumVGPRsForWavesPerEU: 1
; AccumOffset: 4
; Occupancy: 8
; WaveLimiterHint : 0
; COMPUTE_PGM_RSRC2:SCRATCH_EN: 0
; COMPUTE_PGM_RSRC2:USER_SGPR: 6
; COMPUTE_PGM_RSRC2:TRAP_HANDLER: 0
; COMPUTE_PGM_RSRC2:TGID_X_EN: 1
; COMPUTE_PGM_RSRC2:TGID_Y_EN: 0
; COMPUTE_PGM_RSRC2:TGID_Z_EN: 0
; COMPUTE_PGM_RSRC2:TIDIG_COMP_CNT: 0
; COMPUTE_PGM_RSRC3_GFX90A:ACCUM_OFFSET: 0
; COMPUTE_PGM_RSRC3_GFX90A:TG_SPLIT: 0
	.section	.text._ZN7rocprim17ROCPRIM_400000_NS6detail17trampoline_kernelINS0_14default_configENS1_38merge_sort_block_merge_config_selectorIlNS0_10empty_typeEEEZZNS1_27merge_sort_block_merge_implIS3_PlPS5_mZN2at6native12_GLOBAL__N_124unique_dim_cuda_templateIaEESt5tupleIJNSA_6TensorESF_SF_EERKSF_lbbbEUlllE_EE10hipError_tT0_T1_T2_jT3_P12ihipStream_tbPNSt15iterator_traitsISL_E10value_typeEPNSR_ISM_E10value_typeEPSN_NS1_7vsmem_tEENKUlT_SL_SM_SN_E_clIS8_S8_S9_S9_EESK_S10_SL_SM_SN_EUlS10_E1_NS1_11comp_targetILNS1_3genE2ELNS1_11target_archE906ELNS1_3gpuE6ELNS1_3repE0EEENS1_36merge_oddeven_config_static_selectorELNS0_4arch9wavefront6targetE1EEEvSM_,"axG",@progbits,_ZN7rocprim17ROCPRIM_400000_NS6detail17trampoline_kernelINS0_14default_configENS1_38merge_sort_block_merge_config_selectorIlNS0_10empty_typeEEEZZNS1_27merge_sort_block_merge_implIS3_PlPS5_mZN2at6native12_GLOBAL__N_124unique_dim_cuda_templateIaEESt5tupleIJNSA_6TensorESF_SF_EERKSF_lbbbEUlllE_EE10hipError_tT0_T1_T2_jT3_P12ihipStream_tbPNSt15iterator_traitsISL_E10value_typeEPNSR_ISM_E10value_typeEPSN_NS1_7vsmem_tEENKUlT_SL_SM_SN_E_clIS8_S8_S9_S9_EESK_S10_SL_SM_SN_EUlS10_E1_NS1_11comp_targetILNS1_3genE2ELNS1_11target_archE906ELNS1_3gpuE6ELNS1_3repE0EEENS1_36merge_oddeven_config_static_selectorELNS0_4arch9wavefront6targetE1EEEvSM_,comdat
	.globl	_ZN7rocprim17ROCPRIM_400000_NS6detail17trampoline_kernelINS0_14default_configENS1_38merge_sort_block_merge_config_selectorIlNS0_10empty_typeEEEZZNS1_27merge_sort_block_merge_implIS3_PlPS5_mZN2at6native12_GLOBAL__N_124unique_dim_cuda_templateIaEESt5tupleIJNSA_6TensorESF_SF_EERKSF_lbbbEUlllE_EE10hipError_tT0_T1_T2_jT3_P12ihipStream_tbPNSt15iterator_traitsISL_E10value_typeEPNSR_ISM_E10value_typeEPSN_NS1_7vsmem_tEENKUlT_SL_SM_SN_E_clIS8_S8_S9_S9_EESK_S10_SL_SM_SN_EUlS10_E1_NS1_11comp_targetILNS1_3genE2ELNS1_11target_archE906ELNS1_3gpuE6ELNS1_3repE0EEENS1_36merge_oddeven_config_static_selectorELNS0_4arch9wavefront6targetE1EEEvSM_ ; -- Begin function _ZN7rocprim17ROCPRIM_400000_NS6detail17trampoline_kernelINS0_14default_configENS1_38merge_sort_block_merge_config_selectorIlNS0_10empty_typeEEEZZNS1_27merge_sort_block_merge_implIS3_PlPS5_mZN2at6native12_GLOBAL__N_124unique_dim_cuda_templateIaEESt5tupleIJNSA_6TensorESF_SF_EERKSF_lbbbEUlllE_EE10hipError_tT0_T1_T2_jT3_P12ihipStream_tbPNSt15iterator_traitsISL_E10value_typeEPNSR_ISM_E10value_typeEPSN_NS1_7vsmem_tEENKUlT_SL_SM_SN_E_clIS8_S8_S9_S9_EESK_S10_SL_SM_SN_EUlS10_E1_NS1_11comp_targetILNS1_3genE2ELNS1_11target_archE906ELNS1_3gpuE6ELNS1_3repE0EEENS1_36merge_oddeven_config_static_selectorELNS0_4arch9wavefront6targetE1EEEvSM_
	.p2align	8
	.type	_ZN7rocprim17ROCPRIM_400000_NS6detail17trampoline_kernelINS0_14default_configENS1_38merge_sort_block_merge_config_selectorIlNS0_10empty_typeEEEZZNS1_27merge_sort_block_merge_implIS3_PlPS5_mZN2at6native12_GLOBAL__N_124unique_dim_cuda_templateIaEESt5tupleIJNSA_6TensorESF_SF_EERKSF_lbbbEUlllE_EE10hipError_tT0_T1_T2_jT3_P12ihipStream_tbPNSt15iterator_traitsISL_E10value_typeEPNSR_ISM_E10value_typeEPSN_NS1_7vsmem_tEENKUlT_SL_SM_SN_E_clIS8_S8_S9_S9_EESK_S10_SL_SM_SN_EUlS10_E1_NS1_11comp_targetILNS1_3genE2ELNS1_11target_archE906ELNS1_3gpuE6ELNS1_3repE0EEENS1_36merge_oddeven_config_static_selectorELNS0_4arch9wavefront6targetE1EEEvSM_,@function
_ZN7rocprim17ROCPRIM_400000_NS6detail17trampoline_kernelINS0_14default_configENS1_38merge_sort_block_merge_config_selectorIlNS0_10empty_typeEEEZZNS1_27merge_sort_block_merge_implIS3_PlPS5_mZN2at6native12_GLOBAL__N_124unique_dim_cuda_templateIaEESt5tupleIJNSA_6TensorESF_SF_EERKSF_lbbbEUlllE_EE10hipError_tT0_T1_T2_jT3_P12ihipStream_tbPNSt15iterator_traitsISL_E10value_typeEPNSR_ISM_E10value_typeEPSN_NS1_7vsmem_tEENKUlT_SL_SM_SN_E_clIS8_S8_S9_S9_EESK_S10_SL_SM_SN_EUlS10_E1_NS1_11comp_targetILNS1_3genE2ELNS1_11target_archE906ELNS1_3gpuE6ELNS1_3repE0EEENS1_36merge_oddeven_config_static_selectorELNS0_4arch9wavefront6targetE1EEEvSM_: ; @_ZN7rocprim17ROCPRIM_400000_NS6detail17trampoline_kernelINS0_14default_configENS1_38merge_sort_block_merge_config_selectorIlNS0_10empty_typeEEEZZNS1_27merge_sort_block_merge_implIS3_PlPS5_mZN2at6native12_GLOBAL__N_124unique_dim_cuda_templateIaEESt5tupleIJNSA_6TensorESF_SF_EERKSF_lbbbEUlllE_EE10hipError_tT0_T1_T2_jT3_P12ihipStream_tbPNSt15iterator_traitsISL_E10value_typeEPNSR_ISM_E10value_typeEPSN_NS1_7vsmem_tEENKUlT_SL_SM_SN_E_clIS8_S8_S9_S9_EESK_S10_SL_SM_SN_EUlS10_E1_NS1_11comp_targetILNS1_3genE2ELNS1_11target_archE906ELNS1_3gpuE6ELNS1_3repE0EEENS1_36merge_oddeven_config_static_selectorELNS0_4arch9wavefront6targetE1EEEvSM_
; %bb.0:
	.section	.rodata,"a",@progbits
	.p2align	6, 0x0
	.amdhsa_kernel _ZN7rocprim17ROCPRIM_400000_NS6detail17trampoline_kernelINS0_14default_configENS1_38merge_sort_block_merge_config_selectorIlNS0_10empty_typeEEEZZNS1_27merge_sort_block_merge_implIS3_PlPS5_mZN2at6native12_GLOBAL__N_124unique_dim_cuda_templateIaEESt5tupleIJNSA_6TensorESF_SF_EERKSF_lbbbEUlllE_EE10hipError_tT0_T1_T2_jT3_P12ihipStream_tbPNSt15iterator_traitsISL_E10value_typeEPNSR_ISM_E10value_typeEPSN_NS1_7vsmem_tEENKUlT_SL_SM_SN_E_clIS8_S8_S9_S9_EESK_S10_SL_SM_SN_EUlS10_E1_NS1_11comp_targetILNS1_3genE2ELNS1_11target_archE906ELNS1_3gpuE6ELNS1_3repE0EEENS1_36merge_oddeven_config_static_selectorELNS0_4arch9wavefront6targetE1EEEvSM_
		.amdhsa_group_segment_fixed_size 0
		.amdhsa_private_segment_fixed_size 0
		.amdhsa_kernarg_size 64
		.amdhsa_user_sgpr_count 6
		.amdhsa_user_sgpr_private_segment_buffer 1
		.amdhsa_user_sgpr_dispatch_ptr 0
		.amdhsa_user_sgpr_queue_ptr 0
		.amdhsa_user_sgpr_kernarg_segment_ptr 1
		.amdhsa_user_sgpr_dispatch_id 0
		.amdhsa_user_sgpr_flat_scratch_init 0
		.amdhsa_user_sgpr_kernarg_preload_length 0
		.amdhsa_user_sgpr_kernarg_preload_offset 0
		.amdhsa_user_sgpr_private_segment_size 0
		.amdhsa_uses_dynamic_stack 0
		.amdhsa_system_sgpr_private_segment_wavefront_offset 0
		.amdhsa_system_sgpr_workgroup_id_x 1
		.amdhsa_system_sgpr_workgroup_id_y 0
		.amdhsa_system_sgpr_workgroup_id_z 0
		.amdhsa_system_sgpr_workgroup_info 0
		.amdhsa_system_vgpr_workitem_id 0
		.amdhsa_next_free_vgpr 1
		.amdhsa_next_free_sgpr 0
		.amdhsa_accum_offset 4
		.amdhsa_reserve_vcc 0
		.amdhsa_reserve_flat_scratch 0
		.amdhsa_float_round_mode_32 0
		.amdhsa_float_round_mode_16_64 0
		.amdhsa_float_denorm_mode_32 3
		.amdhsa_float_denorm_mode_16_64 3
		.amdhsa_dx10_clamp 1
		.amdhsa_ieee_mode 1
		.amdhsa_fp16_overflow 0
		.amdhsa_tg_split 0
		.amdhsa_exception_fp_ieee_invalid_op 0
		.amdhsa_exception_fp_denorm_src 0
		.amdhsa_exception_fp_ieee_div_zero 0
		.amdhsa_exception_fp_ieee_overflow 0
		.amdhsa_exception_fp_ieee_underflow 0
		.amdhsa_exception_fp_ieee_inexact 0
		.amdhsa_exception_int_div_zero 0
	.end_amdhsa_kernel
	.section	.text._ZN7rocprim17ROCPRIM_400000_NS6detail17trampoline_kernelINS0_14default_configENS1_38merge_sort_block_merge_config_selectorIlNS0_10empty_typeEEEZZNS1_27merge_sort_block_merge_implIS3_PlPS5_mZN2at6native12_GLOBAL__N_124unique_dim_cuda_templateIaEESt5tupleIJNSA_6TensorESF_SF_EERKSF_lbbbEUlllE_EE10hipError_tT0_T1_T2_jT3_P12ihipStream_tbPNSt15iterator_traitsISL_E10value_typeEPNSR_ISM_E10value_typeEPSN_NS1_7vsmem_tEENKUlT_SL_SM_SN_E_clIS8_S8_S9_S9_EESK_S10_SL_SM_SN_EUlS10_E1_NS1_11comp_targetILNS1_3genE2ELNS1_11target_archE906ELNS1_3gpuE6ELNS1_3repE0EEENS1_36merge_oddeven_config_static_selectorELNS0_4arch9wavefront6targetE1EEEvSM_,"axG",@progbits,_ZN7rocprim17ROCPRIM_400000_NS6detail17trampoline_kernelINS0_14default_configENS1_38merge_sort_block_merge_config_selectorIlNS0_10empty_typeEEEZZNS1_27merge_sort_block_merge_implIS3_PlPS5_mZN2at6native12_GLOBAL__N_124unique_dim_cuda_templateIaEESt5tupleIJNSA_6TensorESF_SF_EERKSF_lbbbEUlllE_EE10hipError_tT0_T1_T2_jT3_P12ihipStream_tbPNSt15iterator_traitsISL_E10value_typeEPNSR_ISM_E10value_typeEPSN_NS1_7vsmem_tEENKUlT_SL_SM_SN_E_clIS8_S8_S9_S9_EESK_S10_SL_SM_SN_EUlS10_E1_NS1_11comp_targetILNS1_3genE2ELNS1_11target_archE906ELNS1_3gpuE6ELNS1_3repE0EEENS1_36merge_oddeven_config_static_selectorELNS0_4arch9wavefront6targetE1EEEvSM_,comdat
.Lfunc_end291:
	.size	_ZN7rocprim17ROCPRIM_400000_NS6detail17trampoline_kernelINS0_14default_configENS1_38merge_sort_block_merge_config_selectorIlNS0_10empty_typeEEEZZNS1_27merge_sort_block_merge_implIS3_PlPS5_mZN2at6native12_GLOBAL__N_124unique_dim_cuda_templateIaEESt5tupleIJNSA_6TensorESF_SF_EERKSF_lbbbEUlllE_EE10hipError_tT0_T1_T2_jT3_P12ihipStream_tbPNSt15iterator_traitsISL_E10value_typeEPNSR_ISM_E10value_typeEPSN_NS1_7vsmem_tEENKUlT_SL_SM_SN_E_clIS8_S8_S9_S9_EESK_S10_SL_SM_SN_EUlS10_E1_NS1_11comp_targetILNS1_3genE2ELNS1_11target_archE906ELNS1_3gpuE6ELNS1_3repE0EEENS1_36merge_oddeven_config_static_selectorELNS0_4arch9wavefront6targetE1EEEvSM_, .Lfunc_end291-_ZN7rocprim17ROCPRIM_400000_NS6detail17trampoline_kernelINS0_14default_configENS1_38merge_sort_block_merge_config_selectorIlNS0_10empty_typeEEEZZNS1_27merge_sort_block_merge_implIS3_PlPS5_mZN2at6native12_GLOBAL__N_124unique_dim_cuda_templateIaEESt5tupleIJNSA_6TensorESF_SF_EERKSF_lbbbEUlllE_EE10hipError_tT0_T1_T2_jT3_P12ihipStream_tbPNSt15iterator_traitsISL_E10value_typeEPNSR_ISM_E10value_typeEPSN_NS1_7vsmem_tEENKUlT_SL_SM_SN_E_clIS8_S8_S9_S9_EESK_S10_SL_SM_SN_EUlS10_E1_NS1_11comp_targetILNS1_3genE2ELNS1_11target_archE906ELNS1_3gpuE6ELNS1_3repE0EEENS1_36merge_oddeven_config_static_selectorELNS0_4arch9wavefront6targetE1EEEvSM_
                                        ; -- End function
	.section	.AMDGPU.csdata,"",@progbits
; Kernel info:
; codeLenInByte = 0
; NumSgprs: 4
; NumVgprs: 0
; NumAgprs: 0
; TotalNumVgprs: 0
; ScratchSize: 0
; MemoryBound: 0
; FloatMode: 240
; IeeeMode: 1
; LDSByteSize: 0 bytes/workgroup (compile time only)
; SGPRBlocks: 0
; VGPRBlocks: 0
; NumSGPRsForWavesPerEU: 4
; NumVGPRsForWavesPerEU: 1
; AccumOffset: 4
; Occupancy: 8
; WaveLimiterHint : 0
; COMPUTE_PGM_RSRC2:SCRATCH_EN: 0
; COMPUTE_PGM_RSRC2:USER_SGPR: 6
; COMPUTE_PGM_RSRC2:TRAP_HANDLER: 0
; COMPUTE_PGM_RSRC2:TGID_X_EN: 1
; COMPUTE_PGM_RSRC2:TGID_Y_EN: 0
; COMPUTE_PGM_RSRC2:TGID_Z_EN: 0
; COMPUTE_PGM_RSRC2:TIDIG_COMP_CNT: 0
; COMPUTE_PGM_RSRC3_GFX90A:ACCUM_OFFSET: 0
; COMPUTE_PGM_RSRC3_GFX90A:TG_SPLIT: 0
	.section	.text._ZN7rocprim17ROCPRIM_400000_NS6detail17trampoline_kernelINS0_14default_configENS1_38merge_sort_block_merge_config_selectorIlNS0_10empty_typeEEEZZNS1_27merge_sort_block_merge_implIS3_PlPS5_mZN2at6native12_GLOBAL__N_124unique_dim_cuda_templateIaEESt5tupleIJNSA_6TensorESF_SF_EERKSF_lbbbEUlllE_EE10hipError_tT0_T1_T2_jT3_P12ihipStream_tbPNSt15iterator_traitsISL_E10value_typeEPNSR_ISM_E10value_typeEPSN_NS1_7vsmem_tEENKUlT_SL_SM_SN_E_clIS8_S8_S9_S9_EESK_S10_SL_SM_SN_EUlS10_E1_NS1_11comp_targetILNS1_3genE9ELNS1_11target_archE1100ELNS1_3gpuE3ELNS1_3repE0EEENS1_36merge_oddeven_config_static_selectorELNS0_4arch9wavefront6targetE1EEEvSM_,"axG",@progbits,_ZN7rocprim17ROCPRIM_400000_NS6detail17trampoline_kernelINS0_14default_configENS1_38merge_sort_block_merge_config_selectorIlNS0_10empty_typeEEEZZNS1_27merge_sort_block_merge_implIS3_PlPS5_mZN2at6native12_GLOBAL__N_124unique_dim_cuda_templateIaEESt5tupleIJNSA_6TensorESF_SF_EERKSF_lbbbEUlllE_EE10hipError_tT0_T1_T2_jT3_P12ihipStream_tbPNSt15iterator_traitsISL_E10value_typeEPNSR_ISM_E10value_typeEPSN_NS1_7vsmem_tEENKUlT_SL_SM_SN_E_clIS8_S8_S9_S9_EESK_S10_SL_SM_SN_EUlS10_E1_NS1_11comp_targetILNS1_3genE9ELNS1_11target_archE1100ELNS1_3gpuE3ELNS1_3repE0EEENS1_36merge_oddeven_config_static_selectorELNS0_4arch9wavefront6targetE1EEEvSM_,comdat
	.globl	_ZN7rocprim17ROCPRIM_400000_NS6detail17trampoline_kernelINS0_14default_configENS1_38merge_sort_block_merge_config_selectorIlNS0_10empty_typeEEEZZNS1_27merge_sort_block_merge_implIS3_PlPS5_mZN2at6native12_GLOBAL__N_124unique_dim_cuda_templateIaEESt5tupleIJNSA_6TensorESF_SF_EERKSF_lbbbEUlllE_EE10hipError_tT0_T1_T2_jT3_P12ihipStream_tbPNSt15iterator_traitsISL_E10value_typeEPNSR_ISM_E10value_typeEPSN_NS1_7vsmem_tEENKUlT_SL_SM_SN_E_clIS8_S8_S9_S9_EESK_S10_SL_SM_SN_EUlS10_E1_NS1_11comp_targetILNS1_3genE9ELNS1_11target_archE1100ELNS1_3gpuE3ELNS1_3repE0EEENS1_36merge_oddeven_config_static_selectorELNS0_4arch9wavefront6targetE1EEEvSM_ ; -- Begin function _ZN7rocprim17ROCPRIM_400000_NS6detail17trampoline_kernelINS0_14default_configENS1_38merge_sort_block_merge_config_selectorIlNS0_10empty_typeEEEZZNS1_27merge_sort_block_merge_implIS3_PlPS5_mZN2at6native12_GLOBAL__N_124unique_dim_cuda_templateIaEESt5tupleIJNSA_6TensorESF_SF_EERKSF_lbbbEUlllE_EE10hipError_tT0_T1_T2_jT3_P12ihipStream_tbPNSt15iterator_traitsISL_E10value_typeEPNSR_ISM_E10value_typeEPSN_NS1_7vsmem_tEENKUlT_SL_SM_SN_E_clIS8_S8_S9_S9_EESK_S10_SL_SM_SN_EUlS10_E1_NS1_11comp_targetILNS1_3genE9ELNS1_11target_archE1100ELNS1_3gpuE3ELNS1_3repE0EEENS1_36merge_oddeven_config_static_selectorELNS0_4arch9wavefront6targetE1EEEvSM_
	.p2align	8
	.type	_ZN7rocprim17ROCPRIM_400000_NS6detail17trampoline_kernelINS0_14default_configENS1_38merge_sort_block_merge_config_selectorIlNS0_10empty_typeEEEZZNS1_27merge_sort_block_merge_implIS3_PlPS5_mZN2at6native12_GLOBAL__N_124unique_dim_cuda_templateIaEESt5tupleIJNSA_6TensorESF_SF_EERKSF_lbbbEUlllE_EE10hipError_tT0_T1_T2_jT3_P12ihipStream_tbPNSt15iterator_traitsISL_E10value_typeEPNSR_ISM_E10value_typeEPSN_NS1_7vsmem_tEENKUlT_SL_SM_SN_E_clIS8_S8_S9_S9_EESK_S10_SL_SM_SN_EUlS10_E1_NS1_11comp_targetILNS1_3genE9ELNS1_11target_archE1100ELNS1_3gpuE3ELNS1_3repE0EEENS1_36merge_oddeven_config_static_selectorELNS0_4arch9wavefront6targetE1EEEvSM_,@function
_ZN7rocprim17ROCPRIM_400000_NS6detail17trampoline_kernelINS0_14default_configENS1_38merge_sort_block_merge_config_selectorIlNS0_10empty_typeEEEZZNS1_27merge_sort_block_merge_implIS3_PlPS5_mZN2at6native12_GLOBAL__N_124unique_dim_cuda_templateIaEESt5tupleIJNSA_6TensorESF_SF_EERKSF_lbbbEUlllE_EE10hipError_tT0_T1_T2_jT3_P12ihipStream_tbPNSt15iterator_traitsISL_E10value_typeEPNSR_ISM_E10value_typeEPSN_NS1_7vsmem_tEENKUlT_SL_SM_SN_E_clIS8_S8_S9_S9_EESK_S10_SL_SM_SN_EUlS10_E1_NS1_11comp_targetILNS1_3genE9ELNS1_11target_archE1100ELNS1_3gpuE3ELNS1_3repE0EEENS1_36merge_oddeven_config_static_selectorELNS0_4arch9wavefront6targetE1EEEvSM_: ; @_ZN7rocprim17ROCPRIM_400000_NS6detail17trampoline_kernelINS0_14default_configENS1_38merge_sort_block_merge_config_selectorIlNS0_10empty_typeEEEZZNS1_27merge_sort_block_merge_implIS3_PlPS5_mZN2at6native12_GLOBAL__N_124unique_dim_cuda_templateIaEESt5tupleIJNSA_6TensorESF_SF_EERKSF_lbbbEUlllE_EE10hipError_tT0_T1_T2_jT3_P12ihipStream_tbPNSt15iterator_traitsISL_E10value_typeEPNSR_ISM_E10value_typeEPSN_NS1_7vsmem_tEENKUlT_SL_SM_SN_E_clIS8_S8_S9_S9_EESK_S10_SL_SM_SN_EUlS10_E1_NS1_11comp_targetILNS1_3genE9ELNS1_11target_archE1100ELNS1_3gpuE3ELNS1_3repE0EEENS1_36merge_oddeven_config_static_selectorELNS0_4arch9wavefront6targetE1EEEvSM_
; %bb.0:
	.section	.rodata,"a",@progbits
	.p2align	6, 0x0
	.amdhsa_kernel _ZN7rocprim17ROCPRIM_400000_NS6detail17trampoline_kernelINS0_14default_configENS1_38merge_sort_block_merge_config_selectorIlNS0_10empty_typeEEEZZNS1_27merge_sort_block_merge_implIS3_PlPS5_mZN2at6native12_GLOBAL__N_124unique_dim_cuda_templateIaEESt5tupleIJNSA_6TensorESF_SF_EERKSF_lbbbEUlllE_EE10hipError_tT0_T1_T2_jT3_P12ihipStream_tbPNSt15iterator_traitsISL_E10value_typeEPNSR_ISM_E10value_typeEPSN_NS1_7vsmem_tEENKUlT_SL_SM_SN_E_clIS8_S8_S9_S9_EESK_S10_SL_SM_SN_EUlS10_E1_NS1_11comp_targetILNS1_3genE9ELNS1_11target_archE1100ELNS1_3gpuE3ELNS1_3repE0EEENS1_36merge_oddeven_config_static_selectorELNS0_4arch9wavefront6targetE1EEEvSM_
		.amdhsa_group_segment_fixed_size 0
		.amdhsa_private_segment_fixed_size 0
		.amdhsa_kernarg_size 64
		.amdhsa_user_sgpr_count 6
		.amdhsa_user_sgpr_private_segment_buffer 1
		.amdhsa_user_sgpr_dispatch_ptr 0
		.amdhsa_user_sgpr_queue_ptr 0
		.amdhsa_user_sgpr_kernarg_segment_ptr 1
		.amdhsa_user_sgpr_dispatch_id 0
		.amdhsa_user_sgpr_flat_scratch_init 0
		.amdhsa_user_sgpr_kernarg_preload_length 0
		.amdhsa_user_sgpr_kernarg_preload_offset 0
		.amdhsa_user_sgpr_private_segment_size 0
		.amdhsa_uses_dynamic_stack 0
		.amdhsa_system_sgpr_private_segment_wavefront_offset 0
		.amdhsa_system_sgpr_workgroup_id_x 1
		.amdhsa_system_sgpr_workgroup_id_y 0
		.amdhsa_system_sgpr_workgroup_id_z 0
		.amdhsa_system_sgpr_workgroup_info 0
		.amdhsa_system_vgpr_workitem_id 0
		.amdhsa_next_free_vgpr 1
		.amdhsa_next_free_sgpr 0
		.amdhsa_accum_offset 4
		.amdhsa_reserve_vcc 0
		.amdhsa_reserve_flat_scratch 0
		.amdhsa_float_round_mode_32 0
		.amdhsa_float_round_mode_16_64 0
		.amdhsa_float_denorm_mode_32 3
		.amdhsa_float_denorm_mode_16_64 3
		.amdhsa_dx10_clamp 1
		.amdhsa_ieee_mode 1
		.amdhsa_fp16_overflow 0
		.amdhsa_tg_split 0
		.amdhsa_exception_fp_ieee_invalid_op 0
		.amdhsa_exception_fp_denorm_src 0
		.amdhsa_exception_fp_ieee_div_zero 0
		.amdhsa_exception_fp_ieee_overflow 0
		.amdhsa_exception_fp_ieee_underflow 0
		.amdhsa_exception_fp_ieee_inexact 0
		.amdhsa_exception_int_div_zero 0
	.end_amdhsa_kernel
	.section	.text._ZN7rocprim17ROCPRIM_400000_NS6detail17trampoline_kernelINS0_14default_configENS1_38merge_sort_block_merge_config_selectorIlNS0_10empty_typeEEEZZNS1_27merge_sort_block_merge_implIS3_PlPS5_mZN2at6native12_GLOBAL__N_124unique_dim_cuda_templateIaEESt5tupleIJNSA_6TensorESF_SF_EERKSF_lbbbEUlllE_EE10hipError_tT0_T1_T2_jT3_P12ihipStream_tbPNSt15iterator_traitsISL_E10value_typeEPNSR_ISM_E10value_typeEPSN_NS1_7vsmem_tEENKUlT_SL_SM_SN_E_clIS8_S8_S9_S9_EESK_S10_SL_SM_SN_EUlS10_E1_NS1_11comp_targetILNS1_3genE9ELNS1_11target_archE1100ELNS1_3gpuE3ELNS1_3repE0EEENS1_36merge_oddeven_config_static_selectorELNS0_4arch9wavefront6targetE1EEEvSM_,"axG",@progbits,_ZN7rocprim17ROCPRIM_400000_NS6detail17trampoline_kernelINS0_14default_configENS1_38merge_sort_block_merge_config_selectorIlNS0_10empty_typeEEEZZNS1_27merge_sort_block_merge_implIS3_PlPS5_mZN2at6native12_GLOBAL__N_124unique_dim_cuda_templateIaEESt5tupleIJNSA_6TensorESF_SF_EERKSF_lbbbEUlllE_EE10hipError_tT0_T1_T2_jT3_P12ihipStream_tbPNSt15iterator_traitsISL_E10value_typeEPNSR_ISM_E10value_typeEPSN_NS1_7vsmem_tEENKUlT_SL_SM_SN_E_clIS8_S8_S9_S9_EESK_S10_SL_SM_SN_EUlS10_E1_NS1_11comp_targetILNS1_3genE9ELNS1_11target_archE1100ELNS1_3gpuE3ELNS1_3repE0EEENS1_36merge_oddeven_config_static_selectorELNS0_4arch9wavefront6targetE1EEEvSM_,comdat
.Lfunc_end292:
	.size	_ZN7rocprim17ROCPRIM_400000_NS6detail17trampoline_kernelINS0_14default_configENS1_38merge_sort_block_merge_config_selectorIlNS0_10empty_typeEEEZZNS1_27merge_sort_block_merge_implIS3_PlPS5_mZN2at6native12_GLOBAL__N_124unique_dim_cuda_templateIaEESt5tupleIJNSA_6TensorESF_SF_EERKSF_lbbbEUlllE_EE10hipError_tT0_T1_T2_jT3_P12ihipStream_tbPNSt15iterator_traitsISL_E10value_typeEPNSR_ISM_E10value_typeEPSN_NS1_7vsmem_tEENKUlT_SL_SM_SN_E_clIS8_S8_S9_S9_EESK_S10_SL_SM_SN_EUlS10_E1_NS1_11comp_targetILNS1_3genE9ELNS1_11target_archE1100ELNS1_3gpuE3ELNS1_3repE0EEENS1_36merge_oddeven_config_static_selectorELNS0_4arch9wavefront6targetE1EEEvSM_, .Lfunc_end292-_ZN7rocprim17ROCPRIM_400000_NS6detail17trampoline_kernelINS0_14default_configENS1_38merge_sort_block_merge_config_selectorIlNS0_10empty_typeEEEZZNS1_27merge_sort_block_merge_implIS3_PlPS5_mZN2at6native12_GLOBAL__N_124unique_dim_cuda_templateIaEESt5tupleIJNSA_6TensorESF_SF_EERKSF_lbbbEUlllE_EE10hipError_tT0_T1_T2_jT3_P12ihipStream_tbPNSt15iterator_traitsISL_E10value_typeEPNSR_ISM_E10value_typeEPSN_NS1_7vsmem_tEENKUlT_SL_SM_SN_E_clIS8_S8_S9_S9_EESK_S10_SL_SM_SN_EUlS10_E1_NS1_11comp_targetILNS1_3genE9ELNS1_11target_archE1100ELNS1_3gpuE3ELNS1_3repE0EEENS1_36merge_oddeven_config_static_selectorELNS0_4arch9wavefront6targetE1EEEvSM_
                                        ; -- End function
	.section	.AMDGPU.csdata,"",@progbits
; Kernel info:
; codeLenInByte = 0
; NumSgprs: 4
; NumVgprs: 0
; NumAgprs: 0
; TotalNumVgprs: 0
; ScratchSize: 0
; MemoryBound: 0
; FloatMode: 240
; IeeeMode: 1
; LDSByteSize: 0 bytes/workgroup (compile time only)
; SGPRBlocks: 0
; VGPRBlocks: 0
; NumSGPRsForWavesPerEU: 4
; NumVGPRsForWavesPerEU: 1
; AccumOffset: 4
; Occupancy: 8
; WaveLimiterHint : 0
; COMPUTE_PGM_RSRC2:SCRATCH_EN: 0
; COMPUTE_PGM_RSRC2:USER_SGPR: 6
; COMPUTE_PGM_RSRC2:TRAP_HANDLER: 0
; COMPUTE_PGM_RSRC2:TGID_X_EN: 1
; COMPUTE_PGM_RSRC2:TGID_Y_EN: 0
; COMPUTE_PGM_RSRC2:TGID_Z_EN: 0
; COMPUTE_PGM_RSRC2:TIDIG_COMP_CNT: 0
; COMPUTE_PGM_RSRC3_GFX90A:ACCUM_OFFSET: 0
; COMPUTE_PGM_RSRC3_GFX90A:TG_SPLIT: 0
	.section	.text._ZN7rocprim17ROCPRIM_400000_NS6detail17trampoline_kernelINS0_14default_configENS1_38merge_sort_block_merge_config_selectorIlNS0_10empty_typeEEEZZNS1_27merge_sort_block_merge_implIS3_PlPS5_mZN2at6native12_GLOBAL__N_124unique_dim_cuda_templateIaEESt5tupleIJNSA_6TensorESF_SF_EERKSF_lbbbEUlllE_EE10hipError_tT0_T1_T2_jT3_P12ihipStream_tbPNSt15iterator_traitsISL_E10value_typeEPNSR_ISM_E10value_typeEPSN_NS1_7vsmem_tEENKUlT_SL_SM_SN_E_clIS8_S8_S9_S9_EESK_S10_SL_SM_SN_EUlS10_E1_NS1_11comp_targetILNS1_3genE8ELNS1_11target_archE1030ELNS1_3gpuE2ELNS1_3repE0EEENS1_36merge_oddeven_config_static_selectorELNS0_4arch9wavefront6targetE1EEEvSM_,"axG",@progbits,_ZN7rocprim17ROCPRIM_400000_NS6detail17trampoline_kernelINS0_14default_configENS1_38merge_sort_block_merge_config_selectorIlNS0_10empty_typeEEEZZNS1_27merge_sort_block_merge_implIS3_PlPS5_mZN2at6native12_GLOBAL__N_124unique_dim_cuda_templateIaEESt5tupleIJNSA_6TensorESF_SF_EERKSF_lbbbEUlllE_EE10hipError_tT0_T1_T2_jT3_P12ihipStream_tbPNSt15iterator_traitsISL_E10value_typeEPNSR_ISM_E10value_typeEPSN_NS1_7vsmem_tEENKUlT_SL_SM_SN_E_clIS8_S8_S9_S9_EESK_S10_SL_SM_SN_EUlS10_E1_NS1_11comp_targetILNS1_3genE8ELNS1_11target_archE1030ELNS1_3gpuE2ELNS1_3repE0EEENS1_36merge_oddeven_config_static_selectorELNS0_4arch9wavefront6targetE1EEEvSM_,comdat
	.globl	_ZN7rocprim17ROCPRIM_400000_NS6detail17trampoline_kernelINS0_14default_configENS1_38merge_sort_block_merge_config_selectorIlNS0_10empty_typeEEEZZNS1_27merge_sort_block_merge_implIS3_PlPS5_mZN2at6native12_GLOBAL__N_124unique_dim_cuda_templateIaEESt5tupleIJNSA_6TensorESF_SF_EERKSF_lbbbEUlllE_EE10hipError_tT0_T1_T2_jT3_P12ihipStream_tbPNSt15iterator_traitsISL_E10value_typeEPNSR_ISM_E10value_typeEPSN_NS1_7vsmem_tEENKUlT_SL_SM_SN_E_clIS8_S8_S9_S9_EESK_S10_SL_SM_SN_EUlS10_E1_NS1_11comp_targetILNS1_3genE8ELNS1_11target_archE1030ELNS1_3gpuE2ELNS1_3repE0EEENS1_36merge_oddeven_config_static_selectorELNS0_4arch9wavefront6targetE1EEEvSM_ ; -- Begin function _ZN7rocprim17ROCPRIM_400000_NS6detail17trampoline_kernelINS0_14default_configENS1_38merge_sort_block_merge_config_selectorIlNS0_10empty_typeEEEZZNS1_27merge_sort_block_merge_implIS3_PlPS5_mZN2at6native12_GLOBAL__N_124unique_dim_cuda_templateIaEESt5tupleIJNSA_6TensorESF_SF_EERKSF_lbbbEUlllE_EE10hipError_tT0_T1_T2_jT3_P12ihipStream_tbPNSt15iterator_traitsISL_E10value_typeEPNSR_ISM_E10value_typeEPSN_NS1_7vsmem_tEENKUlT_SL_SM_SN_E_clIS8_S8_S9_S9_EESK_S10_SL_SM_SN_EUlS10_E1_NS1_11comp_targetILNS1_3genE8ELNS1_11target_archE1030ELNS1_3gpuE2ELNS1_3repE0EEENS1_36merge_oddeven_config_static_selectorELNS0_4arch9wavefront6targetE1EEEvSM_
	.p2align	8
	.type	_ZN7rocprim17ROCPRIM_400000_NS6detail17trampoline_kernelINS0_14default_configENS1_38merge_sort_block_merge_config_selectorIlNS0_10empty_typeEEEZZNS1_27merge_sort_block_merge_implIS3_PlPS5_mZN2at6native12_GLOBAL__N_124unique_dim_cuda_templateIaEESt5tupleIJNSA_6TensorESF_SF_EERKSF_lbbbEUlllE_EE10hipError_tT0_T1_T2_jT3_P12ihipStream_tbPNSt15iterator_traitsISL_E10value_typeEPNSR_ISM_E10value_typeEPSN_NS1_7vsmem_tEENKUlT_SL_SM_SN_E_clIS8_S8_S9_S9_EESK_S10_SL_SM_SN_EUlS10_E1_NS1_11comp_targetILNS1_3genE8ELNS1_11target_archE1030ELNS1_3gpuE2ELNS1_3repE0EEENS1_36merge_oddeven_config_static_selectorELNS0_4arch9wavefront6targetE1EEEvSM_,@function
_ZN7rocprim17ROCPRIM_400000_NS6detail17trampoline_kernelINS0_14default_configENS1_38merge_sort_block_merge_config_selectorIlNS0_10empty_typeEEEZZNS1_27merge_sort_block_merge_implIS3_PlPS5_mZN2at6native12_GLOBAL__N_124unique_dim_cuda_templateIaEESt5tupleIJNSA_6TensorESF_SF_EERKSF_lbbbEUlllE_EE10hipError_tT0_T1_T2_jT3_P12ihipStream_tbPNSt15iterator_traitsISL_E10value_typeEPNSR_ISM_E10value_typeEPSN_NS1_7vsmem_tEENKUlT_SL_SM_SN_E_clIS8_S8_S9_S9_EESK_S10_SL_SM_SN_EUlS10_E1_NS1_11comp_targetILNS1_3genE8ELNS1_11target_archE1030ELNS1_3gpuE2ELNS1_3repE0EEENS1_36merge_oddeven_config_static_selectorELNS0_4arch9wavefront6targetE1EEEvSM_: ; @_ZN7rocprim17ROCPRIM_400000_NS6detail17trampoline_kernelINS0_14default_configENS1_38merge_sort_block_merge_config_selectorIlNS0_10empty_typeEEEZZNS1_27merge_sort_block_merge_implIS3_PlPS5_mZN2at6native12_GLOBAL__N_124unique_dim_cuda_templateIaEESt5tupleIJNSA_6TensorESF_SF_EERKSF_lbbbEUlllE_EE10hipError_tT0_T1_T2_jT3_P12ihipStream_tbPNSt15iterator_traitsISL_E10value_typeEPNSR_ISM_E10value_typeEPSN_NS1_7vsmem_tEENKUlT_SL_SM_SN_E_clIS8_S8_S9_S9_EESK_S10_SL_SM_SN_EUlS10_E1_NS1_11comp_targetILNS1_3genE8ELNS1_11target_archE1030ELNS1_3gpuE2ELNS1_3repE0EEENS1_36merge_oddeven_config_static_selectorELNS0_4arch9wavefront6targetE1EEEvSM_
; %bb.0:
	.section	.rodata,"a",@progbits
	.p2align	6, 0x0
	.amdhsa_kernel _ZN7rocprim17ROCPRIM_400000_NS6detail17trampoline_kernelINS0_14default_configENS1_38merge_sort_block_merge_config_selectorIlNS0_10empty_typeEEEZZNS1_27merge_sort_block_merge_implIS3_PlPS5_mZN2at6native12_GLOBAL__N_124unique_dim_cuda_templateIaEESt5tupleIJNSA_6TensorESF_SF_EERKSF_lbbbEUlllE_EE10hipError_tT0_T1_T2_jT3_P12ihipStream_tbPNSt15iterator_traitsISL_E10value_typeEPNSR_ISM_E10value_typeEPSN_NS1_7vsmem_tEENKUlT_SL_SM_SN_E_clIS8_S8_S9_S9_EESK_S10_SL_SM_SN_EUlS10_E1_NS1_11comp_targetILNS1_3genE8ELNS1_11target_archE1030ELNS1_3gpuE2ELNS1_3repE0EEENS1_36merge_oddeven_config_static_selectorELNS0_4arch9wavefront6targetE1EEEvSM_
		.amdhsa_group_segment_fixed_size 0
		.amdhsa_private_segment_fixed_size 0
		.amdhsa_kernarg_size 64
		.amdhsa_user_sgpr_count 6
		.amdhsa_user_sgpr_private_segment_buffer 1
		.amdhsa_user_sgpr_dispatch_ptr 0
		.amdhsa_user_sgpr_queue_ptr 0
		.amdhsa_user_sgpr_kernarg_segment_ptr 1
		.amdhsa_user_sgpr_dispatch_id 0
		.amdhsa_user_sgpr_flat_scratch_init 0
		.amdhsa_user_sgpr_kernarg_preload_length 0
		.amdhsa_user_sgpr_kernarg_preload_offset 0
		.amdhsa_user_sgpr_private_segment_size 0
		.amdhsa_uses_dynamic_stack 0
		.amdhsa_system_sgpr_private_segment_wavefront_offset 0
		.amdhsa_system_sgpr_workgroup_id_x 1
		.amdhsa_system_sgpr_workgroup_id_y 0
		.amdhsa_system_sgpr_workgroup_id_z 0
		.amdhsa_system_sgpr_workgroup_info 0
		.amdhsa_system_vgpr_workitem_id 0
		.amdhsa_next_free_vgpr 1
		.amdhsa_next_free_sgpr 0
		.amdhsa_accum_offset 4
		.amdhsa_reserve_vcc 0
		.amdhsa_reserve_flat_scratch 0
		.amdhsa_float_round_mode_32 0
		.amdhsa_float_round_mode_16_64 0
		.amdhsa_float_denorm_mode_32 3
		.amdhsa_float_denorm_mode_16_64 3
		.amdhsa_dx10_clamp 1
		.amdhsa_ieee_mode 1
		.amdhsa_fp16_overflow 0
		.amdhsa_tg_split 0
		.amdhsa_exception_fp_ieee_invalid_op 0
		.amdhsa_exception_fp_denorm_src 0
		.amdhsa_exception_fp_ieee_div_zero 0
		.amdhsa_exception_fp_ieee_overflow 0
		.amdhsa_exception_fp_ieee_underflow 0
		.amdhsa_exception_fp_ieee_inexact 0
		.amdhsa_exception_int_div_zero 0
	.end_amdhsa_kernel
	.section	.text._ZN7rocprim17ROCPRIM_400000_NS6detail17trampoline_kernelINS0_14default_configENS1_38merge_sort_block_merge_config_selectorIlNS0_10empty_typeEEEZZNS1_27merge_sort_block_merge_implIS3_PlPS5_mZN2at6native12_GLOBAL__N_124unique_dim_cuda_templateIaEESt5tupleIJNSA_6TensorESF_SF_EERKSF_lbbbEUlllE_EE10hipError_tT0_T1_T2_jT3_P12ihipStream_tbPNSt15iterator_traitsISL_E10value_typeEPNSR_ISM_E10value_typeEPSN_NS1_7vsmem_tEENKUlT_SL_SM_SN_E_clIS8_S8_S9_S9_EESK_S10_SL_SM_SN_EUlS10_E1_NS1_11comp_targetILNS1_3genE8ELNS1_11target_archE1030ELNS1_3gpuE2ELNS1_3repE0EEENS1_36merge_oddeven_config_static_selectorELNS0_4arch9wavefront6targetE1EEEvSM_,"axG",@progbits,_ZN7rocprim17ROCPRIM_400000_NS6detail17trampoline_kernelINS0_14default_configENS1_38merge_sort_block_merge_config_selectorIlNS0_10empty_typeEEEZZNS1_27merge_sort_block_merge_implIS3_PlPS5_mZN2at6native12_GLOBAL__N_124unique_dim_cuda_templateIaEESt5tupleIJNSA_6TensorESF_SF_EERKSF_lbbbEUlllE_EE10hipError_tT0_T1_T2_jT3_P12ihipStream_tbPNSt15iterator_traitsISL_E10value_typeEPNSR_ISM_E10value_typeEPSN_NS1_7vsmem_tEENKUlT_SL_SM_SN_E_clIS8_S8_S9_S9_EESK_S10_SL_SM_SN_EUlS10_E1_NS1_11comp_targetILNS1_3genE8ELNS1_11target_archE1030ELNS1_3gpuE2ELNS1_3repE0EEENS1_36merge_oddeven_config_static_selectorELNS0_4arch9wavefront6targetE1EEEvSM_,comdat
.Lfunc_end293:
	.size	_ZN7rocprim17ROCPRIM_400000_NS6detail17trampoline_kernelINS0_14default_configENS1_38merge_sort_block_merge_config_selectorIlNS0_10empty_typeEEEZZNS1_27merge_sort_block_merge_implIS3_PlPS5_mZN2at6native12_GLOBAL__N_124unique_dim_cuda_templateIaEESt5tupleIJNSA_6TensorESF_SF_EERKSF_lbbbEUlllE_EE10hipError_tT0_T1_T2_jT3_P12ihipStream_tbPNSt15iterator_traitsISL_E10value_typeEPNSR_ISM_E10value_typeEPSN_NS1_7vsmem_tEENKUlT_SL_SM_SN_E_clIS8_S8_S9_S9_EESK_S10_SL_SM_SN_EUlS10_E1_NS1_11comp_targetILNS1_3genE8ELNS1_11target_archE1030ELNS1_3gpuE2ELNS1_3repE0EEENS1_36merge_oddeven_config_static_selectorELNS0_4arch9wavefront6targetE1EEEvSM_, .Lfunc_end293-_ZN7rocprim17ROCPRIM_400000_NS6detail17trampoline_kernelINS0_14default_configENS1_38merge_sort_block_merge_config_selectorIlNS0_10empty_typeEEEZZNS1_27merge_sort_block_merge_implIS3_PlPS5_mZN2at6native12_GLOBAL__N_124unique_dim_cuda_templateIaEESt5tupleIJNSA_6TensorESF_SF_EERKSF_lbbbEUlllE_EE10hipError_tT0_T1_T2_jT3_P12ihipStream_tbPNSt15iterator_traitsISL_E10value_typeEPNSR_ISM_E10value_typeEPSN_NS1_7vsmem_tEENKUlT_SL_SM_SN_E_clIS8_S8_S9_S9_EESK_S10_SL_SM_SN_EUlS10_E1_NS1_11comp_targetILNS1_3genE8ELNS1_11target_archE1030ELNS1_3gpuE2ELNS1_3repE0EEENS1_36merge_oddeven_config_static_selectorELNS0_4arch9wavefront6targetE1EEEvSM_
                                        ; -- End function
	.section	.AMDGPU.csdata,"",@progbits
; Kernel info:
; codeLenInByte = 0
; NumSgprs: 4
; NumVgprs: 0
; NumAgprs: 0
; TotalNumVgprs: 0
; ScratchSize: 0
; MemoryBound: 0
; FloatMode: 240
; IeeeMode: 1
; LDSByteSize: 0 bytes/workgroup (compile time only)
; SGPRBlocks: 0
; VGPRBlocks: 0
; NumSGPRsForWavesPerEU: 4
; NumVGPRsForWavesPerEU: 1
; AccumOffset: 4
; Occupancy: 8
; WaveLimiterHint : 0
; COMPUTE_PGM_RSRC2:SCRATCH_EN: 0
; COMPUTE_PGM_RSRC2:USER_SGPR: 6
; COMPUTE_PGM_RSRC2:TRAP_HANDLER: 0
; COMPUTE_PGM_RSRC2:TGID_X_EN: 1
; COMPUTE_PGM_RSRC2:TGID_Y_EN: 0
; COMPUTE_PGM_RSRC2:TGID_Z_EN: 0
; COMPUTE_PGM_RSRC2:TIDIG_COMP_CNT: 0
; COMPUTE_PGM_RSRC3_GFX90A:ACCUM_OFFSET: 0
; COMPUTE_PGM_RSRC3_GFX90A:TG_SPLIT: 0
	.section	.text._ZN7rocprim17ROCPRIM_400000_NS6detail17trampoline_kernelINS0_14default_configENS1_35adjacent_difference_config_selectorILb0ElEEZNS1_24adjacent_difference_implIS3_Lb0ELb0EPlS7_ZN2at6native12_GLOBAL__N_124unique_dim_cuda_templateIaEESt5tupleIJNS8_6TensorESD_SD_EERKSD_lbbbEUlllE1_EE10hipError_tPvRmT2_T3_mT4_P12ihipStream_tbEUlT_E_NS1_11comp_targetILNS1_3genE0ELNS1_11target_archE4294967295ELNS1_3gpuE0ELNS1_3repE0EEENS1_30default_config_static_selectorELNS0_4arch9wavefront6targetE1EEEvT1_,"axG",@progbits,_ZN7rocprim17ROCPRIM_400000_NS6detail17trampoline_kernelINS0_14default_configENS1_35adjacent_difference_config_selectorILb0ElEEZNS1_24adjacent_difference_implIS3_Lb0ELb0EPlS7_ZN2at6native12_GLOBAL__N_124unique_dim_cuda_templateIaEESt5tupleIJNS8_6TensorESD_SD_EERKSD_lbbbEUlllE1_EE10hipError_tPvRmT2_T3_mT4_P12ihipStream_tbEUlT_E_NS1_11comp_targetILNS1_3genE0ELNS1_11target_archE4294967295ELNS1_3gpuE0ELNS1_3repE0EEENS1_30default_config_static_selectorELNS0_4arch9wavefront6targetE1EEEvT1_,comdat
	.globl	_ZN7rocprim17ROCPRIM_400000_NS6detail17trampoline_kernelINS0_14default_configENS1_35adjacent_difference_config_selectorILb0ElEEZNS1_24adjacent_difference_implIS3_Lb0ELb0EPlS7_ZN2at6native12_GLOBAL__N_124unique_dim_cuda_templateIaEESt5tupleIJNS8_6TensorESD_SD_EERKSD_lbbbEUlllE1_EE10hipError_tPvRmT2_T3_mT4_P12ihipStream_tbEUlT_E_NS1_11comp_targetILNS1_3genE0ELNS1_11target_archE4294967295ELNS1_3gpuE0ELNS1_3repE0EEENS1_30default_config_static_selectorELNS0_4arch9wavefront6targetE1EEEvT1_ ; -- Begin function _ZN7rocprim17ROCPRIM_400000_NS6detail17trampoline_kernelINS0_14default_configENS1_35adjacent_difference_config_selectorILb0ElEEZNS1_24adjacent_difference_implIS3_Lb0ELb0EPlS7_ZN2at6native12_GLOBAL__N_124unique_dim_cuda_templateIaEESt5tupleIJNS8_6TensorESD_SD_EERKSD_lbbbEUlllE1_EE10hipError_tPvRmT2_T3_mT4_P12ihipStream_tbEUlT_E_NS1_11comp_targetILNS1_3genE0ELNS1_11target_archE4294967295ELNS1_3gpuE0ELNS1_3repE0EEENS1_30default_config_static_selectorELNS0_4arch9wavefront6targetE1EEEvT1_
	.p2align	8
	.type	_ZN7rocprim17ROCPRIM_400000_NS6detail17trampoline_kernelINS0_14default_configENS1_35adjacent_difference_config_selectorILb0ElEEZNS1_24adjacent_difference_implIS3_Lb0ELb0EPlS7_ZN2at6native12_GLOBAL__N_124unique_dim_cuda_templateIaEESt5tupleIJNS8_6TensorESD_SD_EERKSD_lbbbEUlllE1_EE10hipError_tPvRmT2_T3_mT4_P12ihipStream_tbEUlT_E_NS1_11comp_targetILNS1_3genE0ELNS1_11target_archE4294967295ELNS1_3gpuE0ELNS1_3repE0EEENS1_30default_config_static_selectorELNS0_4arch9wavefront6targetE1EEEvT1_,@function
_ZN7rocprim17ROCPRIM_400000_NS6detail17trampoline_kernelINS0_14default_configENS1_35adjacent_difference_config_selectorILb0ElEEZNS1_24adjacent_difference_implIS3_Lb0ELb0EPlS7_ZN2at6native12_GLOBAL__N_124unique_dim_cuda_templateIaEESt5tupleIJNS8_6TensorESD_SD_EERKSD_lbbbEUlllE1_EE10hipError_tPvRmT2_T3_mT4_P12ihipStream_tbEUlT_E_NS1_11comp_targetILNS1_3genE0ELNS1_11target_archE4294967295ELNS1_3gpuE0ELNS1_3repE0EEENS1_30default_config_static_selectorELNS0_4arch9wavefront6targetE1EEEvT1_: ; @_ZN7rocprim17ROCPRIM_400000_NS6detail17trampoline_kernelINS0_14default_configENS1_35adjacent_difference_config_selectorILb0ElEEZNS1_24adjacent_difference_implIS3_Lb0ELb0EPlS7_ZN2at6native12_GLOBAL__N_124unique_dim_cuda_templateIaEESt5tupleIJNS8_6TensorESD_SD_EERKSD_lbbbEUlllE1_EE10hipError_tPvRmT2_T3_mT4_P12ihipStream_tbEUlT_E_NS1_11comp_targetILNS1_3genE0ELNS1_11target_archE4294967295ELNS1_3gpuE0ELNS1_3repE0EEENS1_30default_config_static_selectorELNS0_4arch9wavefront6targetE1EEEvT1_
; %bb.0:
	.section	.rodata,"a",@progbits
	.p2align	6, 0x0
	.amdhsa_kernel _ZN7rocprim17ROCPRIM_400000_NS6detail17trampoline_kernelINS0_14default_configENS1_35adjacent_difference_config_selectorILb0ElEEZNS1_24adjacent_difference_implIS3_Lb0ELb0EPlS7_ZN2at6native12_GLOBAL__N_124unique_dim_cuda_templateIaEESt5tupleIJNS8_6TensorESD_SD_EERKSD_lbbbEUlllE1_EE10hipError_tPvRmT2_T3_mT4_P12ihipStream_tbEUlT_E_NS1_11comp_targetILNS1_3genE0ELNS1_11target_archE4294967295ELNS1_3gpuE0ELNS1_3repE0EEENS1_30default_config_static_selectorELNS0_4arch9wavefront6targetE1EEEvT1_
		.amdhsa_group_segment_fixed_size 0
		.amdhsa_private_segment_fixed_size 0
		.amdhsa_kernarg_size 64
		.amdhsa_user_sgpr_count 6
		.amdhsa_user_sgpr_private_segment_buffer 1
		.amdhsa_user_sgpr_dispatch_ptr 0
		.amdhsa_user_sgpr_queue_ptr 0
		.amdhsa_user_sgpr_kernarg_segment_ptr 1
		.amdhsa_user_sgpr_dispatch_id 0
		.amdhsa_user_sgpr_flat_scratch_init 0
		.amdhsa_user_sgpr_kernarg_preload_length 0
		.amdhsa_user_sgpr_kernarg_preload_offset 0
		.amdhsa_user_sgpr_private_segment_size 0
		.amdhsa_uses_dynamic_stack 0
		.amdhsa_system_sgpr_private_segment_wavefront_offset 0
		.amdhsa_system_sgpr_workgroup_id_x 1
		.amdhsa_system_sgpr_workgroup_id_y 0
		.amdhsa_system_sgpr_workgroup_id_z 0
		.amdhsa_system_sgpr_workgroup_info 0
		.amdhsa_system_vgpr_workitem_id 0
		.amdhsa_next_free_vgpr 1
		.amdhsa_next_free_sgpr 0
		.amdhsa_accum_offset 4
		.amdhsa_reserve_vcc 0
		.amdhsa_reserve_flat_scratch 0
		.amdhsa_float_round_mode_32 0
		.amdhsa_float_round_mode_16_64 0
		.amdhsa_float_denorm_mode_32 3
		.amdhsa_float_denorm_mode_16_64 3
		.amdhsa_dx10_clamp 1
		.amdhsa_ieee_mode 1
		.amdhsa_fp16_overflow 0
		.amdhsa_tg_split 0
		.amdhsa_exception_fp_ieee_invalid_op 0
		.amdhsa_exception_fp_denorm_src 0
		.amdhsa_exception_fp_ieee_div_zero 0
		.amdhsa_exception_fp_ieee_overflow 0
		.amdhsa_exception_fp_ieee_underflow 0
		.amdhsa_exception_fp_ieee_inexact 0
		.amdhsa_exception_int_div_zero 0
	.end_amdhsa_kernel
	.section	.text._ZN7rocprim17ROCPRIM_400000_NS6detail17trampoline_kernelINS0_14default_configENS1_35adjacent_difference_config_selectorILb0ElEEZNS1_24adjacent_difference_implIS3_Lb0ELb0EPlS7_ZN2at6native12_GLOBAL__N_124unique_dim_cuda_templateIaEESt5tupleIJNS8_6TensorESD_SD_EERKSD_lbbbEUlllE1_EE10hipError_tPvRmT2_T3_mT4_P12ihipStream_tbEUlT_E_NS1_11comp_targetILNS1_3genE0ELNS1_11target_archE4294967295ELNS1_3gpuE0ELNS1_3repE0EEENS1_30default_config_static_selectorELNS0_4arch9wavefront6targetE1EEEvT1_,"axG",@progbits,_ZN7rocprim17ROCPRIM_400000_NS6detail17trampoline_kernelINS0_14default_configENS1_35adjacent_difference_config_selectorILb0ElEEZNS1_24adjacent_difference_implIS3_Lb0ELb0EPlS7_ZN2at6native12_GLOBAL__N_124unique_dim_cuda_templateIaEESt5tupleIJNS8_6TensorESD_SD_EERKSD_lbbbEUlllE1_EE10hipError_tPvRmT2_T3_mT4_P12ihipStream_tbEUlT_E_NS1_11comp_targetILNS1_3genE0ELNS1_11target_archE4294967295ELNS1_3gpuE0ELNS1_3repE0EEENS1_30default_config_static_selectorELNS0_4arch9wavefront6targetE1EEEvT1_,comdat
.Lfunc_end294:
	.size	_ZN7rocprim17ROCPRIM_400000_NS6detail17trampoline_kernelINS0_14default_configENS1_35adjacent_difference_config_selectorILb0ElEEZNS1_24adjacent_difference_implIS3_Lb0ELb0EPlS7_ZN2at6native12_GLOBAL__N_124unique_dim_cuda_templateIaEESt5tupleIJNS8_6TensorESD_SD_EERKSD_lbbbEUlllE1_EE10hipError_tPvRmT2_T3_mT4_P12ihipStream_tbEUlT_E_NS1_11comp_targetILNS1_3genE0ELNS1_11target_archE4294967295ELNS1_3gpuE0ELNS1_3repE0EEENS1_30default_config_static_selectorELNS0_4arch9wavefront6targetE1EEEvT1_, .Lfunc_end294-_ZN7rocprim17ROCPRIM_400000_NS6detail17trampoline_kernelINS0_14default_configENS1_35adjacent_difference_config_selectorILb0ElEEZNS1_24adjacent_difference_implIS3_Lb0ELb0EPlS7_ZN2at6native12_GLOBAL__N_124unique_dim_cuda_templateIaEESt5tupleIJNS8_6TensorESD_SD_EERKSD_lbbbEUlllE1_EE10hipError_tPvRmT2_T3_mT4_P12ihipStream_tbEUlT_E_NS1_11comp_targetILNS1_3genE0ELNS1_11target_archE4294967295ELNS1_3gpuE0ELNS1_3repE0EEENS1_30default_config_static_selectorELNS0_4arch9wavefront6targetE1EEEvT1_
                                        ; -- End function
	.section	.AMDGPU.csdata,"",@progbits
; Kernel info:
; codeLenInByte = 0
; NumSgprs: 4
; NumVgprs: 0
; NumAgprs: 0
; TotalNumVgprs: 0
; ScratchSize: 0
; MemoryBound: 0
; FloatMode: 240
; IeeeMode: 1
; LDSByteSize: 0 bytes/workgroup (compile time only)
; SGPRBlocks: 0
; VGPRBlocks: 0
; NumSGPRsForWavesPerEU: 4
; NumVGPRsForWavesPerEU: 1
; AccumOffset: 4
; Occupancy: 8
; WaveLimiterHint : 0
; COMPUTE_PGM_RSRC2:SCRATCH_EN: 0
; COMPUTE_PGM_RSRC2:USER_SGPR: 6
; COMPUTE_PGM_RSRC2:TRAP_HANDLER: 0
; COMPUTE_PGM_RSRC2:TGID_X_EN: 1
; COMPUTE_PGM_RSRC2:TGID_Y_EN: 0
; COMPUTE_PGM_RSRC2:TGID_Z_EN: 0
; COMPUTE_PGM_RSRC2:TIDIG_COMP_CNT: 0
; COMPUTE_PGM_RSRC3_GFX90A:ACCUM_OFFSET: 0
; COMPUTE_PGM_RSRC3_GFX90A:TG_SPLIT: 0
	.section	.text._ZN7rocprim17ROCPRIM_400000_NS6detail17trampoline_kernelINS0_14default_configENS1_35adjacent_difference_config_selectorILb0ElEEZNS1_24adjacent_difference_implIS3_Lb0ELb0EPlS7_ZN2at6native12_GLOBAL__N_124unique_dim_cuda_templateIaEESt5tupleIJNS8_6TensorESD_SD_EERKSD_lbbbEUlllE1_EE10hipError_tPvRmT2_T3_mT4_P12ihipStream_tbEUlT_E_NS1_11comp_targetILNS1_3genE10ELNS1_11target_archE1201ELNS1_3gpuE5ELNS1_3repE0EEENS1_30default_config_static_selectorELNS0_4arch9wavefront6targetE1EEEvT1_,"axG",@progbits,_ZN7rocprim17ROCPRIM_400000_NS6detail17trampoline_kernelINS0_14default_configENS1_35adjacent_difference_config_selectorILb0ElEEZNS1_24adjacent_difference_implIS3_Lb0ELb0EPlS7_ZN2at6native12_GLOBAL__N_124unique_dim_cuda_templateIaEESt5tupleIJNS8_6TensorESD_SD_EERKSD_lbbbEUlllE1_EE10hipError_tPvRmT2_T3_mT4_P12ihipStream_tbEUlT_E_NS1_11comp_targetILNS1_3genE10ELNS1_11target_archE1201ELNS1_3gpuE5ELNS1_3repE0EEENS1_30default_config_static_selectorELNS0_4arch9wavefront6targetE1EEEvT1_,comdat
	.globl	_ZN7rocprim17ROCPRIM_400000_NS6detail17trampoline_kernelINS0_14default_configENS1_35adjacent_difference_config_selectorILb0ElEEZNS1_24adjacent_difference_implIS3_Lb0ELb0EPlS7_ZN2at6native12_GLOBAL__N_124unique_dim_cuda_templateIaEESt5tupleIJNS8_6TensorESD_SD_EERKSD_lbbbEUlllE1_EE10hipError_tPvRmT2_T3_mT4_P12ihipStream_tbEUlT_E_NS1_11comp_targetILNS1_3genE10ELNS1_11target_archE1201ELNS1_3gpuE5ELNS1_3repE0EEENS1_30default_config_static_selectorELNS0_4arch9wavefront6targetE1EEEvT1_ ; -- Begin function _ZN7rocprim17ROCPRIM_400000_NS6detail17trampoline_kernelINS0_14default_configENS1_35adjacent_difference_config_selectorILb0ElEEZNS1_24adjacent_difference_implIS3_Lb0ELb0EPlS7_ZN2at6native12_GLOBAL__N_124unique_dim_cuda_templateIaEESt5tupleIJNS8_6TensorESD_SD_EERKSD_lbbbEUlllE1_EE10hipError_tPvRmT2_T3_mT4_P12ihipStream_tbEUlT_E_NS1_11comp_targetILNS1_3genE10ELNS1_11target_archE1201ELNS1_3gpuE5ELNS1_3repE0EEENS1_30default_config_static_selectorELNS0_4arch9wavefront6targetE1EEEvT1_
	.p2align	8
	.type	_ZN7rocprim17ROCPRIM_400000_NS6detail17trampoline_kernelINS0_14default_configENS1_35adjacent_difference_config_selectorILb0ElEEZNS1_24adjacent_difference_implIS3_Lb0ELb0EPlS7_ZN2at6native12_GLOBAL__N_124unique_dim_cuda_templateIaEESt5tupleIJNS8_6TensorESD_SD_EERKSD_lbbbEUlllE1_EE10hipError_tPvRmT2_T3_mT4_P12ihipStream_tbEUlT_E_NS1_11comp_targetILNS1_3genE10ELNS1_11target_archE1201ELNS1_3gpuE5ELNS1_3repE0EEENS1_30default_config_static_selectorELNS0_4arch9wavefront6targetE1EEEvT1_,@function
_ZN7rocprim17ROCPRIM_400000_NS6detail17trampoline_kernelINS0_14default_configENS1_35adjacent_difference_config_selectorILb0ElEEZNS1_24adjacent_difference_implIS3_Lb0ELb0EPlS7_ZN2at6native12_GLOBAL__N_124unique_dim_cuda_templateIaEESt5tupleIJNS8_6TensorESD_SD_EERKSD_lbbbEUlllE1_EE10hipError_tPvRmT2_T3_mT4_P12ihipStream_tbEUlT_E_NS1_11comp_targetILNS1_3genE10ELNS1_11target_archE1201ELNS1_3gpuE5ELNS1_3repE0EEENS1_30default_config_static_selectorELNS0_4arch9wavefront6targetE1EEEvT1_: ; @_ZN7rocprim17ROCPRIM_400000_NS6detail17trampoline_kernelINS0_14default_configENS1_35adjacent_difference_config_selectorILb0ElEEZNS1_24adjacent_difference_implIS3_Lb0ELb0EPlS7_ZN2at6native12_GLOBAL__N_124unique_dim_cuda_templateIaEESt5tupleIJNS8_6TensorESD_SD_EERKSD_lbbbEUlllE1_EE10hipError_tPvRmT2_T3_mT4_P12ihipStream_tbEUlT_E_NS1_11comp_targetILNS1_3genE10ELNS1_11target_archE1201ELNS1_3gpuE5ELNS1_3repE0EEENS1_30default_config_static_selectorELNS0_4arch9wavefront6targetE1EEEvT1_
; %bb.0:
	.section	.rodata,"a",@progbits
	.p2align	6, 0x0
	.amdhsa_kernel _ZN7rocprim17ROCPRIM_400000_NS6detail17trampoline_kernelINS0_14default_configENS1_35adjacent_difference_config_selectorILb0ElEEZNS1_24adjacent_difference_implIS3_Lb0ELb0EPlS7_ZN2at6native12_GLOBAL__N_124unique_dim_cuda_templateIaEESt5tupleIJNS8_6TensorESD_SD_EERKSD_lbbbEUlllE1_EE10hipError_tPvRmT2_T3_mT4_P12ihipStream_tbEUlT_E_NS1_11comp_targetILNS1_3genE10ELNS1_11target_archE1201ELNS1_3gpuE5ELNS1_3repE0EEENS1_30default_config_static_selectorELNS0_4arch9wavefront6targetE1EEEvT1_
		.amdhsa_group_segment_fixed_size 0
		.amdhsa_private_segment_fixed_size 0
		.amdhsa_kernarg_size 64
		.amdhsa_user_sgpr_count 6
		.amdhsa_user_sgpr_private_segment_buffer 1
		.amdhsa_user_sgpr_dispatch_ptr 0
		.amdhsa_user_sgpr_queue_ptr 0
		.amdhsa_user_sgpr_kernarg_segment_ptr 1
		.amdhsa_user_sgpr_dispatch_id 0
		.amdhsa_user_sgpr_flat_scratch_init 0
		.amdhsa_user_sgpr_kernarg_preload_length 0
		.amdhsa_user_sgpr_kernarg_preload_offset 0
		.amdhsa_user_sgpr_private_segment_size 0
		.amdhsa_uses_dynamic_stack 0
		.amdhsa_system_sgpr_private_segment_wavefront_offset 0
		.amdhsa_system_sgpr_workgroup_id_x 1
		.amdhsa_system_sgpr_workgroup_id_y 0
		.amdhsa_system_sgpr_workgroup_id_z 0
		.amdhsa_system_sgpr_workgroup_info 0
		.amdhsa_system_vgpr_workitem_id 0
		.amdhsa_next_free_vgpr 1
		.amdhsa_next_free_sgpr 0
		.amdhsa_accum_offset 4
		.amdhsa_reserve_vcc 0
		.amdhsa_reserve_flat_scratch 0
		.amdhsa_float_round_mode_32 0
		.amdhsa_float_round_mode_16_64 0
		.amdhsa_float_denorm_mode_32 3
		.amdhsa_float_denorm_mode_16_64 3
		.amdhsa_dx10_clamp 1
		.amdhsa_ieee_mode 1
		.amdhsa_fp16_overflow 0
		.amdhsa_tg_split 0
		.amdhsa_exception_fp_ieee_invalid_op 0
		.amdhsa_exception_fp_denorm_src 0
		.amdhsa_exception_fp_ieee_div_zero 0
		.amdhsa_exception_fp_ieee_overflow 0
		.amdhsa_exception_fp_ieee_underflow 0
		.amdhsa_exception_fp_ieee_inexact 0
		.amdhsa_exception_int_div_zero 0
	.end_amdhsa_kernel
	.section	.text._ZN7rocprim17ROCPRIM_400000_NS6detail17trampoline_kernelINS0_14default_configENS1_35adjacent_difference_config_selectorILb0ElEEZNS1_24adjacent_difference_implIS3_Lb0ELb0EPlS7_ZN2at6native12_GLOBAL__N_124unique_dim_cuda_templateIaEESt5tupleIJNS8_6TensorESD_SD_EERKSD_lbbbEUlllE1_EE10hipError_tPvRmT2_T3_mT4_P12ihipStream_tbEUlT_E_NS1_11comp_targetILNS1_3genE10ELNS1_11target_archE1201ELNS1_3gpuE5ELNS1_3repE0EEENS1_30default_config_static_selectorELNS0_4arch9wavefront6targetE1EEEvT1_,"axG",@progbits,_ZN7rocprim17ROCPRIM_400000_NS6detail17trampoline_kernelINS0_14default_configENS1_35adjacent_difference_config_selectorILb0ElEEZNS1_24adjacent_difference_implIS3_Lb0ELb0EPlS7_ZN2at6native12_GLOBAL__N_124unique_dim_cuda_templateIaEESt5tupleIJNS8_6TensorESD_SD_EERKSD_lbbbEUlllE1_EE10hipError_tPvRmT2_T3_mT4_P12ihipStream_tbEUlT_E_NS1_11comp_targetILNS1_3genE10ELNS1_11target_archE1201ELNS1_3gpuE5ELNS1_3repE0EEENS1_30default_config_static_selectorELNS0_4arch9wavefront6targetE1EEEvT1_,comdat
.Lfunc_end295:
	.size	_ZN7rocprim17ROCPRIM_400000_NS6detail17trampoline_kernelINS0_14default_configENS1_35adjacent_difference_config_selectorILb0ElEEZNS1_24adjacent_difference_implIS3_Lb0ELb0EPlS7_ZN2at6native12_GLOBAL__N_124unique_dim_cuda_templateIaEESt5tupleIJNS8_6TensorESD_SD_EERKSD_lbbbEUlllE1_EE10hipError_tPvRmT2_T3_mT4_P12ihipStream_tbEUlT_E_NS1_11comp_targetILNS1_3genE10ELNS1_11target_archE1201ELNS1_3gpuE5ELNS1_3repE0EEENS1_30default_config_static_selectorELNS0_4arch9wavefront6targetE1EEEvT1_, .Lfunc_end295-_ZN7rocprim17ROCPRIM_400000_NS6detail17trampoline_kernelINS0_14default_configENS1_35adjacent_difference_config_selectorILb0ElEEZNS1_24adjacent_difference_implIS3_Lb0ELb0EPlS7_ZN2at6native12_GLOBAL__N_124unique_dim_cuda_templateIaEESt5tupleIJNS8_6TensorESD_SD_EERKSD_lbbbEUlllE1_EE10hipError_tPvRmT2_T3_mT4_P12ihipStream_tbEUlT_E_NS1_11comp_targetILNS1_3genE10ELNS1_11target_archE1201ELNS1_3gpuE5ELNS1_3repE0EEENS1_30default_config_static_selectorELNS0_4arch9wavefront6targetE1EEEvT1_
                                        ; -- End function
	.section	.AMDGPU.csdata,"",@progbits
; Kernel info:
; codeLenInByte = 0
; NumSgprs: 4
; NumVgprs: 0
; NumAgprs: 0
; TotalNumVgprs: 0
; ScratchSize: 0
; MemoryBound: 0
; FloatMode: 240
; IeeeMode: 1
; LDSByteSize: 0 bytes/workgroup (compile time only)
; SGPRBlocks: 0
; VGPRBlocks: 0
; NumSGPRsForWavesPerEU: 4
; NumVGPRsForWavesPerEU: 1
; AccumOffset: 4
; Occupancy: 8
; WaveLimiterHint : 0
; COMPUTE_PGM_RSRC2:SCRATCH_EN: 0
; COMPUTE_PGM_RSRC2:USER_SGPR: 6
; COMPUTE_PGM_RSRC2:TRAP_HANDLER: 0
; COMPUTE_PGM_RSRC2:TGID_X_EN: 1
; COMPUTE_PGM_RSRC2:TGID_Y_EN: 0
; COMPUTE_PGM_RSRC2:TGID_Z_EN: 0
; COMPUTE_PGM_RSRC2:TIDIG_COMP_CNT: 0
; COMPUTE_PGM_RSRC3_GFX90A:ACCUM_OFFSET: 0
; COMPUTE_PGM_RSRC3_GFX90A:TG_SPLIT: 0
	.section	.text._ZN7rocprim17ROCPRIM_400000_NS6detail17trampoline_kernelINS0_14default_configENS1_35adjacent_difference_config_selectorILb0ElEEZNS1_24adjacent_difference_implIS3_Lb0ELb0EPlS7_ZN2at6native12_GLOBAL__N_124unique_dim_cuda_templateIaEESt5tupleIJNS8_6TensorESD_SD_EERKSD_lbbbEUlllE1_EE10hipError_tPvRmT2_T3_mT4_P12ihipStream_tbEUlT_E_NS1_11comp_targetILNS1_3genE5ELNS1_11target_archE942ELNS1_3gpuE9ELNS1_3repE0EEENS1_30default_config_static_selectorELNS0_4arch9wavefront6targetE1EEEvT1_,"axG",@progbits,_ZN7rocprim17ROCPRIM_400000_NS6detail17trampoline_kernelINS0_14default_configENS1_35adjacent_difference_config_selectorILb0ElEEZNS1_24adjacent_difference_implIS3_Lb0ELb0EPlS7_ZN2at6native12_GLOBAL__N_124unique_dim_cuda_templateIaEESt5tupleIJNS8_6TensorESD_SD_EERKSD_lbbbEUlllE1_EE10hipError_tPvRmT2_T3_mT4_P12ihipStream_tbEUlT_E_NS1_11comp_targetILNS1_3genE5ELNS1_11target_archE942ELNS1_3gpuE9ELNS1_3repE0EEENS1_30default_config_static_selectorELNS0_4arch9wavefront6targetE1EEEvT1_,comdat
	.globl	_ZN7rocprim17ROCPRIM_400000_NS6detail17trampoline_kernelINS0_14default_configENS1_35adjacent_difference_config_selectorILb0ElEEZNS1_24adjacent_difference_implIS3_Lb0ELb0EPlS7_ZN2at6native12_GLOBAL__N_124unique_dim_cuda_templateIaEESt5tupleIJNS8_6TensorESD_SD_EERKSD_lbbbEUlllE1_EE10hipError_tPvRmT2_T3_mT4_P12ihipStream_tbEUlT_E_NS1_11comp_targetILNS1_3genE5ELNS1_11target_archE942ELNS1_3gpuE9ELNS1_3repE0EEENS1_30default_config_static_selectorELNS0_4arch9wavefront6targetE1EEEvT1_ ; -- Begin function _ZN7rocprim17ROCPRIM_400000_NS6detail17trampoline_kernelINS0_14default_configENS1_35adjacent_difference_config_selectorILb0ElEEZNS1_24adjacent_difference_implIS3_Lb0ELb0EPlS7_ZN2at6native12_GLOBAL__N_124unique_dim_cuda_templateIaEESt5tupleIJNS8_6TensorESD_SD_EERKSD_lbbbEUlllE1_EE10hipError_tPvRmT2_T3_mT4_P12ihipStream_tbEUlT_E_NS1_11comp_targetILNS1_3genE5ELNS1_11target_archE942ELNS1_3gpuE9ELNS1_3repE0EEENS1_30default_config_static_selectorELNS0_4arch9wavefront6targetE1EEEvT1_
	.p2align	8
	.type	_ZN7rocprim17ROCPRIM_400000_NS6detail17trampoline_kernelINS0_14default_configENS1_35adjacent_difference_config_selectorILb0ElEEZNS1_24adjacent_difference_implIS3_Lb0ELb0EPlS7_ZN2at6native12_GLOBAL__N_124unique_dim_cuda_templateIaEESt5tupleIJNS8_6TensorESD_SD_EERKSD_lbbbEUlllE1_EE10hipError_tPvRmT2_T3_mT4_P12ihipStream_tbEUlT_E_NS1_11comp_targetILNS1_3genE5ELNS1_11target_archE942ELNS1_3gpuE9ELNS1_3repE0EEENS1_30default_config_static_selectorELNS0_4arch9wavefront6targetE1EEEvT1_,@function
_ZN7rocprim17ROCPRIM_400000_NS6detail17trampoline_kernelINS0_14default_configENS1_35adjacent_difference_config_selectorILb0ElEEZNS1_24adjacent_difference_implIS3_Lb0ELb0EPlS7_ZN2at6native12_GLOBAL__N_124unique_dim_cuda_templateIaEESt5tupleIJNS8_6TensorESD_SD_EERKSD_lbbbEUlllE1_EE10hipError_tPvRmT2_T3_mT4_P12ihipStream_tbEUlT_E_NS1_11comp_targetILNS1_3genE5ELNS1_11target_archE942ELNS1_3gpuE9ELNS1_3repE0EEENS1_30default_config_static_selectorELNS0_4arch9wavefront6targetE1EEEvT1_: ; @_ZN7rocprim17ROCPRIM_400000_NS6detail17trampoline_kernelINS0_14default_configENS1_35adjacent_difference_config_selectorILb0ElEEZNS1_24adjacent_difference_implIS3_Lb0ELb0EPlS7_ZN2at6native12_GLOBAL__N_124unique_dim_cuda_templateIaEESt5tupleIJNS8_6TensorESD_SD_EERKSD_lbbbEUlllE1_EE10hipError_tPvRmT2_T3_mT4_P12ihipStream_tbEUlT_E_NS1_11comp_targetILNS1_3genE5ELNS1_11target_archE942ELNS1_3gpuE9ELNS1_3repE0EEENS1_30default_config_static_selectorELNS0_4arch9wavefront6targetE1EEEvT1_
; %bb.0:
	.section	.rodata,"a",@progbits
	.p2align	6, 0x0
	.amdhsa_kernel _ZN7rocprim17ROCPRIM_400000_NS6detail17trampoline_kernelINS0_14default_configENS1_35adjacent_difference_config_selectorILb0ElEEZNS1_24adjacent_difference_implIS3_Lb0ELb0EPlS7_ZN2at6native12_GLOBAL__N_124unique_dim_cuda_templateIaEESt5tupleIJNS8_6TensorESD_SD_EERKSD_lbbbEUlllE1_EE10hipError_tPvRmT2_T3_mT4_P12ihipStream_tbEUlT_E_NS1_11comp_targetILNS1_3genE5ELNS1_11target_archE942ELNS1_3gpuE9ELNS1_3repE0EEENS1_30default_config_static_selectorELNS0_4arch9wavefront6targetE1EEEvT1_
		.amdhsa_group_segment_fixed_size 0
		.amdhsa_private_segment_fixed_size 0
		.amdhsa_kernarg_size 64
		.amdhsa_user_sgpr_count 6
		.amdhsa_user_sgpr_private_segment_buffer 1
		.amdhsa_user_sgpr_dispatch_ptr 0
		.amdhsa_user_sgpr_queue_ptr 0
		.amdhsa_user_sgpr_kernarg_segment_ptr 1
		.amdhsa_user_sgpr_dispatch_id 0
		.amdhsa_user_sgpr_flat_scratch_init 0
		.amdhsa_user_sgpr_kernarg_preload_length 0
		.amdhsa_user_sgpr_kernarg_preload_offset 0
		.amdhsa_user_sgpr_private_segment_size 0
		.amdhsa_uses_dynamic_stack 0
		.amdhsa_system_sgpr_private_segment_wavefront_offset 0
		.amdhsa_system_sgpr_workgroup_id_x 1
		.amdhsa_system_sgpr_workgroup_id_y 0
		.amdhsa_system_sgpr_workgroup_id_z 0
		.amdhsa_system_sgpr_workgroup_info 0
		.amdhsa_system_vgpr_workitem_id 0
		.amdhsa_next_free_vgpr 1
		.amdhsa_next_free_sgpr 0
		.amdhsa_accum_offset 4
		.amdhsa_reserve_vcc 0
		.amdhsa_reserve_flat_scratch 0
		.amdhsa_float_round_mode_32 0
		.amdhsa_float_round_mode_16_64 0
		.amdhsa_float_denorm_mode_32 3
		.amdhsa_float_denorm_mode_16_64 3
		.amdhsa_dx10_clamp 1
		.amdhsa_ieee_mode 1
		.amdhsa_fp16_overflow 0
		.amdhsa_tg_split 0
		.amdhsa_exception_fp_ieee_invalid_op 0
		.amdhsa_exception_fp_denorm_src 0
		.amdhsa_exception_fp_ieee_div_zero 0
		.amdhsa_exception_fp_ieee_overflow 0
		.amdhsa_exception_fp_ieee_underflow 0
		.amdhsa_exception_fp_ieee_inexact 0
		.amdhsa_exception_int_div_zero 0
	.end_amdhsa_kernel
	.section	.text._ZN7rocprim17ROCPRIM_400000_NS6detail17trampoline_kernelINS0_14default_configENS1_35adjacent_difference_config_selectorILb0ElEEZNS1_24adjacent_difference_implIS3_Lb0ELb0EPlS7_ZN2at6native12_GLOBAL__N_124unique_dim_cuda_templateIaEESt5tupleIJNS8_6TensorESD_SD_EERKSD_lbbbEUlllE1_EE10hipError_tPvRmT2_T3_mT4_P12ihipStream_tbEUlT_E_NS1_11comp_targetILNS1_3genE5ELNS1_11target_archE942ELNS1_3gpuE9ELNS1_3repE0EEENS1_30default_config_static_selectorELNS0_4arch9wavefront6targetE1EEEvT1_,"axG",@progbits,_ZN7rocprim17ROCPRIM_400000_NS6detail17trampoline_kernelINS0_14default_configENS1_35adjacent_difference_config_selectorILb0ElEEZNS1_24adjacent_difference_implIS3_Lb0ELb0EPlS7_ZN2at6native12_GLOBAL__N_124unique_dim_cuda_templateIaEESt5tupleIJNS8_6TensorESD_SD_EERKSD_lbbbEUlllE1_EE10hipError_tPvRmT2_T3_mT4_P12ihipStream_tbEUlT_E_NS1_11comp_targetILNS1_3genE5ELNS1_11target_archE942ELNS1_3gpuE9ELNS1_3repE0EEENS1_30default_config_static_selectorELNS0_4arch9wavefront6targetE1EEEvT1_,comdat
.Lfunc_end296:
	.size	_ZN7rocprim17ROCPRIM_400000_NS6detail17trampoline_kernelINS0_14default_configENS1_35adjacent_difference_config_selectorILb0ElEEZNS1_24adjacent_difference_implIS3_Lb0ELb0EPlS7_ZN2at6native12_GLOBAL__N_124unique_dim_cuda_templateIaEESt5tupleIJNS8_6TensorESD_SD_EERKSD_lbbbEUlllE1_EE10hipError_tPvRmT2_T3_mT4_P12ihipStream_tbEUlT_E_NS1_11comp_targetILNS1_3genE5ELNS1_11target_archE942ELNS1_3gpuE9ELNS1_3repE0EEENS1_30default_config_static_selectorELNS0_4arch9wavefront6targetE1EEEvT1_, .Lfunc_end296-_ZN7rocprim17ROCPRIM_400000_NS6detail17trampoline_kernelINS0_14default_configENS1_35adjacent_difference_config_selectorILb0ElEEZNS1_24adjacent_difference_implIS3_Lb0ELb0EPlS7_ZN2at6native12_GLOBAL__N_124unique_dim_cuda_templateIaEESt5tupleIJNS8_6TensorESD_SD_EERKSD_lbbbEUlllE1_EE10hipError_tPvRmT2_T3_mT4_P12ihipStream_tbEUlT_E_NS1_11comp_targetILNS1_3genE5ELNS1_11target_archE942ELNS1_3gpuE9ELNS1_3repE0EEENS1_30default_config_static_selectorELNS0_4arch9wavefront6targetE1EEEvT1_
                                        ; -- End function
	.section	.AMDGPU.csdata,"",@progbits
; Kernel info:
; codeLenInByte = 0
; NumSgprs: 4
; NumVgprs: 0
; NumAgprs: 0
; TotalNumVgprs: 0
; ScratchSize: 0
; MemoryBound: 0
; FloatMode: 240
; IeeeMode: 1
; LDSByteSize: 0 bytes/workgroup (compile time only)
; SGPRBlocks: 0
; VGPRBlocks: 0
; NumSGPRsForWavesPerEU: 4
; NumVGPRsForWavesPerEU: 1
; AccumOffset: 4
; Occupancy: 8
; WaveLimiterHint : 0
; COMPUTE_PGM_RSRC2:SCRATCH_EN: 0
; COMPUTE_PGM_RSRC2:USER_SGPR: 6
; COMPUTE_PGM_RSRC2:TRAP_HANDLER: 0
; COMPUTE_PGM_RSRC2:TGID_X_EN: 1
; COMPUTE_PGM_RSRC2:TGID_Y_EN: 0
; COMPUTE_PGM_RSRC2:TGID_Z_EN: 0
; COMPUTE_PGM_RSRC2:TIDIG_COMP_CNT: 0
; COMPUTE_PGM_RSRC3_GFX90A:ACCUM_OFFSET: 0
; COMPUTE_PGM_RSRC3_GFX90A:TG_SPLIT: 0
	.section	.text._ZN7rocprim17ROCPRIM_400000_NS6detail17trampoline_kernelINS0_14default_configENS1_35adjacent_difference_config_selectorILb0ElEEZNS1_24adjacent_difference_implIS3_Lb0ELb0EPlS7_ZN2at6native12_GLOBAL__N_124unique_dim_cuda_templateIaEESt5tupleIJNS8_6TensorESD_SD_EERKSD_lbbbEUlllE1_EE10hipError_tPvRmT2_T3_mT4_P12ihipStream_tbEUlT_E_NS1_11comp_targetILNS1_3genE4ELNS1_11target_archE910ELNS1_3gpuE8ELNS1_3repE0EEENS1_30default_config_static_selectorELNS0_4arch9wavefront6targetE1EEEvT1_,"axG",@progbits,_ZN7rocprim17ROCPRIM_400000_NS6detail17trampoline_kernelINS0_14default_configENS1_35adjacent_difference_config_selectorILb0ElEEZNS1_24adjacent_difference_implIS3_Lb0ELb0EPlS7_ZN2at6native12_GLOBAL__N_124unique_dim_cuda_templateIaEESt5tupleIJNS8_6TensorESD_SD_EERKSD_lbbbEUlllE1_EE10hipError_tPvRmT2_T3_mT4_P12ihipStream_tbEUlT_E_NS1_11comp_targetILNS1_3genE4ELNS1_11target_archE910ELNS1_3gpuE8ELNS1_3repE0EEENS1_30default_config_static_selectorELNS0_4arch9wavefront6targetE1EEEvT1_,comdat
	.globl	_ZN7rocprim17ROCPRIM_400000_NS6detail17trampoline_kernelINS0_14default_configENS1_35adjacent_difference_config_selectorILb0ElEEZNS1_24adjacent_difference_implIS3_Lb0ELb0EPlS7_ZN2at6native12_GLOBAL__N_124unique_dim_cuda_templateIaEESt5tupleIJNS8_6TensorESD_SD_EERKSD_lbbbEUlllE1_EE10hipError_tPvRmT2_T3_mT4_P12ihipStream_tbEUlT_E_NS1_11comp_targetILNS1_3genE4ELNS1_11target_archE910ELNS1_3gpuE8ELNS1_3repE0EEENS1_30default_config_static_selectorELNS0_4arch9wavefront6targetE1EEEvT1_ ; -- Begin function _ZN7rocprim17ROCPRIM_400000_NS6detail17trampoline_kernelINS0_14default_configENS1_35adjacent_difference_config_selectorILb0ElEEZNS1_24adjacent_difference_implIS3_Lb0ELb0EPlS7_ZN2at6native12_GLOBAL__N_124unique_dim_cuda_templateIaEESt5tupleIJNS8_6TensorESD_SD_EERKSD_lbbbEUlllE1_EE10hipError_tPvRmT2_T3_mT4_P12ihipStream_tbEUlT_E_NS1_11comp_targetILNS1_3genE4ELNS1_11target_archE910ELNS1_3gpuE8ELNS1_3repE0EEENS1_30default_config_static_selectorELNS0_4arch9wavefront6targetE1EEEvT1_
	.p2align	8
	.type	_ZN7rocprim17ROCPRIM_400000_NS6detail17trampoline_kernelINS0_14default_configENS1_35adjacent_difference_config_selectorILb0ElEEZNS1_24adjacent_difference_implIS3_Lb0ELb0EPlS7_ZN2at6native12_GLOBAL__N_124unique_dim_cuda_templateIaEESt5tupleIJNS8_6TensorESD_SD_EERKSD_lbbbEUlllE1_EE10hipError_tPvRmT2_T3_mT4_P12ihipStream_tbEUlT_E_NS1_11comp_targetILNS1_3genE4ELNS1_11target_archE910ELNS1_3gpuE8ELNS1_3repE0EEENS1_30default_config_static_selectorELNS0_4arch9wavefront6targetE1EEEvT1_,@function
_ZN7rocprim17ROCPRIM_400000_NS6detail17trampoline_kernelINS0_14default_configENS1_35adjacent_difference_config_selectorILb0ElEEZNS1_24adjacent_difference_implIS3_Lb0ELb0EPlS7_ZN2at6native12_GLOBAL__N_124unique_dim_cuda_templateIaEESt5tupleIJNS8_6TensorESD_SD_EERKSD_lbbbEUlllE1_EE10hipError_tPvRmT2_T3_mT4_P12ihipStream_tbEUlT_E_NS1_11comp_targetILNS1_3genE4ELNS1_11target_archE910ELNS1_3gpuE8ELNS1_3repE0EEENS1_30default_config_static_selectorELNS0_4arch9wavefront6targetE1EEEvT1_: ; @_ZN7rocprim17ROCPRIM_400000_NS6detail17trampoline_kernelINS0_14default_configENS1_35adjacent_difference_config_selectorILb0ElEEZNS1_24adjacent_difference_implIS3_Lb0ELb0EPlS7_ZN2at6native12_GLOBAL__N_124unique_dim_cuda_templateIaEESt5tupleIJNS8_6TensorESD_SD_EERKSD_lbbbEUlllE1_EE10hipError_tPvRmT2_T3_mT4_P12ihipStream_tbEUlT_E_NS1_11comp_targetILNS1_3genE4ELNS1_11target_archE910ELNS1_3gpuE8ELNS1_3repE0EEENS1_30default_config_static_selectorELNS0_4arch9wavefront6targetE1EEEvT1_
; %bb.0:
	s_load_dwordx8 s[8:15], s[4:5], 0x0
	s_load_dwordx4 s[16:19], s[4:5], 0x20
	s_load_dwordx2 s[0:1], s[4:5], 0x38
	s_mov_b32 s5, 0
	s_waitcnt lgkmcnt(0)
	s_lshl_b64 s[10:11], s[10:11], 3
	s_add_u32 s24, s8, s10
	s_addc_u32 s25, s9, s11
	s_lshl_b32 s4, s6, 9
	s_lshr_b64 s[2:3], s[14:15], 9
	s_and_b32 s8, s14, 0x1ff
	s_mov_b32 s9, s5
	s_cmp_lg_u64 s[8:9], 0
	s_cselect_b64 s[8:9], -1, 0
	v_cndmask_b32_e64 v1, 0, 1, s[8:9]
	v_readfirstlane_b32 s7, v1
	s_add_u32 s2, s2, s7
	s_addc_u32 s3, s3, 0
	s_add_u32 s20, s0, s6
	s_addc_u32 s21, s1, 0
	s_add_u32 s6, s2, -1
	s_addc_u32 s7, s3, -1
	v_pk_mov_b32 v[2:3], s[6:7], s[6:7] op_sel:[0,1]
	v_cmp_ge_u64_e64 s[0:1], s[20:21], v[2:3]
	s_mov_b64 s[8:9], -1
	s_and_b64 vcc, exec, s[0:1]
	s_cbranch_vccz .LBB297_6
; %bb.1:
	s_lshl_b32 s8, s6, 9
	s_sub_i32 s15, s14, s8
	s_lshl_b64 s[8:9], s[4:5], 3
	s_add_u32 s8, s24, s8
	s_addc_u32 s9, s25, s9
	v_cmp_gt_u32_e32 vcc, s15, v0
                                        ; implicit-def: $vgpr2_vgpr3_vgpr4_vgpr5
	s_and_saveexec_b64 s[22:23], vcc
	s_cbranch_execz .LBB297_3
; %bb.2:
	v_lshlrev_b32_e32 v1, 3, v0
	global_load_dwordx2 v[2:3], v1, s[8:9]
.LBB297_3:
	s_or_b64 exec, exec, s[22:23]
	v_or_b32_e32 v1, 0x100, v0
	v_cmp_gt_u32_e32 vcc, s15, v1
	s_and_saveexec_b64 s[22:23], vcc
	s_cbranch_execz .LBB297_5
; %bb.4:
	v_lshlrev_b32_e32 v4, 3, v0
	global_load_dwordx2 v[4:5], v4, s[8:9] offset:2048
.LBB297_5:
	s_or_b64 exec, exec, s[22:23]
	v_lshrrev_b32_e32 v6, 2, v0
	v_lshrrev_b32_e32 v1, 2, v1
	v_and_b32_e32 v6, 56, v6
	v_lshlrev_b32_e32 v7, 3, v0
	v_and_b32_e32 v1, 0x78, v1
	v_add_u32_e32 v6, v6, v7
	v_add_u32_e32 v1, v1, v7
	s_mov_b64 s[8:9], 0
	s_waitcnt vmcnt(0)
	ds_write_b64 v6, v[2:3]
	ds_write_b64 v1, v[4:5] offset:2048
	s_waitcnt lgkmcnt(0)
	s_barrier
.LBB297_6:
	s_and_b64 vcc, exec, s[8:9]
	v_lshlrev_b32_e32 v1, 3, v0
	s_cbranch_vccz .LBB297_8
; %bb.7:
	s_lshl_b64 s[8:9], s[4:5], 3
	s_add_u32 s8, s24, s8
	s_addc_u32 s9, s25, s9
	global_load_dwordx2 v[2:3], v1, s[8:9]
	global_load_dwordx2 v[4:5], v1, s[8:9] offset:2048
	v_lshrrev_b32_e32 v6, 2, v0
	v_or_b32_e32 v7, 0x100, v0
	v_and_b32_e32 v6, 56, v6
	v_lshrrev_b32_e32 v7, 2, v7
	v_add_u32_e32 v6, v6, v1
	v_and_b32_e32 v7, 0x78, v7
	v_add_u32_e32 v7, v7, v1
	s_waitcnt vmcnt(1)
	ds_write_b64 v6, v[2:3]
	s_waitcnt vmcnt(0)
	ds_write_b64 v7, v[4:5] offset:2048
	s_waitcnt lgkmcnt(0)
	s_barrier
.LBB297_8:
	v_lshlrev_b32_e32 v2, 1, v0
	v_lshrrev_b32_e32 v3, 4, v0
	v_add_lshl_u32 v2, v3, v2, 3
	ds_read2_b64 v[2:5], v2 offset1:1
	s_cmp_eq_u64 s[20:21], 0
	s_mov_b64 s[8:9], 0
	s_waitcnt lgkmcnt(0)
	s_barrier
	s_cbranch_scc1 .LBB297_17
; %bb.9:
	s_lshl_b64 s[22:23], s[4:5], 3
	s_add_u32 s5, s24, s22
	s_addc_u32 s15, s25, s23
	s_add_u32 s22, s5, -8
	s_addc_u32 s23, s15, -1
	s_load_dwordx2 s[22:23], s[22:23], 0x0
	s_cmp_lg_u64 s[20:21], s[6:7]
	s_cbranch_scc0 .LBB297_18
; %bb.10:
	v_cmp_lt_i64_e64 s[24:25], s[16:17], 1
	v_pk_mov_b32 v[8:9], 0, 0
	v_cmp_gt_i64_e64 s[8:9], s[16:17], 0
	s_and_b64 vcc, exec, s[24:25]
	ds_write_b64 v1, v[4:5]
	s_cbranch_vccnz .LBB297_21
; %bb.11:
	v_pk_mov_b32 v[8:9], s[18:19], s[18:19] op_sel:[0,1]
	v_mad_u64_u32 v[6:7], s[24:25], v4, s16, v[8:9]
	v_mul_lo_u32 v10, v4, s17
	v_mul_lo_u32 v11, v5, s16
	v_add3_u32 v7, v11, v7, v10
	v_mad_u64_u32 v[10:11], s[24:25], v2, s16, v[8:9]
	v_mul_lo_u32 v8, v2, s17
	v_mul_lo_u32 v9, v3, s16
	v_add3_u32 v11, v9, v11, v8
	global_load_ubyte v8, v[6:7], off
	global_load_ubyte v9, v[10:11], off
	s_waitcnt vmcnt(0)
	v_cmp_eq_u16_e32 vcc, v8, v9
	v_mov_b32_e32 v8, 1
	v_mov_b32_e32 v9, 0
	s_and_saveexec_b64 s[24:25], vcc
	s_cbranch_execz .LBB297_20
; %bb.12:
	s_mov_b64 s[30:31], 1
	s_mov_b64 s[26:27], 0
                                        ; implicit-def: $sgpr28_sgpr29
	s_branch .LBB297_15
.LBB297_13:                             ;   in Loop: Header=BB297_15 Depth=1
	v_mov_b32_e32 v13, s31
	v_add_co_u32_e32 v8, vcc, s30, v6
	v_addc_co_u32_e32 v9, vcc, v7, v13, vcc
	v_add_co_u32_e32 v12, vcc, s30, v10
	v_addc_co_u32_e32 v13, vcc, v11, v13, vcc
	global_load_ubyte v14, v[8:9], off
	global_load_ubyte v15, v[12:13], off
	s_add_u32 s34, s30, 1
	s_addc_u32 s35, s31, 0
	s_andn2_b64 s[28:29], s[28:29], exec
	s_waitcnt vmcnt(0)
	v_cmp_ne_u16_e32 vcc, v14, v15
	s_and_b64 s[36:37], vcc, exec
	s_or_b64 s[28:29], s[28:29], s[36:37]
.LBB297_14:                             ;   in Loop: Header=BB297_15 Depth=1
	s_and_b64 s[36:37], exec, s[28:29]
	s_or_b64 s[26:27], s[36:37], s[26:27]
	v_pk_mov_b32 v[8:9], s[30:31], s[30:31] op_sel:[0,1]
	s_mov_b64 s[30:31], s[34:35]
	s_andn2_b64 exec, exec, s[26:27]
	s_cbranch_execz .LBB297_19
.LBB297_15:                             ; =>This Inner Loop Header: Depth=1
	s_or_b64 s[28:29], s[28:29], exec
	s_cmp_eq_u64 s[16:17], s[30:31]
	s_cbranch_scc0 .LBB297_13
; %bb.16:                               ;   in Loop: Header=BB297_15 Depth=1
                                        ; implicit-def: $sgpr34_sgpr35
	s_mov_b64 s[30:31], s[16:17]
	s_branch .LBB297_14
.LBB297_17:
                                        ; implicit-def: $sgpr24_sgpr25
                                        ; implicit-def: $vgpr8_vgpr9
	s_cbranch_execnz .LBB297_60
	s_branch .LBB297_108
.LBB297_18:
                                        ; implicit-def: $sgpr24_sgpr25
                                        ; implicit-def: $vgpr8_vgpr9
	s_cbranch_execnz .LBB297_33
	s_branch .LBB297_59
.LBB297_19:
	s_or_b64 exec, exec, s[26:27]
	v_cmp_gt_i64_e32 vcc, s[16:17], v[8:9]
	s_mov_b32 s5, 0
	v_cndmask_b32_e64 v8, 0, 1, vcc
	v_mov_b32_e32 v9, s5
.LBB297_20:
	s_or_b64 exec, exec, s[24:25]
.LBB297_21:
	v_cmp_ne_u32_e32 vcc, 0, v0
	s_waitcnt lgkmcnt(0)
	v_pk_mov_b32 v[12:13], s[22:23], s[22:23] op_sel:[0,1]
	s_barrier
	s_and_saveexec_b64 s[24:25], vcc
	s_cbranch_execz .LBB297_23
; %bb.22:
	v_add_u32_e32 v6, -8, v1
	ds_read_b64 v[12:13], v6
.LBB297_23:
	s_or_b64 exec, exec, s[24:25]
	s_mov_b64 s[26:27], 0
	s_andn2_b64 vcc, exec, s[8:9]
	s_mov_b64 s[24:25], 0
	s_cbranch_vccnz .LBB297_32
; %bb.24:
	v_pk_mov_b32 v[10:11], s[18:19], s[18:19] op_sel:[0,1]
	v_mad_u64_u32 v[6:7], s[8:9], v2, s16, v[10:11]
	v_mul_lo_u32 v14, v2, s17
	v_mul_lo_u32 v15, v3, s16
	v_add3_u32 v7, v15, v7, v14
	s_waitcnt lgkmcnt(0)
	v_mad_u64_u32 v[10:11], s[8:9], v12, s16, v[10:11]
	v_mul_lo_u32 v12, v12, s17
	v_mul_lo_u32 v13, v13, s16
	v_add3_u32 v11, v13, v11, v12
	global_load_ubyte v12, v[6:7], off
	global_load_ubyte v13, v[10:11], off
	s_mov_b64 s[24:25], -1
	s_waitcnt vmcnt(0)
	v_cmp_eq_u16_e32 vcc, v12, v13
	s_and_saveexec_b64 s[8:9], vcc
	s_cbranch_execz .LBB297_31
; %bb.25:
	s_mov_b64 s[30:31], 1
	s_mov_b64 s[24:25], 0
                                        ; implicit-def: $sgpr28_sgpr29
	s_branch .LBB297_28
.LBB297_26:                             ;   in Loop: Header=BB297_28 Depth=1
	v_mov_b32_e32 v15, s31
	v_add_co_u32_e32 v12, vcc, s30, v6
	v_addc_co_u32_e32 v13, vcc, v7, v15, vcc
	v_add_co_u32_e32 v14, vcc, s30, v10
	v_addc_co_u32_e32 v15, vcc, v11, v15, vcc
	global_load_ubyte v16, v[12:13], off
	global_load_ubyte v17, v[14:15], off
	s_add_u32 s34, s30, 1
	s_addc_u32 s35, s31, 0
	s_andn2_b64 s[28:29], s[28:29], exec
	s_waitcnt vmcnt(0)
	v_cmp_ne_u16_e32 vcc, v16, v17
	s_and_b64 s[36:37], vcc, exec
	s_or_b64 s[28:29], s[28:29], s[36:37]
.LBB297_27:                             ;   in Loop: Header=BB297_28 Depth=1
	s_and_b64 s[36:37], exec, s[28:29]
	s_or_b64 s[24:25], s[36:37], s[24:25]
	v_pk_mov_b32 v[12:13], s[30:31], s[30:31] op_sel:[0,1]
	s_mov_b64 s[30:31], s[34:35]
	s_andn2_b64 exec, exec, s[24:25]
	s_cbranch_execz .LBB297_30
.LBB297_28:                             ; =>This Inner Loop Header: Depth=1
	s_or_b64 s[28:29], s[28:29], exec
	s_cmp_eq_u64 s[16:17], s[30:31]
	s_cbranch_scc0 .LBB297_26
; %bb.29:                               ;   in Loop: Header=BB297_28 Depth=1
                                        ; implicit-def: $sgpr34_sgpr35
	s_mov_b64 s[30:31], s[16:17]
	s_branch .LBB297_27
.LBB297_30:
	s_or_b64 exec, exec, s[24:25]
	v_cmp_gt_i64_e32 vcc, s[16:17], v[12:13]
	s_orn2_b64 s[24:25], vcc, exec
.LBB297_31:
	s_or_b64 exec, exec, s[8:9]
.LBB297_32:
	s_mov_b64 s[8:9], -1
	s_and_b64 vcc, exec, s[26:27]
	s_cbranch_vccz .LBB297_59
.LBB297_33:
	s_lshl_b32 s5, s20, 9
	v_lshlrev_b32_e32 v14, 1, v0
	s_sub_i32 s5, s14, s5
	v_or_b32_e32 v6, 1, v14
	v_cmp_gt_u32_e32 vcc, s5, v6
	v_pk_mov_b32 v[8:9], v[4:5], v[4:5] op_sel:[0,1]
	ds_write_b64 v1, v[4:5]
	v_pk_mov_b32 v[6:7], v[2:3], v[2:3] op_sel:[0,1]
	s_and_saveexec_b64 s[20:21], vcc
	s_cbranch_execz .LBB297_44
; %bb.34:
	v_cmp_lt_i64_e64 s[24:25], s[16:17], 1
	s_and_b64 vcc, exec, s[24:25]
	s_cbranch_vccnz .LBB297_41
; %bb.35:
	v_pk_mov_b32 v[8:9], s[18:19], s[18:19] op_sel:[0,1]
	v_mad_u64_u32 v[6:7], s[24:25], v4, s16, v[8:9]
	v_mul_lo_u32 v10, v4, s17
	v_mul_lo_u32 v11, v5, s16
	v_add3_u32 v7, v11, v7, v10
	v_mad_u64_u32 v[10:11], s[24:25], v2, s16, v[8:9]
	v_mul_lo_u32 v8, v2, s17
	v_mul_lo_u32 v9, v3, s16
	v_add3_u32 v11, v9, v11, v8
	global_load_ubyte v8, v[6:7], off
	global_load_ubyte v9, v[10:11], off
	s_waitcnt vmcnt(0)
	v_cmp_eq_u16_e32 vcc, v8, v9
	v_mov_b32_e32 v8, 1
	v_mov_b32_e32 v9, 0
	s_and_saveexec_b64 s[24:25], vcc
	s_cbranch_execz .LBB297_43
; %bb.36:
	s_mov_b64 s[30:31], 1
	s_mov_b64 s[26:27], 0
                                        ; implicit-def: $sgpr28_sgpr29
	s_branch .LBB297_39
.LBB297_37:                             ;   in Loop: Header=BB297_39 Depth=1
	s_waitcnt lgkmcnt(0)
	v_mov_b32_e32 v13, s31
	v_add_co_u32_e32 v8, vcc, s30, v6
	v_addc_co_u32_e32 v9, vcc, v7, v13, vcc
	v_add_co_u32_e32 v12, vcc, s30, v10
	v_addc_co_u32_e32 v13, vcc, v11, v13, vcc
	global_load_ubyte v15, v[8:9], off
	global_load_ubyte v16, v[12:13], off
	s_add_u32 s34, s30, 1
	s_addc_u32 s35, s31, 0
	s_andn2_b64 s[28:29], s[28:29], exec
	s_waitcnt vmcnt(0)
	v_cmp_ne_u16_e32 vcc, v15, v16
	s_and_b64 s[36:37], vcc, exec
	s_or_b64 s[28:29], s[28:29], s[36:37]
.LBB297_38:                             ;   in Loop: Header=BB297_39 Depth=1
	s_and_b64 s[36:37], exec, s[28:29]
	s_or_b64 s[26:27], s[36:37], s[26:27]
	v_pk_mov_b32 v[8:9], s[30:31], s[30:31] op_sel:[0,1]
	s_mov_b64 s[30:31], s[34:35]
	s_andn2_b64 exec, exec, s[26:27]
	s_cbranch_execz .LBB297_42
.LBB297_39:                             ; =>This Inner Loop Header: Depth=1
	s_or_b64 s[28:29], s[28:29], exec
	s_cmp_eq_u64 s[16:17], s[30:31]
	s_cbranch_scc0 .LBB297_37
; %bb.40:                               ;   in Loop: Header=BB297_39 Depth=1
                                        ; implicit-def: $sgpr34_sgpr35
	s_mov_b64 s[30:31], s[16:17]
	s_branch .LBB297_38
.LBB297_41:
	v_pk_mov_b32 v[8:9], 0, 0
	s_branch .LBB297_44
.LBB297_42:
	s_or_b64 exec, exec, s[26:27]
	v_cmp_gt_i64_e32 vcc, s[16:17], v[8:9]
	s_mov_b32 s7, 0
	v_cndmask_b32_e64 v8, 0, 1, vcc
	v_mov_b32_e32 v9, s7
.LBB297_43:
	s_or_b64 exec, exec, s[24:25]
.LBB297_44:
	s_or_b64 exec, exec, s[20:21]
	v_cmp_ne_u32_e32 vcc, 0, v0
	s_waitcnt lgkmcnt(0)
	v_pk_mov_b32 v[12:13], s[22:23], s[22:23] op_sel:[0,1]
	s_barrier
	s_and_saveexec_b64 s[20:21], vcc
	s_cbranch_execz .LBB297_46
; %bb.45:
	v_add_u32_e32 v6, -8, v1
	ds_read_b64 v[12:13], v6
.LBB297_46:
	s_or_b64 exec, exec, s[20:21]
	v_cmp_gt_u32_e32 vcc, s5, v14
                                        ; implicit-def: $sgpr24_sgpr25
	s_and_saveexec_b64 s[20:21], vcc
	s_cbranch_execz .LBB297_58
; %bb.47:
	v_cmp_lt_i64_e64 s[22:23], s[16:17], 1
	s_and_b64 vcc, exec, s[22:23]
	s_cbranch_vccnz .LBB297_54
; %bb.48:
	v_pk_mov_b32 v[10:11], s[18:19], s[18:19] op_sel:[0,1]
	v_mad_u64_u32 v[6:7], s[22:23], v2, s16, v[10:11]
	v_mul_lo_u32 v14, v2, s17
	v_mul_lo_u32 v15, v3, s16
	v_add3_u32 v7, v15, v7, v14
	s_waitcnt lgkmcnt(0)
	v_mad_u64_u32 v[10:11], s[22:23], v12, s16, v[10:11]
	v_mul_lo_u32 v12, v12, s17
	v_mul_lo_u32 v13, v13, s16
	v_add3_u32 v11, v13, v11, v12
	global_load_ubyte v12, v[6:7], off
	global_load_ubyte v13, v[10:11], off
	s_mov_b64 s[24:25], -1
	s_waitcnt vmcnt(0)
	v_cmp_eq_u16_e32 vcc, v12, v13
	s_and_saveexec_b64 s[22:23], vcc
	s_cbranch_execz .LBB297_56
; %bb.49:
	s_mov_b64 s[28:29], 1
	s_mov_b64 s[24:25], 0
                                        ; implicit-def: $sgpr26_sgpr27
	s_branch .LBB297_52
.LBB297_50:                             ;   in Loop: Header=BB297_52 Depth=1
	v_mov_b32_e32 v15, s29
	v_add_co_u32_e32 v12, vcc, s28, v6
	v_addc_co_u32_e32 v13, vcc, v7, v15, vcc
	v_add_co_u32_e32 v14, vcc, s28, v10
	v_addc_co_u32_e32 v15, vcc, v11, v15, vcc
	global_load_ubyte v16, v[12:13], off
	global_load_ubyte v17, v[14:15], off
	s_add_u32 s30, s28, 1
	s_addc_u32 s31, s29, 0
	s_andn2_b64 s[26:27], s[26:27], exec
	s_waitcnt vmcnt(0)
	v_cmp_ne_u16_e32 vcc, v16, v17
	s_and_b64 s[34:35], vcc, exec
	s_or_b64 s[26:27], s[26:27], s[34:35]
.LBB297_51:                             ;   in Loop: Header=BB297_52 Depth=1
	s_and_b64 s[34:35], exec, s[26:27]
	s_or_b64 s[24:25], s[34:35], s[24:25]
	v_pk_mov_b32 v[12:13], s[28:29], s[28:29] op_sel:[0,1]
	s_mov_b64 s[28:29], s[30:31]
	s_andn2_b64 exec, exec, s[24:25]
	s_cbranch_execz .LBB297_55
.LBB297_52:                             ; =>This Inner Loop Header: Depth=1
	s_or_b64 s[26:27], s[26:27], exec
	s_cmp_eq_u64 s[16:17], s[28:29]
	s_cbranch_scc0 .LBB297_50
; %bb.53:                               ;   in Loop: Header=BB297_52 Depth=1
                                        ; implicit-def: $sgpr30_sgpr31
	s_mov_b64 s[28:29], s[16:17]
	s_branch .LBB297_51
.LBB297_54:
	s_mov_b64 s[24:25], 0
	s_branch .LBB297_57
.LBB297_55:
	s_or_b64 exec, exec, s[24:25]
	v_cmp_gt_i64_e32 vcc, s[16:17], v[12:13]
	s_orn2_b64 s[24:25], vcc, exec
.LBB297_56:
	s_or_b64 exec, exec, s[22:23]
.LBB297_57:
	s_and_b64 s[24:25], s[24:25], exec
	s_or_b64 s[8:9], s[8:9], exec
.LBB297_58:
	s_or_b64 exec, exec, s[20:21]
.LBB297_59:
	s_branch .LBB297_108
.LBB297_60:
	s_cmp_lg_u64 s[2:3], 1
	s_cbranch_scc0 .LBB297_68
; %bb.61:
	v_cmp_lt_i64_e64 s[20:21], s[16:17], 1
	v_pk_mov_b32 v[8:9], 0, 0
	v_cmp_gt_i64_e64 s[2:3], s[16:17], 0
	s_and_b64 vcc, exec, s[20:21]
	ds_write_b64 v1, v[4:5]
	s_cbranch_vccnz .LBB297_71
; %bb.62:
	v_pk_mov_b32 v[8:9], s[18:19], s[18:19] op_sel:[0,1]
	v_mad_u64_u32 v[6:7], s[20:21], v4, s16, v[8:9]
	v_mul_lo_u32 v10, v4, s17
	v_mul_lo_u32 v11, v5, s16
	v_add3_u32 v7, v11, v7, v10
	v_mad_u64_u32 v[10:11], s[20:21], v2, s16, v[8:9]
	v_mul_lo_u32 v8, v2, s17
	v_mul_lo_u32 v9, v3, s16
	v_add3_u32 v11, v9, v11, v8
	global_load_ubyte v8, v[6:7], off
	global_load_ubyte v9, v[10:11], off
	s_waitcnt vmcnt(0)
	v_cmp_eq_u16_e32 vcc, v8, v9
	v_mov_b32_e32 v8, 1
	v_mov_b32_e32 v9, 0
	s_and_saveexec_b64 s[20:21], vcc
	s_cbranch_execz .LBB297_70
; %bb.63:
	s_mov_b64 s[26:27], 1
	s_waitcnt lgkmcnt(0)
	s_mov_b64 s[22:23], 0
                                        ; implicit-def: $sgpr24_sgpr25
	s_branch .LBB297_66
.LBB297_64:                             ;   in Loop: Header=BB297_66 Depth=1
	v_mov_b32_e32 v13, s27
	v_add_co_u32_e32 v8, vcc, s26, v6
	v_addc_co_u32_e32 v9, vcc, v7, v13, vcc
	v_add_co_u32_e32 v12, vcc, s26, v10
	v_addc_co_u32_e32 v13, vcc, v11, v13, vcc
	global_load_ubyte v14, v[8:9], off
	global_load_ubyte v15, v[12:13], off
	s_add_u32 s28, s26, 1
	s_addc_u32 s29, s27, 0
	s_andn2_b64 s[24:25], s[24:25], exec
	s_waitcnt vmcnt(0)
	v_cmp_ne_u16_e32 vcc, v14, v15
	s_and_b64 s[30:31], vcc, exec
	s_or_b64 s[24:25], s[24:25], s[30:31]
.LBB297_65:                             ;   in Loop: Header=BB297_66 Depth=1
	s_and_b64 s[30:31], exec, s[24:25]
	s_or_b64 s[22:23], s[30:31], s[22:23]
	v_pk_mov_b32 v[8:9], s[26:27], s[26:27] op_sel:[0,1]
	s_mov_b64 s[26:27], s[28:29]
	s_andn2_b64 exec, exec, s[22:23]
	s_cbranch_execz .LBB297_69
.LBB297_66:                             ; =>This Inner Loop Header: Depth=1
	s_or_b64 s[24:25], s[24:25], exec
	s_cmp_eq_u64 s[16:17], s[26:27]
	s_cbranch_scc0 .LBB297_64
; %bb.67:                               ;   in Loop: Header=BB297_66 Depth=1
                                        ; implicit-def: $sgpr28_sgpr29
	s_mov_b64 s[26:27], s[16:17]
	s_branch .LBB297_65
.LBB297_68:
                                        ; implicit-def: $sgpr24_sgpr25
                                        ; implicit-def: $vgpr8_vgpr9
	s_cbranch_execnz .LBB297_84
	s_branch .LBB297_108
.LBB297_69:
	s_or_b64 exec, exec, s[22:23]
	v_cmp_gt_i64_e32 vcc, s[16:17], v[8:9]
	s_mov_b32 s5, 0
	v_cndmask_b32_e64 v8, 0, 1, vcc
	v_mov_b32_e32 v9, s5
.LBB297_70:
	s_or_b64 exec, exec, s[20:21]
.LBB297_71:
	v_cmp_ne_u32_e32 vcc, 0, v0
	s_waitcnt lgkmcnt(0)
	s_barrier
	s_waitcnt lgkmcnt(0)
                                        ; implicit-def: $sgpr24_sgpr25
	s_and_saveexec_b64 s[20:21], vcc
	s_cbranch_execz .LBB297_83
; %bb.72:
	s_andn2_b64 vcc, exec, s[2:3]
	s_cbranch_vccnz .LBB297_79
; %bb.73:
	v_add_u32_e32 v6, -8, v1
	ds_read_b64 v[10:11], v6
	v_pk_mov_b32 v[12:13], s[18:19], s[18:19] op_sel:[0,1]
	v_mad_u64_u32 v[6:7], s[2:3], v2, s16, v[12:13]
	v_mul_lo_u32 v14, v2, s17
	v_mul_lo_u32 v15, v3, s16
	v_add3_u32 v7, v15, v7, v14
	s_waitcnt lgkmcnt(0)
	v_mul_lo_u32 v14, v10, s17
	v_mul_lo_u32 v15, v11, s16
	v_mad_u64_u32 v[10:11], s[2:3], v10, s16, v[12:13]
	v_add3_u32 v11, v15, v11, v14
	global_load_ubyte v12, v[6:7], off
	global_load_ubyte v13, v[10:11], off
	s_mov_b64 s[22:23], -1
	s_waitcnt vmcnt(0)
	v_cmp_eq_u16_e32 vcc, v12, v13
	s_and_saveexec_b64 s[2:3], vcc
	s_cbranch_execz .LBB297_81
; %bb.74:
	s_mov_b64 s[26:27], 1
	s_mov_b64 s[22:23], 0
                                        ; implicit-def: $sgpr24_sgpr25
	s_branch .LBB297_77
.LBB297_75:                             ;   in Loop: Header=BB297_77 Depth=1
	v_mov_b32_e32 v15, s27
	v_add_co_u32_e32 v12, vcc, s26, v6
	v_addc_co_u32_e32 v13, vcc, v7, v15, vcc
	v_add_co_u32_e32 v14, vcc, s26, v10
	v_addc_co_u32_e32 v15, vcc, v11, v15, vcc
	global_load_ubyte v16, v[12:13], off
	global_load_ubyte v17, v[14:15], off
	s_add_u32 s28, s26, 1
	s_addc_u32 s29, s27, 0
	s_andn2_b64 s[24:25], s[24:25], exec
	s_waitcnt vmcnt(0)
	v_cmp_ne_u16_e32 vcc, v16, v17
	s_and_b64 s[30:31], vcc, exec
	s_or_b64 s[24:25], s[24:25], s[30:31]
.LBB297_76:                             ;   in Loop: Header=BB297_77 Depth=1
	s_and_b64 s[30:31], exec, s[24:25]
	s_or_b64 s[22:23], s[30:31], s[22:23]
	v_pk_mov_b32 v[12:13], s[26:27], s[26:27] op_sel:[0,1]
	s_mov_b64 s[26:27], s[28:29]
	s_andn2_b64 exec, exec, s[22:23]
	s_cbranch_execz .LBB297_80
.LBB297_77:                             ; =>This Inner Loop Header: Depth=1
	s_or_b64 s[24:25], s[24:25], exec
	s_cmp_eq_u64 s[16:17], s[26:27]
	s_cbranch_scc0 .LBB297_75
; %bb.78:                               ;   in Loop: Header=BB297_77 Depth=1
                                        ; implicit-def: $sgpr28_sgpr29
	s_mov_b64 s[26:27], s[16:17]
	s_branch .LBB297_76
.LBB297_79:
	s_mov_b64 s[22:23], 0
	s_branch .LBB297_82
.LBB297_80:
	s_or_b64 exec, exec, s[22:23]
	v_cmp_gt_i64_e32 vcc, s[16:17], v[12:13]
	s_orn2_b64 s[22:23], vcc, exec
.LBB297_81:
	s_or_b64 exec, exec, s[2:3]
.LBB297_82:
	s_and_b64 s[24:25], s[22:23], exec
	s_or_b64 s[8:9], s[8:9], exec
.LBB297_83:
	s_or_b64 exec, exec, s[20:21]
	s_branch .LBB297_108
.LBB297_84:
	v_lshlrev_b32_e32 v10, 1, v0
	v_or_b32_e32 v6, 1, v10
	v_cmp_gt_u32_e32 vcc, s14, v6
	v_cmp_lt_i64_e64 s[20:21], s[16:17], 1
	v_pk_mov_b32 v[8:9], v[4:5], v[4:5] op_sel:[0,1]
	ds_write_b64 v1, v[4:5]
	v_pk_mov_b32 v[6:7], v[2:3], v[2:3] op_sel:[0,1]
	s_and_saveexec_b64 s[2:3], vcc
	s_cbranch_execz .LBB297_95
; %bb.85:
	s_and_b64 vcc, exec, s[20:21]
	s_cbranch_vccnz .LBB297_92
; %bb.86:
	v_pk_mov_b32 v[8:9], s[18:19], s[18:19] op_sel:[0,1]
	s_waitcnt lgkmcnt(0)
	v_mad_u64_u32 v[6:7], s[22:23], v4, s16, v[8:9]
	v_mul_lo_u32 v4, v4, s17
	v_mul_lo_u32 v5, v5, s16
	v_add3_u32 v7, v5, v7, v4
	v_mad_u64_u32 v[4:5], s[22:23], v2, s16, v[8:9]
	v_mul_lo_u32 v8, v2, s17
	v_mul_lo_u32 v9, v3, s16
	v_add3_u32 v5, v9, v5, v8
	global_load_ubyte v8, v[6:7], off
	global_load_ubyte v9, v[4:5], off
	s_waitcnt vmcnt(0)
	v_cmp_eq_u16_e32 vcc, v8, v9
	v_mov_b32_e32 v8, 1
	v_mov_b32_e32 v9, 0
	s_and_saveexec_b64 s[22:23], vcc
	s_cbranch_execz .LBB297_94
; %bb.87:
	s_mov_b64 s[28:29], 1
	s_mov_b64 s[24:25], 0
                                        ; implicit-def: $sgpr26_sgpr27
	s_branch .LBB297_90
.LBB297_88:                             ;   in Loop: Header=BB297_90 Depth=1
	v_mov_b32_e32 v11, s29
	v_add_co_u32_e32 v8, vcc, s28, v6
	v_addc_co_u32_e32 v9, vcc, v7, v11, vcc
	v_add_co_u32_e32 v12, vcc, s28, v4
	v_addc_co_u32_e32 v13, vcc, v5, v11, vcc
	global_load_ubyte v11, v[8:9], off
	global_load_ubyte v14, v[12:13], off
	s_add_u32 s30, s28, 1
	s_addc_u32 s31, s29, 0
	s_andn2_b64 s[26:27], s[26:27], exec
	s_waitcnt vmcnt(0)
	v_cmp_ne_u16_e32 vcc, v11, v14
	s_and_b64 s[34:35], vcc, exec
	s_or_b64 s[26:27], s[26:27], s[34:35]
.LBB297_89:                             ;   in Loop: Header=BB297_90 Depth=1
	s_and_b64 s[34:35], exec, s[26:27]
	s_or_b64 s[24:25], s[34:35], s[24:25]
	v_pk_mov_b32 v[8:9], s[28:29], s[28:29] op_sel:[0,1]
	s_mov_b64 s[28:29], s[30:31]
	s_andn2_b64 exec, exec, s[24:25]
	s_cbranch_execz .LBB297_93
.LBB297_90:                             ; =>This Inner Loop Header: Depth=1
	s_or_b64 s[26:27], s[26:27], exec
	s_cmp_eq_u64 s[16:17], s[28:29]
	s_cbranch_scc0 .LBB297_88
; %bb.91:                               ;   in Loop: Header=BB297_90 Depth=1
                                        ; implicit-def: $sgpr30_sgpr31
	s_mov_b64 s[28:29], s[16:17]
	s_branch .LBB297_89
.LBB297_92:
	v_pk_mov_b32 v[8:9], 0, 0
	s_branch .LBB297_95
.LBB297_93:
	s_or_b64 exec, exec, s[24:25]
	v_cmp_gt_i64_e32 vcc, s[16:17], v[8:9]
	s_mov_b32 s5, 0
	v_cndmask_b32_e64 v8, 0, 1, vcc
	v_mov_b32_e32 v9, s5
.LBB297_94:
	s_or_b64 exec, exec, s[22:23]
.LBB297_95:
	s_or_b64 exec, exec, s[2:3]
	v_cmp_ne_u32_e32 vcc, 0, v0
	v_cmp_gt_u32_e64 s[2:3], s14, v10
	s_waitcnt lgkmcnt(0)
	s_and_b64 s[22:23], vcc, s[2:3]
	s_barrier
	s_waitcnt lgkmcnt(0)
                                        ; implicit-def: $sgpr24_sgpr25
	s_and_saveexec_b64 s[2:3], s[22:23]
	s_cbranch_execz .LBB297_107
; %bb.96:
	s_and_b64 vcc, exec, s[20:21]
	s_cbranch_vccnz .LBB297_103
; %bb.97:
	v_add_u32_e32 v4, -8, v1
	ds_read_b64 v[6:7], v4
	v_pk_mov_b32 v[10:11], s[18:19], s[18:19] op_sel:[0,1]
	v_mad_u64_u32 v[4:5], s[18:19], v2, s16, v[10:11]
	v_mul_lo_u32 v2, v2, s17
	v_mul_lo_u32 v3, v3, s16
	v_add3_u32 v5, v3, v5, v2
	s_waitcnt lgkmcnt(0)
	v_mul_lo_u32 v12, v6, s17
	v_mul_lo_u32 v7, v7, s16
	v_mad_u64_u32 v[2:3], s[18:19], v6, s16, v[10:11]
	v_add3_u32 v3, v7, v3, v12
	global_load_ubyte v6, v[4:5], off
	global_load_ubyte v7, v[2:3], off
	s_mov_b64 s[20:21], -1
	s_waitcnt vmcnt(0)
	v_cmp_eq_u16_e32 vcc, v6, v7
	s_and_saveexec_b64 s[18:19], vcc
	s_cbranch_execz .LBB297_105
; %bb.98:
	s_mov_b64 s[24:25], 1
	s_mov_b64 s[20:21], 0
                                        ; implicit-def: $sgpr22_sgpr23
	s_branch .LBB297_101
.LBB297_99:                             ;   in Loop: Header=BB297_101 Depth=1
	v_mov_b32_e32 v11, s25
	v_add_co_u32_e32 v6, vcc, s24, v4
	v_addc_co_u32_e32 v7, vcc, v5, v11, vcc
	v_add_co_u32_e32 v10, vcc, s24, v2
	v_addc_co_u32_e32 v11, vcc, v3, v11, vcc
	global_load_ubyte v12, v[6:7], off
	global_load_ubyte v13, v[10:11], off
	s_add_u32 s26, s24, 1
	s_addc_u32 s27, s25, 0
	s_andn2_b64 s[22:23], s[22:23], exec
	s_waitcnt vmcnt(0)
	v_cmp_ne_u16_e32 vcc, v12, v13
	s_and_b64 s[28:29], vcc, exec
	s_or_b64 s[22:23], s[22:23], s[28:29]
.LBB297_100:                            ;   in Loop: Header=BB297_101 Depth=1
	s_and_b64 s[28:29], exec, s[22:23]
	s_or_b64 s[20:21], s[28:29], s[20:21]
	v_pk_mov_b32 v[6:7], s[24:25], s[24:25] op_sel:[0,1]
	s_mov_b64 s[24:25], s[26:27]
	s_andn2_b64 exec, exec, s[20:21]
	s_cbranch_execz .LBB297_104
.LBB297_101:                            ; =>This Inner Loop Header: Depth=1
	s_or_b64 s[22:23], s[22:23], exec
	s_cmp_eq_u64 s[16:17], s[24:25]
	s_cbranch_scc0 .LBB297_99
; %bb.102:                              ;   in Loop: Header=BB297_101 Depth=1
                                        ; implicit-def: $sgpr26_sgpr27
	s_mov_b64 s[24:25], s[16:17]
	s_branch .LBB297_100
.LBB297_103:
	s_mov_b64 s[20:21], 0
	s_branch .LBB297_106
.LBB297_104:
	s_or_b64 exec, exec, s[20:21]
	v_cmp_gt_i64_e32 vcc, s[16:17], v[6:7]
	s_orn2_b64 s[20:21], vcc, exec
.LBB297_105:
	s_or_b64 exec, exec, s[18:19]
.LBB297_106:
	s_and_b64 s[24:25], s[20:21], exec
	s_or_b64 s[8:9], s[8:9], exec
                                        ; implicit-def: $vgpr2_vgpr3
.LBB297_107:
	s_or_b64 exec, exec, s[2:3]
.LBB297_108:
	s_and_saveexec_b64 s[2:3], s[8:9]
; %bb.109:
	s_mov_b32 s5, 0
	v_cndmask_b32_e64 v2, 0, 1, s[24:25]
	v_mov_b32_e32 v3, s5
; %bb.110:
	s_or_b64 exec, exec, s[2:3]
	s_add_u32 s7, s12, s10
	s_addc_u32 s8, s13, s11
	s_and_b64 vcc, exec, s[0:1]
	v_lshrrev_b32_e32 v10, 1, v0
	s_waitcnt lgkmcnt(0)
	s_barrier
	s_cbranch_vccz .LBB297_114
; %bb.111:
	v_and_b32_e32 v4, 0x78, v10
	v_lshl_add_u32 v6, v0, 4, v4
	v_mov_b32_e32 v4, v8
	v_mov_b32_e32 v5, v9
	v_or_b32_e32 v11, 0x100, v0
	s_lshl_b32 s0, s6, 9
	s_mov_b32 s5, 0
	ds_write2_b64 v6, v[2:3], v[4:5] offset1:1
	v_lshrrev_b32_e32 v4, 5, v11
	s_sub_i32 s2, s14, s0
	s_lshl_b64 s[0:1], s[4:5], 3
	v_add_lshl_u32 v4, v4, v0, 3
	s_add_u32 s0, s7, s0
	s_waitcnt lgkmcnt(0)
	s_barrier
	ds_read_b64 v[4:5], v4 offset:2048
	s_addc_u32 s1, s8, s1
	v_mov_b32_e32 v7, s1
	v_add_co_u32_e32 v6, vcc, s0, v1
	v_addc_co_u32_e32 v7, vcc, 0, v7, vcc
	v_cmp_gt_u32_e32 vcc, s2, v0
	s_and_saveexec_b64 s[0:1], vcc
	s_cbranch_execz .LBB297_113
; %bb.112:
	v_lshrrev_b32_e32 v12, 5, v0
	v_add_lshl_u32 v12, v12, v0, 3
	ds_read_b64 v[12:13], v12
	s_waitcnt lgkmcnt(0)
	global_store_dwordx2 v[6:7], v[12:13], off
.LBB297_113:
	s_or_b64 exec, exec, s[0:1]
	v_cmp_gt_u32_e64 s[0:1], s2, v11
	s_branch .LBB297_116
.LBB297_114:
	s_mov_b64 s[0:1], 0
                                        ; implicit-def: $vgpr4_vgpr5
                                        ; implicit-def: $vgpr6_vgpr7
	s_cbranch_execz .LBB297_116
; %bb.115:
	s_waitcnt lgkmcnt(0)
	v_and_b32_e32 v4, 0x78, v10
	v_lshl_add_u32 v6, v0, 4, v4
	v_mov_b32_e32 v4, v8
	v_mov_b32_e32 v5, v9
	s_mov_b32 s5, 0
	ds_write2_b64 v6, v[2:3], v[4:5] offset1:1
	v_lshrrev_b32_e32 v2, 5, v0
	v_or_b32_e32 v3, 0x100, v0
	s_lshl_b64 s[2:3], s[4:5], 3
	v_add_lshl_u32 v2, v2, v0, 3
	v_lshrrev_b32_e32 v3, 5, v3
	s_add_u32 s2, s7, s2
	s_waitcnt lgkmcnt(0)
	s_barrier
	v_add_lshl_u32 v0, v3, v0, 3
	ds_read_b64 v[2:3], v2
	ds_read_b64 v[4:5], v0 offset:2048
	s_addc_u32 s3, s8, s3
	v_mov_b32_e32 v0, s3
	v_add_co_u32_e32 v6, vcc, s2, v1
	v_addc_co_u32_e32 v7, vcc, 0, v0, vcc
	s_or_b64 s[0:1], s[0:1], exec
	s_waitcnt lgkmcnt(1)
	global_store_dwordx2 v1, v[2:3], s[2:3]
.LBB297_116:
	s_and_saveexec_b64 s[2:3], s[0:1]
	s_cbranch_execnz .LBB297_118
; %bb.117:
	s_endpgm
.LBB297_118:
	s_waitcnt lgkmcnt(0)
	global_store_dwordx2 v[6:7], v[4:5], off offset:2048
	s_endpgm
	.section	.rodata,"a",@progbits
	.p2align	6, 0x0
	.amdhsa_kernel _ZN7rocprim17ROCPRIM_400000_NS6detail17trampoline_kernelINS0_14default_configENS1_35adjacent_difference_config_selectorILb0ElEEZNS1_24adjacent_difference_implIS3_Lb0ELb0EPlS7_ZN2at6native12_GLOBAL__N_124unique_dim_cuda_templateIaEESt5tupleIJNS8_6TensorESD_SD_EERKSD_lbbbEUlllE1_EE10hipError_tPvRmT2_T3_mT4_P12ihipStream_tbEUlT_E_NS1_11comp_targetILNS1_3genE4ELNS1_11target_archE910ELNS1_3gpuE8ELNS1_3repE0EEENS1_30default_config_static_selectorELNS0_4arch9wavefront6targetE1EEEvT1_
		.amdhsa_group_segment_fixed_size 4224
		.amdhsa_private_segment_fixed_size 0
		.amdhsa_kernarg_size 64
		.amdhsa_user_sgpr_count 6
		.amdhsa_user_sgpr_private_segment_buffer 1
		.amdhsa_user_sgpr_dispatch_ptr 0
		.amdhsa_user_sgpr_queue_ptr 0
		.amdhsa_user_sgpr_kernarg_segment_ptr 1
		.amdhsa_user_sgpr_dispatch_id 0
		.amdhsa_user_sgpr_flat_scratch_init 0
		.amdhsa_user_sgpr_kernarg_preload_length 0
		.amdhsa_user_sgpr_kernarg_preload_offset 0
		.amdhsa_user_sgpr_private_segment_size 0
		.amdhsa_uses_dynamic_stack 0
		.amdhsa_system_sgpr_private_segment_wavefront_offset 0
		.amdhsa_system_sgpr_workgroup_id_x 1
		.amdhsa_system_sgpr_workgroup_id_y 0
		.amdhsa_system_sgpr_workgroup_id_z 0
		.amdhsa_system_sgpr_workgroup_info 0
		.amdhsa_system_vgpr_workitem_id 0
		.amdhsa_next_free_vgpr 18
		.amdhsa_next_free_sgpr 38
		.amdhsa_accum_offset 20
		.amdhsa_reserve_vcc 1
		.amdhsa_reserve_flat_scratch 0
		.amdhsa_float_round_mode_32 0
		.amdhsa_float_round_mode_16_64 0
		.amdhsa_float_denorm_mode_32 3
		.amdhsa_float_denorm_mode_16_64 3
		.amdhsa_dx10_clamp 1
		.amdhsa_ieee_mode 1
		.amdhsa_fp16_overflow 0
		.amdhsa_tg_split 0
		.amdhsa_exception_fp_ieee_invalid_op 0
		.amdhsa_exception_fp_denorm_src 0
		.amdhsa_exception_fp_ieee_div_zero 0
		.amdhsa_exception_fp_ieee_overflow 0
		.amdhsa_exception_fp_ieee_underflow 0
		.amdhsa_exception_fp_ieee_inexact 0
		.amdhsa_exception_int_div_zero 0
	.end_amdhsa_kernel
	.section	.text._ZN7rocprim17ROCPRIM_400000_NS6detail17trampoline_kernelINS0_14default_configENS1_35adjacent_difference_config_selectorILb0ElEEZNS1_24adjacent_difference_implIS3_Lb0ELb0EPlS7_ZN2at6native12_GLOBAL__N_124unique_dim_cuda_templateIaEESt5tupleIJNS8_6TensorESD_SD_EERKSD_lbbbEUlllE1_EE10hipError_tPvRmT2_T3_mT4_P12ihipStream_tbEUlT_E_NS1_11comp_targetILNS1_3genE4ELNS1_11target_archE910ELNS1_3gpuE8ELNS1_3repE0EEENS1_30default_config_static_selectorELNS0_4arch9wavefront6targetE1EEEvT1_,"axG",@progbits,_ZN7rocprim17ROCPRIM_400000_NS6detail17trampoline_kernelINS0_14default_configENS1_35adjacent_difference_config_selectorILb0ElEEZNS1_24adjacent_difference_implIS3_Lb0ELb0EPlS7_ZN2at6native12_GLOBAL__N_124unique_dim_cuda_templateIaEESt5tupleIJNS8_6TensorESD_SD_EERKSD_lbbbEUlllE1_EE10hipError_tPvRmT2_T3_mT4_P12ihipStream_tbEUlT_E_NS1_11comp_targetILNS1_3genE4ELNS1_11target_archE910ELNS1_3gpuE8ELNS1_3repE0EEENS1_30default_config_static_selectorELNS0_4arch9wavefront6targetE1EEEvT1_,comdat
.Lfunc_end297:
	.size	_ZN7rocprim17ROCPRIM_400000_NS6detail17trampoline_kernelINS0_14default_configENS1_35adjacent_difference_config_selectorILb0ElEEZNS1_24adjacent_difference_implIS3_Lb0ELb0EPlS7_ZN2at6native12_GLOBAL__N_124unique_dim_cuda_templateIaEESt5tupleIJNS8_6TensorESD_SD_EERKSD_lbbbEUlllE1_EE10hipError_tPvRmT2_T3_mT4_P12ihipStream_tbEUlT_E_NS1_11comp_targetILNS1_3genE4ELNS1_11target_archE910ELNS1_3gpuE8ELNS1_3repE0EEENS1_30default_config_static_selectorELNS0_4arch9wavefront6targetE1EEEvT1_, .Lfunc_end297-_ZN7rocprim17ROCPRIM_400000_NS6detail17trampoline_kernelINS0_14default_configENS1_35adjacent_difference_config_selectorILb0ElEEZNS1_24adjacent_difference_implIS3_Lb0ELb0EPlS7_ZN2at6native12_GLOBAL__N_124unique_dim_cuda_templateIaEESt5tupleIJNS8_6TensorESD_SD_EERKSD_lbbbEUlllE1_EE10hipError_tPvRmT2_T3_mT4_P12ihipStream_tbEUlT_E_NS1_11comp_targetILNS1_3genE4ELNS1_11target_archE910ELNS1_3gpuE8ELNS1_3repE0EEENS1_30default_config_static_selectorELNS0_4arch9wavefront6targetE1EEEvT1_
                                        ; -- End function
	.section	.AMDGPU.csdata,"",@progbits
; Kernel info:
; codeLenInByte = 3520
; NumSgprs: 42
; NumVgprs: 18
; NumAgprs: 0
; TotalNumVgprs: 18
; ScratchSize: 0
; MemoryBound: 0
; FloatMode: 240
; IeeeMode: 1
; LDSByteSize: 4224 bytes/workgroup (compile time only)
; SGPRBlocks: 5
; VGPRBlocks: 2
; NumSGPRsForWavesPerEU: 42
; NumVGPRsForWavesPerEU: 18
; AccumOffset: 20
; Occupancy: 8
; WaveLimiterHint : 1
; COMPUTE_PGM_RSRC2:SCRATCH_EN: 0
; COMPUTE_PGM_RSRC2:USER_SGPR: 6
; COMPUTE_PGM_RSRC2:TRAP_HANDLER: 0
; COMPUTE_PGM_RSRC2:TGID_X_EN: 1
; COMPUTE_PGM_RSRC2:TGID_Y_EN: 0
; COMPUTE_PGM_RSRC2:TGID_Z_EN: 0
; COMPUTE_PGM_RSRC2:TIDIG_COMP_CNT: 0
; COMPUTE_PGM_RSRC3_GFX90A:ACCUM_OFFSET: 4
; COMPUTE_PGM_RSRC3_GFX90A:TG_SPLIT: 0
	.section	.text._ZN7rocprim17ROCPRIM_400000_NS6detail17trampoline_kernelINS0_14default_configENS1_35adjacent_difference_config_selectorILb0ElEEZNS1_24adjacent_difference_implIS3_Lb0ELb0EPlS7_ZN2at6native12_GLOBAL__N_124unique_dim_cuda_templateIaEESt5tupleIJNS8_6TensorESD_SD_EERKSD_lbbbEUlllE1_EE10hipError_tPvRmT2_T3_mT4_P12ihipStream_tbEUlT_E_NS1_11comp_targetILNS1_3genE3ELNS1_11target_archE908ELNS1_3gpuE7ELNS1_3repE0EEENS1_30default_config_static_selectorELNS0_4arch9wavefront6targetE1EEEvT1_,"axG",@progbits,_ZN7rocprim17ROCPRIM_400000_NS6detail17trampoline_kernelINS0_14default_configENS1_35adjacent_difference_config_selectorILb0ElEEZNS1_24adjacent_difference_implIS3_Lb0ELb0EPlS7_ZN2at6native12_GLOBAL__N_124unique_dim_cuda_templateIaEESt5tupleIJNS8_6TensorESD_SD_EERKSD_lbbbEUlllE1_EE10hipError_tPvRmT2_T3_mT4_P12ihipStream_tbEUlT_E_NS1_11comp_targetILNS1_3genE3ELNS1_11target_archE908ELNS1_3gpuE7ELNS1_3repE0EEENS1_30default_config_static_selectorELNS0_4arch9wavefront6targetE1EEEvT1_,comdat
	.globl	_ZN7rocprim17ROCPRIM_400000_NS6detail17trampoline_kernelINS0_14default_configENS1_35adjacent_difference_config_selectorILb0ElEEZNS1_24adjacent_difference_implIS3_Lb0ELb0EPlS7_ZN2at6native12_GLOBAL__N_124unique_dim_cuda_templateIaEESt5tupleIJNS8_6TensorESD_SD_EERKSD_lbbbEUlllE1_EE10hipError_tPvRmT2_T3_mT4_P12ihipStream_tbEUlT_E_NS1_11comp_targetILNS1_3genE3ELNS1_11target_archE908ELNS1_3gpuE7ELNS1_3repE0EEENS1_30default_config_static_selectorELNS0_4arch9wavefront6targetE1EEEvT1_ ; -- Begin function _ZN7rocprim17ROCPRIM_400000_NS6detail17trampoline_kernelINS0_14default_configENS1_35adjacent_difference_config_selectorILb0ElEEZNS1_24adjacent_difference_implIS3_Lb0ELb0EPlS7_ZN2at6native12_GLOBAL__N_124unique_dim_cuda_templateIaEESt5tupleIJNS8_6TensorESD_SD_EERKSD_lbbbEUlllE1_EE10hipError_tPvRmT2_T3_mT4_P12ihipStream_tbEUlT_E_NS1_11comp_targetILNS1_3genE3ELNS1_11target_archE908ELNS1_3gpuE7ELNS1_3repE0EEENS1_30default_config_static_selectorELNS0_4arch9wavefront6targetE1EEEvT1_
	.p2align	8
	.type	_ZN7rocprim17ROCPRIM_400000_NS6detail17trampoline_kernelINS0_14default_configENS1_35adjacent_difference_config_selectorILb0ElEEZNS1_24adjacent_difference_implIS3_Lb0ELb0EPlS7_ZN2at6native12_GLOBAL__N_124unique_dim_cuda_templateIaEESt5tupleIJNS8_6TensorESD_SD_EERKSD_lbbbEUlllE1_EE10hipError_tPvRmT2_T3_mT4_P12ihipStream_tbEUlT_E_NS1_11comp_targetILNS1_3genE3ELNS1_11target_archE908ELNS1_3gpuE7ELNS1_3repE0EEENS1_30default_config_static_selectorELNS0_4arch9wavefront6targetE1EEEvT1_,@function
_ZN7rocprim17ROCPRIM_400000_NS6detail17trampoline_kernelINS0_14default_configENS1_35adjacent_difference_config_selectorILb0ElEEZNS1_24adjacent_difference_implIS3_Lb0ELb0EPlS7_ZN2at6native12_GLOBAL__N_124unique_dim_cuda_templateIaEESt5tupleIJNS8_6TensorESD_SD_EERKSD_lbbbEUlllE1_EE10hipError_tPvRmT2_T3_mT4_P12ihipStream_tbEUlT_E_NS1_11comp_targetILNS1_3genE3ELNS1_11target_archE908ELNS1_3gpuE7ELNS1_3repE0EEENS1_30default_config_static_selectorELNS0_4arch9wavefront6targetE1EEEvT1_: ; @_ZN7rocprim17ROCPRIM_400000_NS6detail17trampoline_kernelINS0_14default_configENS1_35adjacent_difference_config_selectorILb0ElEEZNS1_24adjacent_difference_implIS3_Lb0ELb0EPlS7_ZN2at6native12_GLOBAL__N_124unique_dim_cuda_templateIaEESt5tupleIJNS8_6TensorESD_SD_EERKSD_lbbbEUlllE1_EE10hipError_tPvRmT2_T3_mT4_P12ihipStream_tbEUlT_E_NS1_11comp_targetILNS1_3genE3ELNS1_11target_archE908ELNS1_3gpuE7ELNS1_3repE0EEENS1_30default_config_static_selectorELNS0_4arch9wavefront6targetE1EEEvT1_
; %bb.0:
	.section	.rodata,"a",@progbits
	.p2align	6, 0x0
	.amdhsa_kernel _ZN7rocprim17ROCPRIM_400000_NS6detail17trampoline_kernelINS0_14default_configENS1_35adjacent_difference_config_selectorILb0ElEEZNS1_24adjacent_difference_implIS3_Lb0ELb0EPlS7_ZN2at6native12_GLOBAL__N_124unique_dim_cuda_templateIaEESt5tupleIJNS8_6TensorESD_SD_EERKSD_lbbbEUlllE1_EE10hipError_tPvRmT2_T3_mT4_P12ihipStream_tbEUlT_E_NS1_11comp_targetILNS1_3genE3ELNS1_11target_archE908ELNS1_3gpuE7ELNS1_3repE0EEENS1_30default_config_static_selectorELNS0_4arch9wavefront6targetE1EEEvT1_
		.amdhsa_group_segment_fixed_size 0
		.amdhsa_private_segment_fixed_size 0
		.amdhsa_kernarg_size 64
		.amdhsa_user_sgpr_count 6
		.amdhsa_user_sgpr_private_segment_buffer 1
		.amdhsa_user_sgpr_dispatch_ptr 0
		.amdhsa_user_sgpr_queue_ptr 0
		.amdhsa_user_sgpr_kernarg_segment_ptr 1
		.amdhsa_user_sgpr_dispatch_id 0
		.amdhsa_user_sgpr_flat_scratch_init 0
		.amdhsa_user_sgpr_kernarg_preload_length 0
		.amdhsa_user_sgpr_kernarg_preload_offset 0
		.amdhsa_user_sgpr_private_segment_size 0
		.amdhsa_uses_dynamic_stack 0
		.amdhsa_system_sgpr_private_segment_wavefront_offset 0
		.amdhsa_system_sgpr_workgroup_id_x 1
		.amdhsa_system_sgpr_workgroup_id_y 0
		.amdhsa_system_sgpr_workgroup_id_z 0
		.amdhsa_system_sgpr_workgroup_info 0
		.amdhsa_system_vgpr_workitem_id 0
		.amdhsa_next_free_vgpr 1
		.amdhsa_next_free_sgpr 0
		.amdhsa_accum_offset 4
		.amdhsa_reserve_vcc 0
		.amdhsa_reserve_flat_scratch 0
		.amdhsa_float_round_mode_32 0
		.amdhsa_float_round_mode_16_64 0
		.amdhsa_float_denorm_mode_32 3
		.amdhsa_float_denorm_mode_16_64 3
		.amdhsa_dx10_clamp 1
		.amdhsa_ieee_mode 1
		.amdhsa_fp16_overflow 0
		.amdhsa_tg_split 0
		.amdhsa_exception_fp_ieee_invalid_op 0
		.amdhsa_exception_fp_denorm_src 0
		.amdhsa_exception_fp_ieee_div_zero 0
		.amdhsa_exception_fp_ieee_overflow 0
		.amdhsa_exception_fp_ieee_underflow 0
		.amdhsa_exception_fp_ieee_inexact 0
		.amdhsa_exception_int_div_zero 0
	.end_amdhsa_kernel
	.section	.text._ZN7rocprim17ROCPRIM_400000_NS6detail17trampoline_kernelINS0_14default_configENS1_35adjacent_difference_config_selectorILb0ElEEZNS1_24adjacent_difference_implIS3_Lb0ELb0EPlS7_ZN2at6native12_GLOBAL__N_124unique_dim_cuda_templateIaEESt5tupleIJNS8_6TensorESD_SD_EERKSD_lbbbEUlllE1_EE10hipError_tPvRmT2_T3_mT4_P12ihipStream_tbEUlT_E_NS1_11comp_targetILNS1_3genE3ELNS1_11target_archE908ELNS1_3gpuE7ELNS1_3repE0EEENS1_30default_config_static_selectorELNS0_4arch9wavefront6targetE1EEEvT1_,"axG",@progbits,_ZN7rocprim17ROCPRIM_400000_NS6detail17trampoline_kernelINS0_14default_configENS1_35adjacent_difference_config_selectorILb0ElEEZNS1_24adjacent_difference_implIS3_Lb0ELb0EPlS7_ZN2at6native12_GLOBAL__N_124unique_dim_cuda_templateIaEESt5tupleIJNS8_6TensorESD_SD_EERKSD_lbbbEUlllE1_EE10hipError_tPvRmT2_T3_mT4_P12ihipStream_tbEUlT_E_NS1_11comp_targetILNS1_3genE3ELNS1_11target_archE908ELNS1_3gpuE7ELNS1_3repE0EEENS1_30default_config_static_selectorELNS0_4arch9wavefront6targetE1EEEvT1_,comdat
.Lfunc_end298:
	.size	_ZN7rocprim17ROCPRIM_400000_NS6detail17trampoline_kernelINS0_14default_configENS1_35adjacent_difference_config_selectorILb0ElEEZNS1_24adjacent_difference_implIS3_Lb0ELb0EPlS7_ZN2at6native12_GLOBAL__N_124unique_dim_cuda_templateIaEESt5tupleIJNS8_6TensorESD_SD_EERKSD_lbbbEUlllE1_EE10hipError_tPvRmT2_T3_mT4_P12ihipStream_tbEUlT_E_NS1_11comp_targetILNS1_3genE3ELNS1_11target_archE908ELNS1_3gpuE7ELNS1_3repE0EEENS1_30default_config_static_selectorELNS0_4arch9wavefront6targetE1EEEvT1_, .Lfunc_end298-_ZN7rocprim17ROCPRIM_400000_NS6detail17trampoline_kernelINS0_14default_configENS1_35adjacent_difference_config_selectorILb0ElEEZNS1_24adjacent_difference_implIS3_Lb0ELb0EPlS7_ZN2at6native12_GLOBAL__N_124unique_dim_cuda_templateIaEESt5tupleIJNS8_6TensorESD_SD_EERKSD_lbbbEUlllE1_EE10hipError_tPvRmT2_T3_mT4_P12ihipStream_tbEUlT_E_NS1_11comp_targetILNS1_3genE3ELNS1_11target_archE908ELNS1_3gpuE7ELNS1_3repE0EEENS1_30default_config_static_selectorELNS0_4arch9wavefront6targetE1EEEvT1_
                                        ; -- End function
	.section	.AMDGPU.csdata,"",@progbits
; Kernel info:
; codeLenInByte = 0
; NumSgprs: 4
; NumVgprs: 0
; NumAgprs: 0
; TotalNumVgprs: 0
; ScratchSize: 0
; MemoryBound: 0
; FloatMode: 240
; IeeeMode: 1
; LDSByteSize: 0 bytes/workgroup (compile time only)
; SGPRBlocks: 0
; VGPRBlocks: 0
; NumSGPRsForWavesPerEU: 4
; NumVGPRsForWavesPerEU: 1
; AccumOffset: 4
; Occupancy: 8
; WaveLimiterHint : 0
; COMPUTE_PGM_RSRC2:SCRATCH_EN: 0
; COMPUTE_PGM_RSRC2:USER_SGPR: 6
; COMPUTE_PGM_RSRC2:TRAP_HANDLER: 0
; COMPUTE_PGM_RSRC2:TGID_X_EN: 1
; COMPUTE_PGM_RSRC2:TGID_Y_EN: 0
; COMPUTE_PGM_RSRC2:TGID_Z_EN: 0
; COMPUTE_PGM_RSRC2:TIDIG_COMP_CNT: 0
; COMPUTE_PGM_RSRC3_GFX90A:ACCUM_OFFSET: 0
; COMPUTE_PGM_RSRC3_GFX90A:TG_SPLIT: 0
	.section	.text._ZN7rocprim17ROCPRIM_400000_NS6detail17trampoline_kernelINS0_14default_configENS1_35adjacent_difference_config_selectorILb0ElEEZNS1_24adjacent_difference_implIS3_Lb0ELb0EPlS7_ZN2at6native12_GLOBAL__N_124unique_dim_cuda_templateIaEESt5tupleIJNS8_6TensorESD_SD_EERKSD_lbbbEUlllE1_EE10hipError_tPvRmT2_T3_mT4_P12ihipStream_tbEUlT_E_NS1_11comp_targetILNS1_3genE2ELNS1_11target_archE906ELNS1_3gpuE6ELNS1_3repE0EEENS1_30default_config_static_selectorELNS0_4arch9wavefront6targetE1EEEvT1_,"axG",@progbits,_ZN7rocprim17ROCPRIM_400000_NS6detail17trampoline_kernelINS0_14default_configENS1_35adjacent_difference_config_selectorILb0ElEEZNS1_24adjacent_difference_implIS3_Lb0ELb0EPlS7_ZN2at6native12_GLOBAL__N_124unique_dim_cuda_templateIaEESt5tupleIJNS8_6TensorESD_SD_EERKSD_lbbbEUlllE1_EE10hipError_tPvRmT2_T3_mT4_P12ihipStream_tbEUlT_E_NS1_11comp_targetILNS1_3genE2ELNS1_11target_archE906ELNS1_3gpuE6ELNS1_3repE0EEENS1_30default_config_static_selectorELNS0_4arch9wavefront6targetE1EEEvT1_,comdat
	.globl	_ZN7rocprim17ROCPRIM_400000_NS6detail17trampoline_kernelINS0_14default_configENS1_35adjacent_difference_config_selectorILb0ElEEZNS1_24adjacent_difference_implIS3_Lb0ELb0EPlS7_ZN2at6native12_GLOBAL__N_124unique_dim_cuda_templateIaEESt5tupleIJNS8_6TensorESD_SD_EERKSD_lbbbEUlllE1_EE10hipError_tPvRmT2_T3_mT4_P12ihipStream_tbEUlT_E_NS1_11comp_targetILNS1_3genE2ELNS1_11target_archE906ELNS1_3gpuE6ELNS1_3repE0EEENS1_30default_config_static_selectorELNS0_4arch9wavefront6targetE1EEEvT1_ ; -- Begin function _ZN7rocprim17ROCPRIM_400000_NS6detail17trampoline_kernelINS0_14default_configENS1_35adjacent_difference_config_selectorILb0ElEEZNS1_24adjacent_difference_implIS3_Lb0ELb0EPlS7_ZN2at6native12_GLOBAL__N_124unique_dim_cuda_templateIaEESt5tupleIJNS8_6TensorESD_SD_EERKSD_lbbbEUlllE1_EE10hipError_tPvRmT2_T3_mT4_P12ihipStream_tbEUlT_E_NS1_11comp_targetILNS1_3genE2ELNS1_11target_archE906ELNS1_3gpuE6ELNS1_3repE0EEENS1_30default_config_static_selectorELNS0_4arch9wavefront6targetE1EEEvT1_
	.p2align	8
	.type	_ZN7rocprim17ROCPRIM_400000_NS6detail17trampoline_kernelINS0_14default_configENS1_35adjacent_difference_config_selectorILb0ElEEZNS1_24adjacent_difference_implIS3_Lb0ELb0EPlS7_ZN2at6native12_GLOBAL__N_124unique_dim_cuda_templateIaEESt5tupleIJNS8_6TensorESD_SD_EERKSD_lbbbEUlllE1_EE10hipError_tPvRmT2_T3_mT4_P12ihipStream_tbEUlT_E_NS1_11comp_targetILNS1_3genE2ELNS1_11target_archE906ELNS1_3gpuE6ELNS1_3repE0EEENS1_30default_config_static_selectorELNS0_4arch9wavefront6targetE1EEEvT1_,@function
_ZN7rocprim17ROCPRIM_400000_NS6detail17trampoline_kernelINS0_14default_configENS1_35adjacent_difference_config_selectorILb0ElEEZNS1_24adjacent_difference_implIS3_Lb0ELb0EPlS7_ZN2at6native12_GLOBAL__N_124unique_dim_cuda_templateIaEESt5tupleIJNS8_6TensorESD_SD_EERKSD_lbbbEUlllE1_EE10hipError_tPvRmT2_T3_mT4_P12ihipStream_tbEUlT_E_NS1_11comp_targetILNS1_3genE2ELNS1_11target_archE906ELNS1_3gpuE6ELNS1_3repE0EEENS1_30default_config_static_selectorELNS0_4arch9wavefront6targetE1EEEvT1_: ; @_ZN7rocprim17ROCPRIM_400000_NS6detail17trampoline_kernelINS0_14default_configENS1_35adjacent_difference_config_selectorILb0ElEEZNS1_24adjacent_difference_implIS3_Lb0ELb0EPlS7_ZN2at6native12_GLOBAL__N_124unique_dim_cuda_templateIaEESt5tupleIJNS8_6TensorESD_SD_EERKSD_lbbbEUlllE1_EE10hipError_tPvRmT2_T3_mT4_P12ihipStream_tbEUlT_E_NS1_11comp_targetILNS1_3genE2ELNS1_11target_archE906ELNS1_3gpuE6ELNS1_3repE0EEENS1_30default_config_static_selectorELNS0_4arch9wavefront6targetE1EEEvT1_
; %bb.0:
	.section	.rodata,"a",@progbits
	.p2align	6, 0x0
	.amdhsa_kernel _ZN7rocprim17ROCPRIM_400000_NS6detail17trampoline_kernelINS0_14default_configENS1_35adjacent_difference_config_selectorILb0ElEEZNS1_24adjacent_difference_implIS3_Lb0ELb0EPlS7_ZN2at6native12_GLOBAL__N_124unique_dim_cuda_templateIaEESt5tupleIJNS8_6TensorESD_SD_EERKSD_lbbbEUlllE1_EE10hipError_tPvRmT2_T3_mT4_P12ihipStream_tbEUlT_E_NS1_11comp_targetILNS1_3genE2ELNS1_11target_archE906ELNS1_3gpuE6ELNS1_3repE0EEENS1_30default_config_static_selectorELNS0_4arch9wavefront6targetE1EEEvT1_
		.amdhsa_group_segment_fixed_size 0
		.amdhsa_private_segment_fixed_size 0
		.amdhsa_kernarg_size 64
		.amdhsa_user_sgpr_count 6
		.amdhsa_user_sgpr_private_segment_buffer 1
		.amdhsa_user_sgpr_dispatch_ptr 0
		.amdhsa_user_sgpr_queue_ptr 0
		.amdhsa_user_sgpr_kernarg_segment_ptr 1
		.amdhsa_user_sgpr_dispatch_id 0
		.amdhsa_user_sgpr_flat_scratch_init 0
		.amdhsa_user_sgpr_kernarg_preload_length 0
		.amdhsa_user_sgpr_kernarg_preload_offset 0
		.amdhsa_user_sgpr_private_segment_size 0
		.amdhsa_uses_dynamic_stack 0
		.amdhsa_system_sgpr_private_segment_wavefront_offset 0
		.amdhsa_system_sgpr_workgroup_id_x 1
		.amdhsa_system_sgpr_workgroup_id_y 0
		.amdhsa_system_sgpr_workgroup_id_z 0
		.amdhsa_system_sgpr_workgroup_info 0
		.amdhsa_system_vgpr_workitem_id 0
		.amdhsa_next_free_vgpr 1
		.amdhsa_next_free_sgpr 0
		.amdhsa_accum_offset 4
		.amdhsa_reserve_vcc 0
		.amdhsa_reserve_flat_scratch 0
		.amdhsa_float_round_mode_32 0
		.amdhsa_float_round_mode_16_64 0
		.amdhsa_float_denorm_mode_32 3
		.amdhsa_float_denorm_mode_16_64 3
		.amdhsa_dx10_clamp 1
		.amdhsa_ieee_mode 1
		.amdhsa_fp16_overflow 0
		.amdhsa_tg_split 0
		.amdhsa_exception_fp_ieee_invalid_op 0
		.amdhsa_exception_fp_denorm_src 0
		.amdhsa_exception_fp_ieee_div_zero 0
		.amdhsa_exception_fp_ieee_overflow 0
		.amdhsa_exception_fp_ieee_underflow 0
		.amdhsa_exception_fp_ieee_inexact 0
		.amdhsa_exception_int_div_zero 0
	.end_amdhsa_kernel
	.section	.text._ZN7rocprim17ROCPRIM_400000_NS6detail17trampoline_kernelINS0_14default_configENS1_35adjacent_difference_config_selectorILb0ElEEZNS1_24adjacent_difference_implIS3_Lb0ELb0EPlS7_ZN2at6native12_GLOBAL__N_124unique_dim_cuda_templateIaEESt5tupleIJNS8_6TensorESD_SD_EERKSD_lbbbEUlllE1_EE10hipError_tPvRmT2_T3_mT4_P12ihipStream_tbEUlT_E_NS1_11comp_targetILNS1_3genE2ELNS1_11target_archE906ELNS1_3gpuE6ELNS1_3repE0EEENS1_30default_config_static_selectorELNS0_4arch9wavefront6targetE1EEEvT1_,"axG",@progbits,_ZN7rocprim17ROCPRIM_400000_NS6detail17trampoline_kernelINS0_14default_configENS1_35adjacent_difference_config_selectorILb0ElEEZNS1_24adjacent_difference_implIS3_Lb0ELb0EPlS7_ZN2at6native12_GLOBAL__N_124unique_dim_cuda_templateIaEESt5tupleIJNS8_6TensorESD_SD_EERKSD_lbbbEUlllE1_EE10hipError_tPvRmT2_T3_mT4_P12ihipStream_tbEUlT_E_NS1_11comp_targetILNS1_3genE2ELNS1_11target_archE906ELNS1_3gpuE6ELNS1_3repE0EEENS1_30default_config_static_selectorELNS0_4arch9wavefront6targetE1EEEvT1_,comdat
.Lfunc_end299:
	.size	_ZN7rocprim17ROCPRIM_400000_NS6detail17trampoline_kernelINS0_14default_configENS1_35adjacent_difference_config_selectorILb0ElEEZNS1_24adjacent_difference_implIS3_Lb0ELb0EPlS7_ZN2at6native12_GLOBAL__N_124unique_dim_cuda_templateIaEESt5tupleIJNS8_6TensorESD_SD_EERKSD_lbbbEUlllE1_EE10hipError_tPvRmT2_T3_mT4_P12ihipStream_tbEUlT_E_NS1_11comp_targetILNS1_3genE2ELNS1_11target_archE906ELNS1_3gpuE6ELNS1_3repE0EEENS1_30default_config_static_selectorELNS0_4arch9wavefront6targetE1EEEvT1_, .Lfunc_end299-_ZN7rocprim17ROCPRIM_400000_NS6detail17trampoline_kernelINS0_14default_configENS1_35adjacent_difference_config_selectorILb0ElEEZNS1_24adjacent_difference_implIS3_Lb0ELb0EPlS7_ZN2at6native12_GLOBAL__N_124unique_dim_cuda_templateIaEESt5tupleIJNS8_6TensorESD_SD_EERKSD_lbbbEUlllE1_EE10hipError_tPvRmT2_T3_mT4_P12ihipStream_tbEUlT_E_NS1_11comp_targetILNS1_3genE2ELNS1_11target_archE906ELNS1_3gpuE6ELNS1_3repE0EEENS1_30default_config_static_selectorELNS0_4arch9wavefront6targetE1EEEvT1_
                                        ; -- End function
	.section	.AMDGPU.csdata,"",@progbits
; Kernel info:
; codeLenInByte = 0
; NumSgprs: 4
; NumVgprs: 0
; NumAgprs: 0
; TotalNumVgprs: 0
; ScratchSize: 0
; MemoryBound: 0
; FloatMode: 240
; IeeeMode: 1
; LDSByteSize: 0 bytes/workgroup (compile time only)
; SGPRBlocks: 0
; VGPRBlocks: 0
; NumSGPRsForWavesPerEU: 4
; NumVGPRsForWavesPerEU: 1
; AccumOffset: 4
; Occupancy: 8
; WaveLimiterHint : 0
; COMPUTE_PGM_RSRC2:SCRATCH_EN: 0
; COMPUTE_PGM_RSRC2:USER_SGPR: 6
; COMPUTE_PGM_RSRC2:TRAP_HANDLER: 0
; COMPUTE_PGM_RSRC2:TGID_X_EN: 1
; COMPUTE_PGM_RSRC2:TGID_Y_EN: 0
; COMPUTE_PGM_RSRC2:TGID_Z_EN: 0
; COMPUTE_PGM_RSRC2:TIDIG_COMP_CNT: 0
; COMPUTE_PGM_RSRC3_GFX90A:ACCUM_OFFSET: 0
; COMPUTE_PGM_RSRC3_GFX90A:TG_SPLIT: 0
	.section	.text._ZN7rocprim17ROCPRIM_400000_NS6detail17trampoline_kernelINS0_14default_configENS1_35adjacent_difference_config_selectorILb0ElEEZNS1_24adjacent_difference_implIS3_Lb0ELb0EPlS7_ZN2at6native12_GLOBAL__N_124unique_dim_cuda_templateIaEESt5tupleIJNS8_6TensorESD_SD_EERKSD_lbbbEUlllE1_EE10hipError_tPvRmT2_T3_mT4_P12ihipStream_tbEUlT_E_NS1_11comp_targetILNS1_3genE9ELNS1_11target_archE1100ELNS1_3gpuE3ELNS1_3repE0EEENS1_30default_config_static_selectorELNS0_4arch9wavefront6targetE1EEEvT1_,"axG",@progbits,_ZN7rocprim17ROCPRIM_400000_NS6detail17trampoline_kernelINS0_14default_configENS1_35adjacent_difference_config_selectorILb0ElEEZNS1_24adjacent_difference_implIS3_Lb0ELb0EPlS7_ZN2at6native12_GLOBAL__N_124unique_dim_cuda_templateIaEESt5tupleIJNS8_6TensorESD_SD_EERKSD_lbbbEUlllE1_EE10hipError_tPvRmT2_T3_mT4_P12ihipStream_tbEUlT_E_NS1_11comp_targetILNS1_3genE9ELNS1_11target_archE1100ELNS1_3gpuE3ELNS1_3repE0EEENS1_30default_config_static_selectorELNS0_4arch9wavefront6targetE1EEEvT1_,comdat
	.globl	_ZN7rocprim17ROCPRIM_400000_NS6detail17trampoline_kernelINS0_14default_configENS1_35adjacent_difference_config_selectorILb0ElEEZNS1_24adjacent_difference_implIS3_Lb0ELb0EPlS7_ZN2at6native12_GLOBAL__N_124unique_dim_cuda_templateIaEESt5tupleIJNS8_6TensorESD_SD_EERKSD_lbbbEUlllE1_EE10hipError_tPvRmT2_T3_mT4_P12ihipStream_tbEUlT_E_NS1_11comp_targetILNS1_3genE9ELNS1_11target_archE1100ELNS1_3gpuE3ELNS1_3repE0EEENS1_30default_config_static_selectorELNS0_4arch9wavefront6targetE1EEEvT1_ ; -- Begin function _ZN7rocprim17ROCPRIM_400000_NS6detail17trampoline_kernelINS0_14default_configENS1_35adjacent_difference_config_selectorILb0ElEEZNS1_24adjacent_difference_implIS3_Lb0ELb0EPlS7_ZN2at6native12_GLOBAL__N_124unique_dim_cuda_templateIaEESt5tupleIJNS8_6TensorESD_SD_EERKSD_lbbbEUlllE1_EE10hipError_tPvRmT2_T3_mT4_P12ihipStream_tbEUlT_E_NS1_11comp_targetILNS1_3genE9ELNS1_11target_archE1100ELNS1_3gpuE3ELNS1_3repE0EEENS1_30default_config_static_selectorELNS0_4arch9wavefront6targetE1EEEvT1_
	.p2align	8
	.type	_ZN7rocprim17ROCPRIM_400000_NS6detail17trampoline_kernelINS0_14default_configENS1_35adjacent_difference_config_selectorILb0ElEEZNS1_24adjacent_difference_implIS3_Lb0ELb0EPlS7_ZN2at6native12_GLOBAL__N_124unique_dim_cuda_templateIaEESt5tupleIJNS8_6TensorESD_SD_EERKSD_lbbbEUlllE1_EE10hipError_tPvRmT2_T3_mT4_P12ihipStream_tbEUlT_E_NS1_11comp_targetILNS1_3genE9ELNS1_11target_archE1100ELNS1_3gpuE3ELNS1_3repE0EEENS1_30default_config_static_selectorELNS0_4arch9wavefront6targetE1EEEvT1_,@function
_ZN7rocprim17ROCPRIM_400000_NS6detail17trampoline_kernelINS0_14default_configENS1_35adjacent_difference_config_selectorILb0ElEEZNS1_24adjacent_difference_implIS3_Lb0ELb0EPlS7_ZN2at6native12_GLOBAL__N_124unique_dim_cuda_templateIaEESt5tupleIJNS8_6TensorESD_SD_EERKSD_lbbbEUlllE1_EE10hipError_tPvRmT2_T3_mT4_P12ihipStream_tbEUlT_E_NS1_11comp_targetILNS1_3genE9ELNS1_11target_archE1100ELNS1_3gpuE3ELNS1_3repE0EEENS1_30default_config_static_selectorELNS0_4arch9wavefront6targetE1EEEvT1_: ; @_ZN7rocprim17ROCPRIM_400000_NS6detail17trampoline_kernelINS0_14default_configENS1_35adjacent_difference_config_selectorILb0ElEEZNS1_24adjacent_difference_implIS3_Lb0ELb0EPlS7_ZN2at6native12_GLOBAL__N_124unique_dim_cuda_templateIaEESt5tupleIJNS8_6TensorESD_SD_EERKSD_lbbbEUlllE1_EE10hipError_tPvRmT2_T3_mT4_P12ihipStream_tbEUlT_E_NS1_11comp_targetILNS1_3genE9ELNS1_11target_archE1100ELNS1_3gpuE3ELNS1_3repE0EEENS1_30default_config_static_selectorELNS0_4arch9wavefront6targetE1EEEvT1_
; %bb.0:
	.section	.rodata,"a",@progbits
	.p2align	6, 0x0
	.amdhsa_kernel _ZN7rocprim17ROCPRIM_400000_NS6detail17trampoline_kernelINS0_14default_configENS1_35adjacent_difference_config_selectorILb0ElEEZNS1_24adjacent_difference_implIS3_Lb0ELb0EPlS7_ZN2at6native12_GLOBAL__N_124unique_dim_cuda_templateIaEESt5tupleIJNS8_6TensorESD_SD_EERKSD_lbbbEUlllE1_EE10hipError_tPvRmT2_T3_mT4_P12ihipStream_tbEUlT_E_NS1_11comp_targetILNS1_3genE9ELNS1_11target_archE1100ELNS1_3gpuE3ELNS1_3repE0EEENS1_30default_config_static_selectorELNS0_4arch9wavefront6targetE1EEEvT1_
		.amdhsa_group_segment_fixed_size 0
		.amdhsa_private_segment_fixed_size 0
		.amdhsa_kernarg_size 64
		.amdhsa_user_sgpr_count 6
		.amdhsa_user_sgpr_private_segment_buffer 1
		.amdhsa_user_sgpr_dispatch_ptr 0
		.amdhsa_user_sgpr_queue_ptr 0
		.amdhsa_user_sgpr_kernarg_segment_ptr 1
		.amdhsa_user_sgpr_dispatch_id 0
		.amdhsa_user_sgpr_flat_scratch_init 0
		.amdhsa_user_sgpr_kernarg_preload_length 0
		.amdhsa_user_sgpr_kernarg_preload_offset 0
		.amdhsa_user_sgpr_private_segment_size 0
		.amdhsa_uses_dynamic_stack 0
		.amdhsa_system_sgpr_private_segment_wavefront_offset 0
		.amdhsa_system_sgpr_workgroup_id_x 1
		.amdhsa_system_sgpr_workgroup_id_y 0
		.amdhsa_system_sgpr_workgroup_id_z 0
		.amdhsa_system_sgpr_workgroup_info 0
		.amdhsa_system_vgpr_workitem_id 0
		.amdhsa_next_free_vgpr 1
		.amdhsa_next_free_sgpr 0
		.amdhsa_accum_offset 4
		.amdhsa_reserve_vcc 0
		.amdhsa_reserve_flat_scratch 0
		.amdhsa_float_round_mode_32 0
		.amdhsa_float_round_mode_16_64 0
		.amdhsa_float_denorm_mode_32 3
		.amdhsa_float_denorm_mode_16_64 3
		.amdhsa_dx10_clamp 1
		.amdhsa_ieee_mode 1
		.amdhsa_fp16_overflow 0
		.amdhsa_tg_split 0
		.amdhsa_exception_fp_ieee_invalid_op 0
		.amdhsa_exception_fp_denorm_src 0
		.amdhsa_exception_fp_ieee_div_zero 0
		.amdhsa_exception_fp_ieee_overflow 0
		.amdhsa_exception_fp_ieee_underflow 0
		.amdhsa_exception_fp_ieee_inexact 0
		.amdhsa_exception_int_div_zero 0
	.end_amdhsa_kernel
	.section	.text._ZN7rocprim17ROCPRIM_400000_NS6detail17trampoline_kernelINS0_14default_configENS1_35adjacent_difference_config_selectorILb0ElEEZNS1_24adjacent_difference_implIS3_Lb0ELb0EPlS7_ZN2at6native12_GLOBAL__N_124unique_dim_cuda_templateIaEESt5tupleIJNS8_6TensorESD_SD_EERKSD_lbbbEUlllE1_EE10hipError_tPvRmT2_T3_mT4_P12ihipStream_tbEUlT_E_NS1_11comp_targetILNS1_3genE9ELNS1_11target_archE1100ELNS1_3gpuE3ELNS1_3repE0EEENS1_30default_config_static_selectorELNS0_4arch9wavefront6targetE1EEEvT1_,"axG",@progbits,_ZN7rocprim17ROCPRIM_400000_NS6detail17trampoline_kernelINS0_14default_configENS1_35adjacent_difference_config_selectorILb0ElEEZNS1_24adjacent_difference_implIS3_Lb0ELb0EPlS7_ZN2at6native12_GLOBAL__N_124unique_dim_cuda_templateIaEESt5tupleIJNS8_6TensorESD_SD_EERKSD_lbbbEUlllE1_EE10hipError_tPvRmT2_T3_mT4_P12ihipStream_tbEUlT_E_NS1_11comp_targetILNS1_3genE9ELNS1_11target_archE1100ELNS1_3gpuE3ELNS1_3repE0EEENS1_30default_config_static_selectorELNS0_4arch9wavefront6targetE1EEEvT1_,comdat
.Lfunc_end300:
	.size	_ZN7rocprim17ROCPRIM_400000_NS6detail17trampoline_kernelINS0_14default_configENS1_35adjacent_difference_config_selectorILb0ElEEZNS1_24adjacent_difference_implIS3_Lb0ELb0EPlS7_ZN2at6native12_GLOBAL__N_124unique_dim_cuda_templateIaEESt5tupleIJNS8_6TensorESD_SD_EERKSD_lbbbEUlllE1_EE10hipError_tPvRmT2_T3_mT4_P12ihipStream_tbEUlT_E_NS1_11comp_targetILNS1_3genE9ELNS1_11target_archE1100ELNS1_3gpuE3ELNS1_3repE0EEENS1_30default_config_static_selectorELNS0_4arch9wavefront6targetE1EEEvT1_, .Lfunc_end300-_ZN7rocprim17ROCPRIM_400000_NS6detail17trampoline_kernelINS0_14default_configENS1_35adjacent_difference_config_selectorILb0ElEEZNS1_24adjacent_difference_implIS3_Lb0ELb0EPlS7_ZN2at6native12_GLOBAL__N_124unique_dim_cuda_templateIaEESt5tupleIJNS8_6TensorESD_SD_EERKSD_lbbbEUlllE1_EE10hipError_tPvRmT2_T3_mT4_P12ihipStream_tbEUlT_E_NS1_11comp_targetILNS1_3genE9ELNS1_11target_archE1100ELNS1_3gpuE3ELNS1_3repE0EEENS1_30default_config_static_selectorELNS0_4arch9wavefront6targetE1EEEvT1_
                                        ; -- End function
	.section	.AMDGPU.csdata,"",@progbits
; Kernel info:
; codeLenInByte = 0
; NumSgprs: 4
; NumVgprs: 0
; NumAgprs: 0
; TotalNumVgprs: 0
; ScratchSize: 0
; MemoryBound: 0
; FloatMode: 240
; IeeeMode: 1
; LDSByteSize: 0 bytes/workgroup (compile time only)
; SGPRBlocks: 0
; VGPRBlocks: 0
; NumSGPRsForWavesPerEU: 4
; NumVGPRsForWavesPerEU: 1
; AccumOffset: 4
; Occupancy: 8
; WaveLimiterHint : 0
; COMPUTE_PGM_RSRC2:SCRATCH_EN: 0
; COMPUTE_PGM_RSRC2:USER_SGPR: 6
; COMPUTE_PGM_RSRC2:TRAP_HANDLER: 0
; COMPUTE_PGM_RSRC2:TGID_X_EN: 1
; COMPUTE_PGM_RSRC2:TGID_Y_EN: 0
; COMPUTE_PGM_RSRC2:TGID_Z_EN: 0
; COMPUTE_PGM_RSRC2:TIDIG_COMP_CNT: 0
; COMPUTE_PGM_RSRC3_GFX90A:ACCUM_OFFSET: 0
; COMPUTE_PGM_RSRC3_GFX90A:TG_SPLIT: 0
	.section	.text._ZN7rocprim17ROCPRIM_400000_NS6detail17trampoline_kernelINS0_14default_configENS1_35adjacent_difference_config_selectorILb0ElEEZNS1_24adjacent_difference_implIS3_Lb0ELb0EPlS7_ZN2at6native12_GLOBAL__N_124unique_dim_cuda_templateIaEESt5tupleIJNS8_6TensorESD_SD_EERKSD_lbbbEUlllE1_EE10hipError_tPvRmT2_T3_mT4_P12ihipStream_tbEUlT_E_NS1_11comp_targetILNS1_3genE8ELNS1_11target_archE1030ELNS1_3gpuE2ELNS1_3repE0EEENS1_30default_config_static_selectorELNS0_4arch9wavefront6targetE1EEEvT1_,"axG",@progbits,_ZN7rocprim17ROCPRIM_400000_NS6detail17trampoline_kernelINS0_14default_configENS1_35adjacent_difference_config_selectorILb0ElEEZNS1_24adjacent_difference_implIS3_Lb0ELb0EPlS7_ZN2at6native12_GLOBAL__N_124unique_dim_cuda_templateIaEESt5tupleIJNS8_6TensorESD_SD_EERKSD_lbbbEUlllE1_EE10hipError_tPvRmT2_T3_mT4_P12ihipStream_tbEUlT_E_NS1_11comp_targetILNS1_3genE8ELNS1_11target_archE1030ELNS1_3gpuE2ELNS1_3repE0EEENS1_30default_config_static_selectorELNS0_4arch9wavefront6targetE1EEEvT1_,comdat
	.globl	_ZN7rocprim17ROCPRIM_400000_NS6detail17trampoline_kernelINS0_14default_configENS1_35adjacent_difference_config_selectorILb0ElEEZNS1_24adjacent_difference_implIS3_Lb0ELb0EPlS7_ZN2at6native12_GLOBAL__N_124unique_dim_cuda_templateIaEESt5tupleIJNS8_6TensorESD_SD_EERKSD_lbbbEUlllE1_EE10hipError_tPvRmT2_T3_mT4_P12ihipStream_tbEUlT_E_NS1_11comp_targetILNS1_3genE8ELNS1_11target_archE1030ELNS1_3gpuE2ELNS1_3repE0EEENS1_30default_config_static_selectorELNS0_4arch9wavefront6targetE1EEEvT1_ ; -- Begin function _ZN7rocprim17ROCPRIM_400000_NS6detail17trampoline_kernelINS0_14default_configENS1_35adjacent_difference_config_selectorILb0ElEEZNS1_24adjacent_difference_implIS3_Lb0ELb0EPlS7_ZN2at6native12_GLOBAL__N_124unique_dim_cuda_templateIaEESt5tupleIJNS8_6TensorESD_SD_EERKSD_lbbbEUlllE1_EE10hipError_tPvRmT2_T3_mT4_P12ihipStream_tbEUlT_E_NS1_11comp_targetILNS1_3genE8ELNS1_11target_archE1030ELNS1_3gpuE2ELNS1_3repE0EEENS1_30default_config_static_selectorELNS0_4arch9wavefront6targetE1EEEvT1_
	.p2align	8
	.type	_ZN7rocprim17ROCPRIM_400000_NS6detail17trampoline_kernelINS0_14default_configENS1_35adjacent_difference_config_selectorILb0ElEEZNS1_24adjacent_difference_implIS3_Lb0ELb0EPlS7_ZN2at6native12_GLOBAL__N_124unique_dim_cuda_templateIaEESt5tupleIJNS8_6TensorESD_SD_EERKSD_lbbbEUlllE1_EE10hipError_tPvRmT2_T3_mT4_P12ihipStream_tbEUlT_E_NS1_11comp_targetILNS1_3genE8ELNS1_11target_archE1030ELNS1_3gpuE2ELNS1_3repE0EEENS1_30default_config_static_selectorELNS0_4arch9wavefront6targetE1EEEvT1_,@function
_ZN7rocprim17ROCPRIM_400000_NS6detail17trampoline_kernelINS0_14default_configENS1_35adjacent_difference_config_selectorILb0ElEEZNS1_24adjacent_difference_implIS3_Lb0ELb0EPlS7_ZN2at6native12_GLOBAL__N_124unique_dim_cuda_templateIaEESt5tupleIJNS8_6TensorESD_SD_EERKSD_lbbbEUlllE1_EE10hipError_tPvRmT2_T3_mT4_P12ihipStream_tbEUlT_E_NS1_11comp_targetILNS1_3genE8ELNS1_11target_archE1030ELNS1_3gpuE2ELNS1_3repE0EEENS1_30default_config_static_selectorELNS0_4arch9wavefront6targetE1EEEvT1_: ; @_ZN7rocprim17ROCPRIM_400000_NS6detail17trampoline_kernelINS0_14default_configENS1_35adjacent_difference_config_selectorILb0ElEEZNS1_24adjacent_difference_implIS3_Lb0ELb0EPlS7_ZN2at6native12_GLOBAL__N_124unique_dim_cuda_templateIaEESt5tupleIJNS8_6TensorESD_SD_EERKSD_lbbbEUlllE1_EE10hipError_tPvRmT2_T3_mT4_P12ihipStream_tbEUlT_E_NS1_11comp_targetILNS1_3genE8ELNS1_11target_archE1030ELNS1_3gpuE2ELNS1_3repE0EEENS1_30default_config_static_selectorELNS0_4arch9wavefront6targetE1EEEvT1_
; %bb.0:
	.section	.rodata,"a",@progbits
	.p2align	6, 0x0
	.amdhsa_kernel _ZN7rocprim17ROCPRIM_400000_NS6detail17trampoline_kernelINS0_14default_configENS1_35adjacent_difference_config_selectorILb0ElEEZNS1_24adjacent_difference_implIS3_Lb0ELb0EPlS7_ZN2at6native12_GLOBAL__N_124unique_dim_cuda_templateIaEESt5tupleIJNS8_6TensorESD_SD_EERKSD_lbbbEUlllE1_EE10hipError_tPvRmT2_T3_mT4_P12ihipStream_tbEUlT_E_NS1_11comp_targetILNS1_3genE8ELNS1_11target_archE1030ELNS1_3gpuE2ELNS1_3repE0EEENS1_30default_config_static_selectorELNS0_4arch9wavefront6targetE1EEEvT1_
		.amdhsa_group_segment_fixed_size 0
		.amdhsa_private_segment_fixed_size 0
		.amdhsa_kernarg_size 64
		.amdhsa_user_sgpr_count 6
		.amdhsa_user_sgpr_private_segment_buffer 1
		.amdhsa_user_sgpr_dispatch_ptr 0
		.amdhsa_user_sgpr_queue_ptr 0
		.amdhsa_user_sgpr_kernarg_segment_ptr 1
		.amdhsa_user_sgpr_dispatch_id 0
		.amdhsa_user_sgpr_flat_scratch_init 0
		.amdhsa_user_sgpr_kernarg_preload_length 0
		.amdhsa_user_sgpr_kernarg_preload_offset 0
		.amdhsa_user_sgpr_private_segment_size 0
		.amdhsa_uses_dynamic_stack 0
		.amdhsa_system_sgpr_private_segment_wavefront_offset 0
		.amdhsa_system_sgpr_workgroup_id_x 1
		.amdhsa_system_sgpr_workgroup_id_y 0
		.amdhsa_system_sgpr_workgroup_id_z 0
		.amdhsa_system_sgpr_workgroup_info 0
		.amdhsa_system_vgpr_workitem_id 0
		.amdhsa_next_free_vgpr 1
		.amdhsa_next_free_sgpr 0
		.amdhsa_accum_offset 4
		.amdhsa_reserve_vcc 0
		.amdhsa_reserve_flat_scratch 0
		.amdhsa_float_round_mode_32 0
		.amdhsa_float_round_mode_16_64 0
		.amdhsa_float_denorm_mode_32 3
		.amdhsa_float_denorm_mode_16_64 3
		.amdhsa_dx10_clamp 1
		.amdhsa_ieee_mode 1
		.amdhsa_fp16_overflow 0
		.amdhsa_tg_split 0
		.amdhsa_exception_fp_ieee_invalid_op 0
		.amdhsa_exception_fp_denorm_src 0
		.amdhsa_exception_fp_ieee_div_zero 0
		.amdhsa_exception_fp_ieee_overflow 0
		.amdhsa_exception_fp_ieee_underflow 0
		.amdhsa_exception_fp_ieee_inexact 0
		.amdhsa_exception_int_div_zero 0
	.end_amdhsa_kernel
	.section	.text._ZN7rocprim17ROCPRIM_400000_NS6detail17trampoline_kernelINS0_14default_configENS1_35adjacent_difference_config_selectorILb0ElEEZNS1_24adjacent_difference_implIS3_Lb0ELb0EPlS7_ZN2at6native12_GLOBAL__N_124unique_dim_cuda_templateIaEESt5tupleIJNS8_6TensorESD_SD_EERKSD_lbbbEUlllE1_EE10hipError_tPvRmT2_T3_mT4_P12ihipStream_tbEUlT_E_NS1_11comp_targetILNS1_3genE8ELNS1_11target_archE1030ELNS1_3gpuE2ELNS1_3repE0EEENS1_30default_config_static_selectorELNS0_4arch9wavefront6targetE1EEEvT1_,"axG",@progbits,_ZN7rocprim17ROCPRIM_400000_NS6detail17trampoline_kernelINS0_14default_configENS1_35adjacent_difference_config_selectorILb0ElEEZNS1_24adjacent_difference_implIS3_Lb0ELb0EPlS7_ZN2at6native12_GLOBAL__N_124unique_dim_cuda_templateIaEESt5tupleIJNS8_6TensorESD_SD_EERKSD_lbbbEUlllE1_EE10hipError_tPvRmT2_T3_mT4_P12ihipStream_tbEUlT_E_NS1_11comp_targetILNS1_3genE8ELNS1_11target_archE1030ELNS1_3gpuE2ELNS1_3repE0EEENS1_30default_config_static_selectorELNS0_4arch9wavefront6targetE1EEEvT1_,comdat
.Lfunc_end301:
	.size	_ZN7rocprim17ROCPRIM_400000_NS6detail17trampoline_kernelINS0_14default_configENS1_35adjacent_difference_config_selectorILb0ElEEZNS1_24adjacent_difference_implIS3_Lb0ELb0EPlS7_ZN2at6native12_GLOBAL__N_124unique_dim_cuda_templateIaEESt5tupleIJNS8_6TensorESD_SD_EERKSD_lbbbEUlllE1_EE10hipError_tPvRmT2_T3_mT4_P12ihipStream_tbEUlT_E_NS1_11comp_targetILNS1_3genE8ELNS1_11target_archE1030ELNS1_3gpuE2ELNS1_3repE0EEENS1_30default_config_static_selectorELNS0_4arch9wavefront6targetE1EEEvT1_, .Lfunc_end301-_ZN7rocprim17ROCPRIM_400000_NS6detail17trampoline_kernelINS0_14default_configENS1_35adjacent_difference_config_selectorILb0ElEEZNS1_24adjacent_difference_implIS3_Lb0ELb0EPlS7_ZN2at6native12_GLOBAL__N_124unique_dim_cuda_templateIaEESt5tupleIJNS8_6TensorESD_SD_EERKSD_lbbbEUlllE1_EE10hipError_tPvRmT2_T3_mT4_P12ihipStream_tbEUlT_E_NS1_11comp_targetILNS1_3genE8ELNS1_11target_archE1030ELNS1_3gpuE2ELNS1_3repE0EEENS1_30default_config_static_selectorELNS0_4arch9wavefront6targetE1EEEvT1_
                                        ; -- End function
	.section	.AMDGPU.csdata,"",@progbits
; Kernel info:
; codeLenInByte = 0
; NumSgprs: 4
; NumVgprs: 0
; NumAgprs: 0
; TotalNumVgprs: 0
; ScratchSize: 0
; MemoryBound: 0
; FloatMode: 240
; IeeeMode: 1
; LDSByteSize: 0 bytes/workgroup (compile time only)
; SGPRBlocks: 0
; VGPRBlocks: 0
; NumSGPRsForWavesPerEU: 4
; NumVGPRsForWavesPerEU: 1
; AccumOffset: 4
; Occupancy: 8
; WaveLimiterHint : 0
; COMPUTE_PGM_RSRC2:SCRATCH_EN: 0
; COMPUTE_PGM_RSRC2:USER_SGPR: 6
; COMPUTE_PGM_RSRC2:TRAP_HANDLER: 0
; COMPUTE_PGM_RSRC2:TGID_X_EN: 1
; COMPUTE_PGM_RSRC2:TGID_Y_EN: 0
; COMPUTE_PGM_RSRC2:TGID_Z_EN: 0
; COMPUTE_PGM_RSRC2:TIDIG_COMP_CNT: 0
; COMPUTE_PGM_RSRC3_GFX90A:ACCUM_OFFSET: 0
; COMPUTE_PGM_RSRC3_GFX90A:TG_SPLIT: 0
	.section	.text._ZN7rocprim17ROCPRIM_400000_NS6detail17trampoline_kernelINS0_14default_configENS1_25transform_config_selectorIlLb0EEEZNS1_14transform_implILb0ES3_S5_NS0_18transform_iteratorINS0_17counting_iteratorImlEEZNS1_24adjacent_difference_implIS3_Lb1ELb0EPlSB_ZN2at6native12_GLOBAL__N_124unique_dim_cuda_templateIaEESt5tupleIJNSC_6TensorESH_SH_EERKSH_lbbbEUlllE1_EE10hipError_tPvRmT2_T3_mT4_P12ihipStream_tbEUlmE_lEESB_NS0_8identityIvEEEESM_SP_SQ_mSR_ST_bEUlT_E_NS1_11comp_targetILNS1_3genE0ELNS1_11target_archE4294967295ELNS1_3gpuE0ELNS1_3repE0EEENS1_30default_config_static_selectorELNS0_4arch9wavefront6targetE1EEEvT1_,"axG",@progbits,_ZN7rocprim17ROCPRIM_400000_NS6detail17trampoline_kernelINS0_14default_configENS1_25transform_config_selectorIlLb0EEEZNS1_14transform_implILb0ES3_S5_NS0_18transform_iteratorINS0_17counting_iteratorImlEEZNS1_24adjacent_difference_implIS3_Lb1ELb0EPlSB_ZN2at6native12_GLOBAL__N_124unique_dim_cuda_templateIaEESt5tupleIJNSC_6TensorESH_SH_EERKSH_lbbbEUlllE1_EE10hipError_tPvRmT2_T3_mT4_P12ihipStream_tbEUlmE_lEESB_NS0_8identityIvEEEESM_SP_SQ_mSR_ST_bEUlT_E_NS1_11comp_targetILNS1_3genE0ELNS1_11target_archE4294967295ELNS1_3gpuE0ELNS1_3repE0EEENS1_30default_config_static_selectorELNS0_4arch9wavefront6targetE1EEEvT1_,comdat
	.globl	_ZN7rocprim17ROCPRIM_400000_NS6detail17trampoline_kernelINS0_14default_configENS1_25transform_config_selectorIlLb0EEEZNS1_14transform_implILb0ES3_S5_NS0_18transform_iteratorINS0_17counting_iteratorImlEEZNS1_24adjacent_difference_implIS3_Lb1ELb0EPlSB_ZN2at6native12_GLOBAL__N_124unique_dim_cuda_templateIaEESt5tupleIJNSC_6TensorESH_SH_EERKSH_lbbbEUlllE1_EE10hipError_tPvRmT2_T3_mT4_P12ihipStream_tbEUlmE_lEESB_NS0_8identityIvEEEESM_SP_SQ_mSR_ST_bEUlT_E_NS1_11comp_targetILNS1_3genE0ELNS1_11target_archE4294967295ELNS1_3gpuE0ELNS1_3repE0EEENS1_30default_config_static_selectorELNS0_4arch9wavefront6targetE1EEEvT1_ ; -- Begin function _ZN7rocprim17ROCPRIM_400000_NS6detail17trampoline_kernelINS0_14default_configENS1_25transform_config_selectorIlLb0EEEZNS1_14transform_implILb0ES3_S5_NS0_18transform_iteratorINS0_17counting_iteratorImlEEZNS1_24adjacent_difference_implIS3_Lb1ELb0EPlSB_ZN2at6native12_GLOBAL__N_124unique_dim_cuda_templateIaEESt5tupleIJNSC_6TensorESH_SH_EERKSH_lbbbEUlllE1_EE10hipError_tPvRmT2_T3_mT4_P12ihipStream_tbEUlmE_lEESB_NS0_8identityIvEEEESM_SP_SQ_mSR_ST_bEUlT_E_NS1_11comp_targetILNS1_3genE0ELNS1_11target_archE4294967295ELNS1_3gpuE0ELNS1_3repE0EEENS1_30default_config_static_selectorELNS0_4arch9wavefront6targetE1EEEvT1_
	.p2align	8
	.type	_ZN7rocprim17ROCPRIM_400000_NS6detail17trampoline_kernelINS0_14default_configENS1_25transform_config_selectorIlLb0EEEZNS1_14transform_implILb0ES3_S5_NS0_18transform_iteratorINS0_17counting_iteratorImlEEZNS1_24adjacent_difference_implIS3_Lb1ELb0EPlSB_ZN2at6native12_GLOBAL__N_124unique_dim_cuda_templateIaEESt5tupleIJNSC_6TensorESH_SH_EERKSH_lbbbEUlllE1_EE10hipError_tPvRmT2_T3_mT4_P12ihipStream_tbEUlmE_lEESB_NS0_8identityIvEEEESM_SP_SQ_mSR_ST_bEUlT_E_NS1_11comp_targetILNS1_3genE0ELNS1_11target_archE4294967295ELNS1_3gpuE0ELNS1_3repE0EEENS1_30default_config_static_selectorELNS0_4arch9wavefront6targetE1EEEvT1_,@function
_ZN7rocprim17ROCPRIM_400000_NS6detail17trampoline_kernelINS0_14default_configENS1_25transform_config_selectorIlLb0EEEZNS1_14transform_implILb0ES3_S5_NS0_18transform_iteratorINS0_17counting_iteratorImlEEZNS1_24adjacent_difference_implIS3_Lb1ELb0EPlSB_ZN2at6native12_GLOBAL__N_124unique_dim_cuda_templateIaEESt5tupleIJNSC_6TensorESH_SH_EERKSH_lbbbEUlllE1_EE10hipError_tPvRmT2_T3_mT4_P12ihipStream_tbEUlmE_lEESB_NS0_8identityIvEEEESM_SP_SQ_mSR_ST_bEUlT_E_NS1_11comp_targetILNS1_3genE0ELNS1_11target_archE4294967295ELNS1_3gpuE0ELNS1_3repE0EEENS1_30default_config_static_selectorELNS0_4arch9wavefront6targetE1EEEvT1_: ; @_ZN7rocprim17ROCPRIM_400000_NS6detail17trampoline_kernelINS0_14default_configENS1_25transform_config_selectorIlLb0EEEZNS1_14transform_implILb0ES3_S5_NS0_18transform_iteratorINS0_17counting_iteratorImlEEZNS1_24adjacent_difference_implIS3_Lb1ELb0EPlSB_ZN2at6native12_GLOBAL__N_124unique_dim_cuda_templateIaEESt5tupleIJNSC_6TensorESH_SH_EERKSH_lbbbEUlllE1_EE10hipError_tPvRmT2_T3_mT4_P12ihipStream_tbEUlmE_lEESB_NS0_8identityIvEEEESM_SP_SQ_mSR_ST_bEUlT_E_NS1_11comp_targetILNS1_3genE0ELNS1_11target_archE4294967295ELNS1_3gpuE0ELNS1_3repE0EEENS1_30default_config_static_selectorELNS0_4arch9wavefront6targetE1EEEvT1_
; %bb.0:
	.section	.rodata,"a",@progbits
	.p2align	6, 0x0
	.amdhsa_kernel _ZN7rocprim17ROCPRIM_400000_NS6detail17trampoline_kernelINS0_14default_configENS1_25transform_config_selectorIlLb0EEEZNS1_14transform_implILb0ES3_S5_NS0_18transform_iteratorINS0_17counting_iteratorImlEEZNS1_24adjacent_difference_implIS3_Lb1ELb0EPlSB_ZN2at6native12_GLOBAL__N_124unique_dim_cuda_templateIaEESt5tupleIJNSC_6TensorESH_SH_EERKSH_lbbbEUlllE1_EE10hipError_tPvRmT2_T3_mT4_P12ihipStream_tbEUlmE_lEESB_NS0_8identityIvEEEESM_SP_SQ_mSR_ST_bEUlT_E_NS1_11comp_targetILNS1_3genE0ELNS1_11target_archE4294967295ELNS1_3gpuE0ELNS1_3repE0EEENS1_30default_config_static_selectorELNS0_4arch9wavefront6targetE1EEEvT1_
		.amdhsa_group_segment_fixed_size 0
		.amdhsa_private_segment_fixed_size 0
		.amdhsa_kernarg_size 56
		.amdhsa_user_sgpr_count 6
		.amdhsa_user_sgpr_private_segment_buffer 1
		.amdhsa_user_sgpr_dispatch_ptr 0
		.amdhsa_user_sgpr_queue_ptr 0
		.amdhsa_user_sgpr_kernarg_segment_ptr 1
		.amdhsa_user_sgpr_dispatch_id 0
		.amdhsa_user_sgpr_flat_scratch_init 0
		.amdhsa_user_sgpr_kernarg_preload_length 0
		.amdhsa_user_sgpr_kernarg_preload_offset 0
		.amdhsa_user_sgpr_private_segment_size 0
		.amdhsa_uses_dynamic_stack 0
		.amdhsa_system_sgpr_private_segment_wavefront_offset 0
		.amdhsa_system_sgpr_workgroup_id_x 1
		.amdhsa_system_sgpr_workgroup_id_y 0
		.amdhsa_system_sgpr_workgroup_id_z 0
		.amdhsa_system_sgpr_workgroup_info 0
		.amdhsa_system_vgpr_workitem_id 0
		.amdhsa_next_free_vgpr 1
		.amdhsa_next_free_sgpr 0
		.amdhsa_accum_offset 4
		.amdhsa_reserve_vcc 0
		.amdhsa_reserve_flat_scratch 0
		.amdhsa_float_round_mode_32 0
		.amdhsa_float_round_mode_16_64 0
		.amdhsa_float_denorm_mode_32 3
		.amdhsa_float_denorm_mode_16_64 3
		.amdhsa_dx10_clamp 1
		.amdhsa_ieee_mode 1
		.amdhsa_fp16_overflow 0
		.amdhsa_tg_split 0
		.amdhsa_exception_fp_ieee_invalid_op 0
		.amdhsa_exception_fp_denorm_src 0
		.amdhsa_exception_fp_ieee_div_zero 0
		.amdhsa_exception_fp_ieee_overflow 0
		.amdhsa_exception_fp_ieee_underflow 0
		.amdhsa_exception_fp_ieee_inexact 0
		.amdhsa_exception_int_div_zero 0
	.end_amdhsa_kernel
	.section	.text._ZN7rocprim17ROCPRIM_400000_NS6detail17trampoline_kernelINS0_14default_configENS1_25transform_config_selectorIlLb0EEEZNS1_14transform_implILb0ES3_S5_NS0_18transform_iteratorINS0_17counting_iteratorImlEEZNS1_24adjacent_difference_implIS3_Lb1ELb0EPlSB_ZN2at6native12_GLOBAL__N_124unique_dim_cuda_templateIaEESt5tupleIJNSC_6TensorESH_SH_EERKSH_lbbbEUlllE1_EE10hipError_tPvRmT2_T3_mT4_P12ihipStream_tbEUlmE_lEESB_NS0_8identityIvEEEESM_SP_SQ_mSR_ST_bEUlT_E_NS1_11comp_targetILNS1_3genE0ELNS1_11target_archE4294967295ELNS1_3gpuE0ELNS1_3repE0EEENS1_30default_config_static_selectorELNS0_4arch9wavefront6targetE1EEEvT1_,"axG",@progbits,_ZN7rocprim17ROCPRIM_400000_NS6detail17trampoline_kernelINS0_14default_configENS1_25transform_config_selectorIlLb0EEEZNS1_14transform_implILb0ES3_S5_NS0_18transform_iteratorINS0_17counting_iteratorImlEEZNS1_24adjacent_difference_implIS3_Lb1ELb0EPlSB_ZN2at6native12_GLOBAL__N_124unique_dim_cuda_templateIaEESt5tupleIJNSC_6TensorESH_SH_EERKSH_lbbbEUlllE1_EE10hipError_tPvRmT2_T3_mT4_P12ihipStream_tbEUlmE_lEESB_NS0_8identityIvEEEESM_SP_SQ_mSR_ST_bEUlT_E_NS1_11comp_targetILNS1_3genE0ELNS1_11target_archE4294967295ELNS1_3gpuE0ELNS1_3repE0EEENS1_30default_config_static_selectorELNS0_4arch9wavefront6targetE1EEEvT1_,comdat
.Lfunc_end302:
	.size	_ZN7rocprim17ROCPRIM_400000_NS6detail17trampoline_kernelINS0_14default_configENS1_25transform_config_selectorIlLb0EEEZNS1_14transform_implILb0ES3_S5_NS0_18transform_iteratorINS0_17counting_iteratorImlEEZNS1_24adjacent_difference_implIS3_Lb1ELb0EPlSB_ZN2at6native12_GLOBAL__N_124unique_dim_cuda_templateIaEESt5tupleIJNSC_6TensorESH_SH_EERKSH_lbbbEUlllE1_EE10hipError_tPvRmT2_T3_mT4_P12ihipStream_tbEUlmE_lEESB_NS0_8identityIvEEEESM_SP_SQ_mSR_ST_bEUlT_E_NS1_11comp_targetILNS1_3genE0ELNS1_11target_archE4294967295ELNS1_3gpuE0ELNS1_3repE0EEENS1_30default_config_static_selectorELNS0_4arch9wavefront6targetE1EEEvT1_, .Lfunc_end302-_ZN7rocprim17ROCPRIM_400000_NS6detail17trampoline_kernelINS0_14default_configENS1_25transform_config_selectorIlLb0EEEZNS1_14transform_implILb0ES3_S5_NS0_18transform_iteratorINS0_17counting_iteratorImlEEZNS1_24adjacent_difference_implIS3_Lb1ELb0EPlSB_ZN2at6native12_GLOBAL__N_124unique_dim_cuda_templateIaEESt5tupleIJNSC_6TensorESH_SH_EERKSH_lbbbEUlllE1_EE10hipError_tPvRmT2_T3_mT4_P12ihipStream_tbEUlmE_lEESB_NS0_8identityIvEEEESM_SP_SQ_mSR_ST_bEUlT_E_NS1_11comp_targetILNS1_3genE0ELNS1_11target_archE4294967295ELNS1_3gpuE0ELNS1_3repE0EEENS1_30default_config_static_selectorELNS0_4arch9wavefront6targetE1EEEvT1_
                                        ; -- End function
	.section	.AMDGPU.csdata,"",@progbits
; Kernel info:
; codeLenInByte = 0
; NumSgprs: 4
; NumVgprs: 0
; NumAgprs: 0
; TotalNumVgprs: 0
; ScratchSize: 0
; MemoryBound: 0
; FloatMode: 240
; IeeeMode: 1
; LDSByteSize: 0 bytes/workgroup (compile time only)
; SGPRBlocks: 0
; VGPRBlocks: 0
; NumSGPRsForWavesPerEU: 4
; NumVGPRsForWavesPerEU: 1
; AccumOffset: 4
; Occupancy: 8
; WaveLimiterHint : 0
; COMPUTE_PGM_RSRC2:SCRATCH_EN: 0
; COMPUTE_PGM_RSRC2:USER_SGPR: 6
; COMPUTE_PGM_RSRC2:TRAP_HANDLER: 0
; COMPUTE_PGM_RSRC2:TGID_X_EN: 1
; COMPUTE_PGM_RSRC2:TGID_Y_EN: 0
; COMPUTE_PGM_RSRC2:TGID_Z_EN: 0
; COMPUTE_PGM_RSRC2:TIDIG_COMP_CNT: 0
; COMPUTE_PGM_RSRC3_GFX90A:ACCUM_OFFSET: 0
; COMPUTE_PGM_RSRC3_GFX90A:TG_SPLIT: 0
	.section	.text._ZN7rocprim17ROCPRIM_400000_NS6detail17trampoline_kernelINS0_14default_configENS1_25transform_config_selectorIlLb0EEEZNS1_14transform_implILb0ES3_S5_NS0_18transform_iteratorINS0_17counting_iteratorImlEEZNS1_24adjacent_difference_implIS3_Lb1ELb0EPlSB_ZN2at6native12_GLOBAL__N_124unique_dim_cuda_templateIaEESt5tupleIJNSC_6TensorESH_SH_EERKSH_lbbbEUlllE1_EE10hipError_tPvRmT2_T3_mT4_P12ihipStream_tbEUlmE_lEESB_NS0_8identityIvEEEESM_SP_SQ_mSR_ST_bEUlT_E_NS1_11comp_targetILNS1_3genE5ELNS1_11target_archE942ELNS1_3gpuE9ELNS1_3repE0EEENS1_30default_config_static_selectorELNS0_4arch9wavefront6targetE1EEEvT1_,"axG",@progbits,_ZN7rocprim17ROCPRIM_400000_NS6detail17trampoline_kernelINS0_14default_configENS1_25transform_config_selectorIlLb0EEEZNS1_14transform_implILb0ES3_S5_NS0_18transform_iteratorINS0_17counting_iteratorImlEEZNS1_24adjacent_difference_implIS3_Lb1ELb0EPlSB_ZN2at6native12_GLOBAL__N_124unique_dim_cuda_templateIaEESt5tupleIJNSC_6TensorESH_SH_EERKSH_lbbbEUlllE1_EE10hipError_tPvRmT2_T3_mT4_P12ihipStream_tbEUlmE_lEESB_NS0_8identityIvEEEESM_SP_SQ_mSR_ST_bEUlT_E_NS1_11comp_targetILNS1_3genE5ELNS1_11target_archE942ELNS1_3gpuE9ELNS1_3repE0EEENS1_30default_config_static_selectorELNS0_4arch9wavefront6targetE1EEEvT1_,comdat
	.globl	_ZN7rocprim17ROCPRIM_400000_NS6detail17trampoline_kernelINS0_14default_configENS1_25transform_config_selectorIlLb0EEEZNS1_14transform_implILb0ES3_S5_NS0_18transform_iteratorINS0_17counting_iteratorImlEEZNS1_24adjacent_difference_implIS3_Lb1ELb0EPlSB_ZN2at6native12_GLOBAL__N_124unique_dim_cuda_templateIaEESt5tupleIJNSC_6TensorESH_SH_EERKSH_lbbbEUlllE1_EE10hipError_tPvRmT2_T3_mT4_P12ihipStream_tbEUlmE_lEESB_NS0_8identityIvEEEESM_SP_SQ_mSR_ST_bEUlT_E_NS1_11comp_targetILNS1_3genE5ELNS1_11target_archE942ELNS1_3gpuE9ELNS1_3repE0EEENS1_30default_config_static_selectorELNS0_4arch9wavefront6targetE1EEEvT1_ ; -- Begin function _ZN7rocprim17ROCPRIM_400000_NS6detail17trampoline_kernelINS0_14default_configENS1_25transform_config_selectorIlLb0EEEZNS1_14transform_implILb0ES3_S5_NS0_18transform_iteratorINS0_17counting_iteratorImlEEZNS1_24adjacent_difference_implIS3_Lb1ELb0EPlSB_ZN2at6native12_GLOBAL__N_124unique_dim_cuda_templateIaEESt5tupleIJNSC_6TensorESH_SH_EERKSH_lbbbEUlllE1_EE10hipError_tPvRmT2_T3_mT4_P12ihipStream_tbEUlmE_lEESB_NS0_8identityIvEEEESM_SP_SQ_mSR_ST_bEUlT_E_NS1_11comp_targetILNS1_3genE5ELNS1_11target_archE942ELNS1_3gpuE9ELNS1_3repE0EEENS1_30default_config_static_selectorELNS0_4arch9wavefront6targetE1EEEvT1_
	.p2align	8
	.type	_ZN7rocprim17ROCPRIM_400000_NS6detail17trampoline_kernelINS0_14default_configENS1_25transform_config_selectorIlLb0EEEZNS1_14transform_implILb0ES3_S5_NS0_18transform_iteratorINS0_17counting_iteratorImlEEZNS1_24adjacent_difference_implIS3_Lb1ELb0EPlSB_ZN2at6native12_GLOBAL__N_124unique_dim_cuda_templateIaEESt5tupleIJNSC_6TensorESH_SH_EERKSH_lbbbEUlllE1_EE10hipError_tPvRmT2_T3_mT4_P12ihipStream_tbEUlmE_lEESB_NS0_8identityIvEEEESM_SP_SQ_mSR_ST_bEUlT_E_NS1_11comp_targetILNS1_3genE5ELNS1_11target_archE942ELNS1_3gpuE9ELNS1_3repE0EEENS1_30default_config_static_selectorELNS0_4arch9wavefront6targetE1EEEvT1_,@function
_ZN7rocprim17ROCPRIM_400000_NS6detail17trampoline_kernelINS0_14default_configENS1_25transform_config_selectorIlLb0EEEZNS1_14transform_implILb0ES3_S5_NS0_18transform_iteratorINS0_17counting_iteratorImlEEZNS1_24adjacent_difference_implIS3_Lb1ELb0EPlSB_ZN2at6native12_GLOBAL__N_124unique_dim_cuda_templateIaEESt5tupleIJNSC_6TensorESH_SH_EERKSH_lbbbEUlllE1_EE10hipError_tPvRmT2_T3_mT4_P12ihipStream_tbEUlmE_lEESB_NS0_8identityIvEEEESM_SP_SQ_mSR_ST_bEUlT_E_NS1_11comp_targetILNS1_3genE5ELNS1_11target_archE942ELNS1_3gpuE9ELNS1_3repE0EEENS1_30default_config_static_selectorELNS0_4arch9wavefront6targetE1EEEvT1_: ; @_ZN7rocprim17ROCPRIM_400000_NS6detail17trampoline_kernelINS0_14default_configENS1_25transform_config_selectorIlLb0EEEZNS1_14transform_implILb0ES3_S5_NS0_18transform_iteratorINS0_17counting_iteratorImlEEZNS1_24adjacent_difference_implIS3_Lb1ELb0EPlSB_ZN2at6native12_GLOBAL__N_124unique_dim_cuda_templateIaEESt5tupleIJNSC_6TensorESH_SH_EERKSH_lbbbEUlllE1_EE10hipError_tPvRmT2_T3_mT4_P12ihipStream_tbEUlmE_lEESB_NS0_8identityIvEEEESM_SP_SQ_mSR_ST_bEUlT_E_NS1_11comp_targetILNS1_3genE5ELNS1_11target_archE942ELNS1_3gpuE9ELNS1_3repE0EEENS1_30default_config_static_selectorELNS0_4arch9wavefront6targetE1EEEvT1_
; %bb.0:
	.section	.rodata,"a",@progbits
	.p2align	6, 0x0
	.amdhsa_kernel _ZN7rocprim17ROCPRIM_400000_NS6detail17trampoline_kernelINS0_14default_configENS1_25transform_config_selectorIlLb0EEEZNS1_14transform_implILb0ES3_S5_NS0_18transform_iteratorINS0_17counting_iteratorImlEEZNS1_24adjacent_difference_implIS3_Lb1ELb0EPlSB_ZN2at6native12_GLOBAL__N_124unique_dim_cuda_templateIaEESt5tupleIJNSC_6TensorESH_SH_EERKSH_lbbbEUlllE1_EE10hipError_tPvRmT2_T3_mT4_P12ihipStream_tbEUlmE_lEESB_NS0_8identityIvEEEESM_SP_SQ_mSR_ST_bEUlT_E_NS1_11comp_targetILNS1_3genE5ELNS1_11target_archE942ELNS1_3gpuE9ELNS1_3repE0EEENS1_30default_config_static_selectorELNS0_4arch9wavefront6targetE1EEEvT1_
		.amdhsa_group_segment_fixed_size 0
		.amdhsa_private_segment_fixed_size 0
		.amdhsa_kernarg_size 56
		.amdhsa_user_sgpr_count 6
		.amdhsa_user_sgpr_private_segment_buffer 1
		.amdhsa_user_sgpr_dispatch_ptr 0
		.amdhsa_user_sgpr_queue_ptr 0
		.amdhsa_user_sgpr_kernarg_segment_ptr 1
		.amdhsa_user_sgpr_dispatch_id 0
		.amdhsa_user_sgpr_flat_scratch_init 0
		.amdhsa_user_sgpr_kernarg_preload_length 0
		.amdhsa_user_sgpr_kernarg_preload_offset 0
		.amdhsa_user_sgpr_private_segment_size 0
		.amdhsa_uses_dynamic_stack 0
		.amdhsa_system_sgpr_private_segment_wavefront_offset 0
		.amdhsa_system_sgpr_workgroup_id_x 1
		.amdhsa_system_sgpr_workgroup_id_y 0
		.amdhsa_system_sgpr_workgroup_id_z 0
		.amdhsa_system_sgpr_workgroup_info 0
		.amdhsa_system_vgpr_workitem_id 0
		.amdhsa_next_free_vgpr 1
		.amdhsa_next_free_sgpr 0
		.amdhsa_accum_offset 4
		.amdhsa_reserve_vcc 0
		.amdhsa_reserve_flat_scratch 0
		.amdhsa_float_round_mode_32 0
		.amdhsa_float_round_mode_16_64 0
		.amdhsa_float_denorm_mode_32 3
		.amdhsa_float_denorm_mode_16_64 3
		.amdhsa_dx10_clamp 1
		.amdhsa_ieee_mode 1
		.amdhsa_fp16_overflow 0
		.amdhsa_tg_split 0
		.amdhsa_exception_fp_ieee_invalid_op 0
		.amdhsa_exception_fp_denorm_src 0
		.amdhsa_exception_fp_ieee_div_zero 0
		.amdhsa_exception_fp_ieee_overflow 0
		.amdhsa_exception_fp_ieee_underflow 0
		.amdhsa_exception_fp_ieee_inexact 0
		.amdhsa_exception_int_div_zero 0
	.end_amdhsa_kernel
	.section	.text._ZN7rocprim17ROCPRIM_400000_NS6detail17trampoline_kernelINS0_14default_configENS1_25transform_config_selectorIlLb0EEEZNS1_14transform_implILb0ES3_S5_NS0_18transform_iteratorINS0_17counting_iteratorImlEEZNS1_24adjacent_difference_implIS3_Lb1ELb0EPlSB_ZN2at6native12_GLOBAL__N_124unique_dim_cuda_templateIaEESt5tupleIJNSC_6TensorESH_SH_EERKSH_lbbbEUlllE1_EE10hipError_tPvRmT2_T3_mT4_P12ihipStream_tbEUlmE_lEESB_NS0_8identityIvEEEESM_SP_SQ_mSR_ST_bEUlT_E_NS1_11comp_targetILNS1_3genE5ELNS1_11target_archE942ELNS1_3gpuE9ELNS1_3repE0EEENS1_30default_config_static_selectorELNS0_4arch9wavefront6targetE1EEEvT1_,"axG",@progbits,_ZN7rocprim17ROCPRIM_400000_NS6detail17trampoline_kernelINS0_14default_configENS1_25transform_config_selectorIlLb0EEEZNS1_14transform_implILb0ES3_S5_NS0_18transform_iteratorINS0_17counting_iteratorImlEEZNS1_24adjacent_difference_implIS3_Lb1ELb0EPlSB_ZN2at6native12_GLOBAL__N_124unique_dim_cuda_templateIaEESt5tupleIJNSC_6TensorESH_SH_EERKSH_lbbbEUlllE1_EE10hipError_tPvRmT2_T3_mT4_P12ihipStream_tbEUlmE_lEESB_NS0_8identityIvEEEESM_SP_SQ_mSR_ST_bEUlT_E_NS1_11comp_targetILNS1_3genE5ELNS1_11target_archE942ELNS1_3gpuE9ELNS1_3repE0EEENS1_30default_config_static_selectorELNS0_4arch9wavefront6targetE1EEEvT1_,comdat
.Lfunc_end303:
	.size	_ZN7rocprim17ROCPRIM_400000_NS6detail17trampoline_kernelINS0_14default_configENS1_25transform_config_selectorIlLb0EEEZNS1_14transform_implILb0ES3_S5_NS0_18transform_iteratorINS0_17counting_iteratorImlEEZNS1_24adjacent_difference_implIS3_Lb1ELb0EPlSB_ZN2at6native12_GLOBAL__N_124unique_dim_cuda_templateIaEESt5tupleIJNSC_6TensorESH_SH_EERKSH_lbbbEUlllE1_EE10hipError_tPvRmT2_T3_mT4_P12ihipStream_tbEUlmE_lEESB_NS0_8identityIvEEEESM_SP_SQ_mSR_ST_bEUlT_E_NS1_11comp_targetILNS1_3genE5ELNS1_11target_archE942ELNS1_3gpuE9ELNS1_3repE0EEENS1_30default_config_static_selectorELNS0_4arch9wavefront6targetE1EEEvT1_, .Lfunc_end303-_ZN7rocprim17ROCPRIM_400000_NS6detail17trampoline_kernelINS0_14default_configENS1_25transform_config_selectorIlLb0EEEZNS1_14transform_implILb0ES3_S5_NS0_18transform_iteratorINS0_17counting_iteratorImlEEZNS1_24adjacent_difference_implIS3_Lb1ELb0EPlSB_ZN2at6native12_GLOBAL__N_124unique_dim_cuda_templateIaEESt5tupleIJNSC_6TensorESH_SH_EERKSH_lbbbEUlllE1_EE10hipError_tPvRmT2_T3_mT4_P12ihipStream_tbEUlmE_lEESB_NS0_8identityIvEEEESM_SP_SQ_mSR_ST_bEUlT_E_NS1_11comp_targetILNS1_3genE5ELNS1_11target_archE942ELNS1_3gpuE9ELNS1_3repE0EEENS1_30default_config_static_selectorELNS0_4arch9wavefront6targetE1EEEvT1_
                                        ; -- End function
	.section	.AMDGPU.csdata,"",@progbits
; Kernel info:
; codeLenInByte = 0
; NumSgprs: 4
; NumVgprs: 0
; NumAgprs: 0
; TotalNumVgprs: 0
; ScratchSize: 0
; MemoryBound: 0
; FloatMode: 240
; IeeeMode: 1
; LDSByteSize: 0 bytes/workgroup (compile time only)
; SGPRBlocks: 0
; VGPRBlocks: 0
; NumSGPRsForWavesPerEU: 4
; NumVGPRsForWavesPerEU: 1
; AccumOffset: 4
; Occupancy: 8
; WaveLimiterHint : 0
; COMPUTE_PGM_RSRC2:SCRATCH_EN: 0
; COMPUTE_PGM_RSRC2:USER_SGPR: 6
; COMPUTE_PGM_RSRC2:TRAP_HANDLER: 0
; COMPUTE_PGM_RSRC2:TGID_X_EN: 1
; COMPUTE_PGM_RSRC2:TGID_Y_EN: 0
; COMPUTE_PGM_RSRC2:TGID_Z_EN: 0
; COMPUTE_PGM_RSRC2:TIDIG_COMP_CNT: 0
; COMPUTE_PGM_RSRC3_GFX90A:ACCUM_OFFSET: 0
; COMPUTE_PGM_RSRC3_GFX90A:TG_SPLIT: 0
	.section	.text._ZN7rocprim17ROCPRIM_400000_NS6detail17trampoline_kernelINS0_14default_configENS1_25transform_config_selectorIlLb0EEEZNS1_14transform_implILb0ES3_S5_NS0_18transform_iteratorINS0_17counting_iteratorImlEEZNS1_24adjacent_difference_implIS3_Lb1ELb0EPlSB_ZN2at6native12_GLOBAL__N_124unique_dim_cuda_templateIaEESt5tupleIJNSC_6TensorESH_SH_EERKSH_lbbbEUlllE1_EE10hipError_tPvRmT2_T3_mT4_P12ihipStream_tbEUlmE_lEESB_NS0_8identityIvEEEESM_SP_SQ_mSR_ST_bEUlT_E_NS1_11comp_targetILNS1_3genE4ELNS1_11target_archE910ELNS1_3gpuE8ELNS1_3repE0EEENS1_30default_config_static_selectorELNS0_4arch9wavefront6targetE1EEEvT1_,"axG",@progbits,_ZN7rocprim17ROCPRIM_400000_NS6detail17trampoline_kernelINS0_14default_configENS1_25transform_config_selectorIlLb0EEEZNS1_14transform_implILb0ES3_S5_NS0_18transform_iteratorINS0_17counting_iteratorImlEEZNS1_24adjacent_difference_implIS3_Lb1ELb0EPlSB_ZN2at6native12_GLOBAL__N_124unique_dim_cuda_templateIaEESt5tupleIJNSC_6TensorESH_SH_EERKSH_lbbbEUlllE1_EE10hipError_tPvRmT2_T3_mT4_P12ihipStream_tbEUlmE_lEESB_NS0_8identityIvEEEESM_SP_SQ_mSR_ST_bEUlT_E_NS1_11comp_targetILNS1_3genE4ELNS1_11target_archE910ELNS1_3gpuE8ELNS1_3repE0EEENS1_30default_config_static_selectorELNS0_4arch9wavefront6targetE1EEEvT1_,comdat
	.globl	_ZN7rocprim17ROCPRIM_400000_NS6detail17trampoline_kernelINS0_14default_configENS1_25transform_config_selectorIlLb0EEEZNS1_14transform_implILb0ES3_S5_NS0_18transform_iteratorINS0_17counting_iteratorImlEEZNS1_24adjacent_difference_implIS3_Lb1ELb0EPlSB_ZN2at6native12_GLOBAL__N_124unique_dim_cuda_templateIaEESt5tupleIJNSC_6TensorESH_SH_EERKSH_lbbbEUlllE1_EE10hipError_tPvRmT2_T3_mT4_P12ihipStream_tbEUlmE_lEESB_NS0_8identityIvEEEESM_SP_SQ_mSR_ST_bEUlT_E_NS1_11comp_targetILNS1_3genE4ELNS1_11target_archE910ELNS1_3gpuE8ELNS1_3repE0EEENS1_30default_config_static_selectorELNS0_4arch9wavefront6targetE1EEEvT1_ ; -- Begin function _ZN7rocprim17ROCPRIM_400000_NS6detail17trampoline_kernelINS0_14default_configENS1_25transform_config_selectorIlLb0EEEZNS1_14transform_implILb0ES3_S5_NS0_18transform_iteratorINS0_17counting_iteratorImlEEZNS1_24adjacent_difference_implIS3_Lb1ELb0EPlSB_ZN2at6native12_GLOBAL__N_124unique_dim_cuda_templateIaEESt5tupleIJNSC_6TensorESH_SH_EERKSH_lbbbEUlllE1_EE10hipError_tPvRmT2_T3_mT4_P12ihipStream_tbEUlmE_lEESB_NS0_8identityIvEEEESM_SP_SQ_mSR_ST_bEUlT_E_NS1_11comp_targetILNS1_3genE4ELNS1_11target_archE910ELNS1_3gpuE8ELNS1_3repE0EEENS1_30default_config_static_selectorELNS0_4arch9wavefront6targetE1EEEvT1_
	.p2align	8
	.type	_ZN7rocprim17ROCPRIM_400000_NS6detail17trampoline_kernelINS0_14default_configENS1_25transform_config_selectorIlLb0EEEZNS1_14transform_implILb0ES3_S5_NS0_18transform_iteratorINS0_17counting_iteratorImlEEZNS1_24adjacent_difference_implIS3_Lb1ELb0EPlSB_ZN2at6native12_GLOBAL__N_124unique_dim_cuda_templateIaEESt5tupleIJNSC_6TensorESH_SH_EERKSH_lbbbEUlllE1_EE10hipError_tPvRmT2_T3_mT4_P12ihipStream_tbEUlmE_lEESB_NS0_8identityIvEEEESM_SP_SQ_mSR_ST_bEUlT_E_NS1_11comp_targetILNS1_3genE4ELNS1_11target_archE910ELNS1_3gpuE8ELNS1_3repE0EEENS1_30default_config_static_selectorELNS0_4arch9wavefront6targetE1EEEvT1_,@function
_ZN7rocprim17ROCPRIM_400000_NS6detail17trampoline_kernelINS0_14default_configENS1_25transform_config_selectorIlLb0EEEZNS1_14transform_implILb0ES3_S5_NS0_18transform_iteratorINS0_17counting_iteratorImlEEZNS1_24adjacent_difference_implIS3_Lb1ELb0EPlSB_ZN2at6native12_GLOBAL__N_124unique_dim_cuda_templateIaEESt5tupleIJNSC_6TensorESH_SH_EERKSH_lbbbEUlllE1_EE10hipError_tPvRmT2_T3_mT4_P12ihipStream_tbEUlmE_lEESB_NS0_8identityIvEEEESM_SP_SQ_mSR_ST_bEUlT_E_NS1_11comp_targetILNS1_3genE4ELNS1_11target_archE910ELNS1_3gpuE8ELNS1_3repE0EEENS1_30default_config_static_selectorELNS0_4arch9wavefront6targetE1EEEvT1_: ; @_ZN7rocprim17ROCPRIM_400000_NS6detail17trampoline_kernelINS0_14default_configENS1_25transform_config_selectorIlLb0EEEZNS1_14transform_implILb0ES3_S5_NS0_18transform_iteratorINS0_17counting_iteratorImlEEZNS1_24adjacent_difference_implIS3_Lb1ELb0EPlSB_ZN2at6native12_GLOBAL__N_124unique_dim_cuda_templateIaEESt5tupleIJNSC_6TensorESH_SH_EERKSH_lbbbEUlllE1_EE10hipError_tPvRmT2_T3_mT4_P12ihipStream_tbEUlmE_lEESB_NS0_8identityIvEEEESM_SP_SQ_mSR_ST_bEUlT_E_NS1_11comp_targetILNS1_3genE4ELNS1_11target_archE910ELNS1_3gpuE8ELNS1_3repE0EEENS1_30default_config_static_selectorELNS0_4arch9wavefront6targetE1EEEvT1_
; %bb.0:
	s_load_dwordx4 s[0:3], s[4:5], 0x18
	s_load_dwordx2 s[14:15], s[4:5], 0x28
	s_load_dwordx4 s[8:11], s[4:5], 0x0
	s_load_dword s12, s[4:5], 0x10
	s_waitcnt lgkmcnt(0)
	s_load_dword s3, s[4:5], 0x38
                                        ; kill: killed $sgpr4_sgpr5
	s_lshl_b64 s[4:5], s[0:1], 3
	s_add_u32 s14, s14, s4
	s_addc_u32 s15, s15, s5
	s_lshl_b32 s4, s6, 9
	s_waitcnt lgkmcnt(0)
	s_add_i32 s3, s3, -1
	s_add_u32 s7, s8, s4
	s_addc_u32 s8, s9, 0
	s_add_u32 s16, s7, s0
	s_addc_u32 s17, s8, s1
	s_mov_b32 s5, 0
	s_cmp_lg_u32 s6, s3
	v_lshlrev_b32_e32 v1, 3, v0
	s_cbranch_scc0 .LBB304_2
; %bb.1:
	v_mov_b32_e32 v2, s17
	v_add_co_u32_e32 v3, vcc, s16, v0
	v_addc_co_u32_e32 v5, vcc, 0, v2, vcc
	v_mad_u64_u32 v[2:3], s[0:1], v3, s12, 0
	v_mov_b32_e32 v4, v3
	v_mad_u64_u32 v[4:5], s[0:1], v5, s12, v[4:5]
	v_mov_b32_e32 v3, v4
	v_lshlrev_b64 v[2:3], 3, v[2:3]
	s_mov_b32 s13, s5
	v_mov_b32_e32 v4, s11
	v_add_co_u32_e32 v2, vcc, s10, v2
	v_addc_co_u32_e32 v3, vcc, v4, v3, vcc
	s_lshl_b64 s[0:1], s[12:13], 11
	global_load_dwordx2 v[8:9], v[2:3], off
	v_mov_b32_e32 v4, s1
	v_add_co_u32_e32 v2, vcc, s0, v2
	v_addc_co_u32_e32 v3, vcc, v3, v4, vcc
	global_load_dwordx2 v[4:5], v[2:3], off
	s_lshl_b64 s[6:7], s[4:5], 3
	s_add_u32 s6, s14, s6
	s_addc_u32 s7, s15, s7
	v_mov_b32_e32 v2, s7
	v_add_co_u32_e32 v6, vcc, s6, v1
	v_addc_co_u32_e32 v7, vcc, 0, v2, vcc
	s_waitcnt vmcnt(1)
	global_store_dwordx2 v1, v[8:9], s[6:7]
	s_mov_b64 s[6:7], -1
	s_cbranch_execz .LBB304_3
	s_branch .LBB304_12
.LBB304_2:
	s_mov_b64 s[6:7], 0
                                        ; implicit-def: $vgpr4_vgpr5
                                        ; implicit-def: $vgpr6_vgpr7
.LBB304_3:
	s_sub_i32 s8, s2, s4
	v_cmp_gt_u32_e32 vcc, s8, v0
                                        ; implicit-def: $vgpr2_vgpr3_vgpr4_vgpr5
	s_and_saveexec_b64 s[2:3], vcc
	s_cbranch_execz .LBB304_5
; %bb.4:
	v_mov_b32_e32 v2, s17
	v_add_co_u32_e64 v3, s[0:1], s16, v0
	s_waitcnt vmcnt(1)
	v_addc_co_u32_e64 v5, s[0:1], 0, v2, s[0:1]
	v_mad_u64_u32 v[2:3], s[0:1], v3, s12, 0
	v_mov_b32_e32 v4, v3
	v_mad_u64_u32 v[4:5], s[0:1], v5, s12, v[4:5]
	v_mov_b32_e32 v3, v4
	v_lshlrev_b64 v[2:3], 3, v[2:3]
	v_mov_b32_e32 v4, s11
	v_add_co_u32_e64 v2, s[0:1], s10, v2
	v_addc_co_u32_e64 v3, s[0:1], v4, v3, s[0:1]
	global_load_dwordx2 v[2:3], v[2:3], off
.LBB304_5:
	s_or_b64 exec, exec, s[2:3]
	v_or_b32_e32 v0, 0x100, v0
	v_cmp_gt_u32_e64 s[0:1], s8, v0
	s_and_saveexec_b64 s[8:9], s[0:1]
	s_cbranch_execz .LBB304_7
; %bb.6:
	s_waitcnt vmcnt(1)
	v_mov_b32_e32 v4, s17
	v_add_co_u32_e64 v0, s[2:3], s16, v0
	v_addc_co_u32_e64 v6, s[2:3], 0, v4, s[2:3]
	v_mad_u64_u32 v[4:5], s[2:3], v0, s12, 0
	v_mov_b32_e32 v0, v5
	v_mad_u64_u32 v[6:7], s[2:3], v6, s12, v[0:1]
	v_mov_b32_e32 v5, v6
	v_lshlrev_b64 v[4:5], 3, v[4:5]
	v_mov_b32_e32 v0, s11
	v_add_co_u32_e64 v4, s[2:3], s10, v4
	v_addc_co_u32_e64 v5, s[2:3], v0, v5, s[2:3]
	global_load_dwordx2 v[4:5], v[4:5], off
.LBB304_7:
	s_or_b64 exec, exec, s[8:9]
	s_lshl_b64 s[2:3], s[4:5], 3
	s_add_u32 s2, s14, s2
	s_addc_u32 s3, s15, s3
	v_mov_b32_e32 v0, s3
	v_add_co_u32_e64 v6, s[2:3], s2, v1
	v_addc_co_u32_e64 v7, s[2:3], 0, v0, s[2:3]
	s_and_saveexec_b64 s[2:3], vcc
	s_cbranch_execz .LBB304_9
; %bb.8:
	s_waitcnt vmcnt(0)
	global_store_dwordx2 v[6:7], v[2:3], off
.LBB304_9:
	s_or_b64 exec, exec, s[2:3]
	s_and_saveexec_b64 s[2:3], s[0:1]
; %bb.10:
	s_or_b64 s[6:7], s[6:7], exec
; %bb.11:
	s_or_b64 exec, exec, s[2:3]
.LBB304_12:
	s_and_saveexec_b64 s[0:1], s[6:7]
	s_cbranch_execnz .LBB304_14
; %bb.13:
	s_endpgm
.LBB304_14:
	s_waitcnt vmcnt(0)
	global_store_dwordx2 v[6:7], v[4:5], off offset:2048
	s_endpgm
	.section	.rodata,"a",@progbits
	.p2align	6, 0x0
	.amdhsa_kernel _ZN7rocprim17ROCPRIM_400000_NS6detail17trampoline_kernelINS0_14default_configENS1_25transform_config_selectorIlLb0EEEZNS1_14transform_implILb0ES3_S5_NS0_18transform_iteratorINS0_17counting_iteratorImlEEZNS1_24adjacent_difference_implIS3_Lb1ELb0EPlSB_ZN2at6native12_GLOBAL__N_124unique_dim_cuda_templateIaEESt5tupleIJNSC_6TensorESH_SH_EERKSH_lbbbEUlllE1_EE10hipError_tPvRmT2_T3_mT4_P12ihipStream_tbEUlmE_lEESB_NS0_8identityIvEEEESM_SP_SQ_mSR_ST_bEUlT_E_NS1_11comp_targetILNS1_3genE4ELNS1_11target_archE910ELNS1_3gpuE8ELNS1_3repE0EEENS1_30default_config_static_selectorELNS0_4arch9wavefront6targetE1EEEvT1_
		.amdhsa_group_segment_fixed_size 0
		.amdhsa_private_segment_fixed_size 0
		.amdhsa_kernarg_size 312
		.amdhsa_user_sgpr_count 6
		.amdhsa_user_sgpr_private_segment_buffer 1
		.amdhsa_user_sgpr_dispatch_ptr 0
		.amdhsa_user_sgpr_queue_ptr 0
		.amdhsa_user_sgpr_kernarg_segment_ptr 1
		.amdhsa_user_sgpr_dispatch_id 0
		.amdhsa_user_sgpr_flat_scratch_init 0
		.amdhsa_user_sgpr_kernarg_preload_length 0
		.amdhsa_user_sgpr_kernarg_preload_offset 0
		.amdhsa_user_sgpr_private_segment_size 0
		.amdhsa_uses_dynamic_stack 0
		.amdhsa_system_sgpr_private_segment_wavefront_offset 0
		.amdhsa_system_sgpr_workgroup_id_x 1
		.amdhsa_system_sgpr_workgroup_id_y 0
		.amdhsa_system_sgpr_workgroup_id_z 0
		.amdhsa_system_sgpr_workgroup_info 0
		.amdhsa_system_vgpr_workitem_id 0
		.amdhsa_next_free_vgpr 10
		.amdhsa_next_free_sgpr 18
		.amdhsa_accum_offset 12
		.amdhsa_reserve_vcc 1
		.amdhsa_reserve_flat_scratch 0
		.amdhsa_float_round_mode_32 0
		.amdhsa_float_round_mode_16_64 0
		.amdhsa_float_denorm_mode_32 3
		.amdhsa_float_denorm_mode_16_64 3
		.amdhsa_dx10_clamp 1
		.amdhsa_ieee_mode 1
		.amdhsa_fp16_overflow 0
		.amdhsa_tg_split 0
		.amdhsa_exception_fp_ieee_invalid_op 0
		.amdhsa_exception_fp_denorm_src 0
		.amdhsa_exception_fp_ieee_div_zero 0
		.amdhsa_exception_fp_ieee_overflow 0
		.amdhsa_exception_fp_ieee_underflow 0
		.amdhsa_exception_fp_ieee_inexact 0
		.amdhsa_exception_int_div_zero 0
	.end_amdhsa_kernel
	.section	.text._ZN7rocprim17ROCPRIM_400000_NS6detail17trampoline_kernelINS0_14default_configENS1_25transform_config_selectorIlLb0EEEZNS1_14transform_implILb0ES3_S5_NS0_18transform_iteratorINS0_17counting_iteratorImlEEZNS1_24adjacent_difference_implIS3_Lb1ELb0EPlSB_ZN2at6native12_GLOBAL__N_124unique_dim_cuda_templateIaEESt5tupleIJNSC_6TensorESH_SH_EERKSH_lbbbEUlllE1_EE10hipError_tPvRmT2_T3_mT4_P12ihipStream_tbEUlmE_lEESB_NS0_8identityIvEEEESM_SP_SQ_mSR_ST_bEUlT_E_NS1_11comp_targetILNS1_3genE4ELNS1_11target_archE910ELNS1_3gpuE8ELNS1_3repE0EEENS1_30default_config_static_selectorELNS0_4arch9wavefront6targetE1EEEvT1_,"axG",@progbits,_ZN7rocprim17ROCPRIM_400000_NS6detail17trampoline_kernelINS0_14default_configENS1_25transform_config_selectorIlLb0EEEZNS1_14transform_implILb0ES3_S5_NS0_18transform_iteratorINS0_17counting_iteratorImlEEZNS1_24adjacent_difference_implIS3_Lb1ELb0EPlSB_ZN2at6native12_GLOBAL__N_124unique_dim_cuda_templateIaEESt5tupleIJNSC_6TensorESH_SH_EERKSH_lbbbEUlllE1_EE10hipError_tPvRmT2_T3_mT4_P12ihipStream_tbEUlmE_lEESB_NS0_8identityIvEEEESM_SP_SQ_mSR_ST_bEUlT_E_NS1_11comp_targetILNS1_3genE4ELNS1_11target_archE910ELNS1_3gpuE8ELNS1_3repE0EEENS1_30default_config_static_selectorELNS0_4arch9wavefront6targetE1EEEvT1_,comdat
.Lfunc_end304:
	.size	_ZN7rocprim17ROCPRIM_400000_NS6detail17trampoline_kernelINS0_14default_configENS1_25transform_config_selectorIlLb0EEEZNS1_14transform_implILb0ES3_S5_NS0_18transform_iteratorINS0_17counting_iteratorImlEEZNS1_24adjacent_difference_implIS3_Lb1ELb0EPlSB_ZN2at6native12_GLOBAL__N_124unique_dim_cuda_templateIaEESt5tupleIJNSC_6TensorESH_SH_EERKSH_lbbbEUlllE1_EE10hipError_tPvRmT2_T3_mT4_P12ihipStream_tbEUlmE_lEESB_NS0_8identityIvEEEESM_SP_SQ_mSR_ST_bEUlT_E_NS1_11comp_targetILNS1_3genE4ELNS1_11target_archE910ELNS1_3gpuE8ELNS1_3repE0EEENS1_30default_config_static_selectorELNS0_4arch9wavefront6targetE1EEEvT1_, .Lfunc_end304-_ZN7rocprim17ROCPRIM_400000_NS6detail17trampoline_kernelINS0_14default_configENS1_25transform_config_selectorIlLb0EEEZNS1_14transform_implILb0ES3_S5_NS0_18transform_iteratorINS0_17counting_iteratorImlEEZNS1_24adjacent_difference_implIS3_Lb1ELb0EPlSB_ZN2at6native12_GLOBAL__N_124unique_dim_cuda_templateIaEESt5tupleIJNSC_6TensorESH_SH_EERKSH_lbbbEUlllE1_EE10hipError_tPvRmT2_T3_mT4_P12ihipStream_tbEUlmE_lEESB_NS0_8identityIvEEEESM_SP_SQ_mSR_ST_bEUlT_E_NS1_11comp_targetILNS1_3genE4ELNS1_11target_archE910ELNS1_3gpuE8ELNS1_3repE0EEENS1_30default_config_static_selectorELNS0_4arch9wavefront6targetE1EEEvT1_
                                        ; -- End function
	.section	.AMDGPU.csdata,"",@progbits
; Kernel info:
; codeLenInByte = 556
; NumSgprs: 22
; NumVgprs: 10
; NumAgprs: 0
; TotalNumVgprs: 10
; ScratchSize: 0
; MemoryBound: 0
; FloatMode: 240
; IeeeMode: 1
; LDSByteSize: 0 bytes/workgroup (compile time only)
; SGPRBlocks: 2
; VGPRBlocks: 1
; NumSGPRsForWavesPerEU: 22
; NumVGPRsForWavesPerEU: 10
; AccumOffset: 12
; Occupancy: 8
; WaveLimiterHint : 0
; COMPUTE_PGM_RSRC2:SCRATCH_EN: 0
; COMPUTE_PGM_RSRC2:USER_SGPR: 6
; COMPUTE_PGM_RSRC2:TRAP_HANDLER: 0
; COMPUTE_PGM_RSRC2:TGID_X_EN: 1
; COMPUTE_PGM_RSRC2:TGID_Y_EN: 0
; COMPUTE_PGM_RSRC2:TGID_Z_EN: 0
; COMPUTE_PGM_RSRC2:TIDIG_COMP_CNT: 0
; COMPUTE_PGM_RSRC3_GFX90A:ACCUM_OFFSET: 2
; COMPUTE_PGM_RSRC3_GFX90A:TG_SPLIT: 0
	.section	.text._ZN7rocprim17ROCPRIM_400000_NS6detail17trampoline_kernelINS0_14default_configENS1_25transform_config_selectorIlLb0EEEZNS1_14transform_implILb0ES3_S5_NS0_18transform_iteratorINS0_17counting_iteratorImlEEZNS1_24adjacent_difference_implIS3_Lb1ELb0EPlSB_ZN2at6native12_GLOBAL__N_124unique_dim_cuda_templateIaEESt5tupleIJNSC_6TensorESH_SH_EERKSH_lbbbEUlllE1_EE10hipError_tPvRmT2_T3_mT4_P12ihipStream_tbEUlmE_lEESB_NS0_8identityIvEEEESM_SP_SQ_mSR_ST_bEUlT_E_NS1_11comp_targetILNS1_3genE3ELNS1_11target_archE908ELNS1_3gpuE7ELNS1_3repE0EEENS1_30default_config_static_selectorELNS0_4arch9wavefront6targetE1EEEvT1_,"axG",@progbits,_ZN7rocprim17ROCPRIM_400000_NS6detail17trampoline_kernelINS0_14default_configENS1_25transform_config_selectorIlLb0EEEZNS1_14transform_implILb0ES3_S5_NS0_18transform_iteratorINS0_17counting_iteratorImlEEZNS1_24adjacent_difference_implIS3_Lb1ELb0EPlSB_ZN2at6native12_GLOBAL__N_124unique_dim_cuda_templateIaEESt5tupleIJNSC_6TensorESH_SH_EERKSH_lbbbEUlllE1_EE10hipError_tPvRmT2_T3_mT4_P12ihipStream_tbEUlmE_lEESB_NS0_8identityIvEEEESM_SP_SQ_mSR_ST_bEUlT_E_NS1_11comp_targetILNS1_3genE3ELNS1_11target_archE908ELNS1_3gpuE7ELNS1_3repE0EEENS1_30default_config_static_selectorELNS0_4arch9wavefront6targetE1EEEvT1_,comdat
	.globl	_ZN7rocprim17ROCPRIM_400000_NS6detail17trampoline_kernelINS0_14default_configENS1_25transform_config_selectorIlLb0EEEZNS1_14transform_implILb0ES3_S5_NS0_18transform_iteratorINS0_17counting_iteratorImlEEZNS1_24adjacent_difference_implIS3_Lb1ELb0EPlSB_ZN2at6native12_GLOBAL__N_124unique_dim_cuda_templateIaEESt5tupleIJNSC_6TensorESH_SH_EERKSH_lbbbEUlllE1_EE10hipError_tPvRmT2_T3_mT4_P12ihipStream_tbEUlmE_lEESB_NS0_8identityIvEEEESM_SP_SQ_mSR_ST_bEUlT_E_NS1_11comp_targetILNS1_3genE3ELNS1_11target_archE908ELNS1_3gpuE7ELNS1_3repE0EEENS1_30default_config_static_selectorELNS0_4arch9wavefront6targetE1EEEvT1_ ; -- Begin function _ZN7rocprim17ROCPRIM_400000_NS6detail17trampoline_kernelINS0_14default_configENS1_25transform_config_selectorIlLb0EEEZNS1_14transform_implILb0ES3_S5_NS0_18transform_iteratorINS0_17counting_iteratorImlEEZNS1_24adjacent_difference_implIS3_Lb1ELb0EPlSB_ZN2at6native12_GLOBAL__N_124unique_dim_cuda_templateIaEESt5tupleIJNSC_6TensorESH_SH_EERKSH_lbbbEUlllE1_EE10hipError_tPvRmT2_T3_mT4_P12ihipStream_tbEUlmE_lEESB_NS0_8identityIvEEEESM_SP_SQ_mSR_ST_bEUlT_E_NS1_11comp_targetILNS1_3genE3ELNS1_11target_archE908ELNS1_3gpuE7ELNS1_3repE0EEENS1_30default_config_static_selectorELNS0_4arch9wavefront6targetE1EEEvT1_
	.p2align	8
	.type	_ZN7rocprim17ROCPRIM_400000_NS6detail17trampoline_kernelINS0_14default_configENS1_25transform_config_selectorIlLb0EEEZNS1_14transform_implILb0ES3_S5_NS0_18transform_iteratorINS0_17counting_iteratorImlEEZNS1_24adjacent_difference_implIS3_Lb1ELb0EPlSB_ZN2at6native12_GLOBAL__N_124unique_dim_cuda_templateIaEESt5tupleIJNSC_6TensorESH_SH_EERKSH_lbbbEUlllE1_EE10hipError_tPvRmT2_T3_mT4_P12ihipStream_tbEUlmE_lEESB_NS0_8identityIvEEEESM_SP_SQ_mSR_ST_bEUlT_E_NS1_11comp_targetILNS1_3genE3ELNS1_11target_archE908ELNS1_3gpuE7ELNS1_3repE0EEENS1_30default_config_static_selectorELNS0_4arch9wavefront6targetE1EEEvT1_,@function
_ZN7rocprim17ROCPRIM_400000_NS6detail17trampoline_kernelINS0_14default_configENS1_25transform_config_selectorIlLb0EEEZNS1_14transform_implILb0ES3_S5_NS0_18transform_iteratorINS0_17counting_iteratorImlEEZNS1_24adjacent_difference_implIS3_Lb1ELb0EPlSB_ZN2at6native12_GLOBAL__N_124unique_dim_cuda_templateIaEESt5tupleIJNSC_6TensorESH_SH_EERKSH_lbbbEUlllE1_EE10hipError_tPvRmT2_T3_mT4_P12ihipStream_tbEUlmE_lEESB_NS0_8identityIvEEEESM_SP_SQ_mSR_ST_bEUlT_E_NS1_11comp_targetILNS1_3genE3ELNS1_11target_archE908ELNS1_3gpuE7ELNS1_3repE0EEENS1_30default_config_static_selectorELNS0_4arch9wavefront6targetE1EEEvT1_: ; @_ZN7rocprim17ROCPRIM_400000_NS6detail17trampoline_kernelINS0_14default_configENS1_25transform_config_selectorIlLb0EEEZNS1_14transform_implILb0ES3_S5_NS0_18transform_iteratorINS0_17counting_iteratorImlEEZNS1_24adjacent_difference_implIS3_Lb1ELb0EPlSB_ZN2at6native12_GLOBAL__N_124unique_dim_cuda_templateIaEESt5tupleIJNSC_6TensorESH_SH_EERKSH_lbbbEUlllE1_EE10hipError_tPvRmT2_T3_mT4_P12ihipStream_tbEUlmE_lEESB_NS0_8identityIvEEEESM_SP_SQ_mSR_ST_bEUlT_E_NS1_11comp_targetILNS1_3genE3ELNS1_11target_archE908ELNS1_3gpuE7ELNS1_3repE0EEENS1_30default_config_static_selectorELNS0_4arch9wavefront6targetE1EEEvT1_
; %bb.0:
	.section	.rodata,"a",@progbits
	.p2align	6, 0x0
	.amdhsa_kernel _ZN7rocprim17ROCPRIM_400000_NS6detail17trampoline_kernelINS0_14default_configENS1_25transform_config_selectorIlLb0EEEZNS1_14transform_implILb0ES3_S5_NS0_18transform_iteratorINS0_17counting_iteratorImlEEZNS1_24adjacent_difference_implIS3_Lb1ELb0EPlSB_ZN2at6native12_GLOBAL__N_124unique_dim_cuda_templateIaEESt5tupleIJNSC_6TensorESH_SH_EERKSH_lbbbEUlllE1_EE10hipError_tPvRmT2_T3_mT4_P12ihipStream_tbEUlmE_lEESB_NS0_8identityIvEEEESM_SP_SQ_mSR_ST_bEUlT_E_NS1_11comp_targetILNS1_3genE3ELNS1_11target_archE908ELNS1_3gpuE7ELNS1_3repE0EEENS1_30default_config_static_selectorELNS0_4arch9wavefront6targetE1EEEvT1_
		.amdhsa_group_segment_fixed_size 0
		.amdhsa_private_segment_fixed_size 0
		.amdhsa_kernarg_size 56
		.amdhsa_user_sgpr_count 6
		.amdhsa_user_sgpr_private_segment_buffer 1
		.amdhsa_user_sgpr_dispatch_ptr 0
		.amdhsa_user_sgpr_queue_ptr 0
		.amdhsa_user_sgpr_kernarg_segment_ptr 1
		.amdhsa_user_sgpr_dispatch_id 0
		.amdhsa_user_sgpr_flat_scratch_init 0
		.amdhsa_user_sgpr_kernarg_preload_length 0
		.amdhsa_user_sgpr_kernarg_preload_offset 0
		.amdhsa_user_sgpr_private_segment_size 0
		.amdhsa_uses_dynamic_stack 0
		.amdhsa_system_sgpr_private_segment_wavefront_offset 0
		.amdhsa_system_sgpr_workgroup_id_x 1
		.amdhsa_system_sgpr_workgroup_id_y 0
		.amdhsa_system_sgpr_workgroup_id_z 0
		.amdhsa_system_sgpr_workgroup_info 0
		.amdhsa_system_vgpr_workitem_id 0
		.amdhsa_next_free_vgpr 1
		.amdhsa_next_free_sgpr 0
		.amdhsa_accum_offset 4
		.amdhsa_reserve_vcc 0
		.amdhsa_reserve_flat_scratch 0
		.amdhsa_float_round_mode_32 0
		.amdhsa_float_round_mode_16_64 0
		.amdhsa_float_denorm_mode_32 3
		.amdhsa_float_denorm_mode_16_64 3
		.amdhsa_dx10_clamp 1
		.amdhsa_ieee_mode 1
		.amdhsa_fp16_overflow 0
		.amdhsa_tg_split 0
		.amdhsa_exception_fp_ieee_invalid_op 0
		.amdhsa_exception_fp_denorm_src 0
		.amdhsa_exception_fp_ieee_div_zero 0
		.amdhsa_exception_fp_ieee_overflow 0
		.amdhsa_exception_fp_ieee_underflow 0
		.amdhsa_exception_fp_ieee_inexact 0
		.amdhsa_exception_int_div_zero 0
	.end_amdhsa_kernel
	.section	.text._ZN7rocprim17ROCPRIM_400000_NS6detail17trampoline_kernelINS0_14default_configENS1_25transform_config_selectorIlLb0EEEZNS1_14transform_implILb0ES3_S5_NS0_18transform_iteratorINS0_17counting_iteratorImlEEZNS1_24adjacent_difference_implIS3_Lb1ELb0EPlSB_ZN2at6native12_GLOBAL__N_124unique_dim_cuda_templateIaEESt5tupleIJNSC_6TensorESH_SH_EERKSH_lbbbEUlllE1_EE10hipError_tPvRmT2_T3_mT4_P12ihipStream_tbEUlmE_lEESB_NS0_8identityIvEEEESM_SP_SQ_mSR_ST_bEUlT_E_NS1_11comp_targetILNS1_3genE3ELNS1_11target_archE908ELNS1_3gpuE7ELNS1_3repE0EEENS1_30default_config_static_selectorELNS0_4arch9wavefront6targetE1EEEvT1_,"axG",@progbits,_ZN7rocprim17ROCPRIM_400000_NS6detail17trampoline_kernelINS0_14default_configENS1_25transform_config_selectorIlLb0EEEZNS1_14transform_implILb0ES3_S5_NS0_18transform_iteratorINS0_17counting_iteratorImlEEZNS1_24adjacent_difference_implIS3_Lb1ELb0EPlSB_ZN2at6native12_GLOBAL__N_124unique_dim_cuda_templateIaEESt5tupleIJNSC_6TensorESH_SH_EERKSH_lbbbEUlllE1_EE10hipError_tPvRmT2_T3_mT4_P12ihipStream_tbEUlmE_lEESB_NS0_8identityIvEEEESM_SP_SQ_mSR_ST_bEUlT_E_NS1_11comp_targetILNS1_3genE3ELNS1_11target_archE908ELNS1_3gpuE7ELNS1_3repE0EEENS1_30default_config_static_selectorELNS0_4arch9wavefront6targetE1EEEvT1_,comdat
.Lfunc_end305:
	.size	_ZN7rocprim17ROCPRIM_400000_NS6detail17trampoline_kernelINS0_14default_configENS1_25transform_config_selectorIlLb0EEEZNS1_14transform_implILb0ES3_S5_NS0_18transform_iteratorINS0_17counting_iteratorImlEEZNS1_24adjacent_difference_implIS3_Lb1ELb0EPlSB_ZN2at6native12_GLOBAL__N_124unique_dim_cuda_templateIaEESt5tupleIJNSC_6TensorESH_SH_EERKSH_lbbbEUlllE1_EE10hipError_tPvRmT2_T3_mT4_P12ihipStream_tbEUlmE_lEESB_NS0_8identityIvEEEESM_SP_SQ_mSR_ST_bEUlT_E_NS1_11comp_targetILNS1_3genE3ELNS1_11target_archE908ELNS1_3gpuE7ELNS1_3repE0EEENS1_30default_config_static_selectorELNS0_4arch9wavefront6targetE1EEEvT1_, .Lfunc_end305-_ZN7rocprim17ROCPRIM_400000_NS6detail17trampoline_kernelINS0_14default_configENS1_25transform_config_selectorIlLb0EEEZNS1_14transform_implILb0ES3_S5_NS0_18transform_iteratorINS0_17counting_iteratorImlEEZNS1_24adjacent_difference_implIS3_Lb1ELb0EPlSB_ZN2at6native12_GLOBAL__N_124unique_dim_cuda_templateIaEESt5tupleIJNSC_6TensorESH_SH_EERKSH_lbbbEUlllE1_EE10hipError_tPvRmT2_T3_mT4_P12ihipStream_tbEUlmE_lEESB_NS0_8identityIvEEEESM_SP_SQ_mSR_ST_bEUlT_E_NS1_11comp_targetILNS1_3genE3ELNS1_11target_archE908ELNS1_3gpuE7ELNS1_3repE0EEENS1_30default_config_static_selectorELNS0_4arch9wavefront6targetE1EEEvT1_
                                        ; -- End function
	.section	.AMDGPU.csdata,"",@progbits
; Kernel info:
; codeLenInByte = 0
; NumSgprs: 4
; NumVgprs: 0
; NumAgprs: 0
; TotalNumVgprs: 0
; ScratchSize: 0
; MemoryBound: 0
; FloatMode: 240
; IeeeMode: 1
; LDSByteSize: 0 bytes/workgroup (compile time only)
; SGPRBlocks: 0
; VGPRBlocks: 0
; NumSGPRsForWavesPerEU: 4
; NumVGPRsForWavesPerEU: 1
; AccumOffset: 4
; Occupancy: 8
; WaveLimiterHint : 0
; COMPUTE_PGM_RSRC2:SCRATCH_EN: 0
; COMPUTE_PGM_RSRC2:USER_SGPR: 6
; COMPUTE_PGM_RSRC2:TRAP_HANDLER: 0
; COMPUTE_PGM_RSRC2:TGID_X_EN: 1
; COMPUTE_PGM_RSRC2:TGID_Y_EN: 0
; COMPUTE_PGM_RSRC2:TGID_Z_EN: 0
; COMPUTE_PGM_RSRC2:TIDIG_COMP_CNT: 0
; COMPUTE_PGM_RSRC3_GFX90A:ACCUM_OFFSET: 0
; COMPUTE_PGM_RSRC3_GFX90A:TG_SPLIT: 0
	.section	.text._ZN7rocprim17ROCPRIM_400000_NS6detail17trampoline_kernelINS0_14default_configENS1_25transform_config_selectorIlLb0EEEZNS1_14transform_implILb0ES3_S5_NS0_18transform_iteratorINS0_17counting_iteratorImlEEZNS1_24adjacent_difference_implIS3_Lb1ELb0EPlSB_ZN2at6native12_GLOBAL__N_124unique_dim_cuda_templateIaEESt5tupleIJNSC_6TensorESH_SH_EERKSH_lbbbEUlllE1_EE10hipError_tPvRmT2_T3_mT4_P12ihipStream_tbEUlmE_lEESB_NS0_8identityIvEEEESM_SP_SQ_mSR_ST_bEUlT_E_NS1_11comp_targetILNS1_3genE2ELNS1_11target_archE906ELNS1_3gpuE6ELNS1_3repE0EEENS1_30default_config_static_selectorELNS0_4arch9wavefront6targetE1EEEvT1_,"axG",@progbits,_ZN7rocprim17ROCPRIM_400000_NS6detail17trampoline_kernelINS0_14default_configENS1_25transform_config_selectorIlLb0EEEZNS1_14transform_implILb0ES3_S5_NS0_18transform_iteratorINS0_17counting_iteratorImlEEZNS1_24adjacent_difference_implIS3_Lb1ELb0EPlSB_ZN2at6native12_GLOBAL__N_124unique_dim_cuda_templateIaEESt5tupleIJNSC_6TensorESH_SH_EERKSH_lbbbEUlllE1_EE10hipError_tPvRmT2_T3_mT4_P12ihipStream_tbEUlmE_lEESB_NS0_8identityIvEEEESM_SP_SQ_mSR_ST_bEUlT_E_NS1_11comp_targetILNS1_3genE2ELNS1_11target_archE906ELNS1_3gpuE6ELNS1_3repE0EEENS1_30default_config_static_selectorELNS0_4arch9wavefront6targetE1EEEvT1_,comdat
	.globl	_ZN7rocprim17ROCPRIM_400000_NS6detail17trampoline_kernelINS0_14default_configENS1_25transform_config_selectorIlLb0EEEZNS1_14transform_implILb0ES3_S5_NS0_18transform_iteratorINS0_17counting_iteratorImlEEZNS1_24adjacent_difference_implIS3_Lb1ELb0EPlSB_ZN2at6native12_GLOBAL__N_124unique_dim_cuda_templateIaEESt5tupleIJNSC_6TensorESH_SH_EERKSH_lbbbEUlllE1_EE10hipError_tPvRmT2_T3_mT4_P12ihipStream_tbEUlmE_lEESB_NS0_8identityIvEEEESM_SP_SQ_mSR_ST_bEUlT_E_NS1_11comp_targetILNS1_3genE2ELNS1_11target_archE906ELNS1_3gpuE6ELNS1_3repE0EEENS1_30default_config_static_selectorELNS0_4arch9wavefront6targetE1EEEvT1_ ; -- Begin function _ZN7rocprim17ROCPRIM_400000_NS6detail17trampoline_kernelINS0_14default_configENS1_25transform_config_selectorIlLb0EEEZNS1_14transform_implILb0ES3_S5_NS0_18transform_iteratorINS0_17counting_iteratorImlEEZNS1_24adjacent_difference_implIS3_Lb1ELb0EPlSB_ZN2at6native12_GLOBAL__N_124unique_dim_cuda_templateIaEESt5tupleIJNSC_6TensorESH_SH_EERKSH_lbbbEUlllE1_EE10hipError_tPvRmT2_T3_mT4_P12ihipStream_tbEUlmE_lEESB_NS0_8identityIvEEEESM_SP_SQ_mSR_ST_bEUlT_E_NS1_11comp_targetILNS1_3genE2ELNS1_11target_archE906ELNS1_3gpuE6ELNS1_3repE0EEENS1_30default_config_static_selectorELNS0_4arch9wavefront6targetE1EEEvT1_
	.p2align	8
	.type	_ZN7rocprim17ROCPRIM_400000_NS6detail17trampoline_kernelINS0_14default_configENS1_25transform_config_selectorIlLb0EEEZNS1_14transform_implILb0ES3_S5_NS0_18transform_iteratorINS0_17counting_iteratorImlEEZNS1_24adjacent_difference_implIS3_Lb1ELb0EPlSB_ZN2at6native12_GLOBAL__N_124unique_dim_cuda_templateIaEESt5tupleIJNSC_6TensorESH_SH_EERKSH_lbbbEUlllE1_EE10hipError_tPvRmT2_T3_mT4_P12ihipStream_tbEUlmE_lEESB_NS0_8identityIvEEEESM_SP_SQ_mSR_ST_bEUlT_E_NS1_11comp_targetILNS1_3genE2ELNS1_11target_archE906ELNS1_3gpuE6ELNS1_3repE0EEENS1_30default_config_static_selectorELNS0_4arch9wavefront6targetE1EEEvT1_,@function
_ZN7rocprim17ROCPRIM_400000_NS6detail17trampoline_kernelINS0_14default_configENS1_25transform_config_selectorIlLb0EEEZNS1_14transform_implILb0ES3_S5_NS0_18transform_iteratorINS0_17counting_iteratorImlEEZNS1_24adjacent_difference_implIS3_Lb1ELb0EPlSB_ZN2at6native12_GLOBAL__N_124unique_dim_cuda_templateIaEESt5tupleIJNSC_6TensorESH_SH_EERKSH_lbbbEUlllE1_EE10hipError_tPvRmT2_T3_mT4_P12ihipStream_tbEUlmE_lEESB_NS0_8identityIvEEEESM_SP_SQ_mSR_ST_bEUlT_E_NS1_11comp_targetILNS1_3genE2ELNS1_11target_archE906ELNS1_3gpuE6ELNS1_3repE0EEENS1_30default_config_static_selectorELNS0_4arch9wavefront6targetE1EEEvT1_: ; @_ZN7rocprim17ROCPRIM_400000_NS6detail17trampoline_kernelINS0_14default_configENS1_25transform_config_selectorIlLb0EEEZNS1_14transform_implILb0ES3_S5_NS0_18transform_iteratorINS0_17counting_iteratorImlEEZNS1_24adjacent_difference_implIS3_Lb1ELb0EPlSB_ZN2at6native12_GLOBAL__N_124unique_dim_cuda_templateIaEESt5tupleIJNSC_6TensorESH_SH_EERKSH_lbbbEUlllE1_EE10hipError_tPvRmT2_T3_mT4_P12ihipStream_tbEUlmE_lEESB_NS0_8identityIvEEEESM_SP_SQ_mSR_ST_bEUlT_E_NS1_11comp_targetILNS1_3genE2ELNS1_11target_archE906ELNS1_3gpuE6ELNS1_3repE0EEENS1_30default_config_static_selectorELNS0_4arch9wavefront6targetE1EEEvT1_
; %bb.0:
	.section	.rodata,"a",@progbits
	.p2align	6, 0x0
	.amdhsa_kernel _ZN7rocprim17ROCPRIM_400000_NS6detail17trampoline_kernelINS0_14default_configENS1_25transform_config_selectorIlLb0EEEZNS1_14transform_implILb0ES3_S5_NS0_18transform_iteratorINS0_17counting_iteratorImlEEZNS1_24adjacent_difference_implIS3_Lb1ELb0EPlSB_ZN2at6native12_GLOBAL__N_124unique_dim_cuda_templateIaEESt5tupleIJNSC_6TensorESH_SH_EERKSH_lbbbEUlllE1_EE10hipError_tPvRmT2_T3_mT4_P12ihipStream_tbEUlmE_lEESB_NS0_8identityIvEEEESM_SP_SQ_mSR_ST_bEUlT_E_NS1_11comp_targetILNS1_3genE2ELNS1_11target_archE906ELNS1_3gpuE6ELNS1_3repE0EEENS1_30default_config_static_selectorELNS0_4arch9wavefront6targetE1EEEvT1_
		.amdhsa_group_segment_fixed_size 0
		.amdhsa_private_segment_fixed_size 0
		.amdhsa_kernarg_size 56
		.amdhsa_user_sgpr_count 6
		.amdhsa_user_sgpr_private_segment_buffer 1
		.amdhsa_user_sgpr_dispatch_ptr 0
		.amdhsa_user_sgpr_queue_ptr 0
		.amdhsa_user_sgpr_kernarg_segment_ptr 1
		.amdhsa_user_sgpr_dispatch_id 0
		.amdhsa_user_sgpr_flat_scratch_init 0
		.amdhsa_user_sgpr_kernarg_preload_length 0
		.amdhsa_user_sgpr_kernarg_preload_offset 0
		.amdhsa_user_sgpr_private_segment_size 0
		.amdhsa_uses_dynamic_stack 0
		.amdhsa_system_sgpr_private_segment_wavefront_offset 0
		.amdhsa_system_sgpr_workgroup_id_x 1
		.amdhsa_system_sgpr_workgroup_id_y 0
		.amdhsa_system_sgpr_workgroup_id_z 0
		.amdhsa_system_sgpr_workgroup_info 0
		.amdhsa_system_vgpr_workitem_id 0
		.amdhsa_next_free_vgpr 1
		.amdhsa_next_free_sgpr 0
		.amdhsa_accum_offset 4
		.amdhsa_reserve_vcc 0
		.amdhsa_reserve_flat_scratch 0
		.amdhsa_float_round_mode_32 0
		.amdhsa_float_round_mode_16_64 0
		.amdhsa_float_denorm_mode_32 3
		.amdhsa_float_denorm_mode_16_64 3
		.amdhsa_dx10_clamp 1
		.amdhsa_ieee_mode 1
		.amdhsa_fp16_overflow 0
		.amdhsa_tg_split 0
		.amdhsa_exception_fp_ieee_invalid_op 0
		.amdhsa_exception_fp_denorm_src 0
		.amdhsa_exception_fp_ieee_div_zero 0
		.amdhsa_exception_fp_ieee_overflow 0
		.amdhsa_exception_fp_ieee_underflow 0
		.amdhsa_exception_fp_ieee_inexact 0
		.amdhsa_exception_int_div_zero 0
	.end_amdhsa_kernel
	.section	.text._ZN7rocprim17ROCPRIM_400000_NS6detail17trampoline_kernelINS0_14default_configENS1_25transform_config_selectorIlLb0EEEZNS1_14transform_implILb0ES3_S5_NS0_18transform_iteratorINS0_17counting_iteratorImlEEZNS1_24adjacent_difference_implIS3_Lb1ELb0EPlSB_ZN2at6native12_GLOBAL__N_124unique_dim_cuda_templateIaEESt5tupleIJNSC_6TensorESH_SH_EERKSH_lbbbEUlllE1_EE10hipError_tPvRmT2_T3_mT4_P12ihipStream_tbEUlmE_lEESB_NS0_8identityIvEEEESM_SP_SQ_mSR_ST_bEUlT_E_NS1_11comp_targetILNS1_3genE2ELNS1_11target_archE906ELNS1_3gpuE6ELNS1_3repE0EEENS1_30default_config_static_selectorELNS0_4arch9wavefront6targetE1EEEvT1_,"axG",@progbits,_ZN7rocprim17ROCPRIM_400000_NS6detail17trampoline_kernelINS0_14default_configENS1_25transform_config_selectorIlLb0EEEZNS1_14transform_implILb0ES3_S5_NS0_18transform_iteratorINS0_17counting_iteratorImlEEZNS1_24adjacent_difference_implIS3_Lb1ELb0EPlSB_ZN2at6native12_GLOBAL__N_124unique_dim_cuda_templateIaEESt5tupleIJNSC_6TensorESH_SH_EERKSH_lbbbEUlllE1_EE10hipError_tPvRmT2_T3_mT4_P12ihipStream_tbEUlmE_lEESB_NS0_8identityIvEEEESM_SP_SQ_mSR_ST_bEUlT_E_NS1_11comp_targetILNS1_3genE2ELNS1_11target_archE906ELNS1_3gpuE6ELNS1_3repE0EEENS1_30default_config_static_selectorELNS0_4arch9wavefront6targetE1EEEvT1_,comdat
.Lfunc_end306:
	.size	_ZN7rocprim17ROCPRIM_400000_NS6detail17trampoline_kernelINS0_14default_configENS1_25transform_config_selectorIlLb0EEEZNS1_14transform_implILb0ES3_S5_NS0_18transform_iteratorINS0_17counting_iteratorImlEEZNS1_24adjacent_difference_implIS3_Lb1ELb0EPlSB_ZN2at6native12_GLOBAL__N_124unique_dim_cuda_templateIaEESt5tupleIJNSC_6TensorESH_SH_EERKSH_lbbbEUlllE1_EE10hipError_tPvRmT2_T3_mT4_P12ihipStream_tbEUlmE_lEESB_NS0_8identityIvEEEESM_SP_SQ_mSR_ST_bEUlT_E_NS1_11comp_targetILNS1_3genE2ELNS1_11target_archE906ELNS1_3gpuE6ELNS1_3repE0EEENS1_30default_config_static_selectorELNS0_4arch9wavefront6targetE1EEEvT1_, .Lfunc_end306-_ZN7rocprim17ROCPRIM_400000_NS6detail17trampoline_kernelINS0_14default_configENS1_25transform_config_selectorIlLb0EEEZNS1_14transform_implILb0ES3_S5_NS0_18transform_iteratorINS0_17counting_iteratorImlEEZNS1_24adjacent_difference_implIS3_Lb1ELb0EPlSB_ZN2at6native12_GLOBAL__N_124unique_dim_cuda_templateIaEESt5tupleIJNSC_6TensorESH_SH_EERKSH_lbbbEUlllE1_EE10hipError_tPvRmT2_T3_mT4_P12ihipStream_tbEUlmE_lEESB_NS0_8identityIvEEEESM_SP_SQ_mSR_ST_bEUlT_E_NS1_11comp_targetILNS1_3genE2ELNS1_11target_archE906ELNS1_3gpuE6ELNS1_3repE0EEENS1_30default_config_static_selectorELNS0_4arch9wavefront6targetE1EEEvT1_
                                        ; -- End function
	.section	.AMDGPU.csdata,"",@progbits
; Kernel info:
; codeLenInByte = 0
; NumSgprs: 4
; NumVgprs: 0
; NumAgprs: 0
; TotalNumVgprs: 0
; ScratchSize: 0
; MemoryBound: 0
; FloatMode: 240
; IeeeMode: 1
; LDSByteSize: 0 bytes/workgroup (compile time only)
; SGPRBlocks: 0
; VGPRBlocks: 0
; NumSGPRsForWavesPerEU: 4
; NumVGPRsForWavesPerEU: 1
; AccumOffset: 4
; Occupancy: 8
; WaveLimiterHint : 0
; COMPUTE_PGM_RSRC2:SCRATCH_EN: 0
; COMPUTE_PGM_RSRC2:USER_SGPR: 6
; COMPUTE_PGM_RSRC2:TRAP_HANDLER: 0
; COMPUTE_PGM_RSRC2:TGID_X_EN: 1
; COMPUTE_PGM_RSRC2:TGID_Y_EN: 0
; COMPUTE_PGM_RSRC2:TGID_Z_EN: 0
; COMPUTE_PGM_RSRC2:TIDIG_COMP_CNT: 0
; COMPUTE_PGM_RSRC3_GFX90A:ACCUM_OFFSET: 0
; COMPUTE_PGM_RSRC3_GFX90A:TG_SPLIT: 0
	.section	.text._ZN7rocprim17ROCPRIM_400000_NS6detail17trampoline_kernelINS0_14default_configENS1_25transform_config_selectorIlLb0EEEZNS1_14transform_implILb0ES3_S5_NS0_18transform_iteratorINS0_17counting_iteratorImlEEZNS1_24adjacent_difference_implIS3_Lb1ELb0EPlSB_ZN2at6native12_GLOBAL__N_124unique_dim_cuda_templateIaEESt5tupleIJNSC_6TensorESH_SH_EERKSH_lbbbEUlllE1_EE10hipError_tPvRmT2_T3_mT4_P12ihipStream_tbEUlmE_lEESB_NS0_8identityIvEEEESM_SP_SQ_mSR_ST_bEUlT_E_NS1_11comp_targetILNS1_3genE10ELNS1_11target_archE1201ELNS1_3gpuE5ELNS1_3repE0EEENS1_30default_config_static_selectorELNS0_4arch9wavefront6targetE1EEEvT1_,"axG",@progbits,_ZN7rocprim17ROCPRIM_400000_NS6detail17trampoline_kernelINS0_14default_configENS1_25transform_config_selectorIlLb0EEEZNS1_14transform_implILb0ES3_S5_NS0_18transform_iteratorINS0_17counting_iteratorImlEEZNS1_24adjacent_difference_implIS3_Lb1ELb0EPlSB_ZN2at6native12_GLOBAL__N_124unique_dim_cuda_templateIaEESt5tupleIJNSC_6TensorESH_SH_EERKSH_lbbbEUlllE1_EE10hipError_tPvRmT2_T3_mT4_P12ihipStream_tbEUlmE_lEESB_NS0_8identityIvEEEESM_SP_SQ_mSR_ST_bEUlT_E_NS1_11comp_targetILNS1_3genE10ELNS1_11target_archE1201ELNS1_3gpuE5ELNS1_3repE0EEENS1_30default_config_static_selectorELNS0_4arch9wavefront6targetE1EEEvT1_,comdat
	.globl	_ZN7rocprim17ROCPRIM_400000_NS6detail17trampoline_kernelINS0_14default_configENS1_25transform_config_selectorIlLb0EEEZNS1_14transform_implILb0ES3_S5_NS0_18transform_iteratorINS0_17counting_iteratorImlEEZNS1_24adjacent_difference_implIS3_Lb1ELb0EPlSB_ZN2at6native12_GLOBAL__N_124unique_dim_cuda_templateIaEESt5tupleIJNSC_6TensorESH_SH_EERKSH_lbbbEUlllE1_EE10hipError_tPvRmT2_T3_mT4_P12ihipStream_tbEUlmE_lEESB_NS0_8identityIvEEEESM_SP_SQ_mSR_ST_bEUlT_E_NS1_11comp_targetILNS1_3genE10ELNS1_11target_archE1201ELNS1_3gpuE5ELNS1_3repE0EEENS1_30default_config_static_selectorELNS0_4arch9wavefront6targetE1EEEvT1_ ; -- Begin function _ZN7rocprim17ROCPRIM_400000_NS6detail17trampoline_kernelINS0_14default_configENS1_25transform_config_selectorIlLb0EEEZNS1_14transform_implILb0ES3_S5_NS0_18transform_iteratorINS0_17counting_iteratorImlEEZNS1_24adjacent_difference_implIS3_Lb1ELb0EPlSB_ZN2at6native12_GLOBAL__N_124unique_dim_cuda_templateIaEESt5tupleIJNSC_6TensorESH_SH_EERKSH_lbbbEUlllE1_EE10hipError_tPvRmT2_T3_mT4_P12ihipStream_tbEUlmE_lEESB_NS0_8identityIvEEEESM_SP_SQ_mSR_ST_bEUlT_E_NS1_11comp_targetILNS1_3genE10ELNS1_11target_archE1201ELNS1_3gpuE5ELNS1_3repE0EEENS1_30default_config_static_selectorELNS0_4arch9wavefront6targetE1EEEvT1_
	.p2align	8
	.type	_ZN7rocprim17ROCPRIM_400000_NS6detail17trampoline_kernelINS0_14default_configENS1_25transform_config_selectorIlLb0EEEZNS1_14transform_implILb0ES3_S5_NS0_18transform_iteratorINS0_17counting_iteratorImlEEZNS1_24adjacent_difference_implIS3_Lb1ELb0EPlSB_ZN2at6native12_GLOBAL__N_124unique_dim_cuda_templateIaEESt5tupleIJNSC_6TensorESH_SH_EERKSH_lbbbEUlllE1_EE10hipError_tPvRmT2_T3_mT4_P12ihipStream_tbEUlmE_lEESB_NS0_8identityIvEEEESM_SP_SQ_mSR_ST_bEUlT_E_NS1_11comp_targetILNS1_3genE10ELNS1_11target_archE1201ELNS1_3gpuE5ELNS1_3repE0EEENS1_30default_config_static_selectorELNS0_4arch9wavefront6targetE1EEEvT1_,@function
_ZN7rocprim17ROCPRIM_400000_NS6detail17trampoline_kernelINS0_14default_configENS1_25transform_config_selectorIlLb0EEEZNS1_14transform_implILb0ES3_S5_NS0_18transform_iteratorINS0_17counting_iteratorImlEEZNS1_24adjacent_difference_implIS3_Lb1ELb0EPlSB_ZN2at6native12_GLOBAL__N_124unique_dim_cuda_templateIaEESt5tupleIJNSC_6TensorESH_SH_EERKSH_lbbbEUlllE1_EE10hipError_tPvRmT2_T3_mT4_P12ihipStream_tbEUlmE_lEESB_NS0_8identityIvEEEESM_SP_SQ_mSR_ST_bEUlT_E_NS1_11comp_targetILNS1_3genE10ELNS1_11target_archE1201ELNS1_3gpuE5ELNS1_3repE0EEENS1_30default_config_static_selectorELNS0_4arch9wavefront6targetE1EEEvT1_: ; @_ZN7rocprim17ROCPRIM_400000_NS6detail17trampoline_kernelINS0_14default_configENS1_25transform_config_selectorIlLb0EEEZNS1_14transform_implILb0ES3_S5_NS0_18transform_iteratorINS0_17counting_iteratorImlEEZNS1_24adjacent_difference_implIS3_Lb1ELb0EPlSB_ZN2at6native12_GLOBAL__N_124unique_dim_cuda_templateIaEESt5tupleIJNSC_6TensorESH_SH_EERKSH_lbbbEUlllE1_EE10hipError_tPvRmT2_T3_mT4_P12ihipStream_tbEUlmE_lEESB_NS0_8identityIvEEEESM_SP_SQ_mSR_ST_bEUlT_E_NS1_11comp_targetILNS1_3genE10ELNS1_11target_archE1201ELNS1_3gpuE5ELNS1_3repE0EEENS1_30default_config_static_selectorELNS0_4arch9wavefront6targetE1EEEvT1_
; %bb.0:
	.section	.rodata,"a",@progbits
	.p2align	6, 0x0
	.amdhsa_kernel _ZN7rocprim17ROCPRIM_400000_NS6detail17trampoline_kernelINS0_14default_configENS1_25transform_config_selectorIlLb0EEEZNS1_14transform_implILb0ES3_S5_NS0_18transform_iteratorINS0_17counting_iteratorImlEEZNS1_24adjacent_difference_implIS3_Lb1ELb0EPlSB_ZN2at6native12_GLOBAL__N_124unique_dim_cuda_templateIaEESt5tupleIJNSC_6TensorESH_SH_EERKSH_lbbbEUlllE1_EE10hipError_tPvRmT2_T3_mT4_P12ihipStream_tbEUlmE_lEESB_NS0_8identityIvEEEESM_SP_SQ_mSR_ST_bEUlT_E_NS1_11comp_targetILNS1_3genE10ELNS1_11target_archE1201ELNS1_3gpuE5ELNS1_3repE0EEENS1_30default_config_static_selectorELNS0_4arch9wavefront6targetE1EEEvT1_
		.amdhsa_group_segment_fixed_size 0
		.amdhsa_private_segment_fixed_size 0
		.amdhsa_kernarg_size 56
		.amdhsa_user_sgpr_count 6
		.amdhsa_user_sgpr_private_segment_buffer 1
		.amdhsa_user_sgpr_dispatch_ptr 0
		.amdhsa_user_sgpr_queue_ptr 0
		.amdhsa_user_sgpr_kernarg_segment_ptr 1
		.amdhsa_user_sgpr_dispatch_id 0
		.amdhsa_user_sgpr_flat_scratch_init 0
		.amdhsa_user_sgpr_kernarg_preload_length 0
		.amdhsa_user_sgpr_kernarg_preload_offset 0
		.amdhsa_user_sgpr_private_segment_size 0
		.amdhsa_uses_dynamic_stack 0
		.amdhsa_system_sgpr_private_segment_wavefront_offset 0
		.amdhsa_system_sgpr_workgroup_id_x 1
		.amdhsa_system_sgpr_workgroup_id_y 0
		.amdhsa_system_sgpr_workgroup_id_z 0
		.amdhsa_system_sgpr_workgroup_info 0
		.amdhsa_system_vgpr_workitem_id 0
		.amdhsa_next_free_vgpr 1
		.amdhsa_next_free_sgpr 0
		.amdhsa_accum_offset 4
		.amdhsa_reserve_vcc 0
		.amdhsa_reserve_flat_scratch 0
		.amdhsa_float_round_mode_32 0
		.amdhsa_float_round_mode_16_64 0
		.amdhsa_float_denorm_mode_32 3
		.amdhsa_float_denorm_mode_16_64 3
		.amdhsa_dx10_clamp 1
		.amdhsa_ieee_mode 1
		.amdhsa_fp16_overflow 0
		.amdhsa_tg_split 0
		.amdhsa_exception_fp_ieee_invalid_op 0
		.amdhsa_exception_fp_denorm_src 0
		.amdhsa_exception_fp_ieee_div_zero 0
		.amdhsa_exception_fp_ieee_overflow 0
		.amdhsa_exception_fp_ieee_underflow 0
		.amdhsa_exception_fp_ieee_inexact 0
		.amdhsa_exception_int_div_zero 0
	.end_amdhsa_kernel
	.section	.text._ZN7rocprim17ROCPRIM_400000_NS6detail17trampoline_kernelINS0_14default_configENS1_25transform_config_selectorIlLb0EEEZNS1_14transform_implILb0ES3_S5_NS0_18transform_iteratorINS0_17counting_iteratorImlEEZNS1_24adjacent_difference_implIS3_Lb1ELb0EPlSB_ZN2at6native12_GLOBAL__N_124unique_dim_cuda_templateIaEESt5tupleIJNSC_6TensorESH_SH_EERKSH_lbbbEUlllE1_EE10hipError_tPvRmT2_T3_mT4_P12ihipStream_tbEUlmE_lEESB_NS0_8identityIvEEEESM_SP_SQ_mSR_ST_bEUlT_E_NS1_11comp_targetILNS1_3genE10ELNS1_11target_archE1201ELNS1_3gpuE5ELNS1_3repE0EEENS1_30default_config_static_selectorELNS0_4arch9wavefront6targetE1EEEvT1_,"axG",@progbits,_ZN7rocprim17ROCPRIM_400000_NS6detail17trampoline_kernelINS0_14default_configENS1_25transform_config_selectorIlLb0EEEZNS1_14transform_implILb0ES3_S5_NS0_18transform_iteratorINS0_17counting_iteratorImlEEZNS1_24adjacent_difference_implIS3_Lb1ELb0EPlSB_ZN2at6native12_GLOBAL__N_124unique_dim_cuda_templateIaEESt5tupleIJNSC_6TensorESH_SH_EERKSH_lbbbEUlllE1_EE10hipError_tPvRmT2_T3_mT4_P12ihipStream_tbEUlmE_lEESB_NS0_8identityIvEEEESM_SP_SQ_mSR_ST_bEUlT_E_NS1_11comp_targetILNS1_3genE10ELNS1_11target_archE1201ELNS1_3gpuE5ELNS1_3repE0EEENS1_30default_config_static_selectorELNS0_4arch9wavefront6targetE1EEEvT1_,comdat
.Lfunc_end307:
	.size	_ZN7rocprim17ROCPRIM_400000_NS6detail17trampoline_kernelINS0_14default_configENS1_25transform_config_selectorIlLb0EEEZNS1_14transform_implILb0ES3_S5_NS0_18transform_iteratorINS0_17counting_iteratorImlEEZNS1_24adjacent_difference_implIS3_Lb1ELb0EPlSB_ZN2at6native12_GLOBAL__N_124unique_dim_cuda_templateIaEESt5tupleIJNSC_6TensorESH_SH_EERKSH_lbbbEUlllE1_EE10hipError_tPvRmT2_T3_mT4_P12ihipStream_tbEUlmE_lEESB_NS0_8identityIvEEEESM_SP_SQ_mSR_ST_bEUlT_E_NS1_11comp_targetILNS1_3genE10ELNS1_11target_archE1201ELNS1_3gpuE5ELNS1_3repE0EEENS1_30default_config_static_selectorELNS0_4arch9wavefront6targetE1EEEvT1_, .Lfunc_end307-_ZN7rocprim17ROCPRIM_400000_NS6detail17trampoline_kernelINS0_14default_configENS1_25transform_config_selectorIlLb0EEEZNS1_14transform_implILb0ES3_S5_NS0_18transform_iteratorINS0_17counting_iteratorImlEEZNS1_24adjacent_difference_implIS3_Lb1ELb0EPlSB_ZN2at6native12_GLOBAL__N_124unique_dim_cuda_templateIaEESt5tupleIJNSC_6TensorESH_SH_EERKSH_lbbbEUlllE1_EE10hipError_tPvRmT2_T3_mT4_P12ihipStream_tbEUlmE_lEESB_NS0_8identityIvEEEESM_SP_SQ_mSR_ST_bEUlT_E_NS1_11comp_targetILNS1_3genE10ELNS1_11target_archE1201ELNS1_3gpuE5ELNS1_3repE0EEENS1_30default_config_static_selectorELNS0_4arch9wavefront6targetE1EEEvT1_
                                        ; -- End function
	.section	.AMDGPU.csdata,"",@progbits
; Kernel info:
; codeLenInByte = 0
; NumSgprs: 4
; NumVgprs: 0
; NumAgprs: 0
; TotalNumVgprs: 0
; ScratchSize: 0
; MemoryBound: 0
; FloatMode: 240
; IeeeMode: 1
; LDSByteSize: 0 bytes/workgroup (compile time only)
; SGPRBlocks: 0
; VGPRBlocks: 0
; NumSGPRsForWavesPerEU: 4
; NumVGPRsForWavesPerEU: 1
; AccumOffset: 4
; Occupancy: 8
; WaveLimiterHint : 0
; COMPUTE_PGM_RSRC2:SCRATCH_EN: 0
; COMPUTE_PGM_RSRC2:USER_SGPR: 6
; COMPUTE_PGM_RSRC2:TRAP_HANDLER: 0
; COMPUTE_PGM_RSRC2:TGID_X_EN: 1
; COMPUTE_PGM_RSRC2:TGID_Y_EN: 0
; COMPUTE_PGM_RSRC2:TGID_Z_EN: 0
; COMPUTE_PGM_RSRC2:TIDIG_COMP_CNT: 0
; COMPUTE_PGM_RSRC3_GFX90A:ACCUM_OFFSET: 0
; COMPUTE_PGM_RSRC3_GFX90A:TG_SPLIT: 0
	.section	.text._ZN7rocprim17ROCPRIM_400000_NS6detail17trampoline_kernelINS0_14default_configENS1_25transform_config_selectorIlLb0EEEZNS1_14transform_implILb0ES3_S5_NS0_18transform_iteratorINS0_17counting_iteratorImlEEZNS1_24adjacent_difference_implIS3_Lb1ELb0EPlSB_ZN2at6native12_GLOBAL__N_124unique_dim_cuda_templateIaEESt5tupleIJNSC_6TensorESH_SH_EERKSH_lbbbEUlllE1_EE10hipError_tPvRmT2_T3_mT4_P12ihipStream_tbEUlmE_lEESB_NS0_8identityIvEEEESM_SP_SQ_mSR_ST_bEUlT_E_NS1_11comp_targetILNS1_3genE10ELNS1_11target_archE1200ELNS1_3gpuE4ELNS1_3repE0EEENS1_30default_config_static_selectorELNS0_4arch9wavefront6targetE1EEEvT1_,"axG",@progbits,_ZN7rocprim17ROCPRIM_400000_NS6detail17trampoline_kernelINS0_14default_configENS1_25transform_config_selectorIlLb0EEEZNS1_14transform_implILb0ES3_S5_NS0_18transform_iteratorINS0_17counting_iteratorImlEEZNS1_24adjacent_difference_implIS3_Lb1ELb0EPlSB_ZN2at6native12_GLOBAL__N_124unique_dim_cuda_templateIaEESt5tupleIJNSC_6TensorESH_SH_EERKSH_lbbbEUlllE1_EE10hipError_tPvRmT2_T3_mT4_P12ihipStream_tbEUlmE_lEESB_NS0_8identityIvEEEESM_SP_SQ_mSR_ST_bEUlT_E_NS1_11comp_targetILNS1_3genE10ELNS1_11target_archE1200ELNS1_3gpuE4ELNS1_3repE0EEENS1_30default_config_static_selectorELNS0_4arch9wavefront6targetE1EEEvT1_,comdat
	.globl	_ZN7rocprim17ROCPRIM_400000_NS6detail17trampoline_kernelINS0_14default_configENS1_25transform_config_selectorIlLb0EEEZNS1_14transform_implILb0ES3_S5_NS0_18transform_iteratorINS0_17counting_iteratorImlEEZNS1_24adjacent_difference_implIS3_Lb1ELb0EPlSB_ZN2at6native12_GLOBAL__N_124unique_dim_cuda_templateIaEESt5tupleIJNSC_6TensorESH_SH_EERKSH_lbbbEUlllE1_EE10hipError_tPvRmT2_T3_mT4_P12ihipStream_tbEUlmE_lEESB_NS0_8identityIvEEEESM_SP_SQ_mSR_ST_bEUlT_E_NS1_11comp_targetILNS1_3genE10ELNS1_11target_archE1200ELNS1_3gpuE4ELNS1_3repE0EEENS1_30default_config_static_selectorELNS0_4arch9wavefront6targetE1EEEvT1_ ; -- Begin function _ZN7rocprim17ROCPRIM_400000_NS6detail17trampoline_kernelINS0_14default_configENS1_25transform_config_selectorIlLb0EEEZNS1_14transform_implILb0ES3_S5_NS0_18transform_iteratorINS0_17counting_iteratorImlEEZNS1_24adjacent_difference_implIS3_Lb1ELb0EPlSB_ZN2at6native12_GLOBAL__N_124unique_dim_cuda_templateIaEESt5tupleIJNSC_6TensorESH_SH_EERKSH_lbbbEUlllE1_EE10hipError_tPvRmT2_T3_mT4_P12ihipStream_tbEUlmE_lEESB_NS0_8identityIvEEEESM_SP_SQ_mSR_ST_bEUlT_E_NS1_11comp_targetILNS1_3genE10ELNS1_11target_archE1200ELNS1_3gpuE4ELNS1_3repE0EEENS1_30default_config_static_selectorELNS0_4arch9wavefront6targetE1EEEvT1_
	.p2align	8
	.type	_ZN7rocprim17ROCPRIM_400000_NS6detail17trampoline_kernelINS0_14default_configENS1_25transform_config_selectorIlLb0EEEZNS1_14transform_implILb0ES3_S5_NS0_18transform_iteratorINS0_17counting_iteratorImlEEZNS1_24adjacent_difference_implIS3_Lb1ELb0EPlSB_ZN2at6native12_GLOBAL__N_124unique_dim_cuda_templateIaEESt5tupleIJNSC_6TensorESH_SH_EERKSH_lbbbEUlllE1_EE10hipError_tPvRmT2_T3_mT4_P12ihipStream_tbEUlmE_lEESB_NS0_8identityIvEEEESM_SP_SQ_mSR_ST_bEUlT_E_NS1_11comp_targetILNS1_3genE10ELNS1_11target_archE1200ELNS1_3gpuE4ELNS1_3repE0EEENS1_30default_config_static_selectorELNS0_4arch9wavefront6targetE1EEEvT1_,@function
_ZN7rocprim17ROCPRIM_400000_NS6detail17trampoline_kernelINS0_14default_configENS1_25transform_config_selectorIlLb0EEEZNS1_14transform_implILb0ES3_S5_NS0_18transform_iteratorINS0_17counting_iteratorImlEEZNS1_24adjacent_difference_implIS3_Lb1ELb0EPlSB_ZN2at6native12_GLOBAL__N_124unique_dim_cuda_templateIaEESt5tupleIJNSC_6TensorESH_SH_EERKSH_lbbbEUlllE1_EE10hipError_tPvRmT2_T3_mT4_P12ihipStream_tbEUlmE_lEESB_NS0_8identityIvEEEESM_SP_SQ_mSR_ST_bEUlT_E_NS1_11comp_targetILNS1_3genE10ELNS1_11target_archE1200ELNS1_3gpuE4ELNS1_3repE0EEENS1_30default_config_static_selectorELNS0_4arch9wavefront6targetE1EEEvT1_: ; @_ZN7rocprim17ROCPRIM_400000_NS6detail17trampoline_kernelINS0_14default_configENS1_25transform_config_selectorIlLb0EEEZNS1_14transform_implILb0ES3_S5_NS0_18transform_iteratorINS0_17counting_iteratorImlEEZNS1_24adjacent_difference_implIS3_Lb1ELb0EPlSB_ZN2at6native12_GLOBAL__N_124unique_dim_cuda_templateIaEESt5tupleIJNSC_6TensorESH_SH_EERKSH_lbbbEUlllE1_EE10hipError_tPvRmT2_T3_mT4_P12ihipStream_tbEUlmE_lEESB_NS0_8identityIvEEEESM_SP_SQ_mSR_ST_bEUlT_E_NS1_11comp_targetILNS1_3genE10ELNS1_11target_archE1200ELNS1_3gpuE4ELNS1_3repE0EEENS1_30default_config_static_selectorELNS0_4arch9wavefront6targetE1EEEvT1_
; %bb.0:
	.section	.rodata,"a",@progbits
	.p2align	6, 0x0
	.amdhsa_kernel _ZN7rocprim17ROCPRIM_400000_NS6detail17trampoline_kernelINS0_14default_configENS1_25transform_config_selectorIlLb0EEEZNS1_14transform_implILb0ES3_S5_NS0_18transform_iteratorINS0_17counting_iteratorImlEEZNS1_24adjacent_difference_implIS3_Lb1ELb0EPlSB_ZN2at6native12_GLOBAL__N_124unique_dim_cuda_templateIaEESt5tupleIJNSC_6TensorESH_SH_EERKSH_lbbbEUlllE1_EE10hipError_tPvRmT2_T3_mT4_P12ihipStream_tbEUlmE_lEESB_NS0_8identityIvEEEESM_SP_SQ_mSR_ST_bEUlT_E_NS1_11comp_targetILNS1_3genE10ELNS1_11target_archE1200ELNS1_3gpuE4ELNS1_3repE0EEENS1_30default_config_static_selectorELNS0_4arch9wavefront6targetE1EEEvT1_
		.amdhsa_group_segment_fixed_size 0
		.amdhsa_private_segment_fixed_size 0
		.amdhsa_kernarg_size 56
		.amdhsa_user_sgpr_count 6
		.amdhsa_user_sgpr_private_segment_buffer 1
		.amdhsa_user_sgpr_dispatch_ptr 0
		.amdhsa_user_sgpr_queue_ptr 0
		.amdhsa_user_sgpr_kernarg_segment_ptr 1
		.amdhsa_user_sgpr_dispatch_id 0
		.amdhsa_user_sgpr_flat_scratch_init 0
		.amdhsa_user_sgpr_kernarg_preload_length 0
		.amdhsa_user_sgpr_kernarg_preload_offset 0
		.amdhsa_user_sgpr_private_segment_size 0
		.amdhsa_uses_dynamic_stack 0
		.amdhsa_system_sgpr_private_segment_wavefront_offset 0
		.amdhsa_system_sgpr_workgroup_id_x 1
		.amdhsa_system_sgpr_workgroup_id_y 0
		.amdhsa_system_sgpr_workgroup_id_z 0
		.amdhsa_system_sgpr_workgroup_info 0
		.amdhsa_system_vgpr_workitem_id 0
		.amdhsa_next_free_vgpr 1
		.amdhsa_next_free_sgpr 0
		.amdhsa_accum_offset 4
		.amdhsa_reserve_vcc 0
		.amdhsa_reserve_flat_scratch 0
		.amdhsa_float_round_mode_32 0
		.amdhsa_float_round_mode_16_64 0
		.amdhsa_float_denorm_mode_32 3
		.amdhsa_float_denorm_mode_16_64 3
		.amdhsa_dx10_clamp 1
		.amdhsa_ieee_mode 1
		.amdhsa_fp16_overflow 0
		.amdhsa_tg_split 0
		.amdhsa_exception_fp_ieee_invalid_op 0
		.amdhsa_exception_fp_denorm_src 0
		.amdhsa_exception_fp_ieee_div_zero 0
		.amdhsa_exception_fp_ieee_overflow 0
		.amdhsa_exception_fp_ieee_underflow 0
		.amdhsa_exception_fp_ieee_inexact 0
		.amdhsa_exception_int_div_zero 0
	.end_amdhsa_kernel
	.section	.text._ZN7rocprim17ROCPRIM_400000_NS6detail17trampoline_kernelINS0_14default_configENS1_25transform_config_selectorIlLb0EEEZNS1_14transform_implILb0ES3_S5_NS0_18transform_iteratorINS0_17counting_iteratorImlEEZNS1_24adjacent_difference_implIS3_Lb1ELb0EPlSB_ZN2at6native12_GLOBAL__N_124unique_dim_cuda_templateIaEESt5tupleIJNSC_6TensorESH_SH_EERKSH_lbbbEUlllE1_EE10hipError_tPvRmT2_T3_mT4_P12ihipStream_tbEUlmE_lEESB_NS0_8identityIvEEEESM_SP_SQ_mSR_ST_bEUlT_E_NS1_11comp_targetILNS1_3genE10ELNS1_11target_archE1200ELNS1_3gpuE4ELNS1_3repE0EEENS1_30default_config_static_selectorELNS0_4arch9wavefront6targetE1EEEvT1_,"axG",@progbits,_ZN7rocprim17ROCPRIM_400000_NS6detail17trampoline_kernelINS0_14default_configENS1_25transform_config_selectorIlLb0EEEZNS1_14transform_implILb0ES3_S5_NS0_18transform_iteratorINS0_17counting_iteratorImlEEZNS1_24adjacent_difference_implIS3_Lb1ELb0EPlSB_ZN2at6native12_GLOBAL__N_124unique_dim_cuda_templateIaEESt5tupleIJNSC_6TensorESH_SH_EERKSH_lbbbEUlllE1_EE10hipError_tPvRmT2_T3_mT4_P12ihipStream_tbEUlmE_lEESB_NS0_8identityIvEEEESM_SP_SQ_mSR_ST_bEUlT_E_NS1_11comp_targetILNS1_3genE10ELNS1_11target_archE1200ELNS1_3gpuE4ELNS1_3repE0EEENS1_30default_config_static_selectorELNS0_4arch9wavefront6targetE1EEEvT1_,comdat
.Lfunc_end308:
	.size	_ZN7rocprim17ROCPRIM_400000_NS6detail17trampoline_kernelINS0_14default_configENS1_25transform_config_selectorIlLb0EEEZNS1_14transform_implILb0ES3_S5_NS0_18transform_iteratorINS0_17counting_iteratorImlEEZNS1_24adjacent_difference_implIS3_Lb1ELb0EPlSB_ZN2at6native12_GLOBAL__N_124unique_dim_cuda_templateIaEESt5tupleIJNSC_6TensorESH_SH_EERKSH_lbbbEUlllE1_EE10hipError_tPvRmT2_T3_mT4_P12ihipStream_tbEUlmE_lEESB_NS0_8identityIvEEEESM_SP_SQ_mSR_ST_bEUlT_E_NS1_11comp_targetILNS1_3genE10ELNS1_11target_archE1200ELNS1_3gpuE4ELNS1_3repE0EEENS1_30default_config_static_selectorELNS0_4arch9wavefront6targetE1EEEvT1_, .Lfunc_end308-_ZN7rocprim17ROCPRIM_400000_NS6detail17trampoline_kernelINS0_14default_configENS1_25transform_config_selectorIlLb0EEEZNS1_14transform_implILb0ES3_S5_NS0_18transform_iteratorINS0_17counting_iteratorImlEEZNS1_24adjacent_difference_implIS3_Lb1ELb0EPlSB_ZN2at6native12_GLOBAL__N_124unique_dim_cuda_templateIaEESt5tupleIJNSC_6TensorESH_SH_EERKSH_lbbbEUlllE1_EE10hipError_tPvRmT2_T3_mT4_P12ihipStream_tbEUlmE_lEESB_NS0_8identityIvEEEESM_SP_SQ_mSR_ST_bEUlT_E_NS1_11comp_targetILNS1_3genE10ELNS1_11target_archE1200ELNS1_3gpuE4ELNS1_3repE0EEENS1_30default_config_static_selectorELNS0_4arch9wavefront6targetE1EEEvT1_
                                        ; -- End function
	.section	.AMDGPU.csdata,"",@progbits
; Kernel info:
; codeLenInByte = 0
; NumSgprs: 4
; NumVgprs: 0
; NumAgprs: 0
; TotalNumVgprs: 0
; ScratchSize: 0
; MemoryBound: 0
; FloatMode: 240
; IeeeMode: 1
; LDSByteSize: 0 bytes/workgroup (compile time only)
; SGPRBlocks: 0
; VGPRBlocks: 0
; NumSGPRsForWavesPerEU: 4
; NumVGPRsForWavesPerEU: 1
; AccumOffset: 4
; Occupancy: 8
; WaveLimiterHint : 0
; COMPUTE_PGM_RSRC2:SCRATCH_EN: 0
; COMPUTE_PGM_RSRC2:USER_SGPR: 6
; COMPUTE_PGM_RSRC2:TRAP_HANDLER: 0
; COMPUTE_PGM_RSRC2:TGID_X_EN: 1
; COMPUTE_PGM_RSRC2:TGID_Y_EN: 0
; COMPUTE_PGM_RSRC2:TGID_Z_EN: 0
; COMPUTE_PGM_RSRC2:TIDIG_COMP_CNT: 0
; COMPUTE_PGM_RSRC3_GFX90A:ACCUM_OFFSET: 0
; COMPUTE_PGM_RSRC3_GFX90A:TG_SPLIT: 0
	.section	.text._ZN7rocprim17ROCPRIM_400000_NS6detail17trampoline_kernelINS0_14default_configENS1_25transform_config_selectorIlLb0EEEZNS1_14transform_implILb0ES3_S5_NS0_18transform_iteratorINS0_17counting_iteratorImlEEZNS1_24adjacent_difference_implIS3_Lb1ELb0EPlSB_ZN2at6native12_GLOBAL__N_124unique_dim_cuda_templateIaEESt5tupleIJNSC_6TensorESH_SH_EERKSH_lbbbEUlllE1_EE10hipError_tPvRmT2_T3_mT4_P12ihipStream_tbEUlmE_lEESB_NS0_8identityIvEEEESM_SP_SQ_mSR_ST_bEUlT_E_NS1_11comp_targetILNS1_3genE9ELNS1_11target_archE1100ELNS1_3gpuE3ELNS1_3repE0EEENS1_30default_config_static_selectorELNS0_4arch9wavefront6targetE1EEEvT1_,"axG",@progbits,_ZN7rocprim17ROCPRIM_400000_NS6detail17trampoline_kernelINS0_14default_configENS1_25transform_config_selectorIlLb0EEEZNS1_14transform_implILb0ES3_S5_NS0_18transform_iteratorINS0_17counting_iteratorImlEEZNS1_24adjacent_difference_implIS3_Lb1ELb0EPlSB_ZN2at6native12_GLOBAL__N_124unique_dim_cuda_templateIaEESt5tupleIJNSC_6TensorESH_SH_EERKSH_lbbbEUlllE1_EE10hipError_tPvRmT2_T3_mT4_P12ihipStream_tbEUlmE_lEESB_NS0_8identityIvEEEESM_SP_SQ_mSR_ST_bEUlT_E_NS1_11comp_targetILNS1_3genE9ELNS1_11target_archE1100ELNS1_3gpuE3ELNS1_3repE0EEENS1_30default_config_static_selectorELNS0_4arch9wavefront6targetE1EEEvT1_,comdat
	.globl	_ZN7rocprim17ROCPRIM_400000_NS6detail17trampoline_kernelINS0_14default_configENS1_25transform_config_selectorIlLb0EEEZNS1_14transform_implILb0ES3_S5_NS0_18transform_iteratorINS0_17counting_iteratorImlEEZNS1_24adjacent_difference_implIS3_Lb1ELb0EPlSB_ZN2at6native12_GLOBAL__N_124unique_dim_cuda_templateIaEESt5tupleIJNSC_6TensorESH_SH_EERKSH_lbbbEUlllE1_EE10hipError_tPvRmT2_T3_mT4_P12ihipStream_tbEUlmE_lEESB_NS0_8identityIvEEEESM_SP_SQ_mSR_ST_bEUlT_E_NS1_11comp_targetILNS1_3genE9ELNS1_11target_archE1100ELNS1_3gpuE3ELNS1_3repE0EEENS1_30default_config_static_selectorELNS0_4arch9wavefront6targetE1EEEvT1_ ; -- Begin function _ZN7rocprim17ROCPRIM_400000_NS6detail17trampoline_kernelINS0_14default_configENS1_25transform_config_selectorIlLb0EEEZNS1_14transform_implILb0ES3_S5_NS0_18transform_iteratorINS0_17counting_iteratorImlEEZNS1_24adjacent_difference_implIS3_Lb1ELb0EPlSB_ZN2at6native12_GLOBAL__N_124unique_dim_cuda_templateIaEESt5tupleIJNSC_6TensorESH_SH_EERKSH_lbbbEUlllE1_EE10hipError_tPvRmT2_T3_mT4_P12ihipStream_tbEUlmE_lEESB_NS0_8identityIvEEEESM_SP_SQ_mSR_ST_bEUlT_E_NS1_11comp_targetILNS1_3genE9ELNS1_11target_archE1100ELNS1_3gpuE3ELNS1_3repE0EEENS1_30default_config_static_selectorELNS0_4arch9wavefront6targetE1EEEvT1_
	.p2align	8
	.type	_ZN7rocprim17ROCPRIM_400000_NS6detail17trampoline_kernelINS0_14default_configENS1_25transform_config_selectorIlLb0EEEZNS1_14transform_implILb0ES3_S5_NS0_18transform_iteratorINS0_17counting_iteratorImlEEZNS1_24adjacent_difference_implIS3_Lb1ELb0EPlSB_ZN2at6native12_GLOBAL__N_124unique_dim_cuda_templateIaEESt5tupleIJNSC_6TensorESH_SH_EERKSH_lbbbEUlllE1_EE10hipError_tPvRmT2_T3_mT4_P12ihipStream_tbEUlmE_lEESB_NS0_8identityIvEEEESM_SP_SQ_mSR_ST_bEUlT_E_NS1_11comp_targetILNS1_3genE9ELNS1_11target_archE1100ELNS1_3gpuE3ELNS1_3repE0EEENS1_30default_config_static_selectorELNS0_4arch9wavefront6targetE1EEEvT1_,@function
_ZN7rocprim17ROCPRIM_400000_NS6detail17trampoline_kernelINS0_14default_configENS1_25transform_config_selectorIlLb0EEEZNS1_14transform_implILb0ES3_S5_NS0_18transform_iteratorINS0_17counting_iteratorImlEEZNS1_24adjacent_difference_implIS3_Lb1ELb0EPlSB_ZN2at6native12_GLOBAL__N_124unique_dim_cuda_templateIaEESt5tupleIJNSC_6TensorESH_SH_EERKSH_lbbbEUlllE1_EE10hipError_tPvRmT2_T3_mT4_P12ihipStream_tbEUlmE_lEESB_NS0_8identityIvEEEESM_SP_SQ_mSR_ST_bEUlT_E_NS1_11comp_targetILNS1_3genE9ELNS1_11target_archE1100ELNS1_3gpuE3ELNS1_3repE0EEENS1_30default_config_static_selectorELNS0_4arch9wavefront6targetE1EEEvT1_: ; @_ZN7rocprim17ROCPRIM_400000_NS6detail17trampoline_kernelINS0_14default_configENS1_25transform_config_selectorIlLb0EEEZNS1_14transform_implILb0ES3_S5_NS0_18transform_iteratorINS0_17counting_iteratorImlEEZNS1_24adjacent_difference_implIS3_Lb1ELb0EPlSB_ZN2at6native12_GLOBAL__N_124unique_dim_cuda_templateIaEESt5tupleIJNSC_6TensorESH_SH_EERKSH_lbbbEUlllE1_EE10hipError_tPvRmT2_T3_mT4_P12ihipStream_tbEUlmE_lEESB_NS0_8identityIvEEEESM_SP_SQ_mSR_ST_bEUlT_E_NS1_11comp_targetILNS1_3genE9ELNS1_11target_archE1100ELNS1_3gpuE3ELNS1_3repE0EEENS1_30default_config_static_selectorELNS0_4arch9wavefront6targetE1EEEvT1_
; %bb.0:
	.section	.rodata,"a",@progbits
	.p2align	6, 0x0
	.amdhsa_kernel _ZN7rocprim17ROCPRIM_400000_NS6detail17trampoline_kernelINS0_14default_configENS1_25transform_config_selectorIlLb0EEEZNS1_14transform_implILb0ES3_S5_NS0_18transform_iteratorINS0_17counting_iteratorImlEEZNS1_24adjacent_difference_implIS3_Lb1ELb0EPlSB_ZN2at6native12_GLOBAL__N_124unique_dim_cuda_templateIaEESt5tupleIJNSC_6TensorESH_SH_EERKSH_lbbbEUlllE1_EE10hipError_tPvRmT2_T3_mT4_P12ihipStream_tbEUlmE_lEESB_NS0_8identityIvEEEESM_SP_SQ_mSR_ST_bEUlT_E_NS1_11comp_targetILNS1_3genE9ELNS1_11target_archE1100ELNS1_3gpuE3ELNS1_3repE0EEENS1_30default_config_static_selectorELNS0_4arch9wavefront6targetE1EEEvT1_
		.amdhsa_group_segment_fixed_size 0
		.amdhsa_private_segment_fixed_size 0
		.amdhsa_kernarg_size 56
		.amdhsa_user_sgpr_count 6
		.amdhsa_user_sgpr_private_segment_buffer 1
		.amdhsa_user_sgpr_dispatch_ptr 0
		.amdhsa_user_sgpr_queue_ptr 0
		.amdhsa_user_sgpr_kernarg_segment_ptr 1
		.amdhsa_user_sgpr_dispatch_id 0
		.amdhsa_user_sgpr_flat_scratch_init 0
		.amdhsa_user_sgpr_kernarg_preload_length 0
		.amdhsa_user_sgpr_kernarg_preload_offset 0
		.amdhsa_user_sgpr_private_segment_size 0
		.amdhsa_uses_dynamic_stack 0
		.amdhsa_system_sgpr_private_segment_wavefront_offset 0
		.amdhsa_system_sgpr_workgroup_id_x 1
		.amdhsa_system_sgpr_workgroup_id_y 0
		.amdhsa_system_sgpr_workgroup_id_z 0
		.amdhsa_system_sgpr_workgroup_info 0
		.amdhsa_system_vgpr_workitem_id 0
		.amdhsa_next_free_vgpr 1
		.amdhsa_next_free_sgpr 0
		.amdhsa_accum_offset 4
		.amdhsa_reserve_vcc 0
		.amdhsa_reserve_flat_scratch 0
		.amdhsa_float_round_mode_32 0
		.amdhsa_float_round_mode_16_64 0
		.amdhsa_float_denorm_mode_32 3
		.amdhsa_float_denorm_mode_16_64 3
		.amdhsa_dx10_clamp 1
		.amdhsa_ieee_mode 1
		.amdhsa_fp16_overflow 0
		.amdhsa_tg_split 0
		.amdhsa_exception_fp_ieee_invalid_op 0
		.amdhsa_exception_fp_denorm_src 0
		.amdhsa_exception_fp_ieee_div_zero 0
		.amdhsa_exception_fp_ieee_overflow 0
		.amdhsa_exception_fp_ieee_underflow 0
		.amdhsa_exception_fp_ieee_inexact 0
		.amdhsa_exception_int_div_zero 0
	.end_amdhsa_kernel
	.section	.text._ZN7rocprim17ROCPRIM_400000_NS6detail17trampoline_kernelINS0_14default_configENS1_25transform_config_selectorIlLb0EEEZNS1_14transform_implILb0ES3_S5_NS0_18transform_iteratorINS0_17counting_iteratorImlEEZNS1_24adjacent_difference_implIS3_Lb1ELb0EPlSB_ZN2at6native12_GLOBAL__N_124unique_dim_cuda_templateIaEESt5tupleIJNSC_6TensorESH_SH_EERKSH_lbbbEUlllE1_EE10hipError_tPvRmT2_T3_mT4_P12ihipStream_tbEUlmE_lEESB_NS0_8identityIvEEEESM_SP_SQ_mSR_ST_bEUlT_E_NS1_11comp_targetILNS1_3genE9ELNS1_11target_archE1100ELNS1_3gpuE3ELNS1_3repE0EEENS1_30default_config_static_selectorELNS0_4arch9wavefront6targetE1EEEvT1_,"axG",@progbits,_ZN7rocprim17ROCPRIM_400000_NS6detail17trampoline_kernelINS0_14default_configENS1_25transform_config_selectorIlLb0EEEZNS1_14transform_implILb0ES3_S5_NS0_18transform_iteratorINS0_17counting_iteratorImlEEZNS1_24adjacent_difference_implIS3_Lb1ELb0EPlSB_ZN2at6native12_GLOBAL__N_124unique_dim_cuda_templateIaEESt5tupleIJNSC_6TensorESH_SH_EERKSH_lbbbEUlllE1_EE10hipError_tPvRmT2_T3_mT4_P12ihipStream_tbEUlmE_lEESB_NS0_8identityIvEEEESM_SP_SQ_mSR_ST_bEUlT_E_NS1_11comp_targetILNS1_3genE9ELNS1_11target_archE1100ELNS1_3gpuE3ELNS1_3repE0EEENS1_30default_config_static_selectorELNS0_4arch9wavefront6targetE1EEEvT1_,comdat
.Lfunc_end309:
	.size	_ZN7rocprim17ROCPRIM_400000_NS6detail17trampoline_kernelINS0_14default_configENS1_25transform_config_selectorIlLb0EEEZNS1_14transform_implILb0ES3_S5_NS0_18transform_iteratorINS0_17counting_iteratorImlEEZNS1_24adjacent_difference_implIS3_Lb1ELb0EPlSB_ZN2at6native12_GLOBAL__N_124unique_dim_cuda_templateIaEESt5tupleIJNSC_6TensorESH_SH_EERKSH_lbbbEUlllE1_EE10hipError_tPvRmT2_T3_mT4_P12ihipStream_tbEUlmE_lEESB_NS0_8identityIvEEEESM_SP_SQ_mSR_ST_bEUlT_E_NS1_11comp_targetILNS1_3genE9ELNS1_11target_archE1100ELNS1_3gpuE3ELNS1_3repE0EEENS1_30default_config_static_selectorELNS0_4arch9wavefront6targetE1EEEvT1_, .Lfunc_end309-_ZN7rocprim17ROCPRIM_400000_NS6detail17trampoline_kernelINS0_14default_configENS1_25transform_config_selectorIlLb0EEEZNS1_14transform_implILb0ES3_S5_NS0_18transform_iteratorINS0_17counting_iteratorImlEEZNS1_24adjacent_difference_implIS3_Lb1ELb0EPlSB_ZN2at6native12_GLOBAL__N_124unique_dim_cuda_templateIaEESt5tupleIJNSC_6TensorESH_SH_EERKSH_lbbbEUlllE1_EE10hipError_tPvRmT2_T3_mT4_P12ihipStream_tbEUlmE_lEESB_NS0_8identityIvEEEESM_SP_SQ_mSR_ST_bEUlT_E_NS1_11comp_targetILNS1_3genE9ELNS1_11target_archE1100ELNS1_3gpuE3ELNS1_3repE0EEENS1_30default_config_static_selectorELNS0_4arch9wavefront6targetE1EEEvT1_
                                        ; -- End function
	.section	.AMDGPU.csdata,"",@progbits
; Kernel info:
; codeLenInByte = 0
; NumSgprs: 4
; NumVgprs: 0
; NumAgprs: 0
; TotalNumVgprs: 0
; ScratchSize: 0
; MemoryBound: 0
; FloatMode: 240
; IeeeMode: 1
; LDSByteSize: 0 bytes/workgroup (compile time only)
; SGPRBlocks: 0
; VGPRBlocks: 0
; NumSGPRsForWavesPerEU: 4
; NumVGPRsForWavesPerEU: 1
; AccumOffset: 4
; Occupancy: 8
; WaveLimiterHint : 0
; COMPUTE_PGM_RSRC2:SCRATCH_EN: 0
; COMPUTE_PGM_RSRC2:USER_SGPR: 6
; COMPUTE_PGM_RSRC2:TRAP_HANDLER: 0
; COMPUTE_PGM_RSRC2:TGID_X_EN: 1
; COMPUTE_PGM_RSRC2:TGID_Y_EN: 0
; COMPUTE_PGM_RSRC2:TGID_Z_EN: 0
; COMPUTE_PGM_RSRC2:TIDIG_COMP_CNT: 0
; COMPUTE_PGM_RSRC3_GFX90A:ACCUM_OFFSET: 0
; COMPUTE_PGM_RSRC3_GFX90A:TG_SPLIT: 0
	.section	.text._ZN7rocprim17ROCPRIM_400000_NS6detail17trampoline_kernelINS0_14default_configENS1_25transform_config_selectorIlLb0EEEZNS1_14transform_implILb0ES3_S5_NS0_18transform_iteratorINS0_17counting_iteratorImlEEZNS1_24adjacent_difference_implIS3_Lb1ELb0EPlSB_ZN2at6native12_GLOBAL__N_124unique_dim_cuda_templateIaEESt5tupleIJNSC_6TensorESH_SH_EERKSH_lbbbEUlllE1_EE10hipError_tPvRmT2_T3_mT4_P12ihipStream_tbEUlmE_lEESB_NS0_8identityIvEEEESM_SP_SQ_mSR_ST_bEUlT_E_NS1_11comp_targetILNS1_3genE8ELNS1_11target_archE1030ELNS1_3gpuE2ELNS1_3repE0EEENS1_30default_config_static_selectorELNS0_4arch9wavefront6targetE1EEEvT1_,"axG",@progbits,_ZN7rocprim17ROCPRIM_400000_NS6detail17trampoline_kernelINS0_14default_configENS1_25transform_config_selectorIlLb0EEEZNS1_14transform_implILb0ES3_S5_NS0_18transform_iteratorINS0_17counting_iteratorImlEEZNS1_24adjacent_difference_implIS3_Lb1ELb0EPlSB_ZN2at6native12_GLOBAL__N_124unique_dim_cuda_templateIaEESt5tupleIJNSC_6TensorESH_SH_EERKSH_lbbbEUlllE1_EE10hipError_tPvRmT2_T3_mT4_P12ihipStream_tbEUlmE_lEESB_NS0_8identityIvEEEESM_SP_SQ_mSR_ST_bEUlT_E_NS1_11comp_targetILNS1_3genE8ELNS1_11target_archE1030ELNS1_3gpuE2ELNS1_3repE0EEENS1_30default_config_static_selectorELNS0_4arch9wavefront6targetE1EEEvT1_,comdat
	.globl	_ZN7rocprim17ROCPRIM_400000_NS6detail17trampoline_kernelINS0_14default_configENS1_25transform_config_selectorIlLb0EEEZNS1_14transform_implILb0ES3_S5_NS0_18transform_iteratorINS0_17counting_iteratorImlEEZNS1_24adjacent_difference_implIS3_Lb1ELb0EPlSB_ZN2at6native12_GLOBAL__N_124unique_dim_cuda_templateIaEESt5tupleIJNSC_6TensorESH_SH_EERKSH_lbbbEUlllE1_EE10hipError_tPvRmT2_T3_mT4_P12ihipStream_tbEUlmE_lEESB_NS0_8identityIvEEEESM_SP_SQ_mSR_ST_bEUlT_E_NS1_11comp_targetILNS1_3genE8ELNS1_11target_archE1030ELNS1_3gpuE2ELNS1_3repE0EEENS1_30default_config_static_selectorELNS0_4arch9wavefront6targetE1EEEvT1_ ; -- Begin function _ZN7rocprim17ROCPRIM_400000_NS6detail17trampoline_kernelINS0_14default_configENS1_25transform_config_selectorIlLb0EEEZNS1_14transform_implILb0ES3_S5_NS0_18transform_iteratorINS0_17counting_iteratorImlEEZNS1_24adjacent_difference_implIS3_Lb1ELb0EPlSB_ZN2at6native12_GLOBAL__N_124unique_dim_cuda_templateIaEESt5tupleIJNSC_6TensorESH_SH_EERKSH_lbbbEUlllE1_EE10hipError_tPvRmT2_T3_mT4_P12ihipStream_tbEUlmE_lEESB_NS0_8identityIvEEEESM_SP_SQ_mSR_ST_bEUlT_E_NS1_11comp_targetILNS1_3genE8ELNS1_11target_archE1030ELNS1_3gpuE2ELNS1_3repE0EEENS1_30default_config_static_selectorELNS0_4arch9wavefront6targetE1EEEvT1_
	.p2align	8
	.type	_ZN7rocprim17ROCPRIM_400000_NS6detail17trampoline_kernelINS0_14default_configENS1_25transform_config_selectorIlLb0EEEZNS1_14transform_implILb0ES3_S5_NS0_18transform_iteratorINS0_17counting_iteratorImlEEZNS1_24adjacent_difference_implIS3_Lb1ELb0EPlSB_ZN2at6native12_GLOBAL__N_124unique_dim_cuda_templateIaEESt5tupleIJNSC_6TensorESH_SH_EERKSH_lbbbEUlllE1_EE10hipError_tPvRmT2_T3_mT4_P12ihipStream_tbEUlmE_lEESB_NS0_8identityIvEEEESM_SP_SQ_mSR_ST_bEUlT_E_NS1_11comp_targetILNS1_3genE8ELNS1_11target_archE1030ELNS1_3gpuE2ELNS1_3repE0EEENS1_30default_config_static_selectorELNS0_4arch9wavefront6targetE1EEEvT1_,@function
_ZN7rocprim17ROCPRIM_400000_NS6detail17trampoline_kernelINS0_14default_configENS1_25transform_config_selectorIlLb0EEEZNS1_14transform_implILb0ES3_S5_NS0_18transform_iteratorINS0_17counting_iteratorImlEEZNS1_24adjacent_difference_implIS3_Lb1ELb0EPlSB_ZN2at6native12_GLOBAL__N_124unique_dim_cuda_templateIaEESt5tupleIJNSC_6TensorESH_SH_EERKSH_lbbbEUlllE1_EE10hipError_tPvRmT2_T3_mT4_P12ihipStream_tbEUlmE_lEESB_NS0_8identityIvEEEESM_SP_SQ_mSR_ST_bEUlT_E_NS1_11comp_targetILNS1_3genE8ELNS1_11target_archE1030ELNS1_3gpuE2ELNS1_3repE0EEENS1_30default_config_static_selectorELNS0_4arch9wavefront6targetE1EEEvT1_: ; @_ZN7rocprim17ROCPRIM_400000_NS6detail17trampoline_kernelINS0_14default_configENS1_25transform_config_selectorIlLb0EEEZNS1_14transform_implILb0ES3_S5_NS0_18transform_iteratorINS0_17counting_iteratorImlEEZNS1_24adjacent_difference_implIS3_Lb1ELb0EPlSB_ZN2at6native12_GLOBAL__N_124unique_dim_cuda_templateIaEESt5tupleIJNSC_6TensorESH_SH_EERKSH_lbbbEUlllE1_EE10hipError_tPvRmT2_T3_mT4_P12ihipStream_tbEUlmE_lEESB_NS0_8identityIvEEEESM_SP_SQ_mSR_ST_bEUlT_E_NS1_11comp_targetILNS1_3genE8ELNS1_11target_archE1030ELNS1_3gpuE2ELNS1_3repE0EEENS1_30default_config_static_selectorELNS0_4arch9wavefront6targetE1EEEvT1_
; %bb.0:
	.section	.rodata,"a",@progbits
	.p2align	6, 0x0
	.amdhsa_kernel _ZN7rocprim17ROCPRIM_400000_NS6detail17trampoline_kernelINS0_14default_configENS1_25transform_config_selectorIlLb0EEEZNS1_14transform_implILb0ES3_S5_NS0_18transform_iteratorINS0_17counting_iteratorImlEEZNS1_24adjacent_difference_implIS3_Lb1ELb0EPlSB_ZN2at6native12_GLOBAL__N_124unique_dim_cuda_templateIaEESt5tupleIJNSC_6TensorESH_SH_EERKSH_lbbbEUlllE1_EE10hipError_tPvRmT2_T3_mT4_P12ihipStream_tbEUlmE_lEESB_NS0_8identityIvEEEESM_SP_SQ_mSR_ST_bEUlT_E_NS1_11comp_targetILNS1_3genE8ELNS1_11target_archE1030ELNS1_3gpuE2ELNS1_3repE0EEENS1_30default_config_static_selectorELNS0_4arch9wavefront6targetE1EEEvT1_
		.amdhsa_group_segment_fixed_size 0
		.amdhsa_private_segment_fixed_size 0
		.amdhsa_kernarg_size 56
		.amdhsa_user_sgpr_count 6
		.amdhsa_user_sgpr_private_segment_buffer 1
		.amdhsa_user_sgpr_dispatch_ptr 0
		.amdhsa_user_sgpr_queue_ptr 0
		.amdhsa_user_sgpr_kernarg_segment_ptr 1
		.amdhsa_user_sgpr_dispatch_id 0
		.amdhsa_user_sgpr_flat_scratch_init 0
		.amdhsa_user_sgpr_kernarg_preload_length 0
		.amdhsa_user_sgpr_kernarg_preload_offset 0
		.amdhsa_user_sgpr_private_segment_size 0
		.amdhsa_uses_dynamic_stack 0
		.amdhsa_system_sgpr_private_segment_wavefront_offset 0
		.amdhsa_system_sgpr_workgroup_id_x 1
		.amdhsa_system_sgpr_workgroup_id_y 0
		.amdhsa_system_sgpr_workgroup_id_z 0
		.amdhsa_system_sgpr_workgroup_info 0
		.amdhsa_system_vgpr_workitem_id 0
		.amdhsa_next_free_vgpr 1
		.amdhsa_next_free_sgpr 0
		.amdhsa_accum_offset 4
		.amdhsa_reserve_vcc 0
		.amdhsa_reserve_flat_scratch 0
		.amdhsa_float_round_mode_32 0
		.amdhsa_float_round_mode_16_64 0
		.amdhsa_float_denorm_mode_32 3
		.amdhsa_float_denorm_mode_16_64 3
		.amdhsa_dx10_clamp 1
		.amdhsa_ieee_mode 1
		.amdhsa_fp16_overflow 0
		.amdhsa_tg_split 0
		.amdhsa_exception_fp_ieee_invalid_op 0
		.amdhsa_exception_fp_denorm_src 0
		.amdhsa_exception_fp_ieee_div_zero 0
		.amdhsa_exception_fp_ieee_overflow 0
		.amdhsa_exception_fp_ieee_underflow 0
		.amdhsa_exception_fp_ieee_inexact 0
		.amdhsa_exception_int_div_zero 0
	.end_amdhsa_kernel
	.section	.text._ZN7rocprim17ROCPRIM_400000_NS6detail17trampoline_kernelINS0_14default_configENS1_25transform_config_selectorIlLb0EEEZNS1_14transform_implILb0ES3_S5_NS0_18transform_iteratorINS0_17counting_iteratorImlEEZNS1_24adjacent_difference_implIS3_Lb1ELb0EPlSB_ZN2at6native12_GLOBAL__N_124unique_dim_cuda_templateIaEESt5tupleIJNSC_6TensorESH_SH_EERKSH_lbbbEUlllE1_EE10hipError_tPvRmT2_T3_mT4_P12ihipStream_tbEUlmE_lEESB_NS0_8identityIvEEEESM_SP_SQ_mSR_ST_bEUlT_E_NS1_11comp_targetILNS1_3genE8ELNS1_11target_archE1030ELNS1_3gpuE2ELNS1_3repE0EEENS1_30default_config_static_selectorELNS0_4arch9wavefront6targetE1EEEvT1_,"axG",@progbits,_ZN7rocprim17ROCPRIM_400000_NS6detail17trampoline_kernelINS0_14default_configENS1_25transform_config_selectorIlLb0EEEZNS1_14transform_implILb0ES3_S5_NS0_18transform_iteratorINS0_17counting_iteratorImlEEZNS1_24adjacent_difference_implIS3_Lb1ELb0EPlSB_ZN2at6native12_GLOBAL__N_124unique_dim_cuda_templateIaEESt5tupleIJNSC_6TensorESH_SH_EERKSH_lbbbEUlllE1_EE10hipError_tPvRmT2_T3_mT4_P12ihipStream_tbEUlmE_lEESB_NS0_8identityIvEEEESM_SP_SQ_mSR_ST_bEUlT_E_NS1_11comp_targetILNS1_3genE8ELNS1_11target_archE1030ELNS1_3gpuE2ELNS1_3repE0EEENS1_30default_config_static_selectorELNS0_4arch9wavefront6targetE1EEEvT1_,comdat
.Lfunc_end310:
	.size	_ZN7rocprim17ROCPRIM_400000_NS6detail17trampoline_kernelINS0_14default_configENS1_25transform_config_selectorIlLb0EEEZNS1_14transform_implILb0ES3_S5_NS0_18transform_iteratorINS0_17counting_iteratorImlEEZNS1_24adjacent_difference_implIS3_Lb1ELb0EPlSB_ZN2at6native12_GLOBAL__N_124unique_dim_cuda_templateIaEESt5tupleIJNSC_6TensorESH_SH_EERKSH_lbbbEUlllE1_EE10hipError_tPvRmT2_T3_mT4_P12ihipStream_tbEUlmE_lEESB_NS0_8identityIvEEEESM_SP_SQ_mSR_ST_bEUlT_E_NS1_11comp_targetILNS1_3genE8ELNS1_11target_archE1030ELNS1_3gpuE2ELNS1_3repE0EEENS1_30default_config_static_selectorELNS0_4arch9wavefront6targetE1EEEvT1_, .Lfunc_end310-_ZN7rocprim17ROCPRIM_400000_NS6detail17trampoline_kernelINS0_14default_configENS1_25transform_config_selectorIlLb0EEEZNS1_14transform_implILb0ES3_S5_NS0_18transform_iteratorINS0_17counting_iteratorImlEEZNS1_24adjacent_difference_implIS3_Lb1ELb0EPlSB_ZN2at6native12_GLOBAL__N_124unique_dim_cuda_templateIaEESt5tupleIJNSC_6TensorESH_SH_EERKSH_lbbbEUlllE1_EE10hipError_tPvRmT2_T3_mT4_P12ihipStream_tbEUlmE_lEESB_NS0_8identityIvEEEESM_SP_SQ_mSR_ST_bEUlT_E_NS1_11comp_targetILNS1_3genE8ELNS1_11target_archE1030ELNS1_3gpuE2ELNS1_3repE0EEENS1_30default_config_static_selectorELNS0_4arch9wavefront6targetE1EEEvT1_
                                        ; -- End function
	.section	.AMDGPU.csdata,"",@progbits
; Kernel info:
; codeLenInByte = 0
; NumSgprs: 4
; NumVgprs: 0
; NumAgprs: 0
; TotalNumVgprs: 0
; ScratchSize: 0
; MemoryBound: 0
; FloatMode: 240
; IeeeMode: 1
; LDSByteSize: 0 bytes/workgroup (compile time only)
; SGPRBlocks: 0
; VGPRBlocks: 0
; NumSGPRsForWavesPerEU: 4
; NumVGPRsForWavesPerEU: 1
; AccumOffset: 4
; Occupancy: 8
; WaveLimiterHint : 0
; COMPUTE_PGM_RSRC2:SCRATCH_EN: 0
; COMPUTE_PGM_RSRC2:USER_SGPR: 6
; COMPUTE_PGM_RSRC2:TRAP_HANDLER: 0
; COMPUTE_PGM_RSRC2:TGID_X_EN: 1
; COMPUTE_PGM_RSRC2:TGID_Y_EN: 0
; COMPUTE_PGM_RSRC2:TGID_Z_EN: 0
; COMPUTE_PGM_RSRC2:TIDIG_COMP_CNT: 0
; COMPUTE_PGM_RSRC3_GFX90A:ACCUM_OFFSET: 0
; COMPUTE_PGM_RSRC3_GFX90A:TG_SPLIT: 0
	.section	.text._ZN7rocprim17ROCPRIM_400000_NS6detail17trampoline_kernelINS0_14default_configENS1_35adjacent_difference_config_selectorILb1ElEEZNS1_24adjacent_difference_implIS3_Lb1ELb0EPlS7_ZN2at6native12_GLOBAL__N_124unique_dim_cuda_templateIaEESt5tupleIJNS8_6TensorESD_SD_EERKSD_lbbbEUlllE1_EE10hipError_tPvRmT2_T3_mT4_P12ihipStream_tbEUlT_E_NS1_11comp_targetILNS1_3genE0ELNS1_11target_archE4294967295ELNS1_3gpuE0ELNS1_3repE0EEENS1_30default_config_static_selectorELNS0_4arch9wavefront6targetE1EEEvT1_,"axG",@progbits,_ZN7rocprim17ROCPRIM_400000_NS6detail17trampoline_kernelINS0_14default_configENS1_35adjacent_difference_config_selectorILb1ElEEZNS1_24adjacent_difference_implIS3_Lb1ELb0EPlS7_ZN2at6native12_GLOBAL__N_124unique_dim_cuda_templateIaEESt5tupleIJNS8_6TensorESD_SD_EERKSD_lbbbEUlllE1_EE10hipError_tPvRmT2_T3_mT4_P12ihipStream_tbEUlT_E_NS1_11comp_targetILNS1_3genE0ELNS1_11target_archE4294967295ELNS1_3gpuE0ELNS1_3repE0EEENS1_30default_config_static_selectorELNS0_4arch9wavefront6targetE1EEEvT1_,comdat
	.globl	_ZN7rocprim17ROCPRIM_400000_NS6detail17trampoline_kernelINS0_14default_configENS1_35adjacent_difference_config_selectorILb1ElEEZNS1_24adjacent_difference_implIS3_Lb1ELb0EPlS7_ZN2at6native12_GLOBAL__N_124unique_dim_cuda_templateIaEESt5tupleIJNS8_6TensorESD_SD_EERKSD_lbbbEUlllE1_EE10hipError_tPvRmT2_T3_mT4_P12ihipStream_tbEUlT_E_NS1_11comp_targetILNS1_3genE0ELNS1_11target_archE4294967295ELNS1_3gpuE0ELNS1_3repE0EEENS1_30default_config_static_selectorELNS0_4arch9wavefront6targetE1EEEvT1_ ; -- Begin function _ZN7rocprim17ROCPRIM_400000_NS6detail17trampoline_kernelINS0_14default_configENS1_35adjacent_difference_config_selectorILb1ElEEZNS1_24adjacent_difference_implIS3_Lb1ELb0EPlS7_ZN2at6native12_GLOBAL__N_124unique_dim_cuda_templateIaEESt5tupleIJNS8_6TensorESD_SD_EERKSD_lbbbEUlllE1_EE10hipError_tPvRmT2_T3_mT4_P12ihipStream_tbEUlT_E_NS1_11comp_targetILNS1_3genE0ELNS1_11target_archE4294967295ELNS1_3gpuE0ELNS1_3repE0EEENS1_30default_config_static_selectorELNS0_4arch9wavefront6targetE1EEEvT1_
	.p2align	8
	.type	_ZN7rocprim17ROCPRIM_400000_NS6detail17trampoline_kernelINS0_14default_configENS1_35adjacent_difference_config_selectorILb1ElEEZNS1_24adjacent_difference_implIS3_Lb1ELb0EPlS7_ZN2at6native12_GLOBAL__N_124unique_dim_cuda_templateIaEESt5tupleIJNS8_6TensorESD_SD_EERKSD_lbbbEUlllE1_EE10hipError_tPvRmT2_T3_mT4_P12ihipStream_tbEUlT_E_NS1_11comp_targetILNS1_3genE0ELNS1_11target_archE4294967295ELNS1_3gpuE0ELNS1_3repE0EEENS1_30default_config_static_selectorELNS0_4arch9wavefront6targetE1EEEvT1_,@function
_ZN7rocprim17ROCPRIM_400000_NS6detail17trampoline_kernelINS0_14default_configENS1_35adjacent_difference_config_selectorILb1ElEEZNS1_24adjacent_difference_implIS3_Lb1ELb0EPlS7_ZN2at6native12_GLOBAL__N_124unique_dim_cuda_templateIaEESt5tupleIJNS8_6TensorESD_SD_EERKSD_lbbbEUlllE1_EE10hipError_tPvRmT2_T3_mT4_P12ihipStream_tbEUlT_E_NS1_11comp_targetILNS1_3genE0ELNS1_11target_archE4294967295ELNS1_3gpuE0ELNS1_3repE0EEENS1_30default_config_static_selectorELNS0_4arch9wavefront6targetE1EEEvT1_: ; @_ZN7rocprim17ROCPRIM_400000_NS6detail17trampoline_kernelINS0_14default_configENS1_35adjacent_difference_config_selectorILb1ElEEZNS1_24adjacent_difference_implIS3_Lb1ELb0EPlS7_ZN2at6native12_GLOBAL__N_124unique_dim_cuda_templateIaEESt5tupleIJNS8_6TensorESD_SD_EERKSD_lbbbEUlllE1_EE10hipError_tPvRmT2_T3_mT4_P12ihipStream_tbEUlT_E_NS1_11comp_targetILNS1_3genE0ELNS1_11target_archE4294967295ELNS1_3gpuE0ELNS1_3repE0EEENS1_30default_config_static_selectorELNS0_4arch9wavefront6targetE1EEEvT1_
; %bb.0:
	.section	.rodata,"a",@progbits
	.p2align	6, 0x0
	.amdhsa_kernel _ZN7rocprim17ROCPRIM_400000_NS6detail17trampoline_kernelINS0_14default_configENS1_35adjacent_difference_config_selectorILb1ElEEZNS1_24adjacent_difference_implIS3_Lb1ELb0EPlS7_ZN2at6native12_GLOBAL__N_124unique_dim_cuda_templateIaEESt5tupleIJNS8_6TensorESD_SD_EERKSD_lbbbEUlllE1_EE10hipError_tPvRmT2_T3_mT4_P12ihipStream_tbEUlT_E_NS1_11comp_targetILNS1_3genE0ELNS1_11target_archE4294967295ELNS1_3gpuE0ELNS1_3repE0EEENS1_30default_config_static_selectorELNS0_4arch9wavefront6targetE1EEEvT1_
		.amdhsa_group_segment_fixed_size 0
		.amdhsa_private_segment_fixed_size 0
		.amdhsa_kernarg_size 64
		.amdhsa_user_sgpr_count 6
		.amdhsa_user_sgpr_private_segment_buffer 1
		.amdhsa_user_sgpr_dispatch_ptr 0
		.amdhsa_user_sgpr_queue_ptr 0
		.amdhsa_user_sgpr_kernarg_segment_ptr 1
		.amdhsa_user_sgpr_dispatch_id 0
		.amdhsa_user_sgpr_flat_scratch_init 0
		.amdhsa_user_sgpr_kernarg_preload_length 0
		.amdhsa_user_sgpr_kernarg_preload_offset 0
		.amdhsa_user_sgpr_private_segment_size 0
		.amdhsa_uses_dynamic_stack 0
		.amdhsa_system_sgpr_private_segment_wavefront_offset 0
		.amdhsa_system_sgpr_workgroup_id_x 1
		.amdhsa_system_sgpr_workgroup_id_y 0
		.amdhsa_system_sgpr_workgroup_id_z 0
		.amdhsa_system_sgpr_workgroup_info 0
		.amdhsa_system_vgpr_workitem_id 0
		.amdhsa_next_free_vgpr 1
		.amdhsa_next_free_sgpr 0
		.amdhsa_accum_offset 4
		.amdhsa_reserve_vcc 0
		.amdhsa_reserve_flat_scratch 0
		.amdhsa_float_round_mode_32 0
		.amdhsa_float_round_mode_16_64 0
		.amdhsa_float_denorm_mode_32 3
		.amdhsa_float_denorm_mode_16_64 3
		.amdhsa_dx10_clamp 1
		.amdhsa_ieee_mode 1
		.amdhsa_fp16_overflow 0
		.amdhsa_tg_split 0
		.amdhsa_exception_fp_ieee_invalid_op 0
		.amdhsa_exception_fp_denorm_src 0
		.amdhsa_exception_fp_ieee_div_zero 0
		.amdhsa_exception_fp_ieee_overflow 0
		.amdhsa_exception_fp_ieee_underflow 0
		.amdhsa_exception_fp_ieee_inexact 0
		.amdhsa_exception_int_div_zero 0
	.end_amdhsa_kernel
	.section	.text._ZN7rocprim17ROCPRIM_400000_NS6detail17trampoline_kernelINS0_14default_configENS1_35adjacent_difference_config_selectorILb1ElEEZNS1_24adjacent_difference_implIS3_Lb1ELb0EPlS7_ZN2at6native12_GLOBAL__N_124unique_dim_cuda_templateIaEESt5tupleIJNS8_6TensorESD_SD_EERKSD_lbbbEUlllE1_EE10hipError_tPvRmT2_T3_mT4_P12ihipStream_tbEUlT_E_NS1_11comp_targetILNS1_3genE0ELNS1_11target_archE4294967295ELNS1_3gpuE0ELNS1_3repE0EEENS1_30default_config_static_selectorELNS0_4arch9wavefront6targetE1EEEvT1_,"axG",@progbits,_ZN7rocprim17ROCPRIM_400000_NS6detail17trampoline_kernelINS0_14default_configENS1_35adjacent_difference_config_selectorILb1ElEEZNS1_24adjacent_difference_implIS3_Lb1ELb0EPlS7_ZN2at6native12_GLOBAL__N_124unique_dim_cuda_templateIaEESt5tupleIJNS8_6TensorESD_SD_EERKSD_lbbbEUlllE1_EE10hipError_tPvRmT2_T3_mT4_P12ihipStream_tbEUlT_E_NS1_11comp_targetILNS1_3genE0ELNS1_11target_archE4294967295ELNS1_3gpuE0ELNS1_3repE0EEENS1_30default_config_static_selectorELNS0_4arch9wavefront6targetE1EEEvT1_,comdat
.Lfunc_end311:
	.size	_ZN7rocprim17ROCPRIM_400000_NS6detail17trampoline_kernelINS0_14default_configENS1_35adjacent_difference_config_selectorILb1ElEEZNS1_24adjacent_difference_implIS3_Lb1ELb0EPlS7_ZN2at6native12_GLOBAL__N_124unique_dim_cuda_templateIaEESt5tupleIJNS8_6TensorESD_SD_EERKSD_lbbbEUlllE1_EE10hipError_tPvRmT2_T3_mT4_P12ihipStream_tbEUlT_E_NS1_11comp_targetILNS1_3genE0ELNS1_11target_archE4294967295ELNS1_3gpuE0ELNS1_3repE0EEENS1_30default_config_static_selectorELNS0_4arch9wavefront6targetE1EEEvT1_, .Lfunc_end311-_ZN7rocprim17ROCPRIM_400000_NS6detail17trampoline_kernelINS0_14default_configENS1_35adjacent_difference_config_selectorILb1ElEEZNS1_24adjacent_difference_implIS3_Lb1ELb0EPlS7_ZN2at6native12_GLOBAL__N_124unique_dim_cuda_templateIaEESt5tupleIJNS8_6TensorESD_SD_EERKSD_lbbbEUlllE1_EE10hipError_tPvRmT2_T3_mT4_P12ihipStream_tbEUlT_E_NS1_11comp_targetILNS1_3genE0ELNS1_11target_archE4294967295ELNS1_3gpuE0ELNS1_3repE0EEENS1_30default_config_static_selectorELNS0_4arch9wavefront6targetE1EEEvT1_
                                        ; -- End function
	.section	.AMDGPU.csdata,"",@progbits
; Kernel info:
; codeLenInByte = 0
; NumSgprs: 4
; NumVgprs: 0
; NumAgprs: 0
; TotalNumVgprs: 0
; ScratchSize: 0
; MemoryBound: 0
; FloatMode: 240
; IeeeMode: 1
; LDSByteSize: 0 bytes/workgroup (compile time only)
; SGPRBlocks: 0
; VGPRBlocks: 0
; NumSGPRsForWavesPerEU: 4
; NumVGPRsForWavesPerEU: 1
; AccumOffset: 4
; Occupancy: 8
; WaveLimiterHint : 0
; COMPUTE_PGM_RSRC2:SCRATCH_EN: 0
; COMPUTE_PGM_RSRC2:USER_SGPR: 6
; COMPUTE_PGM_RSRC2:TRAP_HANDLER: 0
; COMPUTE_PGM_RSRC2:TGID_X_EN: 1
; COMPUTE_PGM_RSRC2:TGID_Y_EN: 0
; COMPUTE_PGM_RSRC2:TGID_Z_EN: 0
; COMPUTE_PGM_RSRC2:TIDIG_COMP_CNT: 0
; COMPUTE_PGM_RSRC3_GFX90A:ACCUM_OFFSET: 0
; COMPUTE_PGM_RSRC3_GFX90A:TG_SPLIT: 0
	.section	.text._ZN7rocprim17ROCPRIM_400000_NS6detail17trampoline_kernelINS0_14default_configENS1_35adjacent_difference_config_selectorILb1ElEEZNS1_24adjacent_difference_implIS3_Lb1ELb0EPlS7_ZN2at6native12_GLOBAL__N_124unique_dim_cuda_templateIaEESt5tupleIJNS8_6TensorESD_SD_EERKSD_lbbbEUlllE1_EE10hipError_tPvRmT2_T3_mT4_P12ihipStream_tbEUlT_E_NS1_11comp_targetILNS1_3genE10ELNS1_11target_archE1201ELNS1_3gpuE5ELNS1_3repE0EEENS1_30default_config_static_selectorELNS0_4arch9wavefront6targetE1EEEvT1_,"axG",@progbits,_ZN7rocprim17ROCPRIM_400000_NS6detail17trampoline_kernelINS0_14default_configENS1_35adjacent_difference_config_selectorILb1ElEEZNS1_24adjacent_difference_implIS3_Lb1ELb0EPlS7_ZN2at6native12_GLOBAL__N_124unique_dim_cuda_templateIaEESt5tupleIJNS8_6TensorESD_SD_EERKSD_lbbbEUlllE1_EE10hipError_tPvRmT2_T3_mT4_P12ihipStream_tbEUlT_E_NS1_11comp_targetILNS1_3genE10ELNS1_11target_archE1201ELNS1_3gpuE5ELNS1_3repE0EEENS1_30default_config_static_selectorELNS0_4arch9wavefront6targetE1EEEvT1_,comdat
	.globl	_ZN7rocprim17ROCPRIM_400000_NS6detail17trampoline_kernelINS0_14default_configENS1_35adjacent_difference_config_selectorILb1ElEEZNS1_24adjacent_difference_implIS3_Lb1ELb0EPlS7_ZN2at6native12_GLOBAL__N_124unique_dim_cuda_templateIaEESt5tupleIJNS8_6TensorESD_SD_EERKSD_lbbbEUlllE1_EE10hipError_tPvRmT2_T3_mT4_P12ihipStream_tbEUlT_E_NS1_11comp_targetILNS1_3genE10ELNS1_11target_archE1201ELNS1_3gpuE5ELNS1_3repE0EEENS1_30default_config_static_selectorELNS0_4arch9wavefront6targetE1EEEvT1_ ; -- Begin function _ZN7rocprim17ROCPRIM_400000_NS6detail17trampoline_kernelINS0_14default_configENS1_35adjacent_difference_config_selectorILb1ElEEZNS1_24adjacent_difference_implIS3_Lb1ELb0EPlS7_ZN2at6native12_GLOBAL__N_124unique_dim_cuda_templateIaEESt5tupleIJNS8_6TensorESD_SD_EERKSD_lbbbEUlllE1_EE10hipError_tPvRmT2_T3_mT4_P12ihipStream_tbEUlT_E_NS1_11comp_targetILNS1_3genE10ELNS1_11target_archE1201ELNS1_3gpuE5ELNS1_3repE0EEENS1_30default_config_static_selectorELNS0_4arch9wavefront6targetE1EEEvT1_
	.p2align	8
	.type	_ZN7rocprim17ROCPRIM_400000_NS6detail17trampoline_kernelINS0_14default_configENS1_35adjacent_difference_config_selectorILb1ElEEZNS1_24adjacent_difference_implIS3_Lb1ELb0EPlS7_ZN2at6native12_GLOBAL__N_124unique_dim_cuda_templateIaEESt5tupleIJNS8_6TensorESD_SD_EERKSD_lbbbEUlllE1_EE10hipError_tPvRmT2_T3_mT4_P12ihipStream_tbEUlT_E_NS1_11comp_targetILNS1_3genE10ELNS1_11target_archE1201ELNS1_3gpuE5ELNS1_3repE0EEENS1_30default_config_static_selectorELNS0_4arch9wavefront6targetE1EEEvT1_,@function
_ZN7rocprim17ROCPRIM_400000_NS6detail17trampoline_kernelINS0_14default_configENS1_35adjacent_difference_config_selectorILb1ElEEZNS1_24adjacent_difference_implIS3_Lb1ELb0EPlS7_ZN2at6native12_GLOBAL__N_124unique_dim_cuda_templateIaEESt5tupleIJNS8_6TensorESD_SD_EERKSD_lbbbEUlllE1_EE10hipError_tPvRmT2_T3_mT4_P12ihipStream_tbEUlT_E_NS1_11comp_targetILNS1_3genE10ELNS1_11target_archE1201ELNS1_3gpuE5ELNS1_3repE0EEENS1_30default_config_static_selectorELNS0_4arch9wavefront6targetE1EEEvT1_: ; @_ZN7rocprim17ROCPRIM_400000_NS6detail17trampoline_kernelINS0_14default_configENS1_35adjacent_difference_config_selectorILb1ElEEZNS1_24adjacent_difference_implIS3_Lb1ELb0EPlS7_ZN2at6native12_GLOBAL__N_124unique_dim_cuda_templateIaEESt5tupleIJNS8_6TensorESD_SD_EERKSD_lbbbEUlllE1_EE10hipError_tPvRmT2_T3_mT4_P12ihipStream_tbEUlT_E_NS1_11comp_targetILNS1_3genE10ELNS1_11target_archE1201ELNS1_3gpuE5ELNS1_3repE0EEENS1_30default_config_static_selectorELNS0_4arch9wavefront6targetE1EEEvT1_
; %bb.0:
	.section	.rodata,"a",@progbits
	.p2align	6, 0x0
	.amdhsa_kernel _ZN7rocprim17ROCPRIM_400000_NS6detail17trampoline_kernelINS0_14default_configENS1_35adjacent_difference_config_selectorILb1ElEEZNS1_24adjacent_difference_implIS3_Lb1ELb0EPlS7_ZN2at6native12_GLOBAL__N_124unique_dim_cuda_templateIaEESt5tupleIJNS8_6TensorESD_SD_EERKSD_lbbbEUlllE1_EE10hipError_tPvRmT2_T3_mT4_P12ihipStream_tbEUlT_E_NS1_11comp_targetILNS1_3genE10ELNS1_11target_archE1201ELNS1_3gpuE5ELNS1_3repE0EEENS1_30default_config_static_selectorELNS0_4arch9wavefront6targetE1EEEvT1_
		.amdhsa_group_segment_fixed_size 0
		.amdhsa_private_segment_fixed_size 0
		.amdhsa_kernarg_size 64
		.amdhsa_user_sgpr_count 6
		.amdhsa_user_sgpr_private_segment_buffer 1
		.amdhsa_user_sgpr_dispatch_ptr 0
		.amdhsa_user_sgpr_queue_ptr 0
		.amdhsa_user_sgpr_kernarg_segment_ptr 1
		.amdhsa_user_sgpr_dispatch_id 0
		.amdhsa_user_sgpr_flat_scratch_init 0
		.amdhsa_user_sgpr_kernarg_preload_length 0
		.amdhsa_user_sgpr_kernarg_preload_offset 0
		.amdhsa_user_sgpr_private_segment_size 0
		.amdhsa_uses_dynamic_stack 0
		.amdhsa_system_sgpr_private_segment_wavefront_offset 0
		.amdhsa_system_sgpr_workgroup_id_x 1
		.amdhsa_system_sgpr_workgroup_id_y 0
		.amdhsa_system_sgpr_workgroup_id_z 0
		.amdhsa_system_sgpr_workgroup_info 0
		.amdhsa_system_vgpr_workitem_id 0
		.amdhsa_next_free_vgpr 1
		.amdhsa_next_free_sgpr 0
		.amdhsa_accum_offset 4
		.amdhsa_reserve_vcc 0
		.amdhsa_reserve_flat_scratch 0
		.amdhsa_float_round_mode_32 0
		.amdhsa_float_round_mode_16_64 0
		.amdhsa_float_denorm_mode_32 3
		.amdhsa_float_denorm_mode_16_64 3
		.amdhsa_dx10_clamp 1
		.amdhsa_ieee_mode 1
		.amdhsa_fp16_overflow 0
		.amdhsa_tg_split 0
		.amdhsa_exception_fp_ieee_invalid_op 0
		.amdhsa_exception_fp_denorm_src 0
		.amdhsa_exception_fp_ieee_div_zero 0
		.amdhsa_exception_fp_ieee_overflow 0
		.amdhsa_exception_fp_ieee_underflow 0
		.amdhsa_exception_fp_ieee_inexact 0
		.amdhsa_exception_int_div_zero 0
	.end_amdhsa_kernel
	.section	.text._ZN7rocprim17ROCPRIM_400000_NS6detail17trampoline_kernelINS0_14default_configENS1_35adjacent_difference_config_selectorILb1ElEEZNS1_24adjacent_difference_implIS3_Lb1ELb0EPlS7_ZN2at6native12_GLOBAL__N_124unique_dim_cuda_templateIaEESt5tupleIJNS8_6TensorESD_SD_EERKSD_lbbbEUlllE1_EE10hipError_tPvRmT2_T3_mT4_P12ihipStream_tbEUlT_E_NS1_11comp_targetILNS1_3genE10ELNS1_11target_archE1201ELNS1_3gpuE5ELNS1_3repE0EEENS1_30default_config_static_selectorELNS0_4arch9wavefront6targetE1EEEvT1_,"axG",@progbits,_ZN7rocprim17ROCPRIM_400000_NS6detail17trampoline_kernelINS0_14default_configENS1_35adjacent_difference_config_selectorILb1ElEEZNS1_24adjacent_difference_implIS3_Lb1ELb0EPlS7_ZN2at6native12_GLOBAL__N_124unique_dim_cuda_templateIaEESt5tupleIJNS8_6TensorESD_SD_EERKSD_lbbbEUlllE1_EE10hipError_tPvRmT2_T3_mT4_P12ihipStream_tbEUlT_E_NS1_11comp_targetILNS1_3genE10ELNS1_11target_archE1201ELNS1_3gpuE5ELNS1_3repE0EEENS1_30default_config_static_selectorELNS0_4arch9wavefront6targetE1EEEvT1_,comdat
.Lfunc_end312:
	.size	_ZN7rocprim17ROCPRIM_400000_NS6detail17trampoline_kernelINS0_14default_configENS1_35adjacent_difference_config_selectorILb1ElEEZNS1_24adjacent_difference_implIS3_Lb1ELb0EPlS7_ZN2at6native12_GLOBAL__N_124unique_dim_cuda_templateIaEESt5tupleIJNS8_6TensorESD_SD_EERKSD_lbbbEUlllE1_EE10hipError_tPvRmT2_T3_mT4_P12ihipStream_tbEUlT_E_NS1_11comp_targetILNS1_3genE10ELNS1_11target_archE1201ELNS1_3gpuE5ELNS1_3repE0EEENS1_30default_config_static_selectorELNS0_4arch9wavefront6targetE1EEEvT1_, .Lfunc_end312-_ZN7rocprim17ROCPRIM_400000_NS6detail17trampoline_kernelINS0_14default_configENS1_35adjacent_difference_config_selectorILb1ElEEZNS1_24adjacent_difference_implIS3_Lb1ELb0EPlS7_ZN2at6native12_GLOBAL__N_124unique_dim_cuda_templateIaEESt5tupleIJNS8_6TensorESD_SD_EERKSD_lbbbEUlllE1_EE10hipError_tPvRmT2_T3_mT4_P12ihipStream_tbEUlT_E_NS1_11comp_targetILNS1_3genE10ELNS1_11target_archE1201ELNS1_3gpuE5ELNS1_3repE0EEENS1_30default_config_static_selectorELNS0_4arch9wavefront6targetE1EEEvT1_
                                        ; -- End function
	.section	.AMDGPU.csdata,"",@progbits
; Kernel info:
; codeLenInByte = 0
; NumSgprs: 4
; NumVgprs: 0
; NumAgprs: 0
; TotalNumVgprs: 0
; ScratchSize: 0
; MemoryBound: 0
; FloatMode: 240
; IeeeMode: 1
; LDSByteSize: 0 bytes/workgroup (compile time only)
; SGPRBlocks: 0
; VGPRBlocks: 0
; NumSGPRsForWavesPerEU: 4
; NumVGPRsForWavesPerEU: 1
; AccumOffset: 4
; Occupancy: 8
; WaveLimiterHint : 0
; COMPUTE_PGM_RSRC2:SCRATCH_EN: 0
; COMPUTE_PGM_RSRC2:USER_SGPR: 6
; COMPUTE_PGM_RSRC2:TRAP_HANDLER: 0
; COMPUTE_PGM_RSRC2:TGID_X_EN: 1
; COMPUTE_PGM_RSRC2:TGID_Y_EN: 0
; COMPUTE_PGM_RSRC2:TGID_Z_EN: 0
; COMPUTE_PGM_RSRC2:TIDIG_COMP_CNT: 0
; COMPUTE_PGM_RSRC3_GFX90A:ACCUM_OFFSET: 0
; COMPUTE_PGM_RSRC3_GFX90A:TG_SPLIT: 0
	.section	.text._ZN7rocprim17ROCPRIM_400000_NS6detail17trampoline_kernelINS0_14default_configENS1_35adjacent_difference_config_selectorILb1ElEEZNS1_24adjacent_difference_implIS3_Lb1ELb0EPlS7_ZN2at6native12_GLOBAL__N_124unique_dim_cuda_templateIaEESt5tupleIJNS8_6TensorESD_SD_EERKSD_lbbbEUlllE1_EE10hipError_tPvRmT2_T3_mT4_P12ihipStream_tbEUlT_E_NS1_11comp_targetILNS1_3genE5ELNS1_11target_archE942ELNS1_3gpuE9ELNS1_3repE0EEENS1_30default_config_static_selectorELNS0_4arch9wavefront6targetE1EEEvT1_,"axG",@progbits,_ZN7rocprim17ROCPRIM_400000_NS6detail17trampoline_kernelINS0_14default_configENS1_35adjacent_difference_config_selectorILb1ElEEZNS1_24adjacent_difference_implIS3_Lb1ELb0EPlS7_ZN2at6native12_GLOBAL__N_124unique_dim_cuda_templateIaEESt5tupleIJNS8_6TensorESD_SD_EERKSD_lbbbEUlllE1_EE10hipError_tPvRmT2_T3_mT4_P12ihipStream_tbEUlT_E_NS1_11comp_targetILNS1_3genE5ELNS1_11target_archE942ELNS1_3gpuE9ELNS1_3repE0EEENS1_30default_config_static_selectorELNS0_4arch9wavefront6targetE1EEEvT1_,comdat
	.globl	_ZN7rocprim17ROCPRIM_400000_NS6detail17trampoline_kernelINS0_14default_configENS1_35adjacent_difference_config_selectorILb1ElEEZNS1_24adjacent_difference_implIS3_Lb1ELb0EPlS7_ZN2at6native12_GLOBAL__N_124unique_dim_cuda_templateIaEESt5tupleIJNS8_6TensorESD_SD_EERKSD_lbbbEUlllE1_EE10hipError_tPvRmT2_T3_mT4_P12ihipStream_tbEUlT_E_NS1_11comp_targetILNS1_3genE5ELNS1_11target_archE942ELNS1_3gpuE9ELNS1_3repE0EEENS1_30default_config_static_selectorELNS0_4arch9wavefront6targetE1EEEvT1_ ; -- Begin function _ZN7rocprim17ROCPRIM_400000_NS6detail17trampoline_kernelINS0_14default_configENS1_35adjacent_difference_config_selectorILb1ElEEZNS1_24adjacent_difference_implIS3_Lb1ELb0EPlS7_ZN2at6native12_GLOBAL__N_124unique_dim_cuda_templateIaEESt5tupleIJNS8_6TensorESD_SD_EERKSD_lbbbEUlllE1_EE10hipError_tPvRmT2_T3_mT4_P12ihipStream_tbEUlT_E_NS1_11comp_targetILNS1_3genE5ELNS1_11target_archE942ELNS1_3gpuE9ELNS1_3repE0EEENS1_30default_config_static_selectorELNS0_4arch9wavefront6targetE1EEEvT1_
	.p2align	8
	.type	_ZN7rocprim17ROCPRIM_400000_NS6detail17trampoline_kernelINS0_14default_configENS1_35adjacent_difference_config_selectorILb1ElEEZNS1_24adjacent_difference_implIS3_Lb1ELb0EPlS7_ZN2at6native12_GLOBAL__N_124unique_dim_cuda_templateIaEESt5tupleIJNS8_6TensorESD_SD_EERKSD_lbbbEUlllE1_EE10hipError_tPvRmT2_T3_mT4_P12ihipStream_tbEUlT_E_NS1_11comp_targetILNS1_3genE5ELNS1_11target_archE942ELNS1_3gpuE9ELNS1_3repE0EEENS1_30default_config_static_selectorELNS0_4arch9wavefront6targetE1EEEvT1_,@function
_ZN7rocprim17ROCPRIM_400000_NS6detail17trampoline_kernelINS0_14default_configENS1_35adjacent_difference_config_selectorILb1ElEEZNS1_24adjacent_difference_implIS3_Lb1ELb0EPlS7_ZN2at6native12_GLOBAL__N_124unique_dim_cuda_templateIaEESt5tupleIJNS8_6TensorESD_SD_EERKSD_lbbbEUlllE1_EE10hipError_tPvRmT2_T3_mT4_P12ihipStream_tbEUlT_E_NS1_11comp_targetILNS1_3genE5ELNS1_11target_archE942ELNS1_3gpuE9ELNS1_3repE0EEENS1_30default_config_static_selectorELNS0_4arch9wavefront6targetE1EEEvT1_: ; @_ZN7rocprim17ROCPRIM_400000_NS6detail17trampoline_kernelINS0_14default_configENS1_35adjacent_difference_config_selectorILb1ElEEZNS1_24adjacent_difference_implIS3_Lb1ELb0EPlS7_ZN2at6native12_GLOBAL__N_124unique_dim_cuda_templateIaEESt5tupleIJNS8_6TensorESD_SD_EERKSD_lbbbEUlllE1_EE10hipError_tPvRmT2_T3_mT4_P12ihipStream_tbEUlT_E_NS1_11comp_targetILNS1_3genE5ELNS1_11target_archE942ELNS1_3gpuE9ELNS1_3repE0EEENS1_30default_config_static_selectorELNS0_4arch9wavefront6targetE1EEEvT1_
; %bb.0:
	.section	.rodata,"a",@progbits
	.p2align	6, 0x0
	.amdhsa_kernel _ZN7rocprim17ROCPRIM_400000_NS6detail17trampoline_kernelINS0_14default_configENS1_35adjacent_difference_config_selectorILb1ElEEZNS1_24adjacent_difference_implIS3_Lb1ELb0EPlS7_ZN2at6native12_GLOBAL__N_124unique_dim_cuda_templateIaEESt5tupleIJNS8_6TensorESD_SD_EERKSD_lbbbEUlllE1_EE10hipError_tPvRmT2_T3_mT4_P12ihipStream_tbEUlT_E_NS1_11comp_targetILNS1_3genE5ELNS1_11target_archE942ELNS1_3gpuE9ELNS1_3repE0EEENS1_30default_config_static_selectorELNS0_4arch9wavefront6targetE1EEEvT1_
		.amdhsa_group_segment_fixed_size 0
		.amdhsa_private_segment_fixed_size 0
		.amdhsa_kernarg_size 64
		.amdhsa_user_sgpr_count 6
		.amdhsa_user_sgpr_private_segment_buffer 1
		.amdhsa_user_sgpr_dispatch_ptr 0
		.amdhsa_user_sgpr_queue_ptr 0
		.amdhsa_user_sgpr_kernarg_segment_ptr 1
		.amdhsa_user_sgpr_dispatch_id 0
		.amdhsa_user_sgpr_flat_scratch_init 0
		.amdhsa_user_sgpr_kernarg_preload_length 0
		.amdhsa_user_sgpr_kernarg_preload_offset 0
		.amdhsa_user_sgpr_private_segment_size 0
		.amdhsa_uses_dynamic_stack 0
		.amdhsa_system_sgpr_private_segment_wavefront_offset 0
		.amdhsa_system_sgpr_workgroup_id_x 1
		.amdhsa_system_sgpr_workgroup_id_y 0
		.amdhsa_system_sgpr_workgroup_id_z 0
		.amdhsa_system_sgpr_workgroup_info 0
		.amdhsa_system_vgpr_workitem_id 0
		.amdhsa_next_free_vgpr 1
		.amdhsa_next_free_sgpr 0
		.amdhsa_accum_offset 4
		.amdhsa_reserve_vcc 0
		.amdhsa_reserve_flat_scratch 0
		.amdhsa_float_round_mode_32 0
		.amdhsa_float_round_mode_16_64 0
		.amdhsa_float_denorm_mode_32 3
		.amdhsa_float_denorm_mode_16_64 3
		.amdhsa_dx10_clamp 1
		.amdhsa_ieee_mode 1
		.amdhsa_fp16_overflow 0
		.amdhsa_tg_split 0
		.amdhsa_exception_fp_ieee_invalid_op 0
		.amdhsa_exception_fp_denorm_src 0
		.amdhsa_exception_fp_ieee_div_zero 0
		.amdhsa_exception_fp_ieee_overflow 0
		.amdhsa_exception_fp_ieee_underflow 0
		.amdhsa_exception_fp_ieee_inexact 0
		.amdhsa_exception_int_div_zero 0
	.end_amdhsa_kernel
	.section	.text._ZN7rocprim17ROCPRIM_400000_NS6detail17trampoline_kernelINS0_14default_configENS1_35adjacent_difference_config_selectorILb1ElEEZNS1_24adjacent_difference_implIS3_Lb1ELb0EPlS7_ZN2at6native12_GLOBAL__N_124unique_dim_cuda_templateIaEESt5tupleIJNS8_6TensorESD_SD_EERKSD_lbbbEUlllE1_EE10hipError_tPvRmT2_T3_mT4_P12ihipStream_tbEUlT_E_NS1_11comp_targetILNS1_3genE5ELNS1_11target_archE942ELNS1_3gpuE9ELNS1_3repE0EEENS1_30default_config_static_selectorELNS0_4arch9wavefront6targetE1EEEvT1_,"axG",@progbits,_ZN7rocprim17ROCPRIM_400000_NS6detail17trampoline_kernelINS0_14default_configENS1_35adjacent_difference_config_selectorILb1ElEEZNS1_24adjacent_difference_implIS3_Lb1ELb0EPlS7_ZN2at6native12_GLOBAL__N_124unique_dim_cuda_templateIaEESt5tupleIJNS8_6TensorESD_SD_EERKSD_lbbbEUlllE1_EE10hipError_tPvRmT2_T3_mT4_P12ihipStream_tbEUlT_E_NS1_11comp_targetILNS1_3genE5ELNS1_11target_archE942ELNS1_3gpuE9ELNS1_3repE0EEENS1_30default_config_static_selectorELNS0_4arch9wavefront6targetE1EEEvT1_,comdat
.Lfunc_end313:
	.size	_ZN7rocprim17ROCPRIM_400000_NS6detail17trampoline_kernelINS0_14default_configENS1_35adjacent_difference_config_selectorILb1ElEEZNS1_24adjacent_difference_implIS3_Lb1ELb0EPlS7_ZN2at6native12_GLOBAL__N_124unique_dim_cuda_templateIaEESt5tupleIJNS8_6TensorESD_SD_EERKSD_lbbbEUlllE1_EE10hipError_tPvRmT2_T3_mT4_P12ihipStream_tbEUlT_E_NS1_11comp_targetILNS1_3genE5ELNS1_11target_archE942ELNS1_3gpuE9ELNS1_3repE0EEENS1_30default_config_static_selectorELNS0_4arch9wavefront6targetE1EEEvT1_, .Lfunc_end313-_ZN7rocprim17ROCPRIM_400000_NS6detail17trampoline_kernelINS0_14default_configENS1_35adjacent_difference_config_selectorILb1ElEEZNS1_24adjacent_difference_implIS3_Lb1ELb0EPlS7_ZN2at6native12_GLOBAL__N_124unique_dim_cuda_templateIaEESt5tupleIJNS8_6TensorESD_SD_EERKSD_lbbbEUlllE1_EE10hipError_tPvRmT2_T3_mT4_P12ihipStream_tbEUlT_E_NS1_11comp_targetILNS1_3genE5ELNS1_11target_archE942ELNS1_3gpuE9ELNS1_3repE0EEENS1_30default_config_static_selectorELNS0_4arch9wavefront6targetE1EEEvT1_
                                        ; -- End function
	.section	.AMDGPU.csdata,"",@progbits
; Kernel info:
; codeLenInByte = 0
; NumSgprs: 4
; NumVgprs: 0
; NumAgprs: 0
; TotalNumVgprs: 0
; ScratchSize: 0
; MemoryBound: 0
; FloatMode: 240
; IeeeMode: 1
; LDSByteSize: 0 bytes/workgroup (compile time only)
; SGPRBlocks: 0
; VGPRBlocks: 0
; NumSGPRsForWavesPerEU: 4
; NumVGPRsForWavesPerEU: 1
; AccumOffset: 4
; Occupancy: 8
; WaveLimiterHint : 0
; COMPUTE_PGM_RSRC2:SCRATCH_EN: 0
; COMPUTE_PGM_RSRC2:USER_SGPR: 6
; COMPUTE_PGM_RSRC2:TRAP_HANDLER: 0
; COMPUTE_PGM_RSRC2:TGID_X_EN: 1
; COMPUTE_PGM_RSRC2:TGID_Y_EN: 0
; COMPUTE_PGM_RSRC2:TGID_Z_EN: 0
; COMPUTE_PGM_RSRC2:TIDIG_COMP_CNT: 0
; COMPUTE_PGM_RSRC3_GFX90A:ACCUM_OFFSET: 0
; COMPUTE_PGM_RSRC3_GFX90A:TG_SPLIT: 0
	.section	.text._ZN7rocprim17ROCPRIM_400000_NS6detail17trampoline_kernelINS0_14default_configENS1_35adjacent_difference_config_selectorILb1ElEEZNS1_24adjacent_difference_implIS3_Lb1ELb0EPlS7_ZN2at6native12_GLOBAL__N_124unique_dim_cuda_templateIaEESt5tupleIJNS8_6TensorESD_SD_EERKSD_lbbbEUlllE1_EE10hipError_tPvRmT2_T3_mT4_P12ihipStream_tbEUlT_E_NS1_11comp_targetILNS1_3genE4ELNS1_11target_archE910ELNS1_3gpuE8ELNS1_3repE0EEENS1_30default_config_static_selectorELNS0_4arch9wavefront6targetE1EEEvT1_,"axG",@progbits,_ZN7rocprim17ROCPRIM_400000_NS6detail17trampoline_kernelINS0_14default_configENS1_35adjacent_difference_config_selectorILb1ElEEZNS1_24adjacent_difference_implIS3_Lb1ELb0EPlS7_ZN2at6native12_GLOBAL__N_124unique_dim_cuda_templateIaEESt5tupleIJNS8_6TensorESD_SD_EERKSD_lbbbEUlllE1_EE10hipError_tPvRmT2_T3_mT4_P12ihipStream_tbEUlT_E_NS1_11comp_targetILNS1_3genE4ELNS1_11target_archE910ELNS1_3gpuE8ELNS1_3repE0EEENS1_30default_config_static_selectorELNS0_4arch9wavefront6targetE1EEEvT1_,comdat
	.globl	_ZN7rocprim17ROCPRIM_400000_NS6detail17trampoline_kernelINS0_14default_configENS1_35adjacent_difference_config_selectorILb1ElEEZNS1_24adjacent_difference_implIS3_Lb1ELb0EPlS7_ZN2at6native12_GLOBAL__N_124unique_dim_cuda_templateIaEESt5tupleIJNS8_6TensorESD_SD_EERKSD_lbbbEUlllE1_EE10hipError_tPvRmT2_T3_mT4_P12ihipStream_tbEUlT_E_NS1_11comp_targetILNS1_3genE4ELNS1_11target_archE910ELNS1_3gpuE8ELNS1_3repE0EEENS1_30default_config_static_selectorELNS0_4arch9wavefront6targetE1EEEvT1_ ; -- Begin function _ZN7rocprim17ROCPRIM_400000_NS6detail17trampoline_kernelINS0_14default_configENS1_35adjacent_difference_config_selectorILb1ElEEZNS1_24adjacent_difference_implIS3_Lb1ELb0EPlS7_ZN2at6native12_GLOBAL__N_124unique_dim_cuda_templateIaEESt5tupleIJNS8_6TensorESD_SD_EERKSD_lbbbEUlllE1_EE10hipError_tPvRmT2_T3_mT4_P12ihipStream_tbEUlT_E_NS1_11comp_targetILNS1_3genE4ELNS1_11target_archE910ELNS1_3gpuE8ELNS1_3repE0EEENS1_30default_config_static_selectorELNS0_4arch9wavefront6targetE1EEEvT1_
	.p2align	8
	.type	_ZN7rocprim17ROCPRIM_400000_NS6detail17trampoline_kernelINS0_14default_configENS1_35adjacent_difference_config_selectorILb1ElEEZNS1_24adjacent_difference_implIS3_Lb1ELb0EPlS7_ZN2at6native12_GLOBAL__N_124unique_dim_cuda_templateIaEESt5tupleIJNS8_6TensorESD_SD_EERKSD_lbbbEUlllE1_EE10hipError_tPvRmT2_T3_mT4_P12ihipStream_tbEUlT_E_NS1_11comp_targetILNS1_3genE4ELNS1_11target_archE910ELNS1_3gpuE8ELNS1_3repE0EEENS1_30default_config_static_selectorELNS0_4arch9wavefront6targetE1EEEvT1_,@function
_ZN7rocprim17ROCPRIM_400000_NS6detail17trampoline_kernelINS0_14default_configENS1_35adjacent_difference_config_selectorILb1ElEEZNS1_24adjacent_difference_implIS3_Lb1ELb0EPlS7_ZN2at6native12_GLOBAL__N_124unique_dim_cuda_templateIaEESt5tupleIJNS8_6TensorESD_SD_EERKSD_lbbbEUlllE1_EE10hipError_tPvRmT2_T3_mT4_P12ihipStream_tbEUlT_E_NS1_11comp_targetILNS1_3genE4ELNS1_11target_archE910ELNS1_3gpuE8ELNS1_3repE0EEENS1_30default_config_static_selectorELNS0_4arch9wavefront6targetE1EEEvT1_: ; @_ZN7rocprim17ROCPRIM_400000_NS6detail17trampoline_kernelINS0_14default_configENS1_35adjacent_difference_config_selectorILb1ElEEZNS1_24adjacent_difference_implIS3_Lb1ELb0EPlS7_ZN2at6native12_GLOBAL__N_124unique_dim_cuda_templateIaEESt5tupleIJNS8_6TensorESD_SD_EERKSD_lbbbEUlllE1_EE10hipError_tPvRmT2_T3_mT4_P12ihipStream_tbEUlT_E_NS1_11comp_targetILNS1_3genE4ELNS1_11target_archE910ELNS1_3gpuE8ELNS1_3repE0EEENS1_30default_config_static_selectorELNS0_4arch9wavefront6targetE1EEEvT1_
; %bb.0:
	s_load_dwordx16 s[8:23], s[4:5], 0x0
	s_mov_b32 s27, 0
	s_waitcnt lgkmcnt(0)
	s_lshl_b64 s[10:11], s[10:11], 3
	s_add_u32 s30, s8, s10
	s_addc_u32 s31, s9, s11
	s_lshl_b32 s4, s6, 10
	s_lshr_b64 s[0:1], s[14:15], 10
	s_and_b32 s26, s14, 0x3ff
	s_cmp_lg_u64 s[26:27], 0
	s_cselect_b64 s[2:3], -1, 0
	v_cndmask_b32_e64 v1, 0, 1, s[2:3]
	v_readfirstlane_b32 s2, v1
	s_add_u32 s2, s0, s2
	s_addc_u32 s3, s1, 0
	s_add_u32 s24, s22, s6
	s_addc_u32 s25, s23, 0
	s_mov_b32 s26, s6
	s_add_u32 s6, s2, -1
	s_addc_u32 s7, s3, -1
	v_pk_mov_b32 v[2:3], s[6:7], s[6:7] op_sel:[0,1]
	v_cmp_ge_u64_e64 s[0:1], s[24:25], v[2:3]
	s_mov_b64 s[8:9], -1
	s_and_b64 vcc, exec, s[0:1]
	s_cbranch_vccz .LBB314_6
; %bb.1:
	s_lshl_b32 s5, s6, 10
	s_sub_i32 s15, s14, s5
	s_mov_b32 s5, s27
	s_lshl_b64 s[8:9], s[4:5], 3
	s_add_u32 s8, s30, s8
	s_addc_u32 s9, s31, s9
	v_cmp_gt_u32_e32 vcc, s15, v0
                                        ; implicit-def: $vgpr2_vgpr3_vgpr4_vgpr5
	s_and_saveexec_b64 s[28:29], vcc
	s_cbranch_execz .LBB314_3
; %bb.2:
	v_lshlrev_b32_e32 v1, 3, v0
	global_load_dwordx2 v[2:3], v1, s[8:9]
.LBB314_3:
	s_or_b64 exec, exec, s[28:29]
	v_or_b32_e32 v1, 0x200, v0
	v_cmp_gt_u32_e32 vcc, s15, v1
	s_and_saveexec_b64 s[28:29], vcc
	s_cbranch_execz .LBB314_5
; %bb.4:
	v_lshlrev_b32_e32 v4, 3, v1
	global_load_dwordx2 v[4:5], v4, s[8:9]
.LBB314_5:
	s_or_b64 exec, exec, s[28:29]
	v_lshrrev_b32_e32 v6, 2, v0
	v_lshrrev_b32_e32 v1, 2, v1
	v_and_b32_e32 v6, 0x78, v6
	v_lshlrev_b32_e32 v7, 3, v0
	v_and_b32_e32 v1, 0xf8, v1
	v_add_u32_e32 v6, v6, v7
	v_add_u32_e32 v1, v1, v7
	s_mov_b64 s[8:9], 0
	s_waitcnt vmcnt(0)
	ds_write_b64 v6, v[2:3]
	ds_write_b64 v1, v[4:5] offset:4096
	s_waitcnt lgkmcnt(0)
	s_barrier
.LBB314_6:
	s_and_b64 vcc, exec, s[8:9]
	v_lshlrev_b32_e32 v1, 3, v0
	s_cbranch_vccz .LBB314_8
; %bb.7:
	s_mov_b32 s5, 0
	s_lshl_b64 s[8:9], s[4:5], 3
	s_add_u32 s8, s30, s8
	s_addc_u32 s9, s31, s9
	v_mov_b32_e32 v2, s9
	v_add_co_u32_e32 v3, vcc, s8, v1
	v_addc_co_u32_e32 v4, vcc, 0, v2, vcc
	v_add_co_u32_e32 v2, vcc, 0x1000, v3
	v_addc_co_u32_e32 v3, vcc, 0, v4, vcc
	global_load_dwordx2 v[4:5], v1, s[8:9]
	global_load_dwordx2 v[6:7], v[2:3], off
	v_lshrrev_b32_e32 v2, 2, v0
	v_or_b32_e32 v3, 0x200, v0
	v_and_b32_e32 v2, 0x78, v2
	v_lshrrev_b32_e32 v3, 2, v3
	v_add_u32_e32 v2, v2, v1
	v_and_b32_e32 v3, 0xf8, v3
	v_add_u32_e32 v3, v3, v1
	s_waitcnt vmcnt(1)
	ds_write_b64 v2, v[4:5]
	s_waitcnt vmcnt(0)
	ds_write_b64 v3, v[6:7] offset:4096
	s_waitcnt lgkmcnt(0)
	s_barrier
.LBB314_8:
	v_lshlrev_b32_e32 v2, 1, v0
	v_lshrrev_b32_e32 v3, 4, v0
	v_add_lshl_u32 v2, v3, v2, 3
	ds_read2_b64 v[2:5], v2 offset1:1
	s_cmp_eq_u64 s[24:25], 0
	s_mov_b64 s[8:9], 0
	s_waitcnt lgkmcnt(0)
	s_barrier
	s_cbranch_scc1 .LBB314_17
; %bb.9:
	s_lshl_b64 s[22:23], s[22:23], 3
	s_add_u32 s5, s20, s22
	s_addc_u32 s15, s21, s23
	s_lshl_b64 s[20:21], s[26:27], 3
	s_add_u32 s5, s5, s20
	s_addc_u32 s15, s15, s21
	s_add_u32 s20, s5, -8
	s_addc_u32 s21, s15, -1
	s_load_dwordx2 s[20:21], s[20:21], 0x0
	s_cmp_lg_u64 s[24:25], s[6:7]
	s_cbranch_scc0 .LBB314_18
; %bb.10:
	v_cmp_lt_i64_e64 s[22:23], s[16:17], 1
	v_pk_mov_b32 v[8:9], 0, 0
	v_cmp_gt_i64_e64 s[8:9], s[16:17], 0
	s_and_b64 vcc, exec, s[22:23]
	ds_write_b64 v1, v[4:5]
	s_cbranch_vccnz .LBB314_21
; %bb.11:
	v_pk_mov_b32 v[8:9], s[18:19], s[18:19] op_sel:[0,1]
	v_mad_u64_u32 v[6:7], s[22:23], v4, s16, v[8:9]
	v_mul_lo_u32 v10, v4, s17
	v_mul_lo_u32 v11, v5, s16
	v_add3_u32 v7, v11, v7, v10
	v_mad_u64_u32 v[10:11], s[22:23], v2, s16, v[8:9]
	v_mul_lo_u32 v8, v2, s17
	v_mul_lo_u32 v9, v3, s16
	v_add3_u32 v11, v9, v11, v8
	global_load_ubyte v8, v[6:7], off
	global_load_ubyte v9, v[10:11], off
	s_waitcnt vmcnt(0)
	v_cmp_eq_u16_e32 vcc, v8, v9
	v_mov_b32_e32 v8, 1
	v_mov_b32_e32 v9, 0
	s_and_saveexec_b64 s[22:23], vcc
	s_cbranch_execz .LBB314_20
; %bb.12:
	s_mov_b64 s[30:31], 1
	s_mov_b64 s[26:27], 0
                                        ; implicit-def: $sgpr28_sgpr29
	s_branch .LBB314_15
.LBB314_13:                             ;   in Loop: Header=BB314_15 Depth=1
	v_mov_b32_e32 v13, s31
	v_add_co_u32_e32 v8, vcc, s30, v6
	v_addc_co_u32_e32 v9, vcc, v7, v13, vcc
	v_add_co_u32_e32 v12, vcc, s30, v10
	v_addc_co_u32_e32 v13, vcc, v11, v13, vcc
	global_load_ubyte v14, v[8:9], off
	global_load_ubyte v15, v[12:13], off
	s_add_u32 s34, s30, 1
	s_addc_u32 s35, s31, 0
	s_andn2_b64 s[28:29], s[28:29], exec
	s_waitcnt vmcnt(0)
	v_cmp_ne_u16_e32 vcc, v14, v15
	s_and_b64 s[36:37], vcc, exec
	s_or_b64 s[28:29], s[28:29], s[36:37]
.LBB314_14:                             ;   in Loop: Header=BB314_15 Depth=1
	s_and_b64 s[36:37], exec, s[28:29]
	s_or_b64 s[26:27], s[36:37], s[26:27]
	v_pk_mov_b32 v[8:9], s[30:31], s[30:31] op_sel:[0,1]
	s_mov_b64 s[30:31], s[34:35]
	s_andn2_b64 exec, exec, s[26:27]
	s_cbranch_execz .LBB314_19
.LBB314_15:                             ; =>This Inner Loop Header: Depth=1
	s_or_b64 s[28:29], s[28:29], exec
	s_cmp_eq_u64 s[16:17], s[30:31]
	s_cbranch_scc0 .LBB314_13
; %bb.16:                               ;   in Loop: Header=BB314_15 Depth=1
                                        ; implicit-def: $sgpr34_sgpr35
	s_mov_b64 s[30:31], s[16:17]
	s_branch .LBB314_14
.LBB314_17:
                                        ; implicit-def: $sgpr22_sgpr23
                                        ; implicit-def: $vgpr8_vgpr9
	s_cbranch_execnz .LBB314_60
	s_branch .LBB314_108
.LBB314_18:
                                        ; implicit-def: $sgpr22_sgpr23
                                        ; implicit-def: $vgpr8_vgpr9
	s_cbranch_execnz .LBB314_33
	s_branch .LBB314_59
.LBB314_19:
	s_or_b64 exec, exec, s[26:27]
	v_cmp_gt_i64_e32 vcc, s[16:17], v[8:9]
	s_mov_b32 s5, 0
	v_cndmask_b32_e64 v8, 0, 1, vcc
	v_mov_b32_e32 v9, s5
.LBB314_20:
	s_or_b64 exec, exec, s[22:23]
.LBB314_21:
	v_cmp_ne_u32_e32 vcc, 0, v0
	s_waitcnt lgkmcnt(0)
	v_pk_mov_b32 v[12:13], s[20:21], s[20:21] op_sel:[0,1]
	s_barrier
	s_and_saveexec_b64 s[22:23], vcc
	s_cbranch_execz .LBB314_23
; %bb.22:
	v_add_u32_e32 v6, -8, v1
	ds_read_b64 v[12:13], v6
.LBB314_23:
	s_or_b64 exec, exec, s[22:23]
	s_mov_b64 s[26:27], 0
	s_andn2_b64 vcc, exec, s[8:9]
	s_mov_b64 s[22:23], 0
	s_cbranch_vccnz .LBB314_32
; %bb.24:
	v_pk_mov_b32 v[10:11], s[18:19], s[18:19] op_sel:[0,1]
	v_mad_u64_u32 v[6:7], s[8:9], v2, s16, v[10:11]
	v_mul_lo_u32 v14, v2, s17
	v_mul_lo_u32 v15, v3, s16
	v_add3_u32 v7, v15, v7, v14
	s_waitcnt lgkmcnt(0)
	v_mad_u64_u32 v[10:11], s[8:9], v12, s16, v[10:11]
	v_mul_lo_u32 v12, v12, s17
	v_mul_lo_u32 v13, v13, s16
	v_add3_u32 v11, v13, v11, v12
	global_load_ubyte v12, v[6:7], off
	global_load_ubyte v13, v[10:11], off
	s_mov_b64 s[22:23], -1
	s_waitcnt vmcnt(0)
	v_cmp_eq_u16_e32 vcc, v12, v13
	s_and_saveexec_b64 s[8:9], vcc
	s_cbranch_execz .LBB314_31
; %bb.25:
	s_mov_b64 s[30:31], 1
	s_mov_b64 s[22:23], 0
                                        ; implicit-def: $sgpr28_sgpr29
	s_branch .LBB314_28
.LBB314_26:                             ;   in Loop: Header=BB314_28 Depth=1
	v_mov_b32_e32 v15, s31
	v_add_co_u32_e32 v12, vcc, s30, v6
	v_addc_co_u32_e32 v13, vcc, v7, v15, vcc
	v_add_co_u32_e32 v14, vcc, s30, v10
	v_addc_co_u32_e32 v15, vcc, v11, v15, vcc
	global_load_ubyte v16, v[12:13], off
	global_load_ubyte v17, v[14:15], off
	s_add_u32 s34, s30, 1
	s_addc_u32 s35, s31, 0
	s_andn2_b64 s[28:29], s[28:29], exec
	s_waitcnt vmcnt(0)
	v_cmp_ne_u16_e32 vcc, v16, v17
	s_and_b64 s[36:37], vcc, exec
	s_or_b64 s[28:29], s[28:29], s[36:37]
.LBB314_27:                             ;   in Loop: Header=BB314_28 Depth=1
	s_and_b64 s[36:37], exec, s[28:29]
	s_or_b64 s[22:23], s[36:37], s[22:23]
	v_pk_mov_b32 v[12:13], s[30:31], s[30:31] op_sel:[0,1]
	s_mov_b64 s[30:31], s[34:35]
	s_andn2_b64 exec, exec, s[22:23]
	s_cbranch_execz .LBB314_30
.LBB314_28:                             ; =>This Inner Loop Header: Depth=1
	s_or_b64 s[28:29], s[28:29], exec
	s_cmp_eq_u64 s[16:17], s[30:31]
	s_cbranch_scc0 .LBB314_26
; %bb.29:                               ;   in Loop: Header=BB314_28 Depth=1
                                        ; implicit-def: $sgpr34_sgpr35
	s_mov_b64 s[30:31], s[16:17]
	s_branch .LBB314_27
.LBB314_30:
	s_or_b64 exec, exec, s[22:23]
	v_cmp_gt_i64_e32 vcc, s[16:17], v[12:13]
	s_orn2_b64 s[22:23], vcc, exec
.LBB314_31:
	s_or_b64 exec, exec, s[8:9]
.LBB314_32:
	s_mov_b64 s[8:9], -1
	s_and_b64 vcc, exec, s[26:27]
	s_cbranch_vccz .LBB314_59
.LBB314_33:
	s_lshl_b32 s5, s24, 10
	v_lshlrev_b32_e32 v14, 1, v0
	s_sub_i32 s5, s14, s5
	v_or_b32_e32 v6, 1, v14
	v_cmp_gt_u32_e32 vcc, s5, v6
	v_pk_mov_b32 v[8:9], v[4:5], v[4:5] op_sel:[0,1]
	ds_write_b64 v1, v[4:5]
	v_pk_mov_b32 v[6:7], v[2:3], v[2:3] op_sel:[0,1]
	s_and_saveexec_b64 s[22:23], vcc
	s_cbranch_execz .LBB314_44
; %bb.34:
	v_cmp_lt_i64_e64 s[24:25], s[16:17], 1
	s_and_b64 vcc, exec, s[24:25]
	s_cbranch_vccnz .LBB314_41
; %bb.35:
	v_pk_mov_b32 v[8:9], s[18:19], s[18:19] op_sel:[0,1]
	v_mad_u64_u32 v[6:7], s[24:25], v4, s16, v[8:9]
	v_mul_lo_u32 v10, v4, s17
	v_mul_lo_u32 v11, v5, s16
	v_add3_u32 v7, v11, v7, v10
	v_mad_u64_u32 v[10:11], s[24:25], v2, s16, v[8:9]
	v_mul_lo_u32 v8, v2, s17
	v_mul_lo_u32 v9, v3, s16
	v_add3_u32 v11, v9, v11, v8
	global_load_ubyte v8, v[6:7], off
	global_load_ubyte v9, v[10:11], off
	s_waitcnt vmcnt(0)
	v_cmp_eq_u16_e32 vcc, v8, v9
	v_mov_b32_e32 v8, 1
	v_mov_b32_e32 v9, 0
	s_and_saveexec_b64 s[24:25], vcc
	s_cbranch_execz .LBB314_43
; %bb.36:
	s_mov_b64 s[30:31], 1
	s_mov_b64 s[26:27], 0
                                        ; implicit-def: $sgpr28_sgpr29
	s_branch .LBB314_39
.LBB314_37:                             ;   in Loop: Header=BB314_39 Depth=1
	s_waitcnt lgkmcnt(0)
	v_mov_b32_e32 v13, s31
	v_add_co_u32_e32 v8, vcc, s30, v6
	v_addc_co_u32_e32 v9, vcc, v7, v13, vcc
	v_add_co_u32_e32 v12, vcc, s30, v10
	v_addc_co_u32_e32 v13, vcc, v11, v13, vcc
	global_load_ubyte v15, v[8:9], off
	global_load_ubyte v16, v[12:13], off
	s_add_u32 s34, s30, 1
	s_addc_u32 s35, s31, 0
	s_andn2_b64 s[28:29], s[28:29], exec
	s_waitcnt vmcnt(0)
	v_cmp_ne_u16_e32 vcc, v15, v16
	s_and_b64 s[36:37], vcc, exec
	s_or_b64 s[28:29], s[28:29], s[36:37]
.LBB314_38:                             ;   in Loop: Header=BB314_39 Depth=1
	s_and_b64 s[36:37], exec, s[28:29]
	s_or_b64 s[26:27], s[36:37], s[26:27]
	v_pk_mov_b32 v[8:9], s[30:31], s[30:31] op_sel:[0,1]
	s_mov_b64 s[30:31], s[34:35]
	s_andn2_b64 exec, exec, s[26:27]
	s_cbranch_execz .LBB314_42
.LBB314_39:                             ; =>This Inner Loop Header: Depth=1
	s_or_b64 s[28:29], s[28:29], exec
	s_cmp_eq_u64 s[16:17], s[30:31]
	s_cbranch_scc0 .LBB314_37
; %bb.40:                               ;   in Loop: Header=BB314_39 Depth=1
                                        ; implicit-def: $sgpr34_sgpr35
	s_mov_b64 s[30:31], s[16:17]
	s_branch .LBB314_38
.LBB314_41:
	v_pk_mov_b32 v[8:9], 0, 0
	s_branch .LBB314_44
.LBB314_42:
	s_or_b64 exec, exec, s[26:27]
	v_cmp_gt_i64_e32 vcc, s[16:17], v[8:9]
	s_mov_b32 s7, 0
	v_cndmask_b32_e64 v8, 0, 1, vcc
	v_mov_b32_e32 v9, s7
.LBB314_43:
	s_or_b64 exec, exec, s[24:25]
.LBB314_44:
	s_or_b64 exec, exec, s[22:23]
	v_cmp_ne_u32_e32 vcc, 0, v0
	s_waitcnt lgkmcnt(0)
	v_pk_mov_b32 v[12:13], s[20:21], s[20:21] op_sel:[0,1]
	s_barrier
	s_and_saveexec_b64 s[20:21], vcc
	s_cbranch_execz .LBB314_46
; %bb.45:
	v_add_u32_e32 v6, -8, v1
	ds_read_b64 v[12:13], v6
.LBB314_46:
	s_or_b64 exec, exec, s[20:21]
	v_cmp_gt_u32_e32 vcc, s5, v14
                                        ; implicit-def: $sgpr22_sgpr23
	s_and_saveexec_b64 s[20:21], vcc
	s_cbranch_execz .LBB314_58
; %bb.47:
	v_cmp_lt_i64_e64 s[22:23], s[16:17], 1
	s_and_b64 vcc, exec, s[22:23]
	s_cbranch_vccnz .LBB314_54
; %bb.48:
	v_pk_mov_b32 v[10:11], s[18:19], s[18:19] op_sel:[0,1]
	v_mad_u64_u32 v[6:7], s[22:23], v2, s16, v[10:11]
	v_mul_lo_u32 v14, v2, s17
	v_mul_lo_u32 v15, v3, s16
	v_add3_u32 v7, v15, v7, v14
	s_waitcnt lgkmcnt(0)
	v_mad_u64_u32 v[10:11], s[22:23], v12, s16, v[10:11]
	v_mul_lo_u32 v12, v12, s17
	v_mul_lo_u32 v13, v13, s16
	v_add3_u32 v11, v13, v11, v12
	global_load_ubyte v12, v[6:7], off
	global_load_ubyte v13, v[10:11], off
	s_mov_b64 s[24:25], -1
	s_waitcnt vmcnt(0)
	v_cmp_eq_u16_e32 vcc, v12, v13
	s_and_saveexec_b64 s[22:23], vcc
	s_cbranch_execz .LBB314_56
; %bb.49:
	s_mov_b64 s[28:29], 1
	s_mov_b64 s[24:25], 0
                                        ; implicit-def: $sgpr26_sgpr27
	s_branch .LBB314_52
.LBB314_50:                             ;   in Loop: Header=BB314_52 Depth=1
	v_mov_b32_e32 v15, s29
	v_add_co_u32_e32 v12, vcc, s28, v6
	v_addc_co_u32_e32 v13, vcc, v7, v15, vcc
	v_add_co_u32_e32 v14, vcc, s28, v10
	v_addc_co_u32_e32 v15, vcc, v11, v15, vcc
	global_load_ubyte v16, v[12:13], off
	global_load_ubyte v17, v[14:15], off
	s_add_u32 s30, s28, 1
	s_addc_u32 s31, s29, 0
	s_andn2_b64 s[26:27], s[26:27], exec
	s_waitcnt vmcnt(0)
	v_cmp_ne_u16_e32 vcc, v16, v17
	s_and_b64 s[34:35], vcc, exec
	s_or_b64 s[26:27], s[26:27], s[34:35]
.LBB314_51:                             ;   in Loop: Header=BB314_52 Depth=1
	s_and_b64 s[34:35], exec, s[26:27]
	s_or_b64 s[24:25], s[34:35], s[24:25]
	v_pk_mov_b32 v[12:13], s[28:29], s[28:29] op_sel:[0,1]
	s_mov_b64 s[28:29], s[30:31]
	s_andn2_b64 exec, exec, s[24:25]
	s_cbranch_execz .LBB314_55
.LBB314_52:                             ; =>This Inner Loop Header: Depth=1
	s_or_b64 s[26:27], s[26:27], exec
	s_cmp_eq_u64 s[16:17], s[28:29]
	s_cbranch_scc0 .LBB314_50
; %bb.53:                               ;   in Loop: Header=BB314_52 Depth=1
                                        ; implicit-def: $sgpr30_sgpr31
	s_mov_b64 s[28:29], s[16:17]
	s_branch .LBB314_51
.LBB314_54:
	s_mov_b64 s[24:25], 0
	s_branch .LBB314_57
.LBB314_55:
	s_or_b64 exec, exec, s[24:25]
	v_cmp_gt_i64_e32 vcc, s[16:17], v[12:13]
	s_orn2_b64 s[24:25], vcc, exec
.LBB314_56:
	s_or_b64 exec, exec, s[22:23]
.LBB314_57:
	s_and_b64 s[22:23], s[24:25], exec
	s_or_b64 s[8:9], s[8:9], exec
.LBB314_58:
	s_or_b64 exec, exec, s[20:21]
.LBB314_59:
	s_waitcnt lgkmcnt(0)
	s_branch .LBB314_108
.LBB314_60:
	s_cmp_lg_u64 s[2:3], 1
	s_cbranch_scc0 .LBB314_68
; %bb.61:
	v_cmp_lt_i64_e64 s[20:21], s[16:17], 1
	v_pk_mov_b32 v[8:9], 0, 0
	v_cmp_gt_i64_e64 s[2:3], s[16:17], 0
	s_and_b64 vcc, exec, s[20:21]
	ds_write_b64 v1, v[4:5]
	s_cbranch_vccnz .LBB314_71
; %bb.62:
	v_pk_mov_b32 v[8:9], s[18:19], s[18:19] op_sel:[0,1]
	v_mad_u64_u32 v[6:7], s[20:21], v4, s16, v[8:9]
	v_mul_lo_u32 v10, v4, s17
	v_mul_lo_u32 v11, v5, s16
	v_add3_u32 v7, v11, v7, v10
	v_mad_u64_u32 v[10:11], s[20:21], v2, s16, v[8:9]
	v_mul_lo_u32 v8, v2, s17
	v_mul_lo_u32 v9, v3, s16
	v_add3_u32 v11, v9, v11, v8
	global_load_ubyte v8, v[6:7], off
	global_load_ubyte v9, v[10:11], off
	s_waitcnt vmcnt(0)
	v_cmp_eq_u16_e32 vcc, v8, v9
	v_mov_b32_e32 v8, 1
	v_mov_b32_e32 v9, 0
	s_and_saveexec_b64 s[20:21], vcc
	s_cbranch_execz .LBB314_70
; %bb.63:
	s_mov_b64 s[26:27], 1
	s_mov_b64 s[22:23], 0
                                        ; implicit-def: $sgpr24_sgpr25
	s_branch .LBB314_66
.LBB314_64:                             ;   in Loop: Header=BB314_66 Depth=1
	v_mov_b32_e32 v13, s27
	v_add_co_u32_e32 v8, vcc, s26, v6
	v_addc_co_u32_e32 v9, vcc, v7, v13, vcc
	v_add_co_u32_e32 v12, vcc, s26, v10
	v_addc_co_u32_e32 v13, vcc, v11, v13, vcc
	global_load_ubyte v14, v[8:9], off
	global_load_ubyte v15, v[12:13], off
	s_add_u32 s28, s26, 1
	s_addc_u32 s29, s27, 0
	s_andn2_b64 s[24:25], s[24:25], exec
	s_waitcnt vmcnt(0)
	v_cmp_ne_u16_e32 vcc, v14, v15
	s_and_b64 s[30:31], vcc, exec
	s_or_b64 s[24:25], s[24:25], s[30:31]
.LBB314_65:                             ;   in Loop: Header=BB314_66 Depth=1
	s_and_b64 s[30:31], exec, s[24:25]
	s_or_b64 s[22:23], s[30:31], s[22:23]
	v_pk_mov_b32 v[8:9], s[26:27], s[26:27] op_sel:[0,1]
	s_mov_b64 s[26:27], s[28:29]
	s_andn2_b64 exec, exec, s[22:23]
	s_cbranch_execz .LBB314_69
.LBB314_66:                             ; =>This Inner Loop Header: Depth=1
	s_or_b64 s[24:25], s[24:25], exec
	s_cmp_eq_u64 s[16:17], s[26:27]
	s_cbranch_scc0 .LBB314_64
; %bb.67:                               ;   in Loop: Header=BB314_66 Depth=1
                                        ; implicit-def: $sgpr28_sgpr29
	s_mov_b64 s[26:27], s[16:17]
	s_branch .LBB314_65
.LBB314_68:
                                        ; implicit-def: $sgpr22_sgpr23
                                        ; implicit-def: $vgpr8_vgpr9
	s_cbranch_execnz .LBB314_84
	s_branch .LBB314_108
.LBB314_69:
	s_or_b64 exec, exec, s[22:23]
	v_cmp_gt_i64_e32 vcc, s[16:17], v[8:9]
	s_mov_b32 s5, 0
	v_cndmask_b32_e64 v8, 0, 1, vcc
	v_mov_b32_e32 v9, s5
.LBB314_70:
	s_or_b64 exec, exec, s[20:21]
.LBB314_71:
	v_cmp_ne_u32_e32 vcc, 0, v0
	s_waitcnt lgkmcnt(0)
	s_barrier
	s_waitcnt lgkmcnt(0)
                                        ; implicit-def: $sgpr22_sgpr23
	s_and_saveexec_b64 s[20:21], vcc
	s_cbranch_execz .LBB314_83
; %bb.72:
	s_andn2_b64 vcc, exec, s[2:3]
	s_cbranch_vccnz .LBB314_79
; %bb.73:
	v_add_u32_e32 v6, -8, v1
	ds_read_b64 v[10:11], v6
	v_pk_mov_b32 v[12:13], s[18:19], s[18:19] op_sel:[0,1]
	v_mad_u64_u32 v[6:7], s[2:3], v2, s16, v[12:13]
	v_mul_lo_u32 v14, v2, s17
	v_mul_lo_u32 v15, v3, s16
	v_add3_u32 v7, v15, v7, v14
	s_waitcnt lgkmcnt(0)
	v_mul_lo_u32 v14, v10, s17
	v_mul_lo_u32 v15, v11, s16
	v_mad_u64_u32 v[10:11], s[2:3], v10, s16, v[12:13]
	v_add3_u32 v11, v15, v11, v14
	global_load_ubyte v12, v[6:7], off
	global_load_ubyte v13, v[10:11], off
	s_mov_b64 s[22:23], -1
	s_waitcnt vmcnt(0)
	v_cmp_eq_u16_e32 vcc, v12, v13
	s_and_saveexec_b64 s[2:3], vcc
	s_cbranch_execz .LBB314_81
; %bb.74:
	s_mov_b64 s[26:27], 1
	s_mov_b64 s[22:23], 0
                                        ; implicit-def: $sgpr24_sgpr25
	s_branch .LBB314_77
.LBB314_75:                             ;   in Loop: Header=BB314_77 Depth=1
	v_mov_b32_e32 v15, s27
	v_add_co_u32_e32 v12, vcc, s26, v6
	v_addc_co_u32_e32 v13, vcc, v7, v15, vcc
	v_add_co_u32_e32 v14, vcc, s26, v10
	v_addc_co_u32_e32 v15, vcc, v11, v15, vcc
	global_load_ubyte v16, v[12:13], off
	global_load_ubyte v17, v[14:15], off
	s_add_u32 s28, s26, 1
	s_addc_u32 s29, s27, 0
	s_andn2_b64 s[24:25], s[24:25], exec
	s_waitcnt vmcnt(0)
	v_cmp_ne_u16_e32 vcc, v16, v17
	s_and_b64 s[30:31], vcc, exec
	s_or_b64 s[24:25], s[24:25], s[30:31]
.LBB314_76:                             ;   in Loop: Header=BB314_77 Depth=1
	s_and_b64 s[30:31], exec, s[24:25]
	s_or_b64 s[22:23], s[30:31], s[22:23]
	v_pk_mov_b32 v[12:13], s[26:27], s[26:27] op_sel:[0,1]
	s_mov_b64 s[26:27], s[28:29]
	s_andn2_b64 exec, exec, s[22:23]
	s_cbranch_execz .LBB314_80
.LBB314_77:                             ; =>This Inner Loop Header: Depth=1
	s_or_b64 s[24:25], s[24:25], exec
	s_cmp_eq_u64 s[16:17], s[26:27]
	s_cbranch_scc0 .LBB314_75
; %bb.78:                               ;   in Loop: Header=BB314_77 Depth=1
                                        ; implicit-def: $sgpr28_sgpr29
	s_mov_b64 s[26:27], s[16:17]
	s_branch .LBB314_76
.LBB314_79:
	s_mov_b64 s[22:23], 0
	s_branch .LBB314_82
.LBB314_80:
	s_or_b64 exec, exec, s[22:23]
	v_cmp_gt_i64_e32 vcc, s[16:17], v[12:13]
	s_orn2_b64 s[22:23], vcc, exec
.LBB314_81:
	s_or_b64 exec, exec, s[2:3]
.LBB314_82:
	s_and_b64 s[22:23], s[22:23], exec
	s_or_b64 s[8:9], s[8:9], exec
.LBB314_83:
	s_or_b64 exec, exec, s[20:21]
	s_branch .LBB314_108
.LBB314_84:
	v_lshlrev_b32_e32 v10, 1, v0
	v_or_b32_e32 v6, 1, v10
	v_cmp_gt_u32_e32 vcc, s14, v6
	v_cmp_lt_i64_e64 s[20:21], s[16:17], 1
	v_pk_mov_b32 v[8:9], v[4:5], v[4:5] op_sel:[0,1]
	ds_write_b64 v1, v[4:5]
	v_pk_mov_b32 v[6:7], v[2:3], v[2:3] op_sel:[0,1]
	s_and_saveexec_b64 s[2:3], vcc
	s_cbranch_execz .LBB314_95
; %bb.85:
	s_and_b64 vcc, exec, s[20:21]
	s_cbranch_vccnz .LBB314_92
; %bb.86:
	v_pk_mov_b32 v[8:9], s[18:19], s[18:19] op_sel:[0,1]
	v_mad_u64_u32 v[6:7], s[22:23], v4, s16, v[8:9]
	v_mul_lo_u32 v4, v4, s17
	v_mul_lo_u32 v5, v5, s16
	v_add3_u32 v7, v5, v7, v4
	v_mad_u64_u32 v[4:5], s[22:23], v2, s16, v[8:9]
	v_mul_lo_u32 v8, v2, s17
	v_mul_lo_u32 v9, v3, s16
	v_add3_u32 v5, v9, v5, v8
	global_load_ubyte v8, v[6:7], off
	global_load_ubyte v9, v[4:5], off
	s_waitcnt vmcnt(0)
	v_cmp_eq_u16_e32 vcc, v8, v9
	v_mov_b32_e32 v8, 1
	v_mov_b32_e32 v9, 0
	s_and_saveexec_b64 s[22:23], vcc
	s_cbranch_execz .LBB314_94
; %bb.87:
	s_mov_b64 s[28:29], 1
	s_mov_b64 s[24:25], 0
                                        ; implicit-def: $sgpr26_sgpr27
	s_branch .LBB314_90
.LBB314_88:                             ;   in Loop: Header=BB314_90 Depth=1
	v_mov_b32_e32 v11, s29
	v_add_co_u32_e32 v8, vcc, s28, v6
	v_addc_co_u32_e32 v9, vcc, v7, v11, vcc
	v_add_co_u32_e32 v12, vcc, s28, v4
	v_addc_co_u32_e32 v13, vcc, v5, v11, vcc
	global_load_ubyte v11, v[8:9], off
	global_load_ubyte v14, v[12:13], off
	s_add_u32 s30, s28, 1
	s_addc_u32 s31, s29, 0
	s_andn2_b64 s[26:27], s[26:27], exec
	s_waitcnt vmcnt(0)
	v_cmp_ne_u16_e32 vcc, v11, v14
	s_and_b64 s[34:35], vcc, exec
	s_or_b64 s[26:27], s[26:27], s[34:35]
.LBB314_89:                             ;   in Loop: Header=BB314_90 Depth=1
	s_and_b64 s[34:35], exec, s[26:27]
	s_or_b64 s[24:25], s[34:35], s[24:25]
	v_pk_mov_b32 v[8:9], s[28:29], s[28:29] op_sel:[0,1]
	s_mov_b64 s[28:29], s[30:31]
	s_andn2_b64 exec, exec, s[24:25]
	s_cbranch_execz .LBB314_93
.LBB314_90:                             ; =>This Inner Loop Header: Depth=1
	s_or_b64 s[26:27], s[26:27], exec
	s_cmp_eq_u64 s[16:17], s[28:29]
	s_cbranch_scc0 .LBB314_88
; %bb.91:                               ;   in Loop: Header=BB314_90 Depth=1
                                        ; implicit-def: $sgpr30_sgpr31
	s_mov_b64 s[28:29], s[16:17]
	s_branch .LBB314_89
.LBB314_92:
	v_pk_mov_b32 v[8:9], 0, 0
	s_branch .LBB314_95
.LBB314_93:
	s_or_b64 exec, exec, s[24:25]
	v_cmp_gt_i64_e32 vcc, s[16:17], v[8:9]
	s_mov_b32 s5, 0
	v_cndmask_b32_e64 v8, 0, 1, vcc
	v_mov_b32_e32 v9, s5
.LBB314_94:
	s_or_b64 exec, exec, s[22:23]
.LBB314_95:
	s_or_b64 exec, exec, s[2:3]
	v_cmp_ne_u32_e32 vcc, 0, v0
	v_cmp_gt_u32_e64 s[2:3], s14, v10
	s_and_b64 s[24:25], vcc, s[2:3]
	s_waitcnt lgkmcnt(0)
	s_barrier
	s_waitcnt lgkmcnt(0)
                                        ; implicit-def: $sgpr22_sgpr23
	s_and_saveexec_b64 s[2:3], s[24:25]
	s_cbranch_execz .LBB314_107
; %bb.96:
	s_and_b64 vcc, exec, s[20:21]
	s_cbranch_vccnz .LBB314_103
; %bb.97:
	v_add_u32_e32 v4, -8, v1
	ds_read_b64 v[6:7], v4
	v_pk_mov_b32 v[10:11], s[18:19], s[18:19] op_sel:[0,1]
	v_mad_u64_u32 v[4:5], s[18:19], v2, s16, v[10:11]
	v_mul_lo_u32 v2, v2, s17
	v_mul_lo_u32 v3, v3, s16
	v_add3_u32 v5, v3, v5, v2
	s_waitcnt lgkmcnt(0)
	v_mul_lo_u32 v12, v6, s17
	v_mul_lo_u32 v7, v7, s16
	v_mad_u64_u32 v[2:3], s[18:19], v6, s16, v[10:11]
	v_add3_u32 v3, v7, v3, v12
	global_load_ubyte v6, v[4:5], off
	global_load_ubyte v7, v[2:3], off
	s_mov_b64 s[20:21], -1
	s_waitcnt vmcnt(0)
	v_cmp_eq_u16_e32 vcc, v6, v7
	s_and_saveexec_b64 s[18:19], vcc
	s_cbranch_execz .LBB314_105
; %bb.98:
	s_mov_b64 s[24:25], 1
	s_mov_b64 s[20:21], 0
                                        ; implicit-def: $sgpr22_sgpr23
	s_branch .LBB314_101
.LBB314_99:                             ;   in Loop: Header=BB314_101 Depth=1
	v_mov_b32_e32 v11, s25
	v_add_co_u32_e32 v6, vcc, s24, v4
	v_addc_co_u32_e32 v7, vcc, v5, v11, vcc
	v_add_co_u32_e32 v10, vcc, s24, v2
	v_addc_co_u32_e32 v11, vcc, v3, v11, vcc
	global_load_ubyte v12, v[6:7], off
	global_load_ubyte v13, v[10:11], off
	s_add_u32 s26, s24, 1
	s_addc_u32 s27, s25, 0
	s_andn2_b64 s[22:23], s[22:23], exec
	s_waitcnt vmcnt(0)
	v_cmp_ne_u16_e32 vcc, v12, v13
	s_and_b64 s[28:29], vcc, exec
	s_or_b64 s[22:23], s[22:23], s[28:29]
.LBB314_100:                            ;   in Loop: Header=BB314_101 Depth=1
	s_and_b64 s[28:29], exec, s[22:23]
	s_or_b64 s[20:21], s[28:29], s[20:21]
	v_pk_mov_b32 v[6:7], s[24:25], s[24:25] op_sel:[0,1]
	s_mov_b64 s[24:25], s[26:27]
	s_andn2_b64 exec, exec, s[20:21]
	s_cbranch_execz .LBB314_104
.LBB314_101:                            ; =>This Inner Loop Header: Depth=1
	s_or_b64 s[22:23], s[22:23], exec
	s_cmp_eq_u64 s[16:17], s[24:25]
	s_cbranch_scc0 .LBB314_99
; %bb.102:                              ;   in Loop: Header=BB314_101 Depth=1
                                        ; implicit-def: $sgpr26_sgpr27
	s_mov_b64 s[24:25], s[16:17]
	s_branch .LBB314_100
.LBB314_103:
	s_mov_b64 s[20:21], 0
	s_branch .LBB314_106
.LBB314_104:
	s_or_b64 exec, exec, s[20:21]
	v_cmp_gt_i64_e32 vcc, s[16:17], v[6:7]
	s_orn2_b64 s[20:21], vcc, exec
.LBB314_105:
	s_or_b64 exec, exec, s[18:19]
.LBB314_106:
	s_and_b64 s[22:23], s[20:21], exec
	s_or_b64 s[8:9], s[8:9], exec
                                        ; implicit-def: $vgpr2_vgpr3
.LBB314_107:
	s_or_b64 exec, exec, s[2:3]
.LBB314_108:
	s_and_saveexec_b64 s[2:3], s[8:9]
; %bb.109:
	s_mov_b32 s5, 0
	v_cndmask_b32_e64 v2, 0, 1, s[22:23]
	v_mov_b32_e32 v3, s5
; %bb.110:
	s_or_b64 exec, exec, s[2:3]
	s_add_u32 s7, s12, s10
	s_addc_u32 s8, s13, s11
	s_and_b64 vcc, exec, s[0:1]
	v_lshrrev_b32_e32 v10, 1, v0
	s_barrier
	s_cbranch_vccz .LBB314_114
; %bb.111:
	v_and_b32_e32 v4, 0xf8, v10
	v_lshl_add_u32 v6, v0, 4, v4
	v_mov_b32_e32 v4, v8
	v_mov_b32_e32 v5, v9
	v_or_b32_e32 v11, 0x200, v0
	s_lshl_b32 s0, s6, 10
	s_mov_b32 s5, 0
	ds_write2_b64 v6, v[2:3], v[4:5] offset1:1
	v_lshrrev_b32_e32 v4, 5, v11
	s_sub_i32 s2, s14, s0
	s_lshl_b64 s[0:1], s[4:5], 3
	v_add_lshl_u32 v4, v4, v0, 3
	s_add_u32 s0, s7, s0
	s_waitcnt lgkmcnt(0)
	s_barrier
	ds_read_b64 v[4:5], v4 offset:4096
	s_addc_u32 s1, s8, s1
	v_mov_b32_e32 v7, s1
	v_add_co_u32_e32 v6, vcc, s0, v1
	v_addc_co_u32_e32 v7, vcc, 0, v7, vcc
	v_cmp_gt_u32_e32 vcc, s2, v0
	s_and_saveexec_b64 s[0:1], vcc
	s_cbranch_execz .LBB314_113
; %bb.112:
	v_lshrrev_b32_e32 v12, 5, v0
	v_add_lshl_u32 v12, v12, v0, 3
	ds_read_b64 v[12:13], v12
	s_waitcnt lgkmcnt(0)
	global_store_dwordx2 v[6:7], v[12:13], off
.LBB314_113:
	s_or_b64 exec, exec, s[0:1]
	v_cmp_gt_u32_e64 s[0:1], s2, v11
	s_branch .LBB314_116
.LBB314_114:
	s_mov_b64 s[0:1], 0
                                        ; implicit-def: $vgpr4_vgpr5
                                        ; implicit-def: $vgpr6_vgpr7
	s_cbranch_execz .LBB314_116
; %bb.115:
	s_waitcnt lgkmcnt(0)
	v_and_b32_e32 v4, 0xf8, v10
	v_lshl_add_u32 v6, v0, 4, v4
	v_mov_b32_e32 v4, v8
	v_mov_b32_e32 v5, v9
	s_mov_b32 s5, 0
	ds_write2_b64 v6, v[2:3], v[4:5] offset1:1
	v_lshrrev_b32_e32 v2, 5, v0
	v_or_b32_e32 v3, 0x200, v0
	s_lshl_b64 s[2:3], s[4:5], 3
	v_add_lshl_u32 v2, v2, v0, 3
	v_lshrrev_b32_e32 v3, 5, v3
	s_add_u32 s2, s7, s2
	s_waitcnt lgkmcnt(0)
	s_barrier
	v_add_lshl_u32 v0, v3, v0, 3
	ds_read_b64 v[2:3], v2
	ds_read_b64 v[4:5], v0 offset:4096
	s_addc_u32 s3, s8, s3
	v_mov_b32_e32 v0, s3
	v_add_co_u32_e32 v6, vcc, s2, v1
	v_addc_co_u32_e32 v7, vcc, 0, v0, vcc
	s_or_b64 s[0:1], s[0:1], exec
	s_waitcnt lgkmcnt(1)
	global_store_dwordx2 v1, v[2:3], s[2:3]
.LBB314_116:
	s_and_saveexec_b64 s[2:3], s[0:1]
	s_cbranch_execnz .LBB314_118
; %bb.117:
	s_endpgm
.LBB314_118:
	v_add_co_u32_e32 v0, vcc, 0x1000, v6
	v_addc_co_u32_e32 v1, vcc, 0, v7, vcc
	s_waitcnt lgkmcnt(0)
	global_store_dwordx2 v[0:1], v[4:5], off
	s_endpgm
	.section	.rodata,"a",@progbits
	.p2align	6, 0x0
	.amdhsa_kernel _ZN7rocprim17ROCPRIM_400000_NS6detail17trampoline_kernelINS0_14default_configENS1_35adjacent_difference_config_selectorILb1ElEEZNS1_24adjacent_difference_implIS3_Lb1ELb0EPlS7_ZN2at6native12_GLOBAL__N_124unique_dim_cuda_templateIaEESt5tupleIJNS8_6TensorESD_SD_EERKSD_lbbbEUlllE1_EE10hipError_tPvRmT2_T3_mT4_P12ihipStream_tbEUlT_E_NS1_11comp_targetILNS1_3genE4ELNS1_11target_archE910ELNS1_3gpuE8ELNS1_3repE0EEENS1_30default_config_static_selectorELNS0_4arch9wavefront6targetE1EEEvT1_
		.amdhsa_group_segment_fixed_size 8448
		.amdhsa_private_segment_fixed_size 0
		.amdhsa_kernarg_size 64
		.amdhsa_user_sgpr_count 6
		.amdhsa_user_sgpr_private_segment_buffer 1
		.amdhsa_user_sgpr_dispatch_ptr 0
		.amdhsa_user_sgpr_queue_ptr 0
		.amdhsa_user_sgpr_kernarg_segment_ptr 1
		.amdhsa_user_sgpr_dispatch_id 0
		.amdhsa_user_sgpr_flat_scratch_init 0
		.amdhsa_user_sgpr_kernarg_preload_length 0
		.amdhsa_user_sgpr_kernarg_preload_offset 0
		.amdhsa_user_sgpr_private_segment_size 0
		.amdhsa_uses_dynamic_stack 0
		.amdhsa_system_sgpr_private_segment_wavefront_offset 0
		.amdhsa_system_sgpr_workgroup_id_x 1
		.amdhsa_system_sgpr_workgroup_id_y 0
		.amdhsa_system_sgpr_workgroup_id_z 0
		.amdhsa_system_sgpr_workgroup_info 0
		.amdhsa_system_vgpr_workitem_id 0
		.amdhsa_next_free_vgpr 18
		.amdhsa_next_free_sgpr 38
		.amdhsa_accum_offset 20
		.amdhsa_reserve_vcc 1
		.amdhsa_reserve_flat_scratch 0
		.amdhsa_float_round_mode_32 0
		.amdhsa_float_round_mode_16_64 0
		.amdhsa_float_denorm_mode_32 3
		.amdhsa_float_denorm_mode_16_64 3
		.amdhsa_dx10_clamp 1
		.amdhsa_ieee_mode 1
		.amdhsa_fp16_overflow 0
		.amdhsa_tg_split 0
		.amdhsa_exception_fp_ieee_invalid_op 0
		.amdhsa_exception_fp_denorm_src 0
		.amdhsa_exception_fp_ieee_div_zero 0
		.amdhsa_exception_fp_ieee_overflow 0
		.amdhsa_exception_fp_ieee_underflow 0
		.amdhsa_exception_fp_ieee_inexact 0
		.amdhsa_exception_int_div_zero 0
	.end_amdhsa_kernel
	.section	.text._ZN7rocprim17ROCPRIM_400000_NS6detail17trampoline_kernelINS0_14default_configENS1_35adjacent_difference_config_selectorILb1ElEEZNS1_24adjacent_difference_implIS3_Lb1ELb0EPlS7_ZN2at6native12_GLOBAL__N_124unique_dim_cuda_templateIaEESt5tupleIJNS8_6TensorESD_SD_EERKSD_lbbbEUlllE1_EE10hipError_tPvRmT2_T3_mT4_P12ihipStream_tbEUlT_E_NS1_11comp_targetILNS1_3genE4ELNS1_11target_archE910ELNS1_3gpuE8ELNS1_3repE0EEENS1_30default_config_static_selectorELNS0_4arch9wavefront6targetE1EEEvT1_,"axG",@progbits,_ZN7rocprim17ROCPRIM_400000_NS6detail17trampoline_kernelINS0_14default_configENS1_35adjacent_difference_config_selectorILb1ElEEZNS1_24adjacent_difference_implIS3_Lb1ELb0EPlS7_ZN2at6native12_GLOBAL__N_124unique_dim_cuda_templateIaEESt5tupleIJNS8_6TensorESD_SD_EERKSD_lbbbEUlllE1_EE10hipError_tPvRmT2_T3_mT4_P12ihipStream_tbEUlT_E_NS1_11comp_targetILNS1_3genE4ELNS1_11target_archE910ELNS1_3gpuE8ELNS1_3repE0EEENS1_30default_config_static_selectorELNS0_4arch9wavefront6targetE1EEEvT1_,comdat
.Lfunc_end314:
	.size	_ZN7rocprim17ROCPRIM_400000_NS6detail17trampoline_kernelINS0_14default_configENS1_35adjacent_difference_config_selectorILb1ElEEZNS1_24adjacent_difference_implIS3_Lb1ELb0EPlS7_ZN2at6native12_GLOBAL__N_124unique_dim_cuda_templateIaEESt5tupleIJNS8_6TensorESD_SD_EERKSD_lbbbEUlllE1_EE10hipError_tPvRmT2_T3_mT4_P12ihipStream_tbEUlT_E_NS1_11comp_targetILNS1_3genE4ELNS1_11target_archE910ELNS1_3gpuE8ELNS1_3repE0EEENS1_30default_config_static_selectorELNS0_4arch9wavefront6targetE1EEEvT1_, .Lfunc_end314-_ZN7rocprim17ROCPRIM_400000_NS6detail17trampoline_kernelINS0_14default_configENS1_35adjacent_difference_config_selectorILb1ElEEZNS1_24adjacent_difference_implIS3_Lb1ELb0EPlS7_ZN2at6native12_GLOBAL__N_124unique_dim_cuda_templateIaEESt5tupleIJNS8_6TensorESD_SD_EERKSD_lbbbEUlllE1_EE10hipError_tPvRmT2_T3_mT4_P12ihipStream_tbEUlT_E_NS1_11comp_targetILNS1_3genE4ELNS1_11target_archE910ELNS1_3gpuE8ELNS1_3repE0EEENS1_30default_config_static_selectorELNS0_4arch9wavefront6targetE1EEEvT1_
                                        ; -- End function
	.section	.AMDGPU.csdata,"",@progbits
; Kernel info:
; codeLenInByte = 3560
; NumSgprs: 42
; NumVgprs: 18
; NumAgprs: 0
; TotalNumVgprs: 18
; ScratchSize: 0
; MemoryBound: 0
; FloatMode: 240
; IeeeMode: 1
; LDSByteSize: 8448 bytes/workgroup (compile time only)
; SGPRBlocks: 5
; VGPRBlocks: 2
; NumSGPRsForWavesPerEU: 42
; NumVGPRsForWavesPerEU: 18
; AccumOffset: 20
; Occupancy: 8
; WaveLimiterHint : 1
; COMPUTE_PGM_RSRC2:SCRATCH_EN: 0
; COMPUTE_PGM_RSRC2:USER_SGPR: 6
; COMPUTE_PGM_RSRC2:TRAP_HANDLER: 0
; COMPUTE_PGM_RSRC2:TGID_X_EN: 1
; COMPUTE_PGM_RSRC2:TGID_Y_EN: 0
; COMPUTE_PGM_RSRC2:TGID_Z_EN: 0
; COMPUTE_PGM_RSRC2:TIDIG_COMP_CNT: 0
; COMPUTE_PGM_RSRC3_GFX90A:ACCUM_OFFSET: 4
; COMPUTE_PGM_RSRC3_GFX90A:TG_SPLIT: 0
	.section	.text._ZN7rocprim17ROCPRIM_400000_NS6detail17trampoline_kernelINS0_14default_configENS1_35adjacent_difference_config_selectorILb1ElEEZNS1_24adjacent_difference_implIS3_Lb1ELb0EPlS7_ZN2at6native12_GLOBAL__N_124unique_dim_cuda_templateIaEESt5tupleIJNS8_6TensorESD_SD_EERKSD_lbbbEUlllE1_EE10hipError_tPvRmT2_T3_mT4_P12ihipStream_tbEUlT_E_NS1_11comp_targetILNS1_3genE3ELNS1_11target_archE908ELNS1_3gpuE7ELNS1_3repE0EEENS1_30default_config_static_selectorELNS0_4arch9wavefront6targetE1EEEvT1_,"axG",@progbits,_ZN7rocprim17ROCPRIM_400000_NS6detail17trampoline_kernelINS0_14default_configENS1_35adjacent_difference_config_selectorILb1ElEEZNS1_24adjacent_difference_implIS3_Lb1ELb0EPlS7_ZN2at6native12_GLOBAL__N_124unique_dim_cuda_templateIaEESt5tupleIJNS8_6TensorESD_SD_EERKSD_lbbbEUlllE1_EE10hipError_tPvRmT2_T3_mT4_P12ihipStream_tbEUlT_E_NS1_11comp_targetILNS1_3genE3ELNS1_11target_archE908ELNS1_3gpuE7ELNS1_3repE0EEENS1_30default_config_static_selectorELNS0_4arch9wavefront6targetE1EEEvT1_,comdat
	.globl	_ZN7rocprim17ROCPRIM_400000_NS6detail17trampoline_kernelINS0_14default_configENS1_35adjacent_difference_config_selectorILb1ElEEZNS1_24adjacent_difference_implIS3_Lb1ELb0EPlS7_ZN2at6native12_GLOBAL__N_124unique_dim_cuda_templateIaEESt5tupleIJNS8_6TensorESD_SD_EERKSD_lbbbEUlllE1_EE10hipError_tPvRmT2_T3_mT4_P12ihipStream_tbEUlT_E_NS1_11comp_targetILNS1_3genE3ELNS1_11target_archE908ELNS1_3gpuE7ELNS1_3repE0EEENS1_30default_config_static_selectorELNS0_4arch9wavefront6targetE1EEEvT1_ ; -- Begin function _ZN7rocprim17ROCPRIM_400000_NS6detail17trampoline_kernelINS0_14default_configENS1_35adjacent_difference_config_selectorILb1ElEEZNS1_24adjacent_difference_implIS3_Lb1ELb0EPlS7_ZN2at6native12_GLOBAL__N_124unique_dim_cuda_templateIaEESt5tupleIJNS8_6TensorESD_SD_EERKSD_lbbbEUlllE1_EE10hipError_tPvRmT2_T3_mT4_P12ihipStream_tbEUlT_E_NS1_11comp_targetILNS1_3genE3ELNS1_11target_archE908ELNS1_3gpuE7ELNS1_3repE0EEENS1_30default_config_static_selectorELNS0_4arch9wavefront6targetE1EEEvT1_
	.p2align	8
	.type	_ZN7rocprim17ROCPRIM_400000_NS6detail17trampoline_kernelINS0_14default_configENS1_35adjacent_difference_config_selectorILb1ElEEZNS1_24adjacent_difference_implIS3_Lb1ELb0EPlS7_ZN2at6native12_GLOBAL__N_124unique_dim_cuda_templateIaEESt5tupleIJNS8_6TensorESD_SD_EERKSD_lbbbEUlllE1_EE10hipError_tPvRmT2_T3_mT4_P12ihipStream_tbEUlT_E_NS1_11comp_targetILNS1_3genE3ELNS1_11target_archE908ELNS1_3gpuE7ELNS1_3repE0EEENS1_30default_config_static_selectorELNS0_4arch9wavefront6targetE1EEEvT1_,@function
_ZN7rocprim17ROCPRIM_400000_NS6detail17trampoline_kernelINS0_14default_configENS1_35adjacent_difference_config_selectorILb1ElEEZNS1_24adjacent_difference_implIS3_Lb1ELb0EPlS7_ZN2at6native12_GLOBAL__N_124unique_dim_cuda_templateIaEESt5tupleIJNS8_6TensorESD_SD_EERKSD_lbbbEUlllE1_EE10hipError_tPvRmT2_T3_mT4_P12ihipStream_tbEUlT_E_NS1_11comp_targetILNS1_3genE3ELNS1_11target_archE908ELNS1_3gpuE7ELNS1_3repE0EEENS1_30default_config_static_selectorELNS0_4arch9wavefront6targetE1EEEvT1_: ; @_ZN7rocprim17ROCPRIM_400000_NS6detail17trampoline_kernelINS0_14default_configENS1_35adjacent_difference_config_selectorILb1ElEEZNS1_24adjacent_difference_implIS3_Lb1ELb0EPlS7_ZN2at6native12_GLOBAL__N_124unique_dim_cuda_templateIaEESt5tupleIJNS8_6TensorESD_SD_EERKSD_lbbbEUlllE1_EE10hipError_tPvRmT2_T3_mT4_P12ihipStream_tbEUlT_E_NS1_11comp_targetILNS1_3genE3ELNS1_11target_archE908ELNS1_3gpuE7ELNS1_3repE0EEENS1_30default_config_static_selectorELNS0_4arch9wavefront6targetE1EEEvT1_
; %bb.0:
	.section	.rodata,"a",@progbits
	.p2align	6, 0x0
	.amdhsa_kernel _ZN7rocprim17ROCPRIM_400000_NS6detail17trampoline_kernelINS0_14default_configENS1_35adjacent_difference_config_selectorILb1ElEEZNS1_24adjacent_difference_implIS3_Lb1ELb0EPlS7_ZN2at6native12_GLOBAL__N_124unique_dim_cuda_templateIaEESt5tupleIJNS8_6TensorESD_SD_EERKSD_lbbbEUlllE1_EE10hipError_tPvRmT2_T3_mT4_P12ihipStream_tbEUlT_E_NS1_11comp_targetILNS1_3genE3ELNS1_11target_archE908ELNS1_3gpuE7ELNS1_3repE0EEENS1_30default_config_static_selectorELNS0_4arch9wavefront6targetE1EEEvT1_
		.amdhsa_group_segment_fixed_size 0
		.amdhsa_private_segment_fixed_size 0
		.amdhsa_kernarg_size 64
		.amdhsa_user_sgpr_count 6
		.amdhsa_user_sgpr_private_segment_buffer 1
		.amdhsa_user_sgpr_dispatch_ptr 0
		.amdhsa_user_sgpr_queue_ptr 0
		.amdhsa_user_sgpr_kernarg_segment_ptr 1
		.amdhsa_user_sgpr_dispatch_id 0
		.amdhsa_user_sgpr_flat_scratch_init 0
		.amdhsa_user_sgpr_kernarg_preload_length 0
		.amdhsa_user_sgpr_kernarg_preload_offset 0
		.amdhsa_user_sgpr_private_segment_size 0
		.amdhsa_uses_dynamic_stack 0
		.amdhsa_system_sgpr_private_segment_wavefront_offset 0
		.amdhsa_system_sgpr_workgroup_id_x 1
		.amdhsa_system_sgpr_workgroup_id_y 0
		.amdhsa_system_sgpr_workgroup_id_z 0
		.amdhsa_system_sgpr_workgroup_info 0
		.amdhsa_system_vgpr_workitem_id 0
		.amdhsa_next_free_vgpr 1
		.amdhsa_next_free_sgpr 0
		.amdhsa_accum_offset 4
		.amdhsa_reserve_vcc 0
		.amdhsa_reserve_flat_scratch 0
		.amdhsa_float_round_mode_32 0
		.amdhsa_float_round_mode_16_64 0
		.amdhsa_float_denorm_mode_32 3
		.amdhsa_float_denorm_mode_16_64 3
		.amdhsa_dx10_clamp 1
		.amdhsa_ieee_mode 1
		.amdhsa_fp16_overflow 0
		.amdhsa_tg_split 0
		.amdhsa_exception_fp_ieee_invalid_op 0
		.amdhsa_exception_fp_denorm_src 0
		.amdhsa_exception_fp_ieee_div_zero 0
		.amdhsa_exception_fp_ieee_overflow 0
		.amdhsa_exception_fp_ieee_underflow 0
		.amdhsa_exception_fp_ieee_inexact 0
		.amdhsa_exception_int_div_zero 0
	.end_amdhsa_kernel
	.section	.text._ZN7rocprim17ROCPRIM_400000_NS6detail17trampoline_kernelINS0_14default_configENS1_35adjacent_difference_config_selectorILb1ElEEZNS1_24adjacent_difference_implIS3_Lb1ELb0EPlS7_ZN2at6native12_GLOBAL__N_124unique_dim_cuda_templateIaEESt5tupleIJNS8_6TensorESD_SD_EERKSD_lbbbEUlllE1_EE10hipError_tPvRmT2_T3_mT4_P12ihipStream_tbEUlT_E_NS1_11comp_targetILNS1_3genE3ELNS1_11target_archE908ELNS1_3gpuE7ELNS1_3repE0EEENS1_30default_config_static_selectorELNS0_4arch9wavefront6targetE1EEEvT1_,"axG",@progbits,_ZN7rocprim17ROCPRIM_400000_NS6detail17trampoline_kernelINS0_14default_configENS1_35adjacent_difference_config_selectorILb1ElEEZNS1_24adjacent_difference_implIS3_Lb1ELb0EPlS7_ZN2at6native12_GLOBAL__N_124unique_dim_cuda_templateIaEESt5tupleIJNS8_6TensorESD_SD_EERKSD_lbbbEUlllE1_EE10hipError_tPvRmT2_T3_mT4_P12ihipStream_tbEUlT_E_NS1_11comp_targetILNS1_3genE3ELNS1_11target_archE908ELNS1_3gpuE7ELNS1_3repE0EEENS1_30default_config_static_selectorELNS0_4arch9wavefront6targetE1EEEvT1_,comdat
.Lfunc_end315:
	.size	_ZN7rocprim17ROCPRIM_400000_NS6detail17trampoline_kernelINS0_14default_configENS1_35adjacent_difference_config_selectorILb1ElEEZNS1_24adjacent_difference_implIS3_Lb1ELb0EPlS7_ZN2at6native12_GLOBAL__N_124unique_dim_cuda_templateIaEESt5tupleIJNS8_6TensorESD_SD_EERKSD_lbbbEUlllE1_EE10hipError_tPvRmT2_T3_mT4_P12ihipStream_tbEUlT_E_NS1_11comp_targetILNS1_3genE3ELNS1_11target_archE908ELNS1_3gpuE7ELNS1_3repE0EEENS1_30default_config_static_selectorELNS0_4arch9wavefront6targetE1EEEvT1_, .Lfunc_end315-_ZN7rocprim17ROCPRIM_400000_NS6detail17trampoline_kernelINS0_14default_configENS1_35adjacent_difference_config_selectorILb1ElEEZNS1_24adjacent_difference_implIS3_Lb1ELb0EPlS7_ZN2at6native12_GLOBAL__N_124unique_dim_cuda_templateIaEESt5tupleIJNS8_6TensorESD_SD_EERKSD_lbbbEUlllE1_EE10hipError_tPvRmT2_T3_mT4_P12ihipStream_tbEUlT_E_NS1_11comp_targetILNS1_3genE3ELNS1_11target_archE908ELNS1_3gpuE7ELNS1_3repE0EEENS1_30default_config_static_selectorELNS0_4arch9wavefront6targetE1EEEvT1_
                                        ; -- End function
	.section	.AMDGPU.csdata,"",@progbits
; Kernel info:
; codeLenInByte = 0
; NumSgprs: 4
; NumVgprs: 0
; NumAgprs: 0
; TotalNumVgprs: 0
; ScratchSize: 0
; MemoryBound: 0
; FloatMode: 240
; IeeeMode: 1
; LDSByteSize: 0 bytes/workgroup (compile time only)
; SGPRBlocks: 0
; VGPRBlocks: 0
; NumSGPRsForWavesPerEU: 4
; NumVGPRsForWavesPerEU: 1
; AccumOffset: 4
; Occupancy: 8
; WaveLimiterHint : 0
; COMPUTE_PGM_RSRC2:SCRATCH_EN: 0
; COMPUTE_PGM_RSRC2:USER_SGPR: 6
; COMPUTE_PGM_RSRC2:TRAP_HANDLER: 0
; COMPUTE_PGM_RSRC2:TGID_X_EN: 1
; COMPUTE_PGM_RSRC2:TGID_Y_EN: 0
; COMPUTE_PGM_RSRC2:TGID_Z_EN: 0
; COMPUTE_PGM_RSRC2:TIDIG_COMP_CNT: 0
; COMPUTE_PGM_RSRC3_GFX90A:ACCUM_OFFSET: 0
; COMPUTE_PGM_RSRC3_GFX90A:TG_SPLIT: 0
	.section	.text._ZN7rocprim17ROCPRIM_400000_NS6detail17trampoline_kernelINS0_14default_configENS1_35adjacent_difference_config_selectorILb1ElEEZNS1_24adjacent_difference_implIS3_Lb1ELb0EPlS7_ZN2at6native12_GLOBAL__N_124unique_dim_cuda_templateIaEESt5tupleIJNS8_6TensorESD_SD_EERKSD_lbbbEUlllE1_EE10hipError_tPvRmT2_T3_mT4_P12ihipStream_tbEUlT_E_NS1_11comp_targetILNS1_3genE2ELNS1_11target_archE906ELNS1_3gpuE6ELNS1_3repE0EEENS1_30default_config_static_selectorELNS0_4arch9wavefront6targetE1EEEvT1_,"axG",@progbits,_ZN7rocprim17ROCPRIM_400000_NS6detail17trampoline_kernelINS0_14default_configENS1_35adjacent_difference_config_selectorILb1ElEEZNS1_24adjacent_difference_implIS3_Lb1ELb0EPlS7_ZN2at6native12_GLOBAL__N_124unique_dim_cuda_templateIaEESt5tupleIJNS8_6TensorESD_SD_EERKSD_lbbbEUlllE1_EE10hipError_tPvRmT2_T3_mT4_P12ihipStream_tbEUlT_E_NS1_11comp_targetILNS1_3genE2ELNS1_11target_archE906ELNS1_3gpuE6ELNS1_3repE0EEENS1_30default_config_static_selectorELNS0_4arch9wavefront6targetE1EEEvT1_,comdat
	.globl	_ZN7rocprim17ROCPRIM_400000_NS6detail17trampoline_kernelINS0_14default_configENS1_35adjacent_difference_config_selectorILb1ElEEZNS1_24adjacent_difference_implIS3_Lb1ELb0EPlS7_ZN2at6native12_GLOBAL__N_124unique_dim_cuda_templateIaEESt5tupleIJNS8_6TensorESD_SD_EERKSD_lbbbEUlllE1_EE10hipError_tPvRmT2_T3_mT4_P12ihipStream_tbEUlT_E_NS1_11comp_targetILNS1_3genE2ELNS1_11target_archE906ELNS1_3gpuE6ELNS1_3repE0EEENS1_30default_config_static_selectorELNS0_4arch9wavefront6targetE1EEEvT1_ ; -- Begin function _ZN7rocprim17ROCPRIM_400000_NS6detail17trampoline_kernelINS0_14default_configENS1_35adjacent_difference_config_selectorILb1ElEEZNS1_24adjacent_difference_implIS3_Lb1ELb0EPlS7_ZN2at6native12_GLOBAL__N_124unique_dim_cuda_templateIaEESt5tupleIJNS8_6TensorESD_SD_EERKSD_lbbbEUlllE1_EE10hipError_tPvRmT2_T3_mT4_P12ihipStream_tbEUlT_E_NS1_11comp_targetILNS1_3genE2ELNS1_11target_archE906ELNS1_3gpuE6ELNS1_3repE0EEENS1_30default_config_static_selectorELNS0_4arch9wavefront6targetE1EEEvT1_
	.p2align	8
	.type	_ZN7rocprim17ROCPRIM_400000_NS6detail17trampoline_kernelINS0_14default_configENS1_35adjacent_difference_config_selectorILb1ElEEZNS1_24adjacent_difference_implIS3_Lb1ELb0EPlS7_ZN2at6native12_GLOBAL__N_124unique_dim_cuda_templateIaEESt5tupleIJNS8_6TensorESD_SD_EERKSD_lbbbEUlllE1_EE10hipError_tPvRmT2_T3_mT4_P12ihipStream_tbEUlT_E_NS1_11comp_targetILNS1_3genE2ELNS1_11target_archE906ELNS1_3gpuE6ELNS1_3repE0EEENS1_30default_config_static_selectorELNS0_4arch9wavefront6targetE1EEEvT1_,@function
_ZN7rocprim17ROCPRIM_400000_NS6detail17trampoline_kernelINS0_14default_configENS1_35adjacent_difference_config_selectorILb1ElEEZNS1_24adjacent_difference_implIS3_Lb1ELb0EPlS7_ZN2at6native12_GLOBAL__N_124unique_dim_cuda_templateIaEESt5tupleIJNS8_6TensorESD_SD_EERKSD_lbbbEUlllE1_EE10hipError_tPvRmT2_T3_mT4_P12ihipStream_tbEUlT_E_NS1_11comp_targetILNS1_3genE2ELNS1_11target_archE906ELNS1_3gpuE6ELNS1_3repE0EEENS1_30default_config_static_selectorELNS0_4arch9wavefront6targetE1EEEvT1_: ; @_ZN7rocprim17ROCPRIM_400000_NS6detail17trampoline_kernelINS0_14default_configENS1_35adjacent_difference_config_selectorILb1ElEEZNS1_24adjacent_difference_implIS3_Lb1ELb0EPlS7_ZN2at6native12_GLOBAL__N_124unique_dim_cuda_templateIaEESt5tupleIJNS8_6TensorESD_SD_EERKSD_lbbbEUlllE1_EE10hipError_tPvRmT2_T3_mT4_P12ihipStream_tbEUlT_E_NS1_11comp_targetILNS1_3genE2ELNS1_11target_archE906ELNS1_3gpuE6ELNS1_3repE0EEENS1_30default_config_static_selectorELNS0_4arch9wavefront6targetE1EEEvT1_
; %bb.0:
	.section	.rodata,"a",@progbits
	.p2align	6, 0x0
	.amdhsa_kernel _ZN7rocprim17ROCPRIM_400000_NS6detail17trampoline_kernelINS0_14default_configENS1_35adjacent_difference_config_selectorILb1ElEEZNS1_24adjacent_difference_implIS3_Lb1ELb0EPlS7_ZN2at6native12_GLOBAL__N_124unique_dim_cuda_templateIaEESt5tupleIJNS8_6TensorESD_SD_EERKSD_lbbbEUlllE1_EE10hipError_tPvRmT2_T3_mT4_P12ihipStream_tbEUlT_E_NS1_11comp_targetILNS1_3genE2ELNS1_11target_archE906ELNS1_3gpuE6ELNS1_3repE0EEENS1_30default_config_static_selectorELNS0_4arch9wavefront6targetE1EEEvT1_
		.amdhsa_group_segment_fixed_size 0
		.amdhsa_private_segment_fixed_size 0
		.amdhsa_kernarg_size 64
		.amdhsa_user_sgpr_count 6
		.amdhsa_user_sgpr_private_segment_buffer 1
		.amdhsa_user_sgpr_dispatch_ptr 0
		.amdhsa_user_sgpr_queue_ptr 0
		.amdhsa_user_sgpr_kernarg_segment_ptr 1
		.amdhsa_user_sgpr_dispatch_id 0
		.amdhsa_user_sgpr_flat_scratch_init 0
		.amdhsa_user_sgpr_kernarg_preload_length 0
		.amdhsa_user_sgpr_kernarg_preload_offset 0
		.amdhsa_user_sgpr_private_segment_size 0
		.amdhsa_uses_dynamic_stack 0
		.amdhsa_system_sgpr_private_segment_wavefront_offset 0
		.amdhsa_system_sgpr_workgroup_id_x 1
		.amdhsa_system_sgpr_workgroup_id_y 0
		.amdhsa_system_sgpr_workgroup_id_z 0
		.amdhsa_system_sgpr_workgroup_info 0
		.amdhsa_system_vgpr_workitem_id 0
		.amdhsa_next_free_vgpr 1
		.amdhsa_next_free_sgpr 0
		.amdhsa_accum_offset 4
		.amdhsa_reserve_vcc 0
		.amdhsa_reserve_flat_scratch 0
		.amdhsa_float_round_mode_32 0
		.amdhsa_float_round_mode_16_64 0
		.amdhsa_float_denorm_mode_32 3
		.amdhsa_float_denorm_mode_16_64 3
		.amdhsa_dx10_clamp 1
		.amdhsa_ieee_mode 1
		.amdhsa_fp16_overflow 0
		.amdhsa_tg_split 0
		.amdhsa_exception_fp_ieee_invalid_op 0
		.amdhsa_exception_fp_denorm_src 0
		.amdhsa_exception_fp_ieee_div_zero 0
		.amdhsa_exception_fp_ieee_overflow 0
		.amdhsa_exception_fp_ieee_underflow 0
		.amdhsa_exception_fp_ieee_inexact 0
		.amdhsa_exception_int_div_zero 0
	.end_amdhsa_kernel
	.section	.text._ZN7rocprim17ROCPRIM_400000_NS6detail17trampoline_kernelINS0_14default_configENS1_35adjacent_difference_config_selectorILb1ElEEZNS1_24adjacent_difference_implIS3_Lb1ELb0EPlS7_ZN2at6native12_GLOBAL__N_124unique_dim_cuda_templateIaEESt5tupleIJNS8_6TensorESD_SD_EERKSD_lbbbEUlllE1_EE10hipError_tPvRmT2_T3_mT4_P12ihipStream_tbEUlT_E_NS1_11comp_targetILNS1_3genE2ELNS1_11target_archE906ELNS1_3gpuE6ELNS1_3repE0EEENS1_30default_config_static_selectorELNS0_4arch9wavefront6targetE1EEEvT1_,"axG",@progbits,_ZN7rocprim17ROCPRIM_400000_NS6detail17trampoline_kernelINS0_14default_configENS1_35adjacent_difference_config_selectorILb1ElEEZNS1_24adjacent_difference_implIS3_Lb1ELb0EPlS7_ZN2at6native12_GLOBAL__N_124unique_dim_cuda_templateIaEESt5tupleIJNS8_6TensorESD_SD_EERKSD_lbbbEUlllE1_EE10hipError_tPvRmT2_T3_mT4_P12ihipStream_tbEUlT_E_NS1_11comp_targetILNS1_3genE2ELNS1_11target_archE906ELNS1_3gpuE6ELNS1_3repE0EEENS1_30default_config_static_selectorELNS0_4arch9wavefront6targetE1EEEvT1_,comdat
.Lfunc_end316:
	.size	_ZN7rocprim17ROCPRIM_400000_NS6detail17trampoline_kernelINS0_14default_configENS1_35adjacent_difference_config_selectorILb1ElEEZNS1_24adjacent_difference_implIS3_Lb1ELb0EPlS7_ZN2at6native12_GLOBAL__N_124unique_dim_cuda_templateIaEESt5tupleIJNS8_6TensorESD_SD_EERKSD_lbbbEUlllE1_EE10hipError_tPvRmT2_T3_mT4_P12ihipStream_tbEUlT_E_NS1_11comp_targetILNS1_3genE2ELNS1_11target_archE906ELNS1_3gpuE6ELNS1_3repE0EEENS1_30default_config_static_selectorELNS0_4arch9wavefront6targetE1EEEvT1_, .Lfunc_end316-_ZN7rocprim17ROCPRIM_400000_NS6detail17trampoline_kernelINS0_14default_configENS1_35adjacent_difference_config_selectorILb1ElEEZNS1_24adjacent_difference_implIS3_Lb1ELb0EPlS7_ZN2at6native12_GLOBAL__N_124unique_dim_cuda_templateIaEESt5tupleIJNS8_6TensorESD_SD_EERKSD_lbbbEUlllE1_EE10hipError_tPvRmT2_T3_mT4_P12ihipStream_tbEUlT_E_NS1_11comp_targetILNS1_3genE2ELNS1_11target_archE906ELNS1_3gpuE6ELNS1_3repE0EEENS1_30default_config_static_selectorELNS0_4arch9wavefront6targetE1EEEvT1_
                                        ; -- End function
	.section	.AMDGPU.csdata,"",@progbits
; Kernel info:
; codeLenInByte = 0
; NumSgprs: 4
; NumVgprs: 0
; NumAgprs: 0
; TotalNumVgprs: 0
; ScratchSize: 0
; MemoryBound: 0
; FloatMode: 240
; IeeeMode: 1
; LDSByteSize: 0 bytes/workgroup (compile time only)
; SGPRBlocks: 0
; VGPRBlocks: 0
; NumSGPRsForWavesPerEU: 4
; NumVGPRsForWavesPerEU: 1
; AccumOffset: 4
; Occupancy: 8
; WaveLimiterHint : 0
; COMPUTE_PGM_RSRC2:SCRATCH_EN: 0
; COMPUTE_PGM_RSRC2:USER_SGPR: 6
; COMPUTE_PGM_RSRC2:TRAP_HANDLER: 0
; COMPUTE_PGM_RSRC2:TGID_X_EN: 1
; COMPUTE_PGM_RSRC2:TGID_Y_EN: 0
; COMPUTE_PGM_RSRC2:TGID_Z_EN: 0
; COMPUTE_PGM_RSRC2:TIDIG_COMP_CNT: 0
; COMPUTE_PGM_RSRC3_GFX90A:ACCUM_OFFSET: 0
; COMPUTE_PGM_RSRC3_GFX90A:TG_SPLIT: 0
	.section	.text._ZN7rocprim17ROCPRIM_400000_NS6detail17trampoline_kernelINS0_14default_configENS1_35adjacent_difference_config_selectorILb1ElEEZNS1_24adjacent_difference_implIS3_Lb1ELb0EPlS7_ZN2at6native12_GLOBAL__N_124unique_dim_cuda_templateIaEESt5tupleIJNS8_6TensorESD_SD_EERKSD_lbbbEUlllE1_EE10hipError_tPvRmT2_T3_mT4_P12ihipStream_tbEUlT_E_NS1_11comp_targetILNS1_3genE9ELNS1_11target_archE1100ELNS1_3gpuE3ELNS1_3repE0EEENS1_30default_config_static_selectorELNS0_4arch9wavefront6targetE1EEEvT1_,"axG",@progbits,_ZN7rocprim17ROCPRIM_400000_NS6detail17trampoline_kernelINS0_14default_configENS1_35adjacent_difference_config_selectorILb1ElEEZNS1_24adjacent_difference_implIS3_Lb1ELb0EPlS7_ZN2at6native12_GLOBAL__N_124unique_dim_cuda_templateIaEESt5tupleIJNS8_6TensorESD_SD_EERKSD_lbbbEUlllE1_EE10hipError_tPvRmT2_T3_mT4_P12ihipStream_tbEUlT_E_NS1_11comp_targetILNS1_3genE9ELNS1_11target_archE1100ELNS1_3gpuE3ELNS1_3repE0EEENS1_30default_config_static_selectorELNS0_4arch9wavefront6targetE1EEEvT1_,comdat
	.globl	_ZN7rocprim17ROCPRIM_400000_NS6detail17trampoline_kernelINS0_14default_configENS1_35adjacent_difference_config_selectorILb1ElEEZNS1_24adjacent_difference_implIS3_Lb1ELb0EPlS7_ZN2at6native12_GLOBAL__N_124unique_dim_cuda_templateIaEESt5tupleIJNS8_6TensorESD_SD_EERKSD_lbbbEUlllE1_EE10hipError_tPvRmT2_T3_mT4_P12ihipStream_tbEUlT_E_NS1_11comp_targetILNS1_3genE9ELNS1_11target_archE1100ELNS1_3gpuE3ELNS1_3repE0EEENS1_30default_config_static_selectorELNS0_4arch9wavefront6targetE1EEEvT1_ ; -- Begin function _ZN7rocprim17ROCPRIM_400000_NS6detail17trampoline_kernelINS0_14default_configENS1_35adjacent_difference_config_selectorILb1ElEEZNS1_24adjacent_difference_implIS3_Lb1ELb0EPlS7_ZN2at6native12_GLOBAL__N_124unique_dim_cuda_templateIaEESt5tupleIJNS8_6TensorESD_SD_EERKSD_lbbbEUlllE1_EE10hipError_tPvRmT2_T3_mT4_P12ihipStream_tbEUlT_E_NS1_11comp_targetILNS1_3genE9ELNS1_11target_archE1100ELNS1_3gpuE3ELNS1_3repE0EEENS1_30default_config_static_selectorELNS0_4arch9wavefront6targetE1EEEvT1_
	.p2align	8
	.type	_ZN7rocprim17ROCPRIM_400000_NS6detail17trampoline_kernelINS0_14default_configENS1_35adjacent_difference_config_selectorILb1ElEEZNS1_24adjacent_difference_implIS3_Lb1ELb0EPlS7_ZN2at6native12_GLOBAL__N_124unique_dim_cuda_templateIaEESt5tupleIJNS8_6TensorESD_SD_EERKSD_lbbbEUlllE1_EE10hipError_tPvRmT2_T3_mT4_P12ihipStream_tbEUlT_E_NS1_11comp_targetILNS1_3genE9ELNS1_11target_archE1100ELNS1_3gpuE3ELNS1_3repE0EEENS1_30default_config_static_selectorELNS0_4arch9wavefront6targetE1EEEvT1_,@function
_ZN7rocprim17ROCPRIM_400000_NS6detail17trampoline_kernelINS0_14default_configENS1_35adjacent_difference_config_selectorILb1ElEEZNS1_24adjacent_difference_implIS3_Lb1ELb0EPlS7_ZN2at6native12_GLOBAL__N_124unique_dim_cuda_templateIaEESt5tupleIJNS8_6TensorESD_SD_EERKSD_lbbbEUlllE1_EE10hipError_tPvRmT2_T3_mT4_P12ihipStream_tbEUlT_E_NS1_11comp_targetILNS1_3genE9ELNS1_11target_archE1100ELNS1_3gpuE3ELNS1_3repE0EEENS1_30default_config_static_selectorELNS0_4arch9wavefront6targetE1EEEvT1_: ; @_ZN7rocprim17ROCPRIM_400000_NS6detail17trampoline_kernelINS0_14default_configENS1_35adjacent_difference_config_selectorILb1ElEEZNS1_24adjacent_difference_implIS3_Lb1ELb0EPlS7_ZN2at6native12_GLOBAL__N_124unique_dim_cuda_templateIaEESt5tupleIJNS8_6TensorESD_SD_EERKSD_lbbbEUlllE1_EE10hipError_tPvRmT2_T3_mT4_P12ihipStream_tbEUlT_E_NS1_11comp_targetILNS1_3genE9ELNS1_11target_archE1100ELNS1_3gpuE3ELNS1_3repE0EEENS1_30default_config_static_selectorELNS0_4arch9wavefront6targetE1EEEvT1_
; %bb.0:
	.section	.rodata,"a",@progbits
	.p2align	6, 0x0
	.amdhsa_kernel _ZN7rocprim17ROCPRIM_400000_NS6detail17trampoline_kernelINS0_14default_configENS1_35adjacent_difference_config_selectorILb1ElEEZNS1_24adjacent_difference_implIS3_Lb1ELb0EPlS7_ZN2at6native12_GLOBAL__N_124unique_dim_cuda_templateIaEESt5tupleIJNS8_6TensorESD_SD_EERKSD_lbbbEUlllE1_EE10hipError_tPvRmT2_T3_mT4_P12ihipStream_tbEUlT_E_NS1_11comp_targetILNS1_3genE9ELNS1_11target_archE1100ELNS1_3gpuE3ELNS1_3repE0EEENS1_30default_config_static_selectorELNS0_4arch9wavefront6targetE1EEEvT1_
		.amdhsa_group_segment_fixed_size 0
		.amdhsa_private_segment_fixed_size 0
		.amdhsa_kernarg_size 64
		.amdhsa_user_sgpr_count 6
		.amdhsa_user_sgpr_private_segment_buffer 1
		.amdhsa_user_sgpr_dispatch_ptr 0
		.amdhsa_user_sgpr_queue_ptr 0
		.amdhsa_user_sgpr_kernarg_segment_ptr 1
		.amdhsa_user_sgpr_dispatch_id 0
		.amdhsa_user_sgpr_flat_scratch_init 0
		.amdhsa_user_sgpr_kernarg_preload_length 0
		.amdhsa_user_sgpr_kernarg_preload_offset 0
		.amdhsa_user_sgpr_private_segment_size 0
		.amdhsa_uses_dynamic_stack 0
		.amdhsa_system_sgpr_private_segment_wavefront_offset 0
		.amdhsa_system_sgpr_workgroup_id_x 1
		.amdhsa_system_sgpr_workgroup_id_y 0
		.amdhsa_system_sgpr_workgroup_id_z 0
		.amdhsa_system_sgpr_workgroup_info 0
		.amdhsa_system_vgpr_workitem_id 0
		.amdhsa_next_free_vgpr 1
		.amdhsa_next_free_sgpr 0
		.amdhsa_accum_offset 4
		.amdhsa_reserve_vcc 0
		.amdhsa_reserve_flat_scratch 0
		.amdhsa_float_round_mode_32 0
		.amdhsa_float_round_mode_16_64 0
		.amdhsa_float_denorm_mode_32 3
		.amdhsa_float_denorm_mode_16_64 3
		.amdhsa_dx10_clamp 1
		.amdhsa_ieee_mode 1
		.amdhsa_fp16_overflow 0
		.amdhsa_tg_split 0
		.amdhsa_exception_fp_ieee_invalid_op 0
		.amdhsa_exception_fp_denorm_src 0
		.amdhsa_exception_fp_ieee_div_zero 0
		.amdhsa_exception_fp_ieee_overflow 0
		.amdhsa_exception_fp_ieee_underflow 0
		.amdhsa_exception_fp_ieee_inexact 0
		.amdhsa_exception_int_div_zero 0
	.end_amdhsa_kernel
	.section	.text._ZN7rocprim17ROCPRIM_400000_NS6detail17trampoline_kernelINS0_14default_configENS1_35adjacent_difference_config_selectorILb1ElEEZNS1_24adjacent_difference_implIS3_Lb1ELb0EPlS7_ZN2at6native12_GLOBAL__N_124unique_dim_cuda_templateIaEESt5tupleIJNS8_6TensorESD_SD_EERKSD_lbbbEUlllE1_EE10hipError_tPvRmT2_T3_mT4_P12ihipStream_tbEUlT_E_NS1_11comp_targetILNS1_3genE9ELNS1_11target_archE1100ELNS1_3gpuE3ELNS1_3repE0EEENS1_30default_config_static_selectorELNS0_4arch9wavefront6targetE1EEEvT1_,"axG",@progbits,_ZN7rocprim17ROCPRIM_400000_NS6detail17trampoline_kernelINS0_14default_configENS1_35adjacent_difference_config_selectorILb1ElEEZNS1_24adjacent_difference_implIS3_Lb1ELb0EPlS7_ZN2at6native12_GLOBAL__N_124unique_dim_cuda_templateIaEESt5tupleIJNS8_6TensorESD_SD_EERKSD_lbbbEUlllE1_EE10hipError_tPvRmT2_T3_mT4_P12ihipStream_tbEUlT_E_NS1_11comp_targetILNS1_3genE9ELNS1_11target_archE1100ELNS1_3gpuE3ELNS1_3repE0EEENS1_30default_config_static_selectorELNS0_4arch9wavefront6targetE1EEEvT1_,comdat
.Lfunc_end317:
	.size	_ZN7rocprim17ROCPRIM_400000_NS6detail17trampoline_kernelINS0_14default_configENS1_35adjacent_difference_config_selectorILb1ElEEZNS1_24adjacent_difference_implIS3_Lb1ELb0EPlS7_ZN2at6native12_GLOBAL__N_124unique_dim_cuda_templateIaEESt5tupleIJNS8_6TensorESD_SD_EERKSD_lbbbEUlllE1_EE10hipError_tPvRmT2_T3_mT4_P12ihipStream_tbEUlT_E_NS1_11comp_targetILNS1_3genE9ELNS1_11target_archE1100ELNS1_3gpuE3ELNS1_3repE0EEENS1_30default_config_static_selectorELNS0_4arch9wavefront6targetE1EEEvT1_, .Lfunc_end317-_ZN7rocprim17ROCPRIM_400000_NS6detail17trampoline_kernelINS0_14default_configENS1_35adjacent_difference_config_selectorILb1ElEEZNS1_24adjacent_difference_implIS3_Lb1ELb0EPlS7_ZN2at6native12_GLOBAL__N_124unique_dim_cuda_templateIaEESt5tupleIJNS8_6TensorESD_SD_EERKSD_lbbbEUlllE1_EE10hipError_tPvRmT2_T3_mT4_P12ihipStream_tbEUlT_E_NS1_11comp_targetILNS1_3genE9ELNS1_11target_archE1100ELNS1_3gpuE3ELNS1_3repE0EEENS1_30default_config_static_selectorELNS0_4arch9wavefront6targetE1EEEvT1_
                                        ; -- End function
	.section	.AMDGPU.csdata,"",@progbits
; Kernel info:
; codeLenInByte = 0
; NumSgprs: 4
; NumVgprs: 0
; NumAgprs: 0
; TotalNumVgprs: 0
; ScratchSize: 0
; MemoryBound: 0
; FloatMode: 240
; IeeeMode: 1
; LDSByteSize: 0 bytes/workgroup (compile time only)
; SGPRBlocks: 0
; VGPRBlocks: 0
; NumSGPRsForWavesPerEU: 4
; NumVGPRsForWavesPerEU: 1
; AccumOffset: 4
; Occupancy: 8
; WaveLimiterHint : 0
; COMPUTE_PGM_RSRC2:SCRATCH_EN: 0
; COMPUTE_PGM_RSRC2:USER_SGPR: 6
; COMPUTE_PGM_RSRC2:TRAP_HANDLER: 0
; COMPUTE_PGM_RSRC2:TGID_X_EN: 1
; COMPUTE_PGM_RSRC2:TGID_Y_EN: 0
; COMPUTE_PGM_RSRC2:TGID_Z_EN: 0
; COMPUTE_PGM_RSRC2:TIDIG_COMP_CNT: 0
; COMPUTE_PGM_RSRC3_GFX90A:ACCUM_OFFSET: 0
; COMPUTE_PGM_RSRC3_GFX90A:TG_SPLIT: 0
	.section	.text._ZN7rocprim17ROCPRIM_400000_NS6detail17trampoline_kernelINS0_14default_configENS1_35adjacent_difference_config_selectorILb1ElEEZNS1_24adjacent_difference_implIS3_Lb1ELb0EPlS7_ZN2at6native12_GLOBAL__N_124unique_dim_cuda_templateIaEESt5tupleIJNS8_6TensorESD_SD_EERKSD_lbbbEUlllE1_EE10hipError_tPvRmT2_T3_mT4_P12ihipStream_tbEUlT_E_NS1_11comp_targetILNS1_3genE8ELNS1_11target_archE1030ELNS1_3gpuE2ELNS1_3repE0EEENS1_30default_config_static_selectorELNS0_4arch9wavefront6targetE1EEEvT1_,"axG",@progbits,_ZN7rocprim17ROCPRIM_400000_NS6detail17trampoline_kernelINS0_14default_configENS1_35adjacent_difference_config_selectorILb1ElEEZNS1_24adjacent_difference_implIS3_Lb1ELb0EPlS7_ZN2at6native12_GLOBAL__N_124unique_dim_cuda_templateIaEESt5tupleIJNS8_6TensorESD_SD_EERKSD_lbbbEUlllE1_EE10hipError_tPvRmT2_T3_mT4_P12ihipStream_tbEUlT_E_NS1_11comp_targetILNS1_3genE8ELNS1_11target_archE1030ELNS1_3gpuE2ELNS1_3repE0EEENS1_30default_config_static_selectorELNS0_4arch9wavefront6targetE1EEEvT1_,comdat
	.globl	_ZN7rocprim17ROCPRIM_400000_NS6detail17trampoline_kernelINS0_14default_configENS1_35adjacent_difference_config_selectorILb1ElEEZNS1_24adjacent_difference_implIS3_Lb1ELb0EPlS7_ZN2at6native12_GLOBAL__N_124unique_dim_cuda_templateIaEESt5tupleIJNS8_6TensorESD_SD_EERKSD_lbbbEUlllE1_EE10hipError_tPvRmT2_T3_mT4_P12ihipStream_tbEUlT_E_NS1_11comp_targetILNS1_3genE8ELNS1_11target_archE1030ELNS1_3gpuE2ELNS1_3repE0EEENS1_30default_config_static_selectorELNS0_4arch9wavefront6targetE1EEEvT1_ ; -- Begin function _ZN7rocprim17ROCPRIM_400000_NS6detail17trampoline_kernelINS0_14default_configENS1_35adjacent_difference_config_selectorILb1ElEEZNS1_24adjacent_difference_implIS3_Lb1ELb0EPlS7_ZN2at6native12_GLOBAL__N_124unique_dim_cuda_templateIaEESt5tupleIJNS8_6TensorESD_SD_EERKSD_lbbbEUlllE1_EE10hipError_tPvRmT2_T3_mT4_P12ihipStream_tbEUlT_E_NS1_11comp_targetILNS1_3genE8ELNS1_11target_archE1030ELNS1_3gpuE2ELNS1_3repE0EEENS1_30default_config_static_selectorELNS0_4arch9wavefront6targetE1EEEvT1_
	.p2align	8
	.type	_ZN7rocprim17ROCPRIM_400000_NS6detail17trampoline_kernelINS0_14default_configENS1_35adjacent_difference_config_selectorILb1ElEEZNS1_24adjacent_difference_implIS3_Lb1ELb0EPlS7_ZN2at6native12_GLOBAL__N_124unique_dim_cuda_templateIaEESt5tupleIJNS8_6TensorESD_SD_EERKSD_lbbbEUlllE1_EE10hipError_tPvRmT2_T3_mT4_P12ihipStream_tbEUlT_E_NS1_11comp_targetILNS1_3genE8ELNS1_11target_archE1030ELNS1_3gpuE2ELNS1_3repE0EEENS1_30default_config_static_selectorELNS0_4arch9wavefront6targetE1EEEvT1_,@function
_ZN7rocprim17ROCPRIM_400000_NS6detail17trampoline_kernelINS0_14default_configENS1_35adjacent_difference_config_selectorILb1ElEEZNS1_24adjacent_difference_implIS3_Lb1ELb0EPlS7_ZN2at6native12_GLOBAL__N_124unique_dim_cuda_templateIaEESt5tupleIJNS8_6TensorESD_SD_EERKSD_lbbbEUlllE1_EE10hipError_tPvRmT2_T3_mT4_P12ihipStream_tbEUlT_E_NS1_11comp_targetILNS1_3genE8ELNS1_11target_archE1030ELNS1_3gpuE2ELNS1_3repE0EEENS1_30default_config_static_selectorELNS0_4arch9wavefront6targetE1EEEvT1_: ; @_ZN7rocprim17ROCPRIM_400000_NS6detail17trampoline_kernelINS0_14default_configENS1_35adjacent_difference_config_selectorILb1ElEEZNS1_24adjacent_difference_implIS3_Lb1ELb0EPlS7_ZN2at6native12_GLOBAL__N_124unique_dim_cuda_templateIaEESt5tupleIJNS8_6TensorESD_SD_EERKSD_lbbbEUlllE1_EE10hipError_tPvRmT2_T3_mT4_P12ihipStream_tbEUlT_E_NS1_11comp_targetILNS1_3genE8ELNS1_11target_archE1030ELNS1_3gpuE2ELNS1_3repE0EEENS1_30default_config_static_selectorELNS0_4arch9wavefront6targetE1EEEvT1_
; %bb.0:
	.section	.rodata,"a",@progbits
	.p2align	6, 0x0
	.amdhsa_kernel _ZN7rocprim17ROCPRIM_400000_NS6detail17trampoline_kernelINS0_14default_configENS1_35adjacent_difference_config_selectorILb1ElEEZNS1_24adjacent_difference_implIS3_Lb1ELb0EPlS7_ZN2at6native12_GLOBAL__N_124unique_dim_cuda_templateIaEESt5tupleIJNS8_6TensorESD_SD_EERKSD_lbbbEUlllE1_EE10hipError_tPvRmT2_T3_mT4_P12ihipStream_tbEUlT_E_NS1_11comp_targetILNS1_3genE8ELNS1_11target_archE1030ELNS1_3gpuE2ELNS1_3repE0EEENS1_30default_config_static_selectorELNS0_4arch9wavefront6targetE1EEEvT1_
		.amdhsa_group_segment_fixed_size 0
		.amdhsa_private_segment_fixed_size 0
		.amdhsa_kernarg_size 64
		.amdhsa_user_sgpr_count 6
		.amdhsa_user_sgpr_private_segment_buffer 1
		.amdhsa_user_sgpr_dispatch_ptr 0
		.amdhsa_user_sgpr_queue_ptr 0
		.amdhsa_user_sgpr_kernarg_segment_ptr 1
		.amdhsa_user_sgpr_dispatch_id 0
		.amdhsa_user_sgpr_flat_scratch_init 0
		.amdhsa_user_sgpr_kernarg_preload_length 0
		.amdhsa_user_sgpr_kernarg_preload_offset 0
		.amdhsa_user_sgpr_private_segment_size 0
		.amdhsa_uses_dynamic_stack 0
		.amdhsa_system_sgpr_private_segment_wavefront_offset 0
		.amdhsa_system_sgpr_workgroup_id_x 1
		.amdhsa_system_sgpr_workgroup_id_y 0
		.amdhsa_system_sgpr_workgroup_id_z 0
		.amdhsa_system_sgpr_workgroup_info 0
		.amdhsa_system_vgpr_workitem_id 0
		.amdhsa_next_free_vgpr 1
		.amdhsa_next_free_sgpr 0
		.amdhsa_accum_offset 4
		.amdhsa_reserve_vcc 0
		.amdhsa_reserve_flat_scratch 0
		.amdhsa_float_round_mode_32 0
		.amdhsa_float_round_mode_16_64 0
		.amdhsa_float_denorm_mode_32 3
		.amdhsa_float_denorm_mode_16_64 3
		.amdhsa_dx10_clamp 1
		.amdhsa_ieee_mode 1
		.amdhsa_fp16_overflow 0
		.amdhsa_tg_split 0
		.amdhsa_exception_fp_ieee_invalid_op 0
		.amdhsa_exception_fp_denorm_src 0
		.amdhsa_exception_fp_ieee_div_zero 0
		.amdhsa_exception_fp_ieee_overflow 0
		.amdhsa_exception_fp_ieee_underflow 0
		.amdhsa_exception_fp_ieee_inexact 0
		.amdhsa_exception_int_div_zero 0
	.end_amdhsa_kernel
	.section	.text._ZN7rocprim17ROCPRIM_400000_NS6detail17trampoline_kernelINS0_14default_configENS1_35adjacent_difference_config_selectorILb1ElEEZNS1_24adjacent_difference_implIS3_Lb1ELb0EPlS7_ZN2at6native12_GLOBAL__N_124unique_dim_cuda_templateIaEESt5tupleIJNS8_6TensorESD_SD_EERKSD_lbbbEUlllE1_EE10hipError_tPvRmT2_T3_mT4_P12ihipStream_tbEUlT_E_NS1_11comp_targetILNS1_3genE8ELNS1_11target_archE1030ELNS1_3gpuE2ELNS1_3repE0EEENS1_30default_config_static_selectorELNS0_4arch9wavefront6targetE1EEEvT1_,"axG",@progbits,_ZN7rocprim17ROCPRIM_400000_NS6detail17trampoline_kernelINS0_14default_configENS1_35adjacent_difference_config_selectorILb1ElEEZNS1_24adjacent_difference_implIS3_Lb1ELb0EPlS7_ZN2at6native12_GLOBAL__N_124unique_dim_cuda_templateIaEESt5tupleIJNS8_6TensorESD_SD_EERKSD_lbbbEUlllE1_EE10hipError_tPvRmT2_T3_mT4_P12ihipStream_tbEUlT_E_NS1_11comp_targetILNS1_3genE8ELNS1_11target_archE1030ELNS1_3gpuE2ELNS1_3repE0EEENS1_30default_config_static_selectorELNS0_4arch9wavefront6targetE1EEEvT1_,comdat
.Lfunc_end318:
	.size	_ZN7rocprim17ROCPRIM_400000_NS6detail17trampoline_kernelINS0_14default_configENS1_35adjacent_difference_config_selectorILb1ElEEZNS1_24adjacent_difference_implIS3_Lb1ELb0EPlS7_ZN2at6native12_GLOBAL__N_124unique_dim_cuda_templateIaEESt5tupleIJNS8_6TensorESD_SD_EERKSD_lbbbEUlllE1_EE10hipError_tPvRmT2_T3_mT4_P12ihipStream_tbEUlT_E_NS1_11comp_targetILNS1_3genE8ELNS1_11target_archE1030ELNS1_3gpuE2ELNS1_3repE0EEENS1_30default_config_static_selectorELNS0_4arch9wavefront6targetE1EEEvT1_, .Lfunc_end318-_ZN7rocprim17ROCPRIM_400000_NS6detail17trampoline_kernelINS0_14default_configENS1_35adjacent_difference_config_selectorILb1ElEEZNS1_24adjacent_difference_implIS3_Lb1ELb0EPlS7_ZN2at6native12_GLOBAL__N_124unique_dim_cuda_templateIaEESt5tupleIJNS8_6TensorESD_SD_EERKSD_lbbbEUlllE1_EE10hipError_tPvRmT2_T3_mT4_P12ihipStream_tbEUlT_E_NS1_11comp_targetILNS1_3genE8ELNS1_11target_archE1030ELNS1_3gpuE2ELNS1_3repE0EEENS1_30default_config_static_selectorELNS0_4arch9wavefront6targetE1EEEvT1_
                                        ; -- End function
	.section	.AMDGPU.csdata,"",@progbits
; Kernel info:
; codeLenInByte = 0
; NumSgprs: 4
; NumVgprs: 0
; NumAgprs: 0
; TotalNumVgprs: 0
; ScratchSize: 0
; MemoryBound: 0
; FloatMode: 240
; IeeeMode: 1
; LDSByteSize: 0 bytes/workgroup (compile time only)
; SGPRBlocks: 0
; VGPRBlocks: 0
; NumSGPRsForWavesPerEU: 4
; NumVGPRsForWavesPerEU: 1
; AccumOffset: 4
; Occupancy: 8
; WaveLimiterHint : 0
; COMPUTE_PGM_RSRC2:SCRATCH_EN: 0
; COMPUTE_PGM_RSRC2:USER_SGPR: 6
; COMPUTE_PGM_RSRC2:TRAP_HANDLER: 0
; COMPUTE_PGM_RSRC2:TGID_X_EN: 1
; COMPUTE_PGM_RSRC2:TGID_Y_EN: 0
; COMPUTE_PGM_RSRC2:TGID_Z_EN: 0
; COMPUTE_PGM_RSRC2:TIDIG_COMP_CNT: 0
; COMPUTE_PGM_RSRC3_GFX90A:ACCUM_OFFSET: 0
; COMPUTE_PGM_RSRC3_GFX90A:TG_SPLIT: 0
	.section	.text._ZN7rocprim17ROCPRIM_400000_NS6detail17trampoline_kernelINS0_14default_configENS1_25partition_config_selectorILNS1_17partition_subalgoE8ElNS0_10empty_typeEbEEZZNS1_14partition_implILS5_8ELb0ES3_jPlPS6_PKS6_NS0_5tupleIJS9_S6_EEENSD_IJSA_SA_EEENS0_18inequality_wrapperIZN2at6native12_GLOBAL__N_124unique_dim_cuda_templateIaEESt5tupleIJNSH_6TensorESM_SM_EERKSM_lbbbEUlllE0_EEPmJS6_EEE10hipError_tPvRmT3_T4_T5_T6_T7_T9_mT8_P12ihipStream_tbDpT10_ENKUlT_T0_E_clISt17integral_constantIbLb0EES1C_EEDaS17_S18_EUlS17_E_NS1_11comp_targetILNS1_3genE0ELNS1_11target_archE4294967295ELNS1_3gpuE0ELNS1_3repE0EEENS1_30default_config_static_selectorELNS0_4arch9wavefront6targetE1EEEvT1_,"axG",@progbits,_ZN7rocprim17ROCPRIM_400000_NS6detail17trampoline_kernelINS0_14default_configENS1_25partition_config_selectorILNS1_17partition_subalgoE8ElNS0_10empty_typeEbEEZZNS1_14partition_implILS5_8ELb0ES3_jPlPS6_PKS6_NS0_5tupleIJS9_S6_EEENSD_IJSA_SA_EEENS0_18inequality_wrapperIZN2at6native12_GLOBAL__N_124unique_dim_cuda_templateIaEESt5tupleIJNSH_6TensorESM_SM_EERKSM_lbbbEUlllE0_EEPmJS6_EEE10hipError_tPvRmT3_T4_T5_T6_T7_T9_mT8_P12ihipStream_tbDpT10_ENKUlT_T0_E_clISt17integral_constantIbLb0EES1C_EEDaS17_S18_EUlS17_E_NS1_11comp_targetILNS1_3genE0ELNS1_11target_archE4294967295ELNS1_3gpuE0ELNS1_3repE0EEENS1_30default_config_static_selectorELNS0_4arch9wavefront6targetE1EEEvT1_,comdat
	.globl	_ZN7rocprim17ROCPRIM_400000_NS6detail17trampoline_kernelINS0_14default_configENS1_25partition_config_selectorILNS1_17partition_subalgoE8ElNS0_10empty_typeEbEEZZNS1_14partition_implILS5_8ELb0ES3_jPlPS6_PKS6_NS0_5tupleIJS9_S6_EEENSD_IJSA_SA_EEENS0_18inequality_wrapperIZN2at6native12_GLOBAL__N_124unique_dim_cuda_templateIaEESt5tupleIJNSH_6TensorESM_SM_EERKSM_lbbbEUlllE0_EEPmJS6_EEE10hipError_tPvRmT3_T4_T5_T6_T7_T9_mT8_P12ihipStream_tbDpT10_ENKUlT_T0_E_clISt17integral_constantIbLb0EES1C_EEDaS17_S18_EUlS17_E_NS1_11comp_targetILNS1_3genE0ELNS1_11target_archE4294967295ELNS1_3gpuE0ELNS1_3repE0EEENS1_30default_config_static_selectorELNS0_4arch9wavefront6targetE1EEEvT1_ ; -- Begin function _ZN7rocprim17ROCPRIM_400000_NS6detail17trampoline_kernelINS0_14default_configENS1_25partition_config_selectorILNS1_17partition_subalgoE8ElNS0_10empty_typeEbEEZZNS1_14partition_implILS5_8ELb0ES3_jPlPS6_PKS6_NS0_5tupleIJS9_S6_EEENSD_IJSA_SA_EEENS0_18inequality_wrapperIZN2at6native12_GLOBAL__N_124unique_dim_cuda_templateIaEESt5tupleIJNSH_6TensorESM_SM_EERKSM_lbbbEUlllE0_EEPmJS6_EEE10hipError_tPvRmT3_T4_T5_T6_T7_T9_mT8_P12ihipStream_tbDpT10_ENKUlT_T0_E_clISt17integral_constantIbLb0EES1C_EEDaS17_S18_EUlS17_E_NS1_11comp_targetILNS1_3genE0ELNS1_11target_archE4294967295ELNS1_3gpuE0ELNS1_3repE0EEENS1_30default_config_static_selectorELNS0_4arch9wavefront6targetE1EEEvT1_
	.p2align	8
	.type	_ZN7rocprim17ROCPRIM_400000_NS6detail17trampoline_kernelINS0_14default_configENS1_25partition_config_selectorILNS1_17partition_subalgoE8ElNS0_10empty_typeEbEEZZNS1_14partition_implILS5_8ELb0ES3_jPlPS6_PKS6_NS0_5tupleIJS9_S6_EEENSD_IJSA_SA_EEENS0_18inequality_wrapperIZN2at6native12_GLOBAL__N_124unique_dim_cuda_templateIaEESt5tupleIJNSH_6TensorESM_SM_EERKSM_lbbbEUlllE0_EEPmJS6_EEE10hipError_tPvRmT3_T4_T5_T6_T7_T9_mT8_P12ihipStream_tbDpT10_ENKUlT_T0_E_clISt17integral_constantIbLb0EES1C_EEDaS17_S18_EUlS17_E_NS1_11comp_targetILNS1_3genE0ELNS1_11target_archE4294967295ELNS1_3gpuE0ELNS1_3repE0EEENS1_30default_config_static_selectorELNS0_4arch9wavefront6targetE1EEEvT1_,@function
_ZN7rocprim17ROCPRIM_400000_NS6detail17trampoline_kernelINS0_14default_configENS1_25partition_config_selectorILNS1_17partition_subalgoE8ElNS0_10empty_typeEbEEZZNS1_14partition_implILS5_8ELb0ES3_jPlPS6_PKS6_NS0_5tupleIJS9_S6_EEENSD_IJSA_SA_EEENS0_18inequality_wrapperIZN2at6native12_GLOBAL__N_124unique_dim_cuda_templateIaEESt5tupleIJNSH_6TensorESM_SM_EERKSM_lbbbEUlllE0_EEPmJS6_EEE10hipError_tPvRmT3_T4_T5_T6_T7_T9_mT8_P12ihipStream_tbDpT10_ENKUlT_T0_E_clISt17integral_constantIbLb0EES1C_EEDaS17_S18_EUlS17_E_NS1_11comp_targetILNS1_3genE0ELNS1_11target_archE4294967295ELNS1_3gpuE0ELNS1_3repE0EEENS1_30default_config_static_selectorELNS0_4arch9wavefront6targetE1EEEvT1_: ; @_ZN7rocprim17ROCPRIM_400000_NS6detail17trampoline_kernelINS0_14default_configENS1_25partition_config_selectorILNS1_17partition_subalgoE8ElNS0_10empty_typeEbEEZZNS1_14partition_implILS5_8ELb0ES3_jPlPS6_PKS6_NS0_5tupleIJS9_S6_EEENSD_IJSA_SA_EEENS0_18inequality_wrapperIZN2at6native12_GLOBAL__N_124unique_dim_cuda_templateIaEESt5tupleIJNSH_6TensorESM_SM_EERKSM_lbbbEUlllE0_EEPmJS6_EEE10hipError_tPvRmT3_T4_T5_T6_T7_T9_mT8_P12ihipStream_tbDpT10_ENKUlT_T0_E_clISt17integral_constantIbLb0EES1C_EEDaS17_S18_EUlS17_E_NS1_11comp_targetILNS1_3genE0ELNS1_11target_archE4294967295ELNS1_3gpuE0ELNS1_3repE0EEENS1_30default_config_static_selectorELNS0_4arch9wavefront6targetE1EEEvT1_
; %bb.0:
	.section	.rodata,"a",@progbits
	.p2align	6, 0x0
	.amdhsa_kernel _ZN7rocprim17ROCPRIM_400000_NS6detail17trampoline_kernelINS0_14default_configENS1_25partition_config_selectorILNS1_17partition_subalgoE8ElNS0_10empty_typeEbEEZZNS1_14partition_implILS5_8ELb0ES3_jPlPS6_PKS6_NS0_5tupleIJS9_S6_EEENSD_IJSA_SA_EEENS0_18inequality_wrapperIZN2at6native12_GLOBAL__N_124unique_dim_cuda_templateIaEESt5tupleIJNSH_6TensorESM_SM_EERKSM_lbbbEUlllE0_EEPmJS6_EEE10hipError_tPvRmT3_T4_T5_T6_T7_T9_mT8_P12ihipStream_tbDpT10_ENKUlT_T0_E_clISt17integral_constantIbLb0EES1C_EEDaS17_S18_EUlS17_E_NS1_11comp_targetILNS1_3genE0ELNS1_11target_archE4294967295ELNS1_3gpuE0ELNS1_3repE0EEENS1_30default_config_static_selectorELNS0_4arch9wavefront6targetE1EEEvT1_
		.amdhsa_group_segment_fixed_size 0
		.amdhsa_private_segment_fixed_size 0
		.amdhsa_kernarg_size 120
		.amdhsa_user_sgpr_count 6
		.amdhsa_user_sgpr_private_segment_buffer 1
		.amdhsa_user_sgpr_dispatch_ptr 0
		.amdhsa_user_sgpr_queue_ptr 0
		.amdhsa_user_sgpr_kernarg_segment_ptr 1
		.amdhsa_user_sgpr_dispatch_id 0
		.amdhsa_user_sgpr_flat_scratch_init 0
		.amdhsa_user_sgpr_kernarg_preload_length 0
		.amdhsa_user_sgpr_kernarg_preload_offset 0
		.amdhsa_user_sgpr_private_segment_size 0
		.amdhsa_uses_dynamic_stack 0
		.amdhsa_system_sgpr_private_segment_wavefront_offset 0
		.amdhsa_system_sgpr_workgroup_id_x 1
		.amdhsa_system_sgpr_workgroup_id_y 0
		.amdhsa_system_sgpr_workgroup_id_z 0
		.amdhsa_system_sgpr_workgroup_info 0
		.amdhsa_system_vgpr_workitem_id 0
		.amdhsa_next_free_vgpr 1
		.amdhsa_next_free_sgpr 0
		.amdhsa_accum_offset 4
		.amdhsa_reserve_vcc 0
		.amdhsa_reserve_flat_scratch 0
		.amdhsa_float_round_mode_32 0
		.amdhsa_float_round_mode_16_64 0
		.amdhsa_float_denorm_mode_32 3
		.amdhsa_float_denorm_mode_16_64 3
		.amdhsa_dx10_clamp 1
		.amdhsa_ieee_mode 1
		.amdhsa_fp16_overflow 0
		.amdhsa_tg_split 0
		.amdhsa_exception_fp_ieee_invalid_op 0
		.amdhsa_exception_fp_denorm_src 0
		.amdhsa_exception_fp_ieee_div_zero 0
		.amdhsa_exception_fp_ieee_overflow 0
		.amdhsa_exception_fp_ieee_underflow 0
		.amdhsa_exception_fp_ieee_inexact 0
		.amdhsa_exception_int_div_zero 0
	.end_amdhsa_kernel
	.section	.text._ZN7rocprim17ROCPRIM_400000_NS6detail17trampoline_kernelINS0_14default_configENS1_25partition_config_selectorILNS1_17partition_subalgoE8ElNS0_10empty_typeEbEEZZNS1_14partition_implILS5_8ELb0ES3_jPlPS6_PKS6_NS0_5tupleIJS9_S6_EEENSD_IJSA_SA_EEENS0_18inequality_wrapperIZN2at6native12_GLOBAL__N_124unique_dim_cuda_templateIaEESt5tupleIJNSH_6TensorESM_SM_EERKSM_lbbbEUlllE0_EEPmJS6_EEE10hipError_tPvRmT3_T4_T5_T6_T7_T9_mT8_P12ihipStream_tbDpT10_ENKUlT_T0_E_clISt17integral_constantIbLb0EES1C_EEDaS17_S18_EUlS17_E_NS1_11comp_targetILNS1_3genE0ELNS1_11target_archE4294967295ELNS1_3gpuE0ELNS1_3repE0EEENS1_30default_config_static_selectorELNS0_4arch9wavefront6targetE1EEEvT1_,"axG",@progbits,_ZN7rocprim17ROCPRIM_400000_NS6detail17trampoline_kernelINS0_14default_configENS1_25partition_config_selectorILNS1_17partition_subalgoE8ElNS0_10empty_typeEbEEZZNS1_14partition_implILS5_8ELb0ES3_jPlPS6_PKS6_NS0_5tupleIJS9_S6_EEENSD_IJSA_SA_EEENS0_18inequality_wrapperIZN2at6native12_GLOBAL__N_124unique_dim_cuda_templateIaEESt5tupleIJNSH_6TensorESM_SM_EERKSM_lbbbEUlllE0_EEPmJS6_EEE10hipError_tPvRmT3_T4_T5_T6_T7_T9_mT8_P12ihipStream_tbDpT10_ENKUlT_T0_E_clISt17integral_constantIbLb0EES1C_EEDaS17_S18_EUlS17_E_NS1_11comp_targetILNS1_3genE0ELNS1_11target_archE4294967295ELNS1_3gpuE0ELNS1_3repE0EEENS1_30default_config_static_selectorELNS0_4arch9wavefront6targetE1EEEvT1_,comdat
.Lfunc_end319:
	.size	_ZN7rocprim17ROCPRIM_400000_NS6detail17trampoline_kernelINS0_14default_configENS1_25partition_config_selectorILNS1_17partition_subalgoE8ElNS0_10empty_typeEbEEZZNS1_14partition_implILS5_8ELb0ES3_jPlPS6_PKS6_NS0_5tupleIJS9_S6_EEENSD_IJSA_SA_EEENS0_18inequality_wrapperIZN2at6native12_GLOBAL__N_124unique_dim_cuda_templateIaEESt5tupleIJNSH_6TensorESM_SM_EERKSM_lbbbEUlllE0_EEPmJS6_EEE10hipError_tPvRmT3_T4_T5_T6_T7_T9_mT8_P12ihipStream_tbDpT10_ENKUlT_T0_E_clISt17integral_constantIbLb0EES1C_EEDaS17_S18_EUlS17_E_NS1_11comp_targetILNS1_3genE0ELNS1_11target_archE4294967295ELNS1_3gpuE0ELNS1_3repE0EEENS1_30default_config_static_selectorELNS0_4arch9wavefront6targetE1EEEvT1_, .Lfunc_end319-_ZN7rocprim17ROCPRIM_400000_NS6detail17trampoline_kernelINS0_14default_configENS1_25partition_config_selectorILNS1_17partition_subalgoE8ElNS0_10empty_typeEbEEZZNS1_14partition_implILS5_8ELb0ES3_jPlPS6_PKS6_NS0_5tupleIJS9_S6_EEENSD_IJSA_SA_EEENS0_18inequality_wrapperIZN2at6native12_GLOBAL__N_124unique_dim_cuda_templateIaEESt5tupleIJNSH_6TensorESM_SM_EERKSM_lbbbEUlllE0_EEPmJS6_EEE10hipError_tPvRmT3_T4_T5_T6_T7_T9_mT8_P12ihipStream_tbDpT10_ENKUlT_T0_E_clISt17integral_constantIbLb0EES1C_EEDaS17_S18_EUlS17_E_NS1_11comp_targetILNS1_3genE0ELNS1_11target_archE4294967295ELNS1_3gpuE0ELNS1_3repE0EEENS1_30default_config_static_selectorELNS0_4arch9wavefront6targetE1EEEvT1_
                                        ; -- End function
	.section	.AMDGPU.csdata,"",@progbits
; Kernel info:
; codeLenInByte = 0
; NumSgprs: 4
; NumVgprs: 0
; NumAgprs: 0
; TotalNumVgprs: 0
; ScratchSize: 0
; MemoryBound: 0
; FloatMode: 240
; IeeeMode: 1
; LDSByteSize: 0 bytes/workgroup (compile time only)
; SGPRBlocks: 0
; VGPRBlocks: 0
; NumSGPRsForWavesPerEU: 4
; NumVGPRsForWavesPerEU: 1
; AccumOffset: 4
; Occupancy: 8
; WaveLimiterHint : 0
; COMPUTE_PGM_RSRC2:SCRATCH_EN: 0
; COMPUTE_PGM_RSRC2:USER_SGPR: 6
; COMPUTE_PGM_RSRC2:TRAP_HANDLER: 0
; COMPUTE_PGM_RSRC2:TGID_X_EN: 1
; COMPUTE_PGM_RSRC2:TGID_Y_EN: 0
; COMPUTE_PGM_RSRC2:TGID_Z_EN: 0
; COMPUTE_PGM_RSRC2:TIDIG_COMP_CNT: 0
; COMPUTE_PGM_RSRC3_GFX90A:ACCUM_OFFSET: 0
; COMPUTE_PGM_RSRC3_GFX90A:TG_SPLIT: 0
	.section	.text._ZN7rocprim17ROCPRIM_400000_NS6detail17trampoline_kernelINS0_14default_configENS1_25partition_config_selectorILNS1_17partition_subalgoE8ElNS0_10empty_typeEbEEZZNS1_14partition_implILS5_8ELb0ES3_jPlPS6_PKS6_NS0_5tupleIJS9_S6_EEENSD_IJSA_SA_EEENS0_18inequality_wrapperIZN2at6native12_GLOBAL__N_124unique_dim_cuda_templateIaEESt5tupleIJNSH_6TensorESM_SM_EERKSM_lbbbEUlllE0_EEPmJS6_EEE10hipError_tPvRmT3_T4_T5_T6_T7_T9_mT8_P12ihipStream_tbDpT10_ENKUlT_T0_E_clISt17integral_constantIbLb0EES1C_EEDaS17_S18_EUlS17_E_NS1_11comp_targetILNS1_3genE5ELNS1_11target_archE942ELNS1_3gpuE9ELNS1_3repE0EEENS1_30default_config_static_selectorELNS0_4arch9wavefront6targetE1EEEvT1_,"axG",@progbits,_ZN7rocprim17ROCPRIM_400000_NS6detail17trampoline_kernelINS0_14default_configENS1_25partition_config_selectorILNS1_17partition_subalgoE8ElNS0_10empty_typeEbEEZZNS1_14partition_implILS5_8ELb0ES3_jPlPS6_PKS6_NS0_5tupleIJS9_S6_EEENSD_IJSA_SA_EEENS0_18inequality_wrapperIZN2at6native12_GLOBAL__N_124unique_dim_cuda_templateIaEESt5tupleIJNSH_6TensorESM_SM_EERKSM_lbbbEUlllE0_EEPmJS6_EEE10hipError_tPvRmT3_T4_T5_T6_T7_T9_mT8_P12ihipStream_tbDpT10_ENKUlT_T0_E_clISt17integral_constantIbLb0EES1C_EEDaS17_S18_EUlS17_E_NS1_11comp_targetILNS1_3genE5ELNS1_11target_archE942ELNS1_3gpuE9ELNS1_3repE0EEENS1_30default_config_static_selectorELNS0_4arch9wavefront6targetE1EEEvT1_,comdat
	.globl	_ZN7rocprim17ROCPRIM_400000_NS6detail17trampoline_kernelINS0_14default_configENS1_25partition_config_selectorILNS1_17partition_subalgoE8ElNS0_10empty_typeEbEEZZNS1_14partition_implILS5_8ELb0ES3_jPlPS6_PKS6_NS0_5tupleIJS9_S6_EEENSD_IJSA_SA_EEENS0_18inequality_wrapperIZN2at6native12_GLOBAL__N_124unique_dim_cuda_templateIaEESt5tupleIJNSH_6TensorESM_SM_EERKSM_lbbbEUlllE0_EEPmJS6_EEE10hipError_tPvRmT3_T4_T5_T6_T7_T9_mT8_P12ihipStream_tbDpT10_ENKUlT_T0_E_clISt17integral_constantIbLb0EES1C_EEDaS17_S18_EUlS17_E_NS1_11comp_targetILNS1_3genE5ELNS1_11target_archE942ELNS1_3gpuE9ELNS1_3repE0EEENS1_30default_config_static_selectorELNS0_4arch9wavefront6targetE1EEEvT1_ ; -- Begin function _ZN7rocprim17ROCPRIM_400000_NS6detail17trampoline_kernelINS0_14default_configENS1_25partition_config_selectorILNS1_17partition_subalgoE8ElNS0_10empty_typeEbEEZZNS1_14partition_implILS5_8ELb0ES3_jPlPS6_PKS6_NS0_5tupleIJS9_S6_EEENSD_IJSA_SA_EEENS0_18inequality_wrapperIZN2at6native12_GLOBAL__N_124unique_dim_cuda_templateIaEESt5tupleIJNSH_6TensorESM_SM_EERKSM_lbbbEUlllE0_EEPmJS6_EEE10hipError_tPvRmT3_T4_T5_T6_T7_T9_mT8_P12ihipStream_tbDpT10_ENKUlT_T0_E_clISt17integral_constantIbLb0EES1C_EEDaS17_S18_EUlS17_E_NS1_11comp_targetILNS1_3genE5ELNS1_11target_archE942ELNS1_3gpuE9ELNS1_3repE0EEENS1_30default_config_static_selectorELNS0_4arch9wavefront6targetE1EEEvT1_
	.p2align	8
	.type	_ZN7rocprim17ROCPRIM_400000_NS6detail17trampoline_kernelINS0_14default_configENS1_25partition_config_selectorILNS1_17partition_subalgoE8ElNS0_10empty_typeEbEEZZNS1_14partition_implILS5_8ELb0ES3_jPlPS6_PKS6_NS0_5tupleIJS9_S6_EEENSD_IJSA_SA_EEENS0_18inequality_wrapperIZN2at6native12_GLOBAL__N_124unique_dim_cuda_templateIaEESt5tupleIJNSH_6TensorESM_SM_EERKSM_lbbbEUlllE0_EEPmJS6_EEE10hipError_tPvRmT3_T4_T5_T6_T7_T9_mT8_P12ihipStream_tbDpT10_ENKUlT_T0_E_clISt17integral_constantIbLb0EES1C_EEDaS17_S18_EUlS17_E_NS1_11comp_targetILNS1_3genE5ELNS1_11target_archE942ELNS1_3gpuE9ELNS1_3repE0EEENS1_30default_config_static_selectorELNS0_4arch9wavefront6targetE1EEEvT1_,@function
_ZN7rocprim17ROCPRIM_400000_NS6detail17trampoline_kernelINS0_14default_configENS1_25partition_config_selectorILNS1_17partition_subalgoE8ElNS0_10empty_typeEbEEZZNS1_14partition_implILS5_8ELb0ES3_jPlPS6_PKS6_NS0_5tupleIJS9_S6_EEENSD_IJSA_SA_EEENS0_18inequality_wrapperIZN2at6native12_GLOBAL__N_124unique_dim_cuda_templateIaEESt5tupleIJNSH_6TensorESM_SM_EERKSM_lbbbEUlllE0_EEPmJS6_EEE10hipError_tPvRmT3_T4_T5_T6_T7_T9_mT8_P12ihipStream_tbDpT10_ENKUlT_T0_E_clISt17integral_constantIbLb0EES1C_EEDaS17_S18_EUlS17_E_NS1_11comp_targetILNS1_3genE5ELNS1_11target_archE942ELNS1_3gpuE9ELNS1_3repE0EEENS1_30default_config_static_selectorELNS0_4arch9wavefront6targetE1EEEvT1_: ; @_ZN7rocprim17ROCPRIM_400000_NS6detail17trampoline_kernelINS0_14default_configENS1_25partition_config_selectorILNS1_17partition_subalgoE8ElNS0_10empty_typeEbEEZZNS1_14partition_implILS5_8ELb0ES3_jPlPS6_PKS6_NS0_5tupleIJS9_S6_EEENSD_IJSA_SA_EEENS0_18inequality_wrapperIZN2at6native12_GLOBAL__N_124unique_dim_cuda_templateIaEESt5tupleIJNSH_6TensorESM_SM_EERKSM_lbbbEUlllE0_EEPmJS6_EEE10hipError_tPvRmT3_T4_T5_T6_T7_T9_mT8_P12ihipStream_tbDpT10_ENKUlT_T0_E_clISt17integral_constantIbLb0EES1C_EEDaS17_S18_EUlS17_E_NS1_11comp_targetILNS1_3genE5ELNS1_11target_archE942ELNS1_3gpuE9ELNS1_3repE0EEENS1_30default_config_static_selectorELNS0_4arch9wavefront6targetE1EEEvT1_
; %bb.0:
	.section	.rodata,"a",@progbits
	.p2align	6, 0x0
	.amdhsa_kernel _ZN7rocprim17ROCPRIM_400000_NS6detail17trampoline_kernelINS0_14default_configENS1_25partition_config_selectorILNS1_17partition_subalgoE8ElNS0_10empty_typeEbEEZZNS1_14partition_implILS5_8ELb0ES3_jPlPS6_PKS6_NS0_5tupleIJS9_S6_EEENSD_IJSA_SA_EEENS0_18inequality_wrapperIZN2at6native12_GLOBAL__N_124unique_dim_cuda_templateIaEESt5tupleIJNSH_6TensorESM_SM_EERKSM_lbbbEUlllE0_EEPmJS6_EEE10hipError_tPvRmT3_T4_T5_T6_T7_T9_mT8_P12ihipStream_tbDpT10_ENKUlT_T0_E_clISt17integral_constantIbLb0EES1C_EEDaS17_S18_EUlS17_E_NS1_11comp_targetILNS1_3genE5ELNS1_11target_archE942ELNS1_3gpuE9ELNS1_3repE0EEENS1_30default_config_static_selectorELNS0_4arch9wavefront6targetE1EEEvT1_
		.amdhsa_group_segment_fixed_size 0
		.amdhsa_private_segment_fixed_size 0
		.amdhsa_kernarg_size 120
		.amdhsa_user_sgpr_count 6
		.amdhsa_user_sgpr_private_segment_buffer 1
		.amdhsa_user_sgpr_dispatch_ptr 0
		.amdhsa_user_sgpr_queue_ptr 0
		.amdhsa_user_sgpr_kernarg_segment_ptr 1
		.amdhsa_user_sgpr_dispatch_id 0
		.amdhsa_user_sgpr_flat_scratch_init 0
		.amdhsa_user_sgpr_kernarg_preload_length 0
		.amdhsa_user_sgpr_kernarg_preload_offset 0
		.amdhsa_user_sgpr_private_segment_size 0
		.amdhsa_uses_dynamic_stack 0
		.amdhsa_system_sgpr_private_segment_wavefront_offset 0
		.amdhsa_system_sgpr_workgroup_id_x 1
		.amdhsa_system_sgpr_workgroup_id_y 0
		.amdhsa_system_sgpr_workgroup_id_z 0
		.amdhsa_system_sgpr_workgroup_info 0
		.amdhsa_system_vgpr_workitem_id 0
		.amdhsa_next_free_vgpr 1
		.amdhsa_next_free_sgpr 0
		.amdhsa_accum_offset 4
		.amdhsa_reserve_vcc 0
		.amdhsa_reserve_flat_scratch 0
		.amdhsa_float_round_mode_32 0
		.amdhsa_float_round_mode_16_64 0
		.amdhsa_float_denorm_mode_32 3
		.amdhsa_float_denorm_mode_16_64 3
		.amdhsa_dx10_clamp 1
		.amdhsa_ieee_mode 1
		.amdhsa_fp16_overflow 0
		.amdhsa_tg_split 0
		.amdhsa_exception_fp_ieee_invalid_op 0
		.amdhsa_exception_fp_denorm_src 0
		.amdhsa_exception_fp_ieee_div_zero 0
		.amdhsa_exception_fp_ieee_overflow 0
		.amdhsa_exception_fp_ieee_underflow 0
		.amdhsa_exception_fp_ieee_inexact 0
		.amdhsa_exception_int_div_zero 0
	.end_amdhsa_kernel
	.section	.text._ZN7rocprim17ROCPRIM_400000_NS6detail17trampoline_kernelINS0_14default_configENS1_25partition_config_selectorILNS1_17partition_subalgoE8ElNS0_10empty_typeEbEEZZNS1_14partition_implILS5_8ELb0ES3_jPlPS6_PKS6_NS0_5tupleIJS9_S6_EEENSD_IJSA_SA_EEENS0_18inequality_wrapperIZN2at6native12_GLOBAL__N_124unique_dim_cuda_templateIaEESt5tupleIJNSH_6TensorESM_SM_EERKSM_lbbbEUlllE0_EEPmJS6_EEE10hipError_tPvRmT3_T4_T5_T6_T7_T9_mT8_P12ihipStream_tbDpT10_ENKUlT_T0_E_clISt17integral_constantIbLb0EES1C_EEDaS17_S18_EUlS17_E_NS1_11comp_targetILNS1_3genE5ELNS1_11target_archE942ELNS1_3gpuE9ELNS1_3repE0EEENS1_30default_config_static_selectorELNS0_4arch9wavefront6targetE1EEEvT1_,"axG",@progbits,_ZN7rocprim17ROCPRIM_400000_NS6detail17trampoline_kernelINS0_14default_configENS1_25partition_config_selectorILNS1_17partition_subalgoE8ElNS0_10empty_typeEbEEZZNS1_14partition_implILS5_8ELb0ES3_jPlPS6_PKS6_NS0_5tupleIJS9_S6_EEENSD_IJSA_SA_EEENS0_18inequality_wrapperIZN2at6native12_GLOBAL__N_124unique_dim_cuda_templateIaEESt5tupleIJNSH_6TensorESM_SM_EERKSM_lbbbEUlllE0_EEPmJS6_EEE10hipError_tPvRmT3_T4_T5_T6_T7_T9_mT8_P12ihipStream_tbDpT10_ENKUlT_T0_E_clISt17integral_constantIbLb0EES1C_EEDaS17_S18_EUlS17_E_NS1_11comp_targetILNS1_3genE5ELNS1_11target_archE942ELNS1_3gpuE9ELNS1_3repE0EEENS1_30default_config_static_selectorELNS0_4arch9wavefront6targetE1EEEvT1_,comdat
.Lfunc_end320:
	.size	_ZN7rocprim17ROCPRIM_400000_NS6detail17trampoline_kernelINS0_14default_configENS1_25partition_config_selectorILNS1_17partition_subalgoE8ElNS0_10empty_typeEbEEZZNS1_14partition_implILS5_8ELb0ES3_jPlPS6_PKS6_NS0_5tupleIJS9_S6_EEENSD_IJSA_SA_EEENS0_18inequality_wrapperIZN2at6native12_GLOBAL__N_124unique_dim_cuda_templateIaEESt5tupleIJNSH_6TensorESM_SM_EERKSM_lbbbEUlllE0_EEPmJS6_EEE10hipError_tPvRmT3_T4_T5_T6_T7_T9_mT8_P12ihipStream_tbDpT10_ENKUlT_T0_E_clISt17integral_constantIbLb0EES1C_EEDaS17_S18_EUlS17_E_NS1_11comp_targetILNS1_3genE5ELNS1_11target_archE942ELNS1_3gpuE9ELNS1_3repE0EEENS1_30default_config_static_selectorELNS0_4arch9wavefront6targetE1EEEvT1_, .Lfunc_end320-_ZN7rocprim17ROCPRIM_400000_NS6detail17trampoline_kernelINS0_14default_configENS1_25partition_config_selectorILNS1_17partition_subalgoE8ElNS0_10empty_typeEbEEZZNS1_14partition_implILS5_8ELb0ES3_jPlPS6_PKS6_NS0_5tupleIJS9_S6_EEENSD_IJSA_SA_EEENS0_18inequality_wrapperIZN2at6native12_GLOBAL__N_124unique_dim_cuda_templateIaEESt5tupleIJNSH_6TensorESM_SM_EERKSM_lbbbEUlllE0_EEPmJS6_EEE10hipError_tPvRmT3_T4_T5_T6_T7_T9_mT8_P12ihipStream_tbDpT10_ENKUlT_T0_E_clISt17integral_constantIbLb0EES1C_EEDaS17_S18_EUlS17_E_NS1_11comp_targetILNS1_3genE5ELNS1_11target_archE942ELNS1_3gpuE9ELNS1_3repE0EEENS1_30default_config_static_selectorELNS0_4arch9wavefront6targetE1EEEvT1_
                                        ; -- End function
	.section	.AMDGPU.csdata,"",@progbits
; Kernel info:
; codeLenInByte = 0
; NumSgprs: 4
; NumVgprs: 0
; NumAgprs: 0
; TotalNumVgprs: 0
; ScratchSize: 0
; MemoryBound: 0
; FloatMode: 240
; IeeeMode: 1
; LDSByteSize: 0 bytes/workgroup (compile time only)
; SGPRBlocks: 0
; VGPRBlocks: 0
; NumSGPRsForWavesPerEU: 4
; NumVGPRsForWavesPerEU: 1
; AccumOffset: 4
; Occupancy: 8
; WaveLimiterHint : 0
; COMPUTE_PGM_RSRC2:SCRATCH_EN: 0
; COMPUTE_PGM_RSRC2:USER_SGPR: 6
; COMPUTE_PGM_RSRC2:TRAP_HANDLER: 0
; COMPUTE_PGM_RSRC2:TGID_X_EN: 1
; COMPUTE_PGM_RSRC2:TGID_Y_EN: 0
; COMPUTE_PGM_RSRC2:TGID_Z_EN: 0
; COMPUTE_PGM_RSRC2:TIDIG_COMP_CNT: 0
; COMPUTE_PGM_RSRC3_GFX90A:ACCUM_OFFSET: 0
; COMPUTE_PGM_RSRC3_GFX90A:TG_SPLIT: 0
	.section	.text._ZN7rocprim17ROCPRIM_400000_NS6detail17trampoline_kernelINS0_14default_configENS1_25partition_config_selectorILNS1_17partition_subalgoE8ElNS0_10empty_typeEbEEZZNS1_14partition_implILS5_8ELb0ES3_jPlPS6_PKS6_NS0_5tupleIJS9_S6_EEENSD_IJSA_SA_EEENS0_18inequality_wrapperIZN2at6native12_GLOBAL__N_124unique_dim_cuda_templateIaEESt5tupleIJNSH_6TensorESM_SM_EERKSM_lbbbEUlllE0_EEPmJS6_EEE10hipError_tPvRmT3_T4_T5_T6_T7_T9_mT8_P12ihipStream_tbDpT10_ENKUlT_T0_E_clISt17integral_constantIbLb0EES1C_EEDaS17_S18_EUlS17_E_NS1_11comp_targetILNS1_3genE4ELNS1_11target_archE910ELNS1_3gpuE8ELNS1_3repE0EEENS1_30default_config_static_selectorELNS0_4arch9wavefront6targetE1EEEvT1_,"axG",@progbits,_ZN7rocprim17ROCPRIM_400000_NS6detail17trampoline_kernelINS0_14default_configENS1_25partition_config_selectorILNS1_17partition_subalgoE8ElNS0_10empty_typeEbEEZZNS1_14partition_implILS5_8ELb0ES3_jPlPS6_PKS6_NS0_5tupleIJS9_S6_EEENSD_IJSA_SA_EEENS0_18inequality_wrapperIZN2at6native12_GLOBAL__N_124unique_dim_cuda_templateIaEESt5tupleIJNSH_6TensorESM_SM_EERKSM_lbbbEUlllE0_EEPmJS6_EEE10hipError_tPvRmT3_T4_T5_T6_T7_T9_mT8_P12ihipStream_tbDpT10_ENKUlT_T0_E_clISt17integral_constantIbLb0EES1C_EEDaS17_S18_EUlS17_E_NS1_11comp_targetILNS1_3genE4ELNS1_11target_archE910ELNS1_3gpuE8ELNS1_3repE0EEENS1_30default_config_static_selectorELNS0_4arch9wavefront6targetE1EEEvT1_,comdat
	.globl	_ZN7rocprim17ROCPRIM_400000_NS6detail17trampoline_kernelINS0_14default_configENS1_25partition_config_selectorILNS1_17partition_subalgoE8ElNS0_10empty_typeEbEEZZNS1_14partition_implILS5_8ELb0ES3_jPlPS6_PKS6_NS0_5tupleIJS9_S6_EEENSD_IJSA_SA_EEENS0_18inequality_wrapperIZN2at6native12_GLOBAL__N_124unique_dim_cuda_templateIaEESt5tupleIJNSH_6TensorESM_SM_EERKSM_lbbbEUlllE0_EEPmJS6_EEE10hipError_tPvRmT3_T4_T5_T6_T7_T9_mT8_P12ihipStream_tbDpT10_ENKUlT_T0_E_clISt17integral_constantIbLb0EES1C_EEDaS17_S18_EUlS17_E_NS1_11comp_targetILNS1_3genE4ELNS1_11target_archE910ELNS1_3gpuE8ELNS1_3repE0EEENS1_30default_config_static_selectorELNS0_4arch9wavefront6targetE1EEEvT1_ ; -- Begin function _ZN7rocprim17ROCPRIM_400000_NS6detail17trampoline_kernelINS0_14default_configENS1_25partition_config_selectorILNS1_17partition_subalgoE8ElNS0_10empty_typeEbEEZZNS1_14partition_implILS5_8ELb0ES3_jPlPS6_PKS6_NS0_5tupleIJS9_S6_EEENSD_IJSA_SA_EEENS0_18inequality_wrapperIZN2at6native12_GLOBAL__N_124unique_dim_cuda_templateIaEESt5tupleIJNSH_6TensorESM_SM_EERKSM_lbbbEUlllE0_EEPmJS6_EEE10hipError_tPvRmT3_T4_T5_T6_T7_T9_mT8_P12ihipStream_tbDpT10_ENKUlT_T0_E_clISt17integral_constantIbLb0EES1C_EEDaS17_S18_EUlS17_E_NS1_11comp_targetILNS1_3genE4ELNS1_11target_archE910ELNS1_3gpuE8ELNS1_3repE0EEENS1_30default_config_static_selectorELNS0_4arch9wavefront6targetE1EEEvT1_
	.p2align	8
	.type	_ZN7rocprim17ROCPRIM_400000_NS6detail17trampoline_kernelINS0_14default_configENS1_25partition_config_selectorILNS1_17partition_subalgoE8ElNS0_10empty_typeEbEEZZNS1_14partition_implILS5_8ELb0ES3_jPlPS6_PKS6_NS0_5tupleIJS9_S6_EEENSD_IJSA_SA_EEENS0_18inequality_wrapperIZN2at6native12_GLOBAL__N_124unique_dim_cuda_templateIaEESt5tupleIJNSH_6TensorESM_SM_EERKSM_lbbbEUlllE0_EEPmJS6_EEE10hipError_tPvRmT3_T4_T5_T6_T7_T9_mT8_P12ihipStream_tbDpT10_ENKUlT_T0_E_clISt17integral_constantIbLb0EES1C_EEDaS17_S18_EUlS17_E_NS1_11comp_targetILNS1_3genE4ELNS1_11target_archE910ELNS1_3gpuE8ELNS1_3repE0EEENS1_30default_config_static_selectorELNS0_4arch9wavefront6targetE1EEEvT1_,@function
_ZN7rocprim17ROCPRIM_400000_NS6detail17trampoline_kernelINS0_14default_configENS1_25partition_config_selectorILNS1_17partition_subalgoE8ElNS0_10empty_typeEbEEZZNS1_14partition_implILS5_8ELb0ES3_jPlPS6_PKS6_NS0_5tupleIJS9_S6_EEENSD_IJSA_SA_EEENS0_18inequality_wrapperIZN2at6native12_GLOBAL__N_124unique_dim_cuda_templateIaEESt5tupleIJNSH_6TensorESM_SM_EERKSM_lbbbEUlllE0_EEPmJS6_EEE10hipError_tPvRmT3_T4_T5_T6_T7_T9_mT8_P12ihipStream_tbDpT10_ENKUlT_T0_E_clISt17integral_constantIbLb0EES1C_EEDaS17_S18_EUlS17_E_NS1_11comp_targetILNS1_3genE4ELNS1_11target_archE910ELNS1_3gpuE8ELNS1_3repE0EEENS1_30default_config_static_selectorELNS0_4arch9wavefront6targetE1EEEvT1_: ; @_ZN7rocprim17ROCPRIM_400000_NS6detail17trampoline_kernelINS0_14default_configENS1_25partition_config_selectorILNS1_17partition_subalgoE8ElNS0_10empty_typeEbEEZZNS1_14partition_implILS5_8ELb0ES3_jPlPS6_PKS6_NS0_5tupleIJS9_S6_EEENSD_IJSA_SA_EEENS0_18inequality_wrapperIZN2at6native12_GLOBAL__N_124unique_dim_cuda_templateIaEESt5tupleIJNSH_6TensorESM_SM_EERKSM_lbbbEUlllE0_EEPmJS6_EEE10hipError_tPvRmT3_T4_T5_T6_T7_T9_mT8_P12ihipStream_tbDpT10_ENKUlT_T0_E_clISt17integral_constantIbLb0EES1C_EEDaS17_S18_EUlS17_E_NS1_11comp_targetILNS1_3genE4ELNS1_11target_archE910ELNS1_3gpuE8ELNS1_3repE0EEENS1_30default_config_static_selectorELNS0_4arch9wavefront6targetE1EEEvT1_
; %bb.0:
	s_load_dwordx8 s[20:27], s[4:5], 0x40
	s_load_dwordx4 s[0:3], s[4:5], 0x8
	s_load_dwordx4 s[28:31], s[4:5], 0x60
	s_load_dword s7, s[4:5], 0x70
	s_waitcnt lgkmcnt(0)
	v_mov_b32_e32 v2, s24
	s_lshl_b64 s[8:9], s[2:3], 3
	s_add_u32 s12, s0, s8
	s_mul_i32 s8, s7, 0x500
	s_addc_u32 s13, s1, s9
	s_add_i32 s1, s8, s2
	s_add_i32 s10, s7, -1
	s_sub_i32 s7, s24, s1
	s_add_u32 s8, s2, s8
	s_addc_u32 s9, s3, 0
	v_mov_b32_e32 v3, s25
	s_cmp_eq_u32 s6, s10
	s_load_dwordx2 s[22:23], s[22:23], 0x0
	v_cmp_ge_u64_e32 vcc, s[8:9], v[2:3]
	s_cselect_b64 s[24:25], -1, 0
	s_mul_i32 s0, s6, 0x500
	s_mov_b32 s1, 0
	s_and_b64 s[8:9], s[24:25], vcc
	s_xor_b64 s[34:35], s[8:9], -1
	s_lshl_b64 s[0:1], s[0:1], 3
	s_add_u32 s0, s12, s0
	s_mov_b64 s[10:11], -1
	s_addc_u32 s1, s13, s1
	s_and_b64 vcc, exec, s[34:35]
	s_cbranch_vccz .LBB321_2
; %bb.1:
	v_lshlrev_b32_e32 v1, 3, v0
	v_mov_b32_e32 v2, s1
	v_add_co_u32_e32 v12, vcc, s0, v1
	v_addc_co_u32_e32 v13, vcc, 0, v2, vcc
	v_add_co_u32_e32 v2, vcc, 0x1000, v12
	v_addc_co_u32_e32 v3, vcc, 0, v13, vcc
	global_load_dwordx2 v[4:5], v1, s[0:1]
	global_load_dwordx2 v[6:7], v1, s[0:1] offset:2048
	global_load_dwordx2 v[8:9], v[2:3], off
	global_load_dwordx2 v[10:11], v[2:3], off offset:2048
	v_add_co_u32_e32 v2, vcc, 0x2000, v12
	v_addc_co_u32_e32 v3, vcc, 0, v13, vcc
	global_load_dwordx2 v[2:3], v[2:3], off
	s_mov_b64 s[10:11], 0
	s_waitcnt vmcnt(3)
	ds_write2st64_b64 v1, v[4:5], v[6:7] offset1:4
	s_waitcnt vmcnt(1)
	ds_write2st64_b64 v1, v[8:9], v[10:11] offset0:8 offset1:12
	s_waitcnt vmcnt(0)
	ds_write_b64 v1, v[2:3] offset:8192
	s_waitcnt lgkmcnt(0)
	s_barrier
.LBB321_2:
	s_andn2_b64 vcc, exec, s[10:11]
	s_addk_i32 s7, 0x500
	s_cbranch_vccnz .LBB321_14
; %bb.3:
	v_cmp_gt_u32_e32 vcc, s7, v0
                                        ; implicit-def: $vgpr2_vgpr3_vgpr4_vgpr5_vgpr6_vgpr7_vgpr8_vgpr9_vgpr10_vgpr11_vgpr12_vgpr13_vgpr14_vgpr15_vgpr16_vgpr17
	s_and_saveexec_b64 s[10:11], vcc
	s_cbranch_execz .LBB321_5
; %bb.4:
	v_lshlrev_b32_e32 v1, 3, v0
	global_load_dwordx2 v[2:3], v1, s[0:1]
.LBB321_5:
	s_or_b64 exec, exec, s[10:11]
	v_or_b32_e32 v1, 0x100, v0
	v_cmp_gt_u32_e32 vcc, s7, v1
	s_and_saveexec_b64 s[10:11], vcc
	s_cbranch_execz .LBB321_7
; %bb.6:
	v_lshlrev_b32_e32 v1, 3, v0
	global_load_dwordx2 v[4:5], v1, s[0:1] offset:2048
.LBB321_7:
	s_or_b64 exec, exec, s[10:11]
	v_or_b32_e32 v1, 0x200, v0
	v_cmp_gt_u32_e32 vcc, s7, v1
	s_and_saveexec_b64 s[10:11], vcc
	s_cbranch_execz .LBB321_9
; %bb.8:
	v_lshlrev_b32_e32 v1, 3, v1
	global_load_dwordx2 v[6:7], v1, s[0:1]
.LBB321_9:
	s_or_b64 exec, exec, s[10:11]
	v_or_b32_e32 v1, 0x300, v0
	v_cmp_gt_u32_e32 vcc, s7, v1
	s_and_saveexec_b64 s[10:11], vcc
	s_cbranch_execz .LBB321_11
; %bb.10:
	v_lshlrev_b32_e32 v1, 3, v1
	global_load_dwordx2 v[8:9], v1, s[0:1]
.LBB321_11:
	;; [unrolled: 9-line block ×3, first 2 shown]
	s_or_b64 exec, exec, s[10:11]
	v_lshlrev_b32_e32 v1, 3, v0
	s_waitcnt vmcnt(0)
	ds_write2st64_b64 v1, v[2:3], v[4:5] offset1:4
	ds_write2st64_b64 v1, v[6:7], v[8:9] offset0:8 offset1:12
	ds_write_b64 v1, v[10:11] offset:8192
	s_waitcnt lgkmcnt(0)
	s_barrier
.LBB321_14:
	v_mul_u32_u24_e32 v1, 5, v0
	v_lshlrev_b32_e32 v24, 3, v1
	s_waitcnt lgkmcnt(0)
	ds_read2_b64 v[6:9], v24 offset1:1
	ds_read2_b64 v[2:5], v24 offset0:2 offset1:3
	ds_read_b64 v[10:11], v24 offset:32
	s_cmp_lg_u32 s6, 0
	s_cselect_b64 s[16:17], -1, 0
	s_cmp_lg_u64 s[2:3], 0
	s_cselect_b64 s[2:3], -1, 0
	s_or_b64 s[2:3], s[16:17], s[2:3]
	v_mad_u32_u24 v22, v0, 5, 1
	v_mad_u32_u24 v20, v0, 5, 2
	v_mad_u32_u24 v23, v0, 5, 3
	v_mad_u32_u24 v21, v0, 5, 4
	s_mov_b64 s[10:11], 0
	s_and_b64 vcc, exec, s[2:3]
	v_cmp_gt_i64_e64 s[12:13], s[26:27], 0
	s_waitcnt lgkmcnt(0)
	s_barrier
	s_cbranch_vccz .LBB321_23
; %bb.15:
	s_add_u32 s0, s0, -8
	s_addc_u32 s1, s1, -1
	s_load_dwordx2 s[2:3], s[0:1], 0x0
	v_cndmask_b32_e64 v12, 0, 1, s[12:13]
	v_lshlrev_b32_e32 v25, 3, v0
	s_and_b64 vcc, exec, s[34:35]
	v_cmp_ne_u32_e64 s[0:1], 1, v12
	ds_write_b64 v25, v[10:11]
	s_cbranch_vccz .LBB321_24
; %bb.16:
	v_mul_lo_u32 v14, v5, s26
	v_mul_lo_u32 v15, v4, s27
	v_mad_u64_u32 v[12:13], s[12:13], v4, s26, 0
	s_and_b64 vcc, exec, s[0:1]
	v_add3_u32 v13, v13, v15, v14
	s_cbranch_vccnz .LBB321_27
; %bb.17:
	v_mov_b32_e32 v15, s29
	v_add_co_u32_e32 v14, vcc, s28, v12
	v_pk_mov_b32 v[16:17], s[28:29], s[28:29] op_sel:[0,1]
	v_addc_co_u32_e32 v15, vcc, v15, v13, vcc
	v_mad_u64_u32 v[16:17], s[10:11], v10, s26, v[16:17]
	v_mul_lo_u32 v18, v10, s27
	v_mul_lo_u32 v19, v11, s26
	v_add3_u32 v17, v19, v17, v18
	global_load_ubyte v18, v[14:15], off
	global_load_ubyte v19, v[16:17], off
	s_mov_b64 s[10:11], -1
	s_waitcnt vmcnt(0)
	v_cmp_eq_u16_e32 vcc, v18, v19
	s_and_saveexec_b64 s[12:13], vcc
	s_cbranch_execz .LBB321_26
; %bb.18:
	s_mov_b64 s[18:19], 1
	s_mov_b64 s[10:11], 0
                                        ; implicit-def: $sgpr14_sgpr15
	s_branch .LBB321_21
.LBB321_19:                             ;   in Loop: Header=BB321_21 Depth=1
	v_mov_b32_e32 v27, s19
	v_add_co_u32_e32 v18, vcc, s18, v14
	v_addc_co_u32_e32 v19, vcc, v15, v27, vcc
	v_add_co_u32_e32 v26, vcc, s18, v16
	v_addc_co_u32_e32 v27, vcc, v17, v27, vcc
	global_load_ubyte v28, v[18:19], off
	global_load_ubyte v29, v[26:27], off
	s_add_u32 s36, s18, 1
	s_addc_u32 s37, s19, 0
	s_andn2_b64 s[14:15], s[14:15], exec
	s_waitcnt vmcnt(0)
	v_cmp_ne_u16_e32 vcc, v28, v29
	s_and_b64 s[38:39], vcc, exec
	s_or_b64 s[14:15], s[14:15], s[38:39]
.LBB321_20:                             ;   in Loop: Header=BB321_21 Depth=1
	s_and_b64 s[38:39], exec, s[14:15]
	s_or_b64 s[10:11], s[38:39], s[10:11]
	v_pk_mov_b32 v[18:19], s[18:19], s[18:19] op_sel:[0,1]
	s_mov_b64 s[18:19], s[36:37]
	s_andn2_b64 exec, exec, s[10:11]
	s_cbranch_execz .LBB321_25
.LBB321_21:                             ; =>This Inner Loop Header: Depth=1
	s_or_b64 s[14:15], s[14:15], exec
	s_cmp_eq_u64 s[26:27], s[18:19]
	s_cbranch_scc0 .LBB321_19
; %bb.22:                               ;   in Loop: Header=BB321_21 Depth=1
                                        ; implicit-def: $sgpr36_sgpr37
	s_mov_b64 s[18:19], s[26:27]
	s_branch .LBB321_20
.LBB321_23:
                                        ; implicit-def: $sgpr12_sgpr13
                                        ; implicit-def: $vgpr13
                                        ; implicit-def: $vgpr15
	s_branch .LBB321_125
.LBB321_24:
                                        ; implicit-def: $sgpr12_sgpr13
                                        ; implicit-def: $vgpr13
                                        ; implicit-def: $vgpr15
	s_cbranch_execnz .LBB321_66
	s_branch .LBB321_124
.LBB321_25:
	s_or_b64 exec, exec, s[10:11]
	v_cmp_gt_i64_e32 vcc, s[26:27], v[18:19]
	s_orn2_b64 s[10:11], vcc, exec
.LBB321_26:
	s_or_b64 exec, exec, s[12:13]
.LBB321_27:
	v_mul_lo_u32 v14, v3, s26
	v_mul_lo_u32 v15, v2, s27
	v_mad_u64_u32 v[16:17], s[12:13], v2, s26, 0
	v_add3_u32 v17, v17, v15, v14
	s_mov_b64 s[12:13], 0
	s_and_b64 vcc, exec, s[0:1]
	s_mov_b64 s[14:15], 0
	s_cbranch_vccnz .LBB321_36
; %bb.28:
	v_mov_b32_e32 v15, s29
	v_add_co_u32_e32 v14, vcc, s28, v16
	v_addc_co_u32_e32 v15, vcc, v15, v17, vcc
	v_mov_b32_e32 v18, s29
	v_add_co_u32_e32 v12, vcc, s28, v12
	v_addc_co_u32_e32 v13, vcc, v18, v13, vcc
	global_load_ubyte v18, v[14:15], off
	global_load_ubyte v19, v[12:13], off
	s_mov_b64 s[14:15], -1
	s_waitcnt vmcnt(0)
	v_cmp_eq_u16_e32 vcc, v18, v19
	s_and_saveexec_b64 s[18:19], vcc
	s_cbranch_execz .LBB321_35
; %bb.29:
	s_mov_b64 s[38:39], 1
	s_mov_b64 s[14:15], 0
                                        ; implicit-def: $sgpr36_sgpr37
	s_branch .LBB321_32
.LBB321_30:                             ;   in Loop: Header=BB321_32 Depth=1
	v_mov_b32_e32 v27, s39
	v_add_co_u32_e32 v18, vcc, s38, v14
	v_addc_co_u32_e32 v19, vcc, v15, v27, vcc
	v_add_co_u32_e32 v26, vcc, s38, v12
	v_addc_co_u32_e32 v27, vcc, v13, v27, vcc
	global_load_ubyte v28, v[18:19], off
	global_load_ubyte v29, v[26:27], off
	s_add_u32 s40, s38, 1
	s_addc_u32 s41, s39, 0
	s_andn2_b64 s[36:37], s[36:37], exec
	s_waitcnt vmcnt(0)
	v_cmp_ne_u16_e32 vcc, v28, v29
	s_and_b64 s[42:43], vcc, exec
	s_or_b64 s[36:37], s[36:37], s[42:43]
.LBB321_31:                             ;   in Loop: Header=BB321_32 Depth=1
	s_and_b64 s[42:43], exec, s[36:37]
	s_or_b64 s[14:15], s[42:43], s[14:15]
	v_pk_mov_b32 v[18:19], s[38:39], s[38:39] op_sel:[0,1]
	s_mov_b64 s[38:39], s[40:41]
	s_andn2_b64 exec, exec, s[14:15]
	s_cbranch_execz .LBB321_34
.LBB321_32:                             ; =>This Inner Loop Header: Depth=1
	s_or_b64 s[36:37], s[36:37], exec
	s_cmp_eq_u64 s[26:27], s[38:39]
	s_cbranch_scc0 .LBB321_30
; %bb.33:                               ;   in Loop: Header=BB321_32 Depth=1
                                        ; implicit-def: $sgpr40_sgpr41
	s_mov_b64 s[38:39], s[26:27]
	s_branch .LBB321_31
.LBB321_34:
	s_or_b64 exec, exec, s[14:15]
	v_cmp_gt_i64_e32 vcc, s[26:27], v[18:19]
	s_orn2_b64 s[14:15], vcc, exec
.LBB321_35:
	s_or_b64 exec, exec, s[18:19]
.LBB321_36:
	v_mul_lo_u32 v12, v9, s26
	v_mul_lo_u32 v13, v8, s27
	v_mad_u64_u32 v[14:15], s[18:19], v8, s26, 0
	s_and_b64 vcc, exec, s[0:1]
	v_add3_u32 v15, v15, v13, v12
	s_cbranch_vccnz .LBB321_45
; %bb.37:
	v_mov_b32_e32 v13, s29
	v_add_co_u32_e32 v12, vcc, s28, v14
	v_addc_co_u32_e32 v13, vcc, v13, v15, vcc
	v_mov_b32_e32 v18, s29
	v_add_co_u32_e32 v16, vcc, s28, v16
	v_addc_co_u32_e32 v17, vcc, v18, v17, vcc
	global_load_ubyte v18, v[12:13], off
	global_load_ubyte v19, v[16:17], off
	s_mov_b64 s[12:13], -1
	s_waitcnt vmcnt(0)
	v_cmp_eq_u16_e32 vcc, v18, v19
	s_and_saveexec_b64 s[18:19], vcc
	s_cbranch_execz .LBB321_44
; %bb.38:
	s_mov_b64 s[38:39], 1
	s_mov_b64 s[12:13], 0
                                        ; implicit-def: $sgpr36_sgpr37
	s_branch .LBB321_41
.LBB321_39:                             ;   in Loop: Header=BB321_41 Depth=1
	v_mov_b32_e32 v27, s39
	v_add_co_u32_e32 v18, vcc, s38, v12
	v_addc_co_u32_e32 v19, vcc, v13, v27, vcc
	v_add_co_u32_e32 v26, vcc, s38, v16
	v_addc_co_u32_e32 v27, vcc, v17, v27, vcc
	global_load_ubyte v28, v[18:19], off
	global_load_ubyte v29, v[26:27], off
	s_add_u32 s40, s38, 1
	s_addc_u32 s41, s39, 0
	s_andn2_b64 s[36:37], s[36:37], exec
	s_waitcnt vmcnt(0)
	v_cmp_ne_u16_e32 vcc, v28, v29
	s_and_b64 s[42:43], vcc, exec
	s_or_b64 s[36:37], s[36:37], s[42:43]
.LBB321_40:                             ;   in Loop: Header=BB321_41 Depth=1
	s_and_b64 s[42:43], exec, s[36:37]
	s_or_b64 s[12:13], s[42:43], s[12:13]
	v_pk_mov_b32 v[18:19], s[38:39], s[38:39] op_sel:[0,1]
	s_mov_b64 s[38:39], s[40:41]
	s_andn2_b64 exec, exec, s[12:13]
	s_cbranch_execz .LBB321_43
.LBB321_41:                             ; =>This Inner Loop Header: Depth=1
	s_or_b64 s[36:37], s[36:37], exec
	s_cmp_eq_u64 s[26:27], s[38:39]
	s_cbranch_scc0 .LBB321_39
; %bb.42:                               ;   in Loop: Header=BB321_41 Depth=1
                                        ; implicit-def: $sgpr40_sgpr41
	s_mov_b64 s[38:39], s[26:27]
	s_branch .LBB321_40
.LBB321_43:
	s_or_b64 exec, exec, s[12:13]
	v_cmp_gt_i64_e32 vcc, s[26:27], v[18:19]
	s_orn2_b64 s[12:13], vcc, exec
.LBB321_44:
	s_or_b64 exec, exec, s[18:19]
.LBB321_45:
	v_mul_lo_u32 v16, v7, s26
	v_mul_lo_u32 v17, v6, s27
	v_mad_u64_u32 v[12:13], s[18:19], v6, s26, 0
	v_add3_u32 v13, v13, v17, v16
	s_and_b64 vcc, exec, s[0:1]
	s_mov_b64 s[36:37], 0
	s_cbranch_vccnz .LBB321_54
; %bb.46:
	v_mov_b32_e32 v17, s29
	v_add_co_u32_e32 v16, vcc, s28, v12
	v_addc_co_u32_e32 v17, vcc, v17, v13, vcc
	v_mov_b32_e32 v18, s29
	v_add_co_u32_e32 v14, vcc, s28, v14
	v_addc_co_u32_e32 v15, vcc, v18, v15, vcc
	global_load_ubyte v18, v[16:17], off
	global_load_ubyte v19, v[14:15], off
	s_mov_b64 s[36:37], -1
	s_waitcnt vmcnt(0)
	v_cmp_eq_u16_e32 vcc, v18, v19
	s_and_saveexec_b64 s[18:19], vcc
	s_cbranch_execz .LBB321_53
; %bb.47:
	s_mov_b64 s[40:41], 1
	s_mov_b64 s[36:37], 0
                                        ; implicit-def: $sgpr38_sgpr39
	s_branch .LBB321_50
.LBB321_48:                             ;   in Loop: Header=BB321_50 Depth=1
	v_mov_b32_e32 v27, s41
	v_add_co_u32_e32 v18, vcc, s40, v16
	v_addc_co_u32_e32 v19, vcc, v17, v27, vcc
	v_add_co_u32_e32 v26, vcc, s40, v14
	v_addc_co_u32_e32 v27, vcc, v15, v27, vcc
	global_load_ubyte v28, v[18:19], off
	global_load_ubyte v29, v[26:27], off
	s_add_u32 s42, s40, 1
	s_addc_u32 s43, s41, 0
	s_andn2_b64 s[38:39], s[38:39], exec
	s_waitcnt vmcnt(0)
	v_cmp_ne_u16_e32 vcc, v28, v29
	s_and_b64 s[44:45], vcc, exec
	s_or_b64 s[38:39], s[38:39], s[44:45]
.LBB321_49:                             ;   in Loop: Header=BB321_50 Depth=1
	s_and_b64 s[44:45], exec, s[38:39]
	s_or_b64 s[36:37], s[44:45], s[36:37]
	v_pk_mov_b32 v[18:19], s[40:41], s[40:41] op_sel:[0,1]
	s_mov_b64 s[40:41], s[42:43]
	s_andn2_b64 exec, exec, s[36:37]
	s_cbranch_execz .LBB321_52
.LBB321_50:                             ; =>This Inner Loop Header: Depth=1
	s_or_b64 s[38:39], s[38:39], exec
	s_cmp_eq_u64 s[26:27], s[40:41]
	s_cbranch_scc0 .LBB321_48
; %bb.51:                               ;   in Loop: Header=BB321_50 Depth=1
                                        ; implicit-def: $sgpr42_sgpr43
	s_mov_b64 s[40:41], s[26:27]
	s_branch .LBB321_49
.LBB321_52:
	s_or_b64 exec, exec, s[36:37]
	v_cmp_gt_i64_e32 vcc, s[26:27], v[18:19]
	s_orn2_b64 s[36:37], vcc, exec
.LBB321_53:
	s_or_b64 exec, exec, s[18:19]
.LBB321_54:
	v_cmp_ne_u32_e32 vcc, 0, v0
	s_waitcnt lgkmcnt(0)
	v_pk_mov_b32 v[16:17], s[2:3], s[2:3] op_sel:[0,1]
	s_barrier
	s_and_saveexec_b64 s[18:19], vcc
	s_cbranch_execz .LBB321_56
; %bb.55:
	v_add_u32_e32 v14, -8, v25
	ds_read_b64 v[16:17], v14
.LBB321_56:
	s_or_b64 exec, exec, s[18:19]
	v_cndmask_b32_e64 v15, 0, 1, s[14:15]
	v_cndmask_b32_e64 v14, 0, 1, s[12:13]
	;; [unrolled: 1-line block ×3, first 2 shown]
	v_lshlrev_b16_e32 v15, 8, v15
	v_lshlrev_b16_e32 v18, 8, v18
	v_or_b32_sdwa v19, v14, v15 dst_sel:WORD_1 dst_unused:UNUSED_PAD src0_sel:DWORD src1_sel:DWORD
	s_mov_b64 s[14:15], 0
	s_and_b64 vcc, exec, s[0:1]
	s_mov_b64 s[12:13], 0
	s_cbranch_vccnz .LBB321_65
; %bb.57:
	v_pk_mov_b32 v[14:15], s[28:29], s[28:29] op_sel:[0,1]
	s_waitcnt lgkmcnt(0)
	v_mad_u64_u32 v[14:15], s[12:13], v16, s26, v[14:15]
	v_mul_lo_u32 v16, v16, s27
	v_mul_lo_u32 v17, v17, s26
	v_add3_u32 v15, v17, v15, v16
	v_mov_b32_e32 v16, s29
	v_add_co_u32_e32 v12, vcc, s28, v12
	v_addc_co_u32_e32 v13, vcc, v16, v13, vcc
	global_load_ubyte v16, v[14:15], off
	global_load_ubyte v17, v[12:13], off
	s_mov_b64 s[12:13], -1
	s_waitcnt vmcnt(0)
	v_cmp_eq_u16_e32 vcc, v16, v17
	s_and_saveexec_b64 s[18:19], vcc
	s_cbranch_execz .LBB321_64
; %bb.58:
	s_mov_b64 s[38:39], 1
	s_mov_b64 s[12:13], 0
                                        ; implicit-def: $sgpr36_sgpr37
	s_branch .LBB321_61
.LBB321_59:                             ;   in Loop: Header=BB321_61 Depth=1
	v_mov_b32_e32 v27, s39
	v_add_co_u32_e32 v16, vcc, s38, v14
	v_addc_co_u32_e32 v17, vcc, v15, v27, vcc
	v_add_co_u32_e32 v26, vcc, s38, v12
	v_addc_co_u32_e32 v27, vcc, v13, v27, vcc
	global_load_ubyte v28, v[16:17], off
	global_load_ubyte v29, v[26:27], off
	s_add_u32 s40, s38, 1
	s_addc_u32 s41, s39, 0
	s_andn2_b64 s[36:37], s[36:37], exec
	s_waitcnt vmcnt(0)
	v_cmp_ne_u16_e32 vcc, v28, v29
	s_and_b64 s[42:43], vcc, exec
	s_or_b64 s[36:37], s[36:37], s[42:43]
.LBB321_60:                             ;   in Loop: Header=BB321_61 Depth=1
	s_and_b64 s[42:43], exec, s[36:37]
	s_or_b64 s[12:13], s[42:43], s[12:13]
	v_pk_mov_b32 v[16:17], s[38:39], s[38:39] op_sel:[0,1]
	s_mov_b64 s[38:39], s[40:41]
	s_andn2_b64 exec, exec, s[12:13]
	s_cbranch_execz .LBB321_63
.LBB321_61:                             ; =>This Inner Loop Header: Depth=1
	s_or_b64 s[36:37], s[36:37], exec
	s_cmp_eq_u64 s[26:27], s[38:39]
	s_cbranch_scc0 .LBB321_59
; %bb.62:                               ;   in Loop: Header=BB321_61 Depth=1
                                        ; implicit-def: $sgpr40_sgpr41
	s_mov_b64 s[38:39], s[26:27]
	s_branch .LBB321_60
.LBB321_63:
	s_or_b64 exec, exec, s[12:13]
	v_cmp_gt_i64_e32 vcc, s[26:27], v[16:17]
	s_orn2_b64 s[12:13], vcc, exec
.LBB321_64:
	s_or_b64 exec, exec, s[18:19]
.LBB321_65:
	v_cndmask_b32_e64 v13, 0, 1, s[10:11]
	v_or_b32_e32 v15, v18, v19
	s_and_b64 vcc, exec, s[14:15]
	s_cbranch_vccz .LBB321_124
.LBB321_66:
	v_cmp_gt_u32_e32 vcc, s7, v21
	s_mov_b64 s[12:13], 0
	s_mov_b64 s[10:11], 0
	s_and_saveexec_b64 s[14:15], vcc
	s_cbranch_execz .LBB321_77
; %bb.67:
	s_and_b64 vcc, exec, s[0:1]
	s_mov_b64 s[18:19], 0
	s_cbranch_vccnz .LBB321_76
; %bb.68:
	v_pk_mov_b32 v[14:15], s[28:29], s[28:29] op_sel:[0,1]
	v_mad_u64_u32 v[12:13], s[10:11], v4, s26, v[14:15]
	s_waitcnt lgkmcnt(0)
	v_mul_lo_u32 v16, v4, s27
	v_mul_lo_u32 v17, v5, s26
	v_add3_u32 v13, v17, v13, v16
	v_mad_u64_u32 v[14:15], s[10:11], v10, s26, v[14:15]
	v_mul_lo_u32 v16, v10, s27
	v_mul_lo_u32 v17, v11, s26
	v_add3_u32 v15, v17, v15, v16
	global_load_ubyte v16, v[12:13], off
	global_load_ubyte v17, v[14:15], off
	s_mov_b64 s[18:19], -1
	s_waitcnt vmcnt(0)
	v_cmp_eq_u16_e32 vcc, v16, v17
	s_and_saveexec_b64 s[10:11], vcc
	s_cbranch_execz .LBB321_75
; %bb.69:
	s_mov_b64 s[38:39], 1
	s_mov_b64 s[18:19], 0
                                        ; implicit-def: $sgpr36_sgpr37
	s_branch .LBB321_72
.LBB321_70:                             ;   in Loop: Header=BB321_72 Depth=1
	v_mov_b32_e32 v19, s39
	v_add_co_u32_e32 v16, vcc, s38, v12
	v_addc_co_u32_e32 v17, vcc, v13, v19, vcc
	v_add_co_u32_e32 v18, vcc, s38, v14
	v_addc_co_u32_e32 v19, vcc, v15, v19, vcc
	global_load_ubyte v26, v[16:17], off
	global_load_ubyte v27, v[18:19], off
	s_add_u32 s40, s38, 1
	s_addc_u32 s41, s39, 0
	s_andn2_b64 s[36:37], s[36:37], exec
	s_waitcnt vmcnt(0)
	v_cmp_ne_u16_e32 vcc, v26, v27
	s_and_b64 s[42:43], vcc, exec
	s_or_b64 s[36:37], s[36:37], s[42:43]
.LBB321_71:                             ;   in Loop: Header=BB321_72 Depth=1
	s_and_b64 s[42:43], exec, s[36:37]
	s_or_b64 s[18:19], s[42:43], s[18:19]
	v_pk_mov_b32 v[16:17], s[38:39], s[38:39] op_sel:[0,1]
	s_mov_b64 s[38:39], s[40:41]
	s_andn2_b64 exec, exec, s[18:19]
	s_cbranch_execz .LBB321_74
.LBB321_72:                             ; =>This Inner Loop Header: Depth=1
	s_or_b64 s[36:37], s[36:37], exec
	s_cmp_eq_u64 s[26:27], s[38:39]
	s_cbranch_scc0 .LBB321_70
; %bb.73:                               ;   in Loop: Header=BB321_72 Depth=1
                                        ; implicit-def: $sgpr40_sgpr41
	s_mov_b64 s[38:39], s[26:27]
	s_branch .LBB321_71
.LBB321_74:
	s_or_b64 exec, exec, s[18:19]
	v_cmp_gt_i64_e32 vcc, s[26:27], v[16:17]
	s_orn2_b64 s[18:19], vcc, exec
.LBB321_75:
	s_or_b64 exec, exec, s[10:11]
.LBB321_76:
	s_and_b64 s[10:11], s[18:19], exec
.LBB321_77:
	s_or_b64 exec, exec, s[14:15]
	v_cmp_gt_u32_e32 vcc, s7, v23
	s_and_saveexec_b64 s[14:15], vcc
	s_cbranch_execz .LBB321_88
; %bb.78:
	s_and_b64 vcc, exec, s[0:1]
	s_mov_b64 s[18:19], 0
	s_cbranch_vccnz .LBB321_87
; %bb.79:
	v_pk_mov_b32 v[14:15], s[28:29], s[28:29] op_sel:[0,1]
	v_mad_u64_u32 v[12:13], s[12:13], v2, s26, v[14:15]
	s_waitcnt lgkmcnt(0)
	v_mul_lo_u32 v16, v2, s27
	v_mul_lo_u32 v17, v3, s26
	v_add3_u32 v13, v17, v13, v16
	v_mad_u64_u32 v[14:15], s[12:13], v4, s26, v[14:15]
	v_mul_lo_u32 v16, v4, s27
	v_mul_lo_u32 v17, v5, s26
	v_add3_u32 v15, v17, v15, v16
	global_load_ubyte v16, v[12:13], off
	global_load_ubyte v17, v[14:15], off
	s_mov_b64 s[18:19], -1
	s_waitcnt vmcnt(0)
	v_cmp_eq_u16_e32 vcc, v16, v17
	s_and_saveexec_b64 s[12:13], vcc
	s_cbranch_execz .LBB321_86
; %bb.80:
	s_mov_b64 s[38:39], 1
	s_mov_b64 s[18:19], 0
                                        ; implicit-def: $sgpr36_sgpr37
	s_branch .LBB321_83
.LBB321_81:                             ;   in Loop: Header=BB321_83 Depth=1
	v_mov_b32_e32 v19, s39
	v_add_co_u32_e32 v16, vcc, s38, v12
	v_addc_co_u32_e32 v17, vcc, v13, v19, vcc
	v_add_co_u32_e32 v18, vcc, s38, v14
	v_addc_co_u32_e32 v19, vcc, v15, v19, vcc
	global_load_ubyte v26, v[16:17], off
	global_load_ubyte v27, v[18:19], off
	s_add_u32 s40, s38, 1
	s_addc_u32 s41, s39, 0
	s_andn2_b64 s[36:37], s[36:37], exec
	s_waitcnt vmcnt(0)
	v_cmp_ne_u16_e32 vcc, v26, v27
	s_and_b64 s[42:43], vcc, exec
	s_or_b64 s[36:37], s[36:37], s[42:43]
.LBB321_82:                             ;   in Loop: Header=BB321_83 Depth=1
	s_and_b64 s[42:43], exec, s[36:37]
	s_or_b64 s[18:19], s[42:43], s[18:19]
	v_pk_mov_b32 v[16:17], s[38:39], s[38:39] op_sel:[0,1]
	s_mov_b64 s[38:39], s[40:41]
	s_andn2_b64 exec, exec, s[18:19]
	s_cbranch_execz .LBB321_85
.LBB321_83:                             ; =>This Inner Loop Header: Depth=1
	s_or_b64 s[36:37], s[36:37], exec
	s_cmp_eq_u64 s[26:27], s[38:39]
	s_cbranch_scc0 .LBB321_81
; %bb.84:                               ;   in Loop: Header=BB321_83 Depth=1
                                        ; implicit-def: $sgpr40_sgpr41
	s_mov_b64 s[38:39], s[26:27]
	s_branch .LBB321_82
.LBB321_85:
	s_or_b64 exec, exec, s[18:19]
	v_cmp_gt_i64_e32 vcc, s[26:27], v[16:17]
	s_orn2_b64 s[18:19], vcc, exec
.LBB321_86:
	s_or_b64 exec, exec, s[12:13]
.LBB321_87:
	s_and_b64 s[12:13], s[18:19], exec
.LBB321_88:
	s_or_b64 exec, exec, s[14:15]
	v_cmp_gt_u32_e32 vcc, s7, v20
	s_mov_b64 s[14:15], 0
	s_mov_b64 s[18:19], 0
	s_and_saveexec_b64 s[36:37], vcc
	s_cbranch_execz .LBB321_99
; %bb.89:
	s_and_b64 vcc, exec, s[0:1]
	s_mov_b64 s[38:39], 0
	s_cbranch_vccnz .LBB321_98
; %bb.90:
	v_pk_mov_b32 v[14:15], s[28:29], s[28:29] op_sel:[0,1]
	v_mad_u64_u32 v[12:13], s[18:19], v8, s26, v[14:15]
	s_waitcnt lgkmcnt(0)
	v_mul_lo_u32 v16, v8, s27
	v_mul_lo_u32 v17, v9, s26
	v_add3_u32 v13, v17, v13, v16
	v_mad_u64_u32 v[14:15], s[18:19], v2, s26, v[14:15]
	v_mul_lo_u32 v16, v2, s27
	v_mul_lo_u32 v17, v3, s26
	v_add3_u32 v15, v17, v15, v16
	global_load_ubyte v16, v[12:13], off
	global_load_ubyte v17, v[14:15], off
	s_mov_b64 s[38:39], -1
	s_waitcnt vmcnt(0)
	v_cmp_eq_u16_e32 vcc, v16, v17
	s_and_saveexec_b64 s[18:19], vcc
	s_cbranch_execz .LBB321_97
; %bb.91:
	s_mov_b64 s[42:43], 1
	s_mov_b64 s[38:39], 0
                                        ; implicit-def: $sgpr40_sgpr41
	s_branch .LBB321_94
.LBB321_92:                             ;   in Loop: Header=BB321_94 Depth=1
	v_mov_b32_e32 v19, s43
	v_add_co_u32_e32 v16, vcc, s42, v12
	v_addc_co_u32_e32 v17, vcc, v13, v19, vcc
	v_add_co_u32_e32 v18, vcc, s42, v14
	v_addc_co_u32_e32 v19, vcc, v15, v19, vcc
	global_load_ubyte v26, v[16:17], off
	global_load_ubyte v27, v[18:19], off
	s_add_u32 s44, s42, 1
	s_addc_u32 s45, s43, 0
	s_andn2_b64 s[40:41], s[40:41], exec
	s_waitcnt vmcnt(0)
	v_cmp_ne_u16_e32 vcc, v26, v27
	s_and_b64 s[46:47], vcc, exec
	s_or_b64 s[40:41], s[40:41], s[46:47]
.LBB321_93:                             ;   in Loop: Header=BB321_94 Depth=1
	s_and_b64 s[46:47], exec, s[40:41]
	s_or_b64 s[38:39], s[46:47], s[38:39]
	v_pk_mov_b32 v[16:17], s[42:43], s[42:43] op_sel:[0,1]
	s_mov_b64 s[42:43], s[44:45]
	s_andn2_b64 exec, exec, s[38:39]
	s_cbranch_execz .LBB321_96
.LBB321_94:                             ; =>This Inner Loop Header: Depth=1
	s_or_b64 s[40:41], s[40:41], exec
	s_cmp_eq_u64 s[26:27], s[42:43]
	s_cbranch_scc0 .LBB321_92
; %bb.95:                               ;   in Loop: Header=BB321_94 Depth=1
                                        ; implicit-def: $sgpr44_sgpr45
	s_mov_b64 s[42:43], s[26:27]
	s_branch .LBB321_93
.LBB321_96:
	s_or_b64 exec, exec, s[38:39]
	v_cmp_gt_i64_e32 vcc, s[26:27], v[16:17]
	s_orn2_b64 s[38:39], vcc, exec
.LBB321_97:
	s_or_b64 exec, exec, s[18:19]
.LBB321_98:
	s_and_b64 s[18:19], s[38:39], exec
.LBB321_99:
	s_or_b64 exec, exec, s[36:37]
	v_cmp_gt_u32_e32 vcc, s7, v22
	s_and_saveexec_b64 s[36:37], vcc
	s_cbranch_execz .LBB321_110
; %bb.100:
	s_and_b64 vcc, exec, s[0:1]
	s_mov_b64 s[38:39], 0
	s_cbranch_vccnz .LBB321_109
; %bb.101:
	v_pk_mov_b32 v[14:15], s[28:29], s[28:29] op_sel:[0,1]
	v_mad_u64_u32 v[12:13], s[14:15], v6, s26, v[14:15]
	s_waitcnt lgkmcnt(0)
	v_mul_lo_u32 v16, v6, s27
	v_mul_lo_u32 v17, v7, s26
	v_add3_u32 v13, v17, v13, v16
	v_mad_u64_u32 v[14:15], s[14:15], v8, s26, v[14:15]
	v_mul_lo_u32 v16, v8, s27
	v_mul_lo_u32 v17, v9, s26
	v_add3_u32 v15, v17, v15, v16
	global_load_ubyte v16, v[12:13], off
	global_load_ubyte v17, v[14:15], off
	s_mov_b64 s[38:39], -1
	s_waitcnt vmcnt(0)
	v_cmp_eq_u16_e32 vcc, v16, v17
	s_and_saveexec_b64 s[14:15], vcc
	s_cbranch_execz .LBB321_108
; %bb.102:
	s_mov_b64 s[42:43], 1
	s_mov_b64 s[38:39], 0
                                        ; implicit-def: $sgpr40_sgpr41
	s_branch .LBB321_105
.LBB321_103:                            ;   in Loop: Header=BB321_105 Depth=1
	v_mov_b32_e32 v19, s43
	v_add_co_u32_e32 v16, vcc, s42, v12
	v_addc_co_u32_e32 v17, vcc, v13, v19, vcc
	v_add_co_u32_e32 v18, vcc, s42, v14
	v_addc_co_u32_e32 v19, vcc, v15, v19, vcc
	global_load_ubyte v26, v[16:17], off
	global_load_ubyte v27, v[18:19], off
	s_add_u32 s44, s42, 1
	s_addc_u32 s45, s43, 0
	s_andn2_b64 s[40:41], s[40:41], exec
	s_waitcnt vmcnt(0)
	v_cmp_ne_u16_e32 vcc, v26, v27
	s_and_b64 s[46:47], vcc, exec
	s_or_b64 s[40:41], s[40:41], s[46:47]
.LBB321_104:                            ;   in Loop: Header=BB321_105 Depth=1
	s_and_b64 s[46:47], exec, s[40:41]
	s_or_b64 s[38:39], s[46:47], s[38:39]
	v_pk_mov_b32 v[16:17], s[42:43], s[42:43] op_sel:[0,1]
	s_mov_b64 s[42:43], s[44:45]
	s_andn2_b64 exec, exec, s[38:39]
	s_cbranch_execz .LBB321_107
.LBB321_105:                            ; =>This Inner Loop Header: Depth=1
	s_or_b64 s[40:41], s[40:41], exec
	s_cmp_eq_u64 s[26:27], s[42:43]
	s_cbranch_scc0 .LBB321_103
; %bb.106:                              ;   in Loop: Header=BB321_105 Depth=1
                                        ; implicit-def: $sgpr44_sgpr45
	s_mov_b64 s[42:43], s[26:27]
	s_branch .LBB321_104
.LBB321_107:
	s_or_b64 exec, exec, s[38:39]
	v_cmp_gt_i64_e32 vcc, s[26:27], v[16:17]
	s_orn2_b64 s[38:39], vcc, exec
.LBB321_108:
	s_or_b64 exec, exec, s[14:15]
.LBB321_109:
	s_and_b64 s[14:15], s[38:39], exec
.LBB321_110:
	s_or_b64 exec, exec, s[36:37]
	v_cmp_ne_u32_e32 vcc, 0, v0
	s_waitcnt lgkmcnt(0)
	v_pk_mov_b32 v[14:15], s[2:3], s[2:3] op_sel:[0,1]
	s_barrier
	s_and_saveexec_b64 s[2:3], vcc
	s_cbranch_execz .LBB321_112
; %bb.111:
	v_add_u32_e32 v12, -8, v25
	ds_read_b64 v[14:15], v12
.LBB321_112:
	s_or_b64 exec, exec, s[2:3]
	v_cndmask_b32_e64 v13, 0, 1, s[12:13]
	v_cndmask_b32_e64 v12, 0, 1, s[18:19]
	;; [unrolled: 1-line block ×3, first 2 shown]
	v_lshlrev_b16_e32 v13, 8, v13
	v_cmp_gt_u32_e32 vcc, s7, v1
	v_lshlrev_b16_e32 v18, 8, v16
	v_or_b32_sdwa v19, v12, v13 dst_sel:WORD_1 dst_unused:UNUSED_PAD src0_sel:DWORD src1_sel:DWORD
	s_mov_b64 s[12:13], 0
	s_and_saveexec_b64 s[2:3], vcc
	s_cbranch_execz .LBB321_123
; %bb.113:
	s_and_b64 vcc, exec, s[0:1]
	s_cbranch_vccnz .LBB321_122
; %bb.114:
	v_pk_mov_b32 v[16:17], s[28:29], s[28:29] op_sel:[0,1]
	s_waitcnt lgkmcnt(0)
	v_mad_u64_u32 v[12:13], s[0:1], v14, s26, v[16:17]
	v_mul_lo_u32 v14, v14, s27
	v_mul_lo_u32 v15, v15, s26
	v_add3_u32 v13, v15, v13, v14
	v_mad_u64_u32 v[14:15], s[0:1], v6, s26, v[16:17]
	v_mul_lo_u32 v16, v6, s27
	v_mul_lo_u32 v17, v7, s26
	v_add3_u32 v15, v17, v15, v16
	global_load_ubyte v16, v[12:13], off
	global_load_ubyte v17, v[14:15], off
	s_mov_b64 s[12:13], -1
	s_waitcnt vmcnt(0)
	v_cmp_eq_u16_e32 vcc, v16, v17
	s_and_saveexec_b64 s[0:1], vcc
	s_cbranch_execz .LBB321_121
; %bb.115:
	s_mov_b64 s[18:19], 1
	s_mov_b64 s[12:13], 0
                                        ; implicit-def: $sgpr14_sgpr15
	s_branch .LBB321_118
.LBB321_116:                            ;   in Loop: Header=BB321_118 Depth=1
	v_mov_b32_e32 v25, s19
	v_add_co_u32_e32 v16, vcc, s18, v12
	v_addc_co_u32_e32 v17, vcc, v13, v25, vcc
	v_add_co_u32_e32 v26, vcc, s18, v14
	v_addc_co_u32_e32 v27, vcc, v15, v25, vcc
	global_load_ubyte v25, v[16:17], off
	global_load_ubyte v28, v[26:27], off
	s_add_u32 s36, s18, 1
	s_addc_u32 s37, s19, 0
	s_andn2_b64 s[14:15], s[14:15], exec
	s_waitcnt vmcnt(0)
	v_cmp_ne_u16_e32 vcc, v25, v28
	s_and_b64 s[38:39], vcc, exec
	s_or_b64 s[14:15], s[14:15], s[38:39]
.LBB321_117:                            ;   in Loop: Header=BB321_118 Depth=1
	s_and_b64 s[38:39], exec, s[14:15]
	s_or_b64 s[12:13], s[38:39], s[12:13]
	v_pk_mov_b32 v[16:17], s[18:19], s[18:19] op_sel:[0,1]
	s_mov_b64 s[18:19], s[36:37]
	s_andn2_b64 exec, exec, s[12:13]
	s_cbranch_execz .LBB321_120
.LBB321_118:                            ; =>This Inner Loop Header: Depth=1
	s_or_b64 s[14:15], s[14:15], exec
	s_cmp_eq_u64 s[26:27], s[18:19]
	s_cbranch_scc0 .LBB321_116
; %bb.119:                              ;   in Loop: Header=BB321_118 Depth=1
                                        ; implicit-def: $sgpr36_sgpr37
	s_mov_b64 s[18:19], s[26:27]
	s_branch .LBB321_117
.LBB321_120:
	s_or_b64 exec, exec, s[12:13]
	v_cmp_gt_i64_e32 vcc, s[26:27], v[16:17]
	s_orn2_b64 s[12:13], vcc, exec
.LBB321_121:
	s_or_b64 exec, exec, s[0:1]
.LBB321_122:
	s_and_b64 s[12:13], s[12:13], exec
.LBB321_123:
	s_or_b64 exec, exec, s[2:3]
	v_cndmask_b32_e64 v13, 0, 1, s[10:11]
	s_waitcnt lgkmcnt(0)
	v_or_b32_e32 v15, v18, v19
.LBB321_124:
	s_mov_b64 s[10:11], -1
	s_cbranch_execnz .LBB321_233
.LBB321_125:
	v_lshlrev_b32_e32 v12, 5, v0
	v_sub_u32_e32 v24, v24, v12
	s_mov_b64 s[12:13], 0
	s_waitcnt lgkmcnt(0)
	v_cmp_gt_i64_e64 s[2:3], s[26:27], 0
	s_and_b64 vcc, exec, s[34:35]
	ds_write_b64 v24, v[10:11]
	s_cbranch_vccz .LBB321_133
; %bb.126:
	v_mul_lo_u32 v14, v5, s26
	v_mul_lo_u32 v15, v4, s27
	v_mad_u64_u32 v[12:13], s[0:1], v4, s26, 0
	v_cndmask_b32_e64 v16, 0, 1, s[2:3]
	v_cmp_ne_u32_e64 s[0:1], 1, v16
	s_andn2_b64 vcc, exec, s[2:3]
	v_add3_u32 v13, v13, v15, v14
	s_cbranch_vccnz .LBB321_136
; %bb.127:
	v_mov_b32_e32 v15, s29
	v_add_co_u32_e32 v14, vcc, s28, v12
	v_pk_mov_b32 v[16:17], s[28:29], s[28:29] op_sel:[0,1]
	v_addc_co_u32_e32 v15, vcc, v15, v13, vcc
	v_mad_u64_u32 v[16:17], s[12:13], v10, s26, v[16:17]
	v_mul_lo_u32 v18, v10, s27
	v_mul_lo_u32 v19, v11, s26
	v_add3_u32 v17, v19, v17, v18
	global_load_ubyte v18, v[14:15], off
	global_load_ubyte v19, v[16:17], off
	s_mov_b64 s[12:13], -1
	s_waitcnt vmcnt(0)
	v_cmp_eq_u16_e32 vcc, v18, v19
	s_and_saveexec_b64 s[14:15], vcc
	s_cbranch_execz .LBB321_135
; %bb.128:
	s_mov_b64 s[36:37], 1
	s_mov_b64 s[12:13], 0
                                        ; implicit-def: $sgpr18_sgpr19
	s_branch .LBB321_131
.LBB321_129:                            ;   in Loop: Header=BB321_131 Depth=1
	v_mov_b32_e32 v25, s37
	v_add_co_u32_e32 v18, vcc, s36, v14
	v_addc_co_u32_e32 v19, vcc, v15, v25, vcc
	v_add_co_u32_e32 v26, vcc, s36, v16
	v_addc_co_u32_e32 v27, vcc, v17, v25, vcc
	global_load_ubyte v25, v[18:19], off
	global_load_ubyte v28, v[26:27], off
	s_add_u32 s38, s36, 1
	s_addc_u32 s39, s37, 0
	s_andn2_b64 s[18:19], s[18:19], exec
	s_waitcnt vmcnt(0)
	v_cmp_ne_u16_e32 vcc, v25, v28
	s_and_b64 s[40:41], vcc, exec
	s_or_b64 s[18:19], s[18:19], s[40:41]
.LBB321_130:                            ;   in Loop: Header=BB321_131 Depth=1
	s_and_b64 s[40:41], exec, s[18:19]
	s_or_b64 s[12:13], s[40:41], s[12:13]
	v_pk_mov_b32 v[18:19], s[36:37], s[36:37] op_sel:[0,1]
	s_mov_b64 s[36:37], s[38:39]
	s_andn2_b64 exec, exec, s[12:13]
	s_cbranch_execz .LBB321_134
.LBB321_131:                            ; =>This Inner Loop Header: Depth=1
	s_or_b64 s[18:19], s[18:19], exec
	s_cmp_eq_u64 s[26:27], s[36:37]
	s_cbranch_scc0 .LBB321_129
; %bb.132:                              ;   in Loop: Header=BB321_131 Depth=1
                                        ; implicit-def: $sgpr38_sgpr39
	s_mov_b64 s[36:37], s[26:27]
	s_branch .LBB321_130
.LBB321_133:
                                        ; implicit-def: $sgpr12_sgpr13
                                        ; implicit-def: $vgpr13
                                        ; implicit-def: $vgpr15
	s_cbranch_execnz .LBB321_175
	s_branch .LBB321_233
.LBB321_134:
	s_or_b64 exec, exec, s[12:13]
	v_cmp_gt_i64_e32 vcc, s[26:27], v[18:19]
	s_orn2_b64 s[12:13], vcc, exec
.LBB321_135:
	s_or_b64 exec, exec, s[14:15]
.LBB321_136:
	v_mul_lo_u32 v16, v3, s26
	v_mul_lo_u32 v17, v2, s27
	v_mad_u64_u32 v[14:15], s[14:15], v2, s26, 0
	v_add3_u32 v15, v15, v17, v16
	s_mov_b64 s[14:15], 0
	s_and_b64 vcc, exec, s[0:1]
	s_mov_b64 s[18:19], 0
	s_cbranch_vccnz .LBB321_145
; %bb.137:
	v_mov_b32_e32 v17, s29
	v_add_co_u32_e32 v16, vcc, s28, v14
	v_addc_co_u32_e32 v17, vcc, v17, v15, vcc
	v_mov_b32_e32 v18, s29
	v_add_co_u32_e32 v12, vcc, s28, v12
	v_addc_co_u32_e32 v13, vcc, v18, v13, vcc
	global_load_ubyte v18, v[16:17], off
	global_load_ubyte v19, v[12:13], off
	s_mov_b64 s[18:19], -1
	s_waitcnt vmcnt(0)
	v_cmp_eq_u16_e32 vcc, v18, v19
	s_and_saveexec_b64 s[36:37], vcc
	s_cbranch_execz .LBB321_144
; %bb.138:
	s_mov_b64 s[40:41], 1
	s_mov_b64 s[18:19], 0
                                        ; implicit-def: $sgpr38_sgpr39
	s_branch .LBB321_141
.LBB321_139:                            ;   in Loop: Header=BB321_141 Depth=1
	v_mov_b32_e32 v25, s41
	v_add_co_u32_e32 v18, vcc, s40, v16
	v_addc_co_u32_e32 v19, vcc, v17, v25, vcc
	v_add_co_u32_e32 v26, vcc, s40, v12
	v_addc_co_u32_e32 v27, vcc, v13, v25, vcc
	global_load_ubyte v25, v[18:19], off
	global_load_ubyte v28, v[26:27], off
	s_add_u32 s42, s40, 1
	s_addc_u32 s43, s41, 0
	s_andn2_b64 s[38:39], s[38:39], exec
	s_waitcnt vmcnt(0)
	v_cmp_ne_u16_e32 vcc, v25, v28
	s_and_b64 s[44:45], vcc, exec
	s_or_b64 s[38:39], s[38:39], s[44:45]
.LBB321_140:                            ;   in Loop: Header=BB321_141 Depth=1
	s_and_b64 s[44:45], exec, s[38:39]
	s_or_b64 s[18:19], s[44:45], s[18:19]
	v_pk_mov_b32 v[18:19], s[40:41], s[40:41] op_sel:[0,1]
	s_mov_b64 s[40:41], s[42:43]
	s_andn2_b64 exec, exec, s[18:19]
	s_cbranch_execz .LBB321_143
.LBB321_141:                            ; =>This Inner Loop Header: Depth=1
	s_or_b64 s[38:39], s[38:39], exec
	s_cmp_eq_u64 s[26:27], s[40:41]
	s_cbranch_scc0 .LBB321_139
; %bb.142:                              ;   in Loop: Header=BB321_141 Depth=1
                                        ; implicit-def: $sgpr42_sgpr43
	s_mov_b64 s[40:41], s[26:27]
	s_branch .LBB321_140
.LBB321_143:
	s_or_b64 exec, exec, s[18:19]
	v_cmp_gt_i64_e32 vcc, s[26:27], v[18:19]
	s_orn2_b64 s[18:19], vcc, exec
.LBB321_144:
	s_or_b64 exec, exec, s[36:37]
.LBB321_145:
	v_mul_lo_u32 v16, v9, s26
	v_mul_lo_u32 v17, v8, s27
	v_mad_u64_u32 v[12:13], s[36:37], v8, s26, 0
	s_and_b64 vcc, exec, s[0:1]
	v_add3_u32 v13, v13, v17, v16
	s_cbranch_vccnz .LBB321_154
; %bb.146:
	v_mov_b32_e32 v17, s29
	v_add_co_u32_e32 v16, vcc, s28, v12
	v_addc_co_u32_e32 v17, vcc, v17, v13, vcc
	v_mov_b32_e32 v18, s29
	v_add_co_u32_e32 v14, vcc, s28, v14
	v_addc_co_u32_e32 v15, vcc, v18, v15, vcc
	global_load_ubyte v18, v[16:17], off
	global_load_ubyte v19, v[14:15], off
	s_mov_b64 s[14:15], -1
	s_waitcnt vmcnt(0)
	v_cmp_eq_u16_e32 vcc, v18, v19
	s_and_saveexec_b64 s[36:37], vcc
	s_cbranch_execz .LBB321_153
; %bb.147:
	s_mov_b64 s[40:41], 1
	s_mov_b64 s[14:15], 0
                                        ; implicit-def: $sgpr38_sgpr39
	s_branch .LBB321_150
.LBB321_148:                            ;   in Loop: Header=BB321_150 Depth=1
	v_mov_b32_e32 v25, s41
	v_add_co_u32_e32 v18, vcc, s40, v16
	v_addc_co_u32_e32 v19, vcc, v17, v25, vcc
	v_add_co_u32_e32 v26, vcc, s40, v14
	v_addc_co_u32_e32 v27, vcc, v15, v25, vcc
	global_load_ubyte v25, v[18:19], off
	global_load_ubyte v28, v[26:27], off
	s_add_u32 s42, s40, 1
	s_addc_u32 s43, s41, 0
	s_andn2_b64 s[38:39], s[38:39], exec
	s_waitcnt vmcnt(0)
	v_cmp_ne_u16_e32 vcc, v25, v28
	s_and_b64 s[44:45], vcc, exec
	s_or_b64 s[38:39], s[38:39], s[44:45]
.LBB321_149:                            ;   in Loop: Header=BB321_150 Depth=1
	s_and_b64 s[44:45], exec, s[38:39]
	s_or_b64 s[14:15], s[44:45], s[14:15]
	v_pk_mov_b32 v[18:19], s[40:41], s[40:41] op_sel:[0,1]
	s_mov_b64 s[40:41], s[42:43]
	s_andn2_b64 exec, exec, s[14:15]
	s_cbranch_execz .LBB321_152
.LBB321_150:                            ; =>This Inner Loop Header: Depth=1
	s_or_b64 s[38:39], s[38:39], exec
	s_cmp_eq_u64 s[26:27], s[40:41]
	s_cbranch_scc0 .LBB321_148
; %bb.151:                              ;   in Loop: Header=BB321_150 Depth=1
                                        ; implicit-def: $sgpr42_sgpr43
	s_mov_b64 s[40:41], s[26:27]
	s_branch .LBB321_149
.LBB321_152:
	s_or_b64 exec, exec, s[14:15]
	v_cmp_gt_i64_e32 vcc, s[26:27], v[18:19]
	s_orn2_b64 s[14:15], vcc, exec
.LBB321_153:
	s_or_b64 exec, exec, s[36:37]
.LBB321_154:
	v_mul_lo_u32 v16, v7, s26
	v_mul_lo_u32 v17, v6, s27
	v_mad_u64_u32 v[14:15], s[36:37], v6, s26, 0
	v_add3_u32 v25, v15, v17, v16
	s_and_b64 vcc, exec, s[0:1]
	s_mov_b64 s[38:39], 0
	s_cbranch_vccnz .LBB321_163
; %bb.155:
	v_mov_b32_e32 v15, s29
	v_add_co_u32_e32 v16, vcc, s28, v14
	v_addc_co_u32_e32 v17, vcc, v15, v25, vcc
	v_add_co_u32_e32 v12, vcc, s28, v12
	v_addc_co_u32_e32 v13, vcc, v15, v13, vcc
	global_load_ubyte v15, v[16:17], off
	global_load_ubyte v18, v[12:13], off
	s_mov_b64 s[38:39], -1
	s_waitcnt vmcnt(0)
	v_cmp_eq_u16_e32 vcc, v15, v18
	s_and_saveexec_b64 s[36:37], vcc
	s_cbranch_execz .LBB321_162
; %bb.156:
	s_mov_b64 s[42:43], 1
	s_mov_b64 s[38:39], 0
                                        ; implicit-def: $sgpr40_sgpr41
	s_branch .LBB321_159
.LBB321_157:                            ;   in Loop: Header=BB321_159 Depth=1
	v_mov_b32_e32 v15, s43
	v_add_co_u32_e32 v18, vcc, s42, v16
	v_addc_co_u32_e32 v19, vcc, v17, v15, vcc
	v_add_co_u32_e32 v26, vcc, s42, v12
	v_addc_co_u32_e32 v27, vcc, v13, v15, vcc
	global_load_ubyte v15, v[18:19], off
	global_load_ubyte v28, v[26:27], off
	s_add_u32 s44, s42, 1
	s_addc_u32 s45, s43, 0
	s_andn2_b64 s[40:41], s[40:41], exec
	s_waitcnt vmcnt(0)
	v_cmp_ne_u16_e32 vcc, v15, v28
	s_and_b64 s[46:47], vcc, exec
	s_or_b64 s[40:41], s[40:41], s[46:47]
.LBB321_158:                            ;   in Loop: Header=BB321_159 Depth=1
	s_and_b64 s[46:47], exec, s[40:41]
	s_or_b64 s[38:39], s[46:47], s[38:39]
	v_pk_mov_b32 v[18:19], s[42:43], s[42:43] op_sel:[0,1]
	s_mov_b64 s[42:43], s[44:45]
	s_andn2_b64 exec, exec, s[38:39]
	s_cbranch_execz .LBB321_161
.LBB321_159:                            ; =>This Inner Loop Header: Depth=1
	s_or_b64 s[40:41], s[40:41], exec
	s_cmp_eq_u64 s[26:27], s[42:43]
	s_cbranch_scc0 .LBB321_157
; %bb.160:                              ;   in Loop: Header=BB321_159 Depth=1
                                        ; implicit-def: $sgpr44_sgpr45
	s_mov_b64 s[42:43], s[26:27]
	s_branch .LBB321_158
.LBB321_161:
	s_or_b64 exec, exec, s[38:39]
	v_cmp_gt_i64_e32 vcc, s[26:27], v[18:19]
	s_orn2_b64 s[38:39], vcc, exec
.LBB321_162:
	s_or_b64 exec, exec, s[36:37]
.LBB321_163:
	v_cndmask_b32_e64 v13, 0, 1, s[18:19]
	v_cndmask_b32_e64 v15, 0, 1, s[38:39]
	v_cndmask_b32_e64 v12, 0, 1, s[14:15]
	v_lshlrev_b16_e32 v15, 8, v15
	v_lshlrev_b16_e32 v13, 8, v13
	v_or_b32_e32 v15, 1, v15
	v_or_b32_sdwa v12, v12, v13 dst_sel:WORD_1 dst_unused:UNUSED_PAD src0_sel:DWORD src1_sel:DWORD
	v_or_b32_sdwa v12, v15, v12 dst_sel:DWORD dst_unused:UNUSED_PAD src0_sel:WORD_0 src1_sel:DWORD
	v_cndmask_b32_e64 v13, 0, 1, s[12:13]
	v_cmp_ne_u32_e32 vcc, 0, v0
	s_waitcnt lgkmcnt(0)
	s_barrier
	s_waitcnt lgkmcnt(0)
                                        ; implicit-def: $sgpr12_sgpr13
                                        ; implicit-def: $vgpr15
	s_and_saveexec_b64 s[14:15], vcc
	s_xor_b64 s[14:15], exec, s[14:15]
	s_cbranch_execz .LBB321_174
; %bb.164:
	s_mov_b32 s33, 0x3020104
	s_and_b64 vcc, exec, s[0:1]
	s_mov_b64 s[12:13], 0
	s_cbranch_vccnz .LBB321_173
; %bb.165:
	v_add_u32_e32 v15, -8, v24
	ds_read_b64 v[16:17], v15
	v_pk_mov_b32 v[18:19], s[28:29], s[28:29] op_sel:[0,1]
	v_add_co_u32_e32 v14, vcc, s28, v14
	s_mov_b64 s[12:13], -1
	s_waitcnt lgkmcnt(0)
	v_mul_lo_u32 v15, v16, s27
	v_mul_lo_u32 v26, v17, s26
	v_mad_u64_u32 v[16:17], s[0:1], v16, s26, v[18:19]
	v_add3_u32 v17, v26, v17, v15
	v_mov_b32_e32 v15, s29
	v_addc_co_u32_e32 v15, vcc, v15, v25, vcc
	global_load_ubyte v18, v[14:15], off
	global_load_ubyte v19, v[16:17], off
	s_waitcnt vmcnt(0)
	v_cmp_eq_u16_e32 vcc, v19, v18
	s_and_saveexec_b64 s[0:1], vcc
	s_cbranch_execz .LBB321_172
; %bb.166:
	s_mov_b64 s[36:37], 1
	s_mov_b64 s[12:13], 0
                                        ; implicit-def: $sgpr18_sgpr19
	s_branch .LBB321_169
.LBB321_167:                            ;   in Loop: Header=BB321_169 Depth=1
	v_mov_b32_e32 v25, s37
	v_add_co_u32_e32 v18, vcc, s36, v16
	v_addc_co_u32_e32 v19, vcc, v17, v25, vcc
	v_add_co_u32_e32 v26, vcc, s36, v14
	v_addc_co_u32_e32 v27, vcc, v15, v25, vcc
	global_load_ubyte v25, v[18:19], off
	global_load_ubyte v28, v[26:27], off
	s_add_u32 s38, s36, 1
	s_addc_u32 s39, s37, 0
	s_andn2_b64 s[18:19], s[18:19], exec
	s_waitcnt vmcnt(0)
	v_cmp_ne_u16_e32 vcc, v25, v28
	s_and_b64 s[40:41], vcc, exec
	s_or_b64 s[18:19], s[18:19], s[40:41]
.LBB321_168:                            ;   in Loop: Header=BB321_169 Depth=1
	s_and_b64 s[40:41], exec, s[18:19]
	s_or_b64 s[12:13], s[40:41], s[12:13]
	v_pk_mov_b32 v[18:19], s[36:37], s[36:37] op_sel:[0,1]
	s_mov_b64 s[36:37], s[38:39]
	s_andn2_b64 exec, exec, s[12:13]
	s_cbranch_execz .LBB321_171
.LBB321_169:                            ; =>This Inner Loop Header: Depth=1
	s_or_b64 s[18:19], s[18:19], exec
	s_cmp_eq_u64 s[26:27], s[36:37]
	s_cbranch_scc0 .LBB321_167
; %bb.170:                              ;   in Loop: Header=BB321_169 Depth=1
                                        ; implicit-def: $sgpr38_sgpr39
	s_mov_b64 s[36:37], s[26:27]
	s_branch .LBB321_168
.LBB321_171:
	s_or_b64 exec, exec, s[12:13]
	v_cmp_gt_i64_e32 vcc, s[26:27], v[18:19]
	s_orn2_b64 s[12:13], vcc, exec
.LBB321_172:
	s_or_b64 exec, exec, s[0:1]
.LBB321_173:
	v_perm_b32 v15, v12, v12, s33
	s_and_b64 s[12:13], s[12:13], exec
	s_or_b64 s[10:11], s[10:11], exec
.LBB321_174:
	s_or_b64 exec, exec, s[14:15]
	s_branch .LBB321_233
.LBB321_175:
	v_cmp_gt_u32_e32 vcc, s7, v21
	s_mov_b64 s[12:13], 0
	s_mov_b64 s[0:1], 0
	s_and_saveexec_b64 s[14:15], vcc
	s_cbranch_execz .LBB321_186
; %bb.176:
	s_andn2_b64 vcc, exec, s[2:3]
	s_mov_b64 s[18:19], 0
	s_cbranch_vccnz .LBB321_185
; %bb.177:
	v_pk_mov_b32 v[14:15], s[28:29], s[28:29] op_sel:[0,1]
	v_mad_u64_u32 v[12:13], s[0:1], v4, s26, v[14:15]
	v_mul_lo_u32 v16, v4, s27
	v_mul_lo_u32 v17, v5, s26
	v_add3_u32 v13, v17, v13, v16
	v_mad_u64_u32 v[14:15], s[0:1], v10, s26, v[14:15]
	v_mul_lo_u32 v16, v10, s27
	v_mul_lo_u32 v17, v11, s26
	v_add3_u32 v15, v17, v15, v16
	global_load_ubyte v16, v[12:13], off
	global_load_ubyte v17, v[14:15], off
	s_mov_b64 s[18:19], -1
	s_waitcnt vmcnt(0)
	v_cmp_eq_u16_e32 vcc, v16, v17
	s_and_saveexec_b64 s[0:1], vcc
	s_cbranch_execz .LBB321_184
; %bb.178:
	s_mov_b64 s[38:39], 1
	s_mov_b64 s[18:19], 0
                                        ; implicit-def: $sgpr36_sgpr37
	s_branch .LBB321_181
.LBB321_179:                            ;   in Loop: Header=BB321_181 Depth=1
	v_mov_b32_e32 v19, s39
	v_add_co_u32_e32 v16, vcc, s38, v12
	v_addc_co_u32_e32 v17, vcc, v13, v19, vcc
	v_add_co_u32_e32 v18, vcc, s38, v14
	v_addc_co_u32_e32 v19, vcc, v15, v19, vcc
	global_load_ubyte v25, v[16:17], off
	global_load_ubyte v26, v[18:19], off
	s_add_u32 s40, s38, 1
	s_addc_u32 s41, s39, 0
	s_andn2_b64 s[36:37], s[36:37], exec
	s_waitcnt vmcnt(0)
	v_cmp_ne_u16_e32 vcc, v25, v26
	s_and_b64 s[42:43], vcc, exec
	s_or_b64 s[36:37], s[36:37], s[42:43]
.LBB321_180:                            ;   in Loop: Header=BB321_181 Depth=1
	s_and_b64 s[42:43], exec, s[36:37]
	s_or_b64 s[18:19], s[42:43], s[18:19]
	v_pk_mov_b32 v[16:17], s[38:39], s[38:39] op_sel:[0,1]
	s_mov_b64 s[38:39], s[40:41]
	s_andn2_b64 exec, exec, s[18:19]
	s_cbranch_execz .LBB321_183
.LBB321_181:                            ; =>This Inner Loop Header: Depth=1
	s_or_b64 s[36:37], s[36:37], exec
	s_cmp_eq_u64 s[26:27], s[38:39]
	s_cbranch_scc0 .LBB321_179
; %bb.182:                              ;   in Loop: Header=BB321_181 Depth=1
                                        ; implicit-def: $sgpr40_sgpr41
	s_mov_b64 s[38:39], s[26:27]
	s_branch .LBB321_180
.LBB321_183:
	s_or_b64 exec, exec, s[18:19]
	v_cmp_gt_i64_e32 vcc, s[26:27], v[16:17]
	s_orn2_b64 s[18:19], vcc, exec
.LBB321_184:
	s_or_b64 exec, exec, s[0:1]
.LBB321_185:
	s_and_b64 s[0:1], s[18:19], exec
.LBB321_186:
	s_or_b64 exec, exec, s[14:15]
	v_cmp_gt_u32_e32 vcc, s7, v23
	s_and_saveexec_b64 s[14:15], vcc
	s_cbranch_execz .LBB321_197
; %bb.187:
	s_andn2_b64 vcc, exec, s[2:3]
	s_mov_b64 s[18:19], 0
	s_cbranch_vccnz .LBB321_196
; %bb.188:
	v_pk_mov_b32 v[14:15], s[28:29], s[28:29] op_sel:[0,1]
	v_mad_u64_u32 v[12:13], s[12:13], v2, s26, v[14:15]
	v_mul_lo_u32 v16, v2, s27
	v_mul_lo_u32 v17, v3, s26
	v_add3_u32 v13, v17, v13, v16
	v_mad_u64_u32 v[14:15], s[12:13], v4, s26, v[14:15]
	v_mul_lo_u32 v16, v4, s27
	v_mul_lo_u32 v17, v5, s26
	v_add3_u32 v15, v17, v15, v16
	global_load_ubyte v16, v[12:13], off
	global_load_ubyte v17, v[14:15], off
	s_mov_b64 s[18:19], -1
	s_waitcnt vmcnt(0)
	v_cmp_eq_u16_e32 vcc, v16, v17
	s_and_saveexec_b64 s[12:13], vcc
	s_cbranch_execz .LBB321_195
; %bb.189:
	s_mov_b64 s[38:39], 1
	s_mov_b64 s[18:19], 0
                                        ; implicit-def: $sgpr36_sgpr37
	s_branch .LBB321_192
.LBB321_190:                            ;   in Loop: Header=BB321_192 Depth=1
	v_mov_b32_e32 v19, s39
	v_add_co_u32_e32 v16, vcc, s38, v12
	v_addc_co_u32_e32 v17, vcc, v13, v19, vcc
	v_add_co_u32_e32 v18, vcc, s38, v14
	v_addc_co_u32_e32 v19, vcc, v15, v19, vcc
	global_load_ubyte v25, v[16:17], off
	global_load_ubyte v26, v[18:19], off
	s_add_u32 s40, s38, 1
	s_addc_u32 s41, s39, 0
	s_andn2_b64 s[36:37], s[36:37], exec
	s_waitcnt vmcnt(0)
	v_cmp_ne_u16_e32 vcc, v25, v26
	s_and_b64 s[42:43], vcc, exec
	s_or_b64 s[36:37], s[36:37], s[42:43]
.LBB321_191:                            ;   in Loop: Header=BB321_192 Depth=1
	s_and_b64 s[42:43], exec, s[36:37]
	s_or_b64 s[18:19], s[42:43], s[18:19]
	v_pk_mov_b32 v[16:17], s[38:39], s[38:39] op_sel:[0,1]
	s_mov_b64 s[38:39], s[40:41]
	s_andn2_b64 exec, exec, s[18:19]
	s_cbranch_execz .LBB321_194
.LBB321_192:                            ; =>This Inner Loop Header: Depth=1
	s_or_b64 s[36:37], s[36:37], exec
	s_cmp_eq_u64 s[26:27], s[38:39]
	s_cbranch_scc0 .LBB321_190
; %bb.193:                              ;   in Loop: Header=BB321_192 Depth=1
                                        ; implicit-def: $sgpr40_sgpr41
	s_mov_b64 s[38:39], s[26:27]
	s_branch .LBB321_191
.LBB321_194:
	s_or_b64 exec, exec, s[18:19]
	v_cmp_gt_i64_e32 vcc, s[26:27], v[16:17]
	s_orn2_b64 s[18:19], vcc, exec
.LBB321_195:
	s_or_b64 exec, exec, s[12:13]
.LBB321_196:
	s_and_b64 s[12:13], s[18:19], exec
.LBB321_197:
	s_or_b64 exec, exec, s[14:15]
	v_cmp_gt_u32_e32 vcc, s7, v20
	s_mov_b64 s[14:15], 0
	s_mov_b64 s[18:19], 0
	s_and_saveexec_b64 s[36:37], vcc
	s_cbranch_execz .LBB321_208
; %bb.198:
	s_andn2_b64 vcc, exec, s[2:3]
	s_mov_b64 s[38:39], 0
	s_cbranch_vccnz .LBB321_207
; %bb.199:
	v_pk_mov_b32 v[14:15], s[28:29], s[28:29] op_sel:[0,1]
	v_mad_u64_u32 v[12:13], s[18:19], v8, s26, v[14:15]
	v_mul_lo_u32 v16, v8, s27
	v_mul_lo_u32 v17, v9, s26
	v_add3_u32 v13, v17, v13, v16
	v_mad_u64_u32 v[14:15], s[18:19], v2, s26, v[14:15]
	v_mul_lo_u32 v16, v2, s27
	v_mul_lo_u32 v17, v3, s26
	v_add3_u32 v15, v17, v15, v16
	global_load_ubyte v16, v[12:13], off
	global_load_ubyte v17, v[14:15], off
	s_mov_b64 s[38:39], -1
	s_waitcnt vmcnt(0)
	v_cmp_eq_u16_e32 vcc, v16, v17
	s_and_saveexec_b64 s[18:19], vcc
	s_cbranch_execz .LBB321_206
; %bb.200:
	s_mov_b64 s[42:43], 1
	s_mov_b64 s[38:39], 0
                                        ; implicit-def: $sgpr40_sgpr41
	s_branch .LBB321_203
.LBB321_201:                            ;   in Loop: Header=BB321_203 Depth=1
	v_mov_b32_e32 v19, s43
	v_add_co_u32_e32 v16, vcc, s42, v12
	v_addc_co_u32_e32 v17, vcc, v13, v19, vcc
	v_add_co_u32_e32 v18, vcc, s42, v14
	v_addc_co_u32_e32 v19, vcc, v15, v19, vcc
	global_load_ubyte v25, v[16:17], off
	global_load_ubyte v26, v[18:19], off
	s_add_u32 s44, s42, 1
	s_addc_u32 s45, s43, 0
	s_andn2_b64 s[40:41], s[40:41], exec
	s_waitcnt vmcnt(0)
	v_cmp_ne_u16_e32 vcc, v25, v26
	s_and_b64 s[46:47], vcc, exec
	s_or_b64 s[40:41], s[40:41], s[46:47]
.LBB321_202:                            ;   in Loop: Header=BB321_203 Depth=1
	s_and_b64 s[46:47], exec, s[40:41]
	s_or_b64 s[38:39], s[46:47], s[38:39]
	v_pk_mov_b32 v[16:17], s[42:43], s[42:43] op_sel:[0,1]
	s_mov_b64 s[42:43], s[44:45]
	s_andn2_b64 exec, exec, s[38:39]
	s_cbranch_execz .LBB321_205
.LBB321_203:                            ; =>This Inner Loop Header: Depth=1
	s_or_b64 s[40:41], s[40:41], exec
	s_cmp_eq_u64 s[26:27], s[42:43]
	s_cbranch_scc0 .LBB321_201
; %bb.204:                              ;   in Loop: Header=BB321_203 Depth=1
                                        ; implicit-def: $sgpr44_sgpr45
	s_mov_b64 s[42:43], s[26:27]
	s_branch .LBB321_202
.LBB321_205:
	s_or_b64 exec, exec, s[38:39]
	v_cmp_gt_i64_e32 vcc, s[26:27], v[16:17]
	s_orn2_b64 s[38:39], vcc, exec
.LBB321_206:
	s_or_b64 exec, exec, s[18:19]
.LBB321_207:
	s_and_b64 s[18:19], s[38:39], exec
.LBB321_208:
	s_or_b64 exec, exec, s[36:37]
	v_cmp_gt_u32_e32 vcc, s7, v22
	s_and_saveexec_b64 s[36:37], vcc
	s_cbranch_execz .LBB321_219
; %bb.209:
	s_andn2_b64 vcc, exec, s[2:3]
	s_mov_b64 s[38:39], 0
	s_cbranch_vccnz .LBB321_218
; %bb.210:
	v_pk_mov_b32 v[14:15], s[28:29], s[28:29] op_sel:[0,1]
	v_mad_u64_u32 v[12:13], s[14:15], v6, s26, v[14:15]
	v_mul_lo_u32 v16, v6, s27
	v_mul_lo_u32 v17, v7, s26
	v_add3_u32 v13, v17, v13, v16
	v_mad_u64_u32 v[14:15], s[14:15], v8, s26, v[14:15]
	v_mul_lo_u32 v16, v8, s27
	v_mul_lo_u32 v17, v9, s26
	v_add3_u32 v15, v17, v15, v16
	global_load_ubyte v16, v[12:13], off
	global_load_ubyte v17, v[14:15], off
	s_mov_b64 s[38:39], -1
	s_waitcnt vmcnt(0)
	v_cmp_eq_u16_e32 vcc, v16, v17
	s_and_saveexec_b64 s[14:15], vcc
	s_cbranch_execz .LBB321_217
; %bb.211:
	s_mov_b64 s[42:43], 1
	s_mov_b64 s[38:39], 0
                                        ; implicit-def: $sgpr40_sgpr41
	s_branch .LBB321_214
.LBB321_212:                            ;   in Loop: Header=BB321_214 Depth=1
	v_mov_b32_e32 v19, s43
	v_add_co_u32_e32 v16, vcc, s42, v12
	v_addc_co_u32_e32 v17, vcc, v13, v19, vcc
	v_add_co_u32_e32 v18, vcc, s42, v14
	v_addc_co_u32_e32 v19, vcc, v15, v19, vcc
	global_load_ubyte v25, v[16:17], off
	global_load_ubyte v26, v[18:19], off
	s_add_u32 s44, s42, 1
	s_addc_u32 s45, s43, 0
	s_andn2_b64 s[40:41], s[40:41], exec
	s_waitcnt vmcnt(0)
	v_cmp_ne_u16_e32 vcc, v25, v26
	s_and_b64 s[46:47], vcc, exec
	s_or_b64 s[40:41], s[40:41], s[46:47]
.LBB321_213:                            ;   in Loop: Header=BB321_214 Depth=1
	s_and_b64 s[46:47], exec, s[40:41]
	s_or_b64 s[38:39], s[46:47], s[38:39]
	v_pk_mov_b32 v[16:17], s[42:43], s[42:43] op_sel:[0,1]
	s_mov_b64 s[42:43], s[44:45]
	s_andn2_b64 exec, exec, s[38:39]
	s_cbranch_execz .LBB321_216
.LBB321_214:                            ; =>This Inner Loop Header: Depth=1
	s_or_b64 s[40:41], s[40:41], exec
	s_cmp_eq_u64 s[26:27], s[42:43]
	s_cbranch_scc0 .LBB321_212
; %bb.215:                              ;   in Loop: Header=BB321_214 Depth=1
                                        ; implicit-def: $sgpr44_sgpr45
	s_mov_b64 s[42:43], s[26:27]
	s_branch .LBB321_213
.LBB321_216:
	s_or_b64 exec, exec, s[38:39]
	v_cmp_gt_i64_e32 vcc, s[26:27], v[16:17]
	s_orn2_b64 s[38:39], vcc, exec
.LBB321_217:
	s_or_b64 exec, exec, s[14:15]
.LBB321_218:
	s_and_b64 s[14:15], s[38:39], exec
.LBB321_219:
	s_or_b64 exec, exec, s[36:37]
	v_cndmask_b32_e64 v13, 0, 1, s[12:13]
	v_cndmask_b32_e64 v14, 0, 1, s[14:15]
	v_cndmask_b32_e64 v12, 0, 1, s[18:19]
	v_lshlrev_b16_e32 v14, 8, v14
	v_lshlrev_b16_e32 v13, 8, v13
	v_or_b32_e32 v14, 1, v14
	v_or_b32_sdwa v12, v12, v13 dst_sel:WORD_1 dst_unused:UNUSED_PAD src0_sel:DWORD src1_sel:DWORD
	v_or_b32_sdwa v12, v14, v12 dst_sel:DWORD dst_unused:UNUSED_PAD src0_sel:WORD_0 src1_sel:DWORD
	v_cndmask_b32_e64 v13, 0, 1, s[0:1]
	v_cmp_ne_u32_e32 vcc, 0, v0
	s_waitcnt lgkmcnt(0)
	s_barrier
	s_waitcnt lgkmcnt(0)
                                        ; implicit-def: $sgpr12_sgpr13
                                        ; implicit-def: $vgpr15
	s_and_saveexec_b64 s[0:1], vcc
	s_cbranch_execz .LBB321_232
; %bb.220:
	v_cmp_gt_u32_e32 vcc, s7, v1
	s_mov_b32 s33, 0x3020104
	s_mov_b64 s[14:15], 0
	s_and_saveexec_b64 s[12:13], vcc
	s_cbranch_execz .LBB321_231
; %bb.221:
	s_andn2_b64 vcc, exec, s[2:3]
	s_cbranch_vccnz .LBB321_230
; %bb.222:
	v_add_u32_e32 v14, -8, v24
	ds_read_b64 v[14:15], v14
	v_pk_mov_b32 v[16:17], s[28:29], s[28:29] op_sel:[0,1]
	s_mov_b64 s[14:15], -1
	s_waitcnt lgkmcnt(0)
	v_mul_lo_u32 v18, v14, s27
	v_mul_lo_u32 v19, v15, s26
	v_mad_u64_u32 v[14:15], s[2:3], v14, s26, v[16:17]
	v_add3_u32 v15, v19, v15, v18
	v_mad_u64_u32 v[16:17], s[2:3], v6, s26, v[16:17]
	v_mul_lo_u32 v18, v6, s27
	v_mul_lo_u32 v19, v7, s26
	v_add3_u32 v17, v19, v17, v18
	global_load_ubyte v18, v[14:15], off
	global_load_ubyte v19, v[16:17], off
	s_waitcnt vmcnt(0)
	v_cmp_eq_u16_e32 vcc, v18, v19
	s_and_saveexec_b64 s[2:3], vcc
	s_cbranch_execz .LBB321_229
; %bb.223:
	s_mov_b64 s[28:29], 1
	s_mov_b64 s[14:15], 0
                                        ; implicit-def: $sgpr18_sgpr19
	s_branch .LBB321_226
.LBB321_224:                            ;   in Loop: Header=BB321_226 Depth=1
	v_mov_b32_e32 v25, s29
	v_add_co_u32_e32 v18, vcc, s28, v14
	v_addc_co_u32_e32 v19, vcc, v15, v25, vcc
	v_add_co_u32_e32 v24, vcc, s28, v16
	v_addc_co_u32_e32 v25, vcc, v17, v25, vcc
	global_load_ubyte v26, v[18:19], off
	global_load_ubyte v27, v[24:25], off
	s_add_u32 s36, s28, 1
	s_addc_u32 s37, s29, 0
	s_andn2_b64 s[18:19], s[18:19], exec
	s_waitcnt vmcnt(0)
	v_cmp_ne_u16_e32 vcc, v26, v27
	s_and_b64 s[38:39], vcc, exec
	s_or_b64 s[18:19], s[18:19], s[38:39]
.LBB321_225:                            ;   in Loop: Header=BB321_226 Depth=1
	s_and_b64 s[38:39], exec, s[18:19]
	s_or_b64 s[14:15], s[38:39], s[14:15]
	v_pk_mov_b32 v[18:19], s[28:29], s[28:29] op_sel:[0,1]
	s_mov_b64 s[28:29], s[36:37]
	s_andn2_b64 exec, exec, s[14:15]
	s_cbranch_execz .LBB321_228
.LBB321_226:                            ; =>This Inner Loop Header: Depth=1
	s_or_b64 s[18:19], s[18:19], exec
	s_cmp_eq_u64 s[26:27], s[28:29]
	s_cbranch_scc0 .LBB321_224
; %bb.227:                              ;   in Loop: Header=BB321_226 Depth=1
                                        ; implicit-def: $sgpr36_sgpr37
	s_mov_b64 s[28:29], s[26:27]
	s_branch .LBB321_225
.LBB321_228:
	s_or_b64 exec, exec, s[14:15]
	v_cmp_gt_i64_e32 vcc, s[26:27], v[18:19]
	s_orn2_b64 s[14:15], vcc, exec
.LBB321_229:
	s_or_b64 exec, exec, s[2:3]
.LBB321_230:
	s_and_b64 s[14:15], s[14:15], exec
.LBB321_231:
	s_or_b64 exec, exec, s[12:13]
	v_perm_b32 v15, v12, v12, s33
	s_and_b64 s[12:13], s[14:15], exec
	s_or_b64 s[10:11], s[10:11], exec
.LBB321_232:
	s_or_b64 exec, exec, s[0:1]
.LBB321_233:
	s_and_saveexec_b64 s[0:1], s[10:11]
	s_cbranch_execz .LBB321_235
; %bb.234:
	v_lshrrev_b32_e32 v14, 24, v15
	s_waitcnt lgkmcnt(0)
	s_movk_i32 s2, 0xff
	v_lshlrev_b16_e32 v14, 8, v14
	v_and_b32_sdwa v16, v15, s2 dst_sel:DWORD dst_unused:UNUSED_PAD src0_sel:WORD_1 src1_sel:DWORD
	v_or_b32_sdwa v14, v16, v14 dst_sel:WORD_1 dst_unused:UNUSED_PAD src0_sel:DWORD src1_sel:DWORD
	v_mov_b32_e32 v16, 8
	v_cndmask_b32_e64 v12, 0, 1, s[12:13]
	v_lshrrev_b32_sdwa v15, v16, v15 dst_sel:BYTE_1 dst_unused:UNUSED_PAD src0_sel:DWORD src1_sel:DWORD
	v_or_b32_e32 v12, v12, v15
	s_mov_b32 s2, 0xffff
	v_or_b32_sdwa v12, v12, v14 dst_sel:DWORD dst_unused:UNUSED_PAD src0_sel:WORD_0 src1_sel:DWORD
	v_and_b32_sdwa v13, s2, v13 dst_sel:DWORD dst_unused:UNUSED_PAD src0_sel:DWORD src1_sel:BYTE_0
.LBB321_235:
	s_or_b64 exec, exec, s[0:1]
	s_andn2_b64 vcc, exec, s[8:9]
	s_cbranch_vccnz .LBB321_237
; %bb.236:
	v_cmp_gt_u32_e32 vcc, s7, v1
	v_cndmask_b32_e32 v1, 0, v12, vcc
	v_and_b32_e32 v1, 0xffff00ff, v1
	v_cmp_gt_u32_e64 s[0:1], s7, v22
	v_cndmask_b32_e64 v1, v1, v12, s[0:1]
	v_lshrrev_b32_e32 v14, 24, v1
	s_waitcnt lgkmcnt(0)
	s_mov_b32 s2, 0x40c0100
	v_perm_b32 v1, v14, v1, s2
	v_cmp_gt_u32_e64 s[2:3], s7, v20
	v_cmp_gt_u32_e64 s[8:9], s7, v23
	v_cndmask_b32_e64 v1, v1, v12, s[2:3]
	s_or_b64 s[2:3], s[8:9], s[2:3]
	s_or_b64 s[0:1], s[2:3], s[0:1]
	s_or_b64 vcc, s[0:1], vcc
	v_and_b32_e32 v1, 0xffffff, v1
	v_cndmask_b32_e32 v14, 0, v13, vcc
	v_cndmask_b32_e64 v1, v1, v12, s[8:9]
	v_and_b32_e32 v14, 0xffffff00, v14
	v_cmp_gt_u32_e32 vcc, s7, v21
	v_cndmask_b32_e32 v1, v1, v12, vcc
	v_cndmask_b32_e32 v12, v14, v13, vcc
	s_mov_b32 s0, 0x3020104
	v_and_b32_e32 v13, 0xff, v12
	v_perm_b32 v12, v1, v1, s0
.LBB321_237:
	v_and_b32_e32 v1, 0xff, v12
	v_bfe_u32 v25, v12, 8, 8
	v_bfe_u32 v27, v12, 16, 8
	v_alignbit_b32 v14, v13, v12, 24
	v_and_b32_e32 v28, 0xff, v14
	v_and_b32_e32 v14, 0xff, v13
	v_add3_u32 v15, v25, v1, v27
	v_add3_u32 v31, v15, v28, v14
	v_mbcnt_lo_u32_b32 v14, -1, 0
	v_mbcnt_hi_u32_b32 v29, -1, v14
	v_and_b32_e32 v14, 15, v29
	v_cmp_eq_u32_e64 s[14:15], 0, v14
	v_cmp_lt_u32_e64 s[12:13], 1, v14
	v_cmp_lt_u32_e64 s[10:11], 3, v14
	;; [unrolled: 1-line block ×3, first 2 shown]
	v_and_b32_e32 v14, 16, v29
	v_cmp_eq_u32_e64 s[18:19], 0, v14
	v_or_b32_e32 v14, 63, v0
	v_cmp_lt_u32_e64 s[0:1], 31, v29
	v_lshrrev_b32_e32 v30, 6, v0
	s_waitcnt lgkmcnt(0)
	v_cmp_eq_u32_e64 s[2:3], v14, v0
	s_and_b64 vcc, exec, s[16:17]
	s_barrier
	s_cbranch_vccz .LBB321_264
; %bb.238:
	v_mov_b32_dpp v14, v31 row_shr:1 row_mask:0xf bank_mask:0xf
	v_cndmask_b32_e64 v14, v14, 0, s[14:15]
	v_add_u32_e32 v14, v14, v31
	s_nop 1
	v_mov_b32_dpp v15, v14 row_shr:2 row_mask:0xf bank_mask:0xf
	v_cndmask_b32_e64 v15, 0, v15, s[12:13]
	v_add_u32_e32 v14, v14, v15
	s_nop 1
	v_mov_b32_dpp v15, v14 row_shr:4 row_mask:0xf bank_mask:0xf
	v_cndmask_b32_e64 v15, 0, v15, s[10:11]
	v_add_u32_e32 v14, v14, v15
	s_nop 1
	v_mov_b32_dpp v15, v14 row_shr:8 row_mask:0xf bank_mask:0xf
	v_cndmask_b32_e64 v15, 0, v15, s[8:9]
	v_add_u32_e32 v14, v14, v15
	s_nop 1
	v_mov_b32_dpp v15, v14 row_bcast:15 row_mask:0xf bank_mask:0xf
	v_cndmask_b32_e64 v15, v15, 0, s[18:19]
	v_add_u32_e32 v14, v14, v15
	s_nop 1
	v_mov_b32_dpp v15, v14 row_bcast:31 row_mask:0xf bank_mask:0xf
	v_cndmask_b32_e64 v15, 0, v15, s[0:1]
	v_add_u32_e32 v14, v14, v15
	s_and_saveexec_b64 s[16:17], s[2:3]
	s_cbranch_execz .LBB321_240
; %bb.239:
	v_lshlrev_b32_e32 v15, 2, v30
	ds_write_b32 v15, v14
.LBB321_240:
	s_or_b64 exec, exec, s[16:17]
	v_cmp_gt_u32_e32 vcc, 4, v0
	s_waitcnt lgkmcnt(0)
	s_barrier
	s_and_saveexec_b64 s[16:17], vcc
	s_cbranch_execz .LBB321_242
; %bb.241:
	v_lshlrev_b32_e32 v15, 2, v0
	ds_read_b32 v16, v15
	v_and_b32_e32 v17, 3, v29
	v_cmp_ne_u32_e32 vcc, 0, v17
	s_waitcnt lgkmcnt(0)
	v_mov_b32_dpp v18, v16 row_shr:1 row_mask:0xf bank_mask:0xf
	v_cndmask_b32_e32 v18, 0, v18, vcc
	v_add_u32_e32 v16, v18, v16
	v_cmp_lt_u32_e32 vcc, 1, v17
	s_nop 0
	v_mov_b32_dpp v18, v16 row_shr:2 row_mask:0xf bank_mask:0xf
	v_cndmask_b32_e32 v17, 0, v18, vcc
	v_add_u32_e32 v16, v16, v17
	ds_write_b32 v15, v16
.LBB321_242:
	s_or_b64 exec, exec, s[16:17]
	v_cmp_gt_u32_e32 vcc, 64, v0
	v_cmp_lt_u32_e64 s[16:17], 63, v0
	s_waitcnt lgkmcnt(0)
	s_barrier
	s_waitcnt lgkmcnt(0)
                                        ; implicit-def: $vgpr24
	s_and_saveexec_b64 s[26:27], s[16:17]
	s_cbranch_execz .LBB321_244
; %bb.243:
	v_lshl_add_u32 v15, v30, 2, -4
	ds_read_b32 v24, v15
	s_waitcnt lgkmcnt(0)
	v_add_u32_e32 v14, v24, v14
.LBB321_244:
	s_or_b64 exec, exec, s[26:27]
	v_add_u32_e32 v15, -1, v29
	v_and_b32_e32 v16, 64, v29
	v_cmp_lt_i32_e64 s[16:17], v15, v16
	v_cndmask_b32_e64 v15, v15, v29, s[16:17]
	v_lshlrev_b32_e32 v15, 2, v15
	ds_bpermute_b32 v26, v15, v14
	v_cmp_eq_u32_e64 s[16:17], 0, v29
	s_and_saveexec_b64 s[26:27], vcc
	s_cbranch_execz .LBB321_263
; %bb.245:
	v_mov_b32_e32 v21, 0
	ds_read_b32 v14, v21 offset:12
	s_and_saveexec_b64 s[28:29], s[16:17]
	s_cbranch_execz .LBB321_247
; %bb.246:
	s_add_i32 s36, s6, 64
	s_mov_b32 s37, 0
	s_lshl_b64 s[36:37], s[36:37], 3
	s_add_u32 s36, s30, s36
	v_mov_b32_e32 v15, 1
	s_addc_u32 s37, s31, s37
	s_waitcnt lgkmcnt(0)
	global_store_dwordx2 v21, v[14:15], s[36:37]
.LBB321_247:
	s_or_b64 exec, exec, s[28:29]
	v_xad_u32 v16, v29, -1, s6
	v_add_u32_e32 v20, 64, v16
	v_lshlrev_b64 v[18:19], 3, v[20:21]
	v_mov_b32_e32 v15, s31
	v_add_co_u32_e32 v22, vcc, s30, v18
	v_addc_co_u32_e32 v23, vcc, v15, v19, vcc
	global_load_dwordx2 v[18:19], v[22:23], off glc
	s_waitcnt vmcnt(0)
	v_cmp_eq_u16_sdwa s[36:37], v19, v21 src0_sel:BYTE_0 src1_sel:DWORD
	s_and_saveexec_b64 s[28:29], s[36:37]
	s_cbranch_execz .LBB321_251
; %bb.248:
	s_mov_b64 s[36:37], 0
	v_mov_b32_e32 v15, 0
.LBB321_249:                            ; =>This Inner Loop Header: Depth=1
	global_load_dwordx2 v[18:19], v[22:23], off glc
	s_waitcnt vmcnt(0)
	v_cmp_ne_u16_sdwa s[38:39], v19, v15 src0_sel:BYTE_0 src1_sel:DWORD
	s_or_b64 s[36:37], s[38:39], s[36:37]
	s_andn2_b64 exec, exec, s[36:37]
	s_cbranch_execnz .LBB321_249
; %bb.250:
	s_or_b64 exec, exec, s[36:37]
.LBB321_251:
	s_or_b64 exec, exec, s[28:29]
	v_and_b32_e32 v32, 63, v29
	v_mov_b32_e32 v15, 2
	v_cmp_ne_u32_e32 vcc, 63, v32
	v_cmp_eq_u16_sdwa s[28:29], v19, v15 src0_sel:BYTE_0 src1_sel:DWORD
	v_lshlrev_b64 v[20:21], v29, -1
	v_addc_co_u32_e32 v23, vcc, 0, v29, vcc
	v_and_b32_e32 v17, s29, v21
	v_lshlrev_b32_e32 v33, 2, v23
	v_or_b32_e32 v17, 0x80000000, v17
	ds_bpermute_b32 v23, v33, v18
	v_and_b32_e32 v22, s28, v20
	v_ffbl_b32_e32 v17, v17
	v_add_u32_e32 v17, 32, v17
	v_ffbl_b32_e32 v22, v22
	v_min_u32_e32 v17, v22, v17
	v_cmp_lt_u32_e32 vcc, v32, v17
	s_waitcnt lgkmcnt(0)
	v_cndmask_b32_e32 v22, 0, v23, vcc
	v_cmp_gt_u32_e32 vcc, 62, v32
	v_add_u32_e32 v18, v22, v18
	v_cndmask_b32_e64 v22, 0, 1, vcc
	v_lshlrev_b32_e32 v22, 1, v22
	v_add_lshl_u32 v34, v22, v29, 2
	ds_bpermute_b32 v22, v34, v18
	v_add_u32_e32 v35, 2, v32
	v_cmp_le_u32_e32 vcc, v35, v17
	v_add_u32_e32 v37, 4, v32
	v_add_u32_e32 v39, 8, v32
	s_waitcnt lgkmcnt(0)
	v_cndmask_b32_e32 v22, 0, v22, vcc
	v_cmp_gt_u32_e32 vcc, 60, v32
	v_add_u32_e32 v18, v18, v22
	v_cndmask_b32_e64 v22, 0, 1, vcc
	v_lshlrev_b32_e32 v22, 2, v22
	v_add_lshl_u32 v36, v22, v29, 2
	ds_bpermute_b32 v22, v36, v18
	v_cmp_le_u32_e32 vcc, v37, v17
	v_add_u32_e32 v42, 16, v32
	v_add_u32_e32 v44, 32, v32
	s_waitcnt lgkmcnt(0)
	v_cndmask_b32_e32 v22, 0, v22, vcc
	v_cmp_gt_u32_e32 vcc, 56, v32
	v_add_u32_e32 v18, v18, v22
	v_cndmask_b32_e64 v22, 0, 1, vcc
	v_lshlrev_b32_e32 v22, 3, v22
	v_add_lshl_u32 v38, v22, v29, 2
	ds_bpermute_b32 v22, v38, v18
	v_cmp_le_u32_e32 vcc, v39, v17
	s_waitcnt lgkmcnt(0)
	v_cndmask_b32_e32 v22, 0, v22, vcc
	v_cmp_gt_u32_e32 vcc, 48, v32
	v_add_u32_e32 v18, v18, v22
	v_cndmask_b32_e64 v22, 0, 1, vcc
	v_lshlrev_b32_e32 v22, 4, v22
	v_add_lshl_u32 v41, v22, v29, 2
	ds_bpermute_b32 v22, v41, v18
	v_cmp_le_u32_e32 vcc, v42, v17
	;; [unrolled: 9-line block ×3, first 2 shown]
	s_waitcnt lgkmcnt(0)
	v_cndmask_b32_e32 v17, 0, v22, vcc
	v_add_u32_e32 v18, v18, v17
	v_mov_b32_e32 v17, 0
	s_branch .LBB321_253
.LBB321_252:                            ;   in Loop: Header=BB321_253 Depth=1
	s_or_b64 exec, exec, s[28:29]
	v_cmp_eq_u16_sdwa s[28:29], v19, v15 src0_sel:BYTE_0 src1_sel:DWORD
	v_and_b32_e32 v22, s29, v21
	v_or_b32_e32 v22, 0x80000000, v22
	ds_bpermute_b32 v45, v33, v18
	v_and_b32_e32 v23, s28, v20
	v_ffbl_b32_e32 v22, v22
	v_add_u32_e32 v22, 32, v22
	v_ffbl_b32_e32 v23, v23
	v_min_u32_e32 v22, v23, v22
	v_cmp_lt_u32_e32 vcc, v32, v22
	s_waitcnt lgkmcnt(0)
	v_cndmask_b32_e32 v23, 0, v45, vcc
	v_add_u32_e32 v18, v23, v18
	ds_bpermute_b32 v23, v34, v18
	v_cmp_le_u32_e32 vcc, v35, v22
	v_subrev_u32_e32 v16, 64, v16
	s_waitcnt lgkmcnt(0)
	v_cndmask_b32_e32 v23, 0, v23, vcc
	v_add_u32_e32 v18, v18, v23
	ds_bpermute_b32 v23, v36, v18
	v_cmp_le_u32_e32 vcc, v37, v22
	s_waitcnt lgkmcnt(0)
	v_cndmask_b32_e32 v23, 0, v23, vcc
	v_add_u32_e32 v18, v18, v23
	ds_bpermute_b32 v23, v38, v18
	v_cmp_le_u32_e32 vcc, v39, v22
	;; [unrolled: 5-line block ×4, first 2 shown]
	s_waitcnt lgkmcnt(0)
	v_cndmask_b32_e32 v22, 0, v23, vcc
	v_add3_u32 v18, v22, v40, v18
.LBB321_253:                            ; =>This Loop Header: Depth=1
                                        ;     Child Loop BB321_256 Depth 2
	v_cmp_ne_u16_sdwa s[28:29], v19, v15 src0_sel:BYTE_0 src1_sel:DWORD
	v_cndmask_b32_e64 v19, 0, 1, s[28:29]
	;;#ASMSTART
	;;#ASMEND
	v_cmp_ne_u32_e32 vcc, 0, v19
	s_cmp_lg_u64 vcc, exec
	v_mov_b32_e32 v40, v18
	s_cbranch_scc1 .LBB321_258
; %bb.254:                              ;   in Loop: Header=BB321_253 Depth=1
	v_lshlrev_b64 v[18:19], 3, v[16:17]
	v_mov_b32_e32 v23, s31
	v_add_co_u32_e32 v22, vcc, s30, v18
	v_addc_co_u32_e32 v23, vcc, v23, v19, vcc
	global_load_dwordx2 v[18:19], v[22:23], off glc
	s_waitcnt vmcnt(0)
	v_cmp_eq_u16_sdwa s[36:37], v19, v17 src0_sel:BYTE_0 src1_sel:DWORD
	s_and_saveexec_b64 s[28:29], s[36:37]
	s_cbranch_execz .LBB321_252
; %bb.255:                              ;   in Loop: Header=BB321_253 Depth=1
	s_mov_b64 s[36:37], 0
.LBB321_256:                            ;   Parent Loop BB321_253 Depth=1
                                        ; =>  This Inner Loop Header: Depth=2
	global_load_dwordx2 v[18:19], v[22:23], off glc
	s_waitcnt vmcnt(0)
	v_cmp_ne_u16_sdwa s[38:39], v19, v17 src0_sel:BYTE_0 src1_sel:DWORD
	s_or_b64 s[36:37], s[38:39], s[36:37]
	s_andn2_b64 exec, exec, s[36:37]
	s_cbranch_execnz .LBB321_256
; %bb.257:                              ;   in Loop: Header=BB321_253 Depth=1
	s_or_b64 exec, exec, s[36:37]
	s_branch .LBB321_252
.LBB321_258:                            ;   in Loop: Header=BB321_253 Depth=1
                                        ; implicit-def: $vgpr18
                                        ; implicit-def: $vgpr19
	s_cbranch_execz .LBB321_253
; %bb.259:
	s_and_saveexec_b64 s[28:29], s[16:17]
	s_cbranch_execz .LBB321_261
; %bb.260:
	s_add_i32 s6, s6, 64
	s_mov_b32 s7, 0
	s_lshl_b64 s[6:7], s[6:7], 3
	s_add_u32 s6, s30, s6
	v_add_u32_e32 v16, v40, v14
	v_mov_b32_e32 v17, 2
	s_addc_u32 s7, s31, s7
	v_mov_b32_e32 v15, 0
	global_store_dwordx2 v15, v[16:17], s[6:7]
	s_movk_i32 s6, 0x2800
	v_add_u32_e64 v15, s6, 0
	ds_write2_b32 v15, v14, v40 offset1:2
.LBB321_261:
	s_or_b64 exec, exec, s[28:29]
	v_cmp_eq_u32_e32 vcc, 0, v0
	s_and_b64 exec, exec, vcc
	s_cbranch_execz .LBB321_263
; %bb.262:
	v_mov_b32_e32 v14, 0
	ds_write_b32 v14, v40 offset:12
.LBB321_263:
	s_or_b64 exec, exec, s[26:27]
	v_mov_b32_e32 v14, 0
	s_waitcnt lgkmcnt(0)
	s_barrier
	ds_read_b32 v14, v14 offset:12
	v_cndmask_b32_e64 v15, v26, v24, s[16:17]
	v_cmp_ne_u32_e32 vcc, 0, v0
	v_cndmask_b32_e32 v15, 0, v15, vcc
	s_movk_i32 s6, 0x2800
	s_waitcnt lgkmcnt(0)
	v_add_u32_e32 v26, v14, v15
	v_add_u32_e64 v14, s6, 0
	s_barrier
	ds_read2_b32 v[14:15], v14 offset1:2
	v_add_u32_e32 v24, v26, v1
	v_add_u32_e32 v22, v24, v25
	v_add_u32_e32 v20, v22, v27
	v_add_u32_e32 v18, v20, v28
	s_load_dwordx2 s[4:5], s[4:5], 0x28
	v_lshrrev_b64 v[16:17], 24, v[12:13]
	s_branch .LBB321_274
.LBB321_264:
                                        ; implicit-def: $vgpr18
                                        ; implicit-def: $vgpr20
                                        ; implicit-def: $vgpr22
                                        ; implicit-def: $vgpr24
                                        ; implicit-def: $vgpr26
                                        ; implicit-def: $vgpr15
	s_load_dwordx2 s[4:5], s[4:5], 0x28
	v_lshrrev_b64 v[16:17], 24, v[12:13]
	s_cbranch_execz .LBB321_274
; %bb.265:
	s_waitcnt lgkmcnt(0)
	v_mov_b32_dpp v14, v31 row_shr:1 row_mask:0xf bank_mask:0xf
	v_cndmask_b32_e64 v14, v14, 0, s[14:15]
	v_add_u32_e32 v14, v14, v31
	s_nop 1
	v_mov_b32_dpp v15, v14 row_shr:2 row_mask:0xf bank_mask:0xf
	v_cndmask_b32_e64 v15, 0, v15, s[12:13]
	v_add_u32_e32 v14, v14, v15
	s_nop 1
	;; [unrolled: 4-line block ×4, first 2 shown]
	v_mov_b32_dpp v15, v14 row_bcast:15 row_mask:0xf bank_mask:0xf
	v_cndmask_b32_e64 v15, v15, 0, s[18:19]
	v_add_u32_e32 v14, v14, v15
	s_nop 1
	v_mov_b32_dpp v15, v14 row_bcast:31 row_mask:0xf bank_mask:0xf
	v_cndmask_b32_e64 v15, 0, v15, s[0:1]
	v_add_u32_e32 v14, v14, v15
	s_and_saveexec_b64 s[0:1], s[2:3]
	s_cbranch_execz .LBB321_267
; %bb.266:
	v_lshlrev_b32_e32 v15, 2, v30
	ds_write_b32 v15, v14
.LBB321_267:
	s_or_b64 exec, exec, s[0:1]
	v_cmp_gt_u32_e32 vcc, 4, v0
	s_waitcnt lgkmcnt(0)
	s_barrier
	s_and_saveexec_b64 s[0:1], vcc
	s_cbranch_execz .LBB321_269
; %bb.268:
	v_lshlrev_b32_e32 v15, 2, v0
	ds_read_b32 v17, v15
	v_and_b32_e32 v18, 3, v29
	v_cmp_ne_u32_e32 vcc, 0, v18
	s_waitcnt lgkmcnt(0)
	v_mov_b32_dpp v19, v17 row_shr:1 row_mask:0xf bank_mask:0xf
	v_cndmask_b32_e32 v19, 0, v19, vcc
	v_add_u32_e32 v17, v19, v17
	v_cmp_lt_u32_e32 vcc, 1, v18
	s_nop 0
	v_mov_b32_dpp v19, v17 row_shr:2 row_mask:0xf bank_mask:0xf
	v_cndmask_b32_e32 v18, 0, v19, vcc
	v_add_u32_e32 v17, v17, v18
	ds_write_b32 v15, v17
.LBB321_269:
	s_or_b64 exec, exec, s[0:1]
	v_cmp_lt_u32_e32 vcc, 63, v0
	v_mov_b32_e32 v15, 0
	v_mov_b32_e32 v17, 0
	s_waitcnt lgkmcnt(0)
	s_barrier
	s_and_saveexec_b64 s[0:1], vcc
	s_cbranch_execz .LBB321_271
; %bb.270:
	v_lshl_add_u32 v17, v30, 2, -4
	ds_read_b32 v17, v17
.LBB321_271:
	s_or_b64 exec, exec, s[0:1]
	v_add_u32_e32 v18, -1, v29
	v_and_b32_e32 v19, 64, v29
	v_cmp_lt_i32_e32 vcc, v18, v19
	v_cndmask_b32_e32 v18, v18, v29, vcc
	s_waitcnt lgkmcnt(0)
	v_add_u32_e32 v14, v17, v14
	v_lshlrev_b32_e32 v18, 2, v18
	ds_bpermute_b32 v18, v18, v14
	ds_read_b32 v14, v15 offset:12
	v_cmp_eq_u32_e32 vcc, 0, v0
	s_and_saveexec_b64 s[0:1], vcc
	s_cbranch_execz .LBB321_273
; %bb.272:
	v_mov_b32_e32 v19, 0
	v_mov_b32_e32 v15, 2
	s_waitcnt lgkmcnt(0)
	global_store_dwordx2 v19, v[14:15], s[30:31] offset:512
.LBB321_273:
	s_or_b64 exec, exec, s[0:1]
	v_cmp_eq_u32_e64 s[0:1], 0, v29
	s_waitcnt lgkmcnt(1)
	v_cndmask_b32_e64 v17, v18, v17, s[0:1]
	v_cndmask_b32_e64 v26, v17, 0, vcc
	v_add_u32_e32 v24, v26, v1
	v_add_u32_e32 v22, v24, v25
	;; [unrolled: 1-line block ×3, first 2 shown]
	v_mov_b32_e32 v15, 0
	v_add_u32_e32 v18, v20, v28
	s_waitcnt lgkmcnt(0)
	s_barrier
.LBB321_274:
	s_movk_i32 s0, 0x101
	s_waitcnt lgkmcnt(0)
	v_cmp_gt_u32_e32 vcc, s0, v14
	v_lshrrev_b32_e32 v1, 8, v12
	s_mov_b64 s[0:1], -1
	s_cbranch_vccnz .LBB321_278
; %bb.275:
	s_and_b64 vcc, exec, s[0:1]
	s_cbranch_vccnz .LBB321_294
.LBB321_276:
	v_cmp_eq_u32_e32 vcc, 0, v0
	s_and_b64 s[0:1], vcc, s[24:25]
	s_and_saveexec_b64 s[2:3], s[0:1]
	s_cbranch_execnz .LBB321_308
.LBB321_277:
	s_endpgm
.LBB321_278:
	v_add_u32_e32 v17, v15, v14
	v_cmp_lt_u32_e32 vcc, v26, v17
	s_or_b64 s[2:3], s[34:35], vcc
	s_and_saveexec_b64 s[0:1], s[2:3]
	s_cbranch_execz .LBB321_281
; %bb.279:
	v_and_b32_e32 v19, 1, v12
	v_cmp_eq_u32_e32 vcc, 1, v19
	s_and_b64 exec, exec, vcc
	s_cbranch_execz .LBB321_281
; %bb.280:
	s_lshl_b64 s[2:3], s[22:23], 3
	s_add_u32 s2, s4, s2
	v_mov_b32_e32 v27, 0
	s_addc_u32 s3, s5, s3
	v_lshlrev_b64 v[28:29], 3, v[26:27]
	v_mov_b32_e32 v19, s3
	v_add_co_u32_e32 v28, vcc, s2, v28
	v_addc_co_u32_e32 v29, vcc, v19, v29, vcc
	global_store_dwordx2 v[28:29], v[6:7], off
.LBB321_281:
	s_or_b64 exec, exec, s[0:1]
	v_cmp_lt_u32_e32 vcc, v24, v17
	s_or_b64 s[2:3], s[34:35], vcc
	s_and_saveexec_b64 s[0:1], s[2:3]
	s_cbranch_execz .LBB321_284
; %bb.282:
	v_and_b32_e32 v19, 1, v1
	v_cmp_eq_u32_e32 vcc, 1, v19
	s_and_b64 exec, exec, vcc
	s_cbranch_execz .LBB321_284
; %bb.283:
	s_lshl_b64 s[2:3], s[22:23], 3
	s_add_u32 s2, s4, s2
	v_mov_b32_e32 v25, 0
	s_addc_u32 s3, s5, s3
	v_lshlrev_b64 v[28:29], 3, v[24:25]
	v_mov_b32_e32 v19, s3
	v_add_co_u32_e32 v28, vcc, s2, v28
	v_addc_co_u32_e32 v29, vcc, v19, v29, vcc
	global_store_dwordx2 v[28:29], v[8:9], off
.LBB321_284:
	s_or_b64 exec, exec, s[0:1]
	v_cmp_lt_u32_e32 vcc, v22, v17
	s_or_b64 s[2:3], s[34:35], vcc
	s_and_saveexec_b64 s[0:1], s[2:3]
	s_cbranch_execz .LBB321_287
; %bb.285:
	v_mov_b32_e32 v19, 1
	v_and_b32_sdwa v19, v19, v12 dst_sel:DWORD dst_unused:UNUSED_PAD src0_sel:DWORD src1_sel:WORD_1
	v_cmp_eq_u32_e32 vcc, 1, v19
	s_and_b64 exec, exec, vcc
	s_cbranch_execz .LBB321_287
; %bb.286:
	s_lshl_b64 s[2:3], s[22:23], 3
	s_add_u32 s2, s4, s2
	v_mov_b32_e32 v23, 0
	s_addc_u32 s3, s5, s3
	v_lshlrev_b64 v[28:29], 3, v[22:23]
	v_mov_b32_e32 v19, s3
	v_add_co_u32_e32 v28, vcc, s2, v28
	v_addc_co_u32_e32 v29, vcc, v19, v29, vcc
	global_store_dwordx2 v[28:29], v[2:3], off
.LBB321_287:
	s_or_b64 exec, exec, s[0:1]
	v_cmp_lt_u32_e32 vcc, v20, v17
	s_or_b64 s[2:3], s[34:35], vcc
	s_and_saveexec_b64 s[0:1], s[2:3]
	s_cbranch_execz .LBB321_290
; %bb.288:
	v_and_b32_e32 v19, 1, v16
	v_cmp_eq_u32_e32 vcc, 1, v19
	s_and_b64 exec, exec, vcc
	s_cbranch_execz .LBB321_290
; %bb.289:
	s_lshl_b64 s[2:3], s[22:23], 3
	s_add_u32 s2, s4, s2
	v_mov_b32_e32 v21, 0
	s_addc_u32 s3, s5, s3
	v_lshlrev_b64 v[28:29], 3, v[20:21]
	v_mov_b32_e32 v19, s3
	v_add_co_u32_e32 v28, vcc, s2, v28
	v_addc_co_u32_e32 v29, vcc, v19, v29, vcc
	global_store_dwordx2 v[28:29], v[4:5], off
.LBB321_290:
	s_or_b64 exec, exec, s[0:1]
	v_cmp_lt_u32_e32 vcc, v18, v17
	s_or_b64 s[2:3], s[34:35], vcc
	s_and_saveexec_b64 s[0:1], s[2:3]
	s_cbranch_execz .LBB321_293
; %bb.291:
	v_and_b32_e32 v17, 1, v13
	v_cmp_eq_u32_e32 vcc, 1, v17
	s_and_b64 exec, exec, vcc
	s_cbranch_execz .LBB321_293
; %bb.292:
	s_lshl_b64 s[2:3], s[22:23], 3
	s_add_u32 s2, s4, s2
	v_mov_b32_e32 v19, 0
	s_addc_u32 s3, s5, s3
	v_lshlrev_b64 v[28:29], 3, v[18:19]
	v_mov_b32_e32 v17, s3
	v_add_co_u32_e32 v28, vcc, s2, v28
	v_addc_co_u32_e32 v29, vcc, v17, v29, vcc
	global_store_dwordx2 v[28:29], v[10:11], off
.LBB321_293:
	s_or_b64 exec, exec, s[0:1]
	s_branch .LBB321_276
.LBB321_294:
	v_and_b32_e32 v17, 1, v12
	v_cmp_eq_u32_e32 vcc, 1, v17
	s_and_saveexec_b64 s[0:1], vcc
	s_cbranch_execz .LBB321_296
; %bb.295:
	v_sub_u32_e32 v17, v26, v15
	v_lshlrev_b32_e32 v17, 3, v17
	ds_write_b64 v17, v[6:7]
.LBB321_296:
	s_or_b64 exec, exec, s[0:1]
	v_and_b32_e32 v1, 1, v1
	v_cmp_eq_u32_e32 vcc, 1, v1
	s_and_saveexec_b64 s[0:1], vcc
	s_cbranch_execz .LBB321_298
; %bb.297:
	v_sub_u32_e32 v1, v24, v15
	v_lshlrev_b32_e32 v1, 3, v1
	ds_write_b64 v1, v[8:9]
.LBB321_298:
	s_or_b64 exec, exec, s[0:1]
	v_mov_b32_e32 v1, 1
	v_and_b32_sdwa v1, v1, v12 dst_sel:DWORD dst_unused:UNUSED_PAD src0_sel:DWORD src1_sel:WORD_1
	v_cmp_eq_u32_e32 vcc, 1, v1
	s_and_saveexec_b64 s[0:1], vcc
	s_cbranch_execz .LBB321_300
; %bb.299:
	v_sub_u32_e32 v1, v22, v15
	v_lshlrev_b32_e32 v1, 3, v1
	ds_write_b64 v1, v[2:3]
.LBB321_300:
	s_or_b64 exec, exec, s[0:1]
	v_and_b32_e32 v1, 1, v16
	v_cmp_eq_u32_e32 vcc, 1, v1
	s_and_saveexec_b64 s[0:1], vcc
	s_cbranch_execz .LBB321_302
; %bb.301:
	v_sub_u32_e32 v1, v20, v15
	v_lshlrev_b32_e32 v1, 3, v1
	ds_write_b64 v1, v[4:5]
.LBB321_302:
	s_or_b64 exec, exec, s[0:1]
	v_and_b32_e32 v1, 1, v13
	v_cmp_eq_u32_e32 vcc, 1, v1
	s_and_saveexec_b64 s[0:1], vcc
	s_cbranch_execz .LBB321_304
; %bb.303:
	v_sub_u32_e32 v1, v18, v15
	v_lshlrev_b32_e32 v1, 3, v1
	ds_write_b64 v1, v[10:11]
.LBB321_304:
	s_or_b64 exec, exec, s[0:1]
	v_cmp_lt_u32_e32 vcc, v0, v14
	s_waitcnt lgkmcnt(0)
	s_barrier
	s_and_saveexec_b64 s[0:1], vcc
	s_cbranch_execz .LBB321_307
; %bb.305:
	v_mov_b32_e32 v3, 0
	v_mov_b32_e32 v2, v15
	v_lshlrev_b64 v[4:5], 3, v[2:3]
	v_mov_b32_e32 v1, s5
	v_add_co_u32_e32 v2, vcc, s4, v4
	v_addc_co_u32_e32 v4, vcc, v1, v5, vcc
	s_lshl_b64 s[2:3], s[22:23], 3
	v_mov_b32_e32 v5, s3
	v_add_co_u32_e32 v1, vcc, s2, v2
	v_addc_co_u32_e32 v4, vcc, v4, v5, vcc
	v_lshlrev_b32_e32 v5, 3, v0
	s_mov_b64 s[2:3], 0
	v_mov_b32_e32 v2, v0
.LBB321_306:                            ; =>This Inner Loop Header: Depth=1
	ds_read_b64 v[6:7], v5
	v_lshlrev_b64 v[8:9], 3, v[2:3]
	v_add_co_u32_e32 v8, vcc, v1, v8
	v_add_u32_e32 v2, 0x100, v2
	v_addc_co_u32_e32 v9, vcc, v4, v9, vcc
	v_cmp_ge_u32_e32 vcc, v2, v14
	v_add_u32_e32 v5, 0x800, v5
	s_or_b64 s[2:3], vcc, s[2:3]
	s_waitcnt lgkmcnt(0)
	global_store_dwordx2 v[8:9], v[6:7], off
	s_andn2_b64 exec, exec, s[2:3]
	s_cbranch_execnz .LBB321_306
.LBB321_307:
	s_or_b64 exec, exec, s[0:1]
	v_cmp_eq_u32_e32 vcc, 0, v0
	s_and_b64 s[0:1], vcc, s[24:25]
	s_and_saveexec_b64 s[2:3], s[0:1]
	s_cbranch_execz .LBB321_277
.LBB321_308:
	v_mov_b32_e32 v0, s23
	v_add_co_u32_e32 v1, vcc, s22, v14
	v_addc_co_u32_e32 v3, vcc, 0, v0, vcc
	v_add_co_u32_e32 v0, vcc, v1, v15
	v_mov_b32_e32 v2, 0
	v_addc_co_u32_e32 v1, vcc, 0, v3, vcc
	global_store_dwordx2 v2, v[0:1], s[20:21]
	s_endpgm
	.section	.rodata,"a",@progbits
	.p2align	6, 0x0
	.amdhsa_kernel _ZN7rocprim17ROCPRIM_400000_NS6detail17trampoline_kernelINS0_14default_configENS1_25partition_config_selectorILNS1_17partition_subalgoE8ElNS0_10empty_typeEbEEZZNS1_14partition_implILS5_8ELb0ES3_jPlPS6_PKS6_NS0_5tupleIJS9_S6_EEENSD_IJSA_SA_EEENS0_18inequality_wrapperIZN2at6native12_GLOBAL__N_124unique_dim_cuda_templateIaEESt5tupleIJNSH_6TensorESM_SM_EERKSM_lbbbEUlllE0_EEPmJS6_EEE10hipError_tPvRmT3_T4_T5_T6_T7_T9_mT8_P12ihipStream_tbDpT10_ENKUlT_T0_E_clISt17integral_constantIbLb0EES1C_EEDaS17_S18_EUlS17_E_NS1_11comp_targetILNS1_3genE4ELNS1_11target_archE910ELNS1_3gpuE8ELNS1_3repE0EEENS1_30default_config_static_selectorELNS0_4arch9wavefront6targetE1EEEvT1_
		.amdhsa_group_segment_fixed_size 10252
		.amdhsa_private_segment_fixed_size 0
		.amdhsa_kernarg_size 120
		.amdhsa_user_sgpr_count 6
		.amdhsa_user_sgpr_private_segment_buffer 1
		.amdhsa_user_sgpr_dispatch_ptr 0
		.amdhsa_user_sgpr_queue_ptr 0
		.amdhsa_user_sgpr_kernarg_segment_ptr 1
		.amdhsa_user_sgpr_dispatch_id 0
		.amdhsa_user_sgpr_flat_scratch_init 0
		.amdhsa_user_sgpr_kernarg_preload_length 0
		.amdhsa_user_sgpr_kernarg_preload_offset 0
		.amdhsa_user_sgpr_private_segment_size 0
		.amdhsa_uses_dynamic_stack 0
		.amdhsa_system_sgpr_private_segment_wavefront_offset 0
		.amdhsa_system_sgpr_workgroup_id_x 1
		.amdhsa_system_sgpr_workgroup_id_y 0
		.amdhsa_system_sgpr_workgroup_id_z 0
		.amdhsa_system_sgpr_workgroup_info 0
		.amdhsa_system_vgpr_workitem_id 0
		.amdhsa_next_free_vgpr 46
		.amdhsa_next_free_sgpr 48
		.amdhsa_accum_offset 48
		.amdhsa_reserve_vcc 1
		.amdhsa_reserve_flat_scratch 0
		.amdhsa_float_round_mode_32 0
		.amdhsa_float_round_mode_16_64 0
		.amdhsa_float_denorm_mode_32 3
		.amdhsa_float_denorm_mode_16_64 3
		.amdhsa_dx10_clamp 1
		.amdhsa_ieee_mode 1
		.amdhsa_fp16_overflow 0
		.amdhsa_tg_split 0
		.amdhsa_exception_fp_ieee_invalid_op 0
		.amdhsa_exception_fp_denorm_src 0
		.amdhsa_exception_fp_ieee_div_zero 0
		.amdhsa_exception_fp_ieee_overflow 0
		.amdhsa_exception_fp_ieee_underflow 0
		.amdhsa_exception_fp_ieee_inexact 0
		.amdhsa_exception_int_div_zero 0
	.end_amdhsa_kernel
	.section	.text._ZN7rocprim17ROCPRIM_400000_NS6detail17trampoline_kernelINS0_14default_configENS1_25partition_config_selectorILNS1_17partition_subalgoE8ElNS0_10empty_typeEbEEZZNS1_14partition_implILS5_8ELb0ES3_jPlPS6_PKS6_NS0_5tupleIJS9_S6_EEENSD_IJSA_SA_EEENS0_18inequality_wrapperIZN2at6native12_GLOBAL__N_124unique_dim_cuda_templateIaEESt5tupleIJNSH_6TensorESM_SM_EERKSM_lbbbEUlllE0_EEPmJS6_EEE10hipError_tPvRmT3_T4_T5_T6_T7_T9_mT8_P12ihipStream_tbDpT10_ENKUlT_T0_E_clISt17integral_constantIbLb0EES1C_EEDaS17_S18_EUlS17_E_NS1_11comp_targetILNS1_3genE4ELNS1_11target_archE910ELNS1_3gpuE8ELNS1_3repE0EEENS1_30default_config_static_selectorELNS0_4arch9wavefront6targetE1EEEvT1_,"axG",@progbits,_ZN7rocprim17ROCPRIM_400000_NS6detail17trampoline_kernelINS0_14default_configENS1_25partition_config_selectorILNS1_17partition_subalgoE8ElNS0_10empty_typeEbEEZZNS1_14partition_implILS5_8ELb0ES3_jPlPS6_PKS6_NS0_5tupleIJS9_S6_EEENSD_IJSA_SA_EEENS0_18inequality_wrapperIZN2at6native12_GLOBAL__N_124unique_dim_cuda_templateIaEESt5tupleIJNSH_6TensorESM_SM_EERKSM_lbbbEUlllE0_EEPmJS6_EEE10hipError_tPvRmT3_T4_T5_T6_T7_T9_mT8_P12ihipStream_tbDpT10_ENKUlT_T0_E_clISt17integral_constantIbLb0EES1C_EEDaS17_S18_EUlS17_E_NS1_11comp_targetILNS1_3genE4ELNS1_11target_archE910ELNS1_3gpuE8ELNS1_3repE0EEENS1_30default_config_static_selectorELNS0_4arch9wavefront6targetE1EEEvT1_,comdat
.Lfunc_end321:
	.size	_ZN7rocprim17ROCPRIM_400000_NS6detail17trampoline_kernelINS0_14default_configENS1_25partition_config_selectorILNS1_17partition_subalgoE8ElNS0_10empty_typeEbEEZZNS1_14partition_implILS5_8ELb0ES3_jPlPS6_PKS6_NS0_5tupleIJS9_S6_EEENSD_IJSA_SA_EEENS0_18inequality_wrapperIZN2at6native12_GLOBAL__N_124unique_dim_cuda_templateIaEESt5tupleIJNSH_6TensorESM_SM_EERKSM_lbbbEUlllE0_EEPmJS6_EEE10hipError_tPvRmT3_T4_T5_T6_T7_T9_mT8_P12ihipStream_tbDpT10_ENKUlT_T0_E_clISt17integral_constantIbLb0EES1C_EEDaS17_S18_EUlS17_E_NS1_11comp_targetILNS1_3genE4ELNS1_11target_archE910ELNS1_3gpuE8ELNS1_3repE0EEENS1_30default_config_static_selectorELNS0_4arch9wavefront6targetE1EEEvT1_, .Lfunc_end321-_ZN7rocprim17ROCPRIM_400000_NS6detail17trampoline_kernelINS0_14default_configENS1_25partition_config_selectorILNS1_17partition_subalgoE8ElNS0_10empty_typeEbEEZZNS1_14partition_implILS5_8ELb0ES3_jPlPS6_PKS6_NS0_5tupleIJS9_S6_EEENSD_IJSA_SA_EEENS0_18inequality_wrapperIZN2at6native12_GLOBAL__N_124unique_dim_cuda_templateIaEESt5tupleIJNSH_6TensorESM_SM_EERKSM_lbbbEUlllE0_EEPmJS6_EEE10hipError_tPvRmT3_T4_T5_T6_T7_T9_mT8_P12ihipStream_tbDpT10_ENKUlT_T0_E_clISt17integral_constantIbLb0EES1C_EEDaS17_S18_EUlS17_E_NS1_11comp_targetILNS1_3genE4ELNS1_11target_archE910ELNS1_3gpuE8ELNS1_3repE0EEENS1_30default_config_static_selectorELNS0_4arch9wavefront6targetE1EEEvT1_
                                        ; -- End function
	.section	.AMDGPU.csdata,"",@progbits
; Kernel info:
; codeLenInByte = 9732
; NumSgprs: 52
; NumVgprs: 46
; NumAgprs: 0
; TotalNumVgprs: 46
; ScratchSize: 0
; MemoryBound: 0
; FloatMode: 240
; IeeeMode: 1
; LDSByteSize: 10252 bytes/workgroup (compile time only)
; SGPRBlocks: 6
; VGPRBlocks: 5
; NumSGPRsForWavesPerEU: 52
; NumVGPRsForWavesPerEU: 46
; AccumOffset: 48
; Occupancy: 6
; WaveLimiterHint : 1
; COMPUTE_PGM_RSRC2:SCRATCH_EN: 0
; COMPUTE_PGM_RSRC2:USER_SGPR: 6
; COMPUTE_PGM_RSRC2:TRAP_HANDLER: 0
; COMPUTE_PGM_RSRC2:TGID_X_EN: 1
; COMPUTE_PGM_RSRC2:TGID_Y_EN: 0
; COMPUTE_PGM_RSRC2:TGID_Z_EN: 0
; COMPUTE_PGM_RSRC2:TIDIG_COMP_CNT: 0
; COMPUTE_PGM_RSRC3_GFX90A:ACCUM_OFFSET: 11
; COMPUTE_PGM_RSRC3_GFX90A:TG_SPLIT: 0
	.section	.text._ZN7rocprim17ROCPRIM_400000_NS6detail17trampoline_kernelINS0_14default_configENS1_25partition_config_selectorILNS1_17partition_subalgoE8ElNS0_10empty_typeEbEEZZNS1_14partition_implILS5_8ELb0ES3_jPlPS6_PKS6_NS0_5tupleIJS9_S6_EEENSD_IJSA_SA_EEENS0_18inequality_wrapperIZN2at6native12_GLOBAL__N_124unique_dim_cuda_templateIaEESt5tupleIJNSH_6TensorESM_SM_EERKSM_lbbbEUlllE0_EEPmJS6_EEE10hipError_tPvRmT3_T4_T5_T6_T7_T9_mT8_P12ihipStream_tbDpT10_ENKUlT_T0_E_clISt17integral_constantIbLb0EES1C_EEDaS17_S18_EUlS17_E_NS1_11comp_targetILNS1_3genE3ELNS1_11target_archE908ELNS1_3gpuE7ELNS1_3repE0EEENS1_30default_config_static_selectorELNS0_4arch9wavefront6targetE1EEEvT1_,"axG",@progbits,_ZN7rocprim17ROCPRIM_400000_NS6detail17trampoline_kernelINS0_14default_configENS1_25partition_config_selectorILNS1_17partition_subalgoE8ElNS0_10empty_typeEbEEZZNS1_14partition_implILS5_8ELb0ES3_jPlPS6_PKS6_NS0_5tupleIJS9_S6_EEENSD_IJSA_SA_EEENS0_18inequality_wrapperIZN2at6native12_GLOBAL__N_124unique_dim_cuda_templateIaEESt5tupleIJNSH_6TensorESM_SM_EERKSM_lbbbEUlllE0_EEPmJS6_EEE10hipError_tPvRmT3_T4_T5_T6_T7_T9_mT8_P12ihipStream_tbDpT10_ENKUlT_T0_E_clISt17integral_constantIbLb0EES1C_EEDaS17_S18_EUlS17_E_NS1_11comp_targetILNS1_3genE3ELNS1_11target_archE908ELNS1_3gpuE7ELNS1_3repE0EEENS1_30default_config_static_selectorELNS0_4arch9wavefront6targetE1EEEvT1_,comdat
	.globl	_ZN7rocprim17ROCPRIM_400000_NS6detail17trampoline_kernelINS0_14default_configENS1_25partition_config_selectorILNS1_17partition_subalgoE8ElNS0_10empty_typeEbEEZZNS1_14partition_implILS5_8ELb0ES3_jPlPS6_PKS6_NS0_5tupleIJS9_S6_EEENSD_IJSA_SA_EEENS0_18inequality_wrapperIZN2at6native12_GLOBAL__N_124unique_dim_cuda_templateIaEESt5tupleIJNSH_6TensorESM_SM_EERKSM_lbbbEUlllE0_EEPmJS6_EEE10hipError_tPvRmT3_T4_T5_T6_T7_T9_mT8_P12ihipStream_tbDpT10_ENKUlT_T0_E_clISt17integral_constantIbLb0EES1C_EEDaS17_S18_EUlS17_E_NS1_11comp_targetILNS1_3genE3ELNS1_11target_archE908ELNS1_3gpuE7ELNS1_3repE0EEENS1_30default_config_static_selectorELNS0_4arch9wavefront6targetE1EEEvT1_ ; -- Begin function _ZN7rocprim17ROCPRIM_400000_NS6detail17trampoline_kernelINS0_14default_configENS1_25partition_config_selectorILNS1_17partition_subalgoE8ElNS0_10empty_typeEbEEZZNS1_14partition_implILS5_8ELb0ES3_jPlPS6_PKS6_NS0_5tupleIJS9_S6_EEENSD_IJSA_SA_EEENS0_18inequality_wrapperIZN2at6native12_GLOBAL__N_124unique_dim_cuda_templateIaEESt5tupleIJNSH_6TensorESM_SM_EERKSM_lbbbEUlllE0_EEPmJS6_EEE10hipError_tPvRmT3_T4_T5_T6_T7_T9_mT8_P12ihipStream_tbDpT10_ENKUlT_T0_E_clISt17integral_constantIbLb0EES1C_EEDaS17_S18_EUlS17_E_NS1_11comp_targetILNS1_3genE3ELNS1_11target_archE908ELNS1_3gpuE7ELNS1_3repE0EEENS1_30default_config_static_selectorELNS0_4arch9wavefront6targetE1EEEvT1_
	.p2align	8
	.type	_ZN7rocprim17ROCPRIM_400000_NS6detail17trampoline_kernelINS0_14default_configENS1_25partition_config_selectorILNS1_17partition_subalgoE8ElNS0_10empty_typeEbEEZZNS1_14partition_implILS5_8ELb0ES3_jPlPS6_PKS6_NS0_5tupleIJS9_S6_EEENSD_IJSA_SA_EEENS0_18inequality_wrapperIZN2at6native12_GLOBAL__N_124unique_dim_cuda_templateIaEESt5tupleIJNSH_6TensorESM_SM_EERKSM_lbbbEUlllE0_EEPmJS6_EEE10hipError_tPvRmT3_T4_T5_T6_T7_T9_mT8_P12ihipStream_tbDpT10_ENKUlT_T0_E_clISt17integral_constantIbLb0EES1C_EEDaS17_S18_EUlS17_E_NS1_11comp_targetILNS1_3genE3ELNS1_11target_archE908ELNS1_3gpuE7ELNS1_3repE0EEENS1_30default_config_static_selectorELNS0_4arch9wavefront6targetE1EEEvT1_,@function
_ZN7rocprim17ROCPRIM_400000_NS6detail17trampoline_kernelINS0_14default_configENS1_25partition_config_selectorILNS1_17partition_subalgoE8ElNS0_10empty_typeEbEEZZNS1_14partition_implILS5_8ELb0ES3_jPlPS6_PKS6_NS0_5tupleIJS9_S6_EEENSD_IJSA_SA_EEENS0_18inequality_wrapperIZN2at6native12_GLOBAL__N_124unique_dim_cuda_templateIaEESt5tupleIJNSH_6TensorESM_SM_EERKSM_lbbbEUlllE0_EEPmJS6_EEE10hipError_tPvRmT3_T4_T5_T6_T7_T9_mT8_P12ihipStream_tbDpT10_ENKUlT_T0_E_clISt17integral_constantIbLb0EES1C_EEDaS17_S18_EUlS17_E_NS1_11comp_targetILNS1_3genE3ELNS1_11target_archE908ELNS1_3gpuE7ELNS1_3repE0EEENS1_30default_config_static_selectorELNS0_4arch9wavefront6targetE1EEEvT1_: ; @_ZN7rocprim17ROCPRIM_400000_NS6detail17trampoline_kernelINS0_14default_configENS1_25partition_config_selectorILNS1_17partition_subalgoE8ElNS0_10empty_typeEbEEZZNS1_14partition_implILS5_8ELb0ES3_jPlPS6_PKS6_NS0_5tupleIJS9_S6_EEENSD_IJSA_SA_EEENS0_18inequality_wrapperIZN2at6native12_GLOBAL__N_124unique_dim_cuda_templateIaEESt5tupleIJNSH_6TensorESM_SM_EERKSM_lbbbEUlllE0_EEPmJS6_EEE10hipError_tPvRmT3_T4_T5_T6_T7_T9_mT8_P12ihipStream_tbDpT10_ENKUlT_T0_E_clISt17integral_constantIbLb0EES1C_EEDaS17_S18_EUlS17_E_NS1_11comp_targetILNS1_3genE3ELNS1_11target_archE908ELNS1_3gpuE7ELNS1_3repE0EEENS1_30default_config_static_selectorELNS0_4arch9wavefront6targetE1EEEvT1_
; %bb.0:
	.section	.rodata,"a",@progbits
	.p2align	6, 0x0
	.amdhsa_kernel _ZN7rocprim17ROCPRIM_400000_NS6detail17trampoline_kernelINS0_14default_configENS1_25partition_config_selectorILNS1_17partition_subalgoE8ElNS0_10empty_typeEbEEZZNS1_14partition_implILS5_8ELb0ES3_jPlPS6_PKS6_NS0_5tupleIJS9_S6_EEENSD_IJSA_SA_EEENS0_18inequality_wrapperIZN2at6native12_GLOBAL__N_124unique_dim_cuda_templateIaEESt5tupleIJNSH_6TensorESM_SM_EERKSM_lbbbEUlllE0_EEPmJS6_EEE10hipError_tPvRmT3_T4_T5_T6_T7_T9_mT8_P12ihipStream_tbDpT10_ENKUlT_T0_E_clISt17integral_constantIbLb0EES1C_EEDaS17_S18_EUlS17_E_NS1_11comp_targetILNS1_3genE3ELNS1_11target_archE908ELNS1_3gpuE7ELNS1_3repE0EEENS1_30default_config_static_selectorELNS0_4arch9wavefront6targetE1EEEvT1_
		.amdhsa_group_segment_fixed_size 0
		.amdhsa_private_segment_fixed_size 0
		.amdhsa_kernarg_size 120
		.amdhsa_user_sgpr_count 6
		.amdhsa_user_sgpr_private_segment_buffer 1
		.amdhsa_user_sgpr_dispatch_ptr 0
		.amdhsa_user_sgpr_queue_ptr 0
		.amdhsa_user_sgpr_kernarg_segment_ptr 1
		.amdhsa_user_sgpr_dispatch_id 0
		.amdhsa_user_sgpr_flat_scratch_init 0
		.amdhsa_user_sgpr_kernarg_preload_length 0
		.amdhsa_user_sgpr_kernarg_preload_offset 0
		.amdhsa_user_sgpr_private_segment_size 0
		.amdhsa_uses_dynamic_stack 0
		.amdhsa_system_sgpr_private_segment_wavefront_offset 0
		.amdhsa_system_sgpr_workgroup_id_x 1
		.amdhsa_system_sgpr_workgroup_id_y 0
		.amdhsa_system_sgpr_workgroup_id_z 0
		.amdhsa_system_sgpr_workgroup_info 0
		.amdhsa_system_vgpr_workitem_id 0
		.amdhsa_next_free_vgpr 1
		.amdhsa_next_free_sgpr 0
		.amdhsa_accum_offset 4
		.amdhsa_reserve_vcc 0
		.amdhsa_reserve_flat_scratch 0
		.amdhsa_float_round_mode_32 0
		.amdhsa_float_round_mode_16_64 0
		.amdhsa_float_denorm_mode_32 3
		.amdhsa_float_denorm_mode_16_64 3
		.amdhsa_dx10_clamp 1
		.amdhsa_ieee_mode 1
		.amdhsa_fp16_overflow 0
		.amdhsa_tg_split 0
		.amdhsa_exception_fp_ieee_invalid_op 0
		.amdhsa_exception_fp_denorm_src 0
		.amdhsa_exception_fp_ieee_div_zero 0
		.amdhsa_exception_fp_ieee_overflow 0
		.amdhsa_exception_fp_ieee_underflow 0
		.amdhsa_exception_fp_ieee_inexact 0
		.amdhsa_exception_int_div_zero 0
	.end_amdhsa_kernel
	.section	.text._ZN7rocprim17ROCPRIM_400000_NS6detail17trampoline_kernelINS0_14default_configENS1_25partition_config_selectorILNS1_17partition_subalgoE8ElNS0_10empty_typeEbEEZZNS1_14partition_implILS5_8ELb0ES3_jPlPS6_PKS6_NS0_5tupleIJS9_S6_EEENSD_IJSA_SA_EEENS0_18inequality_wrapperIZN2at6native12_GLOBAL__N_124unique_dim_cuda_templateIaEESt5tupleIJNSH_6TensorESM_SM_EERKSM_lbbbEUlllE0_EEPmJS6_EEE10hipError_tPvRmT3_T4_T5_T6_T7_T9_mT8_P12ihipStream_tbDpT10_ENKUlT_T0_E_clISt17integral_constantIbLb0EES1C_EEDaS17_S18_EUlS17_E_NS1_11comp_targetILNS1_3genE3ELNS1_11target_archE908ELNS1_3gpuE7ELNS1_3repE0EEENS1_30default_config_static_selectorELNS0_4arch9wavefront6targetE1EEEvT1_,"axG",@progbits,_ZN7rocprim17ROCPRIM_400000_NS6detail17trampoline_kernelINS0_14default_configENS1_25partition_config_selectorILNS1_17partition_subalgoE8ElNS0_10empty_typeEbEEZZNS1_14partition_implILS5_8ELb0ES3_jPlPS6_PKS6_NS0_5tupleIJS9_S6_EEENSD_IJSA_SA_EEENS0_18inequality_wrapperIZN2at6native12_GLOBAL__N_124unique_dim_cuda_templateIaEESt5tupleIJNSH_6TensorESM_SM_EERKSM_lbbbEUlllE0_EEPmJS6_EEE10hipError_tPvRmT3_T4_T5_T6_T7_T9_mT8_P12ihipStream_tbDpT10_ENKUlT_T0_E_clISt17integral_constantIbLb0EES1C_EEDaS17_S18_EUlS17_E_NS1_11comp_targetILNS1_3genE3ELNS1_11target_archE908ELNS1_3gpuE7ELNS1_3repE0EEENS1_30default_config_static_selectorELNS0_4arch9wavefront6targetE1EEEvT1_,comdat
.Lfunc_end322:
	.size	_ZN7rocprim17ROCPRIM_400000_NS6detail17trampoline_kernelINS0_14default_configENS1_25partition_config_selectorILNS1_17partition_subalgoE8ElNS0_10empty_typeEbEEZZNS1_14partition_implILS5_8ELb0ES3_jPlPS6_PKS6_NS0_5tupleIJS9_S6_EEENSD_IJSA_SA_EEENS0_18inequality_wrapperIZN2at6native12_GLOBAL__N_124unique_dim_cuda_templateIaEESt5tupleIJNSH_6TensorESM_SM_EERKSM_lbbbEUlllE0_EEPmJS6_EEE10hipError_tPvRmT3_T4_T5_T6_T7_T9_mT8_P12ihipStream_tbDpT10_ENKUlT_T0_E_clISt17integral_constantIbLb0EES1C_EEDaS17_S18_EUlS17_E_NS1_11comp_targetILNS1_3genE3ELNS1_11target_archE908ELNS1_3gpuE7ELNS1_3repE0EEENS1_30default_config_static_selectorELNS0_4arch9wavefront6targetE1EEEvT1_, .Lfunc_end322-_ZN7rocprim17ROCPRIM_400000_NS6detail17trampoline_kernelINS0_14default_configENS1_25partition_config_selectorILNS1_17partition_subalgoE8ElNS0_10empty_typeEbEEZZNS1_14partition_implILS5_8ELb0ES3_jPlPS6_PKS6_NS0_5tupleIJS9_S6_EEENSD_IJSA_SA_EEENS0_18inequality_wrapperIZN2at6native12_GLOBAL__N_124unique_dim_cuda_templateIaEESt5tupleIJNSH_6TensorESM_SM_EERKSM_lbbbEUlllE0_EEPmJS6_EEE10hipError_tPvRmT3_T4_T5_T6_T7_T9_mT8_P12ihipStream_tbDpT10_ENKUlT_T0_E_clISt17integral_constantIbLb0EES1C_EEDaS17_S18_EUlS17_E_NS1_11comp_targetILNS1_3genE3ELNS1_11target_archE908ELNS1_3gpuE7ELNS1_3repE0EEENS1_30default_config_static_selectorELNS0_4arch9wavefront6targetE1EEEvT1_
                                        ; -- End function
	.section	.AMDGPU.csdata,"",@progbits
; Kernel info:
; codeLenInByte = 0
; NumSgprs: 4
; NumVgprs: 0
; NumAgprs: 0
; TotalNumVgprs: 0
; ScratchSize: 0
; MemoryBound: 0
; FloatMode: 240
; IeeeMode: 1
; LDSByteSize: 0 bytes/workgroup (compile time only)
; SGPRBlocks: 0
; VGPRBlocks: 0
; NumSGPRsForWavesPerEU: 4
; NumVGPRsForWavesPerEU: 1
; AccumOffset: 4
; Occupancy: 8
; WaveLimiterHint : 0
; COMPUTE_PGM_RSRC2:SCRATCH_EN: 0
; COMPUTE_PGM_RSRC2:USER_SGPR: 6
; COMPUTE_PGM_RSRC2:TRAP_HANDLER: 0
; COMPUTE_PGM_RSRC2:TGID_X_EN: 1
; COMPUTE_PGM_RSRC2:TGID_Y_EN: 0
; COMPUTE_PGM_RSRC2:TGID_Z_EN: 0
; COMPUTE_PGM_RSRC2:TIDIG_COMP_CNT: 0
; COMPUTE_PGM_RSRC3_GFX90A:ACCUM_OFFSET: 0
; COMPUTE_PGM_RSRC3_GFX90A:TG_SPLIT: 0
	.section	.text._ZN7rocprim17ROCPRIM_400000_NS6detail17trampoline_kernelINS0_14default_configENS1_25partition_config_selectorILNS1_17partition_subalgoE8ElNS0_10empty_typeEbEEZZNS1_14partition_implILS5_8ELb0ES3_jPlPS6_PKS6_NS0_5tupleIJS9_S6_EEENSD_IJSA_SA_EEENS0_18inequality_wrapperIZN2at6native12_GLOBAL__N_124unique_dim_cuda_templateIaEESt5tupleIJNSH_6TensorESM_SM_EERKSM_lbbbEUlllE0_EEPmJS6_EEE10hipError_tPvRmT3_T4_T5_T6_T7_T9_mT8_P12ihipStream_tbDpT10_ENKUlT_T0_E_clISt17integral_constantIbLb0EES1C_EEDaS17_S18_EUlS17_E_NS1_11comp_targetILNS1_3genE2ELNS1_11target_archE906ELNS1_3gpuE6ELNS1_3repE0EEENS1_30default_config_static_selectorELNS0_4arch9wavefront6targetE1EEEvT1_,"axG",@progbits,_ZN7rocprim17ROCPRIM_400000_NS6detail17trampoline_kernelINS0_14default_configENS1_25partition_config_selectorILNS1_17partition_subalgoE8ElNS0_10empty_typeEbEEZZNS1_14partition_implILS5_8ELb0ES3_jPlPS6_PKS6_NS0_5tupleIJS9_S6_EEENSD_IJSA_SA_EEENS0_18inequality_wrapperIZN2at6native12_GLOBAL__N_124unique_dim_cuda_templateIaEESt5tupleIJNSH_6TensorESM_SM_EERKSM_lbbbEUlllE0_EEPmJS6_EEE10hipError_tPvRmT3_T4_T5_T6_T7_T9_mT8_P12ihipStream_tbDpT10_ENKUlT_T0_E_clISt17integral_constantIbLb0EES1C_EEDaS17_S18_EUlS17_E_NS1_11comp_targetILNS1_3genE2ELNS1_11target_archE906ELNS1_3gpuE6ELNS1_3repE0EEENS1_30default_config_static_selectorELNS0_4arch9wavefront6targetE1EEEvT1_,comdat
	.globl	_ZN7rocprim17ROCPRIM_400000_NS6detail17trampoline_kernelINS0_14default_configENS1_25partition_config_selectorILNS1_17partition_subalgoE8ElNS0_10empty_typeEbEEZZNS1_14partition_implILS5_8ELb0ES3_jPlPS6_PKS6_NS0_5tupleIJS9_S6_EEENSD_IJSA_SA_EEENS0_18inequality_wrapperIZN2at6native12_GLOBAL__N_124unique_dim_cuda_templateIaEESt5tupleIJNSH_6TensorESM_SM_EERKSM_lbbbEUlllE0_EEPmJS6_EEE10hipError_tPvRmT3_T4_T5_T6_T7_T9_mT8_P12ihipStream_tbDpT10_ENKUlT_T0_E_clISt17integral_constantIbLb0EES1C_EEDaS17_S18_EUlS17_E_NS1_11comp_targetILNS1_3genE2ELNS1_11target_archE906ELNS1_3gpuE6ELNS1_3repE0EEENS1_30default_config_static_selectorELNS0_4arch9wavefront6targetE1EEEvT1_ ; -- Begin function _ZN7rocprim17ROCPRIM_400000_NS6detail17trampoline_kernelINS0_14default_configENS1_25partition_config_selectorILNS1_17partition_subalgoE8ElNS0_10empty_typeEbEEZZNS1_14partition_implILS5_8ELb0ES3_jPlPS6_PKS6_NS0_5tupleIJS9_S6_EEENSD_IJSA_SA_EEENS0_18inequality_wrapperIZN2at6native12_GLOBAL__N_124unique_dim_cuda_templateIaEESt5tupleIJNSH_6TensorESM_SM_EERKSM_lbbbEUlllE0_EEPmJS6_EEE10hipError_tPvRmT3_T4_T5_T6_T7_T9_mT8_P12ihipStream_tbDpT10_ENKUlT_T0_E_clISt17integral_constantIbLb0EES1C_EEDaS17_S18_EUlS17_E_NS1_11comp_targetILNS1_3genE2ELNS1_11target_archE906ELNS1_3gpuE6ELNS1_3repE0EEENS1_30default_config_static_selectorELNS0_4arch9wavefront6targetE1EEEvT1_
	.p2align	8
	.type	_ZN7rocprim17ROCPRIM_400000_NS6detail17trampoline_kernelINS0_14default_configENS1_25partition_config_selectorILNS1_17partition_subalgoE8ElNS0_10empty_typeEbEEZZNS1_14partition_implILS5_8ELb0ES3_jPlPS6_PKS6_NS0_5tupleIJS9_S6_EEENSD_IJSA_SA_EEENS0_18inequality_wrapperIZN2at6native12_GLOBAL__N_124unique_dim_cuda_templateIaEESt5tupleIJNSH_6TensorESM_SM_EERKSM_lbbbEUlllE0_EEPmJS6_EEE10hipError_tPvRmT3_T4_T5_T6_T7_T9_mT8_P12ihipStream_tbDpT10_ENKUlT_T0_E_clISt17integral_constantIbLb0EES1C_EEDaS17_S18_EUlS17_E_NS1_11comp_targetILNS1_3genE2ELNS1_11target_archE906ELNS1_3gpuE6ELNS1_3repE0EEENS1_30default_config_static_selectorELNS0_4arch9wavefront6targetE1EEEvT1_,@function
_ZN7rocprim17ROCPRIM_400000_NS6detail17trampoline_kernelINS0_14default_configENS1_25partition_config_selectorILNS1_17partition_subalgoE8ElNS0_10empty_typeEbEEZZNS1_14partition_implILS5_8ELb0ES3_jPlPS6_PKS6_NS0_5tupleIJS9_S6_EEENSD_IJSA_SA_EEENS0_18inequality_wrapperIZN2at6native12_GLOBAL__N_124unique_dim_cuda_templateIaEESt5tupleIJNSH_6TensorESM_SM_EERKSM_lbbbEUlllE0_EEPmJS6_EEE10hipError_tPvRmT3_T4_T5_T6_T7_T9_mT8_P12ihipStream_tbDpT10_ENKUlT_T0_E_clISt17integral_constantIbLb0EES1C_EEDaS17_S18_EUlS17_E_NS1_11comp_targetILNS1_3genE2ELNS1_11target_archE906ELNS1_3gpuE6ELNS1_3repE0EEENS1_30default_config_static_selectorELNS0_4arch9wavefront6targetE1EEEvT1_: ; @_ZN7rocprim17ROCPRIM_400000_NS6detail17trampoline_kernelINS0_14default_configENS1_25partition_config_selectorILNS1_17partition_subalgoE8ElNS0_10empty_typeEbEEZZNS1_14partition_implILS5_8ELb0ES3_jPlPS6_PKS6_NS0_5tupleIJS9_S6_EEENSD_IJSA_SA_EEENS0_18inequality_wrapperIZN2at6native12_GLOBAL__N_124unique_dim_cuda_templateIaEESt5tupleIJNSH_6TensorESM_SM_EERKSM_lbbbEUlllE0_EEPmJS6_EEE10hipError_tPvRmT3_T4_T5_T6_T7_T9_mT8_P12ihipStream_tbDpT10_ENKUlT_T0_E_clISt17integral_constantIbLb0EES1C_EEDaS17_S18_EUlS17_E_NS1_11comp_targetILNS1_3genE2ELNS1_11target_archE906ELNS1_3gpuE6ELNS1_3repE0EEENS1_30default_config_static_selectorELNS0_4arch9wavefront6targetE1EEEvT1_
; %bb.0:
	.section	.rodata,"a",@progbits
	.p2align	6, 0x0
	.amdhsa_kernel _ZN7rocprim17ROCPRIM_400000_NS6detail17trampoline_kernelINS0_14default_configENS1_25partition_config_selectorILNS1_17partition_subalgoE8ElNS0_10empty_typeEbEEZZNS1_14partition_implILS5_8ELb0ES3_jPlPS6_PKS6_NS0_5tupleIJS9_S6_EEENSD_IJSA_SA_EEENS0_18inequality_wrapperIZN2at6native12_GLOBAL__N_124unique_dim_cuda_templateIaEESt5tupleIJNSH_6TensorESM_SM_EERKSM_lbbbEUlllE0_EEPmJS6_EEE10hipError_tPvRmT3_T4_T5_T6_T7_T9_mT8_P12ihipStream_tbDpT10_ENKUlT_T0_E_clISt17integral_constantIbLb0EES1C_EEDaS17_S18_EUlS17_E_NS1_11comp_targetILNS1_3genE2ELNS1_11target_archE906ELNS1_3gpuE6ELNS1_3repE0EEENS1_30default_config_static_selectorELNS0_4arch9wavefront6targetE1EEEvT1_
		.amdhsa_group_segment_fixed_size 0
		.amdhsa_private_segment_fixed_size 0
		.amdhsa_kernarg_size 120
		.amdhsa_user_sgpr_count 6
		.amdhsa_user_sgpr_private_segment_buffer 1
		.amdhsa_user_sgpr_dispatch_ptr 0
		.amdhsa_user_sgpr_queue_ptr 0
		.amdhsa_user_sgpr_kernarg_segment_ptr 1
		.amdhsa_user_sgpr_dispatch_id 0
		.amdhsa_user_sgpr_flat_scratch_init 0
		.amdhsa_user_sgpr_kernarg_preload_length 0
		.amdhsa_user_sgpr_kernarg_preload_offset 0
		.amdhsa_user_sgpr_private_segment_size 0
		.amdhsa_uses_dynamic_stack 0
		.amdhsa_system_sgpr_private_segment_wavefront_offset 0
		.amdhsa_system_sgpr_workgroup_id_x 1
		.amdhsa_system_sgpr_workgroup_id_y 0
		.amdhsa_system_sgpr_workgroup_id_z 0
		.amdhsa_system_sgpr_workgroup_info 0
		.amdhsa_system_vgpr_workitem_id 0
		.amdhsa_next_free_vgpr 1
		.amdhsa_next_free_sgpr 0
		.amdhsa_accum_offset 4
		.amdhsa_reserve_vcc 0
		.amdhsa_reserve_flat_scratch 0
		.amdhsa_float_round_mode_32 0
		.amdhsa_float_round_mode_16_64 0
		.amdhsa_float_denorm_mode_32 3
		.amdhsa_float_denorm_mode_16_64 3
		.amdhsa_dx10_clamp 1
		.amdhsa_ieee_mode 1
		.amdhsa_fp16_overflow 0
		.amdhsa_tg_split 0
		.amdhsa_exception_fp_ieee_invalid_op 0
		.amdhsa_exception_fp_denorm_src 0
		.amdhsa_exception_fp_ieee_div_zero 0
		.amdhsa_exception_fp_ieee_overflow 0
		.amdhsa_exception_fp_ieee_underflow 0
		.amdhsa_exception_fp_ieee_inexact 0
		.amdhsa_exception_int_div_zero 0
	.end_amdhsa_kernel
	.section	.text._ZN7rocprim17ROCPRIM_400000_NS6detail17trampoline_kernelINS0_14default_configENS1_25partition_config_selectorILNS1_17partition_subalgoE8ElNS0_10empty_typeEbEEZZNS1_14partition_implILS5_8ELb0ES3_jPlPS6_PKS6_NS0_5tupleIJS9_S6_EEENSD_IJSA_SA_EEENS0_18inequality_wrapperIZN2at6native12_GLOBAL__N_124unique_dim_cuda_templateIaEESt5tupleIJNSH_6TensorESM_SM_EERKSM_lbbbEUlllE0_EEPmJS6_EEE10hipError_tPvRmT3_T4_T5_T6_T7_T9_mT8_P12ihipStream_tbDpT10_ENKUlT_T0_E_clISt17integral_constantIbLb0EES1C_EEDaS17_S18_EUlS17_E_NS1_11comp_targetILNS1_3genE2ELNS1_11target_archE906ELNS1_3gpuE6ELNS1_3repE0EEENS1_30default_config_static_selectorELNS0_4arch9wavefront6targetE1EEEvT1_,"axG",@progbits,_ZN7rocprim17ROCPRIM_400000_NS6detail17trampoline_kernelINS0_14default_configENS1_25partition_config_selectorILNS1_17partition_subalgoE8ElNS0_10empty_typeEbEEZZNS1_14partition_implILS5_8ELb0ES3_jPlPS6_PKS6_NS0_5tupleIJS9_S6_EEENSD_IJSA_SA_EEENS0_18inequality_wrapperIZN2at6native12_GLOBAL__N_124unique_dim_cuda_templateIaEESt5tupleIJNSH_6TensorESM_SM_EERKSM_lbbbEUlllE0_EEPmJS6_EEE10hipError_tPvRmT3_T4_T5_T6_T7_T9_mT8_P12ihipStream_tbDpT10_ENKUlT_T0_E_clISt17integral_constantIbLb0EES1C_EEDaS17_S18_EUlS17_E_NS1_11comp_targetILNS1_3genE2ELNS1_11target_archE906ELNS1_3gpuE6ELNS1_3repE0EEENS1_30default_config_static_selectorELNS0_4arch9wavefront6targetE1EEEvT1_,comdat
.Lfunc_end323:
	.size	_ZN7rocprim17ROCPRIM_400000_NS6detail17trampoline_kernelINS0_14default_configENS1_25partition_config_selectorILNS1_17partition_subalgoE8ElNS0_10empty_typeEbEEZZNS1_14partition_implILS5_8ELb0ES3_jPlPS6_PKS6_NS0_5tupleIJS9_S6_EEENSD_IJSA_SA_EEENS0_18inequality_wrapperIZN2at6native12_GLOBAL__N_124unique_dim_cuda_templateIaEESt5tupleIJNSH_6TensorESM_SM_EERKSM_lbbbEUlllE0_EEPmJS6_EEE10hipError_tPvRmT3_T4_T5_T6_T7_T9_mT8_P12ihipStream_tbDpT10_ENKUlT_T0_E_clISt17integral_constantIbLb0EES1C_EEDaS17_S18_EUlS17_E_NS1_11comp_targetILNS1_3genE2ELNS1_11target_archE906ELNS1_3gpuE6ELNS1_3repE0EEENS1_30default_config_static_selectorELNS0_4arch9wavefront6targetE1EEEvT1_, .Lfunc_end323-_ZN7rocprim17ROCPRIM_400000_NS6detail17trampoline_kernelINS0_14default_configENS1_25partition_config_selectorILNS1_17partition_subalgoE8ElNS0_10empty_typeEbEEZZNS1_14partition_implILS5_8ELb0ES3_jPlPS6_PKS6_NS0_5tupleIJS9_S6_EEENSD_IJSA_SA_EEENS0_18inequality_wrapperIZN2at6native12_GLOBAL__N_124unique_dim_cuda_templateIaEESt5tupleIJNSH_6TensorESM_SM_EERKSM_lbbbEUlllE0_EEPmJS6_EEE10hipError_tPvRmT3_T4_T5_T6_T7_T9_mT8_P12ihipStream_tbDpT10_ENKUlT_T0_E_clISt17integral_constantIbLb0EES1C_EEDaS17_S18_EUlS17_E_NS1_11comp_targetILNS1_3genE2ELNS1_11target_archE906ELNS1_3gpuE6ELNS1_3repE0EEENS1_30default_config_static_selectorELNS0_4arch9wavefront6targetE1EEEvT1_
                                        ; -- End function
	.section	.AMDGPU.csdata,"",@progbits
; Kernel info:
; codeLenInByte = 0
; NumSgprs: 4
; NumVgprs: 0
; NumAgprs: 0
; TotalNumVgprs: 0
; ScratchSize: 0
; MemoryBound: 0
; FloatMode: 240
; IeeeMode: 1
; LDSByteSize: 0 bytes/workgroup (compile time only)
; SGPRBlocks: 0
; VGPRBlocks: 0
; NumSGPRsForWavesPerEU: 4
; NumVGPRsForWavesPerEU: 1
; AccumOffset: 4
; Occupancy: 8
; WaveLimiterHint : 0
; COMPUTE_PGM_RSRC2:SCRATCH_EN: 0
; COMPUTE_PGM_RSRC2:USER_SGPR: 6
; COMPUTE_PGM_RSRC2:TRAP_HANDLER: 0
; COMPUTE_PGM_RSRC2:TGID_X_EN: 1
; COMPUTE_PGM_RSRC2:TGID_Y_EN: 0
; COMPUTE_PGM_RSRC2:TGID_Z_EN: 0
; COMPUTE_PGM_RSRC2:TIDIG_COMP_CNT: 0
; COMPUTE_PGM_RSRC3_GFX90A:ACCUM_OFFSET: 0
; COMPUTE_PGM_RSRC3_GFX90A:TG_SPLIT: 0
	.section	.text._ZN7rocprim17ROCPRIM_400000_NS6detail17trampoline_kernelINS0_14default_configENS1_25partition_config_selectorILNS1_17partition_subalgoE8ElNS0_10empty_typeEbEEZZNS1_14partition_implILS5_8ELb0ES3_jPlPS6_PKS6_NS0_5tupleIJS9_S6_EEENSD_IJSA_SA_EEENS0_18inequality_wrapperIZN2at6native12_GLOBAL__N_124unique_dim_cuda_templateIaEESt5tupleIJNSH_6TensorESM_SM_EERKSM_lbbbEUlllE0_EEPmJS6_EEE10hipError_tPvRmT3_T4_T5_T6_T7_T9_mT8_P12ihipStream_tbDpT10_ENKUlT_T0_E_clISt17integral_constantIbLb0EES1C_EEDaS17_S18_EUlS17_E_NS1_11comp_targetILNS1_3genE10ELNS1_11target_archE1200ELNS1_3gpuE4ELNS1_3repE0EEENS1_30default_config_static_selectorELNS0_4arch9wavefront6targetE1EEEvT1_,"axG",@progbits,_ZN7rocprim17ROCPRIM_400000_NS6detail17trampoline_kernelINS0_14default_configENS1_25partition_config_selectorILNS1_17partition_subalgoE8ElNS0_10empty_typeEbEEZZNS1_14partition_implILS5_8ELb0ES3_jPlPS6_PKS6_NS0_5tupleIJS9_S6_EEENSD_IJSA_SA_EEENS0_18inequality_wrapperIZN2at6native12_GLOBAL__N_124unique_dim_cuda_templateIaEESt5tupleIJNSH_6TensorESM_SM_EERKSM_lbbbEUlllE0_EEPmJS6_EEE10hipError_tPvRmT3_T4_T5_T6_T7_T9_mT8_P12ihipStream_tbDpT10_ENKUlT_T0_E_clISt17integral_constantIbLb0EES1C_EEDaS17_S18_EUlS17_E_NS1_11comp_targetILNS1_3genE10ELNS1_11target_archE1200ELNS1_3gpuE4ELNS1_3repE0EEENS1_30default_config_static_selectorELNS0_4arch9wavefront6targetE1EEEvT1_,comdat
	.globl	_ZN7rocprim17ROCPRIM_400000_NS6detail17trampoline_kernelINS0_14default_configENS1_25partition_config_selectorILNS1_17partition_subalgoE8ElNS0_10empty_typeEbEEZZNS1_14partition_implILS5_8ELb0ES3_jPlPS6_PKS6_NS0_5tupleIJS9_S6_EEENSD_IJSA_SA_EEENS0_18inequality_wrapperIZN2at6native12_GLOBAL__N_124unique_dim_cuda_templateIaEESt5tupleIJNSH_6TensorESM_SM_EERKSM_lbbbEUlllE0_EEPmJS6_EEE10hipError_tPvRmT3_T4_T5_T6_T7_T9_mT8_P12ihipStream_tbDpT10_ENKUlT_T0_E_clISt17integral_constantIbLb0EES1C_EEDaS17_S18_EUlS17_E_NS1_11comp_targetILNS1_3genE10ELNS1_11target_archE1200ELNS1_3gpuE4ELNS1_3repE0EEENS1_30default_config_static_selectorELNS0_4arch9wavefront6targetE1EEEvT1_ ; -- Begin function _ZN7rocprim17ROCPRIM_400000_NS6detail17trampoline_kernelINS0_14default_configENS1_25partition_config_selectorILNS1_17partition_subalgoE8ElNS0_10empty_typeEbEEZZNS1_14partition_implILS5_8ELb0ES3_jPlPS6_PKS6_NS0_5tupleIJS9_S6_EEENSD_IJSA_SA_EEENS0_18inequality_wrapperIZN2at6native12_GLOBAL__N_124unique_dim_cuda_templateIaEESt5tupleIJNSH_6TensorESM_SM_EERKSM_lbbbEUlllE0_EEPmJS6_EEE10hipError_tPvRmT3_T4_T5_T6_T7_T9_mT8_P12ihipStream_tbDpT10_ENKUlT_T0_E_clISt17integral_constantIbLb0EES1C_EEDaS17_S18_EUlS17_E_NS1_11comp_targetILNS1_3genE10ELNS1_11target_archE1200ELNS1_3gpuE4ELNS1_3repE0EEENS1_30default_config_static_selectorELNS0_4arch9wavefront6targetE1EEEvT1_
	.p2align	8
	.type	_ZN7rocprim17ROCPRIM_400000_NS6detail17trampoline_kernelINS0_14default_configENS1_25partition_config_selectorILNS1_17partition_subalgoE8ElNS0_10empty_typeEbEEZZNS1_14partition_implILS5_8ELb0ES3_jPlPS6_PKS6_NS0_5tupleIJS9_S6_EEENSD_IJSA_SA_EEENS0_18inequality_wrapperIZN2at6native12_GLOBAL__N_124unique_dim_cuda_templateIaEESt5tupleIJNSH_6TensorESM_SM_EERKSM_lbbbEUlllE0_EEPmJS6_EEE10hipError_tPvRmT3_T4_T5_T6_T7_T9_mT8_P12ihipStream_tbDpT10_ENKUlT_T0_E_clISt17integral_constantIbLb0EES1C_EEDaS17_S18_EUlS17_E_NS1_11comp_targetILNS1_3genE10ELNS1_11target_archE1200ELNS1_3gpuE4ELNS1_3repE0EEENS1_30default_config_static_selectorELNS0_4arch9wavefront6targetE1EEEvT1_,@function
_ZN7rocprim17ROCPRIM_400000_NS6detail17trampoline_kernelINS0_14default_configENS1_25partition_config_selectorILNS1_17partition_subalgoE8ElNS0_10empty_typeEbEEZZNS1_14partition_implILS5_8ELb0ES3_jPlPS6_PKS6_NS0_5tupleIJS9_S6_EEENSD_IJSA_SA_EEENS0_18inequality_wrapperIZN2at6native12_GLOBAL__N_124unique_dim_cuda_templateIaEESt5tupleIJNSH_6TensorESM_SM_EERKSM_lbbbEUlllE0_EEPmJS6_EEE10hipError_tPvRmT3_T4_T5_T6_T7_T9_mT8_P12ihipStream_tbDpT10_ENKUlT_T0_E_clISt17integral_constantIbLb0EES1C_EEDaS17_S18_EUlS17_E_NS1_11comp_targetILNS1_3genE10ELNS1_11target_archE1200ELNS1_3gpuE4ELNS1_3repE0EEENS1_30default_config_static_selectorELNS0_4arch9wavefront6targetE1EEEvT1_: ; @_ZN7rocprim17ROCPRIM_400000_NS6detail17trampoline_kernelINS0_14default_configENS1_25partition_config_selectorILNS1_17partition_subalgoE8ElNS0_10empty_typeEbEEZZNS1_14partition_implILS5_8ELb0ES3_jPlPS6_PKS6_NS0_5tupleIJS9_S6_EEENSD_IJSA_SA_EEENS0_18inequality_wrapperIZN2at6native12_GLOBAL__N_124unique_dim_cuda_templateIaEESt5tupleIJNSH_6TensorESM_SM_EERKSM_lbbbEUlllE0_EEPmJS6_EEE10hipError_tPvRmT3_T4_T5_T6_T7_T9_mT8_P12ihipStream_tbDpT10_ENKUlT_T0_E_clISt17integral_constantIbLb0EES1C_EEDaS17_S18_EUlS17_E_NS1_11comp_targetILNS1_3genE10ELNS1_11target_archE1200ELNS1_3gpuE4ELNS1_3repE0EEENS1_30default_config_static_selectorELNS0_4arch9wavefront6targetE1EEEvT1_
; %bb.0:
	.section	.rodata,"a",@progbits
	.p2align	6, 0x0
	.amdhsa_kernel _ZN7rocprim17ROCPRIM_400000_NS6detail17trampoline_kernelINS0_14default_configENS1_25partition_config_selectorILNS1_17partition_subalgoE8ElNS0_10empty_typeEbEEZZNS1_14partition_implILS5_8ELb0ES3_jPlPS6_PKS6_NS0_5tupleIJS9_S6_EEENSD_IJSA_SA_EEENS0_18inequality_wrapperIZN2at6native12_GLOBAL__N_124unique_dim_cuda_templateIaEESt5tupleIJNSH_6TensorESM_SM_EERKSM_lbbbEUlllE0_EEPmJS6_EEE10hipError_tPvRmT3_T4_T5_T6_T7_T9_mT8_P12ihipStream_tbDpT10_ENKUlT_T0_E_clISt17integral_constantIbLb0EES1C_EEDaS17_S18_EUlS17_E_NS1_11comp_targetILNS1_3genE10ELNS1_11target_archE1200ELNS1_3gpuE4ELNS1_3repE0EEENS1_30default_config_static_selectorELNS0_4arch9wavefront6targetE1EEEvT1_
		.amdhsa_group_segment_fixed_size 0
		.amdhsa_private_segment_fixed_size 0
		.amdhsa_kernarg_size 120
		.amdhsa_user_sgpr_count 6
		.amdhsa_user_sgpr_private_segment_buffer 1
		.amdhsa_user_sgpr_dispatch_ptr 0
		.amdhsa_user_sgpr_queue_ptr 0
		.amdhsa_user_sgpr_kernarg_segment_ptr 1
		.amdhsa_user_sgpr_dispatch_id 0
		.amdhsa_user_sgpr_flat_scratch_init 0
		.amdhsa_user_sgpr_kernarg_preload_length 0
		.amdhsa_user_sgpr_kernarg_preload_offset 0
		.amdhsa_user_sgpr_private_segment_size 0
		.amdhsa_uses_dynamic_stack 0
		.amdhsa_system_sgpr_private_segment_wavefront_offset 0
		.amdhsa_system_sgpr_workgroup_id_x 1
		.amdhsa_system_sgpr_workgroup_id_y 0
		.amdhsa_system_sgpr_workgroup_id_z 0
		.amdhsa_system_sgpr_workgroup_info 0
		.amdhsa_system_vgpr_workitem_id 0
		.amdhsa_next_free_vgpr 1
		.amdhsa_next_free_sgpr 0
		.amdhsa_accum_offset 4
		.amdhsa_reserve_vcc 0
		.amdhsa_reserve_flat_scratch 0
		.amdhsa_float_round_mode_32 0
		.amdhsa_float_round_mode_16_64 0
		.amdhsa_float_denorm_mode_32 3
		.amdhsa_float_denorm_mode_16_64 3
		.amdhsa_dx10_clamp 1
		.amdhsa_ieee_mode 1
		.amdhsa_fp16_overflow 0
		.amdhsa_tg_split 0
		.amdhsa_exception_fp_ieee_invalid_op 0
		.amdhsa_exception_fp_denorm_src 0
		.amdhsa_exception_fp_ieee_div_zero 0
		.amdhsa_exception_fp_ieee_overflow 0
		.amdhsa_exception_fp_ieee_underflow 0
		.amdhsa_exception_fp_ieee_inexact 0
		.amdhsa_exception_int_div_zero 0
	.end_amdhsa_kernel
	.section	.text._ZN7rocprim17ROCPRIM_400000_NS6detail17trampoline_kernelINS0_14default_configENS1_25partition_config_selectorILNS1_17partition_subalgoE8ElNS0_10empty_typeEbEEZZNS1_14partition_implILS5_8ELb0ES3_jPlPS6_PKS6_NS0_5tupleIJS9_S6_EEENSD_IJSA_SA_EEENS0_18inequality_wrapperIZN2at6native12_GLOBAL__N_124unique_dim_cuda_templateIaEESt5tupleIJNSH_6TensorESM_SM_EERKSM_lbbbEUlllE0_EEPmJS6_EEE10hipError_tPvRmT3_T4_T5_T6_T7_T9_mT8_P12ihipStream_tbDpT10_ENKUlT_T0_E_clISt17integral_constantIbLb0EES1C_EEDaS17_S18_EUlS17_E_NS1_11comp_targetILNS1_3genE10ELNS1_11target_archE1200ELNS1_3gpuE4ELNS1_3repE0EEENS1_30default_config_static_selectorELNS0_4arch9wavefront6targetE1EEEvT1_,"axG",@progbits,_ZN7rocprim17ROCPRIM_400000_NS6detail17trampoline_kernelINS0_14default_configENS1_25partition_config_selectorILNS1_17partition_subalgoE8ElNS0_10empty_typeEbEEZZNS1_14partition_implILS5_8ELb0ES3_jPlPS6_PKS6_NS0_5tupleIJS9_S6_EEENSD_IJSA_SA_EEENS0_18inequality_wrapperIZN2at6native12_GLOBAL__N_124unique_dim_cuda_templateIaEESt5tupleIJNSH_6TensorESM_SM_EERKSM_lbbbEUlllE0_EEPmJS6_EEE10hipError_tPvRmT3_T4_T5_T6_T7_T9_mT8_P12ihipStream_tbDpT10_ENKUlT_T0_E_clISt17integral_constantIbLb0EES1C_EEDaS17_S18_EUlS17_E_NS1_11comp_targetILNS1_3genE10ELNS1_11target_archE1200ELNS1_3gpuE4ELNS1_3repE0EEENS1_30default_config_static_selectorELNS0_4arch9wavefront6targetE1EEEvT1_,comdat
.Lfunc_end324:
	.size	_ZN7rocprim17ROCPRIM_400000_NS6detail17trampoline_kernelINS0_14default_configENS1_25partition_config_selectorILNS1_17partition_subalgoE8ElNS0_10empty_typeEbEEZZNS1_14partition_implILS5_8ELb0ES3_jPlPS6_PKS6_NS0_5tupleIJS9_S6_EEENSD_IJSA_SA_EEENS0_18inequality_wrapperIZN2at6native12_GLOBAL__N_124unique_dim_cuda_templateIaEESt5tupleIJNSH_6TensorESM_SM_EERKSM_lbbbEUlllE0_EEPmJS6_EEE10hipError_tPvRmT3_T4_T5_T6_T7_T9_mT8_P12ihipStream_tbDpT10_ENKUlT_T0_E_clISt17integral_constantIbLb0EES1C_EEDaS17_S18_EUlS17_E_NS1_11comp_targetILNS1_3genE10ELNS1_11target_archE1200ELNS1_3gpuE4ELNS1_3repE0EEENS1_30default_config_static_selectorELNS0_4arch9wavefront6targetE1EEEvT1_, .Lfunc_end324-_ZN7rocprim17ROCPRIM_400000_NS6detail17trampoline_kernelINS0_14default_configENS1_25partition_config_selectorILNS1_17partition_subalgoE8ElNS0_10empty_typeEbEEZZNS1_14partition_implILS5_8ELb0ES3_jPlPS6_PKS6_NS0_5tupleIJS9_S6_EEENSD_IJSA_SA_EEENS0_18inequality_wrapperIZN2at6native12_GLOBAL__N_124unique_dim_cuda_templateIaEESt5tupleIJNSH_6TensorESM_SM_EERKSM_lbbbEUlllE0_EEPmJS6_EEE10hipError_tPvRmT3_T4_T5_T6_T7_T9_mT8_P12ihipStream_tbDpT10_ENKUlT_T0_E_clISt17integral_constantIbLb0EES1C_EEDaS17_S18_EUlS17_E_NS1_11comp_targetILNS1_3genE10ELNS1_11target_archE1200ELNS1_3gpuE4ELNS1_3repE0EEENS1_30default_config_static_selectorELNS0_4arch9wavefront6targetE1EEEvT1_
                                        ; -- End function
	.section	.AMDGPU.csdata,"",@progbits
; Kernel info:
; codeLenInByte = 0
; NumSgprs: 4
; NumVgprs: 0
; NumAgprs: 0
; TotalNumVgprs: 0
; ScratchSize: 0
; MemoryBound: 0
; FloatMode: 240
; IeeeMode: 1
; LDSByteSize: 0 bytes/workgroup (compile time only)
; SGPRBlocks: 0
; VGPRBlocks: 0
; NumSGPRsForWavesPerEU: 4
; NumVGPRsForWavesPerEU: 1
; AccumOffset: 4
; Occupancy: 8
; WaveLimiterHint : 0
; COMPUTE_PGM_RSRC2:SCRATCH_EN: 0
; COMPUTE_PGM_RSRC2:USER_SGPR: 6
; COMPUTE_PGM_RSRC2:TRAP_HANDLER: 0
; COMPUTE_PGM_RSRC2:TGID_X_EN: 1
; COMPUTE_PGM_RSRC2:TGID_Y_EN: 0
; COMPUTE_PGM_RSRC2:TGID_Z_EN: 0
; COMPUTE_PGM_RSRC2:TIDIG_COMP_CNT: 0
; COMPUTE_PGM_RSRC3_GFX90A:ACCUM_OFFSET: 0
; COMPUTE_PGM_RSRC3_GFX90A:TG_SPLIT: 0
	.section	.text._ZN7rocprim17ROCPRIM_400000_NS6detail17trampoline_kernelINS0_14default_configENS1_25partition_config_selectorILNS1_17partition_subalgoE8ElNS0_10empty_typeEbEEZZNS1_14partition_implILS5_8ELb0ES3_jPlPS6_PKS6_NS0_5tupleIJS9_S6_EEENSD_IJSA_SA_EEENS0_18inequality_wrapperIZN2at6native12_GLOBAL__N_124unique_dim_cuda_templateIaEESt5tupleIJNSH_6TensorESM_SM_EERKSM_lbbbEUlllE0_EEPmJS6_EEE10hipError_tPvRmT3_T4_T5_T6_T7_T9_mT8_P12ihipStream_tbDpT10_ENKUlT_T0_E_clISt17integral_constantIbLb0EES1C_EEDaS17_S18_EUlS17_E_NS1_11comp_targetILNS1_3genE9ELNS1_11target_archE1100ELNS1_3gpuE3ELNS1_3repE0EEENS1_30default_config_static_selectorELNS0_4arch9wavefront6targetE1EEEvT1_,"axG",@progbits,_ZN7rocprim17ROCPRIM_400000_NS6detail17trampoline_kernelINS0_14default_configENS1_25partition_config_selectorILNS1_17partition_subalgoE8ElNS0_10empty_typeEbEEZZNS1_14partition_implILS5_8ELb0ES3_jPlPS6_PKS6_NS0_5tupleIJS9_S6_EEENSD_IJSA_SA_EEENS0_18inequality_wrapperIZN2at6native12_GLOBAL__N_124unique_dim_cuda_templateIaEESt5tupleIJNSH_6TensorESM_SM_EERKSM_lbbbEUlllE0_EEPmJS6_EEE10hipError_tPvRmT3_T4_T5_T6_T7_T9_mT8_P12ihipStream_tbDpT10_ENKUlT_T0_E_clISt17integral_constantIbLb0EES1C_EEDaS17_S18_EUlS17_E_NS1_11comp_targetILNS1_3genE9ELNS1_11target_archE1100ELNS1_3gpuE3ELNS1_3repE0EEENS1_30default_config_static_selectorELNS0_4arch9wavefront6targetE1EEEvT1_,comdat
	.globl	_ZN7rocprim17ROCPRIM_400000_NS6detail17trampoline_kernelINS0_14default_configENS1_25partition_config_selectorILNS1_17partition_subalgoE8ElNS0_10empty_typeEbEEZZNS1_14partition_implILS5_8ELb0ES3_jPlPS6_PKS6_NS0_5tupleIJS9_S6_EEENSD_IJSA_SA_EEENS0_18inequality_wrapperIZN2at6native12_GLOBAL__N_124unique_dim_cuda_templateIaEESt5tupleIJNSH_6TensorESM_SM_EERKSM_lbbbEUlllE0_EEPmJS6_EEE10hipError_tPvRmT3_T4_T5_T6_T7_T9_mT8_P12ihipStream_tbDpT10_ENKUlT_T0_E_clISt17integral_constantIbLb0EES1C_EEDaS17_S18_EUlS17_E_NS1_11comp_targetILNS1_3genE9ELNS1_11target_archE1100ELNS1_3gpuE3ELNS1_3repE0EEENS1_30default_config_static_selectorELNS0_4arch9wavefront6targetE1EEEvT1_ ; -- Begin function _ZN7rocprim17ROCPRIM_400000_NS6detail17trampoline_kernelINS0_14default_configENS1_25partition_config_selectorILNS1_17partition_subalgoE8ElNS0_10empty_typeEbEEZZNS1_14partition_implILS5_8ELb0ES3_jPlPS6_PKS6_NS0_5tupleIJS9_S6_EEENSD_IJSA_SA_EEENS0_18inequality_wrapperIZN2at6native12_GLOBAL__N_124unique_dim_cuda_templateIaEESt5tupleIJNSH_6TensorESM_SM_EERKSM_lbbbEUlllE0_EEPmJS6_EEE10hipError_tPvRmT3_T4_T5_T6_T7_T9_mT8_P12ihipStream_tbDpT10_ENKUlT_T0_E_clISt17integral_constantIbLb0EES1C_EEDaS17_S18_EUlS17_E_NS1_11comp_targetILNS1_3genE9ELNS1_11target_archE1100ELNS1_3gpuE3ELNS1_3repE0EEENS1_30default_config_static_selectorELNS0_4arch9wavefront6targetE1EEEvT1_
	.p2align	8
	.type	_ZN7rocprim17ROCPRIM_400000_NS6detail17trampoline_kernelINS0_14default_configENS1_25partition_config_selectorILNS1_17partition_subalgoE8ElNS0_10empty_typeEbEEZZNS1_14partition_implILS5_8ELb0ES3_jPlPS6_PKS6_NS0_5tupleIJS9_S6_EEENSD_IJSA_SA_EEENS0_18inequality_wrapperIZN2at6native12_GLOBAL__N_124unique_dim_cuda_templateIaEESt5tupleIJNSH_6TensorESM_SM_EERKSM_lbbbEUlllE0_EEPmJS6_EEE10hipError_tPvRmT3_T4_T5_T6_T7_T9_mT8_P12ihipStream_tbDpT10_ENKUlT_T0_E_clISt17integral_constantIbLb0EES1C_EEDaS17_S18_EUlS17_E_NS1_11comp_targetILNS1_3genE9ELNS1_11target_archE1100ELNS1_3gpuE3ELNS1_3repE0EEENS1_30default_config_static_selectorELNS0_4arch9wavefront6targetE1EEEvT1_,@function
_ZN7rocprim17ROCPRIM_400000_NS6detail17trampoline_kernelINS0_14default_configENS1_25partition_config_selectorILNS1_17partition_subalgoE8ElNS0_10empty_typeEbEEZZNS1_14partition_implILS5_8ELb0ES3_jPlPS6_PKS6_NS0_5tupleIJS9_S6_EEENSD_IJSA_SA_EEENS0_18inequality_wrapperIZN2at6native12_GLOBAL__N_124unique_dim_cuda_templateIaEESt5tupleIJNSH_6TensorESM_SM_EERKSM_lbbbEUlllE0_EEPmJS6_EEE10hipError_tPvRmT3_T4_T5_T6_T7_T9_mT8_P12ihipStream_tbDpT10_ENKUlT_T0_E_clISt17integral_constantIbLb0EES1C_EEDaS17_S18_EUlS17_E_NS1_11comp_targetILNS1_3genE9ELNS1_11target_archE1100ELNS1_3gpuE3ELNS1_3repE0EEENS1_30default_config_static_selectorELNS0_4arch9wavefront6targetE1EEEvT1_: ; @_ZN7rocprim17ROCPRIM_400000_NS6detail17trampoline_kernelINS0_14default_configENS1_25partition_config_selectorILNS1_17partition_subalgoE8ElNS0_10empty_typeEbEEZZNS1_14partition_implILS5_8ELb0ES3_jPlPS6_PKS6_NS0_5tupleIJS9_S6_EEENSD_IJSA_SA_EEENS0_18inequality_wrapperIZN2at6native12_GLOBAL__N_124unique_dim_cuda_templateIaEESt5tupleIJNSH_6TensorESM_SM_EERKSM_lbbbEUlllE0_EEPmJS6_EEE10hipError_tPvRmT3_T4_T5_T6_T7_T9_mT8_P12ihipStream_tbDpT10_ENKUlT_T0_E_clISt17integral_constantIbLb0EES1C_EEDaS17_S18_EUlS17_E_NS1_11comp_targetILNS1_3genE9ELNS1_11target_archE1100ELNS1_3gpuE3ELNS1_3repE0EEENS1_30default_config_static_selectorELNS0_4arch9wavefront6targetE1EEEvT1_
; %bb.0:
	.section	.rodata,"a",@progbits
	.p2align	6, 0x0
	.amdhsa_kernel _ZN7rocprim17ROCPRIM_400000_NS6detail17trampoline_kernelINS0_14default_configENS1_25partition_config_selectorILNS1_17partition_subalgoE8ElNS0_10empty_typeEbEEZZNS1_14partition_implILS5_8ELb0ES3_jPlPS6_PKS6_NS0_5tupleIJS9_S6_EEENSD_IJSA_SA_EEENS0_18inequality_wrapperIZN2at6native12_GLOBAL__N_124unique_dim_cuda_templateIaEESt5tupleIJNSH_6TensorESM_SM_EERKSM_lbbbEUlllE0_EEPmJS6_EEE10hipError_tPvRmT3_T4_T5_T6_T7_T9_mT8_P12ihipStream_tbDpT10_ENKUlT_T0_E_clISt17integral_constantIbLb0EES1C_EEDaS17_S18_EUlS17_E_NS1_11comp_targetILNS1_3genE9ELNS1_11target_archE1100ELNS1_3gpuE3ELNS1_3repE0EEENS1_30default_config_static_selectorELNS0_4arch9wavefront6targetE1EEEvT1_
		.amdhsa_group_segment_fixed_size 0
		.amdhsa_private_segment_fixed_size 0
		.amdhsa_kernarg_size 120
		.amdhsa_user_sgpr_count 6
		.amdhsa_user_sgpr_private_segment_buffer 1
		.amdhsa_user_sgpr_dispatch_ptr 0
		.amdhsa_user_sgpr_queue_ptr 0
		.amdhsa_user_sgpr_kernarg_segment_ptr 1
		.amdhsa_user_sgpr_dispatch_id 0
		.amdhsa_user_sgpr_flat_scratch_init 0
		.amdhsa_user_sgpr_kernarg_preload_length 0
		.amdhsa_user_sgpr_kernarg_preload_offset 0
		.amdhsa_user_sgpr_private_segment_size 0
		.amdhsa_uses_dynamic_stack 0
		.amdhsa_system_sgpr_private_segment_wavefront_offset 0
		.amdhsa_system_sgpr_workgroup_id_x 1
		.amdhsa_system_sgpr_workgroup_id_y 0
		.amdhsa_system_sgpr_workgroup_id_z 0
		.amdhsa_system_sgpr_workgroup_info 0
		.amdhsa_system_vgpr_workitem_id 0
		.amdhsa_next_free_vgpr 1
		.amdhsa_next_free_sgpr 0
		.amdhsa_accum_offset 4
		.amdhsa_reserve_vcc 0
		.amdhsa_reserve_flat_scratch 0
		.amdhsa_float_round_mode_32 0
		.amdhsa_float_round_mode_16_64 0
		.amdhsa_float_denorm_mode_32 3
		.amdhsa_float_denorm_mode_16_64 3
		.amdhsa_dx10_clamp 1
		.amdhsa_ieee_mode 1
		.amdhsa_fp16_overflow 0
		.amdhsa_tg_split 0
		.amdhsa_exception_fp_ieee_invalid_op 0
		.amdhsa_exception_fp_denorm_src 0
		.amdhsa_exception_fp_ieee_div_zero 0
		.amdhsa_exception_fp_ieee_overflow 0
		.amdhsa_exception_fp_ieee_underflow 0
		.amdhsa_exception_fp_ieee_inexact 0
		.amdhsa_exception_int_div_zero 0
	.end_amdhsa_kernel
	.section	.text._ZN7rocprim17ROCPRIM_400000_NS6detail17trampoline_kernelINS0_14default_configENS1_25partition_config_selectorILNS1_17partition_subalgoE8ElNS0_10empty_typeEbEEZZNS1_14partition_implILS5_8ELb0ES3_jPlPS6_PKS6_NS0_5tupleIJS9_S6_EEENSD_IJSA_SA_EEENS0_18inequality_wrapperIZN2at6native12_GLOBAL__N_124unique_dim_cuda_templateIaEESt5tupleIJNSH_6TensorESM_SM_EERKSM_lbbbEUlllE0_EEPmJS6_EEE10hipError_tPvRmT3_T4_T5_T6_T7_T9_mT8_P12ihipStream_tbDpT10_ENKUlT_T0_E_clISt17integral_constantIbLb0EES1C_EEDaS17_S18_EUlS17_E_NS1_11comp_targetILNS1_3genE9ELNS1_11target_archE1100ELNS1_3gpuE3ELNS1_3repE0EEENS1_30default_config_static_selectorELNS0_4arch9wavefront6targetE1EEEvT1_,"axG",@progbits,_ZN7rocprim17ROCPRIM_400000_NS6detail17trampoline_kernelINS0_14default_configENS1_25partition_config_selectorILNS1_17partition_subalgoE8ElNS0_10empty_typeEbEEZZNS1_14partition_implILS5_8ELb0ES3_jPlPS6_PKS6_NS0_5tupleIJS9_S6_EEENSD_IJSA_SA_EEENS0_18inequality_wrapperIZN2at6native12_GLOBAL__N_124unique_dim_cuda_templateIaEESt5tupleIJNSH_6TensorESM_SM_EERKSM_lbbbEUlllE0_EEPmJS6_EEE10hipError_tPvRmT3_T4_T5_T6_T7_T9_mT8_P12ihipStream_tbDpT10_ENKUlT_T0_E_clISt17integral_constantIbLb0EES1C_EEDaS17_S18_EUlS17_E_NS1_11comp_targetILNS1_3genE9ELNS1_11target_archE1100ELNS1_3gpuE3ELNS1_3repE0EEENS1_30default_config_static_selectorELNS0_4arch9wavefront6targetE1EEEvT1_,comdat
.Lfunc_end325:
	.size	_ZN7rocprim17ROCPRIM_400000_NS6detail17trampoline_kernelINS0_14default_configENS1_25partition_config_selectorILNS1_17partition_subalgoE8ElNS0_10empty_typeEbEEZZNS1_14partition_implILS5_8ELb0ES3_jPlPS6_PKS6_NS0_5tupleIJS9_S6_EEENSD_IJSA_SA_EEENS0_18inequality_wrapperIZN2at6native12_GLOBAL__N_124unique_dim_cuda_templateIaEESt5tupleIJNSH_6TensorESM_SM_EERKSM_lbbbEUlllE0_EEPmJS6_EEE10hipError_tPvRmT3_T4_T5_T6_T7_T9_mT8_P12ihipStream_tbDpT10_ENKUlT_T0_E_clISt17integral_constantIbLb0EES1C_EEDaS17_S18_EUlS17_E_NS1_11comp_targetILNS1_3genE9ELNS1_11target_archE1100ELNS1_3gpuE3ELNS1_3repE0EEENS1_30default_config_static_selectorELNS0_4arch9wavefront6targetE1EEEvT1_, .Lfunc_end325-_ZN7rocprim17ROCPRIM_400000_NS6detail17trampoline_kernelINS0_14default_configENS1_25partition_config_selectorILNS1_17partition_subalgoE8ElNS0_10empty_typeEbEEZZNS1_14partition_implILS5_8ELb0ES3_jPlPS6_PKS6_NS0_5tupleIJS9_S6_EEENSD_IJSA_SA_EEENS0_18inequality_wrapperIZN2at6native12_GLOBAL__N_124unique_dim_cuda_templateIaEESt5tupleIJNSH_6TensorESM_SM_EERKSM_lbbbEUlllE0_EEPmJS6_EEE10hipError_tPvRmT3_T4_T5_T6_T7_T9_mT8_P12ihipStream_tbDpT10_ENKUlT_T0_E_clISt17integral_constantIbLb0EES1C_EEDaS17_S18_EUlS17_E_NS1_11comp_targetILNS1_3genE9ELNS1_11target_archE1100ELNS1_3gpuE3ELNS1_3repE0EEENS1_30default_config_static_selectorELNS0_4arch9wavefront6targetE1EEEvT1_
                                        ; -- End function
	.section	.AMDGPU.csdata,"",@progbits
; Kernel info:
; codeLenInByte = 0
; NumSgprs: 4
; NumVgprs: 0
; NumAgprs: 0
; TotalNumVgprs: 0
; ScratchSize: 0
; MemoryBound: 0
; FloatMode: 240
; IeeeMode: 1
; LDSByteSize: 0 bytes/workgroup (compile time only)
; SGPRBlocks: 0
; VGPRBlocks: 0
; NumSGPRsForWavesPerEU: 4
; NumVGPRsForWavesPerEU: 1
; AccumOffset: 4
; Occupancy: 8
; WaveLimiterHint : 0
; COMPUTE_PGM_RSRC2:SCRATCH_EN: 0
; COMPUTE_PGM_RSRC2:USER_SGPR: 6
; COMPUTE_PGM_RSRC2:TRAP_HANDLER: 0
; COMPUTE_PGM_RSRC2:TGID_X_EN: 1
; COMPUTE_PGM_RSRC2:TGID_Y_EN: 0
; COMPUTE_PGM_RSRC2:TGID_Z_EN: 0
; COMPUTE_PGM_RSRC2:TIDIG_COMP_CNT: 0
; COMPUTE_PGM_RSRC3_GFX90A:ACCUM_OFFSET: 0
; COMPUTE_PGM_RSRC3_GFX90A:TG_SPLIT: 0
	.section	.text._ZN7rocprim17ROCPRIM_400000_NS6detail17trampoline_kernelINS0_14default_configENS1_25partition_config_selectorILNS1_17partition_subalgoE8ElNS0_10empty_typeEbEEZZNS1_14partition_implILS5_8ELb0ES3_jPlPS6_PKS6_NS0_5tupleIJS9_S6_EEENSD_IJSA_SA_EEENS0_18inequality_wrapperIZN2at6native12_GLOBAL__N_124unique_dim_cuda_templateIaEESt5tupleIJNSH_6TensorESM_SM_EERKSM_lbbbEUlllE0_EEPmJS6_EEE10hipError_tPvRmT3_T4_T5_T6_T7_T9_mT8_P12ihipStream_tbDpT10_ENKUlT_T0_E_clISt17integral_constantIbLb0EES1C_EEDaS17_S18_EUlS17_E_NS1_11comp_targetILNS1_3genE8ELNS1_11target_archE1030ELNS1_3gpuE2ELNS1_3repE0EEENS1_30default_config_static_selectorELNS0_4arch9wavefront6targetE1EEEvT1_,"axG",@progbits,_ZN7rocprim17ROCPRIM_400000_NS6detail17trampoline_kernelINS0_14default_configENS1_25partition_config_selectorILNS1_17partition_subalgoE8ElNS0_10empty_typeEbEEZZNS1_14partition_implILS5_8ELb0ES3_jPlPS6_PKS6_NS0_5tupleIJS9_S6_EEENSD_IJSA_SA_EEENS0_18inequality_wrapperIZN2at6native12_GLOBAL__N_124unique_dim_cuda_templateIaEESt5tupleIJNSH_6TensorESM_SM_EERKSM_lbbbEUlllE0_EEPmJS6_EEE10hipError_tPvRmT3_T4_T5_T6_T7_T9_mT8_P12ihipStream_tbDpT10_ENKUlT_T0_E_clISt17integral_constantIbLb0EES1C_EEDaS17_S18_EUlS17_E_NS1_11comp_targetILNS1_3genE8ELNS1_11target_archE1030ELNS1_3gpuE2ELNS1_3repE0EEENS1_30default_config_static_selectorELNS0_4arch9wavefront6targetE1EEEvT1_,comdat
	.globl	_ZN7rocprim17ROCPRIM_400000_NS6detail17trampoline_kernelINS0_14default_configENS1_25partition_config_selectorILNS1_17partition_subalgoE8ElNS0_10empty_typeEbEEZZNS1_14partition_implILS5_8ELb0ES3_jPlPS6_PKS6_NS0_5tupleIJS9_S6_EEENSD_IJSA_SA_EEENS0_18inequality_wrapperIZN2at6native12_GLOBAL__N_124unique_dim_cuda_templateIaEESt5tupleIJNSH_6TensorESM_SM_EERKSM_lbbbEUlllE0_EEPmJS6_EEE10hipError_tPvRmT3_T4_T5_T6_T7_T9_mT8_P12ihipStream_tbDpT10_ENKUlT_T0_E_clISt17integral_constantIbLb0EES1C_EEDaS17_S18_EUlS17_E_NS1_11comp_targetILNS1_3genE8ELNS1_11target_archE1030ELNS1_3gpuE2ELNS1_3repE0EEENS1_30default_config_static_selectorELNS0_4arch9wavefront6targetE1EEEvT1_ ; -- Begin function _ZN7rocprim17ROCPRIM_400000_NS6detail17trampoline_kernelINS0_14default_configENS1_25partition_config_selectorILNS1_17partition_subalgoE8ElNS0_10empty_typeEbEEZZNS1_14partition_implILS5_8ELb0ES3_jPlPS6_PKS6_NS0_5tupleIJS9_S6_EEENSD_IJSA_SA_EEENS0_18inequality_wrapperIZN2at6native12_GLOBAL__N_124unique_dim_cuda_templateIaEESt5tupleIJNSH_6TensorESM_SM_EERKSM_lbbbEUlllE0_EEPmJS6_EEE10hipError_tPvRmT3_T4_T5_T6_T7_T9_mT8_P12ihipStream_tbDpT10_ENKUlT_T0_E_clISt17integral_constantIbLb0EES1C_EEDaS17_S18_EUlS17_E_NS1_11comp_targetILNS1_3genE8ELNS1_11target_archE1030ELNS1_3gpuE2ELNS1_3repE0EEENS1_30default_config_static_selectorELNS0_4arch9wavefront6targetE1EEEvT1_
	.p2align	8
	.type	_ZN7rocprim17ROCPRIM_400000_NS6detail17trampoline_kernelINS0_14default_configENS1_25partition_config_selectorILNS1_17partition_subalgoE8ElNS0_10empty_typeEbEEZZNS1_14partition_implILS5_8ELb0ES3_jPlPS6_PKS6_NS0_5tupleIJS9_S6_EEENSD_IJSA_SA_EEENS0_18inequality_wrapperIZN2at6native12_GLOBAL__N_124unique_dim_cuda_templateIaEESt5tupleIJNSH_6TensorESM_SM_EERKSM_lbbbEUlllE0_EEPmJS6_EEE10hipError_tPvRmT3_T4_T5_T6_T7_T9_mT8_P12ihipStream_tbDpT10_ENKUlT_T0_E_clISt17integral_constantIbLb0EES1C_EEDaS17_S18_EUlS17_E_NS1_11comp_targetILNS1_3genE8ELNS1_11target_archE1030ELNS1_3gpuE2ELNS1_3repE0EEENS1_30default_config_static_selectorELNS0_4arch9wavefront6targetE1EEEvT1_,@function
_ZN7rocprim17ROCPRIM_400000_NS6detail17trampoline_kernelINS0_14default_configENS1_25partition_config_selectorILNS1_17partition_subalgoE8ElNS0_10empty_typeEbEEZZNS1_14partition_implILS5_8ELb0ES3_jPlPS6_PKS6_NS0_5tupleIJS9_S6_EEENSD_IJSA_SA_EEENS0_18inequality_wrapperIZN2at6native12_GLOBAL__N_124unique_dim_cuda_templateIaEESt5tupleIJNSH_6TensorESM_SM_EERKSM_lbbbEUlllE0_EEPmJS6_EEE10hipError_tPvRmT3_T4_T5_T6_T7_T9_mT8_P12ihipStream_tbDpT10_ENKUlT_T0_E_clISt17integral_constantIbLb0EES1C_EEDaS17_S18_EUlS17_E_NS1_11comp_targetILNS1_3genE8ELNS1_11target_archE1030ELNS1_3gpuE2ELNS1_3repE0EEENS1_30default_config_static_selectorELNS0_4arch9wavefront6targetE1EEEvT1_: ; @_ZN7rocprim17ROCPRIM_400000_NS6detail17trampoline_kernelINS0_14default_configENS1_25partition_config_selectorILNS1_17partition_subalgoE8ElNS0_10empty_typeEbEEZZNS1_14partition_implILS5_8ELb0ES3_jPlPS6_PKS6_NS0_5tupleIJS9_S6_EEENSD_IJSA_SA_EEENS0_18inequality_wrapperIZN2at6native12_GLOBAL__N_124unique_dim_cuda_templateIaEESt5tupleIJNSH_6TensorESM_SM_EERKSM_lbbbEUlllE0_EEPmJS6_EEE10hipError_tPvRmT3_T4_T5_T6_T7_T9_mT8_P12ihipStream_tbDpT10_ENKUlT_T0_E_clISt17integral_constantIbLb0EES1C_EEDaS17_S18_EUlS17_E_NS1_11comp_targetILNS1_3genE8ELNS1_11target_archE1030ELNS1_3gpuE2ELNS1_3repE0EEENS1_30default_config_static_selectorELNS0_4arch9wavefront6targetE1EEEvT1_
; %bb.0:
	.section	.rodata,"a",@progbits
	.p2align	6, 0x0
	.amdhsa_kernel _ZN7rocprim17ROCPRIM_400000_NS6detail17trampoline_kernelINS0_14default_configENS1_25partition_config_selectorILNS1_17partition_subalgoE8ElNS0_10empty_typeEbEEZZNS1_14partition_implILS5_8ELb0ES3_jPlPS6_PKS6_NS0_5tupleIJS9_S6_EEENSD_IJSA_SA_EEENS0_18inequality_wrapperIZN2at6native12_GLOBAL__N_124unique_dim_cuda_templateIaEESt5tupleIJNSH_6TensorESM_SM_EERKSM_lbbbEUlllE0_EEPmJS6_EEE10hipError_tPvRmT3_T4_T5_T6_T7_T9_mT8_P12ihipStream_tbDpT10_ENKUlT_T0_E_clISt17integral_constantIbLb0EES1C_EEDaS17_S18_EUlS17_E_NS1_11comp_targetILNS1_3genE8ELNS1_11target_archE1030ELNS1_3gpuE2ELNS1_3repE0EEENS1_30default_config_static_selectorELNS0_4arch9wavefront6targetE1EEEvT1_
		.amdhsa_group_segment_fixed_size 0
		.amdhsa_private_segment_fixed_size 0
		.amdhsa_kernarg_size 120
		.amdhsa_user_sgpr_count 6
		.amdhsa_user_sgpr_private_segment_buffer 1
		.amdhsa_user_sgpr_dispatch_ptr 0
		.amdhsa_user_sgpr_queue_ptr 0
		.amdhsa_user_sgpr_kernarg_segment_ptr 1
		.amdhsa_user_sgpr_dispatch_id 0
		.amdhsa_user_sgpr_flat_scratch_init 0
		.amdhsa_user_sgpr_kernarg_preload_length 0
		.amdhsa_user_sgpr_kernarg_preload_offset 0
		.amdhsa_user_sgpr_private_segment_size 0
		.amdhsa_uses_dynamic_stack 0
		.amdhsa_system_sgpr_private_segment_wavefront_offset 0
		.amdhsa_system_sgpr_workgroup_id_x 1
		.amdhsa_system_sgpr_workgroup_id_y 0
		.amdhsa_system_sgpr_workgroup_id_z 0
		.amdhsa_system_sgpr_workgroup_info 0
		.amdhsa_system_vgpr_workitem_id 0
		.amdhsa_next_free_vgpr 1
		.amdhsa_next_free_sgpr 0
		.amdhsa_accum_offset 4
		.amdhsa_reserve_vcc 0
		.amdhsa_reserve_flat_scratch 0
		.amdhsa_float_round_mode_32 0
		.amdhsa_float_round_mode_16_64 0
		.amdhsa_float_denorm_mode_32 3
		.amdhsa_float_denorm_mode_16_64 3
		.amdhsa_dx10_clamp 1
		.amdhsa_ieee_mode 1
		.amdhsa_fp16_overflow 0
		.amdhsa_tg_split 0
		.amdhsa_exception_fp_ieee_invalid_op 0
		.amdhsa_exception_fp_denorm_src 0
		.amdhsa_exception_fp_ieee_div_zero 0
		.amdhsa_exception_fp_ieee_overflow 0
		.amdhsa_exception_fp_ieee_underflow 0
		.amdhsa_exception_fp_ieee_inexact 0
		.amdhsa_exception_int_div_zero 0
	.end_amdhsa_kernel
	.section	.text._ZN7rocprim17ROCPRIM_400000_NS6detail17trampoline_kernelINS0_14default_configENS1_25partition_config_selectorILNS1_17partition_subalgoE8ElNS0_10empty_typeEbEEZZNS1_14partition_implILS5_8ELb0ES3_jPlPS6_PKS6_NS0_5tupleIJS9_S6_EEENSD_IJSA_SA_EEENS0_18inequality_wrapperIZN2at6native12_GLOBAL__N_124unique_dim_cuda_templateIaEESt5tupleIJNSH_6TensorESM_SM_EERKSM_lbbbEUlllE0_EEPmJS6_EEE10hipError_tPvRmT3_T4_T5_T6_T7_T9_mT8_P12ihipStream_tbDpT10_ENKUlT_T0_E_clISt17integral_constantIbLb0EES1C_EEDaS17_S18_EUlS17_E_NS1_11comp_targetILNS1_3genE8ELNS1_11target_archE1030ELNS1_3gpuE2ELNS1_3repE0EEENS1_30default_config_static_selectorELNS0_4arch9wavefront6targetE1EEEvT1_,"axG",@progbits,_ZN7rocprim17ROCPRIM_400000_NS6detail17trampoline_kernelINS0_14default_configENS1_25partition_config_selectorILNS1_17partition_subalgoE8ElNS0_10empty_typeEbEEZZNS1_14partition_implILS5_8ELb0ES3_jPlPS6_PKS6_NS0_5tupleIJS9_S6_EEENSD_IJSA_SA_EEENS0_18inequality_wrapperIZN2at6native12_GLOBAL__N_124unique_dim_cuda_templateIaEESt5tupleIJNSH_6TensorESM_SM_EERKSM_lbbbEUlllE0_EEPmJS6_EEE10hipError_tPvRmT3_T4_T5_T6_T7_T9_mT8_P12ihipStream_tbDpT10_ENKUlT_T0_E_clISt17integral_constantIbLb0EES1C_EEDaS17_S18_EUlS17_E_NS1_11comp_targetILNS1_3genE8ELNS1_11target_archE1030ELNS1_3gpuE2ELNS1_3repE0EEENS1_30default_config_static_selectorELNS0_4arch9wavefront6targetE1EEEvT1_,comdat
.Lfunc_end326:
	.size	_ZN7rocprim17ROCPRIM_400000_NS6detail17trampoline_kernelINS0_14default_configENS1_25partition_config_selectorILNS1_17partition_subalgoE8ElNS0_10empty_typeEbEEZZNS1_14partition_implILS5_8ELb0ES3_jPlPS6_PKS6_NS0_5tupleIJS9_S6_EEENSD_IJSA_SA_EEENS0_18inequality_wrapperIZN2at6native12_GLOBAL__N_124unique_dim_cuda_templateIaEESt5tupleIJNSH_6TensorESM_SM_EERKSM_lbbbEUlllE0_EEPmJS6_EEE10hipError_tPvRmT3_T4_T5_T6_T7_T9_mT8_P12ihipStream_tbDpT10_ENKUlT_T0_E_clISt17integral_constantIbLb0EES1C_EEDaS17_S18_EUlS17_E_NS1_11comp_targetILNS1_3genE8ELNS1_11target_archE1030ELNS1_3gpuE2ELNS1_3repE0EEENS1_30default_config_static_selectorELNS0_4arch9wavefront6targetE1EEEvT1_, .Lfunc_end326-_ZN7rocprim17ROCPRIM_400000_NS6detail17trampoline_kernelINS0_14default_configENS1_25partition_config_selectorILNS1_17partition_subalgoE8ElNS0_10empty_typeEbEEZZNS1_14partition_implILS5_8ELb0ES3_jPlPS6_PKS6_NS0_5tupleIJS9_S6_EEENSD_IJSA_SA_EEENS0_18inequality_wrapperIZN2at6native12_GLOBAL__N_124unique_dim_cuda_templateIaEESt5tupleIJNSH_6TensorESM_SM_EERKSM_lbbbEUlllE0_EEPmJS6_EEE10hipError_tPvRmT3_T4_T5_T6_T7_T9_mT8_P12ihipStream_tbDpT10_ENKUlT_T0_E_clISt17integral_constantIbLb0EES1C_EEDaS17_S18_EUlS17_E_NS1_11comp_targetILNS1_3genE8ELNS1_11target_archE1030ELNS1_3gpuE2ELNS1_3repE0EEENS1_30default_config_static_selectorELNS0_4arch9wavefront6targetE1EEEvT1_
                                        ; -- End function
	.section	.AMDGPU.csdata,"",@progbits
; Kernel info:
; codeLenInByte = 0
; NumSgprs: 4
; NumVgprs: 0
; NumAgprs: 0
; TotalNumVgprs: 0
; ScratchSize: 0
; MemoryBound: 0
; FloatMode: 240
; IeeeMode: 1
; LDSByteSize: 0 bytes/workgroup (compile time only)
; SGPRBlocks: 0
; VGPRBlocks: 0
; NumSGPRsForWavesPerEU: 4
; NumVGPRsForWavesPerEU: 1
; AccumOffset: 4
; Occupancy: 8
; WaveLimiterHint : 0
; COMPUTE_PGM_RSRC2:SCRATCH_EN: 0
; COMPUTE_PGM_RSRC2:USER_SGPR: 6
; COMPUTE_PGM_RSRC2:TRAP_HANDLER: 0
; COMPUTE_PGM_RSRC2:TGID_X_EN: 1
; COMPUTE_PGM_RSRC2:TGID_Y_EN: 0
; COMPUTE_PGM_RSRC2:TGID_Z_EN: 0
; COMPUTE_PGM_RSRC2:TIDIG_COMP_CNT: 0
; COMPUTE_PGM_RSRC3_GFX90A:ACCUM_OFFSET: 0
; COMPUTE_PGM_RSRC3_GFX90A:TG_SPLIT: 0
	.section	.text._ZN7rocprim17ROCPRIM_400000_NS6detail17trampoline_kernelINS0_14default_configENS1_25partition_config_selectorILNS1_17partition_subalgoE8ElNS0_10empty_typeEbEEZZNS1_14partition_implILS5_8ELb0ES3_jPlPS6_PKS6_NS0_5tupleIJS9_S6_EEENSD_IJSA_SA_EEENS0_18inequality_wrapperIZN2at6native12_GLOBAL__N_124unique_dim_cuda_templateIaEESt5tupleIJNSH_6TensorESM_SM_EERKSM_lbbbEUlllE0_EEPmJS6_EEE10hipError_tPvRmT3_T4_T5_T6_T7_T9_mT8_P12ihipStream_tbDpT10_ENKUlT_T0_E_clISt17integral_constantIbLb1EES1C_EEDaS17_S18_EUlS17_E_NS1_11comp_targetILNS1_3genE0ELNS1_11target_archE4294967295ELNS1_3gpuE0ELNS1_3repE0EEENS1_30default_config_static_selectorELNS0_4arch9wavefront6targetE1EEEvT1_,"axG",@progbits,_ZN7rocprim17ROCPRIM_400000_NS6detail17trampoline_kernelINS0_14default_configENS1_25partition_config_selectorILNS1_17partition_subalgoE8ElNS0_10empty_typeEbEEZZNS1_14partition_implILS5_8ELb0ES3_jPlPS6_PKS6_NS0_5tupleIJS9_S6_EEENSD_IJSA_SA_EEENS0_18inequality_wrapperIZN2at6native12_GLOBAL__N_124unique_dim_cuda_templateIaEESt5tupleIJNSH_6TensorESM_SM_EERKSM_lbbbEUlllE0_EEPmJS6_EEE10hipError_tPvRmT3_T4_T5_T6_T7_T9_mT8_P12ihipStream_tbDpT10_ENKUlT_T0_E_clISt17integral_constantIbLb1EES1C_EEDaS17_S18_EUlS17_E_NS1_11comp_targetILNS1_3genE0ELNS1_11target_archE4294967295ELNS1_3gpuE0ELNS1_3repE0EEENS1_30default_config_static_selectorELNS0_4arch9wavefront6targetE1EEEvT1_,comdat
	.globl	_ZN7rocprim17ROCPRIM_400000_NS6detail17trampoline_kernelINS0_14default_configENS1_25partition_config_selectorILNS1_17partition_subalgoE8ElNS0_10empty_typeEbEEZZNS1_14partition_implILS5_8ELb0ES3_jPlPS6_PKS6_NS0_5tupleIJS9_S6_EEENSD_IJSA_SA_EEENS0_18inequality_wrapperIZN2at6native12_GLOBAL__N_124unique_dim_cuda_templateIaEESt5tupleIJNSH_6TensorESM_SM_EERKSM_lbbbEUlllE0_EEPmJS6_EEE10hipError_tPvRmT3_T4_T5_T6_T7_T9_mT8_P12ihipStream_tbDpT10_ENKUlT_T0_E_clISt17integral_constantIbLb1EES1C_EEDaS17_S18_EUlS17_E_NS1_11comp_targetILNS1_3genE0ELNS1_11target_archE4294967295ELNS1_3gpuE0ELNS1_3repE0EEENS1_30default_config_static_selectorELNS0_4arch9wavefront6targetE1EEEvT1_ ; -- Begin function _ZN7rocprim17ROCPRIM_400000_NS6detail17trampoline_kernelINS0_14default_configENS1_25partition_config_selectorILNS1_17partition_subalgoE8ElNS0_10empty_typeEbEEZZNS1_14partition_implILS5_8ELb0ES3_jPlPS6_PKS6_NS0_5tupleIJS9_S6_EEENSD_IJSA_SA_EEENS0_18inequality_wrapperIZN2at6native12_GLOBAL__N_124unique_dim_cuda_templateIaEESt5tupleIJNSH_6TensorESM_SM_EERKSM_lbbbEUlllE0_EEPmJS6_EEE10hipError_tPvRmT3_T4_T5_T6_T7_T9_mT8_P12ihipStream_tbDpT10_ENKUlT_T0_E_clISt17integral_constantIbLb1EES1C_EEDaS17_S18_EUlS17_E_NS1_11comp_targetILNS1_3genE0ELNS1_11target_archE4294967295ELNS1_3gpuE0ELNS1_3repE0EEENS1_30default_config_static_selectorELNS0_4arch9wavefront6targetE1EEEvT1_
	.p2align	8
	.type	_ZN7rocprim17ROCPRIM_400000_NS6detail17trampoline_kernelINS0_14default_configENS1_25partition_config_selectorILNS1_17partition_subalgoE8ElNS0_10empty_typeEbEEZZNS1_14partition_implILS5_8ELb0ES3_jPlPS6_PKS6_NS0_5tupleIJS9_S6_EEENSD_IJSA_SA_EEENS0_18inequality_wrapperIZN2at6native12_GLOBAL__N_124unique_dim_cuda_templateIaEESt5tupleIJNSH_6TensorESM_SM_EERKSM_lbbbEUlllE0_EEPmJS6_EEE10hipError_tPvRmT3_T4_T5_T6_T7_T9_mT8_P12ihipStream_tbDpT10_ENKUlT_T0_E_clISt17integral_constantIbLb1EES1C_EEDaS17_S18_EUlS17_E_NS1_11comp_targetILNS1_3genE0ELNS1_11target_archE4294967295ELNS1_3gpuE0ELNS1_3repE0EEENS1_30default_config_static_selectorELNS0_4arch9wavefront6targetE1EEEvT1_,@function
_ZN7rocprim17ROCPRIM_400000_NS6detail17trampoline_kernelINS0_14default_configENS1_25partition_config_selectorILNS1_17partition_subalgoE8ElNS0_10empty_typeEbEEZZNS1_14partition_implILS5_8ELb0ES3_jPlPS6_PKS6_NS0_5tupleIJS9_S6_EEENSD_IJSA_SA_EEENS0_18inequality_wrapperIZN2at6native12_GLOBAL__N_124unique_dim_cuda_templateIaEESt5tupleIJNSH_6TensorESM_SM_EERKSM_lbbbEUlllE0_EEPmJS6_EEE10hipError_tPvRmT3_T4_T5_T6_T7_T9_mT8_P12ihipStream_tbDpT10_ENKUlT_T0_E_clISt17integral_constantIbLb1EES1C_EEDaS17_S18_EUlS17_E_NS1_11comp_targetILNS1_3genE0ELNS1_11target_archE4294967295ELNS1_3gpuE0ELNS1_3repE0EEENS1_30default_config_static_selectorELNS0_4arch9wavefront6targetE1EEEvT1_: ; @_ZN7rocprim17ROCPRIM_400000_NS6detail17trampoline_kernelINS0_14default_configENS1_25partition_config_selectorILNS1_17partition_subalgoE8ElNS0_10empty_typeEbEEZZNS1_14partition_implILS5_8ELb0ES3_jPlPS6_PKS6_NS0_5tupleIJS9_S6_EEENSD_IJSA_SA_EEENS0_18inequality_wrapperIZN2at6native12_GLOBAL__N_124unique_dim_cuda_templateIaEESt5tupleIJNSH_6TensorESM_SM_EERKSM_lbbbEUlllE0_EEPmJS6_EEE10hipError_tPvRmT3_T4_T5_T6_T7_T9_mT8_P12ihipStream_tbDpT10_ENKUlT_T0_E_clISt17integral_constantIbLb1EES1C_EEDaS17_S18_EUlS17_E_NS1_11comp_targetILNS1_3genE0ELNS1_11target_archE4294967295ELNS1_3gpuE0ELNS1_3repE0EEENS1_30default_config_static_selectorELNS0_4arch9wavefront6targetE1EEEvT1_
; %bb.0:
	.section	.rodata,"a",@progbits
	.p2align	6, 0x0
	.amdhsa_kernel _ZN7rocprim17ROCPRIM_400000_NS6detail17trampoline_kernelINS0_14default_configENS1_25partition_config_selectorILNS1_17partition_subalgoE8ElNS0_10empty_typeEbEEZZNS1_14partition_implILS5_8ELb0ES3_jPlPS6_PKS6_NS0_5tupleIJS9_S6_EEENSD_IJSA_SA_EEENS0_18inequality_wrapperIZN2at6native12_GLOBAL__N_124unique_dim_cuda_templateIaEESt5tupleIJNSH_6TensorESM_SM_EERKSM_lbbbEUlllE0_EEPmJS6_EEE10hipError_tPvRmT3_T4_T5_T6_T7_T9_mT8_P12ihipStream_tbDpT10_ENKUlT_T0_E_clISt17integral_constantIbLb1EES1C_EEDaS17_S18_EUlS17_E_NS1_11comp_targetILNS1_3genE0ELNS1_11target_archE4294967295ELNS1_3gpuE0ELNS1_3repE0EEENS1_30default_config_static_selectorELNS0_4arch9wavefront6targetE1EEEvT1_
		.amdhsa_group_segment_fixed_size 0
		.amdhsa_private_segment_fixed_size 0
		.amdhsa_kernarg_size 136
		.amdhsa_user_sgpr_count 6
		.amdhsa_user_sgpr_private_segment_buffer 1
		.amdhsa_user_sgpr_dispatch_ptr 0
		.amdhsa_user_sgpr_queue_ptr 0
		.amdhsa_user_sgpr_kernarg_segment_ptr 1
		.amdhsa_user_sgpr_dispatch_id 0
		.amdhsa_user_sgpr_flat_scratch_init 0
		.amdhsa_user_sgpr_kernarg_preload_length 0
		.amdhsa_user_sgpr_kernarg_preload_offset 0
		.amdhsa_user_sgpr_private_segment_size 0
		.amdhsa_uses_dynamic_stack 0
		.amdhsa_system_sgpr_private_segment_wavefront_offset 0
		.amdhsa_system_sgpr_workgroup_id_x 1
		.amdhsa_system_sgpr_workgroup_id_y 0
		.amdhsa_system_sgpr_workgroup_id_z 0
		.amdhsa_system_sgpr_workgroup_info 0
		.amdhsa_system_vgpr_workitem_id 0
		.amdhsa_next_free_vgpr 1
		.amdhsa_next_free_sgpr 0
		.amdhsa_accum_offset 4
		.amdhsa_reserve_vcc 0
		.amdhsa_reserve_flat_scratch 0
		.amdhsa_float_round_mode_32 0
		.amdhsa_float_round_mode_16_64 0
		.amdhsa_float_denorm_mode_32 3
		.amdhsa_float_denorm_mode_16_64 3
		.amdhsa_dx10_clamp 1
		.amdhsa_ieee_mode 1
		.amdhsa_fp16_overflow 0
		.amdhsa_tg_split 0
		.amdhsa_exception_fp_ieee_invalid_op 0
		.amdhsa_exception_fp_denorm_src 0
		.amdhsa_exception_fp_ieee_div_zero 0
		.amdhsa_exception_fp_ieee_overflow 0
		.amdhsa_exception_fp_ieee_underflow 0
		.amdhsa_exception_fp_ieee_inexact 0
		.amdhsa_exception_int_div_zero 0
	.end_amdhsa_kernel
	.section	.text._ZN7rocprim17ROCPRIM_400000_NS6detail17trampoline_kernelINS0_14default_configENS1_25partition_config_selectorILNS1_17partition_subalgoE8ElNS0_10empty_typeEbEEZZNS1_14partition_implILS5_8ELb0ES3_jPlPS6_PKS6_NS0_5tupleIJS9_S6_EEENSD_IJSA_SA_EEENS0_18inequality_wrapperIZN2at6native12_GLOBAL__N_124unique_dim_cuda_templateIaEESt5tupleIJNSH_6TensorESM_SM_EERKSM_lbbbEUlllE0_EEPmJS6_EEE10hipError_tPvRmT3_T4_T5_T6_T7_T9_mT8_P12ihipStream_tbDpT10_ENKUlT_T0_E_clISt17integral_constantIbLb1EES1C_EEDaS17_S18_EUlS17_E_NS1_11comp_targetILNS1_3genE0ELNS1_11target_archE4294967295ELNS1_3gpuE0ELNS1_3repE0EEENS1_30default_config_static_selectorELNS0_4arch9wavefront6targetE1EEEvT1_,"axG",@progbits,_ZN7rocprim17ROCPRIM_400000_NS6detail17trampoline_kernelINS0_14default_configENS1_25partition_config_selectorILNS1_17partition_subalgoE8ElNS0_10empty_typeEbEEZZNS1_14partition_implILS5_8ELb0ES3_jPlPS6_PKS6_NS0_5tupleIJS9_S6_EEENSD_IJSA_SA_EEENS0_18inequality_wrapperIZN2at6native12_GLOBAL__N_124unique_dim_cuda_templateIaEESt5tupleIJNSH_6TensorESM_SM_EERKSM_lbbbEUlllE0_EEPmJS6_EEE10hipError_tPvRmT3_T4_T5_T6_T7_T9_mT8_P12ihipStream_tbDpT10_ENKUlT_T0_E_clISt17integral_constantIbLb1EES1C_EEDaS17_S18_EUlS17_E_NS1_11comp_targetILNS1_3genE0ELNS1_11target_archE4294967295ELNS1_3gpuE0ELNS1_3repE0EEENS1_30default_config_static_selectorELNS0_4arch9wavefront6targetE1EEEvT1_,comdat
.Lfunc_end327:
	.size	_ZN7rocprim17ROCPRIM_400000_NS6detail17trampoline_kernelINS0_14default_configENS1_25partition_config_selectorILNS1_17partition_subalgoE8ElNS0_10empty_typeEbEEZZNS1_14partition_implILS5_8ELb0ES3_jPlPS6_PKS6_NS0_5tupleIJS9_S6_EEENSD_IJSA_SA_EEENS0_18inequality_wrapperIZN2at6native12_GLOBAL__N_124unique_dim_cuda_templateIaEESt5tupleIJNSH_6TensorESM_SM_EERKSM_lbbbEUlllE0_EEPmJS6_EEE10hipError_tPvRmT3_T4_T5_T6_T7_T9_mT8_P12ihipStream_tbDpT10_ENKUlT_T0_E_clISt17integral_constantIbLb1EES1C_EEDaS17_S18_EUlS17_E_NS1_11comp_targetILNS1_3genE0ELNS1_11target_archE4294967295ELNS1_3gpuE0ELNS1_3repE0EEENS1_30default_config_static_selectorELNS0_4arch9wavefront6targetE1EEEvT1_, .Lfunc_end327-_ZN7rocprim17ROCPRIM_400000_NS6detail17trampoline_kernelINS0_14default_configENS1_25partition_config_selectorILNS1_17partition_subalgoE8ElNS0_10empty_typeEbEEZZNS1_14partition_implILS5_8ELb0ES3_jPlPS6_PKS6_NS0_5tupleIJS9_S6_EEENSD_IJSA_SA_EEENS0_18inequality_wrapperIZN2at6native12_GLOBAL__N_124unique_dim_cuda_templateIaEESt5tupleIJNSH_6TensorESM_SM_EERKSM_lbbbEUlllE0_EEPmJS6_EEE10hipError_tPvRmT3_T4_T5_T6_T7_T9_mT8_P12ihipStream_tbDpT10_ENKUlT_T0_E_clISt17integral_constantIbLb1EES1C_EEDaS17_S18_EUlS17_E_NS1_11comp_targetILNS1_3genE0ELNS1_11target_archE4294967295ELNS1_3gpuE0ELNS1_3repE0EEENS1_30default_config_static_selectorELNS0_4arch9wavefront6targetE1EEEvT1_
                                        ; -- End function
	.section	.AMDGPU.csdata,"",@progbits
; Kernel info:
; codeLenInByte = 0
; NumSgprs: 4
; NumVgprs: 0
; NumAgprs: 0
; TotalNumVgprs: 0
; ScratchSize: 0
; MemoryBound: 0
; FloatMode: 240
; IeeeMode: 1
; LDSByteSize: 0 bytes/workgroup (compile time only)
; SGPRBlocks: 0
; VGPRBlocks: 0
; NumSGPRsForWavesPerEU: 4
; NumVGPRsForWavesPerEU: 1
; AccumOffset: 4
; Occupancy: 8
; WaveLimiterHint : 0
; COMPUTE_PGM_RSRC2:SCRATCH_EN: 0
; COMPUTE_PGM_RSRC2:USER_SGPR: 6
; COMPUTE_PGM_RSRC2:TRAP_HANDLER: 0
; COMPUTE_PGM_RSRC2:TGID_X_EN: 1
; COMPUTE_PGM_RSRC2:TGID_Y_EN: 0
; COMPUTE_PGM_RSRC2:TGID_Z_EN: 0
; COMPUTE_PGM_RSRC2:TIDIG_COMP_CNT: 0
; COMPUTE_PGM_RSRC3_GFX90A:ACCUM_OFFSET: 0
; COMPUTE_PGM_RSRC3_GFX90A:TG_SPLIT: 0
	.section	.text._ZN7rocprim17ROCPRIM_400000_NS6detail17trampoline_kernelINS0_14default_configENS1_25partition_config_selectorILNS1_17partition_subalgoE8ElNS0_10empty_typeEbEEZZNS1_14partition_implILS5_8ELb0ES3_jPlPS6_PKS6_NS0_5tupleIJS9_S6_EEENSD_IJSA_SA_EEENS0_18inequality_wrapperIZN2at6native12_GLOBAL__N_124unique_dim_cuda_templateIaEESt5tupleIJNSH_6TensorESM_SM_EERKSM_lbbbEUlllE0_EEPmJS6_EEE10hipError_tPvRmT3_T4_T5_T6_T7_T9_mT8_P12ihipStream_tbDpT10_ENKUlT_T0_E_clISt17integral_constantIbLb1EES1C_EEDaS17_S18_EUlS17_E_NS1_11comp_targetILNS1_3genE5ELNS1_11target_archE942ELNS1_3gpuE9ELNS1_3repE0EEENS1_30default_config_static_selectorELNS0_4arch9wavefront6targetE1EEEvT1_,"axG",@progbits,_ZN7rocprim17ROCPRIM_400000_NS6detail17trampoline_kernelINS0_14default_configENS1_25partition_config_selectorILNS1_17partition_subalgoE8ElNS0_10empty_typeEbEEZZNS1_14partition_implILS5_8ELb0ES3_jPlPS6_PKS6_NS0_5tupleIJS9_S6_EEENSD_IJSA_SA_EEENS0_18inequality_wrapperIZN2at6native12_GLOBAL__N_124unique_dim_cuda_templateIaEESt5tupleIJNSH_6TensorESM_SM_EERKSM_lbbbEUlllE0_EEPmJS6_EEE10hipError_tPvRmT3_T4_T5_T6_T7_T9_mT8_P12ihipStream_tbDpT10_ENKUlT_T0_E_clISt17integral_constantIbLb1EES1C_EEDaS17_S18_EUlS17_E_NS1_11comp_targetILNS1_3genE5ELNS1_11target_archE942ELNS1_3gpuE9ELNS1_3repE0EEENS1_30default_config_static_selectorELNS0_4arch9wavefront6targetE1EEEvT1_,comdat
	.globl	_ZN7rocprim17ROCPRIM_400000_NS6detail17trampoline_kernelINS0_14default_configENS1_25partition_config_selectorILNS1_17partition_subalgoE8ElNS0_10empty_typeEbEEZZNS1_14partition_implILS5_8ELb0ES3_jPlPS6_PKS6_NS0_5tupleIJS9_S6_EEENSD_IJSA_SA_EEENS0_18inequality_wrapperIZN2at6native12_GLOBAL__N_124unique_dim_cuda_templateIaEESt5tupleIJNSH_6TensorESM_SM_EERKSM_lbbbEUlllE0_EEPmJS6_EEE10hipError_tPvRmT3_T4_T5_T6_T7_T9_mT8_P12ihipStream_tbDpT10_ENKUlT_T0_E_clISt17integral_constantIbLb1EES1C_EEDaS17_S18_EUlS17_E_NS1_11comp_targetILNS1_3genE5ELNS1_11target_archE942ELNS1_3gpuE9ELNS1_3repE0EEENS1_30default_config_static_selectorELNS0_4arch9wavefront6targetE1EEEvT1_ ; -- Begin function _ZN7rocprim17ROCPRIM_400000_NS6detail17trampoline_kernelINS0_14default_configENS1_25partition_config_selectorILNS1_17partition_subalgoE8ElNS0_10empty_typeEbEEZZNS1_14partition_implILS5_8ELb0ES3_jPlPS6_PKS6_NS0_5tupleIJS9_S6_EEENSD_IJSA_SA_EEENS0_18inequality_wrapperIZN2at6native12_GLOBAL__N_124unique_dim_cuda_templateIaEESt5tupleIJNSH_6TensorESM_SM_EERKSM_lbbbEUlllE0_EEPmJS6_EEE10hipError_tPvRmT3_T4_T5_T6_T7_T9_mT8_P12ihipStream_tbDpT10_ENKUlT_T0_E_clISt17integral_constantIbLb1EES1C_EEDaS17_S18_EUlS17_E_NS1_11comp_targetILNS1_3genE5ELNS1_11target_archE942ELNS1_3gpuE9ELNS1_3repE0EEENS1_30default_config_static_selectorELNS0_4arch9wavefront6targetE1EEEvT1_
	.p2align	8
	.type	_ZN7rocprim17ROCPRIM_400000_NS6detail17trampoline_kernelINS0_14default_configENS1_25partition_config_selectorILNS1_17partition_subalgoE8ElNS0_10empty_typeEbEEZZNS1_14partition_implILS5_8ELb0ES3_jPlPS6_PKS6_NS0_5tupleIJS9_S6_EEENSD_IJSA_SA_EEENS0_18inequality_wrapperIZN2at6native12_GLOBAL__N_124unique_dim_cuda_templateIaEESt5tupleIJNSH_6TensorESM_SM_EERKSM_lbbbEUlllE0_EEPmJS6_EEE10hipError_tPvRmT3_T4_T5_T6_T7_T9_mT8_P12ihipStream_tbDpT10_ENKUlT_T0_E_clISt17integral_constantIbLb1EES1C_EEDaS17_S18_EUlS17_E_NS1_11comp_targetILNS1_3genE5ELNS1_11target_archE942ELNS1_3gpuE9ELNS1_3repE0EEENS1_30default_config_static_selectorELNS0_4arch9wavefront6targetE1EEEvT1_,@function
_ZN7rocprim17ROCPRIM_400000_NS6detail17trampoline_kernelINS0_14default_configENS1_25partition_config_selectorILNS1_17partition_subalgoE8ElNS0_10empty_typeEbEEZZNS1_14partition_implILS5_8ELb0ES3_jPlPS6_PKS6_NS0_5tupleIJS9_S6_EEENSD_IJSA_SA_EEENS0_18inequality_wrapperIZN2at6native12_GLOBAL__N_124unique_dim_cuda_templateIaEESt5tupleIJNSH_6TensorESM_SM_EERKSM_lbbbEUlllE0_EEPmJS6_EEE10hipError_tPvRmT3_T4_T5_T6_T7_T9_mT8_P12ihipStream_tbDpT10_ENKUlT_T0_E_clISt17integral_constantIbLb1EES1C_EEDaS17_S18_EUlS17_E_NS1_11comp_targetILNS1_3genE5ELNS1_11target_archE942ELNS1_3gpuE9ELNS1_3repE0EEENS1_30default_config_static_selectorELNS0_4arch9wavefront6targetE1EEEvT1_: ; @_ZN7rocprim17ROCPRIM_400000_NS6detail17trampoline_kernelINS0_14default_configENS1_25partition_config_selectorILNS1_17partition_subalgoE8ElNS0_10empty_typeEbEEZZNS1_14partition_implILS5_8ELb0ES3_jPlPS6_PKS6_NS0_5tupleIJS9_S6_EEENSD_IJSA_SA_EEENS0_18inequality_wrapperIZN2at6native12_GLOBAL__N_124unique_dim_cuda_templateIaEESt5tupleIJNSH_6TensorESM_SM_EERKSM_lbbbEUlllE0_EEPmJS6_EEE10hipError_tPvRmT3_T4_T5_T6_T7_T9_mT8_P12ihipStream_tbDpT10_ENKUlT_T0_E_clISt17integral_constantIbLb1EES1C_EEDaS17_S18_EUlS17_E_NS1_11comp_targetILNS1_3genE5ELNS1_11target_archE942ELNS1_3gpuE9ELNS1_3repE0EEENS1_30default_config_static_selectorELNS0_4arch9wavefront6targetE1EEEvT1_
; %bb.0:
	.section	.rodata,"a",@progbits
	.p2align	6, 0x0
	.amdhsa_kernel _ZN7rocprim17ROCPRIM_400000_NS6detail17trampoline_kernelINS0_14default_configENS1_25partition_config_selectorILNS1_17partition_subalgoE8ElNS0_10empty_typeEbEEZZNS1_14partition_implILS5_8ELb0ES3_jPlPS6_PKS6_NS0_5tupleIJS9_S6_EEENSD_IJSA_SA_EEENS0_18inequality_wrapperIZN2at6native12_GLOBAL__N_124unique_dim_cuda_templateIaEESt5tupleIJNSH_6TensorESM_SM_EERKSM_lbbbEUlllE0_EEPmJS6_EEE10hipError_tPvRmT3_T4_T5_T6_T7_T9_mT8_P12ihipStream_tbDpT10_ENKUlT_T0_E_clISt17integral_constantIbLb1EES1C_EEDaS17_S18_EUlS17_E_NS1_11comp_targetILNS1_3genE5ELNS1_11target_archE942ELNS1_3gpuE9ELNS1_3repE0EEENS1_30default_config_static_selectorELNS0_4arch9wavefront6targetE1EEEvT1_
		.amdhsa_group_segment_fixed_size 0
		.amdhsa_private_segment_fixed_size 0
		.amdhsa_kernarg_size 136
		.amdhsa_user_sgpr_count 6
		.amdhsa_user_sgpr_private_segment_buffer 1
		.amdhsa_user_sgpr_dispatch_ptr 0
		.amdhsa_user_sgpr_queue_ptr 0
		.amdhsa_user_sgpr_kernarg_segment_ptr 1
		.amdhsa_user_sgpr_dispatch_id 0
		.amdhsa_user_sgpr_flat_scratch_init 0
		.amdhsa_user_sgpr_kernarg_preload_length 0
		.amdhsa_user_sgpr_kernarg_preload_offset 0
		.amdhsa_user_sgpr_private_segment_size 0
		.amdhsa_uses_dynamic_stack 0
		.amdhsa_system_sgpr_private_segment_wavefront_offset 0
		.amdhsa_system_sgpr_workgroup_id_x 1
		.amdhsa_system_sgpr_workgroup_id_y 0
		.amdhsa_system_sgpr_workgroup_id_z 0
		.amdhsa_system_sgpr_workgroup_info 0
		.amdhsa_system_vgpr_workitem_id 0
		.amdhsa_next_free_vgpr 1
		.amdhsa_next_free_sgpr 0
		.amdhsa_accum_offset 4
		.amdhsa_reserve_vcc 0
		.amdhsa_reserve_flat_scratch 0
		.amdhsa_float_round_mode_32 0
		.amdhsa_float_round_mode_16_64 0
		.amdhsa_float_denorm_mode_32 3
		.amdhsa_float_denorm_mode_16_64 3
		.amdhsa_dx10_clamp 1
		.amdhsa_ieee_mode 1
		.amdhsa_fp16_overflow 0
		.amdhsa_tg_split 0
		.amdhsa_exception_fp_ieee_invalid_op 0
		.amdhsa_exception_fp_denorm_src 0
		.amdhsa_exception_fp_ieee_div_zero 0
		.amdhsa_exception_fp_ieee_overflow 0
		.amdhsa_exception_fp_ieee_underflow 0
		.amdhsa_exception_fp_ieee_inexact 0
		.amdhsa_exception_int_div_zero 0
	.end_amdhsa_kernel
	.section	.text._ZN7rocprim17ROCPRIM_400000_NS6detail17trampoline_kernelINS0_14default_configENS1_25partition_config_selectorILNS1_17partition_subalgoE8ElNS0_10empty_typeEbEEZZNS1_14partition_implILS5_8ELb0ES3_jPlPS6_PKS6_NS0_5tupleIJS9_S6_EEENSD_IJSA_SA_EEENS0_18inequality_wrapperIZN2at6native12_GLOBAL__N_124unique_dim_cuda_templateIaEESt5tupleIJNSH_6TensorESM_SM_EERKSM_lbbbEUlllE0_EEPmJS6_EEE10hipError_tPvRmT3_T4_T5_T6_T7_T9_mT8_P12ihipStream_tbDpT10_ENKUlT_T0_E_clISt17integral_constantIbLb1EES1C_EEDaS17_S18_EUlS17_E_NS1_11comp_targetILNS1_3genE5ELNS1_11target_archE942ELNS1_3gpuE9ELNS1_3repE0EEENS1_30default_config_static_selectorELNS0_4arch9wavefront6targetE1EEEvT1_,"axG",@progbits,_ZN7rocprim17ROCPRIM_400000_NS6detail17trampoline_kernelINS0_14default_configENS1_25partition_config_selectorILNS1_17partition_subalgoE8ElNS0_10empty_typeEbEEZZNS1_14partition_implILS5_8ELb0ES3_jPlPS6_PKS6_NS0_5tupleIJS9_S6_EEENSD_IJSA_SA_EEENS0_18inequality_wrapperIZN2at6native12_GLOBAL__N_124unique_dim_cuda_templateIaEESt5tupleIJNSH_6TensorESM_SM_EERKSM_lbbbEUlllE0_EEPmJS6_EEE10hipError_tPvRmT3_T4_T5_T6_T7_T9_mT8_P12ihipStream_tbDpT10_ENKUlT_T0_E_clISt17integral_constantIbLb1EES1C_EEDaS17_S18_EUlS17_E_NS1_11comp_targetILNS1_3genE5ELNS1_11target_archE942ELNS1_3gpuE9ELNS1_3repE0EEENS1_30default_config_static_selectorELNS0_4arch9wavefront6targetE1EEEvT1_,comdat
.Lfunc_end328:
	.size	_ZN7rocprim17ROCPRIM_400000_NS6detail17trampoline_kernelINS0_14default_configENS1_25partition_config_selectorILNS1_17partition_subalgoE8ElNS0_10empty_typeEbEEZZNS1_14partition_implILS5_8ELb0ES3_jPlPS6_PKS6_NS0_5tupleIJS9_S6_EEENSD_IJSA_SA_EEENS0_18inequality_wrapperIZN2at6native12_GLOBAL__N_124unique_dim_cuda_templateIaEESt5tupleIJNSH_6TensorESM_SM_EERKSM_lbbbEUlllE0_EEPmJS6_EEE10hipError_tPvRmT3_T4_T5_T6_T7_T9_mT8_P12ihipStream_tbDpT10_ENKUlT_T0_E_clISt17integral_constantIbLb1EES1C_EEDaS17_S18_EUlS17_E_NS1_11comp_targetILNS1_3genE5ELNS1_11target_archE942ELNS1_3gpuE9ELNS1_3repE0EEENS1_30default_config_static_selectorELNS0_4arch9wavefront6targetE1EEEvT1_, .Lfunc_end328-_ZN7rocprim17ROCPRIM_400000_NS6detail17trampoline_kernelINS0_14default_configENS1_25partition_config_selectorILNS1_17partition_subalgoE8ElNS0_10empty_typeEbEEZZNS1_14partition_implILS5_8ELb0ES3_jPlPS6_PKS6_NS0_5tupleIJS9_S6_EEENSD_IJSA_SA_EEENS0_18inequality_wrapperIZN2at6native12_GLOBAL__N_124unique_dim_cuda_templateIaEESt5tupleIJNSH_6TensorESM_SM_EERKSM_lbbbEUlllE0_EEPmJS6_EEE10hipError_tPvRmT3_T4_T5_T6_T7_T9_mT8_P12ihipStream_tbDpT10_ENKUlT_T0_E_clISt17integral_constantIbLb1EES1C_EEDaS17_S18_EUlS17_E_NS1_11comp_targetILNS1_3genE5ELNS1_11target_archE942ELNS1_3gpuE9ELNS1_3repE0EEENS1_30default_config_static_selectorELNS0_4arch9wavefront6targetE1EEEvT1_
                                        ; -- End function
	.section	.AMDGPU.csdata,"",@progbits
; Kernel info:
; codeLenInByte = 0
; NumSgprs: 4
; NumVgprs: 0
; NumAgprs: 0
; TotalNumVgprs: 0
; ScratchSize: 0
; MemoryBound: 0
; FloatMode: 240
; IeeeMode: 1
; LDSByteSize: 0 bytes/workgroup (compile time only)
; SGPRBlocks: 0
; VGPRBlocks: 0
; NumSGPRsForWavesPerEU: 4
; NumVGPRsForWavesPerEU: 1
; AccumOffset: 4
; Occupancy: 8
; WaveLimiterHint : 0
; COMPUTE_PGM_RSRC2:SCRATCH_EN: 0
; COMPUTE_PGM_RSRC2:USER_SGPR: 6
; COMPUTE_PGM_RSRC2:TRAP_HANDLER: 0
; COMPUTE_PGM_RSRC2:TGID_X_EN: 1
; COMPUTE_PGM_RSRC2:TGID_Y_EN: 0
; COMPUTE_PGM_RSRC2:TGID_Z_EN: 0
; COMPUTE_PGM_RSRC2:TIDIG_COMP_CNT: 0
; COMPUTE_PGM_RSRC3_GFX90A:ACCUM_OFFSET: 0
; COMPUTE_PGM_RSRC3_GFX90A:TG_SPLIT: 0
	.section	.text._ZN7rocprim17ROCPRIM_400000_NS6detail17trampoline_kernelINS0_14default_configENS1_25partition_config_selectorILNS1_17partition_subalgoE8ElNS0_10empty_typeEbEEZZNS1_14partition_implILS5_8ELb0ES3_jPlPS6_PKS6_NS0_5tupleIJS9_S6_EEENSD_IJSA_SA_EEENS0_18inequality_wrapperIZN2at6native12_GLOBAL__N_124unique_dim_cuda_templateIaEESt5tupleIJNSH_6TensorESM_SM_EERKSM_lbbbEUlllE0_EEPmJS6_EEE10hipError_tPvRmT3_T4_T5_T6_T7_T9_mT8_P12ihipStream_tbDpT10_ENKUlT_T0_E_clISt17integral_constantIbLb1EES1C_EEDaS17_S18_EUlS17_E_NS1_11comp_targetILNS1_3genE4ELNS1_11target_archE910ELNS1_3gpuE8ELNS1_3repE0EEENS1_30default_config_static_selectorELNS0_4arch9wavefront6targetE1EEEvT1_,"axG",@progbits,_ZN7rocprim17ROCPRIM_400000_NS6detail17trampoline_kernelINS0_14default_configENS1_25partition_config_selectorILNS1_17partition_subalgoE8ElNS0_10empty_typeEbEEZZNS1_14partition_implILS5_8ELb0ES3_jPlPS6_PKS6_NS0_5tupleIJS9_S6_EEENSD_IJSA_SA_EEENS0_18inequality_wrapperIZN2at6native12_GLOBAL__N_124unique_dim_cuda_templateIaEESt5tupleIJNSH_6TensorESM_SM_EERKSM_lbbbEUlllE0_EEPmJS6_EEE10hipError_tPvRmT3_T4_T5_T6_T7_T9_mT8_P12ihipStream_tbDpT10_ENKUlT_T0_E_clISt17integral_constantIbLb1EES1C_EEDaS17_S18_EUlS17_E_NS1_11comp_targetILNS1_3genE4ELNS1_11target_archE910ELNS1_3gpuE8ELNS1_3repE0EEENS1_30default_config_static_selectorELNS0_4arch9wavefront6targetE1EEEvT1_,comdat
	.globl	_ZN7rocprim17ROCPRIM_400000_NS6detail17trampoline_kernelINS0_14default_configENS1_25partition_config_selectorILNS1_17partition_subalgoE8ElNS0_10empty_typeEbEEZZNS1_14partition_implILS5_8ELb0ES3_jPlPS6_PKS6_NS0_5tupleIJS9_S6_EEENSD_IJSA_SA_EEENS0_18inequality_wrapperIZN2at6native12_GLOBAL__N_124unique_dim_cuda_templateIaEESt5tupleIJNSH_6TensorESM_SM_EERKSM_lbbbEUlllE0_EEPmJS6_EEE10hipError_tPvRmT3_T4_T5_T6_T7_T9_mT8_P12ihipStream_tbDpT10_ENKUlT_T0_E_clISt17integral_constantIbLb1EES1C_EEDaS17_S18_EUlS17_E_NS1_11comp_targetILNS1_3genE4ELNS1_11target_archE910ELNS1_3gpuE8ELNS1_3repE0EEENS1_30default_config_static_selectorELNS0_4arch9wavefront6targetE1EEEvT1_ ; -- Begin function _ZN7rocprim17ROCPRIM_400000_NS6detail17trampoline_kernelINS0_14default_configENS1_25partition_config_selectorILNS1_17partition_subalgoE8ElNS0_10empty_typeEbEEZZNS1_14partition_implILS5_8ELb0ES3_jPlPS6_PKS6_NS0_5tupleIJS9_S6_EEENSD_IJSA_SA_EEENS0_18inequality_wrapperIZN2at6native12_GLOBAL__N_124unique_dim_cuda_templateIaEESt5tupleIJNSH_6TensorESM_SM_EERKSM_lbbbEUlllE0_EEPmJS6_EEE10hipError_tPvRmT3_T4_T5_T6_T7_T9_mT8_P12ihipStream_tbDpT10_ENKUlT_T0_E_clISt17integral_constantIbLb1EES1C_EEDaS17_S18_EUlS17_E_NS1_11comp_targetILNS1_3genE4ELNS1_11target_archE910ELNS1_3gpuE8ELNS1_3repE0EEENS1_30default_config_static_selectorELNS0_4arch9wavefront6targetE1EEEvT1_
	.p2align	8
	.type	_ZN7rocprim17ROCPRIM_400000_NS6detail17trampoline_kernelINS0_14default_configENS1_25partition_config_selectorILNS1_17partition_subalgoE8ElNS0_10empty_typeEbEEZZNS1_14partition_implILS5_8ELb0ES3_jPlPS6_PKS6_NS0_5tupleIJS9_S6_EEENSD_IJSA_SA_EEENS0_18inequality_wrapperIZN2at6native12_GLOBAL__N_124unique_dim_cuda_templateIaEESt5tupleIJNSH_6TensorESM_SM_EERKSM_lbbbEUlllE0_EEPmJS6_EEE10hipError_tPvRmT3_T4_T5_T6_T7_T9_mT8_P12ihipStream_tbDpT10_ENKUlT_T0_E_clISt17integral_constantIbLb1EES1C_EEDaS17_S18_EUlS17_E_NS1_11comp_targetILNS1_3genE4ELNS1_11target_archE910ELNS1_3gpuE8ELNS1_3repE0EEENS1_30default_config_static_selectorELNS0_4arch9wavefront6targetE1EEEvT1_,@function
_ZN7rocprim17ROCPRIM_400000_NS6detail17trampoline_kernelINS0_14default_configENS1_25partition_config_selectorILNS1_17partition_subalgoE8ElNS0_10empty_typeEbEEZZNS1_14partition_implILS5_8ELb0ES3_jPlPS6_PKS6_NS0_5tupleIJS9_S6_EEENSD_IJSA_SA_EEENS0_18inequality_wrapperIZN2at6native12_GLOBAL__N_124unique_dim_cuda_templateIaEESt5tupleIJNSH_6TensorESM_SM_EERKSM_lbbbEUlllE0_EEPmJS6_EEE10hipError_tPvRmT3_T4_T5_T6_T7_T9_mT8_P12ihipStream_tbDpT10_ENKUlT_T0_E_clISt17integral_constantIbLb1EES1C_EEDaS17_S18_EUlS17_E_NS1_11comp_targetILNS1_3genE4ELNS1_11target_archE910ELNS1_3gpuE8ELNS1_3repE0EEENS1_30default_config_static_selectorELNS0_4arch9wavefront6targetE1EEEvT1_: ; @_ZN7rocprim17ROCPRIM_400000_NS6detail17trampoline_kernelINS0_14default_configENS1_25partition_config_selectorILNS1_17partition_subalgoE8ElNS0_10empty_typeEbEEZZNS1_14partition_implILS5_8ELb0ES3_jPlPS6_PKS6_NS0_5tupleIJS9_S6_EEENSD_IJSA_SA_EEENS0_18inequality_wrapperIZN2at6native12_GLOBAL__N_124unique_dim_cuda_templateIaEESt5tupleIJNSH_6TensorESM_SM_EERKSM_lbbbEUlllE0_EEPmJS6_EEE10hipError_tPvRmT3_T4_T5_T6_T7_T9_mT8_P12ihipStream_tbDpT10_ENKUlT_T0_E_clISt17integral_constantIbLb1EES1C_EEDaS17_S18_EUlS17_E_NS1_11comp_targetILNS1_3genE4ELNS1_11target_archE910ELNS1_3gpuE8ELNS1_3repE0EEENS1_30default_config_static_selectorELNS0_4arch9wavefront6targetE1EEEvT1_
; %bb.0:
	s_load_dwordx2 s[28:29], s[4:5], 0x28
	s_load_dwordx8 s[20:27], s[4:5], 0x40
	s_load_dwordx4 s[16:19], s[4:5], 0x60
	v_cmp_ne_u32_e64 s[2:3], 0, v0
	v_cmp_eq_u32_e64 s[0:1], 0, v0
	s_and_saveexec_b64 s[6:7], s[0:1]
	s_cbranch_execz .LBB329_4
; %bb.1:
	s_mov_b64 s[10:11], exec
	v_mbcnt_lo_u32_b32 v1, s10, 0
	v_mbcnt_hi_u32_b32 v1, s11, v1
	v_cmp_eq_u32_e32 vcc, 0, v1
                                        ; implicit-def: $vgpr2
	s_and_saveexec_b64 s[8:9], vcc
	s_cbranch_execz .LBB329_3
; %bb.2:
	s_load_dwordx2 s[12:13], s[4:5], 0x78
	s_bcnt1_i32_b64 s10, s[10:11]
	v_mov_b32_e32 v2, 0
	v_mov_b32_e32 v3, s10
	s_waitcnt lgkmcnt(0)
	global_atomic_add v2, v2, v3, s[12:13] glc
.LBB329_3:
	s_or_b64 exec, exec, s[8:9]
	s_waitcnt vmcnt(0)
	v_readfirstlane_b32 s8, v2
	v_add_u32_e32 v1, s8, v1
	v_mov_b32_e32 v2, 0
	ds_write_b32 v2, v1
.LBB329_4:
	s_or_b64 exec, exec, s[6:7]
	v_mov_b32_e32 v3, 0
	s_load_dwordx4 s[8:11], s[4:5], 0x8
	s_load_dword s6, s[4:5], 0x70
	s_waitcnt lgkmcnt(0)
	s_barrier
	ds_read_b32 v1, v3
	s_waitcnt lgkmcnt(0)
	s_barrier
	global_load_dwordx2 v[4:5], v3, s[22:23]
	s_lshl_b64 s[4:5], s[10:11], 3
	s_mul_i32 s14, s6, 0x500
	s_add_u32 s8, s8, s4
	s_addc_u32 s4, s9, s5
	s_add_i32 s5, s14, s10
	s_add_i32 s6, s6, -1
	s_sub_i32 s48, s24, s5
	v_mov_b32_e32 v8, s4
	s_add_u32 s4, s10, s14
	s_addc_u32 s5, s11, 0
	v_readfirstlane_b32 s33, v1
	v_mov_b32_e32 v6, s24
	v_mov_b32_e32 v7, s25
	s_movk_i32 s7, 0x500
	s_cmp_eq_u32 s33, s6
	v_mul_lo_u32 v2, v1, s7
	v_cmp_ge_u64_e32 vcc, s[4:5], v[6:7]
	s_cselect_b64 s[24:25], -1, 0
	v_lshlrev_b64 v[2:3], 3, v[2:3]
	s_and_b64 s[6:7], vcc, s[24:25]
	v_add_co_u32_e64 v18, s[4:5], s8, v2
	s_xor_b64 s[30:31], s[6:7], -1
	s_mov_b64 s[12:13], -1
	v_addc_co_u32_e64 v19, s[4:5], v8, v3, s[4:5]
	s_and_b64 vcc, exec, s[30:31]
	s_waitcnt vmcnt(0)
	v_readfirstlane_b32 s22, v4
	v_readfirstlane_b32 s23, v5
	s_cbranch_vccz .LBB329_6
; %bb.5:
	v_lshlrev_b32_e32 v1, 3, v0
	v_add_co_u32_e32 v12, vcc, v18, v1
	v_addc_co_u32_e32 v13, vcc, 0, v19, vcc
	v_add_co_u32_e32 v2, vcc, 0x1000, v12
	v_readfirstlane_b32 s4, v18
	v_readfirstlane_b32 s5, v19
	v_addc_co_u32_e32 v3, vcc, 0, v13, vcc
	s_nop 3
	global_load_dwordx2 v[4:5], v1, s[4:5]
	global_load_dwordx2 v[6:7], v1, s[4:5] offset:2048
	global_load_dwordx2 v[8:9], v[2:3], off
	global_load_dwordx2 v[10:11], v[2:3], off offset:2048
	v_add_co_u32_e32 v2, vcc, 0x2000, v12
	v_addc_co_u32_e32 v3, vcc, 0, v13, vcc
	global_load_dwordx2 v[2:3], v[2:3], off
	s_mov_b64 s[12:13], 0
	s_waitcnt vmcnt(3)
	ds_write2st64_b64 v1, v[4:5], v[6:7] offset1:4
	s_waitcnt vmcnt(1)
	ds_write2st64_b64 v1, v[8:9], v[10:11] offset0:8 offset1:12
	s_waitcnt vmcnt(0)
	ds_write_b64 v1, v[2:3] offset:8192
	s_waitcnt lgkmcnt(0)
	s_barrier
.LBB329_6:
	s_andn2_b64 vcc, exec, s[12:13]
	s_addk_i32 s48, 0x500
	s_cbranch_vccnz .LBB329_18
; %bb.7:
	v_cmp_gt_u32_e32 vcc, s48, v0
                                        ; implicit-def: $vgpr2_vgpr3_vgpr4_vgpr5_vgpr6_vgpr7_vgpr8_vgpr9_vgpr10_vgpr11_vgpr12_vgpr13_vgpr14_vgpr15_vgpr16_vgpr17
	s_and_saveexec_b64 s[4:5], vcc
	s_cbranch_execz .LBB329_9
; %bb.8:
	v_lshlrev_b32_e32 v1, 3, v0
	v_readfirstlane_b32 s8, v18
	v_readfirstlane_b32 s9, v19
	s_nop 4
	global_load_dwordx2 v[2:3], v1, s[8:9]
.LBB329_9:
	s_or_b64 exec, exec, s[4:5]
	v_or_b32_e32 v1, 0x100, v0
	v_cmp_gt_u32_e32 vcc, s48, v1
	s_and_saveexec_b64 s[4:5], vcc
	s_cbranch_execz .LBB329_11
; %bb.10:
	v_lshlrev_b32_e32 v1, 3, v0
	v_readfirstlane_b32 s8, v18
	v_readfirstlane_b32 s9, v19
	s_nop 4
	global_load_dwordx2 v[4:5], v1, s[8:9] offset:2048
.LBB329_11:
	s_or_b64 exec, exec, s[4:5]
	v_or_b32_e32 v1, 0x200, v0
	v_cmp_gt_u32_e32 vcc, s48, v1
	s_and_saveexec_b64 s[4:5], vcc
	s_cbranch_execz .LBB329_13
; %bb.12:
	v_lshlrev_b32_e32 v1, 3, v1
	v_readfirstlane_b32 s8, v18
	v_readfirstlane_b32 s9, v19
	s_nop 4
	global_load_dwordx2 v[6:7], v1, s[8:9]
.LBB329_13:
	s_or_b64 exec, exec, s[4:5]
	v_or_b32_e32 v1, 0x300, v0
	v_cmp_gt_u32_e32 vcc, s48, v1
	s_and_saveexec_b64 s[4:5], vcc
	s_cbranch_execz .LBB329_15
; %bb.14:
	v_lshlrev_b32_e32 v1, 3, v1
	v_readfirstlane_b32 s8, v18
	v_readfirstlane_b32 s9, v19
	s_nop 4
	global_load_dwordx2 v[8:9], v1, s[8:9]
.LBB329_15:
	;; [unrolled: 12-line block ×3, first 2 shown]
	s_or_b64 exec, exec, s[4:5]
	v_lshlrev_b32_e32 v1, 3, v0
	s_waitcnt vmcnt(0)
	ds_write2st64_b64 v1, v[2:3], v[4:5] offset1:4
	ds_write2st64_b64 v1, v[6:7], v[8:9] offset0:8 offset1:12
	ds_write_b64 v1, v[10:11] offset:8192
	s_waitcnt lgkmcnt(0)
	s_barrier
.LBB329_18:
	v_mul_u32_u24_e32 v1, 5, v0
	v_lshlrev_b32_e32 v26, 3, v1
	ds_read2_b64 v[6:9], v26 offset1:1
	ds_read2_b64 v[2:5], v26 offset0:2 offset1:3
	ds_read_b64 v[10:11], v26 offset:32
	s_cmp_lg_u32 s33, 0
	s_cselect_b64 s[34:35], -1, 0
	s_cmp_lg_u64 s[10:11], 0
	s_cselect_b64 s[4:5], -1, 0
	s_or_b64 s[4:5], s[4:5], s[34:35]
	v_mad_u32_u24 v24, v0, 5, 1
	v_mad_u32_u24 v22, v0, 5, 2
	;; [unrolled: 1-line block ×4, first 2 shown]
	s_mov_b64 s[8:9], 0
	s_and_b64 vcc, exec, s[4:5]
	v_cmp_gt_i64_e64 s[4:5], s[26:27], 0
	s_waitcnt lgkmcnt(0)
	s_barrier
	s_cbranch_vccz .LBB329_27
; %bb.19:
	global_load_dwordx2 v[14:15], v[18:19], off offset:-8
	v_cndmask_b32_e64 v12, 0, 1, s[4:5]
	v_lshlrev_b32_e32 v27, 3, v0
	s_and_b64 vcc, exec, s[30:31]
	v_cmp_ne_u32_e64 s[4:5], 1, v12
	ds_write_b64 v27, v[10:11]
	s_cbranch_vccz .LBB329_28
; %bb.20:
	v_mul_lo_u32 v16, v5, s26
	v_mul_lo_u32 v17, v4, s27
	v_mad_u64_u32 v[12:13], s[10:11], v4, s26, 0
	s_and_b64 vcc, exec, s[4:5]
	v_add3_u32 v13, v13, v17, v16
	s_cbranch_vccnz .LBB329_31
; %bb.21:
	v_mov_b32_e32 v17, s17
	v_add_co_u32_e32 v16, vcc, s16, v12
	v_pk_mov_b32 v[18:19], s[16:17], s[16:17] op_sel:[0,1]
	v_addc_co_u32_e32 v17, vcc, v17, v13, vcc
	v_mad_u64_u32 v[18:19], s[8:9], v10, s26, v[18:19]
	v_mul_lo_u32 v20, v10, s27
	v_mul_lo_u32 v21, v11, s26
	v_add3_u32 v19, v21, v19, v20
	global_load_ubyte v20, v[16:17], off
	global_load_ubyte v21, v[18:19], off
	s_mov_b64 s[8:9], -1
	s_waitcnt vmcnt(0)
	v_cmp_eq_u16_e32 vcc, v20, v21
	s_and_saveexec_b64 s[10:11], vcc
	s_cbranch_execz .LBB329_30
; %bb.22:
	s_mov_b64 s[14:15], 1
	s_mov_b64 s[8:9], 0
                                        ; implicit-def: $sgpr12_sgpr13
	s_branch .LBB329_25
.LBB329_23:                             ;   in Loop: Header=BB329_25 Depth=1
	v_mov_b32_e32 v29, s15
	v_add_co_u32_e32 v20, vcc, s14, v16
	v_addc_co_u32_e32 v21, vcc, v17, v29, vcc
	v_add_co_u32_e32 v28, vcc, s14, v18
	v_addc_co_u32_e32 v29, vcc, v19, v29, vcc
	global_load_ubyte v30, v[20:21], off
	global_load_ubyte v31, v[28:29], off
	s_add_u32 s36, s14, 1
	s_addc_u32 s37, s15, 0
	s_andn2_b64 s[12:13], s[12:13], exec
	s_waitcnt vmcnt(0)
	v_cmp_ne_u16_e32 vcc, v30, v31
	s_and_b64 s[38:39], vcc, exec
	s_or_b64 s[12:13], s[12:13], s[38:39]
.LBB329_24:                             ;   in Loop: Header=BB329_25 Depth=1
	s_and_b64 s[38:39], exec, s[12:13]
	s_or_b64 s[8:9], s[38:39], s[8:9]
	v_pk_mov_b32 v[20:21], s[14:15], s[14:15] op_sel:[0,1]
	s_mov_b64 s[14:15], s[36:37]
	s_andn2_b64 exec, exec, s[8:9]
	s_cbranch_execz .LBB329_29
.LBB329_25:                             ; =>This Inner Loop Header: Depth=1
	s_or_b64 s[12:13], s[12:13], exec
	s_cmp_eq_u64 s[26:27], s[14:15]
	s_cbranch_scc0 .LBB329_23
; %bb.26:                               ;   in Loop: Header=BB329_25 Depth=1
                                        ; implicit-def: $sgpr36_sgpr37
	s_mov_b64 s[14:15], s[26:27]
	s_branch .LBB329_24
.LBB329_27:
                                        ; implicit-def: $sgpr12_sgpr13
                                        ; implicit-def: $vgpr13
                                        ; implicit-def: $vgpr16
	s_branch .LBB329_129
.LBB329_28:
                                        ; implicit-def: $sgpr12_sgpr13
                                        ; implicit-def: $vgpr13
                                        ; implicit-def: $vgpr16
	s_cbranch_execnz .LBB329_70
	s_branch .LBB329_128
.LBB329_29:
	s_or_b64 exec, exec, s[8:9]
	v_cmp_gt_i64_e32 vcc, s[26:27], v[20:21]
	s_orn2_b64 s[8:9], vcc, exec
.LBB329_30:
	s_or_b64 exec, exec, s[10:11]
.LBB329_31:
	v_mul_lo_u32 v16, v3, s26
	v_mul_lo_u32 v17, v2, s27
	v_mad_u64_u32 v[18:19], s[10:11], v2, s26, 0
	v_add3_u32 v19, v19, v17, v16
	s_mov_b64 s[10:11], 0
	s_and_b64 vcc, exec, s[4:5]
	s_mov_b64 s[12:13], 0
	s_cbranch_vccnz .LBB329_40
; %bb.32:
	v_mov_b32_e32 v17, s17
	v_add_co_u32_e32 v16, vcc, s16, v18
	v_addc_co_u32_e32 v17, vcc, v17, v19, vcc
	v_mov_b32_e32 v20, s17
	v_add_co_u32_e32 v12, vcc, s16, v12
	v_addc_co_u32_e32 v13, vcc, v20, v13, vcc
	global_load_ubyte v20, v[16:17], off
	global_load_ubyte v21, v[12:13], off
	s_mov_b64 s[12:13], -1
	s_waitcnt vmcnt(0)
	v_cmp_eq_u16_e32 vcc, v20, v21
	s_and_saveexec_b64 s[14:15], vcc
	s_cbranch_execz .LBB329_39
; %bb.33:
	s_mov_b64 s[38:39], 1
	s_mov_b64 s[12:13], 0
                                        ; implicit-def: $sgpr36_sgpr37
	s_branch .LBB329_36
.LBB329_34:                             ;   in Loop: Header=BB329_36 Depth=1
	v_mov_b32_e32 v29, s39
	v_add_co_u32_e32 v20, vcc, s38, v16
	v_addc_co_u32_e32 v21, vcc, v17, v29, vcc
	v_add_co_u32_e32 v28, vcc, s38, v12
	v_addc_co_u32_e32 v29, vcc, v13, v29, vcc
	global_load_ubyte v30, v[20:21], off
	global_load_ubyte v31, v[28:29], off
	s_add_u32 s40, s38, 1
	s_addc_u32 s41, s39, 0
	s_andn2_b64 s[36:37], s[36:37], exec
	s_waitcnt vmcnt(0)
	v_cmp_ne_u16_e32 vcc, v30, v31
	s_and_b64 s[42:43], vcc, exec
	s_or_b64 s[36:37], s[36:37], s[42:43]
.LBB329_35:                             ;   in Loop: Header=BB329_36 Depth=1
	s_and_b64 s[42:43], exec, s[36:37]
	s_or_b64 s[12:13], s[42:43], s[12:13]
	v_pk_mov_b32 v[20:21], s[38:39], s[38:39] op_sel:[0,1]
	s_mov_b64 s[38:39], s[40:41]
	s_andn2_b64 exec, exec, s[12:13]
	s_cbranch_execz .LBB329_38
.LBB329_36:                             ; =>This Inner Loop Header: Depth=1
	s_or_b64 s[36:37], s[36:37], exec
	s_cmp_eq_u64 s[26:27], s[38:39]
	s_cbranch_scc0 .LBB329_34
; %bb.37:                               ;   in Loop: Header=BB329_36 Depth=1
                                        ; implicit-def: $sgpr40_sgpr41
	s_mov_b64 s[38:39], s[26:27]
	s_branch .LBB329_35
.LBB329_38:
	s_or_b64 exec, exec, s[12:13]
	v_cmp_gt_i64_e32 vcc, s[26:27], v[20:21]
	s_orn2_b64 s[12:13], vcc, exec
.LBB329_39:
	s_or_b64 exec, exec, s[14:15]
.LBB329_40:
	v_mul_lo_u32 v12, v9, s26
	v_mul_lo_u32 v13, v8, s27
	v_mad_u64_u32 v[16:17], s[14:15], v8, s26, 0
	s_and_b64 vcc, exec, s[4:5]
	v_add3_u32 v17, v17, v13, v12
	s_cbranch_vccnz .LBB329_49
; %bb.41:
	v_mov_b32_e32 v13, s17
	v_add_co_u32_e32 v12, vcc, s16, v16
	v_addc_co_u32_e32 v13, vcc, v13, v17, vcc
	v_mov_b32_e32 v20, s17
	v_add_co_u32_e32 v18, vcc, s16, v18
	v_addc_co_u32_e32 v19, vcc, v20, v19, vcc
	global_load_ubyte v20, v[12:13], off
	global_load_ubyte v21, v[18:19], off
	s_mov_b64 s[10:11], -1
	s_waitcnt vmcnt(0)
	v_cmp_eq_u16_e32 vcc, v20, v21
	s_and_saveexec_b64 s[14:15], vcc
	s_cbranch_execz .LBB329_48
; %bb.42:
	s_mov_b64 s[38:39], 1
	s_mov_b64 s[10:11], 0
                                        ; implicit-def: $sgpr36_sgpr37
	s_branch .LBB329_45
.LBB329_43:                             ;   in Loop: Header=BB329_45 Depth=1
	v_mov_b32_e32 v29, s39
	v_add_co_u32_e32 v20, vcc, s38, v12
	v_addc_co_u32_e32 v21, vcc, v13, v29, vcc
	v_add_co_u32_e32 v28, vcc, s38, v18
	v_addc_co_u32_e32 v29, vcc, v19, v29, vcc
	global_load_ubyte v30, v[20:21], off
	global_load_ubyte v31, v[28:29], off
	s_add_u32 s40, s38, 1
	s_addc_u32 s41, s39, 0
	s_andn2_b64 s[36:37], s[36:37], exec
	s_waitcnt vmcnt(0)
	v_cmp_ne_u16_e32 vcc, v30, v31
	s_and_b64 s[42:43], vcc, exec
	s_or_b64 s[36:37], s[36:37], s[42:43]
.LBB329_44:                             ;   in Loop: Header=BB329_45 Depth=1
	s_and_b64 s[42:43], exec, s[36:37]
	s_or_b64 s[10:11], s[42:43], s[10:11]
	v_pk_mov_b32 v[20:21], s[38:39], s[38:39] op_sel:[0,1]
	s_mov_b64 s[38:39], s[40:41]
	s_andn2_b64 exec, exec, s[10:11]
	s_cbranch_execz .LBB329_47
.LBB329_45:                             ; =>This Inner Loop Header: Depth=1
	s_or_b64 s[36:37], s[36:37], exec
	s_cmp_eq_u64 s[26:27], s[38:39]
	s_cbranch_scc0 .LBB329_43
; %bb.46:                               ;   in Loop: Header=BB329_45 Depth=1
                                        ; implicit-def: $sgpr40_sgpr41
	s_mov_b64 s[38:39], s[26:27]
	s_branch .LBB329_44
.LBB329_47:
	s_or_b64 exec, exec, s[10:11]
	v_cmp_gt_i64_e32 vcc, s[26:27], v[20:21]
	s_orn2_b64 s[10:11], vcc, exec
.LBB329_48:
	s_or_b64 exec, exec, s[14:15]
.LBB329_49:
	v_mul_lo_u32 v18, v7, s26
	v_mul_lo_u32 v19, v6, s27
	v_mad_u64_u32 v[12:13], s[14:15], v6, s26, 0
	v_add3_u32 v13, v13, v19, v18
	s_and_b64 vcc, exec, s[4:5]
	s_mov_b64 s[36:37], 0
	s_cbranch_vccnz .LBB329_58
; %bb.50:
	v_mov_b32_e32 v19, s17
	v_add_co_u32_e32 v18, vcc, s16, v12
	v_addc_co_u32_e32 v19, vcc, v19, v13, vcc
	v_mov_b32_e32 v20, s17
	v_add_co_u32_e32 v16, vcc, s16, v16
	v_addc_co_u32_e32 v17, vcc, v20, v17, vcc
	global_load_ubyte v20, v[18:19], off
	global_load_ubyte v21, v[16:17], off
	s_mov_b64 s[36:37], -1
	s_waitcnt vmcnt(0)
	v_cmp_eq_u16_e32 vcc, v20, v21
	s_and_saveexec_b64 s[14:15], vcc
	s_cbranch_execz .LBB329_57
; %bb.51:
	s_mov_b64 s[40:41], 1
	s_mov_b64 s[36:37], 0
                                        ; implicit-def: $sgpr38_sgpr39
	s_branch .LBB329_54
.LBB329_52:                             ;   in Loop: Header=BB329_54 Depth=1
	v_mov_b32_e32 v29, s41
	v_add_co_u32_e32 v20, vcc, s40, v18
	v_addc_co_u32_e32 v21, vcc, v19, v29, vcc
	v_add_co_u32_e32 v28, vcc, s40, v16
	v_addc_co_u32_e32 v29, vcc, v17, v29, vcc
	global_load_ubyte v30, v[20:21], off
	global_load_ubyte v31, v[28:29], off
	s_add_u32 s42, s40, 1
	s_addc_u32 s43, s41, 0
	s_andn2_b64 s[38:39], s[38:39], exec
	s_waitcnt vmcnt(0)
	v_cmp_ne_u16_e32 vcc, v30, v31
	s_and_b64 s[44:45], vcc, exec
	s_or_b64 s[38:39], s[38:39], s[44:45]
.LBB329_53:                             ;   in Loop: Header=BB329_54 Depth=1
	s_and_b64 s[44:45], exec, s[38:39]
	s_or_b64 s[36:37], s[44:45], s[36:37]
	v_pk_mov_b32 v[20:21], s[40:41], s[40:41] op_sel:[0,1]
	s_mov_b64 s[40:41], s[42:43]
	s_andn2_b64 exec, exec, s[36:37]
	s_cbranch_execz .LBB329_56
.LBB329_54:                             ; =>This Inner Loop Header: Depth=1
	s_or_b64 s[38:39], s[38:39], exec
	s_cmp_eq_u64 s[26:27], s[40:41]
	s_cbranch_scc0 .LBB329_52
; %bb.55:                               ;   in Loop: Header=BB329_54 Depth=1
                                        ; implicit-def: $sgpr42_sgpr43
	s_mov_b64 s[40:41], s[26:27]
	s_branch .LBB329_53
.LBB329_56:
	s_or_b64 exec, exec, s[36:37]
	v_cmp_gt_i64_e32 vcc, s[26:27], v[20:21]
	s_orn2_b64 s[36:37], vcc, exec
.LBB329_57:
	s_or_b64 exec, exec, s[14:15]
.LBB329_58:
	s_waitcnt vmcnt(0)
	v_pk_mov_b32 v[18:19], v[14:15], v[14:15] op_sel:[0,1]
	s_waitcnt lgkmcnt(0)
	s_barrier
	s_and_saveexec_b64 s[14:15], s[2:3]
	s_cbranch_execz .LBB329_60
; %bb.59:
	v_add_u32_e32 v16, -8, v27
	ds_read_b64 v[18:19], v16
.LBB329_60:
	s_or_b64 exec, exec, s[14:15]
	v_cndmask_b32_e64 v17, 0, 1, s[12:13]
	v_cndmask_b32_e64 v16, 0, 1, s[10:11]
	;; [unrolled: 1-line block ×3, first 2 shown]
	v_lshlrev_b16_e32 v17, 8, v17
	v_lshlrev_b16_e32 v20, 8, v20
	v_or_b32_sdwa v21, v16, v17 dst_sel:WORD_1 dst_unused:UNUSED_PAD src0_sel:DWORD src1_sel:DWORD
	s_mov_b64 s[10:11], 0
	s_and_b64 vcc, exec, s[4:5]
	s_mov_b64 s[12:13], 0
	s_cbranch_vccnz .LBB329_69
; %bb.61:
	v_pk_mov_b32 v[16:17], s[16:17], s[16:17] op_sel:[0,1]
	s_waitcnt lgkmcnt(0)
	v_mad_u64_u32 v[16:17], s[12:13], v18, s26, v[16:17]
	v_mul_lo_u32 v18, v18, s27
	v_mul_lo_u32 v19, v19, s26
	v_add3_u32 v17, v19, v17, v18
	v_mov_b32_e32 v18, s17
	v_add_co_u32_e32 v12, vcc, s16, v12
	v_addc_co_u32_e32 v13, vcc, v18, v13, vcc
	global_load_ubyte v18, v[16:17], off
	global_load_ubyte v19, v[12:13], off
	s_mov_b64 s[12:13], -1
	s_waitcnt vmcnt(0)
	v_cmp_eq_u16_e32 vcc, v18, v19
	s_and_saveexec_b64 s[14:15], vcc
	s_cbranch_execz .LBB329_68
; %bb.62:
	s_mov_b64 s[38:39], 1
	s_mov_b64 s[12:13], 0
                                        ; implicit-def: $sgpr36_sgpr37
	s_branch .LBB329_65
.LBB329_63:                             ;   in Loop: Header=BB329_65 Depth=1
	v_mov_b32_e32 v29, s39
	v_add_co_u32_e32 v18, vcc, s38, v16
	v_addc_co_u32_e32 v19, vcc, v17, v29, vcc
	v_add_co_u32_e32 v28, vcc, s38, v12
	v_addc_co_u32_e32 v29, vcc, v13, v29, vcc
	global_load_ubyte v30, v[18:19], off
	global_load_ubyte v31, v[28:29], off
	s_add_u32 s40, s38, 1
	s_addc_u32 s41, s39, 0
	s_andn2_b64 s[36:37], s[36:37], exec
	s_waitcnt vmcnt(0)
	v_cmp_ne_u16_e32 vcc, v30, v31
	s_and_b64 s[42:43], vcc, exec
	s_or_b64 s[36:37], s[36:37], s[42:43]
.LBB329_64:                             ;   in Loop: Header=BB329_65 Depth=1
	s_and_b64 s[42:43], exec, s[36:37]
	s_or_b64 s[12:13], s[42:43], s[12:13]
	v_pk_mov_b32 v[18:19], s[38:39], s[38:39] op_sel:[0,1]
	s_mov_b64 s[38:39], s[40:41]
	s_andn2_b64 exec, exec, s[12:13]
	s_cbranch_execz .LBB329_67
.LBB329_65:                             ; =>This Inner Loop Header: Depth=1
	s_or_b64 s[36:37], s[36:37], exec
	s_cmp_eq_u64 s[26:27], s[38:39]
	s_cbranch_scc0 .LBB329_63
; %bb.66:                               ;   in Loop: Header=BB329_65 Depth=1
                                        ; implicit-def: $sgpr40_sgpr41
	s_mov_b64 s[38:39], s[26:27]
	s_branch .LBB329_64
.LBB329_67:
	s_or_b64 exec, exec, s[12:13]
	v_cmp_gt_i64_e32 vcc, s[26:27], v[18:19]
	s_orn2_b64 s[12:13], vcc, exec
.LBB329_68:
	s_or_b64 exec, exec, s[14:15]
.LBB329_69:
	v_cndmask_b32_e64 v13, 0, 1, s[8:9]
	v_or_b32_e32 v16, v20, v21
	s_and_b64 vcc, exec, s[10:11]
	s_cbranch_vccz .LBB329_128
.LBB329_70:
	v_cmp_gt_u32_e32 vcc, s48, v23
	s_mov_b64 s[10:11], 0
	s_mov_b64 s[8:9], 0
	s_and_saveexec_b64 s[12:13], vcc
	s_cbranch_execz .LBB329_81
; %bb.71:
	s_and_b64 vcc, exec, s[4:5]
	s_mov_b64 s[14:15], 0
	s_cbranch_vccnz .LBB329_80
; %bb.72:
	v_pk_mov_b32 v[16:17], s[16:17], s[16:17] op_sel:[0,1]
	v_mad_u64_u32 v[12:13], s[8:9], v4, s26, v[16:17]
	s_waitcnt lgkmcnt(0)
	v_mul_lo_u32 v18, v4, s27
	v_mul_lo_u32 v19, v5, s26
	v_add3_u32 v13, v19, v13, v18
	v_mad_u64_u32 v[16:17], s[8:9], v10, s26, v[16:17]
	v_mul_lo_u32 v18, v10, s27
	v_mul_lo_u32 v19, v11, s26
	v_add3_u32 v17, v19, v17, v18
	global_load_ubyte v18, v[12:13], off
	global_load_ubyte v19, v[16:17], off
	s_mov_b64 s[14:15], -1
	s_waitcnt vmcnt(0)
	v_cmp_eq_u16_e32 vcc, v18, v19
	s_and_saveexec_b64 s[8:9], vcc
	s_cbranch_execz .LBB329_79
; %bb.73:
	s_mov_b64 s[38:39], 1
	s_mov_b64 s[14:15], 0
                                        ; implicit-def: $sgpr36_sgpr37
	s_branch .LBB329_76
.LBB329_74:                             ;   in Loop: Header=BB329_76 Depth=1
	v_mov_b32_e32 v21, s39
	v_add_co_u32_e32 v18, vcc, s38, v12
	v_addc_co_u32_e32 v19, vcc, v13, v21, vcc
	v_add_co_u32_e32 v20, vcc, s38, v16
	v_addc_co_u32_e32 v21, vcc, v17, v21, vcc
	global_load_ubyte v28, v[18:19], off
	global_load_ubyte v29, v[20:21], off
	s_add_u32 s40, s38, 1
	s_addc_u32 s41, s39, 0
	s_andn2_b64 s[36:37], s[36:37], exec
	s_waitcnt vmcnt(0)
	v_cmp_ne_u16_e32 vcc, v28, v29
	s_and_b64 s[42:43], vcc, exec
	s_or_b64 s[36:37], s[36:37], s[42:43]
.LBB329_75:                             ;   in Loop: Header=BB329_76 Depth=1
	s_and_b64 s[42:43], exec, s[36:37]
	s_or_b64 s[14:15], s[42:43], s[14:15]
	v_pk_mov_b32 v[18:19], s[38:39], s[38:39] op_sel:[0,1]
	s_mov_b64 s[38:39], s[40:41]
	s_andn2_b64 exec, exec, s[14:15]
	s_cbranch_execz .LBB329_78
.LBB329_76:                             ; =>This Inner Loop Header: Depth=1
	s_or_b64 s[36:37], s[36:37], exec
	s_cmp_eq_u64 s[26:27], s[38:39]
	s_cbranch_scc0 .LBB329_74
; %bb.77:                               ;   in Loop: Header=BB329_76 Depth=1
                                        ; implicit-def: $sgpr40_sgpr41
	s_mov_b64 s[38:39], s[26:27]
	s_branch .LBB329_75
.LBB329_78:
	s_or_b64 exec, exec, s[14:15]
	v_cmp_gt_i64_e32 vcc, s[26:27], v[18:19]
	s_orn2_b64 s[14:15], vcc, exec
.LBB329_79:
	s_or_b64 exec, exec, s[8:9]
.LBB329_80:
	s_and_b64 s[8:9], s[14:15], exec
.LBB329_81:
	s_or_b64 exec, exec, s[12:13]
	v_cmp_gt_u32_e32 vcc, s48, v25
	s_and_saveexec_b64 s[12:13], vcc
	s_cbranch_execz .LBB329_92
; %bb.82:
	s_and_b64 vcc, exec, s[4:5]
	s_mov_b64 s[14:15], 0
	s_cbranch_vccnz .LBB329_91
; %bb.83:
	v_pk_mov_b32 v[16:17], s[16:17], s[16:17] op_sel:[0,1]
	v_mad_u64_u32 v[12:13], s[10:11], v2, s26, v[16:17]
	s_waitcnt lgkmcnt(0)
	v_mul_lo_u32 v18, v2, s27
	v_mul_lo_u32 v19, v3, s26
	v_add3_u32 v13, v19, v13, v18
	v_mad_u64_u32 v[16:17], s[10:11], v4, s26, v[16:17]
	v_mul_lo_u32 v18, v4, s27
	v_mul_lo_u32 v19, v5, s26
	v_add3_u32 v17, v19, v17, v18
	global_load_ubyte v18, v[12:13], off
	global_load_ubyte v19, v[16:17], off
	s_mov_b64 s[14:15], -1
	s_waitcnt vmcnt(0)
	v_cmp_eq_u16_e32 vcc, v18, v19
	s_and_saveexec_b64 s[10:11], vcc
	s_cbranch_execz .LBB329_90
; %bb.84:
	s_mov_b64 s[38:39], 1
	s_mov_b64 s[14:15], 0
                                        ; implicit-def: $sgpr36_sgpr37
	s_branch .LBB329_87
.LBB329_85:                             ;   in Loop: Header=BB329_87 Depth=1
	v_mov_b32_e32 v21, s39
	v_add_co_u32_e32 v18, vcc, s38, v12
	v_addc_co_u32_e32 v19, vcc, v13, v21, vcc
	v_add_co_u32_e32 v20, vcc, s38, v16
	v_addc_co_u32_e32 v21, vcc, v17, v21, vcc
	global_load_ubyte v28, v[18:19], off
	global_load_ubyte v29, v[20:21], off
	s_add_u32 s40, s38, 1
	s_addc_u32 s41, s39, 0
	s_andn2_b64 s[36:37], s[36:37], exec
	s_waitcnt vmcnt(0)
	v_cmp_ne_u16_e32 vcc, v28, v29
	s_and_b64 s[42:43], vcc, exec
	s_or_b64 s[36:37], s[36:37], s[42:43]
.LBB329_86:                             ;   in Loop: Header=BB329_87 Depth=1
	s_and_b64 s[42:43], exec, s[36:37]
	s_or_b64 s[14:15], s[42:43], s[14:15]
	v_pk_mov_b32 v[18:19], s[38:39], s[38:39] op_sel:[0,1]
	s_mov_b64 s[38:39], s[40:41]
	s_andn2_b64 exec, exec, s[14:15]
	s_cbranch_execz .LBB329_89
.LBB329_87:                             ; =>This Inner Loop Header: Depth=1
	s_or_b64 s[36:37], s[36:37], exec
	s_cmp_eq_u64 s[26:27], s[38:39]
	s_cbranch_scc0 .LBB329_85
; %bb.88:                               ;   in Loop: Header=BB329_87 Depth=1
                                        ; implicit-def: $sgpr40_sgpr41
	s_mov_b64 s[38:39], s[26:27]
	s_branch .LBB329_86
.LBB329_89:
	s_or_b64 exec, exec, s[14:15]
	v_cmp_gt_i64_e32 vcc, s[26:27], v[18:19]
	s_orn2_b64 s[14:15], vcc, exec
.LBB329_90:
	s_or_b64 exec, exec, s[10:11]
.LBB329_91:
	s_and_b64 s[10:11], s[14:15], exec
.LBB329_92:
	s_or_b64 exec, exec, s[12:13]
	v_cmp_gt_u32_e32 vcc, s48, v22
	s_mov_b64 s[12:13], 0
	s_mov_b64 s[14:15], 0
	s_and_saveexec_b64 s[36:37], vcc
	s_cbranch_execz .LBB329_103
; %bb.93:
	s_and_b64 vcc, exec, s[4:5]
	s_mov_b64 s[38:39], 0
	s_cbranch_vccnz .LBB329_102
; %bb.94:
	v_pk_mov_b32 v[16:17], s[16:17], s[16:17] op_sel:[0,1]
	v_mad_u64_u32 v[12:13], s[14:15], v8, s26, v[16:17]
	s_waitcnt lgkmcnt(0)
	v_mul_lo_u32 v18, v8, s27
	v_mul_lo_u32 v19, v9, s26
	v_add3_u32 v13, v19, v13, v18
	v_mad_u64_u32 v[16:17], s[14:15], v2, s26, v[16:17]
	v_mul_lo_u32 v18, v2, s27
	v_mul_lo_u32 v19, v3, s26
	v_add3_u32 v17, v19, v17, v18
	global_load_ubyte v18, v[12:13], off
	global_load_ubyte v19, v[16:17], off
	s_mov_b64 s[38:39], -1
	s_waitcnt vmcnt(0)
	v_cmp_eq_u16_e32 vcc, v18, v19
	s_and_saveexec_b64 s[14:15], vcc
	s_cbranch_execz .LBB329_101
; %bb.95:
	s_mov_b64 s[42:43], 1
	s_mov_b64 s[38:39], 0
                                        ; implicit-def: $sgpr40_sgpr41
	s_branch .LBB329_98
.LBB329_96:                             ;   in Loop: Header=BB329_98 Depth=1
	v_mov_b32_e32 v21, s43
	v_add_co_u32_e32 v18, vcc, s42, v12
	v_addc_co_u32_e32 v19, vcc, v13, v21, vcc
	v_add_co_u32_e32 v20, vcc, s42, v16
	v_addc_co_u32_e32 v21, vcc, v17, v21, vcc
	global_load_ubyte v28, v[18:19], off
	global_load_ubyte v29, v[20:21], off
	s_add_u32 s44, s42, 1
	s_addc_u32 s45, s43, 0
	s_andn2_b64 s[40:41], s[40:41], exec
	s_waitcnt vmcnt(0)
	v_cmp_ne_u16_e32 vcc, v28, v29
	s_and_b64 s[46:47], vcc, exec
	s_or_b64 s[40:41], s[40:41], s[46:47]
.LBB329_97:                             ;   in Loop: Header=BB329_98 Depth=1
	s_and_b64 s[46:47], exec, s[40:41]
	s_or_b64 s[38:39], s[46:47], s[38:39]
	v_pk_mov_b32 v[18:19], s[42:43], s[42:43] op_sel:[0,1]
	s_mov_b64 s[42:43], s[44:45]
	s_andn2_b64 exec, exec, s[38:39]
	s_cbranch_execz .LBB329_100
.LBB329_98:                             ; =>This Inner Loop Header: Depth=1
	s_or_b64 s[40:41], s[40:41], exec
	s_cmp_eq_u64 s[26:27], s[42:43]
	s_cbranch_scc0 .LBB329_96
; %bb.99:                               ;   in Loop: Header=BB329_98 Depth=1
                                        ; implicit-def: $sgpr44_sgpr45
	s_mov_b64 s[42:43], s[26:27]
	s_branch .LBB329_97
.LBB329_100:
	s_or_b64 exec, exec, s[38:39]
	v_cmp_gt_i64_e32 vcc, s[26:27], v[18:19]
	s_orn2_b64 s[38:39], vcc, exec
.LBB329_101:
	s_or_b64 exec, exec, s[14:15]
.LBB329_102:
	s_and_b64 s[14:15], s[38:39], exec
.LBB329_103:
	s_or_b64 exec, exec, s[36:37]
	v_cmp_gt_u32_e32 vcc, s48, v24
	s_and_saveexec_b64 s[36:37], vcc
	s_cbranch_execz .LBB329_114
; %bb.104:
	s_and_b64 vcc, exec, s[4:5]
	s_mov_b64 s[38:39], 0
	s_cbranch_vccnz .LBB329_113
; %bb.105:
	v_pk_mov_b32 v[16:17], s[16:17], s[16:17] op_sel:[0,1]
	v_mad_u64_u32 v[12:13], s[12:13], v6, s26, v[16:17]
	s_waitcnt lgkmcnt(0)
	v_mul_lo_u32 v18, v6, s27
	v_mul_lo_u32 v19, v7, s26
	v_add3_u32 v13, v19, v13, v18
	v_mad_u64_u32 v[16:17], s[12:13], v8, s26, v[16:17]
	v_mul_lo_u32 v18, v8, s27
	v_mul_lo_u32 v19, v9, s26
	v_add3_u32 v17, v19, v17, v18
	global_load_ubyte v18, v[12:13], off
	global_load_ubyte v19, v[16:17], off
	s_mov_b64 s[38:39], -1
	s_waitcnt vmcnt(0)
	v_cmp_eq_u16_e32 vcc, v18, v19
	s_and_saveexec_b64 s[12:13], vcc
	s_cbranch_execz .LBB329_112
; %bb.106:
	s_mov_b64 s[42:43], 1
	s_mov_b64 s[38:39], 0
                                        ; implicit-def: $sgpr40_sgpr41
	s_branch .LBB329_109
.LBB329_107:                            ;   in Loop: Header=BB329_109 Depth=1
	v_mov_b32_e32 v21, s43
	v_add_co_u32_e32 v18, vcc, s42, v12
	v_addc_co_u32_e32 v19, vcc, v13, v21, vcc
	v_add_co_u32_e32 v20, vcc, s42, v16
	v_addc_co_u32_e32 v21, vcc, v17, v21, vcc
	global_load_ubyte v28, v[18:19], off
	global_load_ubyte v29, v[20:21], off
	s_add_u32 s44, s42, 1
	s_addc_u32 s45, s43, 0
	s_andn2_b64 s[40:41], s[40:41], exec
	s_waitcnt vmcnt(0)
	v_cmp_ne_u16_e32 vcc, v28, v29
	s_and_b64 s[46:47], vcc, exec
	s_or_b64 s[40:41], s[40:41], s[46:47]
.LBB329_108:                            ;   in Loop: Header=BB329_109 Depth=1
	s_and_b64 s[46:47], exec, s[40:41]
	s_or_b64 s[38:39], s[46:47], s[38:39]
	v_pk_mov_b32 v[18:19], s[42:43], s[42:43] op_sel:[0,1]
	s_mov_b64 s[42:43], s[44:45]
	s_andn2_b64 exec, exec, s[38:39]
	s_cbranch_execz .LBB329_111
.LBB329_109:                            ; =>This Inner Loop Header: Depth=1
	s_or_b64 s[40:41], s[40:41], exec
	s_cmp_eq_u64 s[26:27], s[42:43]
	s_cbranch_scc0 .LBB329_107
; %bb.110:                              ;   in Loop: Header=BB329_109 Depth=1
                                        ; implicit-def: $sgpr44_sgpr45
	s_mov_b64 s[42:43], s[26:27]
	s_branch .LBB329_108
.LBB329_111:
	s_or_b64 exec, exec, s[38:39]
	v_cmp_gt_i64_e32 vcc, s[26:27], v[18:19]
	s_orn2_b64 s[38:39], vcc, exec
.LBB329_112:
	s_or_b64 exec, exec, s[12:13]
.LBB329_113:
	s_and_b64 s[12:13], s[38:39], exec
.LBB329_114:
	s_or_b64 exec, exec, s[36:37]
	s_waitcnt lgkmcnt(0)
	s_barrier
	s_and_saveexec_b64 s[36:37], s[2:3]
	s_cbranch_execz .LBB329_116
; %bb.115:
	v_add_u32_e32 v12, -8, v27
	s_waitcnt vmcnt(0)
	ds_read_b64 v[14:15], v12
.LBB329_116:
	s_or_b64 exec, exec, s[36:37]
	v_cndmask_b32_e64 v13, 0, 1, s[10:11]
	v_cndmask_b32_e64 v12, 0, 1, s[14:15]
	;; [unrolled: 1-line block ×3, first 2 shown]
	v_lshlrev_b16_e32 v13, 8, v13
	v_cmp_gt_u32_e32 vcc, s48, v1
	v_lshlrev_b16_e32 v18, 8, v16
	v_or_b32_sdwa v19, v12, v13 dst_sel:WORD_1 dst_unused:UNUSED_PAD src0_sel:DWORD src1_sel:DWORD
	s_mov_b64 s[12:13], 0
	s_and_saveexec_b64 s[10:11], vcc
	s_cbranch_execz .LBB329_127
; %bb.117:
	s_and_b64 vcc, exec, s[4:5]
	s_cbranch_vccnz .LBB329_126
; %bb.118:
	v_pk_mov_b32 v[16:17], s[16:17], s[16:17] op_sel:[0,1]
	s_waitcnt vmcnt(0) lgkmcnt(0)
	v_mad_u64_u32 v[12:13], s[4:5], v14, s26, v[16:17]
	v_mul_lo_u32 v14, v14, s27
	v_mul_lo_u32 v15, v15, s26
	v_add3_u32 v13, v15, v13, v14
	v_mad_u64_u32 v[14:15], s[4:5], v6, s26, v[16:17]
	v_mul_lo_u32 v16, v6, s27
	v_mul_lo_u32 v17, v7, s26
	v_add3_u32 v15, v17, v15, v16
	global_load_ubyte v16, v[12:13], off
	global_load_ubyte v17, v[14:15], off
	s_mov_b64 s[12:13], -1
	s_waitcnt vmcnt(0)
	v_cmp_eq_u16_e32 vcc, v16, v17
	s_and_saveexec_b64 s[4:5], vcc
	s_cbranch_execz .LBB329_125
; %bb.119:
	s_mov_b64 s[36:37], 1
	s_mov_b64 s[12:13], 0
                                        ; implicit-def: $sgpr14_sgpr15
	s_branch .LBB329_122
.LBB329_120:                            ;   in Loop: Header=BB329_122 Depth=1
	v_mov_b32_e32 v21, s37
	v_add_co_u32_e32 v16, vcc, s36, v12
	v_addc_co_u32_e32 v17, vcc, v13, v21, vcc
	v_add_co_u32_e32 v20, vcc, s36, v14
	v_addc_co_u32_e32 v21, vcc, v15, v21, vcc
	global_load_ubyte v27, v[16:17], off
	global_load_ubyte v28, v[20:21], off
	s_add_u32 s38, s36, 1
	s_addc_u32 s39, s37, 0
	s_andn2_b64 s[14:15], s[14:15], exec
	s_waitcnt vmcnt(0)
	v_cmp_ne_u16_e32 vcc, v27, v28
	s_and_b64 s[40:41], vcc, exec
	s_or_b64 s[14:15], s[14:15], s[40:41]
.LBB329_121:                            ;   in Loop: Header=BB329_122 Depth=1
	s_and_b64 s[40:41], exec, s[14:15]
	s_or_b64 s[12:13], s[40:41], s[12:13]
	v_pk_mov_b32 v[16:17], s[36:37], s[36:37] op_sel:[0,1]
	s_mov_b64 s[36:37], s[38:39]
	s_andn2_b64 exec, exec, s[12:13]
	s_cbranch_execz .LBB329_124
.LBB329_122:                            ; =>This Inner Loop Header: Depth=1
	s_or_b64 s[14:15], s[14:15], exec
	s_cmp_eq_u64 s[26:27], s[36:37]
	s_cbranch_scc0 .LBB329_120
; %bb.123:                              ;   in Loop: Header=BB329_122 Depth=1
                                        ; implicit-def: $sgpr38_sgpr39
	s_mov_b64 s[36:37], s[26:27]
	s_branch .LBB329_121
.LBB329_124:
	s_or_b64 exec, exec, s[12:13]
	v_cmp_gt_i64_e32 vcc, s[26:27], v[16:17]
	s_orn2_b64 s[12:13], vcc, exec
.LBB329_125:
	s_or_b64 exec, exec, s[4:5]
.LBB329_126:
	s_and_b64 s[12:13], s[12:13], exec
.LBB329_127:
	s_or_b64 exec, exec, s[10:11]
	v_cndmask_b32_e64 v13, 0, 1, s[8:9]
	v_or_b32_e32 v16, v18, v19
.LBB329_128:
	s_mov_b64 s[8:9], -1
	s_cbranch_execnz .LBB329_237
.LBB329_129:
	v_lshlrev_b32_e32 v12, 5, v0
	v_sub_u32_e32 v20, v26, v12
	s_mov_b64 s[12:13], 0
	v_cmp_gt_i64_e64 s[10:11], s[26:27], 0
	s_and_b64 vcc, exec, s[30:31]
	ds_write_b64 v20, v[10:11]
	s_cbranch_vccz .LBB329_137
; %bb.130:
	s_waitcnt vmcnt(0) lgkmcnt(1)
	v_mul_lo_u32 v14, v5, s26
	v_mul_lo_u32 v15, v4, s27
	v_mad_u64_u32 v[12:13], s[4:5], v4, s26, 0
	v_cndmask_b32_e64 v16, 0, 1, s[10:11]
	v_cmp_ne_u32_e64 s[4:5], 1, v16
	s_andn2_b64 vcc, exec, s[10:11]
	v_add3_u32 v13, v13, v15, v14
	s_cbranch_vccnz .LBB329_140
; %bb.131:
	v_mov_b32_e32 v15, s17
	v_add_co_u32_e32 v14, vcc, s16, v12
	v_pk_mov_b32 v[16:17], s[16:17], s[16:17] op_sel:[0,1]
	v_addc_co_u32_e32 v15, vcc, v15, v13, vcc
	v_mad_u64_u32 v[16:17], s[12:13], v10, s26, v[16:17]
	v_mul_lo_u32 v18, v10, s27
	v_mul_lo_u32 v19, v11, s26
	v_add3_u32 v17, v19, v17, v18
	global_load_ubyte v18, v[14:15], off
	global_load_ubyte v19, v[16:17], off
	s_mov_b64 s[12:13], -1
	s_waitcnt vmcnt(0)
	v_cmp_eq_u16_e32 vcc, v18, v19
	s_and_saveexec_b64 s[14:15], vcc
	s_cbranch_execz .LBB329_139
; %bb.132:
	s_mov_b64 s[38:39], 1
	s_mov_b64 s[12:13], 0
                                        ; implicit-def: $sgpr36_sgpr37
	s_branch .LBB329_135
.LBB329_133:                            ;   in Loop: Header=BB329_135 Depth=1
	v_mov_b32_e32 v21, s39
	v_add_co_u32_e32 v18, vcc, s38, v14
	v_addc_co_u32_e32 v19, vcc, v15, v21, vcc
	v_add_co_u32_e32 v26, vcc, s38, v16
	v_addc_co_u32_e32 v27, vcc, v17, v21, vcc
	global_load_ubyte v21, v[18:19], off
	global_load_ubyte v28, v[26:27], off
	s_add_u32 s40, s38, 1
	s_addc_u32 s41, s39, 0
	s_andn2_b64 s[36:37], s[36:37], exec
	s_waitcnt vmcnt(0)
	v_cmp_ne_u16_e32 vcc, v21, v28
	s_and_b64 s[42:43], vcc, exec
	s_or_b64 s[36:37], s[36:37], s[42:43]
.LBB329_134:                            ;   in Loop: Header=BB329_135 Depth=1
	s_and_b64 s[42:43], exec, s[36:37]
	s_or_b64 s[12:13], s[42:43], s[12:13]
	v_pk_mov_b32 v[18:19], s[38:39], s[38:39] op_sel:[0,1]
	s_mov_b64 s[38:39], s[40:41]
	s_andn2_b64 exec, exec, s[12:13]
	s_cbranch_execz .LBB329_138
.LBB329_135:                            ; =>This Inner Loop Header: Depth=1
	s_or_b64 s[36:37], s[36:37], exec
	s_cmp_eq_u64 s[26:27], s[38:39]
	s_cbranch_scc0 .LBB329_133
; %bb.136:                              ;   in Loop: Header=BB329_135 Depth=1
                                        ; implicit-def: $sgpr40_sgpr41
	s_mov_b64 s[38:39], s[26:27]
	s_branch .LBB329_134
.LBB329_137:
                                        ; implicit-def: $sgpr12_sgpr13
                                        ; implicit-def: $vgpr13
                                        ; implicit-def: $vgpr16
	s_cbranch_execnz .LBB329_179
	s_branch .LBB329_237
.LBB329_138:
	s_or_b64 exec, exec, s[12:13]
	v_cmp_gt_i64_e32 vcc, s[26:27], v[18:19]
	s_orn2_b64 s[12:13], vcc, exec
.LBB329_139:
	s_or_b64 exec, exec, s[14:15]
.LBB329_140:
	v_mul_lo_u32 v16, v3, s26
	v_mul_lo_u32 v17, v2, s27
	v_mad_u64_u32 v[14:15], s[14:15], v2, s26, 0
	v_add3_u32 v15, v15, v17, v16
	s_mov_b64 s[14:15], 0
	s_and_b64 vcc, exec, s[4:5]
	s_mov_b64 s[36:37], 0
	s_cbranch_vccnz .LBB329_149
; %bb.141:
	v_mov_b32_e32 v17, s17
	v_add_co_u32_e32 v16, vcc, s16, v14
	v_addc_co_u32_e32 v17, vcc, v17, v15, vcc
	v_mov_b32_e32 v18, s17
	v_add_co_u32_e32 v12, vcc, s16, v12
	v_addc_co_u32_e32 v13, vcc, v18, v13, vcc
	global_load_ubyte v18, v[16:17], off
	global_load_ubyte v19, v[12:13], off
	s_mov_b64 s[36:37], -1
	s_waitcnt vmcnt(0)
	v_cmp_eq_u16_e32 vcc, v18, v19
	s_and_saveexec_b64 s[38:39], vcc
	s_cbranch_execz .LBB329_148
; %bb.142:
	s_mov_b64 s[42:43], 1
	s_mov_b64 s[36:37], 0
                                        ; implicit-def: $sgpr40_sgpr41
	s_branch .LBB329_145
.LBB329_143:                            ;   in Loop: Header=BB329_145 Depth=1
	v_mov_b32_e32 v21, s43
	v_add_co_u32_e32 v18, vcc, s42, v16
	v_addc_co_u32_e32 v19, vcc, v17, v21, vcc
	v_add_co_u32_e32 v26, vcc, s42, v12
	v_addc_co_u32_e32 v27, vcc, v13, v21, vcc
	global_load_ubyte v21, v[18:19], off
	global_load_ubyte v28, v[26:27], off
	s_add_u32 s44, s42, 1
	s_addc_u32 s45, s43, 0
	s_andn2_b64 s[40:41], s[40:41], exec
	s_waitcnt vmcnt(0)
	v_cmp_ne_u16_e32 vcc, v21, v28
	s_and_b64 s[46:47], vcc, exec
	s_or_b64 s[40:41], s[40:41], s[46:47]
.LBB329_144:                            ;   in Loop: Header=BB329_145 Depth=1
	s_and_b64 s[46:47], exec, s[40:41]
	s_or_b64 s[36:37], s[46:47], s[36:37]
	v_pk_mov_b32 v[18:19], s[42:43], s[42:43] op_sel:[0,1]
	s_mov_b64 s[42:43], s[44:45]
	s_andn2_b64 exec, exec, s[36:37]
	s_cbranch_execz .LBB329_147
.LBB329_145:                            ; =>This Inner Loop Header: Depth=1
	s_or_b64 s[40:41], s[40:41], exec
	s_cmp_eq_u64 s[26:27], s[42:43]
	s_cbranch_scc0 .LBB329_143
; %bb.146:                              ;   in Loop: Header=BB329_145 Depth=1
                                        ; implicit-def: $sgpr44_sgpr45
	s_mov_b64 s[42:43], s[26:27]
	s_branch .LBB329_144
.LBB329_147:
	s_or_b64 exec, exec, s[36:37]
	v_cmp_gt_i64_e32 vcc, s[26:27], v[18:19]
	s_orn2_b64 s[36:37], vcc, exec
.LBB329_148:
	s_or_b64 exec, exec, s[38:39]
.LBB329_149:
	v_mul_lo_u32 v16, v9, s26
	v_mul_lo_u32 v17, v8, s27
	v_mad_u64_u32 v[12:13], s[38:39], v8, s26, 0
	s_and_b64 vcc, exec, s[4:5]
	v_add3_u32 v13, v13, v17, v16
	s_cbranch_vccnz .LBB329_158
; %bb.150:
	v_mov_b32_e32 v17, s17
	v_add_co_u32_e32 v16, vcc, s16, v12
	v_addc_co_u32_e32 v17, vcc, v17, v13, vcc
	v_mov_b32_e32 v18, s17
	v_add_co_u32_e32 v14, vcc, s16, v14
	v_addc_co_u32_e32 v15, vcc, v18, v15, vcc
	global_load_ubyte v18, v[16:17], off
	global_load_ubyte v19, v[14:15], off
	s_mov_b64 s[14:15], -1
	s_waitcnt vmcnt(0)
	v_cmp_eq_u16_e32 vcc, v18, v19
	s_and_saveexec_b64 s[38:39], vcc
	s_cbranch_execz .LBB329_157
; %bb.151:
	s_mov_b64 s[42:43], 1
	s_mov_b64 s[14:15], 0
                                        ; implicit-def: $sgpr40_sgpr41
	s_branch .LBB329_154
.LBB329_152:                            ;   in Loop: Header=BB329_154 Depth=1
	v_mov_b32_e32 v21, s43
	v_add_co_u32_e32 v18, vcc, s42, v16
	v_addc_co_u32_e32 v19, vcc, v17, v21, vcc
	v_add_co_u32_e32 v26, vcc, s42, v14
	v_addc_co_u32_e32 v27, vcc, v15, v21, vcc
	global_load_ubyte v21, v[18:19], off
	global_load_ubyte v28, v[26:27], off
	s_add_u32 s44, s42, 1
	s_addc_u32 s45, s43, 0
	s_andn2_b64 s[40:41], s[40:41], exec
	s_waitcnt vmcnt(0)
	v_cmp_ne_u16_e32 vcc, v21, v28
	s_and_b64 s[46:47], vcc, exec
	s_or_b64 s[40:41], s[40:41], s[46:47]
.LBB329_153:                            ;   in Loop: Header=BB329_154 Depth=1
	s_and_b64 s[46:47], exec, s[40:41]
	s_or_b64 s[14:15], s[46:47], s[14:15]
	v_pk_mov_b32 v[18:19], s[42:43], s[42:43] op_sel:[0,1]
	s_mov_b64 s[42:43], s[44:45]
	s_andn2_b64 exec, exec, s[14:15]
	s_cbranch_execz .LBB329_156
.LBB329_154:                            ; =>This Inner Loop Header: Depth=1
	s_or_b64 s[40:41], s[40:41], exec
	s_cmp_eq_u64 s[26:27], s[42:43]
	s_cbranch_scc0 .LBB329_152
; %bb.155:                              ;   in Loop: Header=BB329_154 Depth=1
                                        ; implicit-def: $sgpr44_sgpr45
	s_mov_b64 s[42:43], s[26:27]
	s_branch .LBB329_153
.LBB329_156:
	s_or_b64 exec, exec, s[14:15]
	v_cmp_gt_i64_e32 vcc, s[26:27], v[18:19]
	s_orn2_b64 s[14:15], vcc, exec
.LBB329_157:
	s_or_b64 exec, exec, s[38:39]
.LBB329_158:
	v_mul_lo_u32 v16, v7, s26
	v_mul_lo_u32 v17, v6, s27
	v_mad_u64_u32 v[14:15], s[38:39], v6, s26, 0
	v_add3_u32 v15, v15, v17, v16
	s_and_b64 vcc, exec, s[4:5]
	s_mov_b64 s[40:41], 0
	s_cbranch_vccnz .LBB329_167
; %bb.159:
	v_mov_b32_e32 v17, s17
	v_add_co_u32_e32 v16, vcc, s16, v14
	v_addc_co_u32_e32 v17, vcc, v17, v15, vcc
	v_mov_b32_e32 v18, s17
	v_add_co_u32_e32 v12, vcc, s16, v12
	v_addc_co_u32_e32 v13, vcc, v18, v13, vcc
	global_load_ubyte v18, v[16:17], off
	global_load_ubyte v19, v[12:13], off
	s_mov_b64 s[40:41], -1
	s_waitcnt vmcnt(0)
	v_cmp_eq_u16_e32 vcc, v18, v19
	s_and_saveexec_b64 s[38:39], vcc
	s_cbranch_execz .LBB329_166
; %bb.160:
	s_mov_b64 s[44:45], 1
	s_mov_b64 s[40:41], 0
                                        ; implicit-def: $sgpr42_sgpr43
	s_branch .LBB329_163
.LBB329_161:                            ;   in Loop: Header=BB329_163 Depth=1
	v_mov_b32_e32 v21, s45
	v_add_co_u32_e32 v18, vcc, s44, v16
	v_addc_co_u32_e32 v19, vcc, v17, v21, vcc
	v_add_co_u32_e32 v26, vcc, s44, v12
	v_addc_co_u32_e32 v27, vcc, v13, v21, vcc
	global_load_ubyte v21, v[18:19], off
	global_load_ubyte v28, v[26:27], off
	s_add_u32 s46, s44, 1
	s_addc_u32 s47, s45, 0
	s_andn2_b64 s[42:43], s[42:43], exec
	s_waitcnt vmcnt(0)
	v_cmp_ne_u16_e32 vcc, v21, v28
	s_and_b64 s[50:51], vcc, exec
	s_or_b64 s[42:43], s[42:43], s[50:51]
.LBB329_162:                            ;   in Loop: Header=BB329_163 Depth=1
	s_and_b64 s[50:51], exec, s[42:43]
	s_or_b64 s[40:41], s[50:51], s[40:41]
	v_pk_mov_b32 v[18:19], s[44:45], s[44:45] op_sel:[0,1]
	s_mov_b64 s[44:45], s[46:47]
	s_andn2_b64 exec, exec, s[40:41]
	s_cbranch_execz .LBB329_165
.LBB329_163:                            ; =>This Inner Loop Header: Depth=1
	s_or_b64 s[42:43], s[42:43], exec
	s_cmp_eq_u64 s[26:27], s[44:45]
	s_cbranch_scc0 .LBB329_161
; %bb.164:                              ;   in Loop: Header=BB329_163 Depth=1
                                        ; implicit-def: $sgpr46_sgpr47
	s_mov_b64 s[44:45], s[26:27]
	s_branch .LBB329_162
.LBB329_165:
	s_or_b64 exec, exec, s[40:41]
	v_cmp_gt_i64_e32 vcc, s[26:27], v[18:19]
	s_orn2_b64 s[40:41], vcc, exec
.LBB329_166:
	s_or_b64 exec, exec, s[38:39]
.LBB329_167:
	v_cndmask_b32_e64 v13, 0, 1, s[36:37]
	v_cndmask_b32_e64 v16, 0, 1, s[40:41]
	;; [unrolled: 1-line block ×3, first 2 shown]
	v_lshlrev_b16_e32 v16, 8, v16
	v_lshlrev_b16_e32 v13, 8, v13
	v_or_b32_e32 v16, 1, v16
	v_or_b32_sdwa v12, v12, v13 dst_sel:WORD_1 dst_unused:UNUSED_PAD src0_sel:DWORD src1_sel:DWORD
	v_or_b32_sdwa v12, v16, v12 dst_sel:DWORD dst_unused:UNUSED_PAD src0_sel:WORD_0 src1_sel:DWORD
	v_cndmask_b32_e64 v13, 0, 1, s[12:13]
	s_waitcnt lgkmcnt(0)
	s_barrier
	s_waitcnt lgkmcnt(0)
                                        ; implicit-def: $sgpr12_sgpr13
                                        ; implicit-def: $vgpr16
	s_and_saveexec_b64 s[14:15], s[2:3]
	s_xor_b64 s[14:15], exec, s[14:15]
	s_cbranch_execz .LBB329_178
; %bb.168:
	s_mov_b32 s42, 0x3020104
	s_and_b64 vcc, exec, s[4:5]
	s_mov_b64 s[12:13], 0
	s_cbranch_vccnz .LBB329_177
; %bb.169:
	v_add_u32_e32 v16, -8, v20
	ds_read_b64 v[16:17], v16
	v_pk_mov_b32 v[18:19], s[16:17], s[16:17] op_sel:[0,1]
	v_add_co_u32_e32 v14, vcc, s16, v14
	s_mov_b64 s[12:13], -1
	s_waitcnt lgkmcnt(0)
	v_mul_lo_u32 v21, v16, s27
	v_mul_lo_u32 v26, v17, s26
	v_mad_u64_u32 v[16:17], s[4:5], v16, s26, v[18:19]
	v_mov_b32_e32 v18, s17
	v_addc_co_u32_e32 v15, vcc, v18, v15, vcc
	v_add3_u32 v17, v26, v17, v21
	global_load_ubyte v18, v[14:15], off
	global_load_ubyte v19, v[16:17], off
	s_waitcnt vmcnt(0)
	v_cmp_eq_u16_e32 vcc, v19, v18
	s_and_saveexec_b64 s[4:5], vcc
	s_cbranch_execz .LBB329_176
; %bb.170:
	s_mov_b64 s[38:39], 1
	s_mov_b64 s[12:13], 0
                                        ; implicit-def: $sgpr36_sgpr37
	s_branch .LBB329_173
.LBB329_171:                            ;   in Loop: Header=BB329_173 Depth=1
	v_mov_b32_e32 v21, s39
	v_add_co_u32_e32 v18, vcc, s38, v16
	v_addc_co_u32_e32 v19, vcc, v17, v21, vcc
	v_add_co_u32_e32 v26, vcc, s38, v14
	v_addc_co_u32_e32 v27, vcc, v15, v21, vcc
	global_load_ubyte v21, v[18:19], off
	global_load_ubyte v28, v[26:27], off
	s_add_u32 s40, s38, 1
	s_addc_u32 s41, s39, 0
	s_andn2_b64 s[36:37], s[36:37], exec
	s_waitcnt vmcnt(0)
	v_cmp_ne_u16_e32 vcc, v21, v28
	s_and_b64 s[44:45], vcc, exec
	s_or_b64 s[36:37], s[36:37], s[44:45]
.LBB329_172:                            ;   in Loop: Header=BB329_173 Depth=1
	s_and_b64 s[44:45], exec, s[36:37]
	s_or_b64 s[12:13], s[44:45], s[12:13]
	v_pk_mov_b32 v[18:19], s[38:39], s[38:39] op_sel:[0,1]
	s_mov_b64 s[38:39], s[40:41]
	s_andn2_b64 exec, exec, s[12:13]
	s_cbranch_execz .LBB329_175
.LBB329_173:                            ; =>This Inner Loop Header: Depth=1
	s_or_b64 s[36:37], s[36:37], exec
	s_cmp_eq_u64 s[26:27], s[38:39]
	s_cbranch_scc0 .LBB329_171
; %bb.174:                              ;   in Loop: Header=BB329_173 Depth=1
                                        ; implicit-def: $sgpr40_sgpr41
	s_mov_b64 s[38:39], s[26:27]
	s_branch .LBB329_172
.LBB329_175:
	s_or_b64 exec, exec, s[12:13]
	v_cmp_gt_i64_e32 vcc, s[26:27], v[18:19]
	s_orn2_b64 s[12:13], vcc, exec
.LBB329_176:
	s_or_b64 exec, exec, s[4:5]
.LBB329_177:
	v_perm_b32 v16, v12, v12, s42
	s_and_b64 s[12:13], s[12:13], exec
	s_or_b64 s[8:9], s[8:9], exec
.LBB329_178:
	s_or_b64 exec, exec, s[14:15]
	s_branch .LBB329_237
.LBB329_179:
	v_cmp_gt_u32_e32 vcc, s48, v23
	s_mov_b64 s[12:13], 0
	s_mov_b64 s[4:5], 0
	s_and_saveexec_b64 s[14:15], vcc
	s_cbranch_execz .LBB329_190
; %bb.180:
	s_andn2_b64 vcc, exec, s[10:11]
	s_mov_b64 s[36:37], 0
	s_cbranch_vccnz .LBB329_189
; %bb.181:
	s_waitcnt vmcnt(0) lgkmcnt(1)
	v_pk_mov_b32 v[14:15], s[16:17], s[16:17] op_sel:[0,1]
	v_mad_u64_u32 v[12:13], s[4:5], v4, s26, v[14:15]
	v_mul_lo_u32 v16, v4, s27
	v_mul_lo_u32 v17, v5, s26
	v_add3_u32 v13, v17, v13, v16
	v_mad_u64_u32 v[14:15], s[4:5], v10, s26, v[14:15]
	v_mul_lo_u32 v16, v10, s27
	v_mul_lo_u32 v17, v11, s26
	v_add3_u32 v15, v17, v15, v16
	global_load_ubyte v16, v[12:13], off
	global_load_ubyte v17, v[14:15], off
	s_mov_b64 s[36:37], -1
	s_waitcnt vmcnt(0)
	v_cmp_eq_u16_e32 vcc, v16, v17
	s_and_saveexec_b64 s[4:5], vcc
	s_cbranch_execz .LBB329_188
; %bb.182:
	s_mov_b64 s[40:41], 1
	s_mov_b64 s[36:37], 0
                                        ; implicit-def: $sgpr38_sgpr39
	s_branch .LBB329_185
.LBB329_183:                            ;   in Loop: Header=BB329_185 Depth=1
	v_mov_b32_e32 v19, s41
	v_add_co_u32_e32 v16, vcc, s40, v12
	v_addc_co_u32_e32 v17, vcc, v13, v19, vcc
	v_add_co_u32_e32 v18, vcc, s40, v14
	v_addc_co_u32_e32 v19, vcc, v15, v19, vcc
	global_load_ubyte v21, v[16:17], off
	global_load_ubyte v26, v[18:19], off
	s_add_u32 s42, s40, 1
	s_addc_u32 s43, s41, 0
	s_andn2_b64 s[38:39], s[38:39], exec
	s_waitcnt vmcnt(0)
	v_cmp_ne_u16_e32 vcc, v21, v26
	s_and_b64 s[44:45], vcc, exec
	s_or_b64 s[38:39], s[38:39], s[44:45]
.LBB329_184:                            ;   in Loop: Header=BB329_185 Depth=1
	s_and_b64 s[44:45], exec, s[38:39]
	s_or_b64 s[36:37], s[44:45], s[36:37]
	v_pk_mov_b32 v[16:17], s[40:41], s[40:41] op_sel:[0,1]
	s_mov_b64 s[40:41], s[42:43]
	s_andn2_b64 exec, exec, s[36:37]
	s_cbranch_execz .LBB329_187
.LBB329_185:                            ; =>This Inner Loop Header: Depth=1
	s_or_b64 s[38:39], s[38:39], exec
	s_cmp_eq_u64 s[26:27], s[40:41]
	s_cbranch_scc0 .LBB329_183
; %bb.186:                              ;   in Loop: Header=BB329_185 Depth=1
                                        ; implicit-def: $sgpr42_sgpr43
	s_mov_b64 s[40:41], s[26:27]
	s_branch .LBB329_184
.LBB329_187:
	s_or_b64 exec, exec, s[36:37]
	v_cmp_gt_i64_e32 vcc, s[26:27], v[16:17]
	s_orn2_b64 s[36:37], vcc, exec
.LBB329_188:
	s_or_b64 exec, exec, s[4:5]
.LBB329_189:
	s_and_b64 s[4:5], s[36:37], exec
.LBB329_190:
	s_or_b64 exec, exec, s[14:15]
	v_cmp_gt_u32_e32 vcc, s48, v25
	s_and_saveexec_b64 s[14:15], vcc
	s_cbranch_execz .LBB329_201
; %bb.191:
	s_andn2_b64 vcc, exec, s[10:11]
	s_mov_b64 s[36:37], 0
	s_cbranch_vccnz .LBB329_200
; %bb.192:
	s_waitcnt vmcnt(0) lgkmcnt(1)
	v_pk_mov_b32 v[14:15], s[16:17], s[16:17] op_sel:[0,1]
	v_mad_u64_u32 v[12:13], s[12:13], v2, s26, v[14:15]
	v_mul_lo_u32 v16, v2, s27
	v_mul_lo_u32 v17, v3, s26
	v_add3_u32 v13, v17, v13, v16
	v_mad_u64_u32 v[14:15], s[12:13], v4, s26, v[14:15]
	v_mul_lo_u32 v16, v4, s27
	v_mul_lo_u32 v17, v5, s26
	v_add3_u32 v15, v17, v15, v16
	global_load_ubyte v16, v[12:13], off
	global_load_ubyte v17, v[14:15], off
	s_mov_b64 s[36:37], -1
	s_waitcnt vmcnt(0)
	v_cmp_eq_u16_e32 vcc, v16, v17
	s_and_saveexec_b64 s[12:13], vcc
	s_cbranch_execz .LBB329_199
; %bb.193:
	s_mov_b64 s[40:41], 1
	s_mov_b64 s[36:37], 0
                                        ; implicit-def: $sgpr38_sgpr39
	s_branch .LBB329_196
.LBB329_194:                            ;   in Loop: Header=BB329_196 Depth=1
	v_mov_b32_e32 v19, s41
	v_add_co_u32_e32 v16, vcc, s40, v12
	v_addc_co_u32_e32 v17, vcc, v13, v19, vcc
	v_add_co_u32_e32 v18, vcc, s40, v14
	v_addc_co_u32_e32 v19, vcc, v15, v19, vcc
	global_load_ubyte v21, v[16:17], off
	global_load_ubyte v26, v[18:19], off
	s_add_u32 s42, s40, 1
	s_addc_u32 s43, s41, 0
	s_andn2_b64 s[38:39], s[38:39], exec
	s_waitcnt vmcnt(0)
	v_cmp_ne_u16_e32 vcc, v21, v26
	s_and_b64 s[44:45], vcc, exec
	s_or_b64 s[38:39], s[38:39], s[44:45]
.LBB329_195:                            ;   in Loop: Header=BB329_196 Depth=1
	s_and_b64 s[44:45], exec, s[38:39]
	s_or_b64 s[36:37], s[44:45], s[36:37]
	v_pk_mov_b32 v[16:17], s[40:41], s[40:41] op_sel:[0,1]
	s_mov_b64 s[40:41], s[42:43]
	s_andn2_b64 exec, exec, s[36:37]
	s_cbranch_execz .LBB329_198
.LBB329_196:                            ; =>This Inner Loop Header: Depth=1
	s_or_b64 s[38:39], s[38:39], exec
	s_cmp_eq_u64 s[26:27], s[40:41]
	s_cbranch_scc0 .LBB329_194
; %bb.197:                              ;   in Loop: Header=BB329_196 Depth=1
                                        ; implicit-def: $sgpr42_sgpr43
	s_mov_b64 s[40:41], s[26:27]
	s_branch .LBB329_195
.LBB329_198:
	s_or_b64 exec, exec, s[36:37]
	v_cmp_gt_i64_e32 vcc, s[26:27], v[16:17]
	s_orn2_b64 s[36:37], vcc, exec
.LBB329_199:
	s_or_b64 exec, exec, s[12:13]
.LBB329_200:
	s_and_b64 s[12:13], s[36:37], exec
.LBB329_201:
	s_or_b64 exec, exec, s[14:15]
	v_cmp_gt_u32_e32 vcc, s48, v22
	s_mov_b64 s[14:15], 0
	s_mov_b64 s[36:37], 0
	s_and_saveexec_b64 s[38:39], vcc
	s_cbranch_execz .LBB329_212
; %bb.202:
	s_andn2_b64 vcc, exec, s[10:11]
	s_mov_b64 s[40:41], 0
	s_cbranch_vccnz .LBB329_211
; %bb.203:
	s_waitcnt vmcnt(0) lgkmcnt(1)
	v_pk_mov_b32 v[14:15], s[16:17], s[16:17] op_sel:[0,1]
	v_mad_u64_u32 v[12:13], s[36:37], v8, s26, v[14:15]
	v_mul_lo_u32 v16, v8, s27
	v_mul_lo_u32 v17, v9, s26
	v_add3_u32 v13, v17, v13, v16
	v_mad_u64_u32 v[14:15], s[36:37], v2, s26, v[14:15]
	v_mul_lo_u32 v16, v2, s27
	v_mul_lo_u32 v17, v3, s26
	v_add3_u32 v15, v17, v15, v16
	global_load_ubyte v16, v[12:13], off
	global_load_ubyte v17, v[14:15], off
	s_mov_b64 s[40:41], -1
	s_waitcnt vmcnt(0)
	v_cmp_eq_u16_e32 vcc, v16, v17
	s_and_saveexec_b64 s[36:37], vcc
	s_cbranch_execz .LBB329_210
; %bb.204:
	s_mov_b64 s[44:45], 1
	s_mov_b64 s[40:41], 0
                                        ; implicit-def: $sgpr42_sgpr43
	s_branch .LBB329_207
.LBB329_205:                            ;   in Loop: Header=BB329_207 Depth=1
	v_mov_b32_e32 v19, s45
	v_add_co_u32_e32 v16, vcc, s44, v12
	v_addc_co_u32_e32 v17, vcc, v13, v19, vcc
	v_add_co_u32_e32 v18, vcc, s44, v14
	v_addc_co_u32_e32 v19, vcc, v15, v19, vcc
	global_load_ubyte v21, v[16:17], off
	global_load_ubyte v26, v[18:19], off
	s_add_u32 s46, s44, 1
	s_addc_u32 s47, s45, 0
	s_andn2_b64 s[42:43], s[42:43], exec
	s_waitcnt vmcnt(0)
	v_cmp_ne_u16_e32 vcc, v21, v26
	s_and_b64 s[50:51], vcc, exec
	s_or_b64 s[42:43], s[42:43], s[50:51]
.LBB329_206:                            ;   in Loop: Header=BB329_207 Depth=1
	s_and_b64 s[50:51], exec, s[42:43]
	s_or_b64 s[40:41], s[50:51], s[40:41]
	v_pk_mov_b32 v[16:17], s[44:45], s[44:45] op_sel:[0,1]
	s_mov_b64 s[44:45], s[46:47]
	s_andn2_b64 exec, exec, s[40:41]
	s_cbranch_execz .LBB329_209
.LBB329_207:                            ; =>This Inner Loop Header: Depth=1
	s_or_b64 s[42:43], s[42:43], exec
	s_cmp_eq_u64 s[26:27], s[44:45]
	s_cbranch_scc0 .LBB329_205
; %bb.208:                              ;   in Loop: Header=BB329_207 Depth=1
                                        ; implicit-def: $sgpr46_sgpr47
	s_mov_b64 s[44:45], s[26:27]
	s_branch .LBB329_206
.LBB329_209:
	s_or_b64 exec, exec, s[40:41]
	v_cmp_gt_i64_e32 vcc, s[26:27], v[16:17]
	s_orn2_b64 s[40:41], vcc, exec
.LBB329_210:
	s_or_b64 exec, exec, s[36:37]
.LBB329_211:
	s_and_b64 s[36:37], s[40:41], exec
.LBB329_212:
	s_or_b64 exec, exec, s[38:39]
	v_cmp_gt_u32_e32 vcc, s48, v24
	s_and_saveexec_b64 s[38:39], vcc
	s_cbranch_execz .LBB329_223
; %bb.213:
	s_andn2_b64 vcc, exec, s[10:11]
	s_mov_b64 s[40:41], 0
	s_cbranch_vccnz .LBB329_222
; %bb.214:
	s_waitcnt vmcnt(0) lgkmcnt(1)
	v_pk_mov_b32 v[14:15], s[16:17], s[16:17] op_sel:[0,1]
	v_mad_u64_u32 v[12:13], s[14:15], v6, s26, v[14:15]
	v_mul_lo_u32 v16, v6, s27
	v_mul_lo_u32 v17, v7, s26
	v_add3_u32 v13, v17, v13, v16
	v_mad_u64_u32 v[14:15], s[14:15], v8, s26, v[14:15]
	v_mul_lo_u32 v16, v8, s27
	v_mul_lo_u32 v17, v9, s26
	v_add3_u32 v15, v17, v15, v16
	global_load_ubyte v16, v[12:13], off
	global_load_ubyte v17, v[14:15], off
	s_mov_b64 s[40:41], -1
	s_waitcnt vmcnt(0)
	v_cmp_eq_u16_e32 vcc, v16, v17
	s_and_saveexec_b64 s[14:15], vcc
	s_cbranch_execz .LBB329_221
; %bb.215:
	s_mov_b64 s[44:45], 1
	s_mov_b64 s[40:41], 0
                                        ; implicit-def: $sgpr42_sgpr43
	s_branch .LBB329_218
.LBB329_216:                            ;   in Loop: Header=BB329_218 Depth=1
	v_mov_b32_e32 v19, s45
	v_add_co_u32_e32 v16, vcc, s44, v12
	v_addc_co_u32_e32 v17, vcc, v13, v19, vcc
	v_add_co_u32_e32 v18, vcc, s44, v14
	v_addc_co_u32_e32 v19, vcc, v15, v19, vcc
	global_load_ubyte v21, v[16:17], off
	global_load_ubyte v26, v[18:19], off
	s_add_u32 s46, s44, 1
	s_addc_u32 s47, s45, 0
	s_andn2_b64 s[42:43], s[42:43], exec
	s_waitcnt vmcnt(0)
	v_cmp_ne_u16_e32 vcc, v21, v26
	s_and_b64 s[50:51], vcc, exec
	s_or_b64 s[42:43], s[42:43], s[50:51]
.LBB329_217:                            ;   in Loop: Header=BB329_218 Depth=1
	s_and_b64 s[50:51], exec, s[42:43]
	s_or_b64 s[40:41], s[50:51], s[40:41]
	v_pk_mov_b32 v[16:17], s[44:45], s[44:45] op_sel:[0,1]
	s_mov_b64 s[44:45], s[46:47]
	s_andn2_b64 exec, exec, s[40:41]
	s_cbranch_execz .LBB329_220
.LBB329_218:                            ; =>This Inner Loop Header: Depth=1
	s_or_b64 s[42:43], s[42:43], exec
	s_cmp_eq_u64 s[26:27], s[44:45]
	s_cbranch_scc0 .LBB329_216
; %bb.219:                              ;   in Loop: Header=BB329_218 Depth=1
                                        ; implicit-def: $sgpr46_sgpr47
	s_mov_b64 s[44:45], s[26:27]
	s_branch .LBB329_217
.LBB329_220:
	s_or_b64 exec, exec, s[40:41]
	v_cmp_gt_i64_e32 vcc, s[26:27], v[16:17]
	s_orn2_b64 s[40:41], vcc, exec
.LBB329_221:
	s_or_b64 exec, exec, s[14:15]
.LBB329_222:
	s_and_b64 s[14:15], s[40:41], exec
.LBB329_223:
	s_or_b64 exec, exec, s[38:39]
	v_cndmask_b32_e64 v13, 0, 1, s[12:13]
	s_waitcnt vmcnt(0) lgkmcnt(1)
	v_cndmask_b32_e64 v14, 0, 1, s[14:15]
	v_cndmask_b32_e64 v12, 0, 1, s[36:37]
	v_lshlrev_b16_e32 v14, 8, v14
	v_lshlrev_b16_e32 v13, 8, v13
	v_or_b32_e32 v14, 1, v14
	v_or_b32_sdwa v12, v12, v13 dst_sel:WORD_1 dst_unused:UNUSED_PAD src0_sel:DWORD src1_sel:DWORD
	v_or_b32_sdwa v12, v14, v12 dst_sel:DWORD dst_unused:UNUSED_PAD src0_sel:WORD_0 src1_sel:DWORD
	v_cndmask_b32_e64 v13, 0, 1, s[4:5]
	s_waitcnt lgkmcnt(0)
	s_barrier
	s_waitcnt lgkmcnt(0)
                                        ; implicit-def: $sgpr12_sgpr13
                                        ; implicit-def: $vgpr16
	s_and_saveexec_b64 s[4:5], s[2:3]
	s_cbranch_execz .LBB329_236
; %bb.224:
	v_cmp_gt_u32_e32 vcc, s48, v1
	s_mov_b32 s38, 0x3020104
	s_mov_b64 s[12:13], 0
	s_and_saveexec_b64 s[2:3], vcc
	s_cbranch_execz .LBB329_235
; %bb.225:
	s_andn2_b64 vcc, exec, s[10:11]
	s_cbranch_vccnz .LBB329_234
; %bb.226:
	v_add_u32_e32 v14, -8, v20
	ds_read_b64 v[14:15], v14
	v_pk_mov_b32 v[16:17], s[16:17], s[16:17] op_sel:[0,1]
	s_mov_b64 s[12:13], -1
	s_waitcnt lgkmcnt(0)
	v_mul_lo_u32 v18, v14, s27
	v_mul_lo_u32 v19, v15, s26
	v_mad_u64_u32 v[14:15], s[10:11], v14, s26, v[16:17]
	v_add3_u32 v15, v19, v15, v18
	v_mad_u64_u32 v[16:17], s[10:11], v6, s26, v[16:17]
	v_mul_lo_u32 v18, v6, s27
	v_mul_lo_u32 v19, v7, s26
	v_add3_u32 v17, v19, v17, v18
	global_load_ubyte v18, v[14:15], off
	global_load_ubyte v19, v[16:17], off
	s_waitcnt vmcnt(0)
	v_cmp_eq_u16_e32 vcc, v18, v19
	s_and_saveexec_b64 s[10:11], vcc
	s_cbranch_execz .LBB329_233
; %bb.227:
	s_mov_b64 s[16:17], 1
	s_mov_b64 s[12:13], 0
                                        ; implicit-def: $sgpr14_sgpr15
	s_branch .LBB329_230
.LBB329_228:                            ;   in Loop: Header=BB329_230 Depth=1
	v_mov_b32_e32 v21, s17
	v_add_co_u32_e32 v18, vcc, s16, v14
	v_addc_co_u32_e32 v19, vcc, v15, v21, vcc
	v_add_co_u32_e32 v20, vcc, s16, v16
	v_addc_co_u32_e32 v21, vcc, v17, v21, vcc
	global_load_ubyte v26, v[18:19], off
	global_load_ubyte v27, v[20:21], off
	s_add_u32 s36, s16, 1
	s_addc_u32 s37, s17, 0
	s_andn2_b64 s[14:15], s[14:15], exec
	s_waitcnt vmcnt(0)
	v_cmp_ne_u16_e32 vcc, v26, v27
	s_and_b64 s[40:41], vcc, exec
	s_or_b64 s[14:15], s[14:15], s[40:41]
.LBB329_229:                            ;   in Loop: Header=BB329_230 Depth=1
	s_and_b64 s[40:41], exec, s[14:15]
	s_or_b64 s[12:13], s[40:41], s[12:13]
	v_pk_mov_b32 v[18:19], s[16:17], s[16:17] op_sel:[0,1]
	s_mov_b64 s[16:17], s[36:37]
	s_andn2_b64 exec, exec, s[12:13]
	s_cbranch_execz .LBB329_232
.LBB329_230:                            ; =>This Inner Loop Header: Depth=1
	s_or_b64 s[14:15], s[14:15], exec
	s_cmp_eq_u64 s[26:27], s[16:17]
	s_cbranch_scc0 .LBB329_228
; %bb.231:                              ;   in Loop: Header=BB329_230 Depth=1
                                        ; implicit-def: $sgpr36_sgpr37
	s_mov_b64 s[16:17], s[26:27]
	s_branch .LBB329_229
.LBB329_232:
	s_or_b64 exec, exec, s[12:13]
	v_cmp_gt_i64_e32 vcc, s[26:27], v[18:19]
	s_orn2_b64 s[12:13], vcc, exec
.LBB329_233:
	s_or_b64 exec, exec, s[10:11]
.LBB329_234:
	s_and_b64 s[12:13], s[12:13], exec
.LBB329_235:
	s_or_b64 exec, exec, s[2:3]
	v_perm_b32 v16, v12, v12, s38
	s_and_b64 s[12:13], s[12:13], exec
	s_or_b64 s[8:9], s[8:9], exec
.LBB329_236:
	s_or_b64 exec, exec, s[4:5]
.LBB329_237:
	s_and_saveexec_b64 s[2:3], s[8:9]
	s_cbranch_execz .LBB329_239
; %bb.238:
	s_waitcnt vmcnt(0) lgkmcnt(0)
	v_lshrrev_b32_e32 v14, 24, v16
	s_movk_i32 s4, 0xff
	v_lshlrev_b16_e32 v14, 8, v14
	v_and_b32_sdwa v15, v16, s4 dst_sel:DWORD dst_unused:UNUSED_PAD src0_sel:WORD_1 src1_sel:DWORD
	v_or_b32_sdwa v14, v15, v14 dst_sel:WORD_1 dst_unused:UNUSED_PAD src0_sel:DWORD src1_sel:DWORD
	v_mov_b32_e32 v15, 8
	v_cndmask_b32_e64 v12, 0, 1, s[12:13]
	v_lshrrev_b32_sdwa v15, v15, v16 dst_sel:BYTE_1 dst_unused:UNUSED_PAD src0_sel:DWORD src1_sel:DWORD
	v_or_b32_e32 v12, v12, v15
	s_mov_b32 s4, 0xffff
	v_or_b32_sdwa v12, v12, v14 dst_sel:DWORD dst_unused:UNUSED_PAD src0_sel:WORD_0 src1_sel:DWORD
	v_and_b32_sdwa v13, s4, v13 dst_sel:DWORD dst_unused:UNUSED_PAD src0_sel:DWORD src1_sel:BYTE_0
.LBB329_239:
	s_or_b64 exec, exec, s[2:3]
	s_andn2_b64 vcc, exec, s[6:7]
	s_cbranch_vccnz .LBB329_241
; %bb.240:
	v_cmp_gt_u32_e32 vcc, s48, v1
	v_cndmask_b32_e32 v1, 0, v12, vcc
	v_and_b32_e32 v1, 0xffff00ff, v1
	v_cmp_gt_u32_e64 s[2:3], s48, v24
	v_cndmask_b32_e64 v1, v1, v12, s[2:3]
	s_waitcnt vmcnt(0) lgkmcnt(0)
	v_lshrrev_b32_e32 v14, 24, v1
	s_mov_b32 s4, 0x40c0100
	v_perm_b32 v1, v14, v1, s4
	v_cmp_gt_u32_e64 s[4:5], s48, v22
	v_cmp_gt_u32_e64 s[6:7], s48, v25
	v_cndmask_b32_e64 v1, v1, v12, s[4:5]
	s_or_b64 s[4:5], s[6:7], s[4:5]
	s_or_b64 s[2:3], s[4:5], s[2:3]
	s_or_b64 vcc, s[2:3], vcc
	v_and_b32_e32 v1, 0xffffff, v1
	v_cndmask_b32_e32 v14, 0, v13, vcc
	v_cndmask_b32_e64 v1, v1, v12, s[6:7]
	v_and_b32_e32 v14, 0xffffff00, v14
	v_cmp_gt_u32_e32 vcc, s48, v23
	v_cndmask_b32_e32 v1, v1, v12, vcc
	v_cndmask_b32_e32 v12, v14, v13, vcc
	s_mov_b32 s2, 0x3020104
	v_and_b32_e32 v13, 0xff, v12
	v_perm_b32 v12, v1, v1, s2
.LBB329_241:
	v_and_b32_e32 v1, 0xff, v12
	v_bfe_u32 v25, v12, 8, 8
	v_bfe_u32 v27, v12, 16, 8
	s_waitcnt vmcnt(0) lgkmcnt(0)
	v_alignbit_b32 v14, v13, v12, 24
	v_and_b32_e32 v28, 0xff, v14
	v_and_b32_e32 v14, 0xff, v13
	v_add3_u32 v15, v25, v1, v27
	v_add3_u32 v31, v15, v28, v14
	v_mbcnt_lo_u32_b32 v14, -1, 0
	v_mbcnt_hi_u32_b32 v29, -1, v14
	v_and_b32_e32 v14, 15, v29
	v_cmp_eq_u32_e64 s[14:15], 0, v14
	v_cmp_lt_u32_e64 s[12:13], 1, v14
	v_cmp_lt_u32_e64 s[10:11], 3, v14
	;; [unrolled: 1-line block ×3, first 2 shown]
	v_and_b32_e32 v14, 16, v29
	v_cmp_eq_u32_e64 s[6:7], 0, v14
	v_or_b32_e32 v14, 63, v0
	v_cmp_lt_u32_e64 s[2:3], 31, v29
	v_lshrrev_b32_e32 v30, 6, v0
	v_cmp_eq_u32_e64 s[4:5], v14, v0
	s_and_b64 vcc, exec, s[34:35]
	s_barrier
	s_cbranch_vccz .LBB329_272
; %bb.242:
	v_mov_b32_dpp v14, v31 row_shr:1 row_mask:0xf bank_mask:0xf
	v_cndmask_b32_e64 v14, v14, 0, s[14:15]
	v_add_u32_e32 v14, v14, v31
	s_nop 1
	v_mov_b32_dpp v15, v14 row_shr:2 row_mask:0xf bank_mask:0xf
	v_cndmask_b32_e64 v15, 0, v15, s[12:13]
	v_add_u32_e32 v14, v14, v15
	s_nop 1
	;; [unrolled: 4-line block ×4, first 2 shown]
	v_mov_b32_dpp v15, v14 row_bcast:15 row_mask:0xf bank_mask:0xf
	v_cndmask_b32_e64 v15, v15, 0, s[6:7]
	v_add_u32_e32 v14, v14, v15
	s_nop 1
	v_mov_b32_dpp v15, v14 row_bcast:31 row_mask:0xf bank_mask:0xf
	v_cndmask_b32_e64 v15, 0, v15, s[2:3]
	v_add_u32_e32 v14, v14, v15
	s_and_saveexec_b64 s[16:17], s[4:5]
	s_cbranch_execz .LBB329_244
; %bb.243:
	v_lshlrev_b32_e32 v15, 2, v30
	ds_write_b32 v15, v14
.LBB329_244:
	s_or_b64 exec, exec, s[16:17]
	v_cmp_gt_u32_e32 vcc, 4, v0
	s_waitcnt lgkmcnt(0)
	s_barrier
	s_and_saveexec_b64 s[16:17], vcc
	s_cbranch_execz .LBB329_246
; %bb.245:
	v_lshlrev_b32_e32 v15, 2, v0
	ds_read_b32 v16, v15
	v_and_b32_e32 v17, 3, v29
	v_cmp_ne_u32_e32 vcc, 0, v17
	s_waitcnt lgkmcnt(0)
	v_mov_b32_dpp v18, v16 row_shr:1 row_mask:0xf bank_mask:0xf
	v_cndmask_b32_e32 v18, 0, v18, vcc
	v_add_u32_e32 v16, v18, v16
	v_cmp_lt_u32_e32 vcc, 1, v17
	s_nop 0
	v_mov_b32_dpp v18, v16 row_shr:2 row_mask:0xf bank_mask:0xf
	v_cndmask_b32_e32 v17, 0, v18, vcc
	v_add_u32_e32 v16, v16, v17
	ds_write_b32 v15, v16
.LBB329_246:
	s_or_b64 exec, exec, s[16:17]
	v_cmp_gt_u32_e32 vcc, 64, v0
	v_cmp_lt_u32_e64 s[16:17], 63, v0
	s_waitcnt lgkmcnt(0)
	s_barrier
	s_waitcnt lgkmcnt(0)
                                        ; implicit-def: $vgpr24
	s_and_saveexec_b64 s[26:27], s[16:17]
	s_cbranch_execz .LBB329_248
; %bb.247:
	v_lshl_add_u32 v15, v30, 2, -4
	ds_read_b32 v24, v15
	s_waitcnt lgkmcnt(0)
	v_add_u32_e32 v14, v24, v14
.LBB329_248:
	s_or_b64 exec, exec, s[26:27]
	v_add_u32_e32 v15, -1, v29
	v_and_b32_e32 v16, 64, v29
	v_cmp_lt_i32_e64 s[16:17], v15, v16
	v_cndmask_b32_e64 v15, v15, v29, s[16:17]
	v_lshlrev_b32_e32 v15, 2, v15
	ds_bpermute_b32 v26, v15, v14
	v_cmp_eq_u32_e64 s[16:17], 0, v29
	s_and_saveexec_b64 s[26:27], vcc
	s_cbranch_execz .LBB329_271
; %bb.249:
	v_mov_b32_e32 v23, 0
	ds_read_b32 v14, v23 offset:12
	s_and_saveexec_b64 s[34:35], s[16:17]
	s_cbranch_execz .LBB329_251
; %bb.250:
	s_add_i32 s36, s33, 64
	s_mov_b32 s37, 0
	s_lshl_b64 s[36:37], s[36:37], 3
	s_add_u32 s36, s18, s36
	v_mov_b32_e32 v15, 1
	s_addc_u32 s37, s19, s37
	s_waitcnt lgkmcnt(0)
	global_store_dwordx2 v23, v[14:15], s[36:37]
.LBB329_251:
	s_or_b64 exec, exec, s[34:35]
	v_xad_u32 v16, v29, -1, s33
	v_add_u32_e32 v22, 64, v16
	v_lshlrev_b64 v[18:19], 3, v[22:23]
	v_mov_b32_e32 v15, s19
	v_add_co_u32_e32 v18, vcc, s18, v18
	v_addc_co_u32_e32 v19, vcc, v15, v19, vcc
	global_load_dwordx2 v[20:21], v[18:19], off glc
	s_waitcnt vmcnt(0)
	v_cmp_eq_u16_sdwa s[36:37], v21, v23 src0_sel:BYTE_0 src1_sel:DWORD
	s_and_saveexec_b64 s[34:35], s[36:37]
	s_cbranch_execz .LBB329_257
; %bb.252:
	s_mov_b32 s38, 1
	s_mov_b64 s[36:37], 0
	v_mov_b32_e32 v15, 0
.LBB329_253:                            ; =>This Loop Header: Depth=1
                                        ;     Child Loop BB329_254 Depth 2
	s_max_u32 s39, s38, 1
.LBB329_254:                            ;   Parent Loop BB329_253 Depth=1
                                        ; =>  This Inner Loop Header: Depth=2
	s_add_i32 s39, s39, -1
	s_cmp_eq_u32 s39, 0
	s_sleep 1
	s_cbranch_scc0 .LBB329_254
; %bb.255:                              ;   in Loop: Header=BB329_253 Depth=1
	global_load_dwordx2 v[20:21], v[18:19], off glc
	s_cmp_lt_u32 s38, 32
	s_cselect_b64 s[40:41], -1, 0
	s_cmp_lg_u64 s[40:41], 0
	s_addc_u32 s38, s38, 0
	s_waitcnt vmcnt(0)
	v_cmp_ne_u16_sdwa s[40:41], v21, v15 src0_sel:BYTE_0 src1_sel:DWORD
	s_or_b64 s[36:37], s[40:41], s[36:37]
	s_andn2_b64 exec, exec, s[36:37]
	s_cbranch_execnz .LBB329_253
; %bb.256:
	s_or_b64 exec, exec, s[36:37]
.LBB329_257:
	s_or_b64 exec, exec, s[34:35]
	v_and_b32_e32 v32, 63, v29
	v_mov_b32_e32 v15, 2
	v_cmp_ne_u32_e32 vcc, 63, v32
	v_cmp_eq_u16_sdwa s[34:35], v21, v15 src0_sel:BYTE_0 src1_sel:DWORD
	v_lshlrev_b64 v[18:19], v29, -1
	v_addc_co_u32_e32 v23, vcc, 0, v29, vcc
	v_and_b32_e32 v17, s35, v19
	v_lshlrev_b32_e32 v33, 2, v23
	v_or_b32_e32 v17, 0x80000000, v17
	ds_bpermute_b32 v23, v33, v20
	v_and_b32_e32 v22, s34, v18
	v_ffbl_b32_e32 v17, v17
	v_add_u32_e32 v17, 32, v17
	v_ffbl_b32_e32 v22, v22
	v_min_u32_e32 v17, v22, v17
	v_cmp_lt_u32_e32 vcc, v32, v17
	s_waitcnt lgkmcnt(0)
	v_cndmask_b32_e32 v22, 0, v23, vcc
	v_cmp_gt_u32_e32 vcc, 62, v32
	v_add_u32_e32 v20, v22, v20
	v_cndmask_b32_e64 v22, 0, 1, vcc
	v_lshlrev_b32_e32 v22, 1, v22
	v_add_lshl_u32 v34, v22, v29, 2
	ds_bpermute_b32 v22, v34, v20
	v_add_u32_e32 v35, 2, v32
	v_cmp_le_u32_e32 vcc, v35, v17
	v_add_u32_e32 v37, 4, v32
	v_add_u32_e32 v39, 8, v32
	s_waitcnt lgkmcnt(0)
	v_cndmask_b32_e32 v22, 0, v22, vcc
	v_cmp_gt_u32_e32 vcc, 60, v32
	v_add_u32_e32 v20, v20, v22
	v_cndmask_b32_e64 v22, 0, 1, vcc
	v_lshlrev_b32_e32 v22, 2, v22
	v_add_lshl_u32 v36, v22, v29, 2
	ds_bpermute_b32 v22, v36, v20
	v_cmp_le_u32_e32 vcc, v37, v17
	v_add_u32_e32 v42, 16, v32
	v_add_u32_e32 v44, 32, v32
	s_waitcnt lgkmcnt(0)
	v_cndmask_b32_e32 v22, 0, v22, vcc
	v_cmp_gt_u32_e32 vcc, 56, v32
	v_add_u32_e32 v20, v20, v22
	v_cndmask_b32_e64 v22, 0, 1, vcc
	v_lshlrev_b32_e32 v22, 3, v22
	v_add_lshl_u32 v38, v22, v29, 2
	ds_bpermute_b32 v22, v38, v20
	v_cmp_le_u32_e32 vcc, v39, v17
	s_waitcnt lgkmcnt(0)
	v_cndmask_b32_e32 v22, 0, v22, vcc
	v_cmp_gt_u32_e32 vcc, 48, v32
	v_add_u32_e32 v20, v20, v22
	v_cndmask_b32_e64 v22, 0, 1, vcc
	v_lshlrev_b32_e32 v22, 4, v22
	v_add_lshl_u32 v41, v22, v29, 2
	ds_bpermute_b32 v22, v41, v20
	v_cmp_le_u32_e32 vcc, v42, v17
	;; [unrolled: 9-line block ×3, first 2 shown]
	s_waitcnt lgkmcnt(0)
	v_cndmask_b32_e32 v17, 0, v22, vcc
	v_add_u32_e32 v20, v20, v17
	v_mov_b32_e32 v17, 0
	s_branch .LBB329_259
.LBB329_258:                            ;   in Loop: Header=BB329_259 Depth=1
	s_or_b64 exec, exec, s[34:35]
	v_cmp_eq_u16_sdwa s[34:35], v21, v15 src0_sel:BYTE_0 src1_sel:DWORD
	v_and_b32_e32 v22, s35, v19
	v_or_b32_e32 v22, 0x80000000, v22
	ds_bpermute_b32 v45, v33, v20
	v_and_b32_e32 v23, s34, v18
	v_ffbl_b32_e32 v22, v22
	v_add_u32_e32 v22, 32, v22
	v_ffbl_b32_e32 v23, v23
	v_min_u32_e32 v22, v23, v22
	v_cmp_lt_u32_e32 vcc, v32, v22
	s_waitcnt lgkmcnt(0)
	v_cndmask_b32_e32 v23, 0, v45, vcc
	v_add_u32_e32 v20, v23, v20
	ds_bpermute_b32 v23, v34, v20
	v_cmp_le_u32_e32 vcc, v35, v22
	v_subrev_u32_e32 v16, 64, v16
	s_waitcnt lgkmcnt(0)
	v_cndmask_b32_e32 v23, 0, v23, vcc
	v_add_u32_e32 v20, v20, v23
	ds_bpermute_b32 v23, v36, v20
	v_cmp_le_u32_e32 vcc, v37, v22
	s_waitcnt lgkmcnt(0)
	v_cndmask_b32_e32 v23, 0, v23, vcc
	v_add_u32_e32 v20, v20, v23
	ds_bpermute_b32 v23, v38, v20
	v_cmp_le_u32_e32 vcc, v39, v22
	s_waitcnt lgkmcnt(0)
	v_cndmask_b32_e32 v23, 0, v23, vcc
	v_add_u32_e32 v20, v20, v23
	ds_bpermute_b32 v23, v41, v20
	v_cmp_le_u32_e32 vcc, v42, v22
	s_waitcnt lgkmcnt(0)
	v_cndmask_b32_e32 v23, 0, v23, vcc
	v_add_u32_e32 v20, v20, v23
	ds_bpermute_b32 v23, v43, v20
	v_cmp_le_u32_e32 vcc, v44, v22
	s_waitcnt lgkmcnt(0)
	v_cndmask_b32_e32 v22, 0, v23, vcc
	v_add3_u32 v20, v22, v40, v20
.LBB329_259:                            ; =>This Loop Header: Depth=1
                                        ;     Child Loop BB329_262 Depth 2
                                        ;       Child Loop BB329_263 Depth 3
	v_cmp_ne_u16_sdwa s[34:35], v21, v15 src0_sel:BYTE_0 src1_sel:DWORD
	v_cndmask_b32_e64 v21, 0, 1, s[34:35]
	;;#ASMSTART
	;;#ASMEND
	v_cmp_ne_u32_e32 vcc, 0, v21
	s_cmp_lg_u64 vcc, exec
	v_mov_b32_e32 v40, v20
	s_cbranch_scc1 .LBB329_266
; %bb.260:                              ;   in Loop: Header=BB329_259 Depth=1
	v_lshlrev_b64 v[20:21], 3, v[16:17]
	v_mov_b32_e32 v23, s19
	v_add_co_u32_e32 v22, vcc, s18, v20
	v_addc_co_u32_e32 v23, vcc, v23, v21, vcc
	global_load_dwordx2 v[20:21], v[22:23], off glc
	s_waitcnt vmcnt(0)
	v_cmp_eq_u16_sdwa s[36:37], v21, v17 src0_sel:BYTE_0 src1_sel:DWORD
	s_and_saveexec_b64 s[34:35], s[36:37]
	s_cbranch_execz .LBB329_258
; %bb.261:                              ;   in Loop: Header=BB329_259 Depth=1
	s_mov_b32 s38, 1
	s_mov_b64 s[36:37], 0
.LBB329_262:                            ;   Parent Loop BB329_259 Depth=1
                                        ; =>  This Loop Header: Depth=2
                                        ;       Child Loop BB329_263 Depth 3
	s_max_u32 s39, s38, 1
.LBB329_263:                            ;   Parent Loop BB329_259 Depth=1
                                        ;     Parent Loop BB329_262 Depth=2
                                        ; =>    This Inner Loop Header: Depth=3
	s_add_i32 s39, s39, -1
	s_cmp_eq_u32 s39, 0
	s_sleep 1
	s_cbranch_scc0 .LBB329_263
; %bb.264:                              ;   in Loop: Header=BB329_262 Depth=2
	global_load_dwordx2 v[20:21], v[22:23], off glc
	s_cmp_lt_u32 s38, 32
	s_cselect_b64 s[40:41], -1, 0
	s_cmp_lg_u64 s[40:41], 0
	s_addc_u32 s38, s38, 0
	s_waitcnt vmcnt(0)
	v_cmp_ne_u16_sdwa s[40:41], v21, v17 src0_sel:BYTE_0 src1_sel:DWORD
	s_or_b64 s[36:37], s[40:41], s[36:37]
	s_andn2_b64 exec, exec, s[36:37]
	s_cbranch_execnz .LBB329_262
; %bb.265:                              ;   in Loop: Header=BB329_259 Depth=1
	s_or_b64 exec, exec, s[36:37]
	s_branch .LBB329_258
.LBB329_266:                            ;   in Loop: Header=BB329_259 Depth=1
                                        ; implicit-def: $vgpr20
                                        ; implicit-def: $vgpr21
	s_cbranch_execz .LBB329_259
; %bb.267:
	s_and_saveexec_b64 s[34:35], s[16:17]
	s_cbranch_execz .LBB329_269
; %bb.268:
	s_add_i32 s36, s33, 64
	s_mov_b32 s37, 0
	s_lshl_b64 s[36:37], s[36:37], 3
	s_add_u32 s36, s18, s36
	v_add_u32_e32 v16, v40, v14
	v_mov_b32_e32 v17, 2
	s_addc_u32 s37, s19, s37
	v_mov_b32_e32 v15, 0
	s_movk_i32 s33, 0x2800
	global_store_dwordx2 v15, v[16:17], s[36:37]
	v_add_u32_e64 v15, s33, 0
	ds_write2_b32 v15, v14, v40 offset1:2
.LBB329_269:
	s_or_b64 exec, exec, s[34:35]
	s_and_b64 exec, exec, s[0:1]
	s_cbranch_execz .LBB329_271
; %bb.270:
	v_mov_b32_e32 v14, 0
	ds_write_b32 v14, v40 offset:12
.LBB329_271:
	s_or_b64 exec, exec, s[26:27]
	v_mov_b32_e32 v14, 0
	s_waitcnt lgkmcnt(0)
	s_barrier
	ds_read_b32 v14, v14 offset:12
	v_cndmask_b32_e64 v15, v26, v24, s[16:17]
	v_cndmask_b32_e64 v15, v15, 0, s[0:1]
	s_movk_i32 s16, 0x2800
	s_waitcnt lgkmcnt(0)
	v_add_u32_e32 v26, v14, v15
	v_add_u32_e64 v14, s16, 0
	s_barrier
	ds_read2_b32 v[14:15], v14 offset1:2
	v_add_u32_e32 v24, v26, v1
	v_add_u32_e32 v22, v24, v25
	;; [unrolled: 1-line block ×4, first 2 shown]
	v_lshrrev_b64 v[16:17], 24, v[12:13]
	s_branch .LBB329_282
.LBB329_272:
                                        ; implicit-def: $vgpr18
                                        ; implicit-def: $vgpr20
                                        ; implicit-def: $vgpr22
                                        ; implicit-def: $vgpr24
                                        ; implicit-def: $vgpr26
                                        ; implicit-def: $vgpr15
	v_lshrrev_b64 v[16:17], 24, v[12:13]
	s_cbranch_execz .LBB329_282
; %bb.273:
	s_waitcnt lgkmcnt(0)
	v_mov_b32_dpp v14, v31 row_shr:1 row_mask:0xf bank_mask:0xf
	v_cndmask_b32_e64 v14, v14, 0, s[14:15]
	v_add_u32_e32 v14, v14, v31
	s_nop 1
	v_mov_b32_dpp v15, v14 row_shr:2 row_mask:0xf bank_mask:0xf
	v_cndmask_b32_e64 v15, 0, v15, s[12:13]
	v_add_u32_e32 v14, v14, v15
	s_nop 1
	;; [unrolled: 4-line block ×4, first 2 shown]
	v_mov_b32_dpp v15, v14 row_bcast:15 row_mask:0xf bank_mask:0xf
	v_cndmask_b32_e64 v15, v15, 0, s[6:7]
	v_add_u32_e32 v14, v14, v15
	s_nop 1
	v_mov_b32_dpp v15, v14 row_bcast:31 row_mask:0xf bank_mask:0xf
	v_cndmask_b32_e64 v15, 0, v15, s[2:3]
	v_add_u32_e32 v14, v14, v15
	s_and_saveexec_b64 s[2:3], s[4:5]
	s_cbranch_execz .LBB329_275
; %bb.274:
	v_lshlrev_b32_e32 v15, 2, v30
	ds_write_b32 v15, v14
.LBB329_275:
	s_or_b64 exec, exec, s[2:3]
	v_cmp_gt_u32_e32 vcc, 4, v0
	s_waitcnt lgkmcnt(0)
	s_barrier
	s_and_saveexec_b64 s[2:3], vcc
	s_cbranch_execz .LBB329_277
; %bb.276:
	v_lshlrev_b32_e32 v15, 2, v0
	ds_read_b32 v17, v15
	v_and_b32_e32 v18, 3, v29
	v_cmp_ne_u32_e32 vcc, 0, v18
	s_waitcnt lgkmcnt(0)
	v_mov_b32_dpp v19, v17 row_shr:1 row_mask:0xf bank_mask:0xf
	v_cndmask_b32_e32 v19, 0, v19, vcc
	v_add_u32_e32 v17, v19, v17
	v_cmp_lt_u32_e32 vcc, 1, v18
	s_nop 0
	v_mov_b32_dpp v19, v17 row_shr:2 row_mask:0xf bank_mask:0xf
	v_cndmask_b32_e32 v18, 0, v19, vcc
	v_add_u32_e32 v17, v17, v18
	ds_write_b32 v15, v17
.LBB329_277:
	s_or_b64 exec, exec, s[2:3]
	v_cmp_lt_u32_e32 vcc, 63, v0
	v_mov_b32_e32 v15, 0
	v_mov_b32_e32 v17, 0
	s_waitcnt lgkmcnt(0)
	s_barrier
	s_and_saveexec_b64 s[2:3], vcc
	s_cbranch_execz .LBB329_279
; %bb.278:
	v_lshl_add_u32 v17, v30, 2, -4
	ds_read_b32 v17, v17
.LBB329_279:
	s_or_b64 exec, exec, s[2:3]
	v_add_u32_e32 v18, -1, v29
	v_and_b32_e32 v19, 64, v29
	v_cmp_lt_i32_e32 vcc, v18, v19
	v_cndmask_b32_e32 v18, v18, v29, vcc
	s_waitcnt lgkmcnt(0)
	v_add_u32_e32 v14, v17, v14
	v_lshlrev_b32_e32 v18, 2, v18
	ds_bpermute_b32 v18, v18, v14
	ds_read_b32 v14, v15 offset:12
	s_and_saveexec_b64 s[2:3], s[0:1]
	s_cbranch_execz .LBB329_281
; %bb.280:
	v_mov_b32_e32 v19, 0
	v_mov_b32_e32 v15, 2
	s_waitcnt lgkmcnt(0)
	global_store_dwordx2 v19, v[14:15], s[18:19] offset:512
.LBB329_281:
	s_or_b64 exec, exec, s[2:3]
	v_cmp_eq_u32_e32 vcc, 0, v29
	s_waitcnt lgkmcnt(1)
	v_cndmask_b32_e32 v17, v18, v17, vcc
	v_cndmask_b32_e64 v26, v17, 0, s[0:1]
	v_add_u32_e32 v24, v26, v1
	v_add_u32_e32 v22, v24, v25
	;; [unrolled: 1-line block ×3, first 2 shown]
	v_mov_b32_e32 v15, 0
	v_add_u32_e32 v18, v20, v28
	s_waitcnt lgkmcnt(0)
	s_barrier
.LBB329_282:
	s_movk_i32 s2, 0x101
	s_waitcnt lgkmcnt(0)
	v_cmp_gt_u32_e32 vcc, s2, v14
	v_lshrrev_b32_e32 v1, 8, v12
	s_mov_b64 s[2:3], -1
	s_cbranch_vccnz .LBB329_286
; %bb.283:
	s_and_b64 vcc, exec, s[2:3]
	s_cbranch_vccnz .LBB329_302
.LBB329_284:
	s_and_b64 s[0:1], s[0:1], s[24:25]
	s_and_saveexec_b64 s[2:3], s[0:1]
	s_cbranch_execnz .LBB329_316
.LBB329_285:
	s_endpgm
.LBB329_286:
	v_add_u32_e32 v17, v15, v14
	v_cmp_lt_u32_e32 vcc, v26, v17
	s_or_b64 s[4:5], s[30:31], vcc
	s_and_saveexec_b64 s[2:3], s[4:5]
	s_cbranch_execz .LBB329_289
; %bb.287:
	v_and_b32_e32 v19, 1, v12
	v_cmp_eq_u32_e32 vcc, 1, v19
	s_and_b64 exec, exec, vcc
	s_cbranch_execz .LBB329_289
; %bb.288:
	s_lshl_b64 s[4:5], s[22:23], 3
	s_add_u32 s4, s28, s4
	v_mov_b32_e32 v27, 0
	s_addc_u32 s5, s29, s5
	v_lshlrev_b64 v[28:29], 3, v[26:27]
	v_mov_b32_e32 v19, s5
	v_add_co_u32_e32 v28, vcc, s4, v28
	v_addc_co_u32_e32 v29, vcc, v19, v29, vcc
	global_store_dwordx2 v[28:29], v[6:7], off
.LBB329_289:
	s_or_b64 exec, exec, s[2:3]
	v_cmp_lt_u32_e32 vcc, v24, v17
	s_or_b64 s[4:5], s[30:31], vcc
	s_and_saveexec_b64 s[2:3], s[4:5]
	s_cbranch_execz .LBB329_292
; %bb.290:
	v_and_b32_e32 v19, 1, v1
	v_cmp_eq_u32_e32 vcc, 1, v19
	s_and_b64 exec, exec, vcc
	s_cbranch_execz .LBB329_292
; %bb.291:
	s_lshl_b64 s[4:5], s[22:23], 3
	s_add_u32 s4, s28, s4
	v_mov_b32_e32 v25, 0
	s_addc_u32 s5, s29, s5
	v_lshlrev_b64 v[28:29], 3, v[24:25]
	v_mov_b32_e32 v19, s5
	v_add_co_u32_e32 v28, vcc, s4, v28
	v_addc_co_u32_e32 v29, vcc, v19, v29, vcc
	global_store_dwordx2 v[28:29], v[8:9], off
.LBB329_292:
	s_or_b64 exec, exec, s[2:3]
	v_cmp_lt_u32_e32 vcc, v22, v17
	s_or_b64 s[4:5], s[30:31], vcc
	s_and_saveexec_b64 s[2:3], s[4:5]
	s_cbranch_execz .LBB329_295
; %bb.293:
	v_mov_b32_e32 v19, 1
	v_and_b32_sdwa v19, v19, v12 dst_sel:DWORD dst_unused:UNUSED_PAD src0_sel:DWORD src1_sel:WORD_1
	v_cmp_eq_u32_e32 vcc, 1, v19
	s_and_b64 exec, exec, vcc
	s_cbranch_execz .LBB329_295
; %bb.294:
	s_lshl_b64 s[4:5], s[22:23], 3
	s_add_u32 s4, s28, s4
	v_mov_b32_e32 v23, 0
	s_addc_u32 s5, s29, s5
	v_lshlrev_b64 v[28:29], 3, v[22:23]
	v_mov_b32_e32 v19, s5
	v_add_co_u32_e32 v28, vcc, s4, v28
	v_addc_co_u32_e32 v29, vcc, v19, v29, vcc
	global_store_dwordx2 v[28:29], v[2:3], off
.LBB329_295:
	s_or_b64 exec, exec, s[2:3]
	v_cmp_lt_u32_e32 vcc, v20, v17
	s_or_b64 s[4:5], s[30:31], vcc
	s_and_saveexec_b64 s[2:3], s[4:5]
	s_cbranch_execz .LBB329_298
; %bb.296:
	v_and_b32_e32 v19, 1, v16
	v_cmp_eq_u32_e32 vcc, 1, v19
	s_and_b64 exec, exec, vcc
	s_cbranch_execz .LBB329_298
; %bb.297:
	s_lshl_b64 s[4:5], s[22:23], 3
	s_add_u32 s4, s28, s4
	v_mov_b32_e32 v21, 0
	s_addc_u32 s5, s29, s5
	v_lshlrev_b64 v[28:29], 3, v[20:21]
	v_mov_b32_e32 v19, s5
	v_add_co_u32_e32 v28, vcc, s4, v28
	v_addc_co_u32_e32 v29, vcc, v19, v29, vcc
	global_store_dwordx2 v[28:29], v[4:5], off
.LBB329_298:
	s_or_b64 exec, exec, s[2:3]
	v_cmp_lt_u32_e32 vcc, v18, v17
	s_or_b64 s[4:5], s[30:31], vcc
	s_and_saveexec_b64 s[2:3], s[4:5]
	s_cbranch_execz .LBB329_301
; %bb.299:
	v_and_b32_e32 v17, 1, v13
	v_cmp_eq_u32_e32 vcc, 1, v17
	s_and_b64 exec, exec, vcc
	s_cbranch_execz .LBB329_301
; %bb.300:
	s_lshl_b64 s[4:5], s[22:23], 3
	s_add_u32 s4, s28, s4
	v_mov_b32_e32 v19, 0
	s_addc_u32 s5, s29, s5
	v_lshlrev_b64 v[28:29], 3, v[18:19]
	v_mov_b32_e32 v17, s5
	v_add_co_u32_e32 v28, vcc, s4, v28
	v_addc_co_u32_e32 v29, vcc, v17, v29, vcc
	global_store_dwordx2 v[28:29], v[10:11], off
.LBB329_301:
	s_or_b64 exec, exec, s[2:3]
	s_branch .LBB329_284
.LBB329_302:
	v_and_b32_e32 v17, 1, v12
	v_cmp_eq_u32_e32 vcc, 1, v17
	s_and_saveexec_b64 s[2:3], vcc
	s_cbranch_execz .LBB329_304
; %bb.303:
	v_sub_u32_e32 v17, v26, v15
	v_lshlrev_b32_e32 v17, 3, v17
	ds_write_b64 v17, v[6:7]
.LBB329_304:
	s_or_b64 exec, exec, s[2:3]
	v_and_b32_e32 v1, 1, v1
	v_cmp_eq_u32_e32 vcc, 1, v1
	s_and_saveexec_b64 s[2:3], vcc
	s_cbranch_execz .LBB329_306
; %bb.305:
	v_sub_u32_e32 v1, v24, v15
	v_lshlrev_b32_e32 v1, 3, v1
	ds_write_b64 v1, v[8:9]
.LBB329_306:
	s_or_b64 exec, exec, s[2:3]
	v_mov_b32_e32 v1, 1
	v_and_b32_sdwa v1, v1, v12 dst_sel:DWORD dst_unused:UNUSED_PAD src0_sel:DWORD src1_sel:WORD_1
	v_cmp_eq_u32_e32 vcc, 1, v1
	s_and_saveexec_b64 s[2:3], vcc
	s_cbranch_execz .LBB329_308
; %bb.307:
	v_sub_u32_e32 v1, v22, v15
	v_lshlrev_b32_e32 v1, 3, v1
	ds_write_b64 v1, v[2:3]
.LBB329_308:
	s_or_b64 exec, exec, s[2:3]
	v_and_b32_e32 v1, 1, v16
	v_cmp_eq_u32_e32 vcc, 1, v1
	s_and_saveexec_b64 s[2:3], vcc
	s_cbranch_execz .LBB329_310
; %bb.309:
	v_sub_u32_e32 v1, v20, v15
	v_lshlrev_b32_e32 v1, 3, v1
	ds_write_b64 v1, v[4:5]
.LBB329_310:
	s_or_b64 exec, exec, s[2:3]
	v_and_b32_e32 v1, 1, v13
	v_cmp_eq_u32_e32 vcc, 1, v1
	s_and_saveexec_b64 s[2:3], vcc
	s_cbranch_execz .LBB329_312
; %bb.311:
	v_sub_u32_e32 v1, v18, v15
	v_lshlrev_b32_e32 v1, 3, v1
	ds_write_b64 v1, v[10:11]
.LBB329_312:
	s_or_b64 exec, exec, s[2:3]
	v_cmp_lt_u32_e32 vcc, v0, v14
	s_waitcnt lgkmcnt(0)
	s_barrier
	s_and_saveexec_b64 s[2:3], vcc
	s_cbranch_execz .LBB329_315
; %bb.313:
	v_mov_b32_e32 v1, 0
	v_mov_b32_e32 v2, v15
	;; [unrolled: 1-line block ×3, first 2 shown]
	v_lshlrev_b64 v[2:3], 3, v[2:3]
	v_mov_b32_e32 v4, s29
	v_add_co_u32_e32 v2, vcc, s28, v2
	v_addc_co_u32_e32 v3, vcc, v4, v3, vcc
	s_lshl_b64 s[4:5], s[22:23], 3
	v_mov_b32_e32 v4, s5
	v_add_co_u32_e32 v2, vcc, s4, v2
	v_addc_co_u32_e32 v3, vcc, v3, v4, vcc
	v_lshlrev_b32_e32 v4, 3, v0
	s_mov_b64 s[4:5], 0
.LBB329_314:                            ; =>This Inner Loop Header: Depth=1
	ds_read_b64 v[6:7], v4
	v_lshlrev_b64 v[8:9], 3, v[0:1]
	v_add_co_u32_e32 v8, vcc, v2, v8
	v_add_u32_e32 v0, 0x100, v0
	v_addc_co_u32_e32 v9, vcc, v3, v9, vcc
	v_cmp_ge_u32_e32 vcc, v0, v14
	v_add_u32_e32 v4, 0x800, v4
	s_or_b64 s[4:5], vcc, s[4:5]
	s_waitcnt lgkmcnt(0)
	global_store_dwordx2 v[8:9], v[6:7], off
	s_andn2_b64 exec, exec, s[4:5]
	s_cbranch_execnz .LBB329_314
.LBB329_315:
	s_or_b64 exec, exec, s[2:3]
	s_and_b64 s[0:1], s[0:1], s[24:25]
	s_and_saveexec_b64 s[2:3], s[0:1]
	s_cbranch_execz .LBB329_285
.LBB329_316:
	v_mov_b32_e32 v0, s23
	v_add_co_u32_e32 v1, vcc, s22, v14
	v_addc_co_u32_e32 v3, vcc, 0, v0, vcc
	v_add_co_u32_e32 v0, vcc, v1, v15
	v_mov_b32_e32 v2, 0
	v_addc_co_u32_e32 v1, vcc, 0, v3, vcc
	global_store_dwordx2 v2, v[0:1], s[20:21]
	s_endpgm
	.section	.rodata,"a",@progbits
	.p2align	6, 0x0
	.amdhsa_kernel _ZN7rocprim17ROCPRIM_400000_NS6detail17trampoline_kernelINS0_14default_configENS1_25partition_config_selectorILNS1_17partition_subalgoE8ElNS0_10empty_typeEbEEZZNS1_14partition_implILS5_8ELb0ES3_jPlPS6_PKS6_NS0_5tupleIJS9_S6_EEENSD_IJSA_SA_EEENS0_18inequality_wrapperIZN2at6native12_GLOBAL__N_124unique_dim_cuda_templateIaEESt5tupleIJNSH_6TensorESM_SM_EERKSM_lbbbEUlllE0_EEPmJS6_EEE10hipError_tPvRmT3_T4_T5_T6_T7_T9_mT8_P12ihipStream_tbDpT10_ENKUlT_T0_E_clISt17integral_constantIbLb1EES1C_EEDaS17_S18_EUlS17_E_NS1_11comp_targetILNS1_3genE4ELNS1_11target_archE910ELNS1_3gpuE8ELNS1_3repE0EEENS1_30default_config_static_selectorELNS0_4arch9wavefront6targetE1EEEvT1_
		.amdhsa_group_segment_fixed_size 10252
		.amdhsa_private_segment_fixed_size 0
		.amdhsa_kernarg_size 136
		.amdhsa_user_sgpr_count 6
		.amdhsa_user_sgpr_private_segment_buffer 1
		.amdhsa_user_sgpr_dispatch_ptr 0
		.amdhsa_user_sgpr_queue_ptr 0
		.amdhsa_user_sgpr_kernarg_segment_ptr 1
		.amdhsa_user_sgpr_dispatch_id 0
		.amdhsa_user_sgpr_flat_scratch_init 0
		.amdhsa_user_sgpr_kernarg_preload_length 0
		.amdhsa_user_sgpr_kernarg_preload_offset 0
		.amdhsa_user_sgpr_private_segment_size 0
		.amdhsa_uses_dynamic_stack 0
		.amdhsa_system_sgpr_private_segment_wavefront_offset 0
		.amdhsa_system_sgpr_workgroup_id_x 1
		.amdhsa_system_sgpr_workgroup_id_y 0
		.amdhsa_system_sgpr_workgroup_id_z 0
		.amdhsa_system_sgpr_workgroup_info 0
		.amdhsa_system_vgpr_workitem_id 0
		.amdhsa_next_free_vgpr 46
		.amdhsa_next_free_sgpr 52
		.amdhsa_accum_offset 48
		.amdhsa_reserve_vcc 1
		.amdhsa_reserve_flat_scratch 0
		.amdhsa_float_round_mode_32 0
		.amdhsa_float_round_mode_16_64 0
		.amdhsa_float_denorm_mode_32 3
		.amdhsa_float_denorm_mode_16_64 3
		.amdhsa_dx10_clamp 1
		.amdhsa_ieee_mode 1
		.amdhsa_fp16_overflow 0
		.amdhsa_tg_split 0
		.amdhsa_exception_fp_ieee_invalid_op 0
		.amdhsa_exception_fp_denorm_src 0
		.amdhsa_exception_fp_ieee_div_zero 0
		.amdhsa_exception_fp_ieee_overflow 0
		.amdhsa_exception_fp_ieee_underflow 0
		.amdhsa_exception_fp_ieee_inexact 0
		.amdhsa_exception_int_div_zero 0
	.end_amdhsa_kernel
	.section	.text._ZN7rocprim17ROCPRIM_400000_NS6detail17trampoline_kernelINS0_14default_configENS1_25partition_config_selectorILNS1_17partition_subalgoE8ElNS0_10empty_typeEbEEZZNS1_14partition_implILS5_8ELb0ES3_jPlPS6_PKS6_NS0_5tupleIJS9_S6_EEENSD_IJSA_SA_EEENS0_18inequality_wrapperIZN2at6native12_GLOBAL__N_124unique_dim_cuda_templateIaEESt5tupleIJNSH_6TensorESM_SM_EERKSM_lbbbEUlllE0_EEPmJS6_EEE10hipError_tPvRmT3_T4_T5_T6_T7_T9_mT8_P12ihipStream_tbDpT10_ENKUlT_T0_E_clISt17integral_constantIbLb1EES1C_EEDaS17_S18_EUlS17_E_NS1_11comp_targetILNS1_3genE4ELNS1_11target_archE910ELNS1_3gpuE8ELNS1_3repE0EEENS1_30default_config_static_selectorELNS0_4arch9wavefront6targetE1EEEvT1_,"axG",@progbits,_ZN7rocprim17ROCPRIM_400000_NS6detail17trampoline_kernelINS0_14default_configENS1_25partition_config_selectorILNS1_17partition_subalgoE8ElNS0_10empty_typeEbEEZZNS1_14partition_implILS5_8ELb0ES3_jPlPS6_PKS6_NS0_5tupleIJS9_S6_EEENSD_IJSA_SA_EEENS0_18inequality_wrapperIZN2at6native12_GLOBAL__N_124unique_dim_cuda_templateIaEESt5tupleIJNSH_6TensorESM_SM_EERKSM_lbbbEUlllE0_EEPmJS6_EEE10hipError_tPvRmT3_T4_T5_T6_T7_T9_mT8_P12ihipStream_tbDpT10_ENKUlT_T0_E_clISt17integral_constantIbLb1EES1C_EEDaS17_S18_EUlS17_E_NS1_11comp_targetILNS1_3genE4ELNS1_11target_archE910ELNS1_3gpuE8ELNS1_3repE0EEENS1_30default_config_static_selectorELNS0_4arch9wavefront6targetE1EEEvT1_,comdat
.Lfunc_end329:
	.size	_ZN7rocprim17ROCPRIM_400000_NS6detail17trampoline_kernelINS0_14default_configENS1_25partition_config_selectorILNS1_17partition_subalgoE8ElNS0_10empty_typeEbEEZZNS1_14partition_implILS5_8ELb0ES3_jPlPS6_PKS6_NS0_5tupleIJS9_S6_EEENSD_IJSA_SA_EEENS0_18inequality_wrapperIZN2at6native12_GLOBAL__N_124unique_dim_cuda_templateIaEESt5tupleIJNSH_6TensorESM_SM_EERKSM_lbbbEUlllE0_EEPmJS6_EEE10hipError_tPvRmT3_T4_T5_T6_T7_T9_mT8_P12ihipStream_tbDpT10_ENKUlT_T0_E_clISt17integral_constantIbLb1EES1C_EEDaS17_S18_EUlS17_E_NS1_11comp_targetILNS1_3genE4ELNS1_11target_archE910ELNS1_3gpuE8ELNS1_3repE0EEENS1_30default_config_static_selectorELNS0_4arch9wavefront6targetE1EEEvT1_, .Lfunc_end329-_ZN7rocprim17ROCPRIM_400000_NS6detail17trampoline_kernelINS0_14default_configENS1_25partition_config_selectorILNS1_17partition_subalgoE8ElNS0_10empty_typeEbEEZZNS1_14partition_implILS5_8ELb0ES3_jPlPS6_PKS6_NS0_5tupleIJS9_S6_EEENSD_IJSA_SA_EEENS0_18inequality_wrapperIZN2at6native12_GLOBAL__N_124unique_dim_cuda_templateIaEESt5tupleIJNSH_6TensorESM_SM_EERKSM_lbbbEUlllE0_EEPmJS6_EEE10hipError_tPvRmT3_T4_T5_T6_T7_T9_mT8_P12ihipStream_tbDpT10_ENKUlT_T0_E_clISt17integral_constantIbLb1EES1C_EEDaS17_S18_EUlS17_E_NS1_11comp_targetILNS1_3genE4ELNS1_11target_archE910ELNS1_3gpuE8ELNS1_3repE0EEENS1_30default_config_static_selectorELNS0_4arch9wavefront6targetE1EEEvT1_
                                        ; -- End function
	.section	.AMDGPU.csdata,"",@progbits
; Kernel info:
; codeLenInByte = 10016
; NumSgprs: 56
; NumVgprs: 46
; NumAgprs: 0
; TotalNumVgprs: 46
; ScratchSize: 0
; MemoryBound: 0
; FloatMode: 240
; IeeeMode: 1
; LDSByteSize: 10252 bytes/workgroup (compile time only)
; SGPRBlocks: 6
; VGPRBlocks: 5
; NumSGPRsForWavesPerEU: 56
; NumVGPRsForWavesPerEU: 46
; AccumOffset: 48
; Occupancy: 6
; WaveLimiterHint : 1
; COMPUTE_PGM_RSRC2:SCRATCH_EN: 0
; COMPUTE_PGM_RSRC2:USER_SGPR: 6
; COMPUTE_PGM_RSRC2:TRAP_HANDLER: 0
; COMPUTE_PGM_RSRC2:TGID_X_EN: 1
; COMPUTE_PGM_RSRC2:TGID_Y_EN: 0
; COMPUTE_PGM_RSRC2:TGID_Z_EN: 0
; COMPUTE_PGM_RSRC2:TIDIG_COMP_CNT: 0
; COMPUTE_PGM_RSRC3_GFX90A:ACCUM_OFFSET: 11
; COMPUTE_PGM_RSRC3_GFX90A:TG_SPLIT: 0
	.section	.text._ZN7rocprim17ROCPRIM_400000_NS6detail17trampoline_kernelINS0_14default_configENS1_25partition_config_selectorILNS1_17partition_subalgoE8ElNS0_10empty_typeEbEEZZNS1_14partition_implILS5_8ELb0ES3_jPlPS6_PKS6_NS0_5tupleIJS9_S6_EEENSD_IJSA_SA_EEENS0_18inequality_wrapperIZN2at6native12_GLOBAL__N_124unique_dim_cuda_templateIaEESt5tupleIJNSH_6TensorESM_SM_EERKSM_lbbbEUlllE0_EEPmJS6_EEE10hipError_tPvRmT3_T4_T5_T6_T7_T9_mT8_P12ihipStream_tbDpT10_ENKUlT_T0_E_clISt17integral_constantIbLb1EES1C_EEDaS17_S18_EUlS17_E_NS1_11comp_targetILNS1_3genE3ELNS1_11target_archE908ELNS1_3gpuE7ELNS1_3repE0EEENS1_30default_config_static_selectorELNS0_4arch9wavefront6targetE1EEEvT1_,"axG",@progbits,_ZN7rocprim17ROCPRIM_400000_NS6detail17trampoline_kernelINS0_14default_configENS1_25partition_config_selectorILNS1_17partition_subalgoE8ElNS0_10empty_typeEbEEZZNS1_14partition_implILS5_8ELb0ES3_jPlPS6_PKS6_NS0_5tupleIJS9_S6_EEENSD_IJSA_SA_EEENS0_18inequality_wrapperIZN2at6native12_GLOBAL__N_124unique_dim_cuda_templateIaEESt5tupleIJNSH_6TensorESM_SM_EERKSM_lbbbEUlllE0_EEPmJS6_EEE10hipError_tPvRmT3_T4_T5_T6_T7_T9_mT8_P12ihipStream_tbDpT10_ENKUlT_T0_E_clISt17integral_constantIbLb1EES1C_EEDaS17_S18_EUlS17_E_NS1_11comp_targetILNS1_3genE3ELNS1_11target_archE908ELNS1_3gpuE7ELNS1_3repE0EEENS1_30default_config_static_selectorELNS0_4arch9wavefront6targetE1EEEvT1_,comdat
	.globl	_ZN7rocprim17ROCPRIM_400000_NS6detail17trampoline_kernelINS0_14default_configENS1_25partition_config_selectorILNS1_17partition_subalgoE8ElNS0_10empty_typeEbEEZZNS1_14partition_implILS5_8ELb0ES3_jPlPS6_PKS6_NS0_5tupleIJS9_S6_EEENSD_IJSA_SA_EEENS0_18inequality_wrapperIZN2at6native12_GLOBAL__N_124unique_dim_cuda_templateIaEESt5tupleIJNSH_6TensorESM_SM_EERKSM_lbbbEUlllE0_EEPmJS6_EEE10hipError_tPvRmT3_T4_T5_T6_T7_T9_mT8_P12ihipStream_tbDpT10_ENKUlT_T0_E_clISt17integral_constantIbLb1EES1C_EEDaS17_S18_EUlS17_E_NS1_11comp_targetILNS1_3genE3ELNS1_11target_archE908ELNS1_3gpuE7ELNS1_3repE0EEENS1_30default_config_static_selectorELNS0_4arch9wavefront6targetE1EEEvT1_ ; -- Begin function _ZN7rocprim17ROCPRIM_400000_NS6detail17trampoline_kernelINS0_14default_configENS1_25partition_config_selectorILNS1_17partition_subalgoE8ElNS0_10empty_typeEbEEZZNS1_14partition_implILS5_8ELb0ES3_jPlPS6_PKS6_NS0_5tupleIJS9_S6_EEENSD_IJSA_SA_EEENS0_18inequality_wrapperIZN2at6native12_GLOBAL__N_124unique_dim_cuda_templateIaEESt5tupleIJNSH_6TensorESM_SM_EERKSM_lbbbEUlllE0_EEPmJS6_EEE10hipError_tPvRmT3_T4_T5_T6_T7_T9_mT8_P12ihipStream_tbDpT10_ENKUlT_T0_E_clISt17integral_constantIbLb1EES1C_EEDaS17_S18_EUlS17_E_NS1_11comp_targetILNS1_3genE3ELNS1_11target_archE908ELNS1_3gpuE7ELNS1_3repE0EEENS1_30default_config_static_selectorELNS0_4arch9wavefront6targetE1EEEvT1_
	.p2align	8
	.type	_ZN7rocprim17ROCPRIM_400000_NS6detail17trampoline_kernelINS0_14default_configENS1_25partition_config_selectorILNS1_17partition_subalgoE8ElNS0_10empty_typeEbEEZZNS1_14partition_implILS5_8ELb0ES3_jPlPS6_PKS6_NS0_5tupleIJS9_S6_EEENSD_IJSA_SA_EEENS0_18inequality_wrapperIZN2at6native12_GLOBAL__N_124unique_dim_cuda_templateIaEESt5tupleIJNSH_6TensorESM_SM_EERKSM_lbbbEUlllE0_EEPmJS6_EEE10hipError_tPvRmT3_T4_T5_T6_T7_T9_mT8_P12ihipStream_tbDpT10_ENKUlT_T0_E_clISt17integral_constantIbLb1EES1C_EEDaS17_S18_EUlS17_E_NS1_11comp_targetILNS1_3genE3ELNS1_11target_archE908ELNS1_3gpuE7ELNS1_3repE0EEENS1_30default_config_static_selectorELNS0_4arch9wavefront6targetE1EEEvT1_,@function
_ZN7rocprim17ROCPRIM_400000_NS6detail17trampoline_kernelINS0_14default_configENS1_25partition_config_selectorILNS1_17partition_subalgoE8ElNS0_10empty_typeEbEEZZNS1_14partition_implILS5_8ELb0ES3_jPlPS6_PKS6_NS0_5tupleIJS9_S6_EEENSD_IJSA_SA_EEENS0_18inequality_wrapperIZN2at6native12_GLOBAL__N_124unique_dim_cuda_templateIaEESt5tupleIJNSH_6TensorESM_SM_EERKSM_lbbbEUlllE0_EEPmJS6_EEE10hipError_tPvRmT3_T4_T5_T6_T7_T9_mT8_P12ihipStream_tbDpT10_ENKUlT_T0_E_clISt17integral_constantIbLb1EES1C_EEDaS17_S18_EUlS17_E_NS1_11comp_targetILNS1_3genE3ELNS1_11target_archE908ELNS1_3gpuE7ELNS1_3repE0EEENS1_30default_config_static_selectorELNS0_4arch9wavefront6targetE1EEEvT1_: ; @_ZN7rocprim17ROCPRIM_400000_NS6detail17trampoline_kernelINS0_14default_configENS1_25partition_config_selectorILNS1_17partition_subalgoE8ElNS0_10empty_typeEbEEZZNS1_14partition_implILS5_8ELb0ES3_jPlPS6_PKS6_NS0_5tupleIJS9_S6_EEENSD_IJSA_SA_EEENS0_18inequality_wrapperIZN2at6native12_GLOBAL__N_124unique_dim_cuda_templateIaEESt5tupleIJNSH_6TensorESM_SM_EERKSM_lbbbEUlllE0_EEPmJS6_EEE10hipError_tPvRmT3_T4_T5_T6_T7_T9_mT8_P12ihipStream_tbDpT10_ENKUlT_T0_E_clISt17integral_constantIbLb1EES1C_EEDaS17_S18_EUlS17_E_NS1_11comp_targetILNS1_3genE3ELNS1_11target_archE908ELNS1_3gpuE7ELNS1_3repE0EEENS1_30default_config_static_selectorELNS0_4arch9wavefront6targetE1EEEvT1_
; %bb.0:
	.section	.rodata,"a",@progbits
	.p2align	6, 0x0
	.amdhsa_kernel _ZN7rocprim17ROCPRIM_400000_NS6detail17trampoline_kernelINS0_14default_configENS1_25partition_config_selectorILNS1_17partition_subalgoE8ElNS0_10empty_typeEbEEZZNS1_14partition_implILS5_8ELb0ES3_jPlPS6_PKS6_NS0_5tupleIJS9_S6_EEENSD_IJSA_SA_EEENS0_18inequality_wrapperIZN2at6native12_GLOBAL__N_124unique_dim_cuda_templateIaEESt5tupleIJNSH_6TensorESM_SM_EERKSM_lbbbEUlllE0_EEPmJS6_EEE10hipError_tPvRmT3_T4_T5_T6_T7_T9_mT8_P12ihipStream_tbDpT10_ENKUlT_T0_E_clISt17integral_constantIbLb1EES1C_EEDaS17_S18_EUlS17_E_NS1_11comp_targetILNS1_3genE3ELNS1_11target_archE908ELNS1_3gpuE7ELNS1_3repE0EEENS1_30default_config_static_selectorELNS0_4arch9wavefront6targetE1EEEvT1_
		.amdhsa_group_segment_fixed_size 0
		.amdhsa_private_segment_fixed_size 0
		.amdhsa_kernarg_size 136
		.amdhsa_user_sgpr_count 6
		.amdhsa_user_sgpr_private_segment_buffer 1
		.amdhsa_user_sgpr_dispatch_ptr 0
		.amdhsa_user_sgpr_queue_ptr 0
		.amdhsa_user_sgpr_kernarg_segment_ptr 1
		.amdhsa_user_sgpr_dispatch_id 0
		.amdhsa_user_sgpr_flat_scratch_init 0
		.amdhsa_user_sgpr_kernarg_preload_length 0
		.amdhsa_user_sgpr_kernarg_preload_offset 0
		.amdhsa_user_sgpr_private_segment_size 0
		.amdhsa_uses_dynamic_stack 0
		.amdhsa_system_sgpr_private_segment_wavefront_offset 0
		.amdhsa_system_sgpr_workgroup_id_x 1
		.amdhsa_system_sgpr_workgroup_id_y 0
		.amdhsa_system_sgpr_workgroup_id_z 0
		.amdhsa_system_sgpr_workgroup_info 0
		.amdhsa_system_vgpr_workitem_id 0
		.amdhsa_next_free_vgpr 1
		.amdhsa_next_free_sgpr 0
		.amdhsa_accum_offset 4
		.amdhsa_reserve_vcc 0
		.amdhsa_reserve_flat_scratch 0
		.amdhsa_float_round_mode_32 0
		.amdhsa_float_round_mode_16_64 0
		.amdhsa_float_denorm_mode_32 3
		.amdhsa_float_denorm_mode_16_64 3
		.amdhsa_dx10_clamp 1
		.amdhsa_ieee_mode 1
		.amdhsa_fp16_overflow 0
		.amdhsa_tg_split 0
		.amdhsa_exception_fp_ieee_invalid_op 0
		.amdhsa_exception_fp_denorm_src 0
		.amdhsa_exception_fp_ieee_div_zero 0
		.amdhsa_exception_fp_ieee_overflow 0
		.amdhsa_exception_fp_ieee_underflow 0
		.amdhsa_exception_fp_ieee_inexact 0
		.amdhsa_exception_int_div_zero 0
	.end_amdhsa_kernel
	.section	.text._ZN7rocprim17ROCPRIM_400000_NS6detail17trampoline_kernelINS0_14default_configENS1_25partition_config_selectorILNS1_17partition_subalgoE8ElNS0_10empty_typeEbEEZZNS1_14partition_implILS5_8ELb0ES3_jPlPS6_PKS6_NS0_5tupleIJS9_S6_EEENSD_IJSA_SA_EEENS0_18inequality_wrapperIZN2at6native12_GLOBAL__N_124unique_dim_cuda_templateIaEESt5tupleIJNSH_6TensorESM_SM_EERKSM_lbbbEUlllE0_EEPmJS6_EEE10hipError_tPvRmT3_T4_T5_T6_T7_T9_mT8_P12ihipStream_tbDpT10_ENKUlT_T0_E_clISt17integral_constantIbLb1EES1C_EEDaS17_S18_EUlS17_E_NS1_11comp_targetILNS1_3genE3ELNS1_11target_archE908ELNS1_3gpuE7ELNS1_3repE0EEENS1_30default_config_static_selectorELNS0_4arch9wavefront6targetE1EEEvT1_,"axG",@progbits,_ZN7rocprim17ROCPRIM_400000_NS6detail17trampoline_kernelINS0_14default_configENS1_25partition_config_selectorILNS1_17partition_subalgoE8ElNS0_10empty_typeEbEEZZNS1_14partition_implILS5_8ELb0ES3_jPlPS6_PKS6_NS0_5tupleIJS9_S6_EEENSD_IJSA_SA_EEENS0_18inequality_wrapperIZN2at6native12_GLOBAL__N_124unique_dim_cuda_templateIaEESt5tupleIJNSH_6TensorESM_SM_EERKSM_lbbbEUlllE0_EEPmJS6_EEE10hipError_tPvRmT3_T4_T5_T6_T7_T9_mT8_P12ihipStream_tbDpT10_ENKUlT_T0_E_clISt17integral_constantIbLb1EES1C_EEDaS17_S18_EUlS17_E_NS1_11comp_targetILNS1_3genE3ELNS1_11target_archE908ELNS1_3gpuE7ELNS1_3repE0EEENS1_30default_config_static_selectorELNS0_4arch9wavefront6targetE1EEEvT1_,comdat
.Lfunc_end330:
	.size	_ZN7rocprim17ROCPRIM_400000_NS6detail17trampoline_kernelINS0_14default_configENS1_25partition_config_selectorILNS1_17partition_subalgoE8ElNS0_10empty_typeEbEEZZNS1_14partition_implILS5_8ELb0ES3_jPlPS6_PKS6_NS0_5tupleIJS9_S6_EEENSD_IJSA_SA_EEENS0_18inequality_wrapperIZN2at6native12_GLOBAL__N_124unique_dim_cuda_templateIaEESt5tupleIJNSH_6TensorESM_SM_EERKSM_lbbbEUlllE0_EEPmJS6_EEE10hipError_tPvRmT3_T4_T5_T6_T7_T9_mT8_P12ihipStream_tbDpT10_ENKUlT_T0_E_clISt17integral_constantIbLb1EES1C_EEDaS17_S18_EUlS17_E_NS1_11comp_targetILNS1_3genE3ELNS1_11target_archE908ELNS1_3gpuE7ELNS1_3repE0EEENS1_30default_config_static_selectorELNS0_4arch9wavefront6targetE1EEEvT1_, .Lfunc_end330-_ZN7rocprim17ROCPRIM_400000_NS6detail17trampoline_kernelINS0_14default_configENS1_25partition_config_selectorILNS1_17partition_subalgoE8ElNS0_10empty_typeEbEEZZNS1_14partition_implILS5_8ELb0ES3_jPlPS6_PKS6_NS0_5tupleIJS9_S6_EEENSD_IJSA_SA_EEENS0_18inequality_wrapperIZN2at6native12_GLOBAL__N_124unique_dim_cuda_templateIaEESt5tupleIJNSH_6TensorESM_SM_EERKSM_lbbbEUlllE0_EEPmJS6_EEE10hipError_tPvRmT3_T4_T5_T6_T7_T9_mT8_P12ihipStream_tbDpT10_ENKUlT_T0_E_clISt17integral_constantIbLb1EES1C_EEDaS17_S18_EUlS17_E_NS1_11comp_targetILNS1_3genE3ELNS1_11target_archE908ELNS1_3gpuE7ELNS1_3repE0EEENS1_30default_config_static_selectorELNS0_4arch9wavefront6targetE1EEEvT1_
                                        ; -- End function
	.section	.AMDGPU.csdata,"",@progbits
; Kernel info:
; codeLenInByte = 0
; NumSgprs: 4
; NumVgprs: 0
; NumAgprs: 0
; TotalNumVgprs: 0
; ScratchSize: 0
; MemoryBound: 0
; FloatMode: 240
; IeeeMode: 1
; LDSByteSize: 0 bytes/workgroup (compile time only)
; SGPRBlocks: 0
; VGPRBlocks: 0
; NumSGPRsForWavesPerEU: 4
; NumVGPRsForWavesPerEU: 1
; AccumOffset: 4
; Occupancy: 8
; WaveLimiterHint : 0
; COMPUTE_PGM_RSRC2:SCRATCH_EN: 0
; COMPUTE_PGM_RSRC2:USER_SGPR: 6
; COMPUTE_PGM_RSRC2:TRAP_HANDLER: 0
; COMPUTE_PGM_RSRC2:TGID_X_EN: 1
; COMPUTE_PGM_RSRC2:TGID_Y_EN: 0
; COMPUTE_PGM_RSRC2:TGID_Z_EN: 0
; COMPUTE_PGM_RSRC2:TIDIG_COMP_CNT: 0
; COMPUTE_PGM_RSRC3_GFX90A:ACCUM_OFFSET: 0
; COMPUTE_PGM_RSRC3_GFX90A:TG_SPLIT: 0
	.section	.text._ZN7rocprim17ROCPRIM_400000_NS6detail17trampoline_kernelINS0_14default_configENS1_25partition_config_selectorILNS1_17partition_subalgoE8ElNS0_10empty_typeEbEEZZNS1_14partition_implILS5_8ELb0ES3_jPlPS6_PKS6_NS0_5tupleIJS9_S6_EEENSD_IJSA_SA_EEENS0_18inequality_wrapperIZN2at6native12_GLOBAL__N_124unique_dim_cuda_templateIaEESt5tupleIJNSH_6TensorESM_SM_EERKSM_lbbbEUlllE0_EEPmJS6_EEE10hipError_tPvRmT3_T4_T5_T6_T7_T9_mT8_P12ihipStream_tbDpT10_ENKUlT_T0_E_clISt17integral_constantIbLb1EES1C_EEDaS17_S18_EUlS17_E_NS1_11comp_targetILNS1_3genE2ELNS1_11target_archE906ELNS1_3gpuE6ELNS1_3repE0EEENS1_30default_config_static_selectorELNS0_4arch9wavefront6targetE1EEEvT1_,"axG",@progbits,_ZN7rocprim17ROCPRIM_400000_NS6detail17trampoline_kernelINS0_14default_configENS1_25partition_config_selectorILNS1_17partition_subalgoE8ElNS0_10empty_typeEbEEZZNS1_14partition_implILS5_8ELb0ES3_jPlPS6_PKS6_NS0_5tupleIJS9_S6_EEENSD_IJSA_SA_EEENS0_18inequality_wrapperIZN2at6native12_GLOBAL__N_124unique_dim_cuda_templateIaEESt5tupleIJNSH_6TensorESM_SM_EERKSM_lbbbEUlllE0_EEPmJS6_EEE10hipError_tPvRmT3_T4_T5_T6_T7_T9_mT8_P12ihipStream_tbDpT10_ENKUlT_T0_E_clISt17integral_constantIbLb1EES1C_EEDaS17_S18_EUlS17_E_NS1_11comp_targetILNS1_3genE2ELNS1_11target_archE906ELNS1_3gpuE6ELNS1_3repE0EEENS1_30default_config_static_selectorELNS0_4arch9wavefront6targetE1EEEvT1_,comdat
	.globl	_ZN7rocprim17ROCPRIM_400000_NS6detail17trampoline_kernelINS0_14default_configENS1_25partition_config_selectorILNS1_17partition_subalgoE8ElNS0_10empty_typeEbEEZZNS1_14partition_implILS5_8ELb0ES3_jPlPS6_PKS6_NS0_5tupleIJS9_S6_EEENSD_IJSA_SA_EEENS0_18inequality_wrapperIZN2at6native12_GLOBAL__N_124unique_dim_cuda_templateIaEESt5tupleIJNSH_6TensorESM_SM_EERKSM_lbbbEUlllE0_EEPmJS6_EEE10hipError_tPvRmT3_T4_T5_T6_T7_T9_mT8_P12ihipStream_tbDpT10_ENKUlT_T0_E_clISt17integral_constantIbLb1EES1C_EEDaS17_S18_EUlS17_E_NS1_11comp_targetILNS1_3genE2ELNS1_11target_archE906ELNS1_3gpuE6ELNS1_3repE0EEENS1_30default_config_static_selectorELNS0_4arch9wavefront6targetE1EEEvT1_ ; -- Begin function _ZN7rocprim17ROCPRIM_400000_NS6detail17trampoline_kernelINS0_14default_configENS1_25partition_config_selectorILNS1_17partition_subalgoE8ElNS0_10empty_typeEbEEZZNS1_14partition_implILS5_8ELb0ES3_jPlPS6_PKS6_NS0_5tupleIJS9_S6_EEENSD_IJSA_SA_EEENS0_18inequality_wrapperIZN2at6native12_GLOBAL__N_124unique_dim_cuda_templateIaEESt5tupleIJNSH_6TensorESM_SM_EERKSM_lbbbEUlllE0_EEPmJS6_EEE10hipError_tPvRmT3_T4_T5_T6_T7_T9_mT8_P12ihipStream_tbDpT10_ENKUlT_T0_E_clISt17integral_constantIbLb1EES1C_EEDaS17_S18_EUlS17_E_NS1_11comp_targetILNS1_3genE2ELNS1_11target_archE906ELNS1_3gpuE6ELNS1_3repE0EEENS1_30default_config_static_selectorELNS0_4arch9wavefront6targetE1EEEvT1_
	.p2align	8
	.type	_ZN7rocprim17ROCPRIM_400000_NS6detail17trampoline_kernelINS0_14default_configENS1_25partition_config_selectorILNS1_17partition_subalgoE8ElNS0_10empty_typeEbEEZZNS1_14partition_implILS5_8ELb0ES3_jPlPS6_PKS6_NS0_5tupleIJS9_S6_EEENSD_IJSA_SA_EEENS0_18inequality_wrapperIZN2at6native12_GLOBAL__N_124unique_dim_cuda_templateIaEESt5tupleIJNSH_6TensorESM_SM_EERKSM_lbbbEUlllE0_EEPmJS6_EEE10hipError_tPvRmT3_T4_T5_T6_T7_T9_mT8_P12ihipStream_tbDpT10_ENKUlT_T0_E_clISt17integral_constantIbLb1EES1C_EEDaS17_S18_EUlS17_E_NS1_11comp_targetILNS1_3genE2ELNS1_11target_archE906ELNS1_3gpuE6ELNS1_3repE0EEENS1_30default_config_static_selectorELNS0_4arch9wavefront6targetE1EEEvT1_,@function
_ZN7rocprim17ROCPRIM_400000_NS6detail17trampoline_kernelINS0_14default_configENS1_25partition_config_selectorILNS1_17partition_subalgoE8ElNS0_10empty_typeEbEEZZNS1_14partition_implILS5_8ELb0ES3_jPlPS6_PKS6_NS0_5tupleIJS9_S6_EEENSD_IJSA_SA_EEENS0_18inequality_wrapperIZN2at6native12_GLOBAL__N_124unique_dim_cuda_templateIaEESt5tupleIJNSH_6TensorESM_SM_EERKSM_lbbbEUlllE0_EEPmJS6_EEE10hipError_tPvRmT3_T4_T5_T6_T7_T9_mT8_P12ihipStream_tbDpT10_ENKUlT_T0_E_clISt17integral_constantIbLb1EES1C_EEDaS17_S18_EUlS17_E_NS1_11comp_targetILNS1_3genE2ELNS1_11target_archE906ELNS1_3gpuE6ELNS1_3repE0EEENS1_30default_config_static_selectorELNS0_4arch9wavefront6targetE1EEEvT1_: ; @_ZN7rocprim17ROCPRIM_400000_NS6detail17trampoline_kernelINS0_14default_configENS1_25partition_config_selectorILNS1_17partition_subalgoE8ElNS0_10empty_typeEbEEZZNS1_14partition_implILS5_8ELb0ES3_jPlPS6_PKS6_NS0_5tupleIJS9_S6_EEENSD_IJSA_SA_EEENS0_18inequality_wrapperIZN2at6native12_GLOBAL__N_124unique_dim_cuda_templateIaEESt5tupleIJNSH_6TensorESM_SM_EERKSM_lbbbEUlllE0_EEPmJS6_EEE10hipError_tPvRmT3_T4_T5_T6_T7_T9_mT8_P12ihipStream_tbDpT10_ENKUlT_T0_E_clISt17integral_constantIbLb1EES1C_EEDaS17_S18_EUlS17_E_NS1_11comp_targetILNS1_3genE2ELNS1_11target_archE906ELNS1_3gpuE6ELNS1_3repE0EEENS1_30default_config_static_selectorELNS0_4arch9wavefront6targetE1EEEvT1_
; %bb.0:
	.section	.rodata,"a",@progbits
	.p2align	6, 0x0
	.amdhsa_kernel _ZN7rocprim17ROCPRIM_400000_NS6detail17trampoline_kernelINS0_14default_configENS1_25partition_config_selectorILNS1_17partition_subalgoE8ElNS0_10empty_typeEbEEZZNS1_14partition_implILS5_8ELb0ES3_jPlPS6_PKS6_NS0_5tupleIJS9_S6_EEENSD_IJSA_SA_EEENS0_18inequality_wrapperIZN2at6native12_GLOBAL__N_124unique_dim_cuda_templateIaEESt5tupleIJNSH_6TensorESM_SM_EERKSM_lbbbEUlllE0_EEPmJS6_EEE10hipError_tPvRmT3_T4_T5_T6_T7_T9_mT8_P12ihipStream_tbDpT10_ENKUlT_T0_E_clISt17integral_constantIbLb1EES1C_EEDaS17_S18_EUlS17_E_NS1_11comp_targetILNS1_3genE2ELNS1_11target_archE906ELNS1_3gpuE6ELNS1_3repE0EEENS1_30default_config_static_selectorELNS0_4arch9wavefront6targetE1EEEvT1_
		.amdhsa_group_segment_fixed_size 0
		.amdhsa_private_segment_fixed_size 0
		.amdhsa_kernarg_size 136
		.amdhsa_user_sgpr_count 6
		.amdhsa_user_sgpr_private_segment_buffer 1
		.amdhsa_user_sgpr_dispatch_ptr 0
		.amdhsa_user_sgpr_queue_ptr 0
		.amdhsa_user_sgpr_kernarg_segment_ptr 1
		.amdhsa_user_sgpr_dispatch_id 0
		.amdhsa_user_sgpr_flat_scratch_init 0
		.amdhsa_user_sgpr_kernarg_preload_length 0
		.amdhsa_user_sgpr_kernarg_preload_offset 0
		.amdhsa_user_sgpr_private_segment_size 0
		.amdhsa_uses_dynamic_stack 0
		.amdhsa_system_sgpr_private_segment_wavefront_offset 0
		.amdhsa_system_sgpr_workgroup_id_x 1
		.amdhsa_system_sgpr_workgroup_id_y 0
		.amdhsa_system_sgpr_workgroup_id_z 0
		.amdhsa_system_sgpr_workgroup_info 0
		.amdhsa_system_vgpr_workitem_id 0
		.amdhsa_next_free_vgpr 1
		.amdhsa_next_free_sgpr 0
		.amdhsa_accum_offset 4
		.amdhsa_reserve_vcc 0
		.amdhsa_reserve_flat_scratch 0
		.amdhsa_float_round_mode_32 0
		.amdhsa_float_round_mode_16_64 0
		.amdhsa_float_denorm_mode_32 3
		.amdhsa_float_denorm_mode_16_64 3
		.amdhsa_dx10_clamp 1
		.amdhsa_ieee_mode 1
		.amdhsa_fp16_overflow 0
		.amdhsa_tg_split 0
		.amdhsa_exception_fp_ieee_invalid_op 0
		.amdhsa_exception_fp_denorm_src 0
		.amdhsa_exception_fp_ieee_div_zero 0
		.amdhsa_exception_fp_ieee_overflow 0
		.amdhsa_exception_fp_ieee_underflow 0
		.amdhsa_exception_fp_ieee_inexact 0
		.amdhsa_exception_int_div_zero 0
	.end_amdhsa_kernel
	.section	.text._ZN7rocprim17ROCPRIM_400000_NS6detail17trampoline_kernelINS0_14default_configENS1_25partition_config_selectorILNS1_17partition_subalgoE8ElNS0_10empty_typeEbEEZZNS1_14partition_implILS5_8ELb0ES3_jPlPS6_PKS6_NS0_5tupleIJS9_S6_EEENSD_IJSA_SA_EEENS0_18inequality_wrapperIZN2at6native12_GLOBAL__N_124unique_dim_cuda_templateIaEESt5tupleIJNSH_6TensorESM_SM_EERKSM_lbbbEUlllE0_EEPmJS6_EEE10hipError_tPvRmT3_T4_T5_T6_T7_T9_mT8_P12ihipStream_tbDpT10_ENKUlT_T0_E_clISt17integral_constantIbLb1EES1C_EEDaS17_S18_EUlS17_E_NS1_11comp_targetILNS1_3genE2ELNS1_11target_archE906ELNS1_3gpuE6ELNS1_3repE0EEENS1_30default_config_static_selectorELNS0_4arch9wavefront6targetE1EEEvT1_,"axG",@progbits,_ZN7rocprim17ROCPRIM_400000_NS6detail17trampoline_kernelINS0_14default_configENS1_25partition_config_selectorILNS1_17partition_subalgoE8ElNS0_10empty_typeEbEEZZNS1_14partition_implILS5_8ELb0ES3_jPlPS6_PKS6_NS0_5tupleIJS9_S6_EEENSD_IJSA_SA_EEENS0_18inequality_wrapperIZN2at6native12_GLOBAL__N_124unique_dim_cuda_templateIaEESt5tupleIJNSH_6TensorESM_SM_EERKSM_lbbbEUlllE0_EEPmJS6_EEE10hipError_tPvRmT3_T4_T5_T6_T7_T9_mT8_P12ihipStream_tbDpT10_ENKUlT_T0_E_clISt17integral_constantIbLb1EES1C_EEDaS17_S18_EUlS17_E_NS1_11comp_targetILNS1_3genE2ELNS1_11target_archE906ELNS1_3gpuE6ELNS1_3repE0EEENS1_30default_config_static_selectorELNS0_4arch9wavefront6targetE1EEEvT1_,comdat
.Lfunc_end331:
	.size	_ZN7rocprim17ROCPRIM_400000_NS6detail17trampoline_kernelINS0_14default_configENS1_25partition_config_selectorILNS1_17partition_subalgoE8ElNS0_10empty_typeEbEEZZNS1_14partition_implILS5_8ELb0ES3_jPlPS6_PKS6_NS0_5tupleIJS9_S6_EEENSD_IJSA_SA_EEENS0_18inequality_wrapperIZN2at6native12_GLOBAL__N_124unique_dim_cuda_templateIaEESt5tupleIJNSH_6TensorESM_SM_EERKSM_lbbbEUlllE0_EEPmJS6_EEE10hipError_tPvRmT3_T4_T5_T6_T7_T9_mT8_P12ihipStream_tbDpT10_ENKUlT_T0_E_clISt17integral_constantIbLb1EES1C_EEDaS17_S18_EUlS17_E_NS1_11comp_targetILNS1_3genE2ELNS1_11target_archE906ELNS1_3gpuE6ELNS1_3repE0EEENS1_30default_config_static_selectorELNS0_4arch9wavefront6targetE1EEEvT1_, .Lfunc_end331-_ZN7rocprim17ROCPRIM_400000_NS6detail17trampoline_kernelINS0_14default_configENS1_25partition_config_selectorILNS1_17partition_subalgoE8ElNS0_10empty_typeEbEEZZNS1_14partition_implILS5_8ELb0ES3_jPlPS6_PKS6_NS0_5tupleIJS9_S6_EEENSD_IJSA_SA_EEENS0_18inequality_wrapperIZN2at6native12_GLOBAL__N_124unique_dim_cuda_templateIaEESt5tupleIJNSH_6TensorESM_SM_EERKSM_lbbbEUlllE0_EEPmJS6_EEE10hipError_tPvRmT3_T4_T5_T6_T7_T9_mT8_P12ihipStream_tbDpT10_ENKUlT_T0_E_clISt17integral_constantIbLb1EES1C_EEDaS17_S18_EUlS17_E_NS1_11comp_targetILNS1_3genE2ELNS1_11target_archE906ELNS1_3gpuE6ELNS1_3repE0EEENS1_30default_config_static_selectorELNS0_4arch9wavefront6targetE1EEEvT1_
                                        ; -- End function
	.section	.AMDGPU.csdata,"",@progbits
; Kernel info:
; codeLenInByte = 0
; NumSgprs: 4
; NumVgprs: 0
; NumAgprs: 0
; TotalNumVgprs: 0
; ScratchSize: 0
; MemoryBound: 0
; FloatMode: 240
; IeeeMode: 1
; LDSByteSize: 0 bytes/workgroup (compile time only)
; SGPRBlocks: 0
; VGPRBlocks: 0
; NumSGPRsForWavesPerEU: 4
; NumVGPRsForWavesPerEU: 1
; AccumOffset: 4
; Occupancy: 8
; WaveLimiterHint : 0
; COMPUTE_PGM_RSRC2:SCRATCH_EN: 0
; COMPUTE_PGM_RSRC2:USER_SGPR: 6
; COMPUTE_PGM_RSRC2:TRAP_HANDLER: 0
; COMPUTE_PGM_RSRC2:TGID_X_EN: 1
; COMPUTE_PGM_RSRC2:TGID_Y_EN: 0
; COMPUTE_PGM_RSRC2:TGID_Z_EN: 0
; COMPUTE_PGM_RSRC2:TIDIG_COMP_CNT: 0
; COMPUTE_PGM_RSRC3_GFX90A:ACCUM_OFFSET: 0
; COMPUTE_PGM_RSRC3_GFX90A:TG_SPLIT: 0
	.section	.text._ZN7rocprim17ROCPRIM_400000_NS6detail17trampoline_kernelINS0_14default_configENS1_25partition_config_selectorILNS1_17partition_subalgoE8ElNS0_10empty_typeEbEEZZNS1_14partition_implILS5_8ELb0ES3_jPlPS6_PKS6_NS0_5tupleIJS9_S6_EEENSD_IJSA_SA_EEENS0_18inequality_wrapperIZN2at6native12_GLOBAL__N_124unique_dim_cuda_templateIaEESt5tupleIJNSH_6TensorESM_SM_EERKSM_lbbbEUlllE0_EEPmJS6_EEE10hipError_tPvRmT3_T4_T5_T6_T7_T9_mT8_P12ihipStream_tbDpT10_ENKUlT_T0_E_clISt17integral_constantIbLb1EES1C_EEDaS17_S18_EUlS17_E_NS1_11comp_targetILNS1_3genE10ELNS1_11target_archE1200ELNS1_3gpuE4ELNS1_3repE0EEENS1_30default_config_static_selectorELNS0_4arch9wavefront6targetE1EEEvT1_,"axG",@progbits,_ZN7rocprim17ROCPRIM_400000_NS6detail17trampoline_kernelINS0_14default_configENS1_25partition_config_selectorILNS1_17partition_subalgoE8ElNS0_10empty_typeEbEEZZNS1_14partition_implILS5_8ELb0ES3_jPlPS6_PKS6_NS0_5tupleIJS9_S6_EEENSD_IJSA_SA_EEENS0_18inequality_wrapperIZN2at6native12_GLOBAL__N_124unique_dim_cuda_templateIaEESt5tupleIJNSH_6TensorESM_SM_EERKSM_lbbbEUlllE0_EEPmJS6_EEE10hipError_tPvRmT3_T4_T5_T6_T7_T9_mT8_P12ihipStream_tbDpT10_ENKUlT_T0_E_clISt17integral_constantIbLb1EES1C_EEDaS17_S18_EUlS17_E_NS1_11comp_targetILNS1_3genE10ELNS1_11target_archE1200ELNS1_3gpuE4ELNS1_3repE0EEENS1_30default_config_static_selectorELNS0_4arch9wavefront6targetE1EEEvT1_,comdat
	.globl	_ZN7rocprim17ROCPRIM_400000_NS6detail17trampoline_kernelINS0_14default_configENS1_25partition_config_selectorILNS1_17partition_subalgoE8ElNS0_10empty_typeEbEEZZNS1_14partition_implILS5_8ELb0ES3_jPlPS6_PKS6_NS0_5tupleIJS9_S6_EEENSD_IJSA_SA_EEENS0_18inequality_wrapperIZN2at6native12_GLOBAL__N_124unique_dim_cuda_templateIaEESt5tupleIJNSH_6TensorESM_SM_EERKSM_lbbbEUlllE0_EEPmJS6_EEE10hipError_tPvRmT3_T4_T5_T6_T7_T9_mT8_P12ihipStream_tbDpT10_ENKUlT_T0_E_clISt17integral_constantIbLb1EES1C_EEDaS17_S18_EUlS17_E_NS1_11comp_targetILNS1_3genE10ELNS1_11target_archE1200ELNS1_3gpuE4ELNS1_3repE0EEENS1_30default_config_static_selectorELNS0_4arch9wavefront6targetE1EEEvT1_ ; -- Begin function _ZN7rocprim17ROCPRIM_400000_NS6detail17trampoline_kernelINS0_14default_configENS1_25partition_config_selectorILNS1_17partition_subalgoE8ElNS0_10empty_typeEbEEZZNS1_14partition_implILS5_8ELb0ES3_jPlPS6_PKS6_NS0_5tupleIJS9_S6_EEENSD_IJSA_SA_EEENS0_18inequality_wrapperIZN2at6native12_GLOBAL__N_124unique_dim_cuda_templateIaEESt5tupleIJNSH_6TensorESM_SM_EERKSM_lbbbEUlllE0_EEPmJS6_EEE10hipError_tPvRmT3_T4_T5_T6_T7_T9_mT8_P12ihipStream_tbDpT10_ENKUlT_T0_E_clISt17integral_constantIbLb1EES1C_EEDaS17_S18_EUlS17_E_NS1_11comp_targetILNS1_3genE10ELNS1_11target_archE1200ELNS1_3gpuE4ELNS1_3repE0EEENS1_30default_config_static_selectorELNS0_4arch9wavefront6targetE1EEEvT1_
	.p2align	8
	.type	_ZN7rocprim17ROCPRIM_400000_NS6detail17trampoline_kernelINS0_14default_configENS1_25partition_config_selectorILNS1_17partition_subalgoE8ElNS0_10empty_typeEbEEZZNS1_14partition_implILS5_8ELb0ES3_jPlPS6_PKS6_NS0_5tupleIJS9_S6_EEENSD_IJSA_SA_EEENS0_18inequality_wrapperIZN2at6native12_GLOBAL__N_124unique_dim_cuda_templateIaEESt5tupleIJNSH_6TensorESM_SM_EERKSM_lbbbEUlllE0_EEPmJS6_EEE10hipError_tPvRmT3_T4_T5_T6_T7_T9_mT8_P12ihipStream_tbDpT10_ENKUlT_T0_E_clISt17integral_constantIbLb1EES1C_EEDaS17_S18_EUlS17_E_NS1_11comp_targetILNS1_3genE10ELNS1_11target_archE1200ELNS1_3gpuE4ELNS1_3repE0EEENS1_30default_config_static_selectorELNS0_4arch9wavefront6targetE1EEEvT1_,@function
_ZN7rocprim17ROCPRIM_400000_NS6detail17trampoline_kernelINS0_14default_configENS1_25partition_config_selectorILNS1_17partition_subalgoE8ElNS0_10empty_typeEbEEZZNS1_14partition_implILS5_8ELb0ES3_jPlPS6_PKS6_NS0_5tupleIJS9_S6_EEENSD_IJSA_SA_EEENS0_18inequality_wrapperIZN2at6native12_GLOBAL__N_124unique_dim_cuda_templateIaEESt5tupleIJNSH_6TensorESM_SM_EERKSM_lbbbEUlllE0_EEPmJS6_EEE10hipError_tPvRmT3_T4_T5_T6_T7_T9_mT8_P12ihipStream_tbDpT10_ENKUlT_T0_E_clISt17integral_constantIbLb1EES1C_EEDaS17_S18_EUlS17_E_NS1_11comp_targetILNS1_3genE10ELNS1_11target_archE1200ELNS1_3gpuE4ELNS1_3repE0EEENS1_30default_config_static_selectorELNS0_4arch9wavefront6targetE1EEEvT1_: ; @_ZN7rocprim17ROCPRIM_400000_NS6detail17trampoline_kernelINS0_14default_configENS1_25partition_config_selectorILNS1_17partition_subalgoE8ElNS0_10empty_typeEbEEZZNS1_14partition_implILS5_8ELb0ES3_jPlPS6_PKS6_NS0_5tupleIJS9_S6_EEENSD_IJSA_SA_EEENS0_18inequality_wrapperIZN2at6native12_GLOBAL__N_124unique_dim_cuda_templateIaEESt5tupleIJNSH_6TensorESM_SM_EERKSM_lbbbEUlllE0_EEPmJS6_EEE10hipError_tPvRmT3_T4_T5_T6_T7_T9_mT8_P12ihipStream_tbDpT10_ENKUlT_T0_E_clISt17integral_constantIbLb1EES1C_EEDaS17_S18_EUlS17_E_NS1_11comp_targetILNS1_3genE10ELNS1_11target_archE1200ELNS1_3gpuE4ELNS1_3repE0EEENS1_30default_config_static_selectorELNS0_4arch9wavefront6targetE1EEEvT1_
; %bb.0:
	.section	.rodata,"a",@progbits
	.p2align	6, 0x0
	.amdhsa_kernel _ZN7rocprim17ROCPRIM_400000_NS6detail17trampoline_kernelINS0_14default_configENS1_25partition_config_selectorILNS1_17partition_subalgoE8ElNS0_10empty_typeEbEEZZNS1_14partition_implILS5_8ELb0ES3_jPlPS6_PKS6_NS0_5tupleIJS9_S6_EEENSD_IJSA_SA_EEENS0_18inequality_wrapperIZN2at6native12_GLOBAL__N_124unique_dim_cuda_templateIaEESt5tupleIJNSH_6TensorESM_SM_EERKSM_lbbbEUlllE0_EEPmJS6_EEE10hipError_tPvRmT3_T4_T5_T6_T7_T9_mT8_P12ihipStream_tbDpT10_ENKUlT_T0_E_clISt17integral_constantIbLb1EES1C_EEDaS17_S18_EUlS17_E_NS1_11comp_targetILNS1_3genE10ELNS1_11target_archE1200ELNS1_3gpuE4ELNS1_3repE0EEENS1_30default_config_static_selectorELNS0_4arch9wavefront6targetE1EEEvT1_
		.amdhsa_group_segment_fixed_size 0
		.amdhsa_private_segment_fixed_size 0
		.amdhsa_kernarg_size 136
		.amdhsa_user_sgpr_count 6
		.amdhsa_user_sgpr_private_segment_buffer 1
		.amdhsa_user_sgpr_dispatch_ptr 0
		.amdhsa_user_sgpr_queue_ptr 0
		.amdhsa_user_sgpr_kernarg_segment_ptr 1
		.amdhsa_user_sgpr_dispatch_id 0
		.amdhsa_user_sgpr_flat_scratch_init 0
		.amdhsa_user_sgpr_kernarg_preload_length 0
		.amdhsa_user_sgpr_kernarg_preload_offset 0
		.amdhsa_user_sgpr_private_segment_size 0
		.amdhsa_uses_dynamic_stack 0
		.amdhsa_system_sgpr_private_segment_wavefront_offset 0
		.amdhsa_system_sgpr_workgroup_id_x 1
		.amdhsa_system_sgpr_workgroup_id_y 0
		.amdhsa_system_sgpr_workgroup_id_z 0
		.amdhsa_system_sgpr_workgroup_info 0
		.amdhsa_system_vgpr_workitem_id 0
		.amdhsa_next_free_vgpr 1
		.amdhsa_next_free_sgpr 0
		.amdhsa_accum_offset 4
		.amdhsa_reserve_vcc 0
		.amdhsa_reserve_flat_scratch 0
		.amdhsa_float_round_mode_32 0
		.amdhsa_float_round_mode_16_64 0
		.amdhsa_float_denorm_mode_32 3
		.amdhsa_float_denorm_mode_16_64 3
		.amdhsa_dx10_clamp 1
		.amdhsa_ieee_mode 1
		.amdhsa_fp16_overflow 0
		.amdhsa_tg_split 0
		.amdhsa_exception_fp_ieee_invalid_op 0
		.amdhsa_exception_fp_denorm_src 0
		.amdhsa_exception_fp_ieee_div_zero 0
		.amdhsa_exception_fp_ieee_overflow 0
		.amdhsa_exception_fp_ieee_underflow 0
		.amdhsa_exception_fp_ieee_inexact 0
		.amdhsa_exception_int_div_zero 0
	.end_amdhsa_kernel
	.section	.text._ZN7rocprim17ROCPRIM_400000_NS6detail17trampoline_kernelINS0_14default_configENS1_25partition_config_selectorILNS1_17partition_subalgoE8ElNS0_10empty_typeEbEEZZNS1_14partition_implILS5_8ELb0ES3_jPlPS6_PKS6_NS0_5tupleIJS9_S6_EEENSD_IJSA_SA_EEENS0_18inequality_wrapperIZN2at6native12_GLOBAL__N_124unique_dim_cuda_templateIaEESt5tupleIJNSH_6TensorESM_SM_EERKSM_lbbbEUlllE0_EEPmJS6_EEE10hipError_tPvRmT3_T4_T5_T6_T7_T9_mT8_P12ihipStream_tbDpT10_ENKUlT_T0_E_clISt17integral_constantIbLb1EES1C_EEDaS17_S18_EUlS17_E_NS1_11comp_targetILNS1_3genE10ELNS1_11target_archE1200ELNS1_3gpuE4ELNS1_3repE0EEENS1_30default_config_static_selectorELNS0_4arch9wavefront6targetE1EEEvT1_,"axG",@progbits,_ZN7rocprim17ROCPRIM_400000_NS6detail17trampoline_kernelINS0_14default_configENS1_25partition_config_selectorILNS1_17partition_subalgoE8ElNS0_10empty_typeEbEEZZNS1_14partition_implILS5_8ELb0ES3_jPlPS6_PKS6_NS0_5tupleIJS9_S6_EEENSD_IJSA_SA_EEENS0_18inequality_wrapperIZN2at6native12_GLOBAL__N_124unique_dim_cuda_templateIaEESt5tupleIJNSH_6TensorESM_SM_EERKSM_lbbbEUlllE0_EEPmJS6_EEE10hipError_tPvRmT3_T4_T5_T6_T7_T9_mT8_P12ihipStream_tbDpT10_ENKUlT_T0_E_clISt17integral_constantIbLb1EES1C_EEDaS17_S18_EUlS17_E_NS1_11comp_targetILNS1_3genE10ELNS1_11target_archE1200ELNS1_3gpuE4ELNS1_3repE0EEENS1_30default_config_static_selectorELNS0_4arch9wavefront6targetE1EEEvT1_,comdat
.Lfunc_end332:
	.size	_ZN7rocprim17ROCPRIM_400000_NS6detail17trampoline_kernelINS0_14default_configENS1_25partition_config_selectorILNS1_17partition_subalgoE8ElNS0_10empty_typeEbEEZZNS1_14partition_implILS5_8ELb0ES3_jPlPS6_PKS6_NS0_5tupleIJS9_S6_EEENSD_IJSA_SA_EEENS0_18inequality_wrapperIZN2at6native12_GLOBAL__N_124unique_dim_cuda_templateIaEESt5tupleIJNSH_6TensorESM_SM_EERKSM_lbbbEUlllE0_EEPmJS6_EEE10hipError_tPvRmT3_T4_T5_T6_T7_T9_mT8_P12ihipStream_tbDpT10_ENKUlT_T0_E_clISt17integral_constantIbLb1EES1C_EEDaS17_S18_EUlS17_E_NS1_11comp_targetILNS1_3genE10ELNS1_11target_archE1200ELNS1_3gpuE4ELNS1_3repE0EEENS1_30default_config_static_selectorELNS0_4arch9wavefront6targetE1EEEvT1_, .Lfunc_end332-_ZN7rocprim17ROCPRIM_400000_NS6detail17trampoline_kernelINS0_14default_configENS1_25partition_config_selectorILNS1_17partition_subalgoE8ElNS0_10empty_typeEbEEZZNS1_14partition_implILS5_8ELb0ES3_jPlPS6_PKS6_NS0_5tupleIJS9_S6_EEENSD_IJSA_SA_EEENS0_18inequality_wrapperIZN2at6native12_GLOBAL__N_124unique_dim_cuda_templateIaEESt5tupleIJNSH_6TensorESM_SM_EERKSM_lbbbEUlllE0_EEPmJS6_EEE10hipError_tPvRmT3_T4_T5_T6_T7_T9_mT8_P12ihipStream_tbDpT10_ENKUlT_T0_E_clISt17integral_constantIbLb1EES1C_EEDaS17_S18_EUlS17_E_NS1_11comp_targetILNS1_3genE10ELNS1_11target_archE1200ELNS1_3gpuE4ELNS1_3repE0EEENS1_30default_config_static_selectorELNS0_4arch9wavefront6targetE1EEEvT1_
                                        ; -- End function
	.section	.AMDGPU.csdata,"",@progbits
; Kernel info:
; codeLenInByte = 0
; NumSgprs: 4
; NumVgprs: 0
; NumAgprs: 0
; TotalNumVgprs: 0
; ScratchSize: 0
; MemoryBound: 0
; FloatMode: 240
; IeeeMode: 1
; LDSByteSize: 0 bytes/workgroup (compile time only)
; SGPRBlocks: 0
; VGPRBlocks: 0
; NumSGPRsForWavesPerEU: 4
; NumVGPRsForWavesPerEU: 1
; AccumOffset: 4
; Occupancy: 8
; WaveLimiterHint : 0
; COMPUTE_PGM_RSRC2:SCRATCH_EN: 0
; COMPUTE_PGM_RSRC2:USER_SGPR: 6
; COMPUTE_PGM_RSRC2:TRAP_HANDLER: 0
; COMPUTE_PGM_RSRC2:TGID_X_EN: 1
; COMPUTE_PGM_RSRC2:TGID_Y_EN: 0
; COMPUTE_PGM_RSRC2:TGID_Z_EN: 0
; COMPUTE_PGM_RSRC2:TIDIG_COMP_CNT: 0
; COMPUTE_PGM_RSRC3_GFX90A:ACCUM_OFFSET: 0
; COMPUTE_PGM_RSRC3_GFX90A:TG_SPLIT: 0
	.section	.text._ZN7rocprim17ROCPRIM_400000_NS6detail17trampoline_kernelINS0_14default_configENS1_25partition_config_selectorILNS1_17partition_subalgoE8ElNS0_10empty_typeEbEEZZNS1_14partition_implILS5_8ELb0ES3_jPlPS6_PKS6_NS0_5tupleIJS9_S6_EEENSD_IJSA_SA_EEENS0_18inequality_wrapperIZN2at6native12_GLOBAL__N_124unique_dim_cuda_templateIaEESt5tupleIJNSH_6TensorESM_SM_EERKSM_lbbbEUlllE0_EEPmJS6_EEE10hipError_tPvRmT3_T4_T5_T6_T7_T9_mT8_P12ihipStream_tbDpT10_ENKUlT_T0_E_clISt17integral_constantIbLb1EES1C_EEDaS17_S18_EUlS17_E_NS1_11comp_targetILNS1_3genE9ELNS1_11target_archE1100ELNS1_3gpuE3ELNS1_3repE0EEENS1_30default_config_static_selectorELNS0_4arch9wavefront6targetE1EEEvT1_,"axG",@progbits,_ZN7rocprim17ROCPRIM_400000_NS6detail17trampoline_kernelINS0_14default_configENS1_25partition_config_selectorILNS1_17partition_subalgoE8ElNS0_10empty_typeEbEEZZNS1_14partition_implILS5_8ELb0ES3_jPlPS6_PKS6_NS0_5tupleIJS9_S6_EEENSD_IJSA_SA_EEENS0_18inequality_wrapperIZN2at6native12_GLOBAL__N_124unique_dim_cuda_templateIaEESt5tupleIJNSH_6TensorESM_SM_EERKSM_lbbbEUlllE0_EEPmJS6_EEE10hipError_tPvRmT3_T4_T5_T6_T7_T9_mT8_P12ihipStream_tbDpT10_ENKUlT_T0_E_clISt17integral_constantIbLb1EES1C_EEDaS17_S18_EUlS17_E_NS1_11comp_targetILNS1_3genE9ELNS1_11target_archE1100ELNS1_3gpuE3ELNS1_3repE0EEENS1_30default_config_static_selectorELNS0_4arch9wavefront6targetE1EEEvT1_,comdat
	.globl	_ZN7rocprim17ROCPRIM_400000_NS6detail17trampoline_kernelINS0_14default_configENS1_25partition_config_selectorILNS1_17partition_subalgoE8ElNS0_10empty_typeEbEEZZNS1_14partition_implILS5_8ELb0ES3_jPlPS6_PKS6_NS0_5tupleIJS9_S6_EEENSD_IJSA_SA_EEENS0_18inequality_wrapperIZN2at6native12_GLOBAL__N_124unique_dim_cuda_templateIaEESt5tupleIJNSH_6TensorESM_SM_EERKSM_lbbbEUlllE0_EEPmJS6_EEE10hipError_tPvRmT3_T4_T5_T6_T7_T9_mT8_P12ihipStream_tbDpT10_ENKUlT_T0_E_clISt17integral_constantIbLb1EES1C_EEDaS17_S18_EUlS17_E_NS1_11comp_targetILNS1_3genE9ELNS1_11target_archE1100ELNS1_3gpuE3ELNS1_3repE0EEENS1_30default_config_static_selectorELNS0_4arch9wavefront6targetE1EEEvT1_ ; -- Begin function _ZN7rocprim17ROCPRIM_400000_NS6detail17trampoline_kernelINS0_14default_configENS1_25partition_config_selectorILNS1_17partition_subalgoE8ElNS0_10empty_typeEbEEZZNS1_14partition_implILS5_8ELb0ES3_jPlPS6_PKS6_NS0_5tupleIJS9_S6_EEENSD_IJSA_SA_EEENS0_18inequality_wrapperIZN2at6native12_GLOBAL__N_124unique_dim_cuda_templateIaEESt5tupleIJNSH_6TensorESM_SM_EERKSM_lbbbEUlllE0_EEPmJS6_EEE10hipError_tPvRmT3_T4_T5_T6_T7_T9_mT8_P12ihipStream_tbDpT10_ENKUlT_T0_E_clISt17integral_constantIbLb1EES1C_EEDaS17_S18_EUlS17_E_NS1_11comp_targetILNS1_3genE9ELNS1_11target_archE1100ELNS1_3gpuE3ELNS1_3repE0EEENS1_30default_config_static_selectorELNS0_4arch9wavefront6targetE1EEEvT1_
	.p2align	8
	.type	_ZN7rocprim17ROCPRIM_400000_NS6detail17trampoline_kernelINS0_14default_configENS1_25partition_config_selectorILNS1_17partition_subalgoE8ElNS0_10empty_typeEbEEZZNS1_14partition_implILS5_8ELb0ES3_jPlPS6_PKS6_NS0_5tupleIJS9_S6_EEENSD_IJSA_SA_EEENS0_18inequality_wrapperIZN2at6native12_GLOBAL__N_124unique_dim_cuda_templateIaEESt5tupleIJNSH_6TensorESM_SM_EERKSM_lbbbEUlllE0_EEPmJS6_EEE10hipError_tPvRmT3_T4_T5_T6_T7_T9_mT8_P12ihipStream_tbDpT10_ENKUlT_T0_E_clISt17integral_constantIbLb1EES1C_EEDaS17_S18_EUlS17_E_NS1_11comp_targetILNS1_3genE9ELNS1_11target_archE1100ELNS1_3gpuE3ELNS1_3repE0EEENS1_30default_config_static_selectorELNS0_4arch9wavefront6targetE1EEEvT1_,@function
_ZN7rocprim17ROCPRIM_400000_NS6detail17trampoline_kernelINS0_14default_configENS1_25partition_config_selectorILNS1_17partition_subalgoE8ElNS0_10empty_typeEbEEZZNS1_14partition_implILS5_8ELb0ES3_jPlPS6_PKS6_NS0_5tupleIJS9_S6_EEENSD_IJSA_SA_EEENS0_18inequality_wrapperIZN2at6native12_GLOBAL__N_124unique_dim_cuda_templateIaEESt5tupleIJNSH_6TensorESM_SM_EERKSM_lbbbEUlllE0_EEPmJS6_EEE10hipError_tPvRmT3_T4_T5_T6_T7_T9_mT8_P12ihipStream_tbDpT10_ENKUlT_T0_E_clISt17integral_constantIbLb1EES1C_EEDaS17_S18_EUlS17_E_NS1_11comp_targetILNS1_3genE9ELNS1_11target_archE1100ELNS1_3gpuE3ELNS1_3repE0EEENS1_30default_config_static_selectorELNS0_4arch9wavefront6targetE1EEEvT1_: ; @_ZN7rocprim17ROCPRIM_400000_NS6detail17trampoline_kernelINS0_14default_configENS1_25partition_config_selectorILNS1_17partition_subalgoE8ElNS0_10empty_typeEbEEZZNS1_14partition_implILS5_8ELb0ES3_jPlPS6_PKS6_NS0_5tupleIJS9_S6_EEENSD_IJSA_SA_EEENS0_18inequality_wrapperIZN2at6native12_GLOBAL__N_124unique_dim_cuda_templateIaEESt5tupleIJNSH_6TensorESM_SM_EERKSM_lbbbEUlllE0_EEPmJS6_EEE10hipError_tPvRmT3_T4_T5_T6_T7_T9_mT8_P12ihipStream_tbDpT10_ENKUlT_T0_E_clISt17integral_constantIbLb1EES1C_EEDaS17_S18_EUlS17_E_NS1_11comp_targetILNS1_3genE9ELNS1_11target_archE1100ELNS1_3gpuE3ELNS1_3repE0EEENS1_30default_config_static_selectorELNS0_4arch9wavefront6targetE1EEEvT1_
; %bb.0:
	.section	.rodata,"a",@progbits
	.p2align	6, 0x0
	.amdhsa_kernel _ZN7rocprim17ROCPRIM_400000_NS6detail17trampoline_kernelINS0_14default_configENS1_25partition_config_selectorILNS1_17partition_subalgoE8ElNS0_10empty_typeEbEEZZNS1_14partition_implILS5_8ELb0ES3_jPlPS6_PKS6_NS0_5tupleIJS9_S6_EEENSD_IJSA_SA_EEENS0_18inequality_wrapperIZN2at6native12_GLOBAL__N_124unique_dim_cuda_templateIaEESt5tupleIJNSH_6TensorESM_SM_EERKSM_lbbbEUlllE0_EEPmJS6_EEE10hipError_tPvRmT3_T4_T5_T6_T7_T9_mT8_P12ihipStream_tbDpT10_ENKUlT_T0_E_clISt17integral_constantIbLb1EES1C_EEDaS17_S18_EUlS17_E_NS1_11comp_targetILNS1_3genE9ELNS1_11target_archE1100ELNS1_3gpuE3ELNS1_3repE0EEENS1_30default_config_static_selectorELNS0_4arch9wavefront6targetE1EEEvT1_
		.amdhsa_group_segment_fixed_size 0
		.amdhsa_private_segment_fixed_size 0
		.amdhsa_kernarg_size 136
		.amdhsa_user_sgpr_count 6
		.amdhsa_user_sgpr_private_segment_buffer 1
		.amdhsa_user_sgpr_dispatch_ptr 0
		.amdhsa_user_sgpr_queue_ptr 0
		.amdhsa_user_sgpr_kernarg_segment_ptr 1
		.amdhsa_user_sgpr_dispatch_id 0
		.amdhsa_user_sgpr_flat_scratch_init 0
		.amdhsa_user_sgpr_kernarg_preload_length 0
		.amdhsa_user_sgpr_kernarg_preload_offset 0
		.amdhsa_user_sgpr_private_segment_size 0
		.amdhsa_uses_dynamic_stack 0
		.amdhsa_system_sgpr_private_segment_wavefront_offset 0
		.amdhsa_system_sgpr_workgroup_id_x 1
		.amdhsa_system_sgpr_workgroup_id_y 0
		.amdhsa_system_sgpr_workgroup_id_z 0
		.amdhsa_system_sgpr_workgroup_info 0
		.amdhsa_system_vgpr_workitem_id 0
		.amdhsa_next_free_vgpr 1
		.amdhsa_next_free_sgpr 0
		.amdhsa_accum_offset 4
		.amdhsa_reserve_vcc 0
		.amdhsa_reserve_flat_scratch 0
		.amdhsa_float_round_mode_32 0
		.amdhsa_float_round_mode_16_64 0
		.amdhsa_float_denorm_mode_32 3
		.amdhsa_float_denorm_mode_16_64 3
		.amdhsa_dx10_clamp 1
		.amdhsa_ieee_mode 1
		.amdhsa_fp16_overflow 0
		.amdhsa_tg_split 0
		.amdhsa_exception_fp_ieee_invalid_op 0
		.amdhsa_exception_fp_denorm_src 0
		.amdhsa_exception_fp_ieee_div_zero 0
		.amdhsa_exception_fp_ieee_overflow 0
		.amdhsa_exception_fp_ieee_underflow 0
		.amdhsa_exception_fp_ieee_inexact 0
		.amdhsa_exception_int_div_zero 0
	.end_amdhsa_kernel
	.section	.text._ZN7rocprim17ROCPRIM_400000_NS6detail17trampoline_kernelINS0_14default_configENS1_25partition_config_selectorILNS1_17partition_subalgoE8ElNS0_10empty_typeEbEEZZNS1_14partition_implILS5_8ELb0ES3_jPlPS6_PKS6_NS0_5tupleIJS9_S6_EEENSD_IJSA_SA_EEENS0_18inequality_wrapperIZN2at6native12_GLOBAL__N_124unique_dim_cuda_templateIaEESt5tupleIJNSH_6TensorESM_SM_EERKSM_lbbbEUlllE0_EEPmJS6_EEE10hipError_tPvRmT3_T4_T5_T6_T7_T9_mT8_P12ihipStream_tbDpT10_ENKUlT_T0_E_clISt17integral_constantIbLb1EES1C_EEDaS17_S18_EUlS17_E_NS1_11comp_targetILNS1_3genE9ELNS1_11target_archE1100ELNS1_3gpuE3ELNS1_3repE0EEENS1_30default_config_static_selectorELNS0_4arch9wavefront6targetE1EEEvT1_,"axG",@progbits,_ZN7rocprim17ROCPRIM_400000_NS6detail17trampoline_kernelINS0_14default_configENS1_25partition_config_selectorILNS1_17partition_subalgoE8ElNS0_10empty_typeEbEEZZNS1_14partition_implILS5_8ELb0ES3_jPlPS6_PKS6_NS0_5tupleIJS9_S6_EEENSD_IJSA_SA_EEENS0_18inequality_wrapperIZN2at6native12_GLOBAL__N_124unique_dim_cuda_templateIaEESt5tupleIJNSH_6TensorESM_SM_EERKSM_lbbbEUlllE0_EEPmJS6_EEE10hipError_tPvRmT3_T4_T5_T6_T7_T9_mT8_P12ihipStream_tbDpT10_ENKUlT_T0_E_clISt17integral_constantIbLb1EES1C_EEDaS17_S18_EUlS17_E_NS1_11comp_targetILNS1_3genE9ELNS1_11target_archE1100ELNS1_3gpuE3ELNS1_3repE0EEENS1_30default_config_static_selectorELNS0_4arch9wavefront6targetE1EEEvT1_,comdat
.Lfunc_end333:
	.size	_ZN7rocprim17ROCPRIM_400000_NS6detail17trampoline_kernelINS0_14default_configENS1_25partition_config_selectorILNS1_17partition_subalgoE8ElNS0_10empty_typeEbEEZZNS1_14partition_implILS5_8ELb0ES3_jPlPS6_PKS6_NS0_5tupleIJS9_S6_EEENSD_IJSA_SA_EEENS0_18inequality_wrapperIZN2at6native12_GLOBAL__N_124unique_dim_cuda_templateIaEESt5tupleIJNSH_6TensorESM_SM_EERKSM_lbbbEUlllE0_EEPmJS6_EEE10hipError_tPvRmT3_T4_T5_T6_T7_T9_mT8_P12ihipStream_tbDpT10_ENKUlT_T0_E_clISt17integral_constantIbLb1EES1C_EEDaS17_S18_EUlS17_E_NS1_11comp_targetILNS1_3genE9ELNS1_11target_archE1100ELNS1_3gpuE3ELNS1_3repE0EEENS1_30default_config_static_selectorELNS0_4arch9wavefront6targetE1EEEvT1_, .Lfunc_end333-_ZN7rocprim17ROCPRIM_400000_NS6detail17trampoline_kernelINS0_14default_configENS1_25partition_config_selectorILNS1_17partition_subalgoE8ElNS0_10empty_typeEbEEZZNS1_14partition_implILS5_8ELb0ES3_jPlPS6_PKS6_NS0_5tupleIJS9_S6_EEENSD_IJSA_SA_EEENS0_18inequality_wrapperIZN2at6native12_GLOBAL__N_124unique_dim_cuda_templateIaEESt5tupleIJNSH_6TensorESM_SM_EERKSM_lbbbEUlllE0_EEPmJS6_EEE10hipError_tPvRmT3_T4_T5_T6_T7_T9_mT8_P12ihipStream_tbDpT10_ENKUlT_T0_E_clISt17integral_constantIbLb1EES1C_EEDaS17_S18_EUlS17_E_NS1_11comp_targetILNS1_3genE9ELNS1_11target_archE1100ELNS1_3gpuE3ELNS1_3repE0EEENS1_30default_config_static_selectorELNS0_4arch9wavefront6targetE1EEEvT1_
                                        ; -- End function
	.section	.AMDGPU.csdata,"",@progbits
; Kernel info:
; codeLenInByte = 0
; NumSgprs: 4
; NumVgprs: 0
; NumAgprs: 0
; TotalNumVgprs: 0
; ScratchSize: 0
; MemoryBound: 0
; FloatMode: 240
; IeeeMode: 1
; LDSByteSize: 0 bytes/workgroup (compile time only)
; SGPRBlocks: 0
; VGPRBlocks: 0
; NumSGPRsForWavesPerEU: 4
; NumVGPRsForWavesPerEU: 1
; AccumOffset: 4
; Occupancy: 8
; WaveLimiterHint : 0
; COMPUTE_PGM_RSRC2:SCRATCH_EN: 0
; COMPUTE_PGM_RSRC2:USER_SGPR: 6
; COMPUTE_PGM_RSRC2:TRAP_HANDLER: 0
; COMPUTE_PGM_RSRC2:TGID_X_EN: 1
; COMPUTE_PGM_RSRC2:TGID_Y_EN: 0
; COMPUTE_PGM_RSRC2:TGID_Z_EN: 0
; COMPUTE_PGM_RSRC2:TIDIG_COMP_CNT: 0
; COMPUTE_PGM_RSRC3_GFX90A:ACCUM_OFFSET: 0
; COMPUTE_PGM_RSRC3_GFX90A:TG_SPLIT: 0
	.section	.text._ZN7rocprim17ROCPRIM_400000_NS6detail17trampoline_kernelINS0_14default_configENS1_25partition_config_selectorILNS1_17partition_subalgoE8ElNS0_10empty_typeEbEEZZNS1_14partition_implILS5_8ELb0ES3_jPlPS6_PKS6_NS0_5tupleIJS9_S6_EEENSD_IJSA_SA_EEENS0_18inequality_wrapperIZN2at6native12_GLOBAL__N_124unique_dim_cuda_templateIaEESt5tupleIJNSH_6TensorESM_SM_EERKSM_lbbbEUlllE0_EEPmJS6_EEE10hipError_tPvRmT3_T4_T5_T6_T7_T9_mT8_P12ihipStream_tbDpT10_ENKUlT_T0_E_clISt17integral_constantIbLb1EES1C_EEDaS17_S18_EUlS17_E_NS1_11comp_targetILNS1_3genE8ELNS1_11target_archE1030ELNS1_3gpuE2ELNS1_3repE0EEENS1_30default_config_static_selectorELNS0_4arch9wavefront6targetE1EEEvT1_,"axG",@progbits,_ZN7rocprim17ROCPRIM_400000_NS6detail17trampoline_kernelINS0_14default_configENS1_25partition_config_selectorILNS1_17partition_subalgoE8ElNS0_10empty_typeEbEEZZNS1_14partition_implILS5_8ELb0ES3_jPlPS6_PKS6_NS0_5tupleIJS9_S6_EEENSD_IJSA_SA_EEENS0_18inequality_wrapperIZN2at6native12_GLOBAL__N_124unique_dim_cuda_templateIaEESt5tupleIJNSH_6TensorESM_SM_EERKSM_lbbbEUlllE0_EEPmJS6_EEE10hipError_tPvRmT3_T4_T5_T6_T7_T9_mT8_P12ihipStream_tbDpT10_ENKUlT_T0_E_clISt17integral_constantIbLb1EES1C_EEDaS17_S18_EUlS17_E_NS1_11comp_targetILNS1_3genE8ELNS1_11target_archE1030ELNS1_3gpuE2ELNS1_3repE0EEENS1_30default_config_static_selectorELNS0_4arch9wavefront6targetE1EEEvT1_,comdat
	.globl	_ZN7rocprim17ROCPRIM_400000_NS6detail17trampoline_kernelINS0_14default_configENS1_25partition_config_selectorILNS1_17partition_subalgoE8ElNS0_10empty_typeEbEEZZNS1_14partition_implILS5_8ELb0ES3_jPlPS6_PKS6_NS0_5tupleIJS9_S6_EEENSD_IJSA_SA_EEENS0_18inequality_wrapperIZN2at6native12_GLOBAL__N_124unique_dim_cuda_templateIaEESt5tupleIJNSH_6TensorESM_SM_EERKSM_lbbbEUlllE0_EEPmJS6_EEE10hipError_tPvRmT3_T4_T5_T6_T7_T9_mT8_P12ihipStream_tbDpT10_ENKUlT_T0_E_clISt17integral_constantIbLb1EES1C_EEDaS17_S18_EUlS17_E_NS1_11comp_targetILNS1_3genE8ELNS1_11target_archE1030ELNS1_3gpuE2ELNS1_3repE0EEENS1_30default_config_static_selectorELNS0_4arch9wavefront6targetE1EEEvT1_ ; -- Begin function _ZN7rocprim17ROCPRIM_400000_NS6detail17trampoline_kernelINS0_14default_configENS1_25partition_config_selectorILNS1_17partition_subalgoE8ElNS0_10empty_typeEbEEZZNS1_14partition_implILS5_8ELb0ES3_jPlPS6_PKS6_NS0_5tupleIJS9_S6_EEENSD_IJSA_SA_EEENS0_18inequality_wrapperIZN2at6native12_GLOBAL__N_124unique_dim_cuda_templateIaEESt5tupleIJNSH_6TensorESM_SM_EERKSM_lbbbEUlllE0_EEPmJS6_EEE10hipError_tPvRmT3_T4_T5_T6_T7_T9_mT8_P12ihipStream_tbDpT10_ENKUlT_T0_E_clISt17integral_constantIbLb1EES1C_EEDaS17_S18_EUlS17_E_NS1_11comp_targetILNS1_3genE8ELNS1_11target_archE1030ELNS1_3gpuE2ELNS1_3repE0EEENS1_30default_config_static_selectorELNS0_4arch9wavefront6targetE1EEEvT1_
	.p2align	8
	.type	_ZN7rocprim17ROCPRIM_400000_NS6detail17trampoline_kernelINS0_14default_configENS1_25partition_config_selectorILNS1_17partition_subalgoE8ElNS0_10empty_typeEbEEZZNS1_14partition_implILS5_8ELb0ES3_jPlPS6_PKS6_NS0_5tupleIJS9_S6_EEENSD_IJSA_SA_EEENS0_18inequality_wrapperIZN2at6native12_GLOBAL__N_124unique_dim_cuda_templateIaEESt5tupleIJNSH_6TensorESM_SM_EERKSM_lbbbEUlllE0_EEPmJS6_EEE10hipError_tPvRmT3_T4_T5_T6_T7_T9_mT8_P12ihipStream_tbDpT10_ENKUlT_T0_E_clISt17integral_constantIbLb1EES1C_EEDaS17_S18_EUlS17_E_NS1_11comp_targetILNS1_3genE8ELNS1_11target_archE1030ELNS1_3gpuE2ELNS1_3repE0EEENS1_30default_config_static_selectorELNS0_4arch9wavefront6targetE1EEEvT1_,@function
_ZN7rocprim17ROCPRIM_400000_NS6detail17trampoline_kernelINS0_14default_configENS1_25partition_config_selectorILNS1_17partition_subalgoE8ElNS0_10empty_typeEbEEZZNS1_14partition_implILS5_8ELb0ES3_jPlPS6_PKS6_NS0_5tupleIJS9_S6_EEENSD_IJSA_SA_EEENS0_18inequality_wrapperIZN2at6native12_GLOBAL__N_124unique_dim_cuda_templateIaEESt5tupleIJNSH_6TensorESM_SM_EERKSM_lbbbEUlllE0_EEPmJS6_EEE10hipError_tPvRmT3_T4_T5_T6_T7_T9_mT8_P12ihipStream_tbDpT10_ENKUlT_T0_E_clISt17integral_constantIbLb1EES1C_EEDaS17_S18_EUlS17_E_NS1_11comp_targetILNS1_3genE8ELNS1_11target_archE1030ELNS1_3gpuE2ELNS1_3repE0EEENS1_30default_config_static_selectorELNS0_4arch9wavefront6targetE1EEEvT1_: ; @_ZN7rocprim17ROCPRIM_400000_NS6detail17trampoline_kernelINS0_14default_configENS1_25partition_config_selectorILNS1_17partition_subalgoE8ElNS0_10empty_typeEbEEZZNS1_14partition_implILS5_8ELb0ES3_jPlPS6_PKS6_NS0_5tupleIJS9_S6_EEENSD_IJSA_SA_EEENS0_18inequality_wrapperIZN2at6native12_GLOBAL__N_124unique_dim_cuda_templateIaEESt5tupleIJNSH_6TensorESM_SM_EERKSM_lbbbEUlllE0_EEPmJS6_EEE10hipError_tPvRmT3_T4_T5_T6_T7_T9_mT8_P12ihipStream_tbDpT10_ENKUlT_T0_E_clISt17integral_constantIbLb1EES1C_EEDaS17_S18_EUlS17_E_NS1_11comp_targetILNS1_3genE8ELNS1_11target_archE1030ELNS1_3gpuE2ELNS1_3repE0EEENS1_30default_config_static_selectorELNS0_4arch9wavefront6targetE1EEEvT1_
; %bb.0:
	.section	.rodata,"a",@progbits
	.p2align	6, 0x0
	.amdhsa_kernel _ZN7rocprim17ROCPRIM_400000_NS6detail17trampoline_kernelINS0_14default_configENS1_25partition_config_selectorILNS1_17partition_subalgoE8ElNS0_10empty_typeEbEEZZNS1_14partition_implILS5_8ELb0ES3_jPlPS6_PKS6_NS0_5tupleIJS9_S6_EEENSD_IJSA_SA_EEENS0_18inequality_wrapperIZN2at6native12_GLOBAL__N_124unique_dim_cuda_templateIaEESt5tupleIJNSH_6TensorESM_SM_EERKSM_lbbbEUlllE0_EEPmJS6_EEE10hipError_tPvRmT3_T4_T5_T6_T7_T9_mT8_P12ihipStream_tbDpT10_ENKUlT_T0_E_clISt17integral_constantIbLb1EES1C_EEDaS17_S18_EUlS17_E_NS1_11comp_targetILNS1_3genE8ELNS1_11target_archE1030ELNS1_3gpuE2ELNS1_3repE0EEENS1_30default_config_static_selectorELNS0_4arch9wavefront6targetE1EEEvT1_
		.amdhsa_group_segment_fixed_size 0
		.amdhsa_private_segment_fixed_size 0
		.amdhsa_kernarg_size 136
		.amdhsa_user_sgpr_count 6
		.amdhsa_user_sgpr_private_segment_buffer 1
		.amdhsa_user_sgpr_dispatch_ptr 0
		.amdhsa_user_sgpr_queue_ptr 0
		.amdhsa_user_sgpr_kernarg_segment_ptr 1
		.amdhsa_user_sgpr_dispatch_id 0
		.amdhsa_user_sgpr_flat_scratch_init 0
		.amdhsa_user_sgpr_kernarg_preload_length 0
		.amdhsa_user_sgpr_kernarg_preload_offset 0
		.amdhsa_user_sgpr_private_segment_size 0
		.amdhsa_uses_dynamic_stack 0
		.amdhsa_system_sgpr_private_segment_wavefront_offset 0
		.amdhsa_system_sgpr_workgroup_id_x 1
		.amdhsa_system_sgpr_workgroup_id_y 0
		.amdhsa_system_sgpr_workgroup_id_z 0
		.amdhsa_system_sgpr_workgroup_info 0
		.amdhsa_system_vgpr_workitem_id 0
		.amdhsa_next_free_vgpr 1
		.amdhsa_next_free_sgpr 0
		.amdhsa_accum_offset 4
		.amdhsa_reserve_vcc 0
		.amdhsa_reserve_flat_scratch 0
		.amdhsa_float_round_mode_32 0
		.amdhsa_float_round_mode_16_64 0
		.amdhsa_float_denorm_mode_32 3
		.amdhsa_float_denorm_mode_16_64 3
		.amdhsa_dx10_clamp 1
		.amdhsa_ieee_mode 1
		.amdhsa_fp16_overflow 0
		.amdhsa_tg_split 0
		.amdhsa_exception_fp_ieee_invalid_op 0
		.amdhsa_exception_fp_denorm_src 0
		.amdhsa_exception_fp_ieee_div_zero 0
		.amdhsa_exception_fp_ieee_overflow 0
		.amdhsa_exception_fp_ieee_underflow 0
		.amdhsa_exception_fp_ieee_inexact 0
		.amdhsa_exception_int_div_zero 0
	.end_amdhsa_kernel
	.section	.text._ZN7rocprim17ROCPRIM_400000_NS6detail17trampoline_kernelINS0_14default_configENS1_25partition_config_selectorILNS1_17partition_subalgoE8ElNS0_10empty_typeEbEEZZNS1_14partition_implILS5_8ELb0ES3_jPlPS6_PKS6_NS0_5tupleIJS9_S6_EEENSD_IJSA_SA_EEENS0_18inequality_wrapperIZN2at6native12_GLOBAL__N_124unique_dim_cuda_templateIaEESt5tupleIJNSH_6TensorESM_SM_EERKSM_lbbbEUlllE0_EEPmJS6_EEE10hipError_tPvRmT3_T4_T5_T6_T7_T9_mT8_P12ihipStream_tbDpT10_ENKUlT_T0_E_clISt17integral_constantIbLb1EES1C_EEDaS17_S18_EUlS17_E_NS1_11comp_targetILNS1_3genE8ELNS1_11target_archE1030ELNS1_3gpuE2ELNS1_3repE0EEENS1_30default_config_static_selectorELNS0_4arch9wavefront6targetE1EEEvT1_,"axG",@progbits,_ZN7rocprim17ROCPRIM_400000_NS6detail17trampoline_kernelINS0_14default_configENS1_25partition_config_selectorILNS1_17partition_subalgoE8ElNS0_10empty_typeEbEEZZNS1_14partition_implILS5_8ELb0ES3_jPlPS6_PKS6_NS0_5tupleIJS9_S6_EEENSD_IJSA_SA_EEENS0_18inequality_wrapperIZN2at6native12_GLOBAL__N_124unique_dim_cuda_templateIaEESt5tupleIJNSH_6TensorESM_SM_EERKSM_lbbbEUlllE0_EEPmJS6_EEE10hipError_tPvRmT3_T4_T5_T6_T7_T9_mT8_P12ihipStream_tbDpT10_ENKUlT_T0_E_clISt17integral_constantIbLb1EES1C_EEDaS17_S18_EUlS17_E_NS1_11comp_targetILNS1_3genE8ELNS1_11target_archE1030ELNS1_3gpuE2ELNS1_3repE0EEENS1_30default_config_static_selectorELNS0_4arch9wavefront6targetE1EEEvT1_,comdat
.Lfunc_end334:
	.size	_ZN7rocprim17ROCPRIM_400000_NS6detail17trampoline_kernelINS0_14default_configENS1_25partition_config_selectorILNS1_17partition_subalgoE8ElNS0_10empty_typeEbEEZZNS1_14partition_implILS5_8ELb0ES3_jPlPS6_PKS6_NS0_5tupleIJS9_S6_EEENSD_IJSA_SA_EEENS0_18inequality_wrapperIZN2at6native12_GLOBAL__N_124unique_dim_cuda_templateIaEESt5tupleIJNSH_6TensorESM_SM_EERKSM_lbbbEUlllE0_EEPmJS6_EEE10hipError_tPvRmT3_T4_T5_T6_T7_T9_mT8_P12ihipStream_tbDpT10_ENKUlT_T0_E_clISt17integral_constantIbLb1EES1C_EEDaS17_S18_EUlS17_E_NS1_11comp_targetILNS1_3genE8ELNS1_11target_archE1030ELNS1_3gpuE2ELNS1_3repE0EEENS1_30default_config_static_selectorELNS0_4arch9wavefront6targetE1EEEvT1_, .Lfunc_end334-_ZN7rocprim17ROCPRIM_400000_NS6detail17trampoline_kernelINS0_14default_configENS1_25partition_config_selectorILNS1_17partition_subalgoE8ElNS0_10empty_typeEbEEZZNS1_14partition_implILS5_8ELb0ES3_jPlPS6_PKS6_NS0_5tupleIJS9_S6_EEENSD_IJSA_SA_EEENS0_18inequality_wrapperIZN2at6native12_GLOBAL__N_124unique_dim_cuda_templateIaEESt5tupleIJNSH_6TensorESM_SM_EERKSM_lbbbEUlllE0_EEPmJS6_EEE10hipError_tPvRmT3_T4_T5_T6_T7_T9_mT8_P12ihipStream_tbDpT10_ENKUlT_T0_E_clISt17integral_constantIbLb1EES1C_EEDaS17_S18_EUlS17_E_NS1_11comp_targetILNS1_3genE8ELNS1_11target_archE1030ELNS1_3gpuE2ELNS1_3repE0EEENS1_30default_config_static_selectorELNS0_4arch9wavefront6targetE1EEEvT1_
                                        ; -- End function
	.section	.AMDGPU.csdata,"",@progbits
; Kernel info:
; codeLenInByte = 0
; NumSgprs: 4
; NumVgprs: 0
; NumAgprs: 0
; TotalNumVgprs: 0
; ScratchSize: 0
; MemoryBound: 0
; FloatMode: 240
; IeeeMode: 1
; LDSByteSize: 0 bytes/workgroup (compile time only)
; SGPRBlocks: 0
; VGPRBlocks: 0
; NumSGPRsForWavesPerEU: 4
; NumVGPRsForWavesPerEU: 1
; AccumOffset: 4
; Occupancy: 8
; WaveLimiterHint : 0
; COMPUTE_PGM_RSRC2:SCRATCH_EN: 0
; COMPUTE_PGM_RSRC2:USER_SGPR: 6
; COMPUTE_PGM_RSRC2:TRAP_HANDLER: 0
; COMPUTE_PGM_RSRC2:TGID_X_EN: 1
; COMPUTE_PGM_RSRC2:TGID_Y_EN: 0
; COMPUTE_PGM_RSRC2:TGID_Z_EN: 0
; COMPUTE_PGM_RSRC2:TIDIG_COMP_CNT: 0
; COMPUTE_PGM_RSRC3_GFX90A:ACCUM_OFFSET: 0
; COMPUTE_PGM_RSRC3_GFX90A:TG_SPLIT: 0
	.section	.text._ZN7rocprim17ROCPRIM_400000_NS6detail17trampoline_kernelINS0_14default_configENS1_25partition_config_selectorILNS1_17partition_subalgoE8ElNS0_10empty_typeEbEEZZNS1_14partition_implILS5_8ELb0ES3_jPlPS6_PKS6_NS0_5tupleIJS9_S6_EEENSD_IJSA_SA_EEENS0_18inequality_wrapperIZN2at6native12_GLOBAL__N_124unique_dim_cuda_templateIaEESt5tupleIJNSH_6TensorESM_SM_EERKSM_lbbbEUlllE0_EEPmJS6_EEE10hipError_tPvRmT3_T4_T5_T6_T7_T9_mT8_P12ihipStream_tbDpT10_ENKUlT_T0_E_clISt17integral_constantIbLb1EES1B_IbLb0EEEEDaS17_S18_EUlS17_E_NS1_11comp_targetILNS1_3genE0ELNS1_11target_archE4294967295ELNS1_3gpuE0ELNS1_3repE0EEENS1_30default_config_static_selectorELNS0_4arch9wavefront6targetE1EEEvT1_,"axG",@progbits,_ZN7rocprim17ROCPRIM_400000_NS6detail17trampoline_kernelINS0_14default_configENS1_25partition_config_selectorILNS1_17partition_subalgoE8ElNS0_10empty_typeEbEEZZNS1_14partition_implILS5_8ELb0ES3_jPlPS6_PKS6_NS0_5tupleIJS9_S6_EEENSD_IJSA_SA_EEENS0_18inequality_wrapperIZN2at6native12_GLOBAL__N_124unique_dim_cuda_templateIaEESt5tupleIJNSH_6TensorESM_SM_EERKSM_lbbbEUlllE0_EEPmJS6_EEE10hipError_tPvRmT3_T4_T5_T6_T7_T9_mT8_P12ihipStream_tbDpT10_ENKUlT_T0_E_clISt17integral_constantIbLb1EES1B_IbLb0EEEEDaS17_S18_EUlS17_E_NS1_11comp_targetILNS1_3genE0ELNS1_11target_archE4294967295ELNS1_3gpuE0ELNS1_3repE0EEENS1_30default_config_static_selectorELNS0_4arch9wavefront6targetE1EEEvT1_,comdat
	.globl	_ZN7rocprim17ROCPRIM_400000_NS6detail17trampoline_kernelINS0_14default_configENS1_25partition_config_selectorILNS1_17partition_subalgoE8ElNS0_10empty_typeEbEEZZNS1_14partition_implILS5_8ELb0ES3_jPlPS6_PKS6_NS0_5tupleIJS9_S6_EEENSD_IJSA_SA_EEENS0_18inequality_wrapperIZN2at6native12_GLOBAL__N_124unique_dim_cuda_templateIaEESt5tupleIJNSH_6TensorESM_SM_EERKSM_lbbbEUlllE0_EEPmJS6_EEE10hipError_tPvRmT3_T4_T5_T6_T7_T9_mT8_P12ihipStream_tbDpT10_ENKUlT_T0_E_clISt17integral_constantIbLb1EES1B_IbLb0EEEEDaS17_S18_EUlS17_E_NS1_11comp_targetILNS1_3genE0ELNS1_11target_archE4294967295ELNS1_3gpuE0ELNS1_3repE0EEENS1_30default_config_static_selectorELNS0_4arch9wavefront6targetE1EEEvT1_ ; -- Begin function _ZN7rocprim17ROCPRIM_400000_NS6detail17trampoline_kernelINS0_14default_configENS1_25partition_config_selectorILNS1_17partition_subalgoE8ElNS0_10empty_typeEbEEZZNS1_14partition_implILS5_8ELb0ES3_jPlPS6_PKS6_NS0_5tupleIJS9_S6_EEENSD_IJSA_SA_EEENS0_18inequality_wrapperIZN2at6native12_GLOBAL__N_124unique_dim_cuda_templateIaEESt5tupleIJNSH_6TensorESM_SM_EERKSM_lbbbEUlllE0_EEPmJS6_EEE10hipError_tPvRmT3_T4_T5_T6_T7_T9_mT8_P12ihipStream_tbDpT10_ENKUlT_T0_E_clISt17integral_constantIbLb1EES1B_IbLb0EEEEDaS17_S18_EUlS17_E_NS1_11comp_targetILNS1_3genE0ELNS1_11target_archE4294967295ELNS1_3gpuE0ELNS1_3repE0EEENS1_30default_config_static_selectorELNS0_4arch9wavefront6targetE1EEEvT1_
	.p2align	8
	.type	_ZN7rocprim17ROCPRIM_400000_NS6detail17trampoline_kernelINS0_14default_configENS1_25partition_config_selectorILNS1_17partition_subalgoE8ElNS0_10empty_typeEbEEZZNS1_14partition_implILS5_8ELb0ES3_jPlPS6_PKS6_NS0_5tupleIJS9_S6_EEENSD_IJSA_SA_EEENS0_18inequality_wrapperIZN2at6native12_GLOBAL__N_124unique_dim_cuda_templateIaEESt5tupleIJNSH_6TensorESM_SM_EERKSM_lbbbEUlllE0_EEPmJS6_EEE10hipError_tPvRmT3_T4_T5_T6_T7_T9_mT8_P12ihipStream_tbDpT10_ENKUlT_T0_E_clISt17integral_constantIbLb1EES1B_IbLb0EEEEDaS17_S18_EUlS17_E_NS1_11comp_targetILNS1_3genE0ELNS1_11target_archE4294967295ELNS1_3gpuE0ELNS1_3repE0EEENS1_30default_config_static_selectorELNS0_4arch9wavefront6targetE1EEEvT1_,@function
_ZN7rocprim17ROCPRIM_400000_NS6detail17trampoline_kernelINS0_14default_configENS1_25partition_config_selectorILNS1_17partition_subalgoE8ElNS0_10empty_typeEbEEZZNS1_14partition_implILS5_8ELb0ES3_jPlPS6_PKS6_NS0_5tupleIJS9_S6_EEENSD_IJSA_SA_EEENS0_18inequality_wrapperIZN2at6native12_GLOBAL__N_124unique_dim_cuda_templateIaEESt5tupleIJNSH_6TensorESM_SM_EERKSM_lbbbEUlllE0_EEPmJS6_EEE10hipError_tPvRmT3_T4_T5_T6_T7_T9_mT8_P12ihipStream_tbDpT10_ENKUlT_T0_E_clISt17integral_constantIbLb1EES1B_IbLb0EEEEDaS17_S18_EUlS17_E_NS1_11comp_targetILNS1_3genE0ELNS1_11target_archE4294967295ELNS1_3gpuE0ELNS1_3repE0EEENS1_30default_config_static_selectorELNS0_4arch9wavefront6targetE1EEEvT1_: ; @_ZN7rocprim17ROCPRIM_400000_NS6detail17trampoline_kernelINS0_14default_configENS1_25partition_config_selectorILNS1_17partition_subalgoE8ElNS0_10empty_typeEbEEZZNS1_14partition_implILS5_8ELb0ES3_jPlPS6_PKS6_NS0_5tupleIJS9_S6_EEENSD_IJSA_SA_EEENS0_18inequality_wrapperIZN2at6native12_GLOBAL__N_124unique_dim_cuda_templateIaEESt5tupleIJNSH_6TensorESM_SM_EERKSM_lbbbEUlllE0_EEPmJS6_EEE10hipError_tPvRmT3_T4_T5_T6_T7_T9_mT8_P12ihipStream_tbDpT10_ENKUlT_T0_E_clISt17integral_constantIbLb1EES1B_IbLb0EEEEDaS17_S18_EUlS17_E_NS1_11comp_targetILNS1_3genE0ELNS1_11target_archE4294967295ELNS1_3gpuE0ELNS1_3repE0EEENS1_30default_config_static_selectorELNS0_4arch9wavefront6targetE1EEEvT1_
; %bb.0:
	.section	.rodata,"a",@progbits
	.p2align	6, 0x0
	.amdhsa_kernel _ZN7rocprim17ROCPRIM_400000_NS6detail17trampoline_kernelINS0_14default_configENS1_25partition_config_selectorILNS1_17partition_subalgoE8ElNS0_10empty_typeEbEEZZNS1_14partition_implILS5_8ELb0ES3_jPlPS6_PKS6_NS0_5tupleIJS9_S6_EEENSD_IJSA_SA_EEENS0_18inequality_wrapperIZN2at6native12_GLOBAL__N_124unique_dim_cuda_templateIaEESt5tupleIJNSH_6TensorESM_SM_EERKSM_lbbbEUlllE0_EEPmJS6_EEE10hipError_tPvRmT3_T4_T5_T6_T7_T9_mT8_P12ihipStream_tbDpT10_ENKUlT_T0_E_clISt17integral_constantIbLb1EES1B_IbLb0EEEEDaS17_S18_EUlS17_E_NS1_11comp_targetILNS1_3genE0ELNS1_11target_archE4294967295ELNS1_3gpuE0ELNS1_3repE0EEENS1_30default_config_static_selectorELNS0_4arch9wavefront6targetE1EEEvT1_
		.amdhsa_group_segment_fixed_size 0
		.amdhsa_private_segment_fixed_size 0
		.amdhsa_kernarg_size 120
		.amdhsa_user_sgpr_count 6
		.amdhsa_user_sgpr_private_segment_buffer 1
		.amdhsa_user_sgpr_dispatch_ptr 0
		.amdhsa_user_sgpr_queue_ptr 0
		.amdhsa_user_sgpr_kernarg_segment_ptr 1
		.amdhsa_user_sgpr_dispatch_id 0
		.amdhsa_user_sgpr_flat_scratch_init 0
		.amdhsa_user_sgpr_kernarg_preload_length 0
		.amdhsa_user_sgpr_kernarg_preload_offset 0
		.amdhsa_user_sgpr_private_segment_size 0
		.amdhsa_uses_dynamic_stack 0
		.amdhsa_system_sgpr_private_segment_wavefront_offset 0
		.amdhsa_system_sgpr_workgroup_id_x 1
		.amdhsa_system_sgpr_workgroup_id_y 0
		.amdhsa_system_sgpr_workgroup_id_z 0
		.amdhsa_system_sgpr_workgroup_info 0
		.amdhsa_system_vgpr_workitem_id 0
		.amdhsa_next_free_vgpr 1
		.amdhsa_next_free_sgpr 0
		.amdhsa_accum_offset 4
		.amdhsa_reserve_vcc 0
		.amdhsa_reserve_flat_scratch 0
		.amdhsa_float_round_mode_32 0
		.amdhsa_float_round_mode_16_64 0
		.amdhsa_float_denorm_mode_32 3
		.amdhsa_float_denorm_mode_16_64 3
		.amdhsa_dx10_clamp 1
		.amdhsa_ieee_mode 1
		.amdhsa_fp16_overflow 0
		.amdhsa_tg_split 0
		.amdhsa_exception_fp_ieee_invalid_op 0
		.amdhsa_exception_fp_denorm_src 0
		.amdhsa_exception_fp_ieee_div_zero 0
		.amdhsa_exception_fp_ieee_overflow 0
		.amdhsa_exception_fp_ieee_underflow 0
		.amdhsa_exception_fp_ieee_inexact 0
		.amdhsa_exception_int_div_zero 0
	.end_amdhsa_kernel
	.section	.text._ZN7rocprim17ROCPRIM_400000_NS6detail17trampoline_kernelINS0_14default_configENS1_25partition_config_selectorILNS1_17partition_subalgoE8ElNS0_10empty_typeEbEEZZNS1_14partition_implILS5_8ELb0ES3_jPlPS6_PKS6_NS0_5tupleIJS9_S6_EEENSD_IJSA_SA_EEENS0_18inequality_wrapperIZN2at6native12_GLOBAL__N_124unique_dim_cuda_templateIaEESt5tupleIJNSH_6TensorESM_SM_EERKSM_lbbbEUlllE0_EEPmJS6_EEE10hipError_tPvRmT3_T4_T5_T6_T7_T9_mT8_P12ihipStream_tbDpT10_ENKUlT_T0_E_clISt17integral_constantIbLb1EES1B_IbLb0EEEEDaS17_S18_EUlS17_E_NS1_11comp_targetILNS1_3genE0ELNS1_11target_archE4294967295ELNS1_3gpuE0ELNS1_3repE0EEENS1_30default_config_static_selectorELNS0_4arch9wavefront6targetE1EEEvT1_,"axG",@progbits,_ZN7rocprim17ROCPRIM_400000_NS6detail17trampoline_kernelINS0_14default_configENS1_25partition_config_selectorILNS1_17partition_subalgoE8ElNS0_10empty_typeEbEEZZNS1_14partition_implILS5_8ELb0ES3_jPlPS6_PKS6_NS0_5tupleIJS9_S6_EEENSD_IJSA_SA_EEENS0_18inequality_wrapperIZN2at6native12_GLOBAL__N_124unique_dim_cuda_templateIaEESt5tupleIJNSH_6TensorESM_SM_EERKSM_lbbbEUlllE0_EEPmJS6_EEE10hipError_tPvRmT3_T4_T5_T6_T7_T9_mT8_P12ihipStream_tbDpT10_ENKUlT_T0_E_clISt17integral_constantIbLb1EES1B_IbLb0EEEEDaS17_S18_EUlS17_E_NS1_11comp_targetILNS1_3genE0ELNS1_11target_archE4294967295ELNS1_3gpuE0ELNS1_3repE0EEENS1_30default_config_static_selectorELNS0_4arch9wavefront6targetE1EEEvT1_,comdat
.Lfunc_end335:
	.size	_ZN7rocprim17ROCPRIM_400000_NS6detail17trampoline_kernelINS0_14default_configENS1_25partition_config_selectorILNS1_17partition_subalgoE8ElNS0_10empty_typeEbEEZZNS1_14partition_implILS5_8ELb0ES3_jPlPS6_PKS6_NS0_5tupleIJS9_S6_EEENSD_IJSA_SA_EEENS0_18inequality_wrapperIZN2at6native12_GLOBAL__N_124unique_dim_cuda_templateIaEESt5tupleIJNSH_6TensorESM_SM_EERKSM_lbbbEUlllE0_EEPmJS6_EEE10hipError_tPvRmT3_T4_T5_T6_T7_T9_mT8_P12ihipStream_tbDpT10_ENKUlT_T0_E_clISt17integral_constantIbLb1EES1B_IbLb0EEEEDaS17_S18_EUlS17_E_NS1_11comp_targetILNS1_3genE0ELNS1_11target_archE4294967295ELNS1_3gpuE0ELNS1_3repE0EEENS1_30default_config_static_selectorELNS0_4arch9wavefront6targetE1EEEvT1_, .Lfunc_end335-_ZN7rocprim17ROCPRIM_400000_NS6detail17trampoline_kernelINS0_14default_configENS1_25partition_config_selectorILNS1_17partition_subalgoE8ElNS0_10empty_typeEbEEZZNS1_14partition_implILS5_8ELb0ES3_jPlPS6_PKS6_NS0_5tupleIJS9_S6_EEENSD_IJSA_SA_EEENS0_18inequality_wrapperIZN2at6native12_GLOBAL__N_124unique_dim_cuda_templateIaEESt5tupleIJNSH_6TensorESM_SM_EERKSM_lbbbEUlllE0_EEPmJS6_EEE10hipError_tPvRmT3_T4_T5_T6_T7_T9_mT8_P12ihipStream_tbDpT10_ENKUlT_T0_E_clISt17integral_constantIbLb1EES1B_IbLb0EEEEDaS17_S18_EUlS17_E_NS1_11comp_targetILNS1_3genE0ELNS1_11target_archE4294967295ELNS1_3gpuE0ELNS1_3repE0EEENS1_30default_config_static_selectorELNS0_4arch9wavefront6targetE1EEEvT1_
                                        ; -- End function
	.section	.AMDGPU.csdata,"",@progbits
; Kernel info:
; codeLenInByte = 0
; NumSgprs: 4
; NumVgprs: 0
; NumAgprs: 0
; TotalNumVgprs: 0
; ScratchSize: 0
; MemoryBound: 0
; FloatMode: 240
; IeeeMode: 1
; LDSByteSize: 0 bytes/workgroup (compile time only)
; SGPRBlocks: 0
; VGPRBlocks: 0
; NumSGPRsForWavesPerEU: 4
; NumVGPRsForWavesPerEU: 1
; AccumOffset: 4
; Occupancy: 8
; WaveLimiterHint : 0
; COMPUTE_PGM_RSRC2:SCRATCH_EN: 0
; COMPUTE_PGM_RSRC2:USER_SGPR: 6
; COMPUTE_PGM_RSRC2:TRAP_HANDLER: 0
; COMPUTE_PGM_RSRC2:TGID_X_EN: 1
; COMPUTE_PGM_RSRC2:TGID_Y_EN: 0
; COMPUTE_PGM_RSRC2:TGID_Z_EN: 0
; COMPUTE_PGM_RSRC2:TIDIG_COMP_CNT: 0
; COMPUTE_PGM_RSRC3_GFX90A:ACCUM_OFFSET: 0
; COMPUTE_PGM_RSRC3_GFX90A:TG_SPLIT: 0
	.section	.text._ZN7rocprim17ROCPRIM_400000_NS6detail17trampoline_kernelINS0_14default_configENS1_25partition_config_selectorILNS1_17partition_subalgoE8ElNS0_10empty_typeEbEEZZNS1_14partition_implILS5_8ELb0ES3_jPlPS6_PKS6_NS0_5tupleIJS9_S6_EEENSD_IJSA_SA_EEENS0_18inequality_wrapperIZN2at6native12_GLOBAL__N_124unique_dim_cuda_templateIaEESt5tupleIJNSH_6TensorESM_SM_EERKSM_lbbbEUlllE0_EEPmJS6_EEE10hipError_tPvRmT3_T4_T5_T6_T7_T9_mT8_P12ihipStream_tbDpT10_ENKUlT_T0_E_clISt17integral_constantIbLb1EES1B_IbLb0EEEEDaS17_S18_EUlS17_E_NS1_11comp_targetILNS1_3genE5ELNS1_11target_archE942ELNS1_3gpuE9ELNS1_3repE0EEENS1_30default_config_static_selectorELNS0_4arch9wavefront6targetE1EEEvT1_,"axG",@progbits,_ZN7rocprim17ROCPRIM_400000_NS6detail17trampoline_kernelINS0_14default_configENS1_25partition_config_selectorILNS1_17partition_subalgoE8ElNS0_10empty_typeEbEEZZNS1_14partition_implILS5_8ELb0ES3_jPlPS6_PKS6_NS0_5tupleIJS9_S6_EEENSD_IJSA_SA_EEENS0_18inequality_wrapperIZN2at6native12_GLOBAL__N_124unique_dim_cuda_templateIaEESt5tupleIJNSH_6TensorESM_SM_EERKSM_lbbbEUlllE0_EEPmJS6_EEE10hipError_tPvRmT3_T4_T5_T6_T7_T9_mT8_P12ihipStream_tbDpT10_ENKUlT_T0_E_clISt17integral_constantIbLb1EES1B_IbLb0EEEEDaS17_S18_EUlS17_E_NS1_11comp_targetILNS1_3genE5ELNS1_11target_archE942ELNS1_3gpuE9ELNS1_3repE0EEENS1_30default_config_static_selectorELNS0_4arch9wavefront6targetE1EEEvT1_,comdat
	.globl	_ZN7rocprim17ROCPRIM_400000_NS6detail17trampoline_kernelINS0_14default_configENS1_25partition_config_selectorILNS1_17partition_subalgoE8ElNS0_10empty_typeEbEEZZNS1_14partition_implILS5_8ELb0ES3_jPlPS6_PKS6_NS0_5tupleIJS9_S6_EEENSD_IJSA_SA_EEENS0_18inequality_wrapperIZN2at6native12_GLOBAL__N_124unique_dim_cuda_templateIaEESt5tupleIJNSH_6TensorESM_SM_EERKSM_lbbbEUlllE0_EEPmJS6_EEE10hipError_tPvRmT3_T4_T5_T6_T7_T9_mT8_P12ihipStream_tbDpT10_ENKUlT_T0_E_clISt17integral_constantIbLb1EES1B_IbLb0EEEEDaS17_S18_EUlS17_E_NS1_11comp_targetILNS1_3genE5ELNS1_11target_archE942ELNS1_3gpuE9ELNS1_3repE0EEENS1_30default_config_static_selectorELNS0_4arch9wavefront6targetE1EEEvT1_ ; -- Begin function _ZN7rocprim17ROCPRIM_400000_NS6detail17trampoline_kernelINS0_14default_configENS1_25partition_config_selectorILNS1_17partition_subalgoE8ElNS0_10empty_typeEbEEZZNS1_14partition_implILS5_8ELb0ES3_jPlPS6_PKS6_NS0_5tupleIJS9_S6_EEENSD_IJSA_SA_EEENS0_18inequality_wrapperIZN2at6native12_GLOBAL__N_124unique_dim_cuda_templateIaEESt5tupleIJNSH_6TensorESM_SM_EERKSM_lbbbEUlllE0_EEPmJS6_EEE10hipError_tPvRmT3_T4_T5_T6_T7_T9_mT8_P12ihipStream_tbDpT10_ENKUlT_T0_E_clISt17integral_constantIbLb1EES1B_IbLb0EEEEDaS17_S18_EUlS17_E_NS1_11comp_targetILNS1_3genE5ELNS1_11target_archE942ELNS1_3gpuE9ELNS1_3repE0EEENS1_30default_config_static_selectorELNS0_4arch9wavefront6targetE1EEEvT1_
	.p2align	8
	.type	_ZN7rocprim17ROCPRIM_400000_NS6detail17trampoline_kernelINS0_14default_configENS1_25partition_config_selectorILNS1_17partition_subalgoE8ElNS0_10empty_typeEbEEZZNS1_14partition_implILS5_8ELb0ES3_jPlPS6_PKS6_NS0_5tupleIJS9_S6_EEENSD_IJSA_SA_EEENS0_18inequality_wrapperIZN2at6native12_GLOBAL__N_124unique_dim_cuda_templateIaEESt5tupleIJNSH_6TensorESM_SM_EERKSM_lbbbEUlllE0_EEPmJS6_EEE10hipError_tPvRmT3_T4_T5_T6_T7_T9_mT8_P12ihipStream_tbDpT10_ENKUlT_T0_E_clISt17integral_constantIbLb1EES1B_IbLb0EEEEDaS17_S18_EUlS17_E_NS1_11comp_targetILNS1_3genE5ELNS1_11target_archE942ELNS1_3gpuE9ELNS1_3repE0EEENS1_30default_config_static_selectorELNS0_4arch9wavefront6targetE1EEEvT1_,@function
_ZN7rocprim17ROCPRIM_400000_NS6detail17trampoline_kernelINS0_14default_configENS1_25partition_config_selectorILNS1_17partition_subalgoE8ElNS0_10empty_typeEbEEZZNS1_14partition_implILS5_8ELb0ES3_jPlPS6_PKS6_NS0_5tupleIJS9_S6_EEENSD_IJSA_SA_EEENS0_18inequality_wrapperIZN2at6native12_GLOBAL__N_124unique_dim_cuda_templateIaEESt5tupleIJNSH_6TensorESM_SM_EERKSM_lbbbEUlllE0_EEPmJS6_EEE10hipError_tPvRmT3_T4_T5_T6_T7_T9_mT8_P12ihipStream_tbDpT10_ENKUlT_T0_E_clISt17integral_constantIbLb1EES1B_IbLb0EEEEDaS17_S18_EUlS17_E_NS1_11comp_targetILNS1_3genE5ELNS1_11target_archE942ELNS1_3gpuE9ELNS1_3repE0EEENS1_30default_config_static_selectorELNS0_4arch9wavefront6targetE1EEEvT1_: ; @_ZN7rocprim17ROCPRIM_400000_NS6detail17trampoline_kernelINS0_14default_configENS1_25partition_config_selectorILNS1_17partition_subalgoE8ElNS0_10empty_typeEbEEZZNS1_14partition_implILS5_8ELb0ES3_jPlPS6_PKS6_NS0_5tupleIJS9_S6_EEENSD_IJSA_SA_EEENS0_18inequality_wrapperIZN2at6native12_GLOBAL__N_124unique_dim_cuda_templateIaEESt5tupleIJNSH_6TensorESM_SM_EERKSM_lbbbEUlllE0_EEPmJS6_EEE10hipError_tPvRmT3_T4_T5_T6_T7_T9_mT8_P12ihipStream_tbDpT10_ENKUlT_T0_E_clISt17integral_constantIbLb1EES1B_IbLb0EEEEDaS17_S18_EUlS17_E_NS1_11comp_targetILNS1_3genE5ELNS1_11target_archE942ELNS1_3gpuE9ELNS1_3repE0EEENS1_30default_config_static_selectorELNS0_4arch9wavefront6targetE1EEEvT1_
; %bb.0:
	.section	.rodata,"a",@progbits
	.p2align	6, 0x0
	.amdhsa_kernel _ZN7rocprim17ROCPRIM_400000_NS6detail17trampoline_kernelINS0_14default_configENS1_25partition_config_selectorILNS1_17partition_subalgoE8ElNS0_10empty_typeEbEEZZNS1_14partition_implILS5_8ELb0ES3_jPlPS6_PKS6_NS0_5tupleIJS9_S6_EEENSD_IJSA_SA_EEENS0_18inequality_wrapperIZN2at6native12_GLOBAL__N_124unique_dim_cuda_templateIaEESt5tupleIJNSH_6TensorESM_SM_EERKSM_lbbbEUlllE0_EEPmJS6_EEE10hipError_tPvRmT3_T4_T5_T6_T7_T9_mT8_P12ihipStream_tbDpT10_ENKUlT_T0_E_clISt17integral_constantIbLb1EES1B_IbLb0EEEEDaS17_S18_EUlS17_E_NS1_11comp_targetILNS1_3genE5ELNS1_11target_archE942ELNS1_3gpuE9ELNS1_3repE0EEENS1_30default_config_static_selectorELNS0_4arch9wavefront6targetE1EEEvT1_
		.amdhsa_group_segment_fixed_size 0
		.amdhsa_private_segment_fixed_size 0
		.amdhsa_kernarg_size 120
		.amdhsa_user_sgpr_count 6
		.amdhsa_user_sgpr_private_segment_buffer 1
		.amdhsa_user_sgpr_dispatch_ptr 0
		.amdhsa_user_sgpr_queue_ptr 0
		.amdhsa_user_sgpr_kernarg_segment_ptr 1
		.amdhsa_user_sgpr_dispatch_id 0
		.amdhsa_user_sgpr_flat_scratch_init 0
		.amdhsa_user_sgpr_kernarg_preload_length 0
		.amdhsa_user_sgpr_kernarg_preload_offset 0
		.amdhsa_user_sgpr_private_segment_size 0
		.amdhsa_uses_dynamic_stack 0
		.amdhsa_system_sgpr_private_segment_wavefront_offset 0
		.amdhsa_system_sgpr_workgroup_id_x 1
		.amdhsa_system_sgpr_workgroup_id_y 0
		.amdhsa_system_sgpr_workgroup_id_z 0
		.amdhsa_system_sgpr_workgroup_info 0
		.amdhsa_system_vgpr_workitem_id 0
		.amdhsa_next_free_vgpr 1
		.amdhsa_next_free_sgpr 0
		.amdhsa_accum_offset 4
		.amdhsa_reserve_vcc 0
		.amdhsa_reserve_flat_scratch 0
		.amdhsa_float_round_mode_32 0
		.amdhsa_float_round_mode_16_64 0
		.amdhsa_float_denorm_mode_32 3
		.amdhsa_float_denorm_mode_16_64 3
		.amdhsa_dx10_clamp 1
		.amdhsa_ieee_mode 1
		.amdhsa_fp16_overflow 0
		.amdhsa_tg_split 0
		.amdhsa_exception_fp_ieee_invalid_op 0
		.amdhsa_exception_fp_denorm_src 0
		.amdhsa_exception_fp_ieee_div_zero 0
		.amdhsa_exception_fp_ieee_overflow 0
		.amdhsa_exception_fp_ieee_underflow 0
		.amdhsa_exception_fp_ieee_inexact 0
		.amdhsa_exception_int_div_zero 0
	.end_amdhsa_kernel
	.section	.text._ZN7rocprim17ROCPRIM_400000_NS6detail17trampoline_kernelINS0_14default_configENS1_25partition_config_selectorILNS1_17partition_subalgoE8ElNS0_10empty_typeEbEEZZNS1_14partition_implILS5_8ELb0ES3_jPlPS6_PKS6_NS0_5tupleIJS9_S6_EEENSD_IJSA_SA_EEENS0_18inequality_wrapperIZN2at6native12_GLOBAL__N_124unique_dim_cuda_templateIaEESt5tupleIJNSH_6TensorESM_SM_EERKSM_lbbbEUlllE0_EEPmJS6_EEE10hipError_tPvRmT3_T4_T5_T6_T7_T9_mT8_P12ihipStream_tbDpT10_ENKUlT_T0_E_clISt17integral_constantIbLb1EES1B_IbLb0EEEEDaS17_S18_EUlS17_E_NS1_11comp_targetILNS1_3genE5ELNS1_11target_archE942ELNS1_3gpuE9ELNS1_3repE0EEENS1_30default_config_static_selectorELNS0_4arch9wavefront6targetE1EEEvT1_,"axG",@progbits,_ZN7rocprim17ROCPRIM_400000_NS6detail17trampoline_kernelINS0_14default_configENS1_25partition_config_selectorILNS1_17partition_subalgoE8ElNS0_10empty_typeEbEEZZNS1_14partition_implILS5_8ELb0ES3_jPlPS6_PKS6_NS0_5tupleIJS9_S6_EEENSD_IJSA_SA_EEENS0_18inequality_wrapperIZN2at6native12_GLOBAL__N_124unique_dim_cuda_templateIaEESt5tupleIJNSH_6TensorESM_SM_EERKSM_lbbbEUlllE0_EEPmJS6_EEE10hipError_tPvRmT3_T4_T5_T6_T7_T9_mT8_P12ihipStream_tbDpT10_ENKUlT_T0_E_clISt17integral_constantIbLb1EES1B_IbLb0EEEEDaS17_S18_EUlS17_E_NS1_11comp_targetILNS1_3genE5ELNS1_11target_archE942ELNS1_3gpuE9ELNS1_3repE0EEENS1_30default_config_static_selectorELNS0_4arch9wavefront6targetE1EEEvT1_,comdat
.Lfunc_end336:
	.size	_ZN7rocprim17ROCPRIM_400000_NS6detail17trampoline_kernelINS0_14default_configENS1_25partition_config_selectorILNS1_17partition_subalgoE8ElNS0_10empty_typeEbEEZZNS1_14partition_implILS5_8ELb0ES3_jPlPS6_PKS6_NS0_5tupleIJS9_S6_EEENSD_IJSA_SA_EEENS0_18inequality_wrapperIZN2at6native12_GLOBAL__N_124unique_dim_cuda_templateIaEESt5tupleIJNSH_6TensorESM_SM_EERKSM_lbbbEUlllE0_EEPmJS6_EEE10hipError_tPvRmT3_T4_T5_T6_T7_T9_mT8_P12ihipStream_tbDpT10_ENKUlT_T0_E_clISt17integral_constantIbLb1EES1B_IbLb0EEEEDaS17_S18_EUlS17_E_NS1_11comp_targetILNS1_3genE5ELNS1_11target_archE942ELNS1_3gpuE9ELNS1_3repE0EEENS1_30default_config_static_selectorELNS0_4arch9wavefront6targetE1EEEvT1_, .Lfunc_end336-_ZN7rocprim17ROCPRIM_400000_NS6detail17trampoline_kernelINS0_14default_configENS1_25partition_config_selectorILNS1_17partition_subalgoE8ElNS0_10empty_typeEbEEZZNS1_14partition_implILS5_8ELb0ES3_jPlPS6_PKS6_NS0_5tupleIJS9_S6_EEENSD_IJSA_SA_EEENS0_18inequality_wrapperIZN2at6native12_GLOBAL__N_124unique_dim_cuda_templateIaEESt5tupleIJNSH_6TensorESM_SM_EERKSM_lbbbEUlllE0_EEPmJS6_EEE10hipError_tPvRmT3_T4_T5_T6_T7_T9_mT8_P12ihipStream_tbDpT10_ENKUlT_T0_E_clISt17integral_constantIbLb1EES1B_IbLb0EEEEDaS17_S18_EUlS17_E_NS1_11comp_targetILNS1_3genE5ELNS1_11target_archE942ELNS1_3gpuE9ELNS1_3repE0EEENS1_30default_config_static_selectorELNS0_4arch9wavefront6targetE1EEEvT1_
                                        ; -- End function
	.section	.AMDGPU.csdata,"",@progbits
; Kernel info:
; codeLenInByte = 0
; NumSgprs: 4
; NumVgprs: 0
; NumAgprs: 0
; TotalNumVgprs: 0
; ScratchSize: 0
; MemoryBound: 0
; FloatMode: 240
; IeeeMode: 1
; LDSByteSize: 0 bytes/workgroup (compile time only)
; SGPRBlocks: 0
; VGPRBlocks: 0
; NumSGPRsForWavesPerEU: 4
; NumVGPRsForWavesPerEU: 1
; AccumOffset: 4
; Occupancy: 8
; WaveLimiterHint : 0
; COMPUTE_PGM_RSRC2:SCRATCH_EN: 0
; COMPUTE_PGM_RSRC2:USER_SGPR: 6
; COMPUTE_PGM_RSRC2:TRAP_HANDLER: 0
; COMPUTE_PGM_RSRC2:TGID_X_EN: 1
; COMPUTE_PGM_RSRC2:TGID_Y_EN: 0
; COMPUTE_PGM_RSRC2:TGID_Z_EN: 0
; COMPUTE_PGM_RSRC2:TIDIG_COMP_CNT: 0
; COMPUTE_PGM_RSRC3_GFX90A:ACCUM_OFFSET: 0
; COMPUTE_PGM_RSRC3_GFX90A:TG_SPLIT: 0
	.section	.text._ZN7rocprim17ROCPRIM_400000_NS6detail17trampoline_kernelINS0_14default_configENS1_25partition_config_selectorILNS1_17partition_subalgoE8ElNS0_10empty_typeEbEEZZNS1_14partition_implILS5_8ELb0ES3_jPlPS6_PKS6_NS0_5tupleIJS9_S6_EEENSD_IJSA_SA_EEENS0_18inequality_wrapperIZN2at6native12_GLOBAL__N_124unique_dim_cuda_templateIaEESt5tupleIJNSH_6TensorESM_SM_EERKSM_lbbbEUlllE0_EEPmJS6_EEE10hipError_tPvRmT3_T4_T5_T6_T7_T9_mT8_P12ihipStream_tbDpT10_ENKUlT_T0_E_clISt17integral_constantIbLb1EES1B_IbLb0EEEEDaS17_S18_EUlS17_E_NS1_11comp_targetILNS1_3genE4ELNS1_11target_archE910ELNS1_3gpuE8ELNS1_3repE0EEENS1_30default_config_static_selectorELNS0_4arch9wavefront6targetE1EEEvT1_,"axG",@progbits,_ZN7rocprim17ROCPRIM_400000_NS6detail17trampoline_kernelINS0_14default_configENS1_25partition_config_selectorILNS1_17partition_subalgoE8ElNS0_10empty_typeEbEEZZNS1_14partition_implILS5_8ELb0ES3_jPlPS6_PKS6_NS0_5tupleIJS9_S6_EEENSD_IJSA_SA_EEENS0_18inequality_wrapperIZN2at6native12_GLOBAL__N_124unique_dim_cuda_templateIaEESt5tupleIJNSH_6TensorESM_SM_EERKSM_lbbbEUlllE0_EEPmJS6_EEE10hipError_tPvRmT3_T4_T5_T6_T7_T9_mT8_P12ihipStream_tbDpT10_ENKUlT_T0_E_clISt17integral_constantIbLb1EES1B_IbLb0EEEEDaS17_S18_EUlS17_E_NS1_11comp_targetILNS1_3genE4ELNS1_11target_archE910ELNS1_3gpuE8ELNS1_3repE0EEENS1_30default_config_static_selectorELNS0_4arch9wavefront6targetE1EEEvT1_,comdat
	.globl	_ZN7rocprim17ROCPRIM_400000_NS6detail17trampoline_kernelINS0_14default_configENS1_25partition_config_selectorILNS1_17partition_subalgoE8ElNS0_10empty_typeEbEEZZNS1_14partition_implILS5_8ELb0ES3_jPlPS6_PKS6_NS0_5tupleIJS9_S6_EEENSD_IJSA_SA_EEENS0_18inequality_wrapperIZN2at6native12_GLOBAL__N_124unique_dim_cuda_templateIaEESt5tupleIJNSH_6TensorESM_SM_EERKSM_lbbbEUlllE0_EEPmJS6_EEE10hipError_tPvRmT3_T4_T5_T6_T7_T9_mT8_P12ihipStream_tbDpT10_ENKUlT_T0_E_clISt17integral_constantIbLb1EES1B_IbLb0EEEEDaS17_S18_EUlS17_E_NS1_11comp_targetILNS1_3genE4ELNS1_11target_archE910ELNS1_3gpuE8ELNS1_3repE0EEENS1_30default_config_static_selectorELNS0_4arch9wavefront6targetE1EEEvT1_ ; -- Begin function _ZN7rocprim17ROCPRIM_400000_NS6detail17trampoline_kernelINS0_14default_configENS1_25partition_config_selectorILNS1_17partition_subalgoE8ElNS0_10empty_typeEbEEZZNS1_14partition_implILS5_8ELb0ES3_jPlPS6_PKS6_NS0_5tupleIJS9_S6_EEENSD_IJSA_SA_EEENS0_18inequality_wrapperIZN2at6native12_GLOBAL__N_124unique_dim_cuda_templateIaEESt5tupleIJNSH_6TensorESM_SM_EERKSM_lbbbEUlllE0_EEPmJS6_EEE10hipError_tPvRmT3_T4_T5_T6_T7_T9_mT8_P12ihipStream_tbDpT10_ENKUlT_T0_E_clISt17integral_constantIbLb1EES1B_IbLb0EEEEDaS17_S18_EUlS17_E_NS1_11comp_targetILNS1_3genE4ELNS1_11target_archE910ELNS1_3gpuE8ELNS1_3repE0EEENS1_30default_config_static_selectorELNS0_4arch9wavefront6targetE1EEEvT1_
	.p2align	8
	.type	_ZN7rocprim17ROCPRIM_400000_NS6detail17trampoline_kernelINS0_14default_configENS1_25partition_config_selectorILNS1_17partition_subalgoE8ElNS0_10empty_typeEbEEZZNS1_14partition_implILS5_8ELb0ES3_jPlPS6_PKS6_NS0_5tupleIJS9_S6_EEENSD_IJSA_SA_EEENS0_18inequality_wrapperIZN2at6native12_GLOBAL__N_124unique_dim_cuda_templateIaEESt5tupleIJNSH_6TensorESM_SM_EERKSM_lbbbEUlllE0_EEPmJS6_EEE10hipError_tPvRmT3_T4_T5_T6_T7_T9_mT8_P12ihipStream_tbDpT10_ENKUlT_T0_E_clISt17integral_constantIbLb1EES1B_IbLb0EEEEDaS17_S18_EUlS17_E_NS1_11comp_targetILNS1_3genE4ELNS1_11target_archE910ELNS1_3gpuE8ELNS1_3repE0EEENS1_30default_config_static_selectorELNS0_4arch9wavefront6targetE1EEEvT1_,@function
_ZN7rocprim17ROCPRIM_400000_NS6detail17trampoline_kernelINS0_14default_configENS1_25partition_config_selectorILNS1_17partition_subalgoE8ElNS0_10empty_typeEbEEZZNS1_14partition_implILS5_8ELb0ES3_jPlPS6_PKS6_NS0_5tupleIJS9_S6_EEENSD_IJSA_SA_EEENS0_18inequality_wrapperIZN2at6native12_GLOBAL__N_124unique_dim_cuda_templateIaEESt5tupleIJNSH_6TensorESM_SM_EERKSM_lbbbEUlllE0_EEPmJS6_EEE10hipError_tPvRmT3_T4_T5_T6_T7_T9_mT8_P12ihipStream_tbDpT10_ENKUlT_T0_E_clISt17integral_constantIbLb1EES1B_IbLb0EEEEDaS17_S18_EUlS17_E_NS1_11comp_targetILNS1_3genE4ELNS1_11target_archE910ELNS1_3gpuE8ELNS1_3repE0EEENS1_30default_config_static_selectorELNS0_4arch9wavefront6targetE1EEEvT1_: ; @_ZN7rocprim17ROCPRIM_400000_NS6detail17trampoline_kernelINS0_14default_configENS1_25partition_config_selectorILNS1_17partition_subalgoE8ElNS0_10empty_typeEbEEZZNS1_14partition_implILS5_8ELb0ES3_jPlPS6_PKS6_NS0_5tupleIJS9_S6_EEENSD_IJSA_SA_EEENS0_18inequality_wrapperIZN2at6native12_GLOBAL__N_124unique_dim_cuda_templateIaEESt5tupleIJNSH_6TensorESM_SM_EERKSM_lbbbEUlllE0_EEPmJS6_EEE10hipError_tPvRmT3_T4_T5_T6_T7_T9_mT8_P12ihipStream_tbDpT10_ENKUlT_T0_E_clISt17integral_constantIbLb1EES1B_IbLb0EEEEDaS17_S18_EUlS17_E_NS1_11comp_targetILNS1_3genE4ELNS1_11target_archE910ELNS1_3gpuE8ELNS1_3repE0EEENS1_30default_config_static_selectorELNS0_4arch9wavefront6targetE1EEEvT1_
; %bb.0:
	s_load_dwordx8 s[20:27], s[4:5], 0x40
	s_load_dwordx4 s[0:3], s[4:5], 0x8
	s_load_dwordx4 s[28:31], s[4:5], 0x60
	s_load_dword s7, s[4:5], 0x70
	s_waitcnt lgkmcnt(0)
	v_mov_b32_e32 v2, s24
	s_lshl_b64 s[8:9], s[2:3], 3
	s_add_u32 s12, s0, s8
	s_mul_i32 s8, s7, 0x500
	s_addc_u32 s13, s1, s9
	s_add_i32 s1, s8, s2
	s_add_i32 s10, s7, -1
	s_sub_i32 s7, s24, s1
	s_add_u32 s8, s2, s8
	s_addc_u32 s9, s3, 0
	v_mov_b32_e32 v3, s25
	s_cmp_eq_u32 s6, s10
	s_load_dwordx2 s[22:23], s[22:23], 0x0
	v_cmp_ge_u64_e32 vcc, s[8:9], v[2:3]
	s_cselect_b64 s[24:25], -1, 0
	s_mul_i32 s0, s6, 0x500
	s_mov_b32 s1, 0
	s_and_b64 s[8:9], s[24:25], vcc
	s_xor_b64 s[34:35], s[8:9], -1
	s_lshl_b64 s[0:1], s[0:1], 3
	s_add_u32 s0, s12, s0
	s_mov_b64 s[10:11], -1
	s_addc_u32 s1, s13, s1
	s_and_b64 vcc, exec, s[34:35]
	s_cbranch_vccz .LBB337_2
; %bb.1:
	v_lshlrev_b32_e32 v1, 3, v0
	v_mov_b32_e32 v2, s1
	v_add_co_u32_e32 v12, vcc, s0, v1
	v_addc_co_u32_e32 v13, vcc, 0, v2, vcc
	v_add_co_u32_e32 v2, vcc, 0x1000, v12
	v_addc_co_u32_e32 v3, vcc, 0, v13, vcc
	global_load_dwordx2 v[4:5], v1, s[0:1]
	global_load_dwordx2 v[6:7], v1, s[0:1] offset:2048
	global_load_dwordx2 v[8:9], v[2:3], off
	global_load_dwordx2 v[10:11], v[2:3], off offset:2048
	v_add_co_u32_e32 v2, vcc, 0x2000, v12
	v_addc_co_u32_e32 v3, vcc, 0, v13, vcc
	global_load_dwordx2 v[2:3], v[2:3], off
	s_mov_b64 s[10:11], 0
	s_waitcnt vmcnt(3)
	ds_write2st64_b64 v1, v[4:5], v[6:7] offset1:4
	s_waitcnt vmcnt(1)
	ds_write2st64_b64 v1, v[8:9], v[10:11] offset0:8 offset1:12
	s_waitcnt vmcnt(0)
	ds_write_b64 v1, v[2:3] offset:8192
	s_waitcnt lgkmcnt(0)
	s_barrier
.LBB337_2:
	s_andn2_b64 vcc, exec, s[10:11]
	s_addk_i32 s7, 0x500
	s_cbranch_vccnz .LBB337_14
; %bb.3:
	v_cmp_gt_u32_e32 vcc, s7, v0
                                        ; implicit-def: $vgpr2_vgpr3_vgpr4_vgpr5_vgpr6_vgpr7_vgpr8_vgpr9_vgpr10_vgpr11_vgpr12_vgpr13_vgpr14_vgpr15_vgpr16_vgpr17
	s_and_saveexec_b64 s[10:11], vcc
	s_cbranch_execz .LBB337_5
; %bb.4:
	v_lshlrev_b32_e32 v1, 3, v0
	global_load_dwordx2 v[2:3], v1, s[0:1]
.LBB337_5:
	s_or_b64 exec, exec, s[10:11]
	v_or_b32_e32 v1, 0x100, v0
	v_cmp_gt_u32_e32 vcc, s7, v1
	s_and_saveexec_b64 s[10:11], vcc
	s_cbranch_execz .LBB337_7
; %bb.6:
	v_lshlrev_b32_e32 v1, 3, v0
	global_load_dwordx2 v[4:5], v1, s[0:1] offset:2048
.LBB337_7:
	s_or_b64 exec, exec, s[10:11]
	v_or_b32_e32 v1, 0x200, v0
	v_cmp_gt_u32_e32 vcc, s7, v1
	s_and_saveexec_b64 s[10:11], vcc
	s_cbranch_execz .LBB337_9
; %bb.8:
	v_lshlrev_b32_e32 v1, 3, v1
	global_load_dwordx2 v[6:7], v1, s[0:1]
.LBB337_9:
	s_or_b64 exec, exec, s[10:11]
	v_or_b32_e32 v1, 0x300, v0
	v_cmp_gt_u32_e32 vcc, s7, v1
	s_and_saveexec_b64 s[10:11], vcc
	s_cbranch_execz .LBB337_11
; %bb.10:
	v_lshlrev_b32_e32 v1, 3, v1
	global_load_dwordx2 v[8:9], v1, s[0:1]
.LBB337_11:
	;; [unrolled: 9-line block ×3, first 2 shown]
	s_or_b64 exec, exec, s[10:11]
	v_lshlrev_b32_e32 v1, 3, v0
	s_waitcnt vmcnt(0)
	ds_write2st64_b64 v1, v[2:3], v[4:5] offset1:4
	ds_write2st64_b64 v1, v[6:7], v[8:9] offset0:8 offset1:12
	ds_write_b64 v1, v[10:11] offset:8192
	s_waitcnt lgkmcnt(0)
	s_barrier
.LBB337_14:
	v_mul_u32_u24_e32 v1, 5, v0
	v_lshlrev_b32_e32 v24, 3, v1
	s_waitcnt lgkmcnt(0)
	ds_read2_b64 v[6:9], v24 offset1:1
	ds_read2_b64 v[2:5], v24 offset0:2 offset1:3
	ds_read_b64 v[10:11], v24 offset:32
	s_cmp_lg_u32 s6, 0
	s_cselect_b64 s[16:17], -1, 0
	s_cmp_lg_u64 s[2:3], 0
	s_cselect_b64 s[2:3], -1, 0
	s_or_b64 s[2:3], s[16:17], s[2:3]
	v_mad_u32_u24 v22, v0, 5, 1
	v_mad_u32_u24 v20, v0, 5, 2
	;; [unrolled: 1-line block ×4, first 2 shown]
	s_mov_b64 s[10:11], 0
	s_and_b64 vcc, exec, s[2:3]
	v_cmp_gt_i64_e64 s[12:13], s[26:27], 0
	s_waitcnt lgkmcnt(0)
	s_barrier
	s_cbranch_vccz .LBB337_23
; %bb.15:
	s_add_u32 s0, s0, -8
	s_addc_u32 s1, s1, -1
	s_load_dwordx2 s[2:3], s[0:1], 0x0
	v_cndmask_b32_e64 v12, 0, 1, s[12:13]
	v_lshlrev_b32_e32 v25, 3, v0
	s_and_b64 vcc, exec, s[34:35]
	v_cmp_ne_u32_e64 s[0:1], 1, v12
	ds_write_b64 v25, v[10:11]
	s_cbranch_vccz .LBB337_24
; %bb.16:
	v_mul_lo_u32 v14, v5, s26
	v_mul_lo_u32 v15, v4, s27
	v_mad_u64_u32 v[12:13], s[12:13], v4, s26, 0
	s_and_b64 vcc, exec, s[0:1]
	v_add3_u32 v13, v13, v15, v14
	s_cbranch_vccnz .LBB337_27
; %bb.17:
	v_mov_b32_e32 v15, s29
	v_add_co_u32_e32 v14, vcc, s28, v12
	v_pk_mov_b32 v[16:17], s[28:29], s[28:29] op_sel:[0,1]
	v_addc_co_u32_e32 v15, vcc, v15, v13, vcc
	v_mad_u64_u32 v[16:17], s[10:11], v10, s26, v[16:17]
	v_mul_lo_u32 v18, v10, s27
	v_mul_lo_u32 v19, v11, s26
	v_add3_u32 v17, v19, v17, v18
	global_load_ubyte v18, v[14:15], off
	global_load_ubyte v19, v[16:17], off
	s_mov_b64 s[10:11], -1
	s_waitcnt vmcnt(0)
	v_cmp_eq_u16_e32 vcc, v18, v19
	s_and_saveexec_b64 s[12:13], vcc
	s_cbranch_execz .LBB337_26
; %bb.18:
	s_mov_b64 s[18:19], 1
	s_mov_b64 s[10:11], 0
                                        ; implicit-def: $sgpr14_sgpr15
	s_branch .LBB337_21
.LBB337_19:                             ;   in Loop: Header=BB337_21 Depth=1
	v_mov_b32_e32 v27, s19
	v_add_co_u32_e32 v18, vcc, s18, v14
	v_addc_co_u32_e32 v19, vcc, v15, v27, vcc
	v_add_co_u32_e32 v26, vcc, s18, v16
	v_addc_co_u32_e32 v27, vcc, v17, v27, vcc
	global_load_ubyte v28, v[18:19], off
	global_load_ubyte v29, v[26:27], off
	s_add_u32 s36, s18, 1
	s_addc_u32 s37, s19, 0
	s_andn2_b64 s[14:15], s[14:15], exec
	s_waitcnt vmcnt(0)
	v_cmp_ne_u16_e32 vcc, v28, v29
	s_and_b64 s[38:39], vcc, exec
	s_or_b64 s[14:15], s[14:15], s[38:39]
.LBB337_20:                             ;   in Loop: Header=BB337_21 Depth=1
	s_and_b64 s[38:39], exec, s[14:15]
	s_or_b64 s[10:11], s[38:39], s[10:11]
	v_pk_mov_b32 v[18:19], s[18:19], s[18:19] op_sel:[0,1]
	s_mov_b64 s[18:19], s[36:37]
	s_andn2_b64 exec, exec, s[10:11]
	s_cbranch_execz .LBB337_25
.LBB337_21:                             ; =>This Inner Loop Header: Depth=1
	s_or_b64 s[14:15], s[14:15], exec
	s_cmp_eq_u64 s[26:27], s[18:19]
	s_cbranch_scc0 .LBB337_19
; %bb.22:                               ;   in Loop: Header=BB337_21 Depth=1
                                        ; implicit-def: $sgpr36_sgpr37
	s_mov_b64 s[18:19], s[26:27]
	s_branch .LBB337_20
.LBB337_23:
                                        ; implicit-def: $sgpr12_sgpr13
                                        ; implicit-def: $vgpr13
                                        ; implicit-def: $vgpr15
	s_branch .LBB337_125
.LBB337_24:
                                        ; implicit-def: $sgpr12_sgpr13
                                        ; implicit-def: $vgpr13
                                        ; implicit-def: $vgpr15
	s_cbranch_execnz .LBB337_66
	s_branch .LBB337_124
.LBB337_25:
	s_or_b64 exec, exec, s[10:11]
	v_cmp_gt_i64_e32 vcc, s[26:27], v[18:19]
	s_orn2_b64 s[10:11], vcc, exec
.LBB337_26:
	s_or_b64 exec, exec, s[12:13]
.LBB337_27:
	v_mul_lo_u32 v14, v3, s26
	v_mul_lo_u32 v15, v2, s27
	v_mad_u64_u32 v[16:17], s[12:13], v2, s26, 0
	v_add3_u32 v17, v17, v15, v14
	s_mov_b64 s[12:13], 0
	s_and_b64 vcc, exec, s[0:1]
	s_mov_b64 s[14:15], 0
	s_cbranch_vccnz .LBB337_36
; %bb.28:
	v_mov_b32_e32 v15, s29
	v_add_co_u32_e32 v14, vcc, s28, v16
	v_addc_co_u32_e32 v15, vcc, v15, v17, vcc
	v_mov_b32_e32 v18, s29
	v_add_co_u32_e32 v12, vcc, s28, v12
	v_addc_co_u32_e32 v13, vcc, v18, v13, vcc
	global_load_ubyte v18, v[14:15], off
	global_load_ubyte v19, v[12:13], off
	s_mov_b64 s[14:15], -1
	s_waitcnt vmcnt(0)
	v_cmp_eq_u16_e32 vcc, v18, v19
	s_and_saveexec_b64 s[18:19], vcc
	s_cbranch_execz .LBB337_35
; %bb.29:
	s_mov_b64 s[38:39], 1
	s_mov_b64 s[14:15], 0
                                        ; implicit-def: $sgpr36_sgpr37
	s_branch .LBB337_32
.LBB337_30:                             ;   in Loop: Header=BB337_32 Depth=1
	v_mov_b32_e32 v27, s39
	v_add_co_u32_e32 v18, vcc, s38, v14
	v_addc_co_u32_e32 v19, vcc, v15, v27, vcc
	v_add_co_u32_e32 v26, vcc, s38, v12
	v_addc_co_u32_e32 v27, vcc, v13, v27, vcc
	global_load_ubyte v28, v[18:19], off
	global_load_ubyte v29, v[26:27], off
	s_add_u32 s40, s38, 1
	s_addc_u32 s41, s39, 0
	s_andn2_b64 s[36:37], s[36:37], exec
	s_waitcnt vmcnt(0)
	v_cmp_ne_u16_e32 vcc, v28, v29
	s_and_b64 s[42:43], vcc, exec
	s_or_b64 s[36:37], s[36:37], s[42:43]
.LBB337_31:                             ;   in Loop: Header=BB337_32 Depth=1
	s_and_b64 s[42:43], exec, s[36:37]
	s_or_b64 s[14:15], s[42:43], s[14:15]
	v_pk_mov_b32 v[18:19], s[38:39], s[38:39] op_sel:[0,1]
	s_mov_b64 s[38:39], s[40:41]
	s_andn2_b64 exec, exec, s[14:15]
	s_cbranch_execz .LBB337_34
.LBB337_32:                             ; =>This Inner Loop Header: Depth=1
	s_or_b64 s[36:37], s[36:37], exec
	s_cmp_eq_u64 s[26:27], s[38:39]
	s_cbranch_scc0 .LBB337_30
; %bb.33:                               ;   in Loop: Header=BB337_32 Depth=1
                                        ; implicit-def: $sgpr40_sgpr41
	s_mov_b64 s[38:39], s[26:27]
	s_branch .LBB337_31
.LBB337_34:
	s_or_b64 exec, exec, s[14:15]
	v_cmp_gt_i64_e32 vcc, s[26:27], v[18:19]
	s_orn2_b64 s[14:15], vcc, exec
.LBB337_35:
	s_or_b64 exec, exec, s[18:19]
.LBB337_36:
	v_mul_lo_u32 v12, v9, s26
	v_mul_lo_u32 v13, v8, s27
	v_mad_u64_u32 v[14:15], s[18:19], v8, s26, 0
	s_and_b64 vcc, exec, s[0:1]
	v_add3_u32 v15, v15, v13, v12
	s_cbranch_vccnz .LBB337_45
; %bb.37:
	v_mov_b32_e32 v13, s29
	v_add_co_u32_e32 v12, vcc, s28, v14
	v_addc_co_u32_e32 v13, vcc, v13, v15, vcc
	v_mov_b32_e32 v18, s29
	v_add_co_u32_e32 v16, vcc, s28, v16
	v_addc_co_u32_e32 v17, vcc, v18, v17, vcc
	global_load_ubyte v18, v[12:13], off
	global_load_ubyte v19, v[16:17], off
	s_mov_b64 s[12:13], -1
	s_waitcnt vmcnt(0)
	v_cmp_eq_u16_e32 vcc, v18, v19
	s_and_saveexec_b64 s[18:19], vcc
	s_cbranch_execz .LBB337_44
; %bb.38:
	s_mov_b64 s[38:39], 1
	s_mov_b64 s[12:13], 0
                                        ; implicit-def: $sgpr36_sgpr37
	s_branch .LBB337_41
.LBB337_39:                             ;   in Loop: Header=BB337_41 Depth=1
	v_mov_b32_e32 v27, s39
	v_add_co_u32_e32 v18, vcc, s38, v12
	v_addc_co_u32_e32 v19, vcc, v13, v27, vcc
	v_add_co_u32_e32 v26, vcc, s38, v16
	v_addc_co_u32_e32 v27, vcc, v17, v27, vcc
	global_load_ubyte v28, v[18:19], off
	global_load_ubyte v29, v[26:27], off
	s_add_u32 s40, s38, 1
	s_addc_u32 s41, s39, 0
	s_andn2_b64 s[36:37], s[36:37], exec
	s_waitcnt vmcnt(0)
	v_cmp_ne_u16_e32 vcc, v28, v29
	s_and_b64 s[42:43], vcc, exec
	s_or_b64 s[36:37], s[36:37], s[42:43]
.LBB337_40:                             ;   in Loop: Header=BB337_41 Depth=1
	s_and_b64 s[42:43], exec, s[36:37]
	s_or_b64 s[12:13], s[42:43], s[12:13]
	v_pk_mov_b32 v[18:19], s[38:39], s[38:39] op_sel:[0,1]
	s_mov_b64 s[38:39], s[40:41]
	s_andn2_b64 exec, exec, s[12:13]
	s_cbranch_execz .LBB337_43
.LBB337_41:                             ; =>This Inner Loop Header: Depth=1
	s_or_b64 s[36:37], s[36:37], exec
	s_cmp_eq_u64 s[26:27], s[38:39]
	s_cbranch_scc0 .LBB337_39
; %bb.42:                               ;   in Loop: Header=BB337_41 Depth=1
                                        ; implicit-def: $sgpr40_sgpr41
	s_mov_b64 s[38:39], s[26:27]
	s_branch .LBB337_40
.LBB337_43:
	s_or_b64 exec, exec, s[12:13]
	v_cmp_gt_i64_e32 vcc, s[26:27], v[18:19]
	s_orn2_b64 s[12:13], vcc, exec
.LBB337_44:
	s_or_b64 exec, exec, s[18:19]
.LBB337_45:
	v_mul_lo_u32 v16, v7, s26
	v_mul_lo_u32 v17, v6, s27
	v_mad_u64_u32 v[12:13], s[18:19], v6, s26, 0
	v_add3_u32 v13, v13, v17, v16
	s_and_b64 vcc, exec, s[0:1]
	s_mov_b64 s[36:37], 0
	s_cbranch_vccnz .LBB337_54
; %bb.46:
	v_mov_b32_e32 v17, s29
	v_add_co_u32_e32 v16, vcc, s28, v12
	v_addc_co_u32_e32 v17, vcc, v17, v13, vcc
	v_mov_b32_e32 v18, s29
	v_add_co_u32_e32 v14, vcc, s28, v14
	v_addc_co_u32_e32 v15, vcc, v18, v15, vcc
	global_load_ubyte v18, v[16:17], off
	global_load_ubyte v19, v[14:15], off
	s_mov_b64 s[36:37], -1
	s_waitcnt vmcnt(0)
	v_cmp_eq_u16_e32 vcc, v18, v19
	s_and_saveexec_b64 s[18:19], vcc
	s_cbranch_execz .LBB337_53
; %bb.47:
	s_mov_b64 s[40:41], 1
	s_mov_b64 s[36:37], 0
                                        ; implicit-def: $sgpr38_sgpr39
	s_branch .LBB337_50
.LBB337_48:                             ;   in Loop: Header=BB337_50 Depth=1
	v_mov_b32_e32 v27, s41
	v_add_co_u32_e32 v18, vcc, s40, v16
	v_addc_co_u32_e32 v19, vcc, v17, v27, vcc
	v_add_co_u32_e32 v26, vcc, s40, v14
	v_addc_co_u32_e32 v27, vcc, v15, v27, vcc
	global_load_ubyte v28, v[18:19], off
	global_load_ubyte v29, v[26:27], off
	s_add_u32 s42, s40, 1
	s_addc_u32 s43, s41, 0
	s_andn2_b64 s[38:39], s[38:39], exec
	s_waitcnt vmcnt(0)
	v_cmp_ne_u16_e32 vcc, v28, v29
	s_and_b64 s[44:45], vcc, exec
	s_or_b64 s[38:39], s[38:39], s[44:45]
.LBB337_49:                             ;   in Loop: Header=BB337_50 Depth=1
	s_and_b64 s[44:45], exec, s[38:39]
	s_or_b64 s[36:37], s[44:45], s[36:37]
	v_pk_mov_b32 v[18:19], s[40:41], s[40:41] op_sel:[0,1]
	s_mov_b64 s[40:41], s[42:43]
	s_andn2_b64 exec, exec, s[36:37]
	s_cbranch_execz .LBB337_52
.LBB337_50:                             ; =>This Inner Loop Header: Depth=1
	s_or_b64 s[38:39], s[38:39], exec
	s_cmp_eq_u64 s[26:27], s[40:41]
	s_cbranch_scc0 .LBB337_48
; %bb.51:                               ;   in Loop: Header=BB337_50 Depth=1
                                        ; implicit-def: $sgpr42_sgpr43
	s_mov_b64 s[40:41], s[26:27]
	s_branch .LBB337_49
.LBB337_52:
	s_or_b64 exec, exec, s[36:37]
	v_cmp_gt_i64_e32 vcc, s[26:27], v[18:19]
	s_orn2_b64 s[36:37], vcc, exec
.LBB337_53:
	s_or_b64 exec, exec, s[18:19]
.LBB337_54:
	v_cmp_ne_u32_e32 vcc, 0, v0
	s_waitcnt lgkmcnt(0)
	v_pk_mov_b32 v[16:17], s[2:3], s[2:3] op_sel:[0,1]
	s_barrier
	s_and_saveexec_b64 s[18:19], vcc
	s_cbranch_execz .LBB337_56
; %bb.55:
	v_add_u32_e32 v14, -8, v25
	ds_read_b64 v[16:17], v14
.LBB337_56:
	s_or_b64 exec, exec, s[18:19]
	v_cndmask_b32_e64 v15, 0, 1, s[14:15]
	v_cndmask_b32_e64 v14, 0, 1, s[12:13]
	;; [unrolled: 1-line block ×3, first 2 shown]
	v_lshlrev_b16_e32 v15, 8, v15
	v_lshlrev_b16_e32 v18, 8, v18
	v_or_b32_sdwa v19, v14, v15 dst_sel:WORD_1 dst_unused:UNUSED_PAD src0_sel:DWORD src1_sel:DWORD
	s_mov_b64 s[14:15], 0
	s_and_b64 vcc, exec, s[0:1]
	s_mov_b64 s[12:13], 0
	s_cbranch_vccnz .LBB337_65
; %bb.57:
	v_pk_mov_b32 v[14:15], s[28:29], s[28:29] op_sel:[0,1]
	s_waitcnt lgkmcnt(0)
	v_mad_u64_u32 v[14:15], s[12:13], v16, s26, v[14:15]
	v_mul_lo_u32 v16, v16, s27
	v_mul_lo_u32 v17, v17, s26
	v_add3_u32 v15, v17, v15, v16
	v_mov_b32_e32 v16, s29
	v_add_co_u32_e32 v12, vcc, s28, v12
	v_addc_co_u32_e32 v13, vcc, v16, v13, vcc
	global_load_ubyte v16, v[14:15], off
	global_load_ubyte v17, v[12:13], off
	s_mov_b64 s[12:13], -1
	s_waitcnt vmcnt(0)
	v_cmp_eq_u16_e32 vcc, v16, v17
	s_and_saveexec_b64 s[18:19], vcc
	s_cbranch_execz .LBB337_64
; %bb.58:
	s_mov_b64 s[38:39], 1
	s_mov_b64 s[12:13], 0
                                        ; implicit-def: $sgpr36_sgpr37
	s_branch .LBB337_61
.LBB337_59:                             ;   in Loop: Header=BB337_61 Depth=1
	v_mov_b32_e32 v27, s39
	v_add_co_u32_e32 v16, vcc, s38, v14
	v_addc_co_u32_e32 v17, vcc, v15, v27, vcc
	v_add_co_u32_e32 v26, vcc, s38, v12
	v_addc_co_u32_e32 v27, vcc, v13, v27, vcc
	global_load_ubyte v28, v[16:17], off
	global_load_ubyte v29, v[26:27], off
	s_add_u32 s40, s38, 1
	s_addc_u32 s41, s39, 0
	s_andn2_b64 s[36:37], s[36:37], exec
	s_waitcnt vmcnt(0)
	v_cmp_ne_u16_e32 vcc, v28, v29
	s_and_b64 s[42:43], vcc, exec
	s_or_b64 s[36:37], s[36:37], s[42:43]
.LBB337_60:                             ;   in Loop: Header=BB337_61 Depth=1
	s_and_b64 s[42:43], exec, s[36:37]
	s_or_b64 s[12:13], s[42:43], s[12:13]
	v_pk_mov_b32 v[16:17], s[38:39], s[38:39] op_sel:[0,1]
	s_mov_b64 s[38:39], s[40:41]
	s_andn2_b64 exec, exec, s[12:13]
	s_cbranch_execz .LBB337_63
.LBB337_61:                             ; =>This Inner Loop Header: Depth=1
	s_or_b64 s[36:37], s[36:37], exec
	s_cmp_eq_u64 s[26:27], s[38:39]
	s_cbranch_scc0 .LBB337_59
; %bb.62:                               ;   in Loop: Header=BB337_61 Depth=1
                                        ; implicit-def: $sgpr40_sgpr41
	s_mov_b64 s[38:39], s[26:27]
	s_branch .LBB337_60
.LBB337_63:
	s_or_b64 exec, exec, s[12:13]
	v_cmp_gt_i64_e32 vcc, s[26:27], v[16:17]
	s_orn2_b64 s[12:13], vcc, exec
.LBB337_64:
	s_or_b64 exec, exec, s[18:19]
.LBB337_65:
	v_cndmask_b32_e64 v13, 0, 1, s[10:11]
	v_or_b32_e32 v15, v18, v19
	s_and_b64 vcc, exec, s[14:15]
	s_cbranch_vccz .LBB337_124
.LBB337_66:
	v_cmp_gt_u32_e32 vcc, s7, v21
	s_mov_b64 s[12:13], 0
	s_mov_b64 s[10:11], 0
	s_and_saveexec_b64 s[14:15], vcc
	s_cbranch_execz .LBB337_77
; %bb.67:
	s_and_b64 vcc, exec, s[0:1]
	s_mov_b64 s[18:19], 0
	s_cbranch_vccnz .LBB337_76
; %bb.68:
	v_pk_mov_b32 v[14:15], s[28:29], s[28:29] op_sel:[0,1]
	v_mad_u64_u32 v[12:13], s[10:11], v4, s26, v[14:15]
	s_waitcnt lgkmcnt(0)
	v_mul_lo_u32 v16, v4, s27
	v_mul_lo_u32 v17, v5, s26
	v_add3_u32 v13, v17, v13, v16
	v_mad_u64_u32 v[14:15], s[10:11], v10, s26, v[14:15]
	v_mul_lo_u32 v16, v10, s27
	v_mul_lo_u32 v17, v11, s26
	v_add3_u32 v15, v17, v15, v16
	global_load_ubyte v16, v[12:13], off
	global_load_ubyte v17, v[14:15], off
	s_mov_b64 s[18:19], -1
	s_waitcnt vmcnt(0)
	v_cmp_eq_u16_e32 vcc, v16, v17
	s_and_saveexec_b64 s[10:11], vcc
	s_cbranch_execz .LBB337_75
; %bb.69:
	s_mov_b64 s[38:39], 1
	s_mov_b64 s[18:19], 0
                                        ; implicit-def: $sgpr36_sgpr37
	s_branch .LBB337_72
.LBB337_70:                             ;   in Loop: Header=BB337_72 Depth=1
	v_mov_b32_e32 v19, s39
	v_add_co_u32_e32 v16, vcc, s38, v12
	v_addc_co_u32_e32 v17, vcc, v13, v19, vcc
	v_add_co_u32_e32 v18, vcc, s38, v14
	v_addc_co_u32_e32 v19, vcc, v15, v19, vcc
	global_load_ubyte v26, v[16:17], off
	global_load_ubyte v27, v[18:19], off
	s_add_u32 s40, s38, 1
	s_addc_u32 s41, s39, 0
	s_andn2_b64 s[36:37], s[36:37], exec
	s_waitcnt vmcnt(0)
	v_cmp_ne_u16_e32 vcc, v26, v27
	s_and_b64 s[42:43], vcc, exec
	s_or_b64 s[36:37], s[36:37], s[42:43]
.LBB337_71:                             ;   in Loop: Header=BB337_72 Depth=1
	s_and_b64 s[42:43], exec, s[36:37]
	s_or_b64 s[18:19], s[42:43], s[18:19]
	v_pk_mov_b32 v[16:17], s[38:39], s[38:39] op_sel:[0,1]
	s_mov_b64 s[38:39], s[40:41]
	s_andn2_b64 exec, exec, s[18:19]
	s_cbranch_execz .LBB337_74
.LBB337_72:                             ; =>This Inner Loop Header: Depth=1
	s_or_b64 s[36:37], s[36:37], exec
	s_cmp_eq_u64 s[26:27], s[38:39]
	s_cbranch_scc0 .LBB337_70
; %bb.73:                               ;   in Loop: Header=BB337_72 Depth=1
                                        ; implicit-def: $sgpr40_sgpr41
	s_mov_b64 s[38:39], s[26:27]
	s_branch .LBB337_71
.LBB337_74:
	s_or_b64 exec, exec, s[18:19]
	v_cmp_gt_i64_e32 vcc, s[26:27], v[16:17]
	s_orn2_b64 s[18:19], vcc, exec
.LBB337_75:
	s_or_b64 exec, exec, s[10:11]
.LBB337_76:
	s_and_b64 s[10:11], s[18:19], exec
.LBB337_77:
	s_or_b64 exec, exec, s[14:15]
	v_cmp_gt_u32_e32 vcc, s7, v23
	s_and_saveexec_b64 s[14:15], vcc
	s_cbranch_execz .LBB337_88
; %bb.78:
	s_and_b64 vcc, exec, s[0:1]
	s_mov_b64 s[18:19], 0
	s_cbranch_vccnz .LBB337_87
; %bb.79:
	v_pk_mov_b32 v[14:15], s[28:29], s[28:29] op_sel:[0,1]
	v_mad_u64_u32 v[12:13], s[12:13], v2, s26, v[14:15]
	s_waitcnt lgkmcnt(0)
	v_mul_lo_u32 v16, v2, s27
	v_mul_lo_u32 v17, v3, s26
	v_add3_u32 v13, v17, v13, v16
	v_mad_u64_u32 v[14:15], s[12:13], v4, s26, v[14:15]
	v_mul_lo_u32 v16, v4, s27
	v_mul_lo_u32 v17, v5, s26
	v_add3_u32 v15, v17, v15, v16
	global_load_ubyte v16, v[12:13], off
	global_load_ubyte v17, v[14:15], off
	s_mov_b64 s[18:19], -1
	s_waitcnt vmcnt(0)
	v_cmp_eq_u16_e32 vcc, v16, v17
	s_and_saveexec_b64 s[12:13], vcc
	s_cbranch_execz .LBB337_86
; %bb.80:
	s_mov_b64 s[38:39], 1
	s_mov_b64 s[18:19], 0
                                        ; implicit-def: $sgpr36_sgpr37
	s_branch .LBB337_83
.LBB337_81:                             ;   in Loop: Header=BB337_83 Depth=1
	v_mov_b32_e32 v19, s39
	v_add_co_u32_e32 v16, vcc, s38, v12
	v_addc_co_u32_e32 v17, vcc, v13, v19, vcc
	v_add_co_u32_e32 v18, vcc, s38, v14
	v_addc_co_u32_e32 v19, vcc, v15, v19, vcc
	global_load_ubyte v26, v[16:17], off
	global_load_ubyte v27, v[18:19], off
	s_add_u32 s40, s38, 1
	s_addc_u32 s41, s39, 0
	s_andn2_b64 s[36:37], s[36:37], exec
	s_waitcnt vmcnt(0)
	v_cmp_ne_u16_e32 vcc, v26, v27
	s_and_b64 s[42:43], vcc, exec
	s_or_b64 s[36:37], s[36:37], s[42:43]
.LBB337_82:                             ;   in Loop: Header=BB337_83 Depth=1
	s_and_b64 s[42:43], exec, s[36:37]
	s_or_b64 s[18:19], s[42:43], s[18:19]
	v_pk_mov_b32 v[16:17], s[38:39], s[38:39] op_sel:[0,1]
	s_mov_b64 s[38:39], s[40:41]
	s_andn2_b64 exec, exec, s[18:19]
	s_cbranch_execz .LBB337_85
.LBB337_83:                             ; =>This Inner Loop Header: Depth=1
	s_or_b64 s[36:37], s[36:37], exec
	s_cmp_eq_u64 s[26:27], s[38:39]
	s_cbranch_scc0 .LBB337_81
; %bb.84:                               ;   in Loop: Header=BB337_83 Depth=1
                                        ; implicit-def: $sgpr40_sgpr41
	s_mov_b64 s[38:39], s[26:27]
	s_branch .LBB337_82
.LBB337_85:
	s_or_b64 exec, exec, s[18:19]
	v_cmp_gt_i64_e32 vcc, s[26:27], v[16:17]
	s_orn2_b64 s[18:19], vcc, exec
.LBB337_86:
	s_or_b64 exec, exec, s[12:13]
.LBB337_87:
	s_and_b64 s[12:13], s[18:19], exec
.LBB337_88:
	s_or_b64 exec, exec, s[14:15]
	v_cmp_gt_u32_e32 vcc, s7, v20
	s_mov_b64 s[14:15], 0
	s_mov_b64 s[18:19], 0
	s_and_saveexec_b64 s[36:37], vcc
	s_cbranch_execz .LBB337_99
; %bb.89:
	s_and_b64 vcc, exec, s[0:1]
	s_mov_b64 s[38:39], 0
	s_cbranch_vccnz .LBB337_98
; %bb.90:
	v_pk_mov_b32 v[14:15], s[28:29], s[28:29] op_sel:[0,1]
	v_mad_u64_u32 v[12:13], s[18:19], v8, s26, v[14:15]
	s_waitcnt lgkmcnt(0)
	v_mul_lo_u32 v16, v8, s27
	v_mul_lo_u32 v17, v9, s26
	v_add3_u32 v13, v17, v13, v16
	v_mad_u64_u32 v[14:15], s[18:19], v2, s26, v[14:15]
	v_mul_lo_u32 v16, v2, s27
	v_mul_lo_u32 v17, v3, s26
	v_add3_u32 v15, v17, v15, v16
	global_load_ubyte v16, v[12:13], off
	global_load_ubyte v17, v[14:15], off
	s_mov_b64 s[38:39], -1
	s_waitcnt vmcnt(0)
	v_cmp_eq_u16_e32 vcc, v16, v17
	s_and_saveexec_b64 s[18:19], vcc
	s_cbranch_execz .LBB337_97
; %bb.91:
	s_mov_b64 s[42:43], 1
	s_mov_b64 s[38:39], 0
                                        ; implicit-def: $sgpr40_sgpr41
	s_branch .LBB337_94
.LBB337_92:                             ;   in Loop: Header=BB337_94 Depth=1
	v_mov_b32_e32 v19, s43
	v_add_co_u32_e32 v16, vcc, s42, v12
	v_addc_co_u32_e32 v17, vcc, v13, v19, vcc
	v_add_co_u32_e32 v18, vcc, s42, v14
	v_addc_co_u32_e32 v19, vcc, v15, v19, vcc
	global_load_ubyte v26, v[16:17], off
	global_load_ubyte v27, v[18:19], off
	s_add_u32 s44, s42, 1
	s_addc_u32 s45, s43, 0
	s_andn2_b64 s[40:41], s[40:41], exec
	s_waitcnt vmcnt(0)
	v_cmp_ne_u16_e32 vcc, v26, v27
	s_and_b64 s[46:47], vcc, exec
	s_or_b64 s[40:41], s[40:41], s[46:47]
.LBB337_93:                             ;   in Loop: Header=BB337_94 Depth=1
	s_and_b64 s[46:47], exec, s[40:41]
	s_or_b64 s[38:39], s[46:47], s[38:39]
	v_pk_mov_b32 v[16:17], s[42:43], s[42:43] op_sel:[0,1]
	s_mov_b64 s[42:43], s[44:45]
	s_andn2_b64 exec, exec, s[38:39]
	s_cbranch_execz .LBB337_96
.LBB337_94:                             ; =>This Inner Loop Header: Depth=1
	s_or_b64 s[40:41], s[40:41], exec
	s_cmp_eq_u64 s[26:27], s[42:43]
	s_cbranch_scc0 .LBB337_92
; %bb.95:                               ;   in Loop: Header=BB337_94 Depth=1
                                        ; implicit-def: $sgpr44_sgpr45
	s_mov_b64 s[42:43], s[26:27]
	s_branch .LBB337_93
.LBB337_96:
	s_or_b64 exec, exec, s[38:39]
	v_cmp_gt_i64_e32 vcc, s[26:27], v[16:17]
	s_orn2_b64 s[38:39], vcc, exec
.LBB337_97:
	s_or_b64 exec, exec, s[18:19]
.LBB337_98:
	s_and_b64 s[18:19], s[38:39], exec
.LBB337_99:
	s_or_b64 exec, exec, s[36:37]
	v_cmp_gt_u32_e32 vcc, s7, v22
	s_and_saveexec_b64 s[36:37], vcc
	s_cbranch_execz .LBB337_110
; %bb.100:
	s_and_b64 vcc, exec, s[0:1]
	s_mov_b64 s[38:39], 0
	s_cbranch_vccnz .LBB337_109
; %bb.101:
	v_pk_mov_b32 v[14:15], s[28:29], s[28:29] op_sel:[0,1]
	v_mad_u64_u32 v[12:13], s[14:15], v6, s26, v[14:15]
	s_waitcnt lgkmcnt(0)
	v_mul_lo_u32 v16, v6, s27
	v_mul_lo_u32 v17, v7, s26
	v_add3_u32 v13, v17, v13, v16
	v_mad_u64_u32 v[14:15], s[14:15], v8, s26, v[14:15]
	v_mul_lo_u32 v16, v8, s27
	v_mul_lo_u32 v17, v9, s26
	v_add3_u32 v15, v17, v15, v16
	global_load_ubyte v16, v[12:13], off
	global_load_ubyte v17, v[14:15], off
	s_mov_b64 s[38:39], -1
	s_waitcnt vmcnt(0)
	v_cmp_eq_u16_e32 vcc, v16, v17
	s_and_saveexec_b64 s[14:15], vcc
	s_cbranch_execz .LBB337_108
; %bb.102:
	s_mov_b64 s[42:43], 1
	s_mov_b64 s[38:39], 0
                                        ; implicit-def: $sgpr40_sgpr41
	s_branch .LBB337_105
.LBB337_103:                            ;   in Loop: Header=BB337_105 Depth=1
	v_mov_b32_e32 v19, s43
	v_add_co_u32_e32 v16, vcc, s42, v12
	v_addc_co_u32_e32 v17, vcc, v13, v19, vcc
	v_add_co_u32_e32 v18, vcc, s42, v14
	v_addc_co_u32_e32 v19, vcc, v15, v19, vcc
	global_load_ubyte v26, v[16:17], off
	global_load_ubyte v27, v[18:19], off
	s_add_u32 s44, s42, 1
	s_addc_u32 s45, s43, 0
	s_andn2_b64 s[40:41], s[40:41], exec
	s_waitcnt vmcnt(0)
	v_cmp_ne_u16_e32 vcc, v26, v27
	s_and_b64 s[46:47], vcc, exec
	s_or_b64 s[40:41], s[40:41], s[46:47]
.LBB337_104:                            ;   in Loop: Header=BB337_105 Depth=1
	s_and_b64 s[46:47], exec, s[40:41]
	s_or_b64 s[38:39], s[46:47], s[38:39]
	v_pk_mov_b32 v[16:17], s[42:43], s[42:43] op_sel:[0,1]
	s_mov_b64 s[42:43], s[44:45]
	s_andn2_b64 exec, exec, s[38:39]
	s_cbranch_execz .LBB337_107
.LBB337_105:                            ; =>This Inner Loop Header: Depth=1
	s_or_b64 s[40:41], s[40:41], exec
	s_cmp_eq_u64 s[26:27], s[42:43]
	s_cbranch_scc0 .LBB337_103
; %bb.106:                              ;   in Loop: Header=BB337_105 Depth=1
                                        ; implicit-def: $sgpr44_sgpr45
	s_mov_b64 s[42:43], s[26:27]
	s_branch .LBB337_104
.LBB337_107:
	s_or_b64 exec, exec, s[38:39]
	v_cmp_gt_i64_e32 vcc, s[26:27], v[16:17]
	s_orn2_b64 s[38:39], vcc, exec
.LBB337_108:
	s_or_b64 exec, exec, s[14:15]
.LBB337_109:
	s_and_b64 s[14:15], s[38:39], exec
.LBB337_110:
	s_or_b64 exec, exec, s[36:37]
	v_cmp_ne_u32_e32 vcc, 0, v0
	s_waitcnt lgkmcnt(0)
	v_pk_mov_b32 v[14:15], s[2:3], s[2:3] op_sel:[0,1]
	s_barrier
	s_and_saveexec_b64 s[2:3], vcc
	s_cbranch_execz .LBB337_112
; %bb.111:
	v_add_u32_e32 v12, -8, v25
	ds_read_b64 v[14:15], v12
.LBB337_112:
	s_or_b64 exec, exec, s[2:3]
	v_cndmask_b32_e64 v13, 0, 1, s[12:13]
	v_cndmask_b32_e64 v12, 0, 1, s[18:19]
	;; [unrolled: 1-line block ×3, first 2 shown]
	v_lshlrev_b16_e32 v13, 8, v13
	v_cmp_gt_u32_e32 vcc, s7, v1
	v_lshlrev_b16_e32 v18, 8, v16
	v_or_b32_sdwa v19, v12, v13 dst_sel:WORD_1 dst_unused:UNUSED_PAD src0_sel:DWORD src1_sel:DWORD
	s_mov_b64 s[12:13], 0
	s_and_saveexec_b64 s[2:3], vcc
	s_cbranch_execz .LBB337_123
; %bb.113:
	s_and_b64 vcc, exec, s[0:1]
	s_cbranch_vccnz .LBB337_122
; %bb.114:
	v_pk_mov_b32 v[16:17], s[28:29], s[28:29] op_sel:[0,1]
	s_waitcnt lgkmcnt(0)
	v_mad_u64_u32 v[12:13], s[0:1], v14, s26, v[16:17]
	v_mul_lo_u32 v14, v14, s27
	v_mul_lo_u32 v15, v15, s26
	v_add3_u32 v13, v15, v13, v14
	v_mad_u64_u32 v[14:15], s[0:1], v6, s26, v[16:17]
	v_mul_lo_u32 v16, v6, s27
	v_mul_lo_u32 v17, v7, s26
	v_add3_u32 v15, v17, v15, v16
	global_load_ubyte v16, v[12:13], off
	global_load_ubyte v17, v[14:15], off
	s_mov_b64 s[12:13], -1
	s_waitcnt vmcnt(0)
	v_cmp_eq_u16_e32 vcc, v16, v17
	s_and_saveexec_b64 s[0:1], vcc
	s_cbranch_execz .LBB337_121
; %bb.115:
	s_mov_b64 s[18:19], 1
	s_mov_b64 s[12:13], 0
                                        ; implicit-def: $sgpr14_sgpr15
	s_branch .LBB337_118
.LBB337_116:                            ;   in Loop: Header=BB337_118 Depth=1
	v_mov_b32_e32 v25, s19
	v_add_co_u32_e32 v16, vcc, s18, v12
	v_addc_co_u32_e32 v17, vcc, v13, v25, vcc
	v_add_co_u32_e32 v26, vcc, s18, v14
	v_addc_co_u32_e32 v27, vcc, v15, v25, vcc
	global_load_ubyte v25, v[16:17], off
	global_load_ubyte v28, v[26:27], off
	s_add_u32 s36, s18, 1
	s_addc_u32 s37, s19, 0
	s_andn2_b64 s[14:15], s[14:15], exec
	s_waitcnt vmcnt(0)
	v_cmp_ne_u16_e32 vcc, v25, v28
	s_and_b64 s[38:39], vcc, exec
	s_or_b64 s[14:15], s[14:15], s[38:39]
.LBB337_117:                            ;   in Loop: Header=BB337_118 Depth=1
	s_and_b64 s[38:39], exec, s[14:15]
	s_or_b64 s[12:13], s[38:39], s[12:13]
	v_pk_mov_b32 v[16:17], s[18:19], s[18:19] op_sel:[0,1]
	s_mov_b64 s[18:19], s[36:37]
	s_andn2_b64 exec, exec, s[12:13]
	s_cbranch_execz .LBB337_120
.LBB337_118:                            ; =>This Inner Loop Header: Depth=1
	s_or_b64 s[14:15], s[14:15], exec
	s_cmp_eq_u64 s[26:27], s[18:19]
	s_cbranch_scc0 .LBB337_116
; %bb.119:                              ;   in Loop: Header=BB337_118 Depth=1
                                        ; implicit-def: $sgpr36_sgpr37
	s_mov_b64 s[18:19], s[26:27]
	s_branch .LBB337_117
.LBB337_120:
	s_or_b64 exec, exec, s[12:13]
	v_cmp_gt_i64_e32 vcc, s[26:27], v[16:17]
	s_orn2_b64 s[12:13], vcc, exec
.LBB337_121:
	s_or_b64 exec, exec, s[0:1]
.LBB337_122:
	s_and_b64 s[12:13], s[12:13], exec
.LBB337_123:
	s_or_b64 exec, exec, s[2:3]
	v_cndmask_b32_e64 v13, 0, 1, s[10:11]
	s_waitcnt lgkmcnt(0)
	v_or_b32_e32 v15, v18, v19
.LBB337_124:
	s_mov_b64 s[10:11], -1
	s_cbranch_execnz .LBB337_233
.LBB337_125:
	v_lshlrev_b32_e32 v12, 5, v0
	v_sub_u32_e32 v24, v24, v12
	s_mov_b64 s[12:13], 0
	s_waitcnt lgkmcnt(0)
	v_cmp_gt_i64_e64 s[2:3], s[26:27], 0
	s_and_b64 vcc, exec, s[34:35]
	ds_write_b64 v24, v[10:11]
	s_cbranch_vccz .LBB337_133
; %bb.126:
	v_mul_lo_u32 v14, v5, s26
	v_mul_lo_u32 v15, v4, s27
	v_mad_u64_u32 v[12:13], s[0:1], v4, s26, 0
	v_cndmask_b32_e64 v16, 0, 1, s[2:3]
	v_cmp_ne_u32_e64 s[0:1], 1, v16
	s_andn2_b64 vcc, exec, s[2:3]
	v_add3_u32 v13, v13, v15, v14
	s_cbranch_vccnz .LBB337_136
; %bb.127:
	v_mov_b32_e32 v15, s29
	v_add_co_u32_e32 v14, vcc, s28, v12
	v_pk_mov_b32 v[16:17], s[28:29], s[28:29] op_sel:[0,1]
	v_addc_co_u32_e32 v15, vcc, v15, v13, vcc
	v_mad_u64_u32 v[16:17], s[12:13], v10, s26, v[16:17]
	v_mul_lo_u32 v18, v10, s27
	v_mul_lo_u32 v19, v11, s26
	v_add3_u32 v17, v19, v17, v18
	global_load_ubyte v18, v[14:15], off
	global_load_ubyte v19, v[16:17], off
	s_mov_b64 s[12:13], -1
	s_waitcnt vmcnt(0)
	v_cmp_eq_u16_e32 vcc, v18, v19
	s_and_saveexec_b64 s[14:15], vcc
	s_cbranch_execz .LBB337_135
; %bb.128:
	s_mov_b64 s[36:37], 1
	s_mov_b64 s[12:13], 0
                                        ; implicit-def: $sgpr18_sgpr19
	s_branch .LBB337_131
.LBB337_129:                            ;   in Loop: Header=BB337_131 Depth=1
	v_mov_b32_e32 v25, s37
	v_add_co_u32_e32 v18, vcc, s36, v14
	v_addc_co_u32_e32 v19, vcc, v15, v25, vcc
	v_add_co_u32_e32 v26, vcc, s36, v16
	v_addc_co_u32_e32 v27, vcc, v17, v25, vcc
	global_load_ubyte v25, v[18:19], off
	global_load_ubyte v28, v[26:27], off
	s_add_u32 s38, s36, 1
	s_addc_u32 s39, s37, 0
	s_andn2_b64 s[18:19], s[18:19], exec
	s_waitcnt vmcnt(0)
	v_cmp_ne_u16_e32 vcc, v25, v28
	s_and_b64 s[40:41], vcc, exec
	s_or_b64 s[18:19], s[18:19], s[40:41]
.LBB337_130:                            ;   in Loop: Header=BB337_131 Depth=1
	s_and_b64 s[40:41], exec, s[18:19]
	s_or_b64 s[12:13], s[40:41], s[12:13]
	v_pk_mov_b32 v[18:19], s[36:37], s[36:37] op_sel:[0,1]
	s_mov_b64 s[36:37], s[38:39]
	s_andn2_b64 exec, exec, s[12:13]
	s_cbranch_execz .LBB337_134
.LBB337_131:                            ; =>This Inner Loop Header: Depth=1
	s_or_b64 s[18:19], s[18:19], exec
	s_cmp_eq_u64 s[26:27], s[36:37]
	s_cbranch_scc0 .LBB337_129
; %bb.132:                              ;   in Loop: Header=BB337_131 Depth=1
                                        ; implicit-def: $sgpr38_sgpr39
	s_mov_b64 s[36:37], s[26:27]
	s_branch .LBB337_130
.LBB337_133:
                                        ; implicit-def: $sgpr12_sgpr13
                                        ; implicit-def: $vgpr13
                                        ; implicit-def: $vgpr15
	s_cbranch_execnz .LBB337_175
	s_branch .LBB337_233
.LBB337_134:
	s_or_b64 exec, exec, s[12:13]
	v_cmp_gt_i64_e32 vcc, s[26:27], v[18:19]
	s_orn2_b64 s[12:13], vcc, exec
.LBB337_135:
	s_or_b64 exec, exec, s[14:15]
.LBB337_136:
	v_mul_lo_u32 v16, v3, s26
	v_mul_lo_u32 v17, v2, s27
	v_mad_u64_u32 v[14:15], s[14:15], v2, s26, 0
	v_add3_u32 v15, v15, v17, v16
	s_mov_b64 s[14:15], 0
	s_and_b64 vcc, exec, s[0:1]
	s_mov_b64 s[18:19], 0
	s_cbranch_vccnz .LBB337_145
; %bb.137:
	v_mov_b32_e32 v17, s29
	v_add_co_u32_e32 v16, vcc, s28, v14
	v_addc_co_u32_e32 v17, vcc, v17, v15, vcc
	v_mov_b32_e32 v18, s29
	v_add_co_u32_e32 v12, vcc, s28, v12
	v_addc_co_u32_e32 v13, vcc, v18, v13, vcc
	global_load_ubyte v18, v[16:17], off
	global_load_ubyte v19, v[12:13], off
	s_mov_b64 s[18:19], -1
	s_waitcnt vmcnt(0)
	v_cmp_eq_u16_e32 vcc, v18, v19
	s_and_saveexec_b64 s[36:37], vcc
	s_cbranch_execz .LBB337_144
; %bb.138:
	s_mov_b64 s[40:41], 1
	s_mov_b64 s[18:19], 0
                                        ; implicit-def: $sgpr38_sgpr39
	s_branch .LBB337_141
.LBB337_139:                            ;   in Loop: Header=BB337_141 Depth=1
	v_mov_b32_e32 v25, s41
	v_add_co_u32_e32 v18, vcc, s40, v16
	v_addc_co_u32_e32 v19, vcc, v17, v25, vcc
	v_add_co_u32_e32 v26, vcc, s40, v12
	v_addc_co_u32_e32 v27, vcc, v13, v25, vcc
	global_load_ubyte v25, v[18:19], off
	global_load_ubyte v28, v[26:27], off
	s_add_u32 s42, s40, 1
	s_addc_u32 s43, s41, 0
	s_andn2_b64 s[38:39], s[38:39], exec
	s_waitcnt vmcnt(0)
	v_cmp_ne_u16_e32 vcc, v25, v28
	s_and_b64 s[44:45], vcc, exec
	s_or_b64 s[38:39], s[38:39], s[44:45]
.LBB337_140:                            ;   in Loop: Header=BB337_141 Depth=1
	s_and_b64 s[44:45], exec, s[38:39]
	s_or_b64 s[18:19], s[44:45], s[18:19]
	v_pk_mov_b32 v[18:19], s[40:41], s[40:41] op_sel:[0,1]
	s_mov_b64 s[40:41], s[42:43]
	s_andn2_b64 exec, exec, s[18:19]
	s_cbranch_execz .LBB337_143
.LBB337_141:                            ; =>This Inner Loop Header: Depth=1
	s_or_b64 s[38:39], s[38:39], exec
	s_cmp_eq_u64 s[26:27], s[40:41]
	s_cbranch_scc0 .LBB337_139
; %bb.142:                              ;   in Loop: Header=BB337_141 Depth=1
                                        ; implicit-def: $sgpr42_sgpr43
	s_mov_b64 s[40:41], s[26:27]
	s_branch .LBB337_140
.LBB337_143:
	s_or_b64 exec, exec, s[18:19]
	v_cmp_gt_i64_e32 vcc, s[26:27], v[18:19]
	s_orn2_b64 s[18:19], vcc, exec
.LBB337_144:
	s_or_b64 exec, exec, s[36:37]
.LBB337_145:
	v_mul_lo_u32 v16, v9, s26
	v_mul_lo_u32 v17, v8, s27
	v_mad_u64_u32 v[12:13], s[36:37], v8, s26, 0
	s_and_b64 vcc, exec, s[0:1]
	v_add3_u32 v13, v13, v17, v16
	s_cbranch_vccnz .LBB337_154
; %bb.146:
	v_mov_b32_e32 v17, s29
	v_add_co_u32_e32 v16, vcc, s28, v12
	v_addc_co_u32_e32 v17, vcc, v17, v13, vcc
	v_mov_b32_e32 v18, s29
	v_add_co_u32_e32 v14, vcc, s28, v14
	v_addc_co_u32_e32 v15, vcc, v18, v15, vcc
	global_load_ubyte v18, v[16:17], off
	global_load_ubyte v19, v[14:15], off
	s_mov_b64 s[14:15], -1
	s_waitcnt vmcnt(0)
	v_cmp_eq_u16_e32 vcc, v18, v19
	s_and_saveexec_b64 s[36:37], vcc
	s_cbranch_execz .LBB337_153
; %bb.147:
	s_mov_b64 s[40:41], 1
	s_mov_b64 s[14:15], 0
                                        ; implicit-def: $sgpr38_sgpr39
	s_branch .LBB337_150
.LBB337_148:                            ;   in Loop: Header=BB337_150 Depth=1
	v_mov_b32_e32 v25, s41
	v_add_co_u32_e32 v18, vcc, s40, v16
	v_addc_co_u32_e32 v19, vcc, v17, v25, vcc
	v_add_co_u32_e32 v26, vcc, s40, v14
	v_addc_co_u32_e32 v27, vcc, v15, v25, vcc
	global_load_ubyte v25, v[18:19], off
	global_load_ubyte v28, v[26:27], off
	s_add_u32 s42, s40, 1
	s_addc_u32 s43, s41, 0
	s_andn2_b64 s[38:39], s[38:39], exec
	s_waitcnt vmcnt(0)
	v_cmp_ne_u16_e32 vcc, v25, v28
	s_and_b64 s[44:45], vcc, exec
	s_or_b64 s[38:39], s[38:39], s[44:45]
.LBB337_149:                            ;   in Loop: Header=BB337_150 Depth=1
	s_and_b64 s[44:45], exec, s[38:39]
	s_or_b64 s[14:15], s[44:45], s[14:15]
	v_pk_mov_b32 v[18:19], s[40:41], s[40:41] op_sel:[0,1]
	s_mov_b64 s[40:41], s[42:43]
	s_andn2_b64 exec, exec, s[14:15]
	s_cbranch_execz .LBB337_152
.LBB337_150:                            ; =>This Inner Loop Header: Depth=1
	s_or_b64 s[38:39], s[38:39], exec
	s_cmp_eq_u64 s[26:27], s[40:41]
	s_cbranch_scc0 .LBB337_148
; %bb.151:                              ;   in Loop: Header=BB337_150 Depth=1
                                        ; implicit-def: $sgpr42_sgpr43
	s_mov_b64 s[40:41], s[26:27]
	s_branch .LBB337_149
.LBB337_152:
	s_or_b64 exec, exec, s[14:15]
	v_cmp_gt_i64_e32 vcc, s[26:27], v[18:19]
	s_orn2_b64 s[14:15], vcc, exec
.LBB337_153:
	s_or_b64 exec, exec, s[36:37]
.LBB337_154:
	v_mul_lo_u32 v16, v7, s26
	v_mul_lo_u32 v17, v6, s27
	v_mad_u64_u32 v[14:15], s[36:37], v6, s26, 0
	v_add3_u32 v25, v15, v17, v16
	s_and_b64 vcc, exec, s[0:1]
	s_mov_b64 s[38:39], 0
	s_cbranch_vccnz .LBB337_163
; %bb.155:
	v_mov_b32_e32 v15, s29
	v_add_co_u32_e32 v16, vcc, s28, v14
	v_addc_co_u32_e32 v17, vcc, v15, v25, vcc
	v_add_co_u32_e32 v12, vcc, s28, v12
	v_addc_co_u32_e32 v13, vcc, v15, v13, vcc
	global_load_ubyte v15, v[16:17], off
	global_load_ubyte v18, v[12:13], off
	s_mov_b64 s[38:39], -1
	s_waitcnt vmcnt(0)
	v_cmp_eq_u16_e32 vcc, v15, v18
	s_and_saveexec_b64 s[36:37], vcc
	s_cbranch_execz .LBB337_162
; %bb.156:
	s_mov_b64 s[42:43], 1
	s_mov_b64 s[38:39], 0
                                        ; implicit-def: $sgpr40_sgpr41
	s_branch .LBB337_159
.LBB337_157:                            ;   in Loop: Header=BB337_159 Depth=1
	v_mov_b32_e32 v15, s43
	v_add_co_u32_e32 v18, vcc, s42, v16
	v_addc_co_u32_e32 v19, vcc, v17, v15, vcc
	v_add_co_u32_e32 v26, vcc, s42, v12
	v_addc_co_u32_e32 v27, vcc, v13, v15, vcc
	global_load_ubyte v15, v[18:19], off
	global_load_ubyte v28, v[26:27], off
	s_add_u32 s44, s42, 1
	s_addc_u32 s45, s43, 0
	s_andn2_b64 s[40:41], s[40:41], exec
	s_waitcnt vmcnt(0)
	v_cmp_ne_u16_e32 vcc, v15, v28
	s_and_b64 s[46:47], vcc, exec
	s_or_b64 s[40:41], s[40:41], s[46:47]
.LBB337_158:                            ;   in Loop: Header=BB337_159 Depth=1
	s_and_b64 s[46:47], exec, s[40:41]
	s_or_b64 s[38:39], s[46:47], s[38:39]
	v_pk_mov_b32 v[18:19], s[42:43], s[42:43] op_sel:[0,1]
	s_mov_b64 s[42:43], s[44:45]
	s_andn2_b64 exec, exec, s[38:39]
	s_cbranch_execz .LBB337_161
.LBB337_159:                            ; =>This Inner Loop Header: Depth=1
	s_or_b64 s[40:41], s[40:41], exec
	s_cmp_eq_u64 s[26:27], s[42:43]
	s_cbranch_scc0 .LBB337_157
; %bb.160:                              ;   in Loop: Header=BB337_159 Depth=1
                                        ; implicit-def: $sgpr44_sgpr45
	s_mov_b64 s[42:43], s[26:27]
	s_branch .LBB337_158
.LBB337_161:
	s_or_b64 exec, exec, s[38:39]
	v_cmp_gt_i64_e32 vcc, s[26:27], v[18:19]
	s_orn2_b64 s[38:39], vcc, exec
.LBB337_162:
	s_or_b64 exec, exec, s[36:37]
.LBB337_163:
	v_cndmask_b32_e64 v13, 0, 1, s[18:19]
	v_cndmask_b32_e64 v15, 0, 1, s[38:39]
	;; [unrolled: 1-line block ×3, first 2 shown]
	v_lshlrev_b16_e32 v15, 8, v15
	v_lshlrev_b16_e32 v13, 8, v13
	v_or_b32_e32 v15, 1, v15
	v_or_b32_sdwa v12, v12, v13 dst_sel:WORD_1 dst_unused:UNUSED_PAD src0_sel:DWORD src1_sel:DWORD
	v_or_b32_sdwa v12, v15, v12 dst_sel:DWORD dst_unused:UNUSED_PAD src0_sel:WORD_0 src1_sel:DWORD
	v_cndmask_b32_e64 v13, 0, 1, s[12:13]
	v_cmp_ne_u32_e32 vcc, 0, v0
	s_waitcnt lgkmcnt(0)
	s_barrier
	s_waitcnt lgkmcnt(0)
                                        ; implicit-def: $sgpr12_sgpr13
                                        ; implicit-def: $vgpr15
	s_and_saveexec_b64 s[14:15], vcc
	s_xor_b64 s[14:15], exec, s[14:15]
	s_cbranch_execz .LBB337_174
; %bb.164:
	s_mov_b32 s33, 0x3020104
	s_and_b64 vcc, exec, s[0:1]
	s_mov_b64 s[12:13], 0
	s_cbranch_vccnz .LBB337_173
; %bb.165:
	v_add_u32_e32 v15, -8, v24
	ds_read_b64 v[16:17], v15
	v_pk_mov_b32 v[18:19], s[28:29], s[28:29] op_sel:[0,1]
	v_add_co_u32_e32 v14, vcc, s28, v14
	s_mov_b64 s[12:13], -1
	s_waitcnt lgkmcnt(0)
	v_mul_lo_u32 v15, v16, s27
	v_mul_lo_u32 v26, v17, s26
	v_mad_u64_u32 v[16:17], s[0:1], v16, s26, v[18:19]
	v_add3_u32 v17, v26, v17, v15
	v_mov_b32_e32 v15, s29
	v_addc_co_u32_e32 v15, vcc, v15, v25, vcc
	global_load_ubyte v18, v[14:15], off
	global_load_ubyte v19, v[16:17], off
	s_waitcnt vmcnt(0)
	v_cmp_eq_u16_e32 vcc, v19, v18
	s_and_saveexec_b64 s[0:1], vcc
	s_cbranch_execz .LBB337_172
; %bb.166:
	s_mov_b64 s[36:37], 1
	s_mov_b64 s[12:13], 0
                                        ; implicit-def: $sgpr18_sgpr19
	s_branch .LBB337_169
.LBB337_167:                            ;   in Loop: Header=BB337_169 Depth=1
	v_mov_b32_e32 v25, s37
	v_add_co_u32_e32 v18, vcc, s36, v16
	v_addc_co_u32_e32 v19, vcc, v17, v25, vcc
	v_add_co_u32_e32 v26, vcc, s36, v14
	v_addc_co_u32_e32 v27, vcc, v15, v25, vcc
	global_load_ubyte v25, v[18:19], off
	global_load_ubyte v28, v[26:27], off
	s_add_u32 s38, s36, 1
	s_addc_u32 s39, s37, 0
	s_andn2_b64 s[18:19], s[18:19], exec
	s_waitcnt vmcnt(0)
	v_cmp_ne_u16_e32 vcc, v25, v28
	s_and_b64 s[40:41], vcc, exec
	s_or_b64 s[18:19], s[18:19], s[40:41]
.LBB337_168:                            ;   in Loop: Header=BB337_169 Depth=1
	s_and_b64 s[40:41], exec, s[18:19]
	s_or_b64 s[12:13], s[40:41], s[12:13]
	v_pk_mov_b32 v[18:19], s[36:37], s[36:37] op_sel:[0,1]
	s_mov_b64 s[36:37], s[38:39]
	s_andn2_b64 exec, exec, s[12:13]
	s_cbranch_execz .LBB337_171
.LBB337_169:                            ; =>This Inner Loop Header: Depth=1
	s_or_b64 s[18:19], s[18:19], exec
	s_cmp_eq_u64 s[26:27], s[36:37]
	s_cbranch_scc0 .LBB337_167
; %bb.170:                              ;   in Loop: Header=BB337_169 Depth=1
                                        ; implicit-def: $sgpr38_sgpr39
	s_mov_b64 s[36:37], s[26:27]
	s_branch .LBB337_168
.LBB337_171:
	s_or_b64 exec, exec, s[12:13]
	v_cmp_gt_i64_e32 vcc, s[26:27], v[18:19]
	s_orn2_b64 s[12:13], vcc, exec
.LBB337_172:
	s_or_b64 exec, exec, s[0:1]
.LBB337_173:
	v_perm_b32 v15, v12, v12, s33
	s_and_b64 s[12:13], s[12:13], exec
	s_or_b64 s[10:11], s[10:11], exec
.LBB337_174:
	s_or_b64 exec, exec, s[14:15]
	s_branch .LBB337_233
.LBB337_175:
	v_cmp_gt_u32_e32 vcc, s7, v21
	s_mov_b64 s[12:13], 0
	s_mov_b64 s[0:1], 0
	s_and_saveexec_b64 s[14:15], vcc
	s_cbranch_execz .LBB337_186
; %bb.176:
	s_andn2_b64 vcc, exec, s[2:3]
	s_mov_b64 s[18:19], 0
	s_cbranch_vccnz .LBB337_185
; %bb.177:
	v_pk_mov_b32 v[14:15], s[28:29], s[28:29] op_sel:[0,1]
	v_mad_u64_u32 v[12:13], s[0:1], v4, s26, v[14:15]
	v_mul_lo_u32 v16, v4, s27
	v_mul_lo_u32 v17, v5, s26
	v_add3_u32 v13, v17, v13, v16
	v_mad_u64_u32 v[14:15], s[0:1], v10, s26, v[14:15]
	v_mul_lo_u32 v16, v10, s27
	v_mul_lo_u32 v17, v11, s26
	v_add3_u32 v15, v17, v15, v16
	global_load_ubyte v16, v[12:13], off
	global_load_ubyte v17, v[14:15], off
	s_mov_b64 s[18:19], -1
	s_waitcnt vmcnt(0)
	v_cmp_eq_u16_e32 vcc, v16, v17
	s_and_saveexec_b64 s[0:1], vcc
	s_cbranch_execz .LBB337_184
; %bb.178:
	s_mov_b64 s[38:39], 1
	s_mov_b64 s[18:19], 0
                                        ; implicit-def: $sgpr36_sgpr37
	s_branch .LBB337_181
.LBB337_179:                            ;   in Loop: Header=BB337_181 Depth=1
	v_mov_b32_e32 v19, s39
	v_add_co_u32_e32 v16, vcc, s38, v12
	v_addc_co_u32_e32 v17, vcc, v13, v19, vcc
	v_add_co_u32_e32 v18, vcc, s38, v14
	v_addc_co_u32_e32 v19, vcc, v15, v19, vcc
	global_load_ubyte v25, v[16:17], off
	global_load_ubyte v26, v[18:19], off
	s_add_u32 s40, s38, 1
	s_addc_u32 s41, s39, 0
	s_andn2_b64 s[36:37], s[36:37], exec
	s_waitcnt vmcnt(0)
	v_cmp_ne_u16_e32 vcc, v25, v26
	s_and_b64 s[42:43], vcc, exec
	s_or_b64 s[36:37], s[36:37], s[42:43]
.LBB337_180:                            ;   in Loop: Header=BB337_181 Depth=1
	s_and_b64 s[42:43], exec, s[36:37]
	s_or_b64 s[18:19], s[42:43], s[18:19]
	v_pk_mov_b32 v[16:17], s[38:39], s[38:39] op_sel:[0,1]
	s_mov_b64 s[38:39], s[40:41]
	s_andn2_b64 exec, exec, s[18:19]
	s_cbranch_execz .LBB337_183
.LBB337_181:                            ; =>This Inner Loop Header: Depth=1
	s_or_b64 s[36:37], s[36:37], exec
	s_cmp_eq_u64 s[26:27], s[38:39]
	s_cbranch_scc0 .LBB337_179
; %bb.182:                              ;   in Loop: Header=BB337_181 Depth=1
                                        ; implicit-def: $sgpr40_sgpr41
	s_mov_b64 s[38:39], s[26:27]
	s_branch .LBB337_180
.LBB337_183:
	s_or_b64 exec, exec, s[18:19]
	v_cmp_gt_i64_e32 vcc, s[26:27], v[16:17]
	s_orn2_b64 s[18:19], vcc, exec
.LBB337_184:
	s_or_b64 exec, exec, s[0:1]
.LBB337_185:
	s_and_b64 s[0:1], s[18:19], exec
.LBB337_186:
	s_or_b64 exec, exec, s[14:15]
	v_cmp_gt_u32_e32 vcc, s7, v23
	s_and_saveexec_b64 s[14:15], vcc
	s_cbranch_execz .LBB337_197
; %bb.187:
	s_andn2_b64 vcc, exec, s[2:3]
	s_mov_b64 s[18:19], 0
	s_cbranch_vccnz .LBB337_196
; %bb.188:
	v_pk_mov_b32 v[14:15], s[28:29], s[28:29] op_sel:[0,1]
	v_mad_u64_u32 v[12:13], s[12:13], v2, s26, v[14:15]
	v_mul_lo_u32 v16, v2, s27
	v_mul_lo_u32 v17, v3, s26
	v_add3_u32 v13, v17, v13, v16
	v_mad_u64_u32 v[14:15], s[12:13], v4, s26, v[14:15]
	v_mul_lo_u32 v16, v4, s27
	v_mul_lo_u32 v17, v5, s26
	v_add3_u32 v15, v17, v15, v16
	global_load_ubyte v16, v[12:13], off
	global_load_ubyte v17, v[14:15], off
	s_mov_b64 s[18:19], -1
	s_waitcnt vmcnt(0)
	v_cmp_eq_u16_e32 vcc, v16, v17
	s_and_saveexec_b64 s[12:13], vcc
	s_cbranch_execz .LBB337_195
; %bb.189:
	s_mov_b64 s[38:39], 1
	s_mov_b64 s[18:19], 0
                                        ; implicit-def: $sgpr36_sgpr37
	s_branch .LBB337_192
.LBB337_190:                            ;   in Loop: Header=BB337_192 Depth=1
	v_mov_b32_e32 v19, s39
	v_add_co_u32_e32 v16, vcc, s38, v12
	v_addc_co_u32_e32 v17, vcc, v13, v19, vcc
	v_add_co_u32_e32 v18, vcc, s38, v14
	v_addc_co_u32_e32 v19, vcc, v15, v19, vcc
	global_load_ubyte v25, v[16:17], off
	global_load_ubyte v26, v[18:19], off
	s_add_u32 s40, s38, 1
	s_addc_u32 s41, s39, 0
	s_andn2_b64 s[36:37], s[36:37], exec
	s_waitcnt vmcnt(0)
	v_cmp_ne_u16_e32 vcc, v25, v26
	s_and_b64 s[42:43], vcc, exec
	s_or_b64 s[36:37], s[36:37], s[42:43]
.LBB337_191:                            ;   in Loop: Header=BB337_192 Depth=1
	s_and_b64 s[42:43], exec, s[36:37]
	s_or_b64 s[18:19], s[42:43], s[18:19]
	v_pk_mov_b32 v[16:17], s[38:39], s[38:39] op_sel:[0,1]
	s_mov_b64 s[38:39], s[40:41]
	s_andn2_b64 exec, exec, s[18:19]
	s_cbranch_execz .LBB337_194
.LBB337_192:                            ; =>This Inner Loop Header: Depth=1
	s_or_b64 s[36:37], s[36:37], exec
	s_cmp_eq_u64 s[26:27], s[38:39]
	s_cbranch_scc0 .LBB337_190
; %bb.193:                              ;   in Loop: Header=BB337_192 Depth=1
                                        ; implicit-def: $sgpr40_sgpr41
	s_mov_b64 s[38:39], s[26:27]
	s_branch .LBB337_191
.LBB337_194:
	s_or_b64 exec, exec, s[18:19]
	v_cmp_gt_i64_e32 vcc, s[26:27], v[16:17]
	s_orn2_b64 s[18:19], vcc, exec
.LBB337_195:
	s_or_b64 exec, exec, s[12:13]
.LBB337_196:
	s_and_b64 s[12:13], s[18:19], exec
.LBB337_197:
	s_or_b64 exec, exec, s[14:15]
	v_cmp_gt_u32_e32 vcc, s7, v20
	s_mov_b64 s[14:15], 0
	s_mov_b64 s[18:19], 0
	s_and_saveexec_b64 s[36:37], vcc
	s_cbranch_execz .LBB337_208
; %bb.198:
	s_andn2_b64 vcc, exec, s[2:3]
	s_mov_b64 s[38:39], 0
	s_cbranch_vccnz .LBB337_207
; %bb.199:
	v_pk_mov_b32 v[14:15], s[28:29], s[28:29] op_sel:[0,1]
	v_mad_u64_u32 v[12:13], s[18:19], v8, s26, v[14:15]
	v_mul_lo_u32 v16, v8, s27
	v_mul_lo_u32 v17, v9, s26
	v_add3_u32 v13, v17, v13, v16
	v_mad_u64_u32 v[14:15], s[18:19], v2, s26, v[14:15]
	v_mul_lo_u32 v16, v2, s27
	v_mul_lo_u32 v17, v3, s26
	v_add3_u32 v15, v17, v15, v16
	global_load_ubyte v16, v[12:13], off
	global_load_ubyte v17, v[14:15], off
	s_mov_b64 s[38:39], -1
	s_waitcnt vmcnt(0)
	v_cmp_eq_u16_e32 vcc, v16, v17
	s_and_saveexec_b64 s[18:19], vcc
	s_cbranch_execz .LBB337_206
; %bb.200:
	s_mov_b64 s[42:43], 1
	s_mov_b64 s[38:39], 0
                                        ; implicit-def: $sgpr40_sgpr41
	s_branch .LBB337_203
.LBB337_201:                            ;   in Loop: Header=BB337_203 Depth=1
	v_mov_b32_e32 v19, s43
	v_add_co_u32_e32 v16, vcc, s42, v12
	v_addc_co_u32_e32 v17, vcc, v13, v19, vcc
	v_add_co_u32_e32 v18, vcc, s42, v14
	v_addc_co_u32_e32 v19, vcc, v15, v19, vcc
	global_load_ubyte v25, v[16:17], off
	global_load_ubyte v26, v[18:19], off
	s_add_u32 s44, s42, 1
	s_addc_u32 s45, s43, 0
	s_andn2_b64 s[40:41], s[40:41], exec
	s_waitcnt vmcnt(0)
	v_cmp_ne_u16_e32 vcc, v25, v26
	s_and_b64 s[46:47], vcc, exec
	s_or_b64 s[40:41], s[40:41], s[46:47]
.LBB337_202:                            ;   in Loop: Header=BB337_203 Depth=1
	s_and_b64 s[46:47], exec, s[40:41]
	s_or_b64 s[38:39], s[46:47], s[38:39]
	v_pk_mov_b32 v[16:17], s[42:43], s[42:43] op_sel:[0,1]
	s_mov_b64 s[42:43], s[44:45]
	s_andn2_b64 exec, exec, s[38:39]
	s_cbranch_execz .LBB337_205
.LBB337_203:                            ; =>This Inner Loop Header: Depth=1
	s_or_b64 s[40:41], s[40:41], exec
	s_cmp_eq_u64 s[26:27], s[42:43]
	s_cbranch_scc0 .LBB337_201
; %bb.204:                              ;   in Loop: Header=BB337_203 Depth=1
                                        ; implicit-def: $sgpr44_sgpr45
	s_mov_b64 s[42:43], s[26:27]
	s_branch .LBB337_202
.LBB337_205:
	s_or_b64 exec, exec, s[38:39]
	v_cmp_gt_i64_e32 vcc, s[26:27], v[16:17]
	s_orn2_b64 s[38:39], vcc, exec
.LBB337_206:
	s_or_b64 exec, exec, s[18:19]
.LBB337_207:
	s_and_b64 s[18:19], s[38:39], exec
.LBB337_208:
	s_or_b64 exec, exec, s[36:37]
	v_cmp_gt_u32_e32 vcc, s7, v22
	s_and_saveexec_b64 s[36:37], vcc
	s_cbranch_execz .LBB337_219
; %bb.209:
	s_andn2_b64 vcc, exec, s[2:3]
	s_mov_b64 s[38:39], 0
	s_cbranch_vccnz .LBB337_218
; %bb.210:
	v_pk_mov_b32 v[14:15], s[28:29], s[28:29] op_sel:[0,1]
	v_mad_u64_u32 v[12:13], s[14:15], v6, s26, v[14:15]
	v_mul_lo_u32 v16, v6, s27
	v_mul_lo_u32 v17, v7, s26
	v_add3_u32 v13, v17, v13, v16
	v_mad_u64_u32 v[14:15], s[14:15], v8, s26, v[14:15]
	v_mul_lo_u32 v16, v8, s27
	v_mul_lo_u32 v17, v9, s26
	v_add3_u32 v15, v17, v15, v16
	global_load_ubyte v16, v[12:13], off
	global_load_ubyte v17, v[14:15], off
	s_mov_b64 s[38:39], -1
	s_waitcnt vmcnt(0)
	v_cmp_eq_u16_e32 vcc, v16, v17
	s_and_saveexec_b64 s[14:15], vcc
	s_cbranch_execz .LBB337_217
; %bb.211:
	s_mov_b64 s[42:43], 1
	s_mov_b64 s[38:39], 0
                                        ; implicit-def: $sgpr40_sgpr41
	s_branch .LBB337_214
.LBB337_212:                            ;   in Loop: Header=BB337_214 Depth=1
	v_mov_b32_e32 v19, s43
	v_add_co_u32_e32 v16, vcc, s42, v12
	v_addc_co_u32_e32 v17, vcc, v13, v19, vcc
	v_add_co_u32_e32 v18, vcc, s42, v14
	v_addc_co_u32_e32 v19, vcc, v15, v19, vcc
	global_load_ubyte v25, v[16:17], off
	global_load_ubyte v26, v[18:19], off
	s_add_u32 s44, s42, 1
	s_addc_u32 s45, s43, 0
	s_andn2_b64 s[40:41], s[40:41], exec
	s_waitcnt vmcnt(0)
	v_cmp_ne_u16_e32 vcc, v25, v26
	s_and_b64 s[46:47], vcc, exec
	s_or_b64 s[40:41], s[40:41], s[46:47]
.LBB337_213:                            ;   in Loop: Header=BB337_214 Depth=1
	s_and_b64 s[46:47], exec, s[40:41]
	s_or_b64 s[38:39], s[46:47], s[38:39]
	v_pk_mov_b32 v[16:17], s[42:43], s[42:43] op_sel:[0,1]
	s_mov_b64 s[42:43], s[44:45]
	s_andn2_b64 exec, exec, s[38:39]
	s_cbranch_execz .LBB337_216
.LBB337_214:                            ; =>This Inner Loop Header: Depth=1
	s_or_b64 s[40:41], s[40:41], exec
	s_cmp_eq_u64 s[26:27], s[42:43]
	s_cbranch_scc0 .LBB337_212
; %bb.215:                              ;   in Loop: Header=BB337_214 Depth=1
                                        ; implicit-def: $sgpr44_sgpr45
	s_mov_b64 s[42:43], s[26:27]
	s_branch .LBB337_213
.LBB337_216:
	s_or_b64 exec, exec, s[38:39]
	v_cmp_gt_i64_e32 vcc, s[26:27], v[16:17]
	s_orn2_b64 s[38:39], vcc, exec
.LBB337_217:
	s_or_b64 exec, exec, s[14:15]
.LBB337_218:
	s_and_b64 s[14:15], s[38:39], exec
.LBB337_219:
	s_or_b64 exec, exec, s[36:37]
	v_cndmask_b32_e64 v13, 0, 1, s[12:13]
	v_cndmask_b32_e64 v14, 0, 1, s[14:15]
	;; [unrolled: 1-line block ×3, first 2 shown]
	v_lshlrev_b16_e32 v14, 8, v14
	v_lshlrev_b16_e32 v13, 8, v13
	v_or_b32_e32 v14, 1, v14
	v_or_b32_sdwa v12, v12, v13 dst_sel:WORD_1 dst_unused:UNUSED_PAD src0_sel:DWORD src1_sel:DWORD
	v_or_b32_sdwa v12, v14, v12 dst_sel:DWORD dst_unused:UNUSED_PAD src0_sel:WORD_0 src1_sel:DWORD
	v_cndmask_b32_e64 v13, 0, 1, s[0:1]
	v_cmp_ne_u32_e32 vcc, 0, v0
	s_waitcnt lgkmcnt(0)
	s_barrier
	s_waitcnt lgkmcnt(0)
                                        ; implicit-def: $sgpr12_sgpr13
                                        ; implicit-def: $vgpr15
	s_and_saveexec_b64 s[0:1], vcc
	s_cbranch_execz .LBB337_232
; %bb.220:
	v_cmp_gt_u32_e32 vcc, s7, v1
	s_mov_b32 s33, 0x3020104
	s_mov_b64 s[14:15], 0
	s_and_saveexec_b64 s[12:13], vcc
	s_cbranch_execz .LBB337_231
; %bb.221:
	s_andn2_b64 vcc, exec, s[2:3]
	s_cbranch_vccnz .LBB337_230
; %bb.222:
	v_add_u32_e32 v14, -8, v24
	ds_read_b64 v[14:15], v14
	v_pk_mov_b32 v[16:17], s[28:29], s[28:29] op_sel:[0,1]
	s_mov_b64 s[14:15], -1
	s_waitcnt lgkmcnt(0)
	v_mul_lo_u32 v18, v14, s27
	v_mul_lo_u32 v19, v15, s26
	v_mad_u64_u32 v[14:15], s[2:3], v14, s26, v[16:17]
	v_add3_u32 v15, v19, v15, v18
	v_mad_u64_u32 v[16:17], s[2:3], v6, s26, v[16:17]
	v_mul_lo_u32 v18, v6, s27
	v_mul_lo_u32 v19, v7, s26
	v_add3_u32 v17, v19, v17, v18
	global_load_ubyte v18, v[14:15], off
	global_load_ubyte v19, v[16:17], off
	s_waitcnt vmcnt(0)
	v_cmp_eq_u16_e32 vcc, v18, v19
	s_and_saveexec_b64 s[2:3], vcc
	s_cbranch_execz .LBB337_229
; %bb.223:
	s_mov_b64 s[28:29], 1
	s_mov_b64 s[14:15], 0
                                        ; implicit-def: $sgpr18_sgpr19
	s_branch .LBB337_226
.LBB337_224:                            ;   in Loop: Header=BB337_226 Depth=1
	v_mov_b32_e32 v25, s29
	v_add_co_u32_e32 v18, vcc, s28, v14
	v_addc_co_u32_e32 v19, vcc, v15, v25, vcc
	v_add_co_u32_e32 v24, vcc, s28, v16
	v_addc_co_u32_e32 v25, vcc, v17, v25, vcc
	global_load_ubyte v26, v[18:19], off
	global_load_ubyte v27, v[24:25], off
	s_add_u32 s36, s28, 1
	s_addc_u32 s37, s29, 0
	s_andn2_b64 s[18:19], s[18:19], exec
	s_waitcnt vmcnt(0)
	v_cmp_ne_u16_e32 vcc, v26, v27
	s_and_b64 s[38:39], vcc, exec
	s_or_b64 s[18:19], s[18:19], s[38:39]
.LBB337_225:                            ;   in Loop: Header=BB337_226 Depth=1
	s_and_b64 s[38:39], exec, s[18:19]
	s_or_b64 s[14:15], s[38:39], s[14:15]
	v_pk_mov_b32 v[18:19], s[28:29], s[28:29] op_sel:[0,1]
	s_mov_b64 s[28:29], s[36:37]
	s_andn2_b64 exec, exec, s[14:15]
	s_cbranch_execz .LBB337_228
.LBB337_226:                            ; =>This Inner Loop Header: Depth=1
	s_or_b64 s[18:19], s[18:19], exec
	s_cmp_eq_u64 s[26:27], s[28:29]
	s_cbranch_scc0 .LBB337_224
; %bb.227:                              ;   in Loop: Header=BB337_226 Depth=1
                                        ; implicit-def: $sgpr36_sgpr37
	s_mov_b64 s[28:29], s[26:27]
	s_branch .LBB337_225
.LBB337_228:
	s_or_b64 exec, exec, s[14:15]
	v_cmp_gt_i64_e32 vcc, s[26:27], v[18:19]
	s_orn2_b64 s[14:15], vcc, exec
.LBB337_229:
	s_or_b64 exec, exec, s[2:3]
.LBB337_230:
	s_and_b64 s[14:15], s[14:15], exec
.LBB337_231:
	s_or_b64 exec, exec, s[12:13]
	v_perm_b32 v15, v12, v12, s33
	s_and_b64 s[12:13], s[14:15], exec
	s_or_b64 s[10:11], s[10:11], exec
.LBB337_232:
	s_or_b64 exec, exec, s[0:1]
.LBB337_233:
	s_and_saveexec_b64 s[0:1], s[10:11]
	s_cbranch_execz .LBB337_235
; %bb.234:
	v_lshrrev_b32_e32 v14, 24, v15
	s_waitcnt lgkmcnt(0)
	s_movk_i32 s2, 0xff
	v_lshlrev_b16_e32 v14, 8, v14
	v_and_b32_sdwa v16, v15, s2 dst_sel:DWORD dst_unused:UNUSED_PAD src0_sel:WORD_1 src1_sel:DWORD
	v_or_b32_sdwa v14, v16, v14 dst_sel:WORD_1 dst_unused:UNUSED_PAD src0_sel:DWORD src1_sel:DWORD
	v_mov_b32_e32 v16, 8
	v_cndmask_b32_e64 v12, 0, 1, s[12:13]
	v_lshrrev_b32_sdwa v15, v16, v15 dst_sel:BYTE_1 dst_unused:UNUSED_PAD src0_sel:DWORD src1_sel:DWORD
	v_or_b32_e32 v12, v12, v15
	s_mov_b32 s2, 0xffff
	v_or_b32_sdwa v12, v12, v14 dst_sel:DWORD dst_unused:UNUSED_PAD src0_sel:WORD_0 src1_sel:DWORD
	v_and_b32_sdwa v13, s2, v13 dst_sel:DWORD dst_unused:UNUSED_PAD src0_sel:DWORD src1_sel:BYTE_0
.LBB337_235:
	s_or_b64 exec, exec, s[0:1]
	s_andn2_b64 vcc, exec, s[8:9]
	s_cbranch_vccnz .LBB337_237
; %bb.236:
	v_cmp_gt_u32_e32 vcc, s7, v1
	v_cndmask_b32_e32 v1, 0, v12, vcc
	v_and_b32_e32 v1, 0xffff00ff, v1
	v_cmp_gt_u32_e64 s[0:1], s7, v22
	v_cndmask_b32_e64 v1, v1, v12, s[0:1]
	v_lshrrev_b32_e32 v14, 24, v1
	s_waitcnt lgkmcnt(0)
	s_mov_b32 s2, 0x40c0100
	v_perm_b32 v1, v14, v1, s2
	v_cmp_gt_u32_e64 s[2:3], s7, v20
	v_cmp_gt_u32_e64 s[8:9], s7, v23
	v_cndmask_b32_e64 v1, v1, v12, s[2:3]
	s_or_b64 s[2:3], s[8:9], s[2:3]
	s_or_b64 s[0:1], s[2:3], s[0:1]
	s_or_b64 vcc, s[0:1], vcc
	v_and_b32_e32 v1, 0xffffff, v1
	v_cndmask_b32_e32 v14, 0, v13, vcc
	v_cndmask_b32_e64 v1, v1, v12, s[8:9]
	v_and_b32_e32 v14, 0xffffff00, v14
	v_cmp_gt_u32_e32 vcc, s7, v21
	v_cndmask_b32_e32 v1, v1, v12, vcc
	v_cndmask_b32_e32 v12, v14, v13, vcc
	s_mov_b32 s0, 0x3020104
	v_and_b32_e32 v13, 0xff, v12
	v_perm_b32 v12, v1, v1, s0
.LBB337_237:
	v_and_b32_e32 v1, 0xff, v12
	v_bfe_u32 v25, v12, 8, 8
	v_bfe_u32 v27, v12, 16, 8
	v_alignbit_b32 v14, v13, v12, 24
	v_and_b32_e32 v28, 0xff, v14
	v_and_b32_e32 v14, 0xff, v13
	v_add3_u32 v15, v25, v1, v27
	v_add3_u32 v31, v15, v28, v14
	v_mbcnt_lo_u32_b32 v14, -1, 0
	v_mbcnt_hi_u32_b32 v29, -1, v14
	v_and_b32_e32 v14, 15, v29
	v_cmp_eq_u32_e64 s[14:15], 0, v14
	v_cmp_lt_u32_e64 s[12:13], 1, v14
	v_cmp_lt_u32_e64 s[10:11], 3, v14
	;; [unrolled: 1-line block ×3, first 2 shown]
	v_and_b32_e32 v14, 16, v29
	v_cmp_eq_u32_e64 s[18:19], 0, v14
	v_or_b32_e32 v14, 63, v0
	v_cmp_lt_u32_e64 s[0:1], 31, v29
	v_lshrrev_b32_e32 v30, 6, v0
	s_waitcnt lgkmcnt(0)
	v_cmp_eq_u32_e64 s[2:3], v14, v0
	s_and_b64 vcc, exec, s[16:17]
	s_barrier
	s_cbranch_vccz .LBB337_268
; %bb.238:
	v_mov_b32_dpp v14, v31 row_shr:1 row_mask:0xf bank_mask:0xf
	v_cndmask_b32_e64 v14, v14, 0, s[14:15]
	v_add_u32_e32 v14, v14, v31
	s_nop 1
	v_mov_b32_dpp v15, v14 row_shr:2 row_mask:0xf bank_mask:0xf
	v_cndmask_b32_e64 v15, 0, v15, s[12:13]
	v_add_u32_e32 v14, v14, v15
	s_nop 1
	;; [unrolled: 4-line block ×4, first 2 shown]
	v_mov_b32_dpp v15, v14 row_bcast:15 row_mask:0xf bank_mask:0xf
	v_cndmask_b32_e64 v15, v15, 0, s[18:19]
	v_add_u32_e32 v14, v14, v15
	s_nop 1
	v_mov_b32_dpp v15, v14 row_bcast:31 row_mask:0xf bank_mask:0xf
	v_cndmask_b32_e64 v15, 0, v15, s[0:1]
	v_add_u32_e32 v14, v14, v15
	s_and_saveexec_b64 s[16:17], s[2:3]
	s_cbranch_execz .LBB337_240
; %bb.239:
	v_lshlrev_b32_e32 v15, 2, v30
	ds_write_b32 v15, v14
.LBB337_240:
	s_or_b64 exec, exec, s[16:17]
	v_cmp_gt_u32_e32 vcc, 4, v0
	s_waitcnt lgkmcnt(0)
	s_barrier
	s_and_saveexec_b64 s[16:17], vcc
	s_cbranch_execz .LBB337_242
; %bb.241:
	v_lshlrev_b32_e32 v15, 2, v0
	ds_read_b32 v16, v15
	v_and_b32_e32 v17, 3, v29
	v_cmp_ne_u32_e32 vcc, 0, v17
	s_waitcnt lgkmcnt(0)
	v_mov_b32_dpp v18, v16 row_shr:1 row_mask:0xf bank_mask:0xf
	v_cndmask_b32_e32 v18, 0, v18, vcc
	v_add_u32_e32 v16, v18, v16
	v_cmp_lt_u32_e32 vcc, 1, v17
	s_nop 0
	v_mov_b32_dpp v18, v16 row_shr:2 row_mask:0xf bank_mask:0xf
	v_cndmask_b32_e32 v17, 0, v18, vcc
	v_add_u32_e32 v16, v16, v17
	ds_write_b32 v15, v16
.LBB337_242:
	s_or_b64 exec, exec, s[16:17]
	v_cmp_gt_u32_e32 vcc, 64, v0
	v_cmp_lt_u32_e64 s[16:17], 63, v0
	s_waitcnt lgkmcnt(0)
	s_barrier
	s_waitcnt lgkmcnt(0)
                                        ; implicit-def: $vgpr24
	s_and_saveexec_b64 s[26:27], s[16:17]
	s_cbranch_execz .LBB337_244
; %bb.243:
	v_lshl_add_u32 v15, v30, 2, -4
	ds_read_b32 v24, v15
	s_waitcnt lgkmcnt(0)
	v_add_u32_e32 v14, v24, v14
.LBB337_244:
	s_or_b64 exec, exec, s[26:27]
	v_add_u32_e32 v15, -1, v29
	v_and_b32_e32 v16, 64, v29
	v_cmp_lt_i32_e64 s[16:17], v15, v16
	v_cndmask_b32_e64 v15, v15, v29, s[16:17]
	v_lshlrev_b32_e32 v15, 2, v15
	ds_bpermute_b32 v26, v15, v14
	v_cmp_eq_u32_e64 s[16:17], 0, v29
	s_and_saveexec_b64 s[26:27], vcc
	s_cbranch_execz .LBB337_267
; %bb.245:
	v_mov_b32_e32 v23, 0
	ds_read_b32 v14, v23 offset:12
	s_and_saveexec_b64 s[28:29], s[16:17]
	s_cbranch_execz .LBB337_247
; %bb.246:
	s_add_i32 s36, s6, 64
	s_mov_b32 s37, 0
	s_lshl_b64 s[36:37], s[36:37], 3
	s_add_u32 s36, s30, s36
	v_mov_b32_e32 v15, 1
	s_addc_u32 s37, s31, s37
	s_waitcnt lgkmcnt(0)
	global_store_dwordx2 v23, v[14:15], s[36:37]
.LBB337_247:
	s_or_b64 exec, exec, s[28:29]
	v_xad_u32 v16, v29, -1, s6
	v_add_u32_e32 v22, 64, v16
	v_lshlrev_b64 v[18:19], 3, v[22:23]
	v_mov_b32_e32 v15, s31
	v_add_co_u32_e32 v18, vcc, s30, v18
	v_addc_co_u32_e32 v19, vcc, v15, v19, vcc
	global_load_dwordx2 v[20:21], v[18:19], off glc
	s_waitcnt vmcnt(0)
	v_cmp_eq_u16_sdwa s[36:37], v21, v23 src0_sel:BYTE_0 src1_sel:DWORD
	s_and_saveexec_b64 s[28:29], s[36:37]
	s_cbranch_execz .LBB337_253
; %bb.248:
	s_mov_b32 s7, 1
	s_mov_b64 s[36:37], 0
	v_mov_b32_e32 v15, 0
.LBB337_249:                            ; =>This Loop Header: Depth=1
                                        ;     Child Loop BB337_250 Depth 2
	s_max_u32 s33, s7, 1
.LBB337_250:                            ;   Parent Loop BB337_249 Depth=1
                                        ; =>  This Inner Loop Header: Depth=2
	s_add_i32 s33, s33, -1
	s_cmp_eq_u32 s33, 0
	s_sleep 1
	s_cbranch_scc0 .LBB337_250
; %bb.251:                              ;   in Loop: Header=BB337_249 Depth=1
	global_load_dwordx2 v[20:21], v[18:19], off glc
	s_cmp_lt_u32 s7, 32
	s_cselect_b64 s[38:39], -1, 0
	s_cmp_lg_u64 s[38:39], 0
	s_addc_u32 s7, s7, 0
	s_waitcnt vmcnt(0)
	v_cmp_ne_u16_sdwa s[38:39], v21, v15 src0_sel:BYTE_0 src1_sel:DWORD
	s_or_b64 s[36:37], s[38:39], s[36:37]
	s_andn2_b64 exec, exec, s[36:37]
	s_cbranch_execnz .LBB337_249
; %bb.252:
	s_or_b64 exec, exec, s[36:37]
.LBB337_253:
	s_or_b64 exec, exec, s[28:29]
	v_and_b32_e32 v32, 63, v29
	v_mov_b32_e32 v15, 2
	v_cmp_ne_u32_e32 vcc, 63, v32
	v_cmp_eq_u16_sdwa s[28:29], v21, v15 src0_sel:BYTE_0 src1_sel:DWORD
	v_lshlrev_b64 v[18:19], v29, -1
	v_addc_co_u32_e32 v23, vcc, 0, v29, vcc
	v_and_b32_e32 v17, s29, v19
	v_lshlrev_b32_e32 v33, 2, v23
	v_or_b32_e32 v17, 0x80000000, v17
	ds_bpermute_b32 v23, v33, v20
	v_and_b32_e32 v22, s28, v18
	v_ffbl_b32_e32 v17, v17
	v_add_u32_e32 v17, 32, v17
	v_ffbl_b32_e32 v22, v22
	v_min_u32_e32 v17, v22, v17
	v_cmp_lt_u32_e32 vcc, v32, v17
	s_waitcnt lgkmcnt(0)
	v_cndmask_b32_e32 v22, 0, v23, vcc
	v_cmp_gt_u32_e32 vcc, 62, v32
	v_add_u32_e32 v20, v22, v20
	v_cndmask_b32_e64 v22, 0, 1, vcc
	v_lshlrev_b32_e32 v22, 1, v22
	v_add_lshl_u32 v34, v22, v29, 2
	ds_bpermute_b32 v22, v34, v20
	v_add_u32_e32 v35, 2, v32
	v_cmp_le_u32_e32 vcc, v35, v17
	v_add_u32_e32 v37, 4, v32
	v_add_u32_e32 v39, 8, v32
	s_waitcnt lgkmcnt(0)
	v_cndmask_b32_e32 v22, 0, v22, vcc
	v_cmp_gt_u32_e32 vcc, 60, v32
	v_add_u32_e32 v20, v20, v22
	v_cndmask_b32_e64 v22, 0, 1, vcc
	v_lshlrev_b32_e32 v22, 2, v22
	v_add_lshl_u32 v36, v22, v29, 2
	ds_bpermute_b32 v22, v36, v20
	v_cmp_le_u32_e32 vcc, v37, v17
	v_add_u32_e32 v42, 16, v32
	v_add_u32_e32 v44, 32, v32
	s_waitcnt lgkmcnt(0)
	v_cndmask_b32_e32 v22, 0, v22, vcc
	v_cmp_gt_u32_e32 vcc, 56, v32
	v_add_u32_e32 v20, v20, v22
	v_cndmask_b32_e64 v22, 0, 1, vcc
	v_lshlrev_b32_e32 v22, 3, v22
	v_add_lshl_u32 v38, v22, v29, 2
	ds_bpermute_b32 v22, v38, v20
	v_cmp_le_u32_e32 vcc, v39, v17
	s_waitcnt lgkmcnt(0)
	v_cndmask_b32_e32 v22, 0, v22, vcc
	v_cmp_gt_u32_e32 vcc, 48, v32
	v_add_u32_e32 v20, v20, v22
	v_cndmask_b32_e64 v22, 0, 1, vcc
	v_lshlrev_b32_e32 v22, 4, v22
	v_add_lshl_u32 v41, v22, v29, 2
	ds_bpermute_b32 v22, v41, v20
	v_cmp_le_u32_e32 vcc, v42, v17
	;; [unrolled: 9-line block ×3, first 2 shown]
	s_waitcnt lgkmcnt(0)
	v_cndmask_b32_e32 v17, 0, v22, vcc
	v_add_u32_e32 v20, v20, v17
	v_mov_b32_e32 v17, 0
	s_branch .LBB337_255
.LBB337_254:                            ;   in Loop: Header=BB337_255 Depth=1
	s_or_b64 exec, exec, s[28:29]
	v_cmp_eq_u16_sdwa s[28:29], v21, v15 src0_sel:BYTE_0 src1_sel:DWORD
	v_and_b32_e32 v22, s29, v19
	v_or_b32_e32 v22, 0x80000000, v22
	ds_bpermute_b32 v45, v33, v20
	v_and_b32_e32 v23, s28, v18
	v_ffbl_b32_e32 v22, v22
	v_add_u32_e32 v22, 32, v22
	v_ffbl_b32_e32 v23, v23
	v_min_u32_e32 v22, v23, v22
	v_cmp_lt_u32_e32 vcc, v32, v22
	s_waitcnt lgkmcnt(0)
	v_cndmask_b32_e32 v23, 0, v45, vcc
	v_add_u32_e32 v20, v23, v20
	ds_bpermute_b32 v23, v34, v20
	v_cmp_le_u32_e32 vcc, v35, v22
	v_subrev_u32_e32 v16, 64, v16
	s_waitcnt lgkmcnt(0)
	v_cndmask_b32_e32 v23, 0, v23, vcc
	v_add_u32_e32 v20, v20, v23
	ds_bpermute_b32 v23, v36, v20
	v_cmp_le_u32_e32 vcc, v37, v22
	s_waitcnt lgkmcnt(0)
	v_cndmask_b32_e32 v23, 0, v23, vcc
	v_add_u32_e32 v20, v20, v23
	ds_bpermute_b32 v23, v38, v20
	v_cmp_le_u32_e32 vcc, v39, v22
	;; [unrolled: 5-line block ×4, first 2 shown]
	s_waitcnt lgkmcnt(0)
	v_cndmask_b32_e32 v22, 0, v23, vcc
	v_add3_u32 v20, v22, v40, v20
.LBB337_255:                            ; =>This Loop Header: Depth=1
                                        ;     Child Loop BB337_258 Depth 2
                                        ;       Child Loop BB337_259 Depth 3
	v_cmp_ne_u16_sdwa s[28:29], v21, v15 src0_sel:BYTE_0 src1_sel:DWORD
	v_cndmask_b32_e64 v21, 0, 1, s[28:29]
	;;#ASMSTART
	;;#ASMEND
	v_cmp_ne_u32_e32 vcc, 0, v21
	s_cmp_lg_u64 vcc, exec
	v_mov_b32_e32 v40, v20
	s_cbranch_scc1 .LBB337_262
; %bb.256:                              ;   in Loop: Header=BB337_255 Depth=1
	v_lshlrev_b64 v[20:21], 3, v[16:17]
	v_mov_b32_e32 v23, s31
	v_add_co_u32_e32 v22, vcc, s30, v20
	v_addc_co_u32_e32 v23, vcc, v23, v21, vcc
	global_load_dwordx2 v[20:21], v[22:23], off glc
	s_waitcnt vmcnt(0)
	v_cmp_eq_u16_sdwa s[36:37], v21, v17 src0_sel:BYTE_0 src1_sel:DWORD
	s_and_saveexec_b64 s[28:29], s[36:37]
	s_cbranch_execz .LBB337_254
; %bb.257:                              ;   in Loop: Header=BB337_255 Depth=1
	s_mov_b32 s7, 1
	s_mov_b64 s[36:37], 0
.LBB337_258:                            ;   Parent Loop BB337_255 Depth=1
                                        ; =>  This Loop Header: Depth=2
                                        ;       Child Loop BB337_259 Depth 3
	s_max_u32 s33, s7, 1
.LBB337_259:                            ;   Parent Loop BB337_255 Depth=1
                                        ;     Parent Loop BB337_258 Depth=2
                                        ; =>    This Inner Loop Header: Depth=3
	s_add_i32 s33, s33, -1
	s_cmp_eq_u32 s33, 0
	s_sleep 1
	s_cbranch_scc0 .LBB337_259
; %bb.260:                              ;   in Loop: Header=BB337_258 Depth=2
	global_load_dwordx2 v[20:21], v[22:23], off glc
	s_cmp_lt_u32 s7, 32
	s_cselect_b64 s[38:39], -1, 0
	s_cmp_lg_u64 s[38:39], 0
	s_addc_u32 s7, s7, 0
	s_waitcnt vmcnt(0)
	v_cmp_ne_u16_sdwa s[38:39], v21, v17 src0_sel:BYTE_0 src1_sel:DWORD
	s_or_b64 s[36:37], s[38:39], s[36:37]
	s_andn2_b64 exec, exec, s[36:37]
	s_cbranch_execnz .LBB337_258
; %bb.261:                              ;   in Loop: Header=BB337_255 Depth=1
	s_or_b64 exec, exec, s[36:37]
	s_branch .LBB337_254
.LBB337_262:                            ;   in Loop: Header=BB337_255 Depth=1
                                        ; implicit-def: $vgpr20
                                        ; implicit-def: $vgpr21
	s_cbranch_execz .LBB337_255
; %bb.263:
	s_and_saveexec_b64 s[28:29], s[16:17]
	s_cbranch_execz .LBB337_265
; %bb.264:
	s_add_i32 s6, s6, 64
	s_mov_b32 s7, 0
	s_lshl_b64 s[6:7], s[6:7], 3
	s_add_u32 s6, s30, s6
	v_add_u32_e32 v16, v40, v14
	v_mov_b32_e32 v17, 2
	s_addc_u32 s7, s31, s7
	v_mov_b32_e32 v15, 0
	global_store_dwordx2 v15, v[16:17], s[6:7]
	s_movk_i32 s6, 0x2800
	v_add_u32_e64 v15, s6, 0
	ds_write2_b32 v15, v14, v40 offset1:2
.LBB337_265:
	s_or_b64 exec, exec, s[28:29]
	v_cmp_eq_u32_e32 vcc, 0, v0
	s_and_b64 exec, exec, vcc
	s_cbranch_execz .LBB337_267
; %bb.266:
	v_mov_b32_e32 v14, 0
	ds_write_b32 v14, v40 offset:12
.LBB337_267:
	s_or_b64 exec, exec, s[26:27]
	v_mov_b32_e32 v14, 0
	s_waitcnt lgkmcnt(0)
	s_barrier
	ds_read_b32 v14, v14 offset:12
	v_cndmask_b32_e64 v15, v26, v24, s[16:17]
	v_cmp_ne_u32_e32 vcc, 0, v0
	v_cndmask_b32_e32 v15, 0, v15, vcc
	s_movk_i32 s6, 0x2800
	s_waitcnt lgkmcnt(0)
	v_add_u32_e32 v26, v14, v15
	v_add_u32_e64 v14, s6, 0
	s_barrier
	ds_read2_b32 v[14:15], v14 offset1:2
	v_add_u32_e32 v24, v26, v1
	v_add_u32_e32 v22, v24, v25
	v_add_u32_e32 v20, v22, v27
	v_add_u32_e32 v18, v20, v28
	s_load_dwordx2 s[4:5], s[4:5], 0x28
	v_lshrrev_b64 v[16:17], 24, v[12:13]
	s_branch .LBB337_278
.LBB337_268:
                                        ; implicit-def: $vgpr18
                                        ; implicit-def: $vgpr20
                                        ; implicit-def: $vgpr22
                                        ; implicit-def: $vgpr24
                                        ; implicit-def: $vgpr26
                                        ; implicit-def: $vgpr15
	s_load_dwordx2 s[4:5], s[4:5], 0x28
	v_lshrrev_b64 v[16:17], 24, v[12:13]
	s_cbranch_execz .LBB337_278
; %bb.269:
	s_waitcnt lgkmcnt(0)
	v_mov_b32_dpp v14, v31 row_shr:1 row_mask:0xf bank_mask:0xf
	v_cndmask_b32_e64 v14, v14, 0, s[14:15]
	v_add_u32_e32 v14, v14, v31
	s_nop 1
	v_mov_b32_dpp v15, v14 row_shr:2 row_mask:0xf bank_mask:0xf
	v_cndmask_b32_e64 v15, 0, v15, s[12:13]
	v_add_u32_e32 v14, v14, v15
	s_nop 1
	;; [unrolled: 4-line block ×4, first 2 shown]
	v_mov_b32_dpp v15, v14 row_bcast:15 row_mask:0xf bank_mask:0xf
	v_cndmask_b32_e64 v15, v15, 0, s[18:19]
	v_add_u32_e32 v14, v14, v15
	s_nop 1
	v_mov_b32_dpp v15, v14 row_bcast:31 row_mask:0xf bank_mask:0xf
	v_cndmask_b32_e64 v15, 0, v15, s[0:1]
	v_add_u32_e32 v14, v14, v15
	s_and_saveexec_b64 s[0:1], s[2:3]
	s_cbranch_execz .LBB337_271
; %bb.270:
	v_lshlrev_b32_e32 v15, 2, v30
	ds_write_b32 v15, v14
.LBB337_271:
	s_or_b64 exec, exec, s[0:1]
	v_cmp_gt_u32_e32 vcc, 4, v0
	s_waitcnt lgkmcnt(0)
	s_barrier
	s_and_saveexec_b64 s[0:1], vcc
	s_cbranch_execz .LBB337_273
; %bb.272:
	v_lshlrev_b32_e32 v15, 2, v0
	ds_read_b32 v17, v15
	v_and_b32_e32 v18, 3, v29
	v_cmp_ne_u32_e32 vcc, 0, v18
	s_waitcnt lgkmcnt(0)
	v_mov_b32_dpp v19, v17 row_shr:1 row_mask:0xf bank_mask:0xf
	v_cndmask_b32_e32 v19, 0, v19, vcc
	v_add_u32_e32 v17, v19, v17
	v_cmp_lt_u32_e32 vcc, 1, v18
	s_nop 0
	v_mov_b32_dpp v19, v17 row_shr:2 row_mask:0xf bank_mask:0xf
	v_cndmask_b32_e32 v18, 0, v19, vcc
	v_add_u32_e32 v17, v17, v18
	ds_write_b32 v15, v17
.LBB337_273:
	s_or_b64 exec, exec, s[0:1]
	v_cmp_lt_u32_e32 vcc, 63, v0
	v_mov_b32_e32 v15, 0
	v_mov_b32_e32 v17, 0
	s_waitcnt lgkmcnt(0)
	s_barrier
	s_and_saveexec_b64 s[0:1], vcc
	s_cbranch_execz .LBB337_275
; %bb.274:
	v_lshl_add_u32 v17, v30, 2, -4
	ds_read_b32 v17, v17
.LBB337_275:
	s_or_b64 exec, exec, s[0:1]
	v_add_u32_e32 v18, -1, v29
	v_and_b32_e32 v19, 64, v29
	v_cmp_lt_i32_e32 vcc, v18, v19
	v_cndmask_b32_e32 v18, v18, v29, vcc
	s_waitcnt lgkmcnt(0)
	v_add_u32_e32 v14, v17, v14
	v_lshlrev_b32_e32 v18, 2, v18
	ds_bpermute_b32 v18, v18, v14
	ds_read_b32 v14, v15 offset:12
	v_cmp_eq_u32_e32 vcc, 0, v0
	s_and_saveexec_b64 s[0:1], vcc
	s_cbranch_execz .LBB337_277
; %bb.276:
	v_mov_b32_e32 v19, 0
	v_mov_b32_e32 v15, 2
	s_waitcnt lgkmcnt(0)
	global_store_dwordx2 v19, v[14:15], s[30:31] offset:512
.LBB337_277:
	s_or_b64 exec, exec, s[0:1]
	v_cmp_eq_u32_e64 s[0:1], 0, v29
	s_waitcnt lgkmcnt(1)
	v_cndmask_b32_e64 v17, v18, v17, s[0:1]
	v_cndmask_b32_e64 v26, v17, 0, vcc
	v_add_u32_e32 v24, v26, v1
	v_add_u32_e32 v22, v24, v25
	;; [unrolled: 1-line block ×3, first 2 shown]
	v_mov_b32_e32 v15, 0
	v_add_u32_e32 v18, v20, v28
	s_waitcnt lgkmcnt(0)
	s_barrier
.LBB337_278:
	s_movk_i32 s0, 0x101
	s_waitcnt lgkmcnt(0)
	v_cmp_gt_u32_e32 vcc, s0, v14
	v_lshrrev_b32_e32 v1, 8, v12
	s_mov_b64 s[0:1], -1
	s_cbranch_vccnz .LBB337_282
; %bb.279:
	s_and_b64 vcc, exec, s[0:1]
	s_cbranch_vccnz .LBB337_298
.LBB337_280:
	v_cmp_eq_u32_e32 vcc, 0, v0
	s_and_b64 s[0:1], vcc, s[24:25]
	s_and_saveexec_b64 s[2:3], s[0:1]
	s_cbranch_execnz .LBB337_312
.LBB337_281:
	s_endpgm
.LBB337_282:
	v_add_u32_e32 v17, v15, v14
	v_cmp_lt_u32_e32 vcc, v26, v17
	s_or_b64 s[2:3], s[34:35], vcc
	s_and_saveexec_b64 s[0:1], s[2:3]
	s_cbranch_execz .LBB337_285
; %bb.283:
	v_and_b32_e32 v19, 1, v12
	v_cmp_eq_u32_e32 vcc, 1, v19
	s_and_b64 exec, exec, vcc
	s_cbranch_execz .LBB337_285
; %bb.284:
	s_lshl_b64 s[2:3], s[22:23], 3
	s_add_u32 s2, s4, s2
	v_mov_b32_e32 v27, 0
	s_addc_u32 s3, s5, s3
	v_lshlrev_b64 v[28:29], 3, v[26:27]
	v_mov_b32_e32 v19, s3
	v_add_co_u32_e32 v28, vcc, s2, v28
	v_addc_co_u32_e32 v29, vcc, v19, v29, vcc
	global_store_dwordx2 v[28:29], v[6:7], off
.LBB337_285:
	s_or_b64 exec, exec, s[0:1]
	v_cmp_lt_u32_e32 vcc, v24, v17
	s_or_b64 s[2:3], s[34:35], vcc
	s_and_saveexec_b64 s[0:1], s[2:3]
	s_cbranch_execz .LBB337_288
; %bb.286:
	v_and_b32_e32 v19, 1, v1
	v_cmp_eq_u32_e32 vcc, 1, v19
	s_and_b64 exec, exec, vcc
	s_cbranch_execz .LBB337_288
; %bb.287:
	s_lshl_b64 s[2:3], s[22:23], 3
	s_add_u32 s2, s4, s2
	v_mov_b32_e32 v25, 0
	s_addc_u32 s3, s5, s3
	v_lshlrev_b64 v[28:29], 3, v[24:25]
	v_mov_b32_e32 v19, s3
	v_add_co_u32_e32 v28, vcc, s2, v28
	v_addc_co_u32_e32 v29, vcc, v19, v29, vcc
	global_store_dwordx2 v[28:29], v[8:9], off
.LBB337_288:
	s_or_b64 exec, exec, s[0:1]
	v_cmp_lt_u32_e32 vcc, v22, v17
	s_or_b64 s[2:3], s[34:35], vcc
	s_and_saveexec_b64 s[0:1], s[2:3]
	s_cbranch_execz .LBB337_291
; %bb.289:
	v_mov_b32_e32 v19, 1
	v_and_b32_sdwa v19, v19, v12 dst_sel:DWORD dst_unused:UNUSED_PAD src0_sel:DWORD src1_sel:WORD_1
	v_cmp_eq_u32_e32 vcc, 1, v19
	s_and_b64 exec, exec, vcc
	s_cbranch_execz .LBB337_291
; %bb.290:
	s_lshl_b64 s[2:3], s[22:23], 3
	s_add_u32 s2, s4, s2
	v_mov_b32_e32 v23, 0
	s_addc_u32 s3, s5, s3
	v_lshlrev_b64 v[28:29], 3, v[22:23]
	v_mov_b32_e32 v19, s3
	v_add_co_u32_e32 v28, vcc, s2, v28
	v_addc_co_u32_e32 v29, vcc, v19, v29, vcc
	global_store_dwordx2 v[28:29], v[2:3], off
.LBB337_291:
	s_or_b64 exec, exec, s[0:1]
	v_cmp_lt_u32_e32 vcc, v20, v17
	s_or_b64 s[2:3], s[34:35], vcc
	s_and_saveexec_b64 s[0:1], s[2:3]
	s_cbranch_execz .LBB337_294
; %bb.292:
	v_and_b32_e32 v19, 1, v16
	v_cmp_eq_u32_e32 vcc, 1, v19
	s_and_b64 exec, exec, vcc
	s_cbranch_execz .LBB337_294
; %bb.293:
	s_lshl_b64 s[2:3], s[22:23], 3
	s_add_u32 s2, s4, s2
	v_mov_b32_e32 v21, 0
	s_addc_u32 s3, s5, s3
	v_lshlrev_b64 v[28:29], 3, v[20:21]
	v_mov_b32_e32 v19, s3
	v_add_co_u32_e32 v28, vcc, s2, v28
	v_addc_co_u32_e32 v29, vcc, v19, v29, vcc
	global_store_dwordx2 v[28:29], v[4:5], off
.LBB337_294:
	s_or_b64 exec, exec, s[0:1]
	v_cmp_lt_u32_e32 vcc, v18, v17
	s_or_b64 s[2:3], s[34:35], vcc
	s_and_saveexec_b64 s[0:1], s[2:3]
	s_cbranch_execz .LBB337_297
; %bb.295:
	v_and_b32_e32 v17, 1, v13
	v_cmp_eq_u32_e32 vcc, 1, v17
	s_and_b64 exec, exec, vcc
	s_cbranch_execz .LBB337_297
; %bb.296:
	s_lshl_b64 s[2:3], s[22:23], 3
	s_add_u32 s2, s4, s2
	v_mov_b32_e32 v19, 0
	s_addc_u32 s3, s5, s3
	v_lshlrev_b64 v[28:29], 3, v[18:19]
	v_mov_b32_e32 v17, s3
	v_add_co_u32_e32 v28, vcc, s2, v28
	v_addc_co_u32_e32 v29, vcc, v17, v29, vcc
	global_store_dwordx2 v[28:29], v[10:11], off
.LBB337_297:
	s_or_b64 exec, exec, s[0:1]
	s_branch .LBB337_280
.LBB337_298:
	v_and_b32_e32 v17, 1, v12
	v_cmp_eq_u32_e32 vcc, 1, v17
	s_and_saveexec_b64 s[0:1], vcc
	s_cbranch_execz .LBB337_300
; %bb.299:
	v_sub_u32_e32 v17, v26, v15
	v_lshlrev_b32_e32 v17, 3, v17
	ds_write_b64 v17, v[6:7]
.LBB337_300:
	s_or_b64 exec, exec, s[0:1]
	v_and_b32_e32 v1, 1, v1
	v_cmp_eq_u32_e32 vcc, 1, v1
	s_and_saveexec_b64 s[0:1], vcc
	s_cbranch_execz .LBB337_302
; %bb.301:
	v_sub_u32_e32 v1, v24, v15
	v_lshlrev_b32_e32 v1, 3, v1
	ds_write_b64 v1, v[8:9]
.LBB337_302:
	s_or_b64 exec, exec, s[0:1]
	v_mov_b32_e32 v1, 1
	v_and_b32_sdwa v1, v1, v12 dst_sel:DWORD dst_unused:UNUSED_PAD src0_sel:DWORD src1_sel:WORD_1
	v_cmp_eq_u32_e32 vcc, 1, v1
	s_and_saveexec_b64 s[0:1], vcc
	s_cbranch_execz .LBB337_304
; %bb.303:
	v_sub_u32_e32 v1, v22, v15
	v_lshlrev_b32_e32 v1, 3, v1
	ds_write_b64 v1, v[2:3]
.LBB337_304:
	s_or_b64 exec, exec, s[0:1]
	v_and_b32_e32 v1, 1, v16
	v_cmp_eq_u32_e32 vcc, 1, v1
	s_and_saveexec_b64 s[0:1], vcc
	s_cbranch_execz .LBB337_306
; %bb.305:
	v_sub_u32_e32 v1, v20, v15
	v_lshlrev_b32_e32 v1, 3, v1
	ds_write_b64 v1, v[4:5]
.LBB337_306:
	s_or_b64 exec, exec, s[0:1]
	v_and_b32_e32 v1, 1, v13
	v_cmp_eq_u32_e32 vcc, 1, v1
	s_and_saveexec_b64 s[0:1], vcc
	s_cbranch_execz .LBB337_308
; %bb.307:
	v_sub_u32_e32 v1, v18, v15
	v_lshlrev_b32_e32 v1, 3, v1
	ds_write_b64 v1, v[10:11]
.LBB337_308:
	s_or_b64 exec, exec, s[0:1]
	v_cmp_lt_u32_e32 vcc, v0, v14
	s_waitcnt lgkmcnt(0)
	s_barrier
	s_and_saveexec_b64 s[0:1], vcc
	s_cbranch_execz .LBB337_311
; %bb.309:
	v_mov_b32_e32 v3, 0
	v_mov_b32_e32 v2, v15
	v_lshlrev_b64 v[4:5], 3, v[2:3]
	v_mov_b32_e32 v1, s5
	v_add_co_u32_e32 v2, vcc, s4, v4
	v_addc_co_u32_e32 v4, vcc, v1, v5, vcc
	s_lshl_b64 s[2:3], s[22:23], 3
	v_mov_b32_e32 v5, s3
	v_add_co_u32_e32 v1, vcc, s2, v2
	v_addc_co_u32_e32 v4, vcc, v4, v5, vcc
	v_lshlrev_b32_e32 v5, 3, v0
	s_mov_b64 s[2:3], 0
	v_mov_b32_e32 v2, v0
.LBB337_310:                            ; =>This Inner Loop Header: Depth=1
	ds_read_b64 v[6:7], v5
	v_lshlrev_b64 v[8:9], 3, v[2:3]
	v_add_co_u32_e32 v8, vcc, v1, v8
	v_add_u32_e32 v2, 0x100, v2
	v_addc_co_u32_e32 v9, vcc, v4, v9, vcc
	v_cmp_ge_u32_e32 vcc, v2, v14
	v_add_u32_e32 v5, 0x800, v5
	s_or_b64 s[2:3], vcc, s[2:3]
	s_waitcnt lgkmcnt(0)
	global_store_dwordx2 v[8:9], v[6:7], off
	s_andn2_b64 exec, exec, s[2:3]
	s_cbranch_execnz .LBB337_310
.LBB337_311:
	s_or_b64 exec, exec, s[0:1]
	v_cmp_eq_u32_e32 vcc, 0, v0
	s_and_b64 s[0:1], vcc, s[24:25]
	s_and_saveexec_b64 s[2:3], s[0:1]
	s_cbranch_execz .LBB337_281
.LBB337_312:
	v_mov_b32_e32 v0, s23
	v_add_co_u32_e32 v1, vcc, s22, v14
	v_addc_co_u32_e32 v3, vcc, 0, v0, vcc
	v_add_co_u32_e32 v0, vcc, v1, v15
	v_mov_b32_e32 v2, 0
	v_addc_co_u32_e32 v1, vcc, 0, v3, vcc
	global_store_dwordx2 v2, v[0:1], s[20:21]
	s_endpgm
	.section	.rodata,"a",@progbits
	.p2align	6, 0x0
	.amdhsa_kernel _ZN7rocprim17ROCPRIM_400000_NS6detail17trampoline_kernelINS0_14default_configENS1_25partition_config_selectorILNS1_17partition_subalgoE8ElNS0_10empty_typeEbEEZZNS1_14partition_implILS5_8ELb0ES3_jPlPS6_PKS6_NS0_5tupleIJS9_S6_EEENSD_IJSA_SA_EEENS0_18inequality_wrapperIZN2at6native12_GLOBAL__N_124unique_dim_cuda_templateIaEESt5tupleIJNSH_6TensorESM_SM_EERKSM_lbbbEUlllE0_EEPmJS6_EEE10hipError_tPvRmT3_T4_T5_T6_T7_T9_mT8_P12ihipStream_tbDpT10_ENKUlT_T0_E_clISt17integral_constantIbLb1EES1B_IbLb0EEEEDaS17_S18_EUlS17_E_NS1_11comp_targetILNS1_3genE4ELNS1_11target_archE910ELNS1_3gpuE8ELNS1_3repE0EEENS1_30default_config_static_selectorELNS0_4arch9wavefront6targetE1EEEvT1_
		.amdhsa_group_segment_fixed_size 10252
		.amdhsa_private_segment_fixed_size 0
		.amdhsa_kernarg_size 120
		.amdhsa_user_sgpr_count 6
		.amdhsa_user_sgpr_private_segment_buffer 1
		.amdhsa_user_sgpr_dispatch_ptr 0
		.amdhsa_user_sgpr_queue_ptr 0
		.amdhsa_user_sgpr_kernarg_segment_ptr 1
		.amdhsa_user_sgpr_dispatch_id 0
		.amdhsa_user_sgpr_flat_scratch_init 0
		.amdhsa_user_sgpr_kernarg_preload_length 0
		.amdhsa_user_sgpr_kernarg_preload_offset 0
		.amdhsa_user_sgpr_private_segment_size 0
		.amdhsa_uses_dynamic_stack 0
		.amdhsa_system_sgpr_private_segment_wavefront_offset 0
		.amdhsa_system_sgpr_workgroup_id_x 1
		.amdhsa_system_sgpr_workgroup_id_y 0
		.amdhsa_system_sgpr_workgroup_id_z 0
		.amdhsa_system_sgpr_workgroup_info 0
		.amdhsa_system_vgpr_workitem_id 0
		.amdhsa_next_free_vgpr 46
		.amdhsa_next_free_sgpr 48
		.amdhsa_accum_offset 48
		.amdhsa_reserve_vcc 1
		.amdhsa_reserve_flat_scratch 0
		.amdhsa_float_round_mode_32 0
		.amdhsa_float_round_mode_16_64 0
		.amdhsa_float_denorm_mode_32 3
		.amdhsa_float_denorm_mode_16_64 3
		.amdhsa_dx10_clamp 1
		.amdhsa_ieee_mode 1
		.amdhsa_fp16_overflow 0
		.amdhsa_tg_split 0
		.amdhsa_exception_fp_ieee_invalid_op 0
		.amdhsa_exception_fp_denorm_src 0
		.amdhsa_exception_fp_ieee_div_zero 0
		.amdhsa_exception_fp_ieee_overflow 0
		.amdhsa_exception_fp_ieee_underflow 0
		.amdhsa_exception_fp_ieee_inexact 0
		.amdhsa_exception_int_div_zero 0
	.end_amdhsa_kernel
	.section	.text._ZN7rocprim17ROCPRIM_400000_NS6detail17trampoline_kernelINS0_14default_configENS1_25partition_config_selectorILNS1_17partition_subalgoE8ElNS0_10empty_typeEbEEZZNS1_14partition_implILS5_8ELb0ES3_jPlPS6_PKS6_NS0_5tupleIJS9_S6_EEENSD_IJSA_SA_EEENS0_18inequality_wrapperIZN2at6native12_GLOBAL__N_124unique_dim_cuda_templateIaEESt5tupleIJNSH_6TensorESM_SM_EERKSM_lbbbEUlllE0_EEPmJS6_EEE10hipError_tPvRmT3_T4_T5_T6_T7_T9_mT8_P12ihipStream_tbDpT10_ENKUlT_T0_E_clISt17integral_constantIbLb1EES1B_IbLb0EEEEDaS17_S18_EUlS17_E_NS1_11comp_targetILNS1_3genE4ELNS1_11target_archE910ELNS1_3gpuE8ELNS1_3repE0EEENS1_30default_config_static_selectorELNS0_4arch9wavefront6targetE1EEEvT1_,"axG",@progbits,_ZN7rocprim17ROCPRIM_400000_NS6detail17trampoline_kernelINS0_14default_configENS1_25partition_config_selectorILNS1_17partition_subalgoE8ElNS0_10empty_typeEbEEZZNS1_14partition_implILS5_8ELb0ES3_jPlPS6_PKS6_NS0_5tupleIJS9_S6_EEENSD_IJSA_SA_EEENS0_18inequality_wrapperIZN2at6native12_GLOBAL__N_124unique_dim_cuda_templateIaEESt5tupleIJNSH_6TensorESM_SM_EERKSM_lbbbEUlllE0_EEPmJS6_EEE10hipError_tPvRmT3_T4_T5_T6_T7_T9_mT8_P12ihipStream_tbDpT10_ENKUlT_T0_E_clISt17integral_constantIbLb1EES1B_IbLb0EEEEDaS17_S18_EUlS17_E_NS1_11comp_targetILNS1_3genE4ELNS1_11target_archE910ELNS1_3gpuE8ELNS1_3repE0EEENS1_30default_config_static_selectorELNS0_4arch9wavefront6targetE1EEEvT1_,comdat
.Lfunc_end337:
	.size	_ZN7rocprim17ROCPRIM_400000_NS6detail17trampoline_kernelINS0_14default_configENS1_25partition_config_selectorILNS1_17partition_subalgoE8ElNS0_10empty_typeEbEEZZNS1_14partition_implILS5_8ELb0ES3_jPlPS6_PKS6_NS0_5tupleIJS9_S6_EEENSD_IJSA_SA_EEENS0_18inequality_wrapperIZN2at6native12_GLOBAL__N_124unique_dim_cuda_templateIaEESt5tupleIJNSH_6TensorESM_SM_EERKSM_lbbbEUlllE0_EEPmJS6_EEE10hipError_tPvRmT3_T4_T5_T6_T7_T9_mT8_P12ihipStream_tbDpT10_ENKUlT_T0_E_clISt17integral_constantIbLb1EES1B_IbLb0EEEEDaS17_S18_EUlS17_E_NS1_11comp_targetILNS1_3genE4ELNS1_11target_archE910ELNS1_3gpuE8ELNS1_3repE0EEENS1_30default_config_static_selectorELNS0_4arch9wavefront6targetE1EEEvT1_, .Lfunc_end337-_ZN7rocprim17ROCPRIM_400000_NS6detail17trampoline_kernelINS0_14default_configENS1_25partition_config_selectorILNS1_17partition_subalgoE8ElNS0_10empty_typeEbEEZZNS1_14partition_implILS5_8ELb0ES3_jPlPS6_PKS6_NS0_5tupleIJS9_S6_EEENSD_IJSA_SA_EEENS0_18inequality_wrapperIZN2at6native12_GLOBAL__N_124unique_dim_cuda_templateIaEESt5tupleIJNSH_6TensorESM_SM_EERKSM_lbbbEUlllE0_EEPmJS6_EEE10hipError_tPvRmT3_T4_T5_T6_T7_T9_mT8_P12ihipStream_tbDpT10_ENKUlT_T0_E_clISt17integral_constantIbLb1EES1B_IbLb0EEEEDaS17_S18_EUlS17_E_NS1_11comp_targetILNS1_3genE4ELNS1_11target_archE910ELNS1_3gpuE8ELNS1_3repE0EEENS1_30default_config_static_selectorELNS0_4arch9wavefront6targetE1EEEvT1_
                                        ; -- End function
	.section	.AMDGPU.csdata,"",@progbits
; Kernel info:
; codeLenInByte = 9812
; NumSgprs: 52
; NumVgprs: 46
; NumAgprs: 0
; TotalNumVgprs: 46
; ScratchSize: 0
; MemoryBound: 0
; FloatMode: 240
; IeeeMode: 1
; LDSByteSize: 10252 bytes/workgroup (compile time only)
; SGPRBlocks: 6
; VGPRBlocks: 5
; NumSGPRsForWavesPerEU: 52
; NumVGPRsForWavesPerEU: 46
; AccumOffset: 48
; Occupancy: 6
; WaveLimiterHint : 1
; COMPUTE_PGM_RSRC2:SCRATCH_EN: 0
; COMPUTE_PGM_RSRC2:USER_SGPR: 6
; COMPUTE_PGM_RSRC2:TRAP_HANDLER: 0
; COMPUTE_PGM_RSRC2:TGID_X_EN: 1
; COMPUTE_PGM_RSRC2:TGID_Y_EN: 0
; COMPUTE_PGM_RSRC2:TGID_Z_EN: 0
; COMPUTE_PGM_RSRC2:TIDIG_COMP_CNT: 0
; COMPUTE_PGM_RSRC3_GFX90A:ACCUM_OFFSET: 11
; COMPUTE_PGM_RSRC3_GFX90A:TG_SPLIT: 0
	.section	.text._ZN7rocprim17ROCPRIM_400000_NS6detail17trampoline_kernelINS0_14default_configENS1_25partition_config_selectorILNS1_17partition_subalgoE8ElNS0_10empty_typeEbEEZZNS1_14partition_implILS5_8ELb0ES3_jPlPS6_PKS6_NS0_5tupleIJS9_S6_EEENSD_IJSA_SA_EEENS0_18inequality_wrapperIZN2at6native12_GLOBAL__N_124unique_dim_cuda_templateIaEESt5tupleIJNSH_6TensorESM_SM_EERKSM_lbbbEUlllE0_EEPmJS6_EEE10hipError_tPvRmT3_T4_T5_T6_T7_T9_mT8_P12ihipStream_tbDpT10_ENKUlT_T0_E_clISt17integral_constantIbLb1EES1B_IbLb0EEEEDaS17_S18_EUlS17_E_NS1_11comp_targetILNS1_3genE3ELNS1_11target_archE908ELNS1_3gpuE7ELNS1_3repE0EEENS1_30default_config_static_selectorELNS0_4arch9wavefront6targetE1EEEvT1_,"axG",@progbits,_ZN7rocprim17ROCPRIM_400000_NS6detail17trampoline_kernelINS0_14default_configENS1_25partition_config_selectorILNS1_17partition_subalgoE8ElNS0_10empty_typeEbEEZZNS1_14partition_implILS5_8ELb0ES3_jPlPS6_PKS6_NS0_5tupleIJS9_S6_EEENSD_IJSA_SA_EEENS0_18inequality_wrapperIZN2at6native12_GLOBAL__N_124unique_dim_cuda_templateIaEESt5tupleIJNSH_6TensorESM_SM_EERKSM_lbbbEUlllE0_EEPmJS6_EEE10hipError_tPvRmT3_T4_T5_T6_T7_T9_mT8_P12ihipStream_tbDpT10_ENKUlT_T0_E_clISt17integral_constantIbLb1EES1B_IbLb0EEEEDaS17_S18_EUlS17_E_NS1_11comp_targetILNS1_3genE3ELNS1_11target_archE908ELNS1_3gpuE7ELNS1_3repE0EEENS1_30default_config_static_selectorELNS0_4arch9wavefront6targetE1EEEvT1_,comdat
	.globl	_ZN7rocprim17ROCPRIM_400000_NS6detail17trampoline_kernelINS0_14default_configENS1_25partition_config_selectorILNS1_17partition_subalgoE8ElNS0_10empty_typeEbEEZZNS1_14partition_implILS5_8ELb0ES3_jPlPS6_PKS6_NS0_5tupleIJS9_S6_EEENSD_IJSA_SA_EEENS0_18inequality_wrapperIZN2at6native12_GLOBAL__N_124unique_dim_cuda_templateIaEESt5tupleIJNSH_6TensorESM_SM_EERKSM_lbbbEUlllE0_EEPmJS6_EEE10hipError_tPvRmT3_T4_T5_T6_T7_T9_mT8_P12ihipStream_tbDpT10_ENKUlT_T0_E_clISt17integral_constantIbLb1EES1B_IbLb0EEEEDaS17_S18_EUlS17_E_NS1_11comp_targetILNS1_3genE3ELNS1_11target_archE908ELNS1_3gpuE7ELNS1_3repE0EEENS1_30default_config_static_selectorELNS0_4arch9wavefront6targetE1EEEvT1_ ; -- Begin function _ZN7rocprim17ROCPRIM_400000_NS6detail17trampoline_kernelINS0_14default_configENS1_25partition_config_selectorILNS1_17partition_subalgoE8ElNS0_10empty_typeEbEEZZNS1_14partition_implILS5_8ELb0ES3_jPlPS6_PKS6_NS0_5tupleIJS9_S6_EEENSD_IJSA_SA_EEENS0_18inequality_wrapperIZN2at6native12_GLOBAL__N_124unique_dim_cuda_templateIaEESt5tupleIJNSH_6TensorESM_SM_EERKSM_lbbbEUlllE0_EEPmJS6_EEE10hipError_tPvRmT3_T4_T5_T6_T7_T9_mT8_P12ihipStream_tbDpT10_ENKUlT_T0_E_clISt17integral_constantIbLb1EES1B_IbLb0EEEEDaS17_S18_EUlS17_E_NS1_11comp_targetILNS1_3genE3ELNS1_11target_archE908ELNS1_3gpuE7ELNS1_3repE0EEENS1_30default_config_static_selectorELNS0_4arch9wavefront6targetE1EEEvT1_
	.p2align	8
	.type	_ZN7rocprim17ROCPRIM_400000_NS6detail17trampoline_kernelINS0_14default_configENS1_25partition_config_selectorILNS1_17partition_subalgoE8ElNS0_10empty_typeEbEEZZNS1_14partition_implILS5_8ELb0ES3_jPlPS6_PKS6_NS0_5tupleIJS9_S6_EEENSD_IJSA_SA_EEENS0_18inequality_wrapperIZN2at6native12_GLOBAL__N_124unique_dim_cuda_templateIaEESt5tupleIJNSH_6TensorESM_SM_EERKSM_lbbbEUlllE0_EEPmJS6_EEE10hipError_tPvRmT3_T4_T5_T6_T7_T9_mT8_P12ihipStream_tbDpT10_ENKUlT_T0_E_clISt17integral_constantIbLb1EES1B_IbLb0EEEEDaS17_S18_EUlS17_E_NS1_11comp_targetILNS1_3genE3ELNS1_11target_archE908ELNS1_3gpuE7ELNS1_3repE0EEENS1_30default_config_static_selectorELNS0_4arch9wavefront6targetE1EEEvT1_,@function
_ZN7rocprim17ROCPRIM_400000_NS6detail17trampoline_kernelINS0_14default_configENS1_25partition_config_selectorILNS1_17partition_subalgoE8ElNS0_10empty_typeEbEEZZNS1_14partition_implILS5_8ELb0ES3_jPlPS6_PKS6_NS0_5tupleIJS9_S6_EEENSD_IJSA_SA_EEENS0_18inequality_wrapperIZN2at6native12_GLOBAL__N_124unique_dim_cuda_templateIaEESt5tupleIJNSH_6TensorESM_SM_EERKSM_lbbbEUlllE0_EEPmJS6_EEE10hipError_tPvRmT3_T4_T5_T6_T7_T9_mT8_P12ihipStream_tbDpT10_ENKUlT_T0_E_clISt17integral_constantIbLb1EES1B_IbLb0EEEEDaS17_S18_EUlS17_E_NS1_11comp_targetILNS1_3genE3ELNS1_11target_archE908ELNS1_3gpuE7ELNS1_3repE0EEENS1_30default_config_static_selectorELNS0_4arch9wavefront6targetE1EEEvT1_: ; @_ZN7rocprim17ROCPRIM_400000_NS6detail17trampoline_kernelINS0_14default_configENS1_25partition_config_selectorILNS1_17partition_subalgoE8ElNS0_10empty_typeEbEEZZNS1_14partition_implILS5_8ELb0ES3_jPlPS6_PKS6_NS0_5tupleIJS9_S6_EEENSD_IJSA_SA_EEENS0_18inequality_wrapperIZN2at6native12_GLOBAL__N_124unique_dim_cuda_templateIaEESt5tupleIJNSH_6TensorESM_SM_EERKSM_lbbbEUlllE0_EEPmJS6_EEE10hipError_tPvRmT3_T4_T5_T6_T7_T9_mT8_P12ihipStream_tbDpT10_ENKUlT_T0_E_clISt17integral_constantIbLb1EES1B_IbLb0EEEEDaS17_S18_EUlS17_E_NS1_11comp_targetILNS1_3genE3ELNS1_11target_archE908ELNS1_3gpuE7ELNS1_3repE0EEENS1_30default_config_static_selectorELNS0_4arch9wavefront6targetE1EEEvT1_
; %bb.0:
	.section	.rodata,"a",@progbits
	.p2align	6, 0x0
	.amdhsa_kernel _ZN7rocprim17ROCPRIM_400000_NS6detail17trampoline_kernelINS0_14default_configENS1_25partition_config_selectorILNS1_17partition_subalgoE8ElNS0_10empty_typeEbEEZZNS1_14partition_implILS5_8ELb0ES3_jPlPS6_PKS6_NS0_5tupleIJS9_S6_EEENSD_IJSA_SA_EEENS0_18inequality_wrapperIZN2at6native12_GLOBAL__N_124unique_dim_cuda_templateIaEESt5tupleIJNSH_6TensorESM_SM_EERKSM_lbbbEUlllE0_EEPmJS6_EEE10hipError_tPvRmT3_T4_T5_T6_T7_T9_mT8_P12ihipStream_tbDpT10_ENKUlT_T0_E_clISt17integral_constantIbLb1EES1B_IbLb0EEEEDaS17_S18_EUlS17_E_NS1_11comp_targetILNS1_3genE3ELNS1_11target_archE908ELNS1_3gpuE7ELNS1_3repE0EEENS1_30default_config_static_selectorELNS0_4arch9wavefront6targetE1EEEvT1_
		.amdhsa_group_segment_fixed_size 0
		.amdhsa_private_segment_fixed_size 0
		.amdhsa_kernarg_size 120
		.amdhsa_user_sgpr_count 6
		.amdhsa_user_sgpr_private_segment_buffer 1
		.amdhsa_user_sgpr_dispatch_ptr 0
		.amdhsa_user_sgpr_queue_ptr 0
		.amdhsa_user_sgpr_kernarg_segment_ptr 1
		.amdhsa_user_sgpr_dispatch_id 0
		.amdhsa_user_sgpr_flat_scratch_init 0
		.amdhsa_user_sgpr_kernarg_preload_length 0
		.amdhsa_user_sgpr_kernarg_preload_offset 0
		.amdhsa_user_sgpr_private_segment_size 0
		.amdhsa_uses_dynamic_stack 0
		.amdhsa_system_sgpr_private_segment_wavefront_offset 0
		.amdhsa_system_sgpr_workgroup_id_x 1
		.amdhsa_system_sgpr_workgroup_id_y 0
		.amdhsa_system_sgpr_workgroup_id_z 0
		.amdhsa_system_sgpr_workgroup_info 0
		.amdhsa_system_vgpr_workitem_id 0
		.amdhsa_next_free_vgpr 1
		.amdhsa_next_free_sgpr 0
		.amdhsa_accum_offset 4
		.amdhsa_reserve_vcc 0
		.amdhsa_reserve_flat_scratch 0
		.amdhsa_float_round_mode_32 0
		.amdhsa_float_round_mode_16_64 0
		.amdhsa_float_denorm_mode_32 3
		.amdhsa_float_denorm_mode_16_64 3
		.amdhsa_dx10_clamp 1
		.amdhsa_ieee_mode 1
		.amdhsa_fp16_overflow 0
		.amdhsa_tg_split 0
		.amdhsa_exception_fp_ieee_invalid_op 0
		.amdhsa_exception_fp_denorm_src 0
		.amdhsa_exception_fp_ieee_div_zero 0
		.amdhsa_exception_fp_ieee_overflow 0
		.amdhsa_exception_fp_ieee_underflow 0
		.amdhsa_exception_fp_ieee_inexact 0
		.amdhsa_exception_int_div_zero 0
	.end_amdhsa_kernel
	.section	.text._ZN7rocprim17ROCPRIM_400000_NS6detail17trampoline_kernelINS0_14default_configENS1_25partition_config_selectorILNS1_17partition_subalgoE8ElNS0_10empty_typeEbEEZZNS1_14partition_implILS5_8ELb0ES3_jPlPS6_PKS6_NS0_5tupleIJS9_S6_EEENSD_IJSA_SA_EEENS0_18inequality_wrapperIZN2at6native12_GLOBAL__N_124unique_dim_cuda_templateIaEESt5tupleIJNSH_6TensorESM_SM_EERKSM_lbbbEUlllE0_EEPmJS6_EEE10hipError_tPvRmT3_T4_T5_T6_T7_T9_mT8_P12ihipStream_tbDpT10_ENKUlT_T0_E_clISt17integral_constantIbLb1EES1B_IbLb0EEEEDaS17_S18_EUlS17_E_NS1_11comp_targetILNS1_3genE3ELNS1_11target_archE908ELNS1_3gpuE7ELNS1_3repE0EEENS1_30default_config_static_selectorELNS0_4arch9wavefront6targetE1EEEvT1_,"axG",@progbits,_ZN7rocprim17ROCPRIM_400000_NS6detail17trampoline_kernelINS0_14default_configENS1_25partition_config_selectorILNS1_17partition_subalgoE8ElNS0_10empty_typeEbEEZZNS1_14partition_implILS5_8ELb0ES3_jPlPS6_PKS6_NS0_5tupleIJS9_S6_EEENSD_IJSA_SA_EEENS0_18inequality_wrapperIZN2at6native12_GLOBAL__N_124unique_dim_cuda_templateIaEESt5tupleIJNSH_6TensorESM_SM_EERKSM_lbbbEUlllE0_EEPmJS6_EEE10hipError_tPvRmT3_T4_T5_T6_T7_T9_mT8_P12ihipStream_tbDpT10_ENKUlT_T0_E_clISt17integral_constantIbLb1EES1B_IbLb0EEEEDaS17_S18_EUlS17_E_NS1_11comp_targetILNS1_3genE3ELNS1_11target_archE908ELNS1_3gpuE7ELNS1_3repE0EEENS1_30default_config_static_selectorELNS0_4arch9wavefront6targetE1EEEvT1_,comdat
.Lfunc_end338:
	.size	_ZN7rocprim17ROCPRIM_400000_NS6detail17trampoline_kernelINS0_14default_configENS1_25partition_config_selectorILNS1_17partition_subalgoE8ElNS0_10empty_typeEbEEZZNS1_14partition_implILS5_8ELb0ES3_jPlPS6_PKS6_NS0_5tupleIJS9_S6_EEENSD_IJSA_SA_EEENS0_18inequality_wrapperIZN2at6native12_GLOBAL__N_124unique_dim_cuda_templateIaEESt5tupleIJNSH_6TensorESM_SM_EERKSM_lbbbEUlllE0_EEPmJS6_EEE10hipError_tPvRmT3_T4_T5_T6_T7_T9_mT8_P12ihipStream_tbDpT10_ENKUlT_T0_E_clISt17integral_constantIbLb1EES1B_IbLb0EEEEDaS17_S18_EUlS17_E_NS1_11comp_targetILNS1_3genE3ELNS1_11target_archE908ELNS1_3gpuE7ELNS1_3repE0EEENS1_30default_config_static_selectorELNS0_4arch9wavefront6targetE1EEEvT1_, .Lfunc_end338-_ZN7rocprim17ROCPRIM_400000_NS6detail17trampoline_kernelINS0_14default_configENS1_25partition_config_selectorILNS1_17partition_subalgoE8ElNS0_10empty_typeEbEEZZNS1_14partition_implILS5_8ELb0ES3_jPlPS6_PKS6_NS0_5tupleIJS9_S6_EEENSD_IJSA_SA_EEENS0_18inequality_wrapperIZN2at6native12_GLOBAL__N_124unique_dim_cuda_templateIaEESt5tupleIJNSH_6TensorESM_SM_EERKSM_lbbbEUlllE0_EEPmJS6_EEE10hipError_tPvRmT3_T4_T5_T6_T7_T9_mT8_P12ihipStream_tbDpT10_ENKUlT_T0_E_clISt17integral_constantIbLb1EES1B_IbLb0EEEEDaS17_S18_EUlS17_E_NS1_11comp_targetILNS1_3genE3ELNS1_11target_archE908ELNS1_3gpuE7ELNS1_3repE0EEENS1_30default_config_static_selectorELNS0_4arch9wavefront6targetE1EEEvT1_
                                        ; -- End function
	.section	.AMDGPU.csdata,"",@progbits
; Kernel info:
; codeLenInByte = 0
; NumSgprs: 4
; NumVgprs: 0
; NumAgprs: 0
; TotalNumVgprs: 0
; ScratchSize: 0
; MemoryBound: 0
; FloatMode: 240
; IeeeMode: 1
; LDSByteSize: 0 bytes/workgroup (compile time only)
; SGPRBlocks: 0
; VGPRBlocks: 0
; NumSGPRsForWavesPerEU: 4
; NumVGPRsForWavesPerEU: 1
; AccumOffset: 4
; Occupancy: 8
; WaveLimiterHint : 0
; COMPUTE_PGM_RSRC2:SCRATCH_EN: 0
; COMPUTE_PGM_RSRC2:USER_SGPR: 6
; COMPUTE_PGM_RSRC2:TRAP_HANDLER: 0
; COMPUTE_PGM_RSRC2:TGID_X_EN: 1
; COMPUTE_PGM_RSRC2:TGID_Y_EN: 0
; COMPUTE_PGM_RSRC2:TGID_Z_EN: 0
; COMPUTE_PGM_RSRC2:TIDIG_COMP_CNT: 0
; COMPUTE_PGM_RSRC3_GFX90A:ACCUM_OFFSET: 0
; COMPUTE_PGM_RSRC3_GFX90A:TG_SPLIT: 0
	.section	.text._ZN7rocprim17ROCPRIM_400000_NS6detail17trampoline_kernelINS0_14default_configENS1_25partition_config_selectorILNS1_17partition_subalgoE8ElNS0_10empty_typeEbEEZZNS1_14partition_implILS5_8ELb0ES3_jPlPS6_PKS6_NS0_5tupleIJS9_S6_EEENSD_IJSA_SA_EEENS0_18inequality_wrapperIZN2at6native12_GLOBAL__N_124unique_dim_cuda_templateIaEESt5tupleIJNSH_6TensorESM_SM_EERKSM_lbbbEUlllE0_EEPmJS6_EEE10hipError_tPvRmT3_T4_T5_T6_T7_T9_mT8_P12ihipStream_tbDpT10_ENKUlT_T0_E_clISt17integral_constantIbLb1EES1B_IbLb0EEEEDaS17_S18_EUlS17_E_NS1_11comp_targetILNS1_3genE2ELNS1_11target_archE906ELNS1_3gpuE6ELNS1_3repE0EEENS1_30default_config_static_selectorELNS0_4arch9wavefront6targetE1EEEvT1_,"axG",@progbits,_ZN7rocprim17ROCPRIM_400000_NS6detail17trampoline_kernelINS0_14default_configENS1_25partition_config_selectorILNS1_17partition_subalgoE8ElNS0_10empty_typeEbEEZZNS1_14partition_implILS5_8ELb0ES3_jPlPS6_PKS6_NS0_5tupleIJS9_S6_EEENSD_IJSA_SA_EEENS0_18inequality_wrapperIZN2at6native12_GLOBAL__N_124unique_dim_cuda_templateIaEESt5tupleIJNSH_6TensorESM_SM_EERKSM_lbbbEUlllE0_EEPmJS6_EEE10hipError_tPvRmT3_T4_T5_T6_T7_T9_mT8_P12ihipStream_tbDpT10_ENKUlT_T0_E_clISt17integral_constantIbLb1EES1B_IbLb0EEEEDaS17_S18_EUlS17_E_NS1_11comp_targetILNS1_3genE2ELNS1_11target_archE906ELNS1_3gpuE6ELNS1_3repE0EEENS1_30default_config_static_selectorELNS0_4arch9wavefront6targetE1EEEvT1_,comdat
	.globl	_ZN7rocprim17ROCPRIM_400000_NS6detail17trampoline_kernelINS0_14default_configENS1_25partition_config_selectorILNS1_17partition_subalgoE8ElNS0_10empty_typeEbEEZZNS1_14partition_implILS5_8ELb0ES3_jPlPS6_PKS6_NS0_5tupleIJS9_S6_EEENSD_IJSA_SA_EEENS0_18inequality_wrapperIZN2at6native12_GLOBAL__N_124unique_dim_cuda_templateIaEESt5tupleIJNSH_6TensorESM_SM_EERKSM_lbbbEUlllE0_EEPmJS6_EEE10hipError_tPvRmT3_T4_T5_T6_T7_T9_mT8_P12ihipStream_tbDpT10_ENKUlT_T0_E_clISt17integral_constantIbLb1EES1B_IbLb0EEEEDaS17_S18_EUlS17_E_NS1_11comp_targetILNS1_3genE2ELNS1_11target_archE906ELNS1_3gpuE6ELNS1_3repE0EEENS1_30default_config_static_selectorELNS0_4arch9wavefront6targetE1EEEvT1_ ; -- Begin function _ZN7rocprim17ROCPRIM_400000_NS6detail17trampoline_kernelINS0_14default_configENS1_25partition_config_selectorILNS1_17partition_subalgoE8ElNS0_10empty_typeEbEEZZNS1_14partition_implILS5_8ELb0ES3_jPlPS6_PKS6_NS0_5tupleIJS9_S6_EEENSD_IJSA_SA_EEENS0_18inequality_wrapperIZN2at6native12_GLOBAL__N_124unique_dim_cuda_templateIaEESt5tupleIJNSH_6TensorESM_SM_EERKSM_lbbbEUlllE0_EEPmJS6_EEE10hipError_tPvRmT3_T4_T5_T6_T7_T9_mT8_P12ihipStream_tbDpT10_ENKUlT_T0_E_clISt17integral_constantIbLb1EES1B_IbLb0EEEEDaS17_S18_EUlS17_E_NS1_11comp_targetILNS1_3genE2ELNS1_11target_archE906ELNS1_3gpuE6ELNS1_3repE0EEENS1_30default_config_static_selectorELNS0_4arch9wavefront6targetE1EEEvT1_
	.p2align	8
	.type	_ZN7rocprim17ROCPRIM_400000_NS6detail17trampoline_kernelINS0_14default_configENS1_25partition_config_selectorILNS1_17partition_subalgoE8ElNS0_10empty_typeEbEEZZNS1_14partition_implILS5_8ELb0ES3_jPlPS6_PKS6_NS0_5tupleIJS9_S6_EEENSD_IJSA_SA_EEENS0_18inequality_wrapperIZN2at6native12_GLOBAL__N_124unique_dim_cuda_templateIaEESt5tupleIJNSH_6TensorESM_SM_EERKSM_lbbbEUlllE0_EEPmJS6_EEE10hipError_tPvRmT3_T4_T5_T6_T7_T9_mT8_P12ihipStream_tbDpT10_ENKUlT_T0_E_clISt17integral_constantIbLb1EES1B_IbLb0EEEEDaS17_S18_EUlS17_E_NS1_11comp_targetILNS1_3genE2ELNS1_11target_archE906ELNS1_3gpuE6ELNS1_3repE0EEENS1_30default_config_static_selectorELNS0_4arch9wavefront6targetE1EEEvT1_,@function
_ZN7rocprim17ROCPRIM_400000_NS6detail17trampoline_kernelINS0_14default_configENS1_25partition_config_selectorILNS1_17partition_subalgoE8ElNS0_10empty_typeEbEEZZNS1_14partition_implILS5_8ELb0ES3_jPlPS6_PKS6_NS0_5tupleIJS9_S6_EEENSD_IJSA_SA_EEENS0_18inequality_wrapperIZN2at6native12_GLOBAL__N_124unique_dim_cuda_templateIaEESt5tupleIJNSH_6TensorESM_SM_EERKSM_lbbbEUlllE0_EEPmJS6_EEE10hipError_tPvRmT3_T4_T5_T6_T7_T9_mT8_P12ihipStream_tbDpT10_ENKUlT_T0_E_clISt17integral_constantIbLb1EES1B_IbLb0EEEEDaS17_S18_EUlS17_E_NS1_11comp_targetILNS1_3genE2ELNS1_11target_archE906ELNS1_3gpuE6ELNS1_3repE0EEENS1_30default_config_static_selectorELNS0_4arch9wavefront6targetE1EEEvT1_: ; @_ZN7rocprim17ROCPRIM_400000_NS6detail17trampoline_kernelINS0_14default_configENS1_25partition_config_selectorILNS1_17partition_subalgoE8ElNS0_10empty_typeEbEEZZNS1_14partition_implILS5_8ELb0ES3_jPlPS6_PKS6_NS0_5tupleIJS9_S6_EEENSD_IJSA_SA_EEENS0_18inequality_wrapperIZN2at6native12_GLOBAL__N_124unique_dim_cuda_templateIaEESt5tupleIJNSH_6TensorESM_SM_EERKSM_lbbbEUlllE0_EEPmJS6_EEE10hipError_tPvRmT3_T4_T5_T6_T7_T9_mT8_P12ihipStream_tbDpT10_ENKUlT_T0_E_clISt17integral_constantIbLb1EES1B_IbLb0EEEEDaS17_S18_EUlS17_E_NS1_11comp_targetILNS1_3genE2ELNS1_11target_archE906ELNS1_3gpuE6ELNS1_3repE0EEENS1_30default_config_static_selectorELNS0_4arch9wavefront6targetE1EEEvT1_
; %bb.0:
	.section	.rodata,"a",@progbits
	.p2align	6, 0x0
	.amdhsa_kernel _ZN7rocprim17ROCPRIM_400000_NS6detail17trampoline_kernelINS0_14default_configENS1_25partition_config_selectorILNS1_17partition_subalgoE8ElNS0_10empty_typeEbEEZZNS1_14partition_implILS5_8ELb0ES3_jPlPS6_PKS6_NS0_5tupleIJS9_S6_EEENSD_IJSA_SA_EEENS0_18inequality_wrapperIZN2at6native12_GLOBAL__N_124unique_dim_cuda_templateIaEESt5tupleIJNSH_6TensorESM_SM_EERKSM_lbbbEUlllE0_EEPmJS6_EEE10hipError_tPvRmT3_T4_T5_T6_T7_T9_mT8_P12ihipStream_tbDpT10_ENKUlT_T0_E_clISt17integral_constantIbLb1EES1B_IbLb0EEEEDaS17_S18_EUlS17_E_NS1_11comp_targetILNS1_3genE2ELNS1_11target_archE906ELNS1_3gpuE6ELNS1_3repE0EEENS1_30default_config_static_selectorELNS0_4arch9wavefront6targetE1EEEvT1_
		.amdhsa_group_segment_fixed_size 0
		.amdhsa_private_segment_fixed_size 0
		.amdhsa_kernarg_size 120
		.amdhsa_user_sgpr_count 6
		.amdhsa_user_sgpr_private_segment_buffer 1
		.amdhsa_user_sgpr_dispatch_ptr 0
		.amdhsa_user_sgpr_queue_ptr 0
		.amdhsa_user_sgpr_kernarg_segment_ptr 1
		.amdhsa_user_sgpr_dispatch_id 0
		.amdhsa_user_sgpr_flat_scratch_init 0
		.amdhsa_user_sgpr_kernarg_preload_length 0
		.amdhsa_user_sgpr_kernarg_preload_offset 0
		.amdhsa_user_sgpr_private_segment_size 0
		.amdhsa_uses_dynamic_stack 0
		.amdhsa_system_sgpr_private_segment_wavefront_offset 0
		.amdhsa_system_sgpr_workgroup_id_x 1
		.amdhsa_system_sgpr_workgroup_id_y 0
		.amdhsa_system_sgpr_workgroup_id_z 0
		.amdhsa_system_sgpr_workgroup_info 0
		.amdhsa_system_vgpr_workitem_id 0
		.amdhsa_next_free_vgpr 1
		.amdhsa_next_free_sgpr 0
		.amdhsa_accum_offset 4
		.amdhsa_reserve_vcc 0
		.amdhsa_reserve_flat_scratch 0
		.amdhsa_float_round_mode_32 0
		.amdhsa_float_round_mode_16_64 0
		.amdhsa_float_denorm_mode_32 3
		.amdhsa_float_denorm_mode_16_64 3
		.amdhsa_dx10_clamp 1
		.amdhsa_ieee_mode 1
		.amdhsa_fp16_overflow 0
		.amdhsa_tg_split 0
		.amdhsa_exception_fp_ieee_invalid_op 0
		.amdhsa_exception_fp_denorm_src 0
		.amdhsa_exception_fp_ieee_div_zero 0
		.amdhsa_exception_fp_ieee_overflow 0
		.amdhsa_exception_fp_ieee_underflow 0
		.amdhsa_exception_fp_ieee_inexact 0
		.amdhsa_exception_int_div_zero 0
	.end_amdhsa_kernel
	.section	.text._ZN7rocprim17ROCPRIM_400000_NS6detail17trampoline_kernelINS0_14default_configENS1_25partition_config_selectorILNS1_17partition_subalgoE8ElNS0_10empty_typeEbEEZZNS1_14partition_implILS5_8ELb0ES3_jPlPS6_PKS6_NS0_5tupleIJS9_S6_EEENSD_IJSA_SA_EEENS0_18inequality_wrapperIZN2at6native12_GLOBAL__N_124unique_dim_cuda_templateIaEESt5tupleIJNSH_6TensorESM_SM_EERKSM_lbbbEUlllE0_EEPmJS6_EEE10hipError_tPvRmT3_T4_T5_T6_T7_T9_mT8_P12ihipStream_tbDpT10_ENKUlT_T0_E_clISt17integral_constantIbLb1EES1B_IbLb0EEEEDaS17_S18_EUlS17_E_NS1_11comp_targetILNS1_3genE2ELNS1_11target_archE906ELNS1_3gpuE6ELNS1_3repE0EEENS1_30default_config_static_selectorELNS0_4arch9wavefront6targetE1EEEvT1_,"axG",@progbits,_ZN7rocprim17ROCPRIM_400000_NS6detail17trampoline_kernelINS0_14default_configENS1_25partition_config_selectorILNS1_17partition_subalgoE8ElNS0_10empty_typeEbEEZZNS1_14partition_implILS5_8ELb0ES3_jPlPS6_PKS6_NS0_5tupleIJS9_S6_EEENSD_IJSA_SA_EEENS0_18inequality_wrapperIZN2at6native12_GLOBAL__N_124unique_dim_cuda_templateIaEESt5tupleIJNSH_6TensorESM_SM_EERKSM_lbbbEUlllE0_EEPmJS6_EEE10hipError_tPvRmT3_T4_T5_T6_T7_T9_mT8_P12ihipStream_tbDpT10_ENKUlT_T0_E_clISt17integral_constantIbLb1EES1B_IbLb0EEEEDaS17_S18_EUlS17_E_NS1_11comp_targetILNS1_3genE2ELNS1_11target_archE906ELNS1_3gpuE6ELNS1_3repE0EEENS1_30default_config_static_selectorELNS0_4arch9wavefront6targetE1EEEvT1_,comdat
.Lfunc_end339:
	.size	_ZN7rocprim17ROCPRIM_400000_NS6detail17trampoline_kernelINS0_14default_configENS1_25partition_config_selectorILNS1_17partition_subalgoE8ElNS0_10empty_typeEbEEZZNS1_14partition_implILS5_8ELb0ES3_jPlPS6_PKS6_NS0_5tupleIJS9_S6_EEENSD_IJSA_SA_EEENS0_18inequality_wrapperIZN2at6native12_GLOBAL__N_124unique_dim_cuda_templateIaEESt5tupleIJNSH_6TensorESM_SM_EERKSM_lbbbEUlllE0_EEPmJS6_EEE10hipError_tPvRmT3_T4_T5_T6_T7_T9_mT8_P12ihipStream_tbDpT10_ENKUlT_T0_E_clISt17integral_constantIbLb1EES1B_IbLb0EEEEDaS17_S18_EUlS17_E_NS1_11comp_targetILNS1_3genE2ELNS1_11target_archE906ELNS1_3gpuE6ELNS1_3repE0EEENS1_30default_config_static_selectorELNS0_4arch9wavefront6targetE1EEEvT1_, .Lfunc_end339-_ZN7rocprim17ROCPRIM_400000_NS6detail17trampoline_kernelINS0_14default_configENS1_25partition_config_selectorILNS1_17partition_subalgoE8ElNS0_10empty_typeEbEEZZNS1_14partition_implILS5_8ELb0ES3_jPlPS6_PKS6_NS0_5tupleIJS9_S6_EEENSD_IJSA_SA_EEENS0_18inequality_wrapperIZN2at6native12_GLOBAL__N_124unique_dim_cuda_templateIaEESt5tupleIJNSH_6TensorESM_SM_EERKSM_lbbbEUlllE0_EEPmJS6_EEE10hipError_tPvRmT3_T4_T5_T6_T7_T9_mT8_P12ihipStream_tbDpT10_ENKUlT_T0_E_clISt17integral_constantIbLb1EES1B_IbLb0EEEEDaS17_S18_EUlS17_E_NS1_11comp_targetILNS1_3genE2ELNS1_11target_archE906ELNS1_3gpuE6ELNS1_3repE0EEENS1_30default_config_static_selectorELNS0_4arch9wavefront6targetE1EEEvT1_
                                        ; -- End function
	.section	.AMDGPU.csdata,"",@progbits
; Kernel info:
; codeLenInByte = 0
; NumSgprs: 4
; NumVgprs: 0
; NumAgprs: 0
; TotalNumVgprs: 0
; ScratchSize: 0
; MemoryBound: 0
; FloatMode: 240
; IeeeMode: 1
; LDSByteSize: 0 bytes/workgroup (compile time only)
; SGPRBlocks: 0
; VGPRBlocks: 0
; NumSGPRsForWavesPerEU: 4
; NumVGPRsForWavesPerEU: 1
; AccumOffset: 4
; Occupancy: 8
; WaveLimiterHint : 0
; COMPUTE_PGM_RSRC2:SCRATCH_EN: 0
; COMPUTE_PGM_RSRC2:USER_SGPR: 6
; COMPUTE_PGM_RSRC2:TRAP_HANDLER: 0
; COMPUTE_PGM_RSRC2:TGID_X_EN: 1
; COMPUTE_PGM_RSRC2:TGID_Y_EN: 0
; COMPUTE_PGM_RSRC2:TGID_Z_EN: 0
; COMPUTE_PGM_RSRC2:TIDIG_COMP_CNT: 0
; COMPUTE_PGM_RSRC3_GFX90A:ACCUM_OFFSET: 0
; COMPUTE_PGM_RSRC3_GFX90A:TG_SPLIT: 0
	.section	.text._ZN7rocprim17ROCPRIM_400000_NS6detail17trampoline_kernelINS0_14default_configENS1_25partition_config_selectorILNS1_17partition_subalgoE8ElNS0_10empty_typeEbEEZZNS1_14partition_implILS5_8ELb0ES3_jPlPS6_PKS6_NS0_5tupleIJS9_S6_EEENSD_IJSA_SA_EEENS0_18inequality_wrapperIZN2at6native12_GLOBAL__N_124unique_dim_cuda_templateIaEESt5tupleIJNSH_6TensorESM_SM_EERKSM_lbbbEUlllE0_EEPmJS6_EEE10hipError_tPvRmT3_T4_T5_T6_T7_T9_mT8_P12ihipStream_tbDpT10_ENKUlT_T0_E_clISt17integral_constantIbLb1EES1B_IbLb0EEEEDaS17_S18_EUlS17_E_NS1_11comp_targetILNS1_3genE10ELNS1_11target_archE1200ELNS1_3gpuE4ELNS1_3repE0EEENS1_30default_config_static_selectorELNS0_4arch9wavefront6targetE1EEEvT1_,"axG",@progbits,_ZN7rocprim17ROCPRIM_400000_NS6detail17trampoline_kernelINS0_14default_configENS1_25partition_config_selectorILNS1_17partition_subalgoE8ElNS0_10empty_typeEbEEZZNS1_14partition_implILS5_8ELb0ES3_jPlPS6_PKS6_NS0_5tupleIJS9_S6_EEENSD_IJSA_SA_EEENS0_18inequality_wrapperIZN2at6native12_GLOBAL__N_124unique_dim_cuda_templateIaEESt5tupleIJNSH_6TensorESM_SM_EERKSM_lbbbEUlllE0_EEPmJS6_EEE10hipError_tPvRmT3_T4_T5_T6_T7_T9_mT8_P12ihipStream_tbDpT10_ENKUlT_T0_E_clISt17integral_constantIbLb1EES1B_IbLb0EEEEDaS17_S18_EUlS17_E_NS1_11comp_targetILNS1_3genE10ELNS1_11target_archE1200ELNS1_3gpuE4ELNS1_3repE0EEENS1_30default_config_static_selectorELNS0_4arch9wavefront6targetE1EEEvT1_,comdat
	.globl	_ZN7rocprim17ROCPRIM_400000_NS6detail17trampoline_kernelINS0_14default_configENS1_25partition_config_selectorILNS1_17partition_subalgoE8ElNS0_10empty_typeEbEEZZNS1_14partition_implILS5_8ELb0ES3_jPlPS6_PKS6_NS0_5tupleIJS9_S6_EEENSD_IJSA_SA_EEENS0_18inequality_wrapperIZN2at6native12_GLOBAL__N_124unique_dim_cuda_templateIaEESt5tupleIJNSH_6TensorESM_SM_EERKSM_lbbbEUlllE0_EEPmJS6_EEE10hipError_tPvRmT3_T4_T5_T6_T7_T9_mT8_P12ihipStream_tbDpT10_ENKUlT_T0_E_clISt17integral_constantIbLb1EES1B_IbLb0EEEEDaS17_S18_EUlS17_E_NS1_11comp_targetILNS1_3genE10ELNS1_11target_archE1200ELNS1_3gpuE4ELNS1_3repE0EEENS1_30default_config_static_selectorELNS0_4arch9wavefront6targetE1EEEvT1_ ; -- Begin function _ZN7rocprim17ROCPRIM_400000_NS6detail17trampoline_kernelINS0_14default_configENS1_25partition_config_selectorILNS1_17partition_subalgoE8ElNS0_10empty_typeEbEEZZNS1_14partition_implILS5_8ELb0ES3_jPlPS6_PKS6_NS0_5tupleIJS9_S6_EEENSD_IJSA_SA_EEENS0_18inequality_wrapperIZN2at6native12_GLOBAL__N_124unique_dim_cuda_templateIaEESt5tupleIJNSH_6TensorESM_SM_EERKSM_lbbbEUlllE0_EEPmJS6_EEE10hipError_tPvRmT3_T4_T5_T6_T7_T9_mT8_P12ihipStream_tbDpT10_ENKUlT_T0_E_clISt17integral_constantIbLb1EES1B_IbLb0EEEEDaS17_S18_EUlS17_E_NS1_11comp_targetILNS1_3genE10ELNS1_11target_archE1200ELNS1_3gpuE4ELNS1_3repE0EEENS1_30default_config_static_selectorELNS0_4arch9wavefront6targetE1EEEvT1_
	.p2align	8
	.type	_ZN7rocprim17ROCPRIM_400000_NS6detail17trampoline_kernelINS0_14default_configENS1_25partition_config_selectorILNS1_17partition_subalgoE8ElNS0_10empty_typeEbEEZZNS1_14partition_implILS5_8ELb0ES3_jPlPS6_PKS6_NS0_5tupleIJS9_S6_EEENSD_IJSA_SA_EEENS0_18inequality_wrapperIZN2at6native12_GLOBAL__N_124unique_dim_cuda_templateIaEESt5tupleIJNSH_6TensorESM_SM_EERKSM_lbbbEUlllE0_EEPmJS6_EEE10hipError_tPvRmT3_T4_T5_T6_T7_T9_mT8_P12ihipStream_tbDpT10_ENKUlT_T0_E_clISt17integral_constantIbLb1EES1B_IbLb0EEEEDaS17_S18_EUlS17_E_NS1_11comp_targetILNS1_3genE10ELNS1_11target_archE1200ELNS1_3gpuE4ELNS1_3repE0EEENS1_30default_config_static_selectorELNS0_4arch9wavefront6targetE1EEEvT1_,@function
_ZN7rocprim17ROCPRIM_400000_NS6detail17trampoline_kernelINS0_14default_configENS1_25partition_config_selectorILNS1_17partition_subalgoE8ElNS0_10empty_typeEbEEZZNS1_14partition_implILS5_8ELb0ES3_jPlPS6_PKS6_NS0_5tupleIJS9_S6_EEENSD_IJSA_SA_EEENS0_18inequality_wrapperIZN2at6native12_GLOBAL__N_124unique_dim_cuda_templateIaEESt5tupleIJNSH_6TensorESM_SM_EERKSM_lbbbEUlllE0_EEPmJS6_EEE10hipError_tPvRmT3_T4_T5_T6_T7_T9_mT8_P12ihipStream_tbDpT10_ENKUlT_T0_E_clISt17integral_constantIbLb1EES1B_IbLb0EEEEDaS17_S18_EUlS17_E_NS1_11comp_targetILNS1_3genE10ELNS1_11target_archE1200ELNS1_3gpuE4ELNS1_3repE0EEENS1_30default_config_static_selectorELNS0_4arch9wavefront6targetE1EEEvT1_: ; @_ZN7rocprim17ROCPRIM_400000_NS6detail17trampoline_kernelINS0_14default_configENS1_25partition_config_selectorILNS1_17partition_subalgoE8ElNS0_10empty_typeEbEEZZNS1_14partition_implILS5_8ELb0ES3_jPlPS6_PKS6_NS0_5tupleIJS9_S6_EEENSD_IJSA_SA_EEENS0_18inequality_wrapperIZN2at6native12_GLOBAL__N_124unique_dim_cuda_templateIaEESt5tupleIJNSH_6TensorESM_SM_EERKSM_lbbbEUlllE0_EEPmJS6_EEE10hipError_tPvRmT3_T4_T5_T6_T7_T9_mT8_P12ihipStream_tbDpT10_ENKUlT_T0_E_clISt17integral_constantIbLb1EES1B_IbLb0EEEEDaS17_S18_EUlS17_E_NS1_11comp_targetILNS1_3genE10ELNS1_11target_archE1200ELNS1_3gpuE4ELNS1_3repE0EEENS1_30default_config_static_selectorELNS0_4arch9wavefront6targetE1EEEvT1_
; %bb.0:
	.section	.rodata,"a",@progbits
	.p2align	6, 0x0
	.amdhsa_kernel _ZN7rocprim17ROCPRIM_400000_NS6detail17trampoline_kernelINS0_14default_configENS1_25partition_config_selectorILNS1_17partition_subalgoE8ElNS0_10empty_typeEbEEZZNS1_14partition_implILS5_8ELb0ES3_jPlPS6_PKS6_NS0_5tupleIJS9_S6_EEENSD_IJSA_SA_EEENS0_18inequality_wrapperIZN2at6native12_GLOBAL__N_124unique_dim_cuda_templateIaEESt5tupleIJNSH_6TensorESM_SM_EERKSM_lbbbEUlllE0_EEPmJS6_EEE10hipError_tPvRmT3_T4_T5_T6_T7_T9_mT8_P12ihipStream_tbDpT10_ENKUlT_T0_E_clISt17integral_constantIbLb1EES1B_IbLb0EEEEDaS17_S18_EUlS17_E_NS1_11comp_targetILNS1_3genE10ELNS1_11target_archE1200ELNS1_3gpuE4ELNS1_3repE0EEENS1_30default_config_static_selectorELNS0_4arch9wavefront6targetE1EEEvT1_
		.amdhsa_group_segment_fixed_size 0
		.amdhsa_private_segment_fixed_size 0
		.amdhsa_kernarg_size 120
		.amdhsa_user_sgpr_count 6
		.amdhsa_user_sgpr_private_segment_buffer 1
		.amdhsa_user_sgpr_dispatch_ptr 0
		.amdhsa_user_sgpr_queue_ptr 0
		.amdhsa_user_sgpr_kernarg_segment_ptr 1
		.amdhsa_user_sgpr_dispatch_id 0
		.amdhsa_user_sgpr_flat_scratch_init 0
		.amdhsa_user_sgpr_kernarg_preload_length 0
		.amdhsa_user_sgpr_kernarg_preload_offset 0
		.amdhsa_user_sgpr_private_segment_size 0
		.amdhsa_uses_dynamic_stack 0
		.amdhsa_system_sgpr_private_segment_wavefront_offset 0
		.amdhsa_system_sgpr_workgroup_id_x 1
		.amdhsa_system_sgpr_workgroup_id_y 0
		.amdhsa_system_sgpr_workgroup_id_z 0
		.amdhsa_system_sgpr_workgroup_info 0
		.amdhsa_system_vgpr_workitem_id 0
		.amdhsa_next_free_vgpr 1
		.amdhsa_next_free_sgpr 0
		.amdhsa_accum_offset 4
		.amdhsa_reserve_vcc 0
		.amdhsa_reserve_flat_scratch 0
		.amdhsa_float_round_mode_32 0
		.amdhsa_float_round_mode_16_64 0
		.amdhsa_float_denorm_mode_32 3
		.amdhsa_float_denorm_mode_16_64 3
		.amdhsa_dx10_clamp 1
		.amdhsa_ieee_mode 1
		.amdhsa_fp16_overflow 0
		.amdhsa_tg_split 0
		.amdhsa_exception_fp_ieee_invalid_op 0
		.amdhsa_exception_fp_denorm_src 0
		.amdhsa_exception_fp_ieee_div_zero 0
		.amdhsa_exception_fp_ieee_overflow 0
		.amdhsa_exception_fp_ieee_underflow 0
		.amdhsa_exception_fp_ieee_inexact 0
		.amdhsa_exception_int_div_zero 0
	.end_amdhsa_kernel
	.section	.text._ZN7rocprim17ROCPRIM_400000_NS6detail17trampoline_kernelINS0_14default_configENS1_25partition_config_selectorILNS1_17partition_subalgoE8ElNS0_10empty_typeEbEEZZNS1_14partition_implILS5_8ELb0ES3_jPlPS6_PKS6_NS0_5tupleIJS9_S6_EEENSD_IJSA_SA_EEENS0_18inequality_wrapperIZN2at6native12_GLOBAL__N_124unique_dim_cuda_templateIaEESt5tupleIJNSH_6TensorESM_SM_EERKSM_lbbbEUlllE0_EEPmJS6_EEE10hipError_tPvRmT3_T4_T5_T6_T7_T9_mT8_P12ihipStream_tbDpT10_ENKUlT_T0_E_clISt17integral_constantIbLb1EES1B_IbLb0EEEEDaS17_S18_EUlS17_E_NS1_11comp_targetILNS1_3genE10ELNS1_11target_archE1200ELNS1_3gpuE4ELNS1_3repE0EEENS1_30default_config_static_selectorELNS0_4arch9wavefront6targetE1EEEvT1_,"axG",@progbits,_ZN7rocprim17ROCPRIM_400000_NS6detail17trampoline_kernelINS0_14default_configENS1_25partition_config_selectorILNS1_17partition_subalgoE8ElNS0_10empty_typeEbEEZZNS1_14partition_implILS5_8ELb0ES3_jPlPS6_PKS6_NS0_5tupleIJS9_S6_EEENSD_IJSA_SA_EEENS0_18inequality_wrapperIZN2at6native12_GLOBAL__N_124unique_dim_cuda_templateIaEESt5tupleIJNSH_6TensorESM_SM_EERKSM_lbbbEUlllE0_EEPmJS6_EEE10hipError_tPvRmT3_T4_T5_T6_T7_T9_mT8_P12ihipStream_tbDpT10_ENKUlT_T0_E_clISt17integral_constantIbLb1EES1B_IbLb0EEEEDaS17_S18_EUlS17_E_NS1_11comp_targetILNS1_3genE10ELNS1_11target_archE1200ELNS1_3gpuE4ELNS1_3repE0EEENS1_30default_config_static_selectorELNS0_4arch9wavefront6targetE1EEEvT1_,comdat
.Lfunc_end340:
	.size	_ZN7rocprim17ROCPRIM_400000_NS6detail17trampoline_kernelINS0_14default_configENS1_25partition_config_selectorILNS1_17partition_subalgoE8ElNS0_10empty_typeEbEEZZNS1_14partition_implILS5_8ELb0ES3_jPlPS6_PKS6_NS0_5tupleIJS9_S6_EEENSD_IJSA_SA_EEENS0_18inequality_wrapperIZN2at6native12_GLOBAL__N_124unique_dim_cuda_templateIaEESt5tupleIJNSH_6TensorESM_SM_EERKSM_lbbbEUlllE0_EEPmJS6_EEE10hipError_tPvRmT3_T4_T5_T6_T7_T9_mT8_P12ihipStream_tbDpT10_ENKUlT_T0_E_clISt17integral_constantIbLb1EES1B_IbLb0EEEEDaS17_S18_EUlS17_E_NS1_11comp_targetILNS1_3genE10ELNS1_11target_archE1200ELNS1_3gpuE4ELNS1_3repE0EEENS1_30default_config_static_selectorELNS0_4arch9wavefront6targetE1EEEvT1_, .Lfunc_end340-_ZN7rocprim17ROCPRIM_400000_NS6detail17trampoline_kernelINS0_14default_configENS1_25partition_config_selectorILNS1_17partition_subalgoE8ElNS0_10empty_typeEbEEZZNS1_14partition_implILS5_8ELb0ES3_jPlPS6_PKS6_NS0_5tupleIJS9_S6_EEENSD_IJSA_SA_EEENS0_18inequality_wrapperIZN2at6native12_GLOBAL__N_124unique_dim_cuda_templateIaEESt5tupleIJNSH_6TensorESM_SM_EERKSM_lbbbEUlllE0_EEPmJS6_EEE10hipError_tPvRmT3_T4_T5_T6_T7_T9_mT8_P12ihipStream_tbDpT10_ENKUlT_T0_E_clISt17integral_constantIbLb1EES1B_IbLb0EEEEDaS17_S18_EUlS17_E_NS1_11comp_targetILNS1_3genE10ELNS1_11target_archE1200ELNS1_3gpuE4ELNS1_3repE0EEENS1_30default_config_static_selectorELNS0_4arch9wavefront6targetE1EEEvT1_
                                        ; -- End function
	.section	.AMDGPU.csdata,"",@progbits
; Kernel info:
; codeLenInByte = 0
; NumSgprs: 4
; NumVgprs: 0
; NumAgprs: 0
; TotalNumVgprs: 0
; ScratchSize: 0
; MemoryBound: 0
; FloatMode: 240
; IeeeMode: 1
; LDSByteSize: 0 bytes/workgroup (compile time only)
; SGPRBlocks: 0
; VGPRBlocks: 0
; NumSGPRsForWavesPerEU: 4
; NumVGPRsForWavesPerEU: 1
; AccumOffset: 4
; Occupancy: 8
; WaveLimiterHint : 0
; COMPUTE_PGM_RSRC2:SCRATCH_EN: 0
; COMPUTE_PGM_RSRC2:USER_SGPR: 6
; COMPUTE_PGM_RSRC2:TRAP_HANDLER: 0
; COMPUTE_PGM_RSRC2:TGID_X_EN: 1
; COMPUTE_PGM_RSRC2:TGID_Y_EN: 0
; COMPUTE_PGM_RSRC2:TGID_Z_EN: 0
; COMPUTE_PGM_RSRC2:TIDIG_COMP_CNT: 0
; COMPUTE_PGM_RSRC3_GFX90A:ACCUM_OFFSET: 0
; COMPUTE_PGM_RSRC3_GFX90A:TG_SPLIT: 0
	.section	.text._ZN7rocprim17ROCPRIM_400000_NS6detail17trampoline_kernelINS0_14default_configENS1_25partition_config_selectorILNS1_17partition_subalgoE8ElNS0_10empty_typeEbEEZZNS1_14partition_implILS5_8ELb0ES3_jPlPS6_PKS6_NS0_5tupleIJS9_S6_EEENSD_IJSA_SA_EEENS0_18inequality_wrapperIZN2at6native12_GLOBAL__N_124unique_dim_cuda_templateIaEESt5tupleIJNSH_6TensorESM_SM_EERKSM_lbbbEUlllE0_EEPmJS6_EEE10hipError_tPvRmT3_T4_T5_T6_T7_T9_mT8_P12ihipStream_tbDpT10_ENKUlT_T0_E_clISt17integral_constantIbLb1EES1B_IbLb0EEEEDaS17_S18_EUlS17_E_NS1_11comp_targetILNS1_3genE9ELNS1_11target_archE1100ELNS1_3gpuE3ELNS1_3repE0EEENS1_30default_config_static_selectorELNS0_4arch9wavefront6targetE1EEEvT1_,"axG",@progbits,_ZN7rocprim17ROCPRIM_400000_NS6detail17trampoline_kernelINS0_14default_configENS1_25partition_config_selectorILNS1_17partition_subalgoE8ElNS0_10empty_typeEbEEZZNS1_14partition_implILS5_8ELb0ES3_jPlPS6_PKS6_NS0_5tupleIJS9_S6_EEENSD_IJSA_SA_EEENS0_18inequality_wrapperIZN2at6native12_GLOBAL__N_124unique_dim_cuda_templateIaEESt5tupleIJNSH_6TensorESM_SM_EERKSM_lbbbEUlllE0_EEPmJS6_EEE10hipError_tPvRmT3_T4_T5_T6_T7_T9_mT8_P12ihipStream_tbDpT10_ENKUlT_T0_E_clISt17integral_constantIbLb1EES1B_IbLb0EEEEDaS17_S18_EUlS17_E_NS1_11comp_targetILNS1_3genE9ELNS1_11target_archE1100ELNS1_3gpuE3ELNS1_3repE0EEENS1_30default_config_static_selectorELNS0_4arch9wavefront6targetE1EEEvT1_,comdat
	.globl	_ZN7rocprim17ROCPRIM_400000_NS6detail17trampoline_kernelINS0_14default_configENS1_25partition_config_selectorILNS1_17partition_subalgoE8ElNS0_10empty_typeEbEEZZNS1_14partition_implILS5_8ELb0ES3_jPlPS6_PKS6_NS0_5tupleIJS9_S6_EEENSD_IJSA_SA_EEENS0_18inequality_wrapperIZN2at6native12_GLOBAL__N_124unique_dim_cuda_templateIaEESt5tupleIJNSH_6TensorESM_SM_EERKSM_lbbbEUlllE0_EEPmJS6_EEE10hipError_tPvRmT3_T4_T5_T6_T7_T9_mT8_P12ihipStream_tbDpT10_ENKUlT_T0_E_clISt17integral_constantIbLb1EES1B_IbLb0EEEEDaS17_S18_EUlS17_E_NS1_11comp_targetILNS1_3genE9ELNS1_11target_archE1100ELNS1_3gpuE3ELNS1_3repE0EEENS1_30default_config_static_selectorELNS0_4arch9wavefront6targetE1EEEvT1_ ; -- Begin function _ZN7rocprim17ROCPRIM_400000_NS6detail17trampoline_kernelINS0_14default_configENS1_25partition_config_selectorILNS1_17partition_subalgoE8ElNS0_10empty_typeEbEEZZNS1_14partition_implILS5_8ELb0ES3_jPlPS6_PKS6_NS0_5tupleIJS9_S6_EEENSD_IJSA_SA_EEENS0_18inequality_wrapperIZN2at6native12_GLOBAL__N_124unique_dim_cuda_templateIaEESt5tupleIJNSH_6TensorESM_SM_EERKSM_lbbbEUlllE0_EEPmJS6_EEE10hipError_tPvRmT3_T4_T5_T6_T7_T9_mT8_P12ihipStream_tbDpT10_ENKUlT_T0_E_clISt17integral_constantIbLb1EES1B_IbLb0EEEEDaS17_S18_EUlS17_E_NS1_11comp_targetILNS1_3genE9ELNS1_11target_archE1100ELNS1_3gpuE3ELNS1_3repE0EEENS1_30default_config_static_selectorELNS0_4arch9wavefront6targetE1EEEvT1_
	.p2align	8
	.type	_ZN7rocprim17ROCPRIM_400000_NS6detail17trampoline_kernelINS0_14default_configENS1_25partition_config_selectorILNS1_17partition_subalgoE8ElNS0_10empty_typeEbEEZZNS1_14partition_implILS5_8ELb0ES3_jPlPS6_PKS6_NS0_5tupleIJS9_S6_EEENSD_IJSA_SA_EEENS0_18inequality_wrapperIZN2at6native12_GLOBAL__N_124unique_dim_cuda_templateIaEESt5tupleIJNSH_6TensorESM_SM_EERKSM_lbbbEUlllE0_EEPmJS6_EEE10hipError_tPvRmT3_T4_T5_T6_T7_T9_mT8_P12ihipStream_tbDpT10_ENKUlT_T0_E_clISt17integral_constantIbLb1EES1B_IbLb0EEEEDaS17_S18_EUlS17_E_NS1_11comp_targetILNS1_3genE9ELNS1_11target_archE1100ELNS1_3gpuE3ELNS1_3repE0EEENS1_30default_config_static_selectorELNS0_4arch9wavefront6targetE1EEEvT1_,@function
_ZN7rocprim17ROCPRIM_400000_NS6detail17trampoline_kernelINS0_14default_configENS1_25partition_config_selectorILNS1_17partition_subalgoE8ElNS0_10empty_typeEbEEZZNS1_14partition_implILS5_8ELb0ES3_jPlPS6_PKS6_NS0_5tupleIJS9_S6_EEENSD_IJSA_SA_EEENS0_18inequality_wrapperIZN2at6native12_GLOBAL__N_124unique_dim_cuda_templateIaEESt5tupleIJNSH_6TensorESM_SM_EERKSM_lbbbEUlllE0_EEPmJS6_EEE10hipError_tPvRmT3_T4_T5_T6_T7_T9_mT8_P12ihipStream_tbDpT10_ENKUlT_T0_E_clISt17integral_constantIbLb1EES1B_IbLb0EEEEDaS17_S18_EUlS17_E_NS1_11comp_targetILNS1_3genE9ELNS1_11target_archE1100ELNS1_3gpuE3ELNS1_3repE0EEENS1_30default_config_static_selectorELNS0_4arch9wavefront6targetE1EEEvT1_: ; @_ZN7rocprim17ROCPRIM_400000_NS6detail17trampoline_kernelINS0_14default_configENS1_25partition_config_selectorILNS1_17partition_subalgoE8ElNS0_10empty_typeEbEEZZNS1_14partition_implILS5_8ELb0ES3_jPlPS6_PKS6_NS0_5tupleIJS9_S6_EEENSD_IJSA_SA_EEENS0_18inequality_wrapperIZN2at6native12_GLOBAL__N_124unique_dim_cuda_templateIaEESt5tupleIJNSH_6TensorESM_SM_EERKSM_lbbbEUlllE0_EEPmJS6_EEE10hipError_tPvRmT3_T4_T5_T6_T7_T9_mT8_P12ihipStream_tbDpT10_ENKUlT_T0_E_clISt17integral_constantIbLb1EES1B_IbLb0EEEEDaS17_S18_EUlS17_E_NS1_11comp_targetILNS1_3genE9ELNS1_11target_archE1100ELNS1_3gpuE3ELNS1_3repE0EEENS1_30default_config_static_selectorELNS0_4arch9wavefront6targetE1EEEvT1_
; %bb.0:
	.section	.rodata,"a",@progbits
	.p2align	6, 0x0
	.amdhsa_kernel _ZN7rocprim17ROCPRIM_400000_NS6detail17trampoline_kernelINS0_14default_configENS1_25partition_config_selectorILNS1_17partition_subalgoE8ElNS0_10empty_typeEbEEZZNS1_14partition_implILS5_8ELb0ES3_jPlPS6_PKS6_NS0_5tupleIJS9_S6_EEENSD_IJSA_SA_EEENS0_18inequality_wrapperIZN2at6native12_GLOBAL__N_124unique_dim_cuda_templateIaEESt5tupleIJNSH_6TensorESM_SM_EERKSM_lbbbEUlllE0_EEPmJS6_EEE10hipError_tPvRmT3_T4_T5_T6_T7_T9_mT8_P12ihipStream_tbDpT10_ENKUlT_T0_E_clISt17integral_constantIbLb1EES1B_IbLb0EEEEDaS17_S18_EUlS17_E_NS1_11comp_targetILNS1_3genE9ELNS1_11target_archE1100ELNS1_3gpuE3ELNS1_3repE0EEENS1_30default_config_static_selectorELNS0_4arch9wavefront6targetE1EEEvT1_
		.amdhsa_group_segment_fixed_size 0
		.amdhsa_private_segment_fixed_size 0
		.amdhsa_kernarg_size 120
		.amdhsa_user_sgpr_count 6
		.amdhsa_user_sgpr_private_segment_buffer 1
		.amdhsa_user_sgpr_dispatch_ptr 0
		.amdhsa_user_sgpr_queue_ptr 0
		.amdhsa_user_sgpr_kernarg_segment_ptr 1
		.amdhsa_user_sgpr_dispatch_id 0
		.amdhsa_user_sgpr_flat_scratch_init 0
		.amdhsa_user_sgpr_kernarg_preload_length 0
		.amdhsa_user_sgpr_kernarg_preload_offset 0
		.amdhsa_user_sgpr_private_segment_size 0
		.amdhsa_uses_dynamic_stack 0
		.amdhsa_system_sgpr_private_segment_wavefront_offset 0
		.amdhsa_system_sgpr_workgroup_id_x 1
		.amdhsa_system_sgpr_workgroup_id_y 0
		.amdhsa_system_sgpr_workgroup_id_z 0
		.amdhsa_system_sgpr_workgroup_info 0
		.amdhsa_system_vgpr_workitem_id 0
		.amdhsa_next_free_vgpr 1
		.amdhsa_next_free_sgpr 0
		.amdhsa_accum_offset 4
		.amdhsa_reserve_vcc 0
		.amdhsa_reserve_flat_scratch 0
		.amdhsa_float_round_mode_32 0
		.amdhsa_float_round_mode_16_64 0
		.amdhsa_float_denorm_mode_32 3
		.amdhsa_float_denorm_mode_16_64 3
		.amdhsa_dx10_clamp 1
		.amdhsa_ieee_mode 1
		.amdhsa_fp16_overflow 0
		.amdhsa_tg_split 0
		.amdhsa_exception_fp_ieee_invalid_op 0
		.amdhsa_exception_fp_denorm_src 0
		.amdhsa_exception_fp_ieee_div_zero 0
		.amdhsa_exception_fp_ieee_overflow 0
		.amdhsa_exception_fp_ieee_underflow 0
		.amdhsa_exception_fp_ieee_inexact 0
		.amdhsa_exception_int_div_zero 0
	.end_amdhsa_kernel
	.section	.text._ZN7rocprim17ROCPRIM_400000_NS6detail17trampoline_kernelINS0_14default_configENS1_25partition_config_selectorILNS1_17partition_subalgoE8ElNS0_10empty_typeEbEEZZNS1_14partition_implILS5_8ELb0ES3_jPlPS6_PKS6_NS0_5tupleIJS9_S6_EEENSD_IJSA_SA_EEENS0_18inequality_wrapperIZN2at6native12_GLOBAL__N_124unique_dim_cuda_templateIaEESt5tupleIJNSH_6TensorESM_SM_EERKSM_lbbbEUlllE0_EEPmJS6_EEE10hipError_tPvRmT3_T4_T5_T6_T7_T9_mT8_P12ihipStream_tbDpT10_ENKUlT_T0_E_clISt17integral_constantIbLb1EES1B_IbLb0EEEEDaS17_S18_EUlS17_E_NS1_11comp_targetILNS1_3genE9ELNS1_11target_archE1100ELNS1_3gpuE3ELNS1_3repE0EEENS1_30default_config_static_selectorELNS0_4arch9wavefront6targetE1EEEvT1_,"axG",@progbits,_ZN7rocprim17ROCPRIM_400000_NS6detail17trampoline_kernelINS0_14default_configENS1_25partition_config_selectorILNS1_17partition_subalgoE8ElNS0_10empty_typeEbEEZZNS1_14partition_implILS5_8ELb0ES3_jPlPS6_PKS6_NS0_5tupleIJS9_S6_EEENSD_IJSA_SA_EEENS0_18inequality_wrapperIZN2at6native12_GLOBAL__N_124unique_dim_cuda_templateIaEESt5tupleIJNSH_6TensorESM_SM_EERKSM_lbbbEUlllE0_EEPmJS6_EEE10hipError_tPvRmT3_T4_T5_T6_T7_T9_mT8_P12ihipStream_tbDpT10_ENKUlT_T0_E_clISt17integral_constantIbLb1EES1B_IbLb0EEEEDaS17_S18_EUlS17_E_NS1_11comp_targetILNS1_3genE9ELNS1_11target_archE1100ELNS1_3gpuE3ELNS1_3repE0EEENS1_30default_config_static_selectorELNS0_4arch9wavefront6targetE1EEEvT1_,comdat
.Lfunc_end341:
	.size	_ZN7rocprim17ROCPRIM_400000_NS6detail17trampoline_kernelINS0_14default_configENS1_25partition_config_selectorILNS1_17partition_subalgoE8ElNS0_10empty_typeEbEEZZNS1_14partition_implILS5_8ELb0ES3_jPlPS6_PKS6_NS0_5tupleIJS9_S6_EEENSD_IJSA_SA_EEENS0_18inequality_wrapperIZN2at6native12_GLOBAL__N_124unique_dim_cuda_templateIaEESt5tupleIJNSH_6TensorESM_SM_EERKSM_lbbbEUlllE0_EEPmJS6_EEE10hipError_tPvRmT3_T4_T5_T6_T7_T9_mT8_P12ihipStream_tbDpT10_ENKUlT_T0_E_clISt17integral_constantIbLb1EES1B_IbLb0EEEEDaS17_S18_EUlS17_E_NS1_11comp_targetILNS1_3genE9ELNS1_11target_archE1100ELNS1_3gpuE3ELNS1_3repE0EEENS1_30default_config_static_selectorELNS0_4arch9wavefront6targetE1EEEvT1_, .Lfunc_end341-_ZN7rocprim17ROCPRIM_400000_NS6detail17trampoline_kernelINS0_14default_configENS1_25partition_config_selectorILNS1_17partition_subalgoE8ElNS0_10empty_typeEbEEZZNS1_14partition_implILS5_8ELb0ES3_jPlPS6_PKS6_NS0_5tupleIJS9_S6_EEENSD_IJSA_SA_EEENS0_18inequality_wrapperIZN2at6native12_GLOBAL__N_124unique_dim_cuda_templateIaEESt5tupleIJNSH_6TensorESM_SM_EERKSM_lbbbEUlllE0_EEPmJS6_EEE10hipError_tPvRmT3_T4_T5_T6_T7_T9_mT8_P12ihipStream_tbDpT10_ENKUlT_T0_E_clISt17integral_constantIbLb1EES1B_IbLb0EEEEDaS17_S18_EUlS17_E_NS1_11comp_targetILNS1_3genE9ELNS1_11target_archE1100ELNS1_3gpuE3ELNS1_3repE0EEENS1_30default_config_static_selectorELNS0_4arch9wavefront6targetE1EEEvT1_
                                        ; -- End function
	.section	.AMDGPU.csdata,"",@progbits
; Kernel info:
; codeLenInByte = 0
; NumSgprs: 4
; NumVgprs: 0
; NumAgprs: 0
; TotalNumVgprs: 0
; ScratchSize: 0
; MemoryBound: 0
; FloatMode: 240
; IeeeMode: 1
; LDSByteSize: 0 bytes/workgroup (compile time only)
; SGPRBlocks: 0
; VGPRBlocks: 0
; NumSGPRsForWavesPerEU: 4
; NumVGPRsForWavesPerEU: 1
; AccumOffset: 4
; Occupancy: 8
; WaveLimiterHint : 0
; COMPUTE_PGM_RSRC2:SCRATCH_EN: 0
; COMPUTE_PGM_RSRC2:USER_SGPR: 6
; COMPUTE_PGM_RSRC2:TRAP_HANDLER: 0
; COMPUTE_PGM_RSRC2:TGID_X_EN: 1
; COMPUTE_PGM_RSRC2:TGID_Y_EN: 0
; COMPUTE_PGM_RSRC2:TGID_Z_EN: 0
; COMPUTE_PGM_RSRC2:TIDIG_COMP_CNT: 0
; COMPUTE_PGM_RSRC3_GFX90A:ACCUM_OFFSET: 0
; COMPUTE_PGM_RSRC3_GFX90A:TG_SPLIT: 0
	.section	.text._ZN7rocprim17ROCPRIM_400000_NS6detail17trampoline_kernelINS0_14default_configENS1_25partition_config_selectorILNS1_17partition_subalgoE8ElNS0_10empty_typeEbEEZZNS1_14partition_implILS5_8ELb0ES3_jPlPS6_PKS6_NS0_5tupleIJS9_S6_EEENSD_IJSA_SA_EEENS0_18inequality_wrapperIZN2at6native12_GLOBAL__N_124unique_dim_cuda_templateIaEESt5tupleIJNSH_6TensorESM_SM_EERKSM_lbbbEUlllE0_EEPmJS6_EEE10hipError_tPvRmT3_T4_T5_T6_T7_T9_mT8_P12ihipStream_tbDpT10_ENKUlT_T0_E_clISt17integral_constantIbLb1EES1B_IbLb0EEEEDaS17_S18_EUlS17_E_NS1_11comp_targetILNS1_3genE8ELNS1_11target_archE1030ELNS1_3gpuE2ELNS1_3repE0EEENS1_30default_config_static_selectorELNS0_4arch9wavefront6targetE1EEEvT1_,"axG",@progbits,_ZN7rocprim17ROCPRIM_400000_NS6detail17trampoline_kernelINS0_14default_configENS1_25partition_config_selectorILNS1_17partition_subalgoE8ElNS0_10empty_typeEbEEZZNS1_14partition_implILS5_8ELb0ES3_jPlPS6_PKS6_NS0_5tupleIJS9_S6_EEENSD_IJSA_SA_EEENS0_18inequality_wrapperIZN2at6native12_GLOBAL__N_124unique_dim_cuda_templateIaEESt5tupleIJNSH_6TensorESM_SM_EERKSM_lbbbEUlllE0_EEPmJS6_EEE10hipError_tPvRmT3_T4_T5_T6_T7_T9_mT8_P12ihipStream_tbDpT10_ENKUlT_T0_E_clISt17integral_constantIbLb1EES1B_IbLb0EEEEDaS17_S18_EUlS17_E_NS1_11comp_targetILNS1_3genE8ELNS1_11target_archE1030ELNS1_3gpuE2ELNS1_3repE0EEENS1_30default_config_static_selectorELNS0_4arch9wavefront6targetE1EEEvT1_,comdat
	.globl	_ZN7rocprim17ROCPRIM_400000_NS6detail17trampoline_kernelINS0_14default_configENS1_25partition_config_selectorILNS1_17partition_subalgoE8ElNS0_10empty_typeEbEEZZNS1_14partition_implILS5_8ELb0ES3_jPlPS6_PKS6_NS0_5tupleIJS9_S6_EEENSD_IJSA_SA_EEENS0_18inequality_wrapperIZN2at6native12_GLOBAL__N_124unique_dim_cuda_templateIaEESt5tupleIJNSH_6TensorESM_SM_EERKSM_lbbbEUlllE0_EEPmJS6_EEE10hipError_tPvRmT3_T4_T5_T6_T7_T9_mT8_P12ihipStream_tbDpT10_ENKUlT_T0_E_clISt17integral_constantIbLb1EES1B_IbLb0EEEEDaS17_S18_EUlS17_E_NS1_11comp_targetILNS1_3genE8ELNS1_11target_archE1030ELNS1_3gpuE2ELNS1_3repE0EEENS1_30default_config_static_selectorELNS0_4arch9wavefront6targetE1EEEvT1_ ; -- Begin function _ZN7rocprim17ROCPRIM_400000_NS6detail17trampoline_kernelINS0_14default_configENS1_25partition_config_selectorILNS1_17partition_subalgoE8ElNS0_10empty_typeEbEEZZNS1_14partition_implILS5_8ELb0ES3_jPlPS6_PKS6_NS0_5tupleIJS9_S6_EEENSD_IJSA_SA_EEENS0_18inequality_wrapperIZN2at6native12_GLOBAL__N_124unique_dim_cuda_templateIaEESt5tupleIJNSH_6TensorESM_SM_EERKSM_lbbbEUlllE0_EEPmJS6_EEE10hipError_tPvRmT3_T4_T5_T6_T7_T9_mT8_P12ihipStream_tbDpT10_ENKUlT_T0_E_clISt17integral_constantIbLb1EES1B_IbLb0EEEEDaS17_S18_EUlS17_E_NS1_11comp_targetILNS1_3genE8ELNS1_11target_archE1030ELNS1_3gpuE2ELNS1_3repE0EEENS1_30default_config_static_selectorELNS0_4arch9wavefront6targetE1EEEvT1_
	.p2align	8
	.type	_ZN7rocprim17ROCPRIM_400000_NS6detail17trampoline_kernelINS0_14default_configENS1_25partition_config_selectorILNS1_17partition_subalgoE8ElNS0_10empty_typeEbEEZZNS1_14partition_implILS5_8ELb0ES3_jPlPS6_PKS6_NS0_5tupleIJS9_S6_EEENSD_IJSA_SA_EEENS0_18inequality_wrapperIZN2at6native12_GLOBAL__N_124unique_dim_cuda_templateIaEESt5tupleIJNSH_6TensorESM_SM_EERKSM_lbbbEUlllE0_EEPmJS6_EEE10hipError_tPvRmT3_T4_T5_T6_T7_T9_mT8_P12ihipStream_tbDpT10_ENKUlT_T0_E_clISt17integral_constantIbLb1EES1B_IbLb0EEEEDaS17_S18_EUlS17_E_NS1_11comp_targetILNS1_3genE8ELNS1_11target_archE1030ELNS1_3gpuE2ELNS1_3repE0EEENS1_30default_config_static_selectorELNS0_4arch9wavefront6targetE1EEEvT1_,@function
_ZN7rocprim17ROCPRIM_400000_NS6detail17trampoline_kernelINS0_14default_configENS1_25partition_config_selectorILNS1_17partition_subalgoE8ElNS0_10empty_typeEbEEZZNS1_14partition_implILS5_8ELb0ES3_jPlPS6_PKS6_NS0_5tupleIJS9_S6_EEENSD_IJSA_SA_EEENS0_18inequality_wrapperIZN2at6native12_GLOBAL__N_124unique_dim_cuda_templateIaEESt5tupleIJNSH_6TensorESM_SM_EERKSM_lbbbEUlllE0_EEPmJS6_EEE10hipError_tPvRmT3_T4_T5_T6_T7_T9_mT8_P12ihipStream_tbDpT10_ENKUlT_T0_E_clISt17integral_constantIbLb1EES1B_IbLb0EEEEDaS17_S18_EUlS17_E_NS1_11comp_targetILNS1_3genE8ELNS1_11target_archE1030ELNS1_3gpuE2ELNS1_3repE0EEENS1_30default_config_static_selectorELNS0_4arch9wavefront6targetE1EEEvT1_: ; @_ZN7rocprim17ROCPRIM_400000_NS6detail17trampoline_kernelINS0_14default_configENS1_25partition_config_selectorILNS1_17partition_subalgoE8ElNS0_10empty_typeEbEEZZNS1_14partition_implILS5_8ELb0ES3_jPlPS6_PKS6_NS0_5tupleIJS9_S6_EEENSD_IJSA_SA_EEENS0_18inequality_wrapperIZN2at6native12_GLOBAL__N_124unique_dim_cuda_templateIaEESt5tupleIJNSH_6TensorESM_SM_EERKSM_lbbbEUlllE0_EEPmJS6_EEE10hipError_tPvRmT3_T4_T5_T6_T7_T9_mT8_P12ihipStream_tbDpT10_ENKUlT_T0_E_clISt17integral_constantIbLb1EES1B_IbLb0EEEEDaS17_S18_EUlS17_E_NS1_11comp_targetILNS1_3genE8ELNS1_11target_archE1030ELNS1_3gpuE2ELNS1_3repE0EEENS1_30default_config_static_selectorELNS0_4arch9wavefront6targetE1EEEvT1_
; %bb.0:
	.section	.rodata,"a",@progbits
	.p2align	6, 0x0
	.amdhsa_kernel _ZN7rocprim17ROCPRIM_400000_NS6detail17trampoline_kernelINS0_14default_configENS1_25partition_config_selectorILNS1_17partition_subalgoE8ElNS0_10empty_typeEbEEZZNS1_14partition_implILS5_8ELb0ES3_jPlPS6_PKS6_NS0_5tupleIJS9_S6_EEENSD_IJSA_SA_EEENS0_18inequality_wrapperIZN2at6native12_GLOBAL__N_124unique_dim_cuda_templateIaEESt5tupleIJNSH_6TensorESM_SM_EERKSM_lbbbEUlllE0_EEPmJS6_EEE10hipError_tPvRmT3_T4_T5_T6_T7_T9_mT8_P12ihipStream_tbDpT10_ENKUlT_T0_E_clISt17integral_constantIbLb1EES1B_IbLb0EEEEDaS17_S18_EUlS17_E_NS1_11comp_targetILNS1_3genE8ELNS1_11target_archE1030ELNS1_3gpuE2ELNS1_3repE0EEENS1_30default_config_static_selectorELNS0_4arch9wavefront6targetE1EEEvT1_
		.amdhsa_group_segment_fixed_size 0
		.amdhsa_private_segment_fixed_size 0
		.amdhsa_kernarg_size 120
		.amdhsa_user_sgpr_count 6
		.amdhsa_user_sgpr_private_segment_buffer 1
		.amdhsa_user_sgpr_dispatch_ptr 0
		.amdhsa_user_sgpr_queue_ptr 0
		.amdhsa_user_sgpr_kernarg_segment_ptr 1
		.amdhsa_user_sgpr_dispatch_id 0
		.amdhsa_user_sgpr_flat_scratch_init 0
		.amdhsa_user_sgpr_kernarg_preload_length 0
		.amdhsa_user_sgpr_kernarg_preload_offset 0
		.amdhsa_user_sgpr_private_segment_size 0
		.amdhsa_uses_dynamic_stack 0
		.amdhsa_system_sgpr_private_segment_wavefront_offset 0
		.amdhsa_system_sgpr_workgroup_id_x 1
		.amdhsa_system_sgpr_workgroup_id_y 0
		.amdhsa_system_sgpr_workgroup_id_z 0
		.amdhsa_system_sgpr_workgroup_info 0
		.amdhsa_system_vgpr_workitem_id 0
		.amdhsa_next_free_vgpr 1
		.amdhsa_next_free_sgpr 0
		.amdhsa_accum_offset 4
		.amdhsa_reserve_vcc 0
		.amdhsa_reserve_flat_scratch 0
		.amdhsa_float_round_mode_32 0
		.amdhsa_float_round_mode_16_64 0
		.amdhsa_float_denorm_mode_32 3
		.amdhsa_float_denorm_mode_16_64 3
		.amdhsa_dx10_clamp 1
		.amdhsa_ieee_mode 1
		.amdhsa_fp16_overflow 0
		.amdhsa_tg_split 0
		.amdhsa_exception_fp_ieee_invalid_op 0
		.amdhsa_exception_fp_denorm_src 0
		.amdhsa_exception_fp_ieee_div_zero 0
		.amdhsa_exception_fp_ieee_overflow 0
		.amdhsa_exception_fp_ieee_underflow 0
		.amdhsa_exception_fp_ieee_inexact 0
		.amdhsa_exception_int_div_zero 0
	.end_amdhsa_kernel
	.section	.text._ZN7rocprim17ROCPRIM_400000_NS6detail17trampoline_kernelINS0_14default_configENS1_25partition_config_selectorILNS1_17partition_subalgoE8ElNS0_10empty_typeEbEEZZNS1_14partition_implILS5_8ELb0ES3_jPlPS6_PKS6_NS0_5tupleIJS9_S6_EEENSD_IJSA_SA_EEENS0_18inequality_wrapperIZN2at6native12_GLOBAL__N_124unique_dim_cuda_templateIaEESt5tupleIJNSH_6TensorESM_SM_EERKSM_lbbbEUlllE0_EEPmJS6_EEE10hipError_tPvRmT3_T4_T5_T6_T7_T9_mT8_P12ihipStream_tbDpT10_ENKUlT_T0_E_clISt17integral_constantIbLb1EES1B_IbLb0EEEEDaS17_S18_EUlS17_E_NS1_11comp_targetILNS1_3genE8ELNS1_11target_archE1030ELNS1_3gpuE2ELNS1_3repE0EEENS1_30default_config_static_selectorELNS0_4arch9wavefront6targetE1EEEvT1_,"axG",@progbits,_ZN7rocprim17ROCPRIM_400000_NS6detail17trampoline_kernelINS0_14default_configENS1_25partition_config_selectorILNS1_17partition_subalgoE8ElNS0_10empty_typeEbEEZZNS1_14partition_implILS5_8ELb0ES3_jPlPS6_PKS6_NS0_5tupleIJS9_S6_EEENSD_IJSA_SA_EEENS0_18inequality_wrapperIZN2at6native12_GLOBAL__N_124unique_dim_cuda_templateIaEESt5tupleIJNSH_6TensorESM_SM_EERKSM_lbbbEUlllE0_EEPmJS6_EEE10hipError_tPvRmT3_T4_T5_T6_T7_T9_mT8_P12ihipStream_tbDpT10_ENKUlT_T0_E_clISt17integral_constantIbLb1EES1B_IbLb0EEEEDaS17_S18_EUlS17_E_NS1_11comp_targetILNS1_3genE8ELNS1_11target_archE1030ELNS1_3gpuE2ELNS1_3repE0EEENS1_30default_config_static_selectorELNS0_4arch9wavefront6targetE1EEEvT1_,comdat
.Lfunc_end342:
	.size	_ZN7rocprim17ROCPRIM_400000_NS6detail17trampoline_kernelINS0_14default_configENS1_25partition_config_selectorILNS1_17partition_subalgoE8ElNS0_10empty_typeEbEEZZNS1_14partition_implILS5_8ELb0ES3_jPlPS6_PKS6_NS0_5tupleIJS9_S6_EEENSD_IJSA_SA_EEENS0_18inequality_wrapperIZN2at6native12_GLOBAL__N_124unique_dim_cuda_templateIaEESt5tupleIJNSH_6TensorESM_SM_EERKSM_lbbbEUlllE0_EEPmJS6_EEE10hipError_tPvRmT3_T4_T5_T6_T7_T9_mT8_P12ihipStream_tbDpT10_ENKUlT_T0_E_clISt17integral_constantIbLb1EES1B_IbLb0EEEEDaS17_S18_EUlS17_E_NS1_11comp_targetILNS1_3genE8ELNS1_11target_archE1030ELNS1_3gpuE2ELNS1_3repE0EEENS1_30default_config_static_selectorELNS0_4arch9wavefront6targetE1EEEvT1_, .Lfunc_end342-_ZN7rocprim17ROCPRIM_400000_NS6detail17trampoline_kernelINS0_14default_configENS1_25partition_config_selectorILNS1_17partition_subalgoE8ElNS0_10empty_typeEbEEZZNS1_14partition_implILS5_8ELb0ES3_jPlPS6_PKS6_NS0_5tupleIJS9_S6_EEENSD_IJSA_SA_EEENS0_18inequality_wrapperIZN2at6native12_GLOBAL__N_124unique_dim_cuda_templateIaEESt5tupleIJNSH_6TensorESM_SM_EERKSM_lbbbEUlllE0_EEPmJS6_EEE10hipError_tPvRmT3_T4_T5_T6_T7_T9_mT8_P12ihipStream_tbDpT10_ENKUlT_T0_E_clISt17integral_constantIbLb1EES1B_IbLb0EEEEDaS17_S18_EUlS17_E_NS1_11comp_targetILNS1_3genE8ELNS1_11target_archE1030ELNS1_3gpuE2ELNS1_3repE0EEENS1_30default_config_static_selectorELNS0_4arch9wavefront6targetE1EEEvT1_
                                        ; -- End function
	.section	.AMDGPU.csdata,"",@progbits
; Kernel info:
; codeLenInByte = 0
; NumSgprs: 4
; NumVgprs: 0
; NumAgprs: 0
; TotalNumVgprs: 0
; ScratchSize: 0
; MemoryBound: 0
; FloatMode: 240
; IeeeMode: 1
; LDSByteSize: 0 bytes/workgroup (compile time only)
; SGPRBlocks: 0
; VGPRBlocks: 0
; NumSGPRsForWavesPerEU: 4
; NumVGPRsForWavesPerEU: 1
; AccumOffset: 4
; Occupancy: 8
; WaveLimiterHint : 0
; COMPUTE_PGM_RSRC2:SCRATCH_EN: 0
; COMPUTE_PGM_RSRC2:USER_SGPR: 6
; COMPUTE_PGM_RSRC2:TRAP_HANDLER: 0
; COMPUTE_PGM_RSRC2:TGID_X_EN: 1
; COMPUTE_PGM_RSRC2:TGID_Y_EN: 0
; COMPUTE_PGM_RSRC2:TGID_Z_EN: 0
; COMPUTE_PGM_RSRC2:TIDIG_COMP_CNT: 0
; COMPUTE_PGM_RSRC3_GFX90A:ACCUM_OFFSET: 0
; COMPUTE_PGM_RSRC3_GFX90A:TG_SPLIT: 0
	.section	.text._ZN7rocprim17ROCPRIM_400000_NS6detail17trampoline_kernelINS0_14default_configENS1_25partition_config_selectorILNS1_17partition_subalgoE8ElNS0_10empty_typeEbEEZZNS1_14partition_implILS5_8ELb0ES3_jPlPS6_PKS6_NS0_5tupleIJS9_S6_EEENSD_IJSA_SA_EEENS0_18inequality_wrapperIZN2at6native12_GLOBAL__N_124unique_dim_cuda_templateIaEESt5tupleIJNSH_6TensorESM_SM_EERKSM_lbbbEUlllE0_EEPmJS6_EEE10hipError_tPvRmT3_T4_T5_T6_T7_T9_mT8_P12ihipStream_tbDpT10_ENKUlT_T0_E_clISt17integral_constantIbLb0EES1B_IbLb1EEEEDaS17_S18_EUlS17_E_NS1_11comp_targetILNS1_3genE0ELNS1_11target_archE4294967295ELNS1_3gpuE0ELNS1_3repE0EEENS1_30default_config_static_selectorELNS0_4arch9wavefront6targetE1EEEvT1_,"axG",@progbits,_ZN7rocprim17ROCPRIM_400000_NS6detail17trampoline_kernelINS0_14default_configENS1_25partition_config_selectorILNS1_17partition_subalgoE8ElNS0_10empty_typeEbEEZZNS1_14partition_implILS5_8ELb0ES3_jPlPS6_PKS6_NS0_5tupleIJS9_S6_EEENSD_IJSA_SA_EEENS0_18inequality_wrapperIZN2at6native12_GLOBAL__N_124unique_dim_cuda_templateIaEESt5tupleIJNSH_6TensorESM_SM_EERKSM_lbbbEUlllE0_EEPmJS6_EEE10hipError_tPvRmT3_T4_T5_T6_T7_T9_mT8_P12ihipStream_tbDpT10_ENKUlT_T0_E_clISt17integral_constantIbLb0EES1B_IbLb1EEEEDaS17_S18_EUlS17_E_NS1_11comp_targetILNS1_3genE0ELNS1_11target_archE4294967295ELNS1_3gpuE0ELNS1_3repE0EEENS1_30default_config_static_selectorELNS0_4arch9wavefront6targetE1EEEvT1_,comdat
	.globl	_ZN7rocprim17ROCPRIM_400000_NS6detail17trampoline_kernelINS0_14default_configENS1_25partition_config_selectorILNS1_17partition_subalgoE8ElNS0_10empty_typeEbEEZZNS1_14partition_implILS5_8ELb0ES3_jPlPS6_PKS6_NS0_5tupleIJS9_S6_EEENSD_IJSA_SA_EEENS0_18inequality_wrapperIZN2at6native12_GLOBAL__N_124unique_dim_cuda_templateIaEESt5tupleIJNSH_6TensorESM_SM_EERKSM_lbbbEUlllE0_EEPmJS6_EEE10hipError_tPvRmT3_T4_T5_T6_T7_T9_mT8_P12ihipStream_tbDpT10_ENKUlT_T0_E_clISt17integral_constantIbLb0EES1B_IbLb1EEEEDaS17_S18_EUlS17_E_NS1_11comp_targetILNS1_3genE0ELNS1_11target_archE4294967295ELNS1_3gpuE0ELNS1_3repE0EEENS1_30default_config_static_selectorELNS0_4arch9wavefront6targetE1EEEvT1_ ; -- Begin function _ZN7rocprim17ROCPRIM_400000_NS6detail17trampoline_kernelINS0_14default_configENS1_25partition_config_selectorILNS1_17partition_subalgoE8ElNS0_10empty_typeEbEEZZNS1_14partition_implILS5_8ELb0ES3_jPlPS6_PKS6_NS0_5tupleIJS9_S6_EEENSD_IJSA_SA_EEENS0_18inequality_wrapperIZN2at6native12_GLOBAL__N_124unique_dim_cuda_templateIaEESt5tupleIJNSH_6TensorESM_SM_EERKSM_lbbbEUlllE0_EEPmJS6_EEE10hipError_tPvRmT3_T4_T5_T6_T7_T9_mT8_P12ihipStream_tbDpT10_ENKUlT_T0_E_clISt17integral_constantIbLb0EES1B_IbLb1EEEEDaS17_S18_EUlS17_E_NS1_11comp_targetILNS1_3genE0ELNS1_11target_archE4294967295ELNS1_3gpuE0ELNS1_3repE0EEENS1_30default_config_static_selectorELNS0_4arch9wavefront6targetE1EEEvT1_
	.p2align	8
	.type	_ZN7rocprim17ROCPRIM_400000_NS6detail17trampoline_kernelINS0_14default_configENS1_25partition_config_selectorILNS1_17partition_subalgoE8ElNS0_10empty_typeEbEEZZNS1_14partition_implILS5_8ELb0ES3_jPlPS6_PKS6_NS0_5tupleIJS9_S6_EEENSD_IJSA_SA_EEENS0_18inequality_wrapperIZN2at6native12_GLOBAL__N_124unique_dim_cuda_templateIaEESt5tupleIJNSH_6TensorESM_SM_EERKSM_lbbbEUlllE0_EEPmJS6_EEE10hipError_tPvRmT3_T4_T5_T6_T7_T9_mT8_P12ihipStream_tbDpT10_ENKUlT_T0_E_clISt17integral_constantIbLb0EES1B_IbLb1EEEEDaS17_S18_EUlS17_E_NS1_11comp_targetILNS1_3genE0ELNS1_11target_archE4294967295ELNS1_3gpuE0ELNS1_3repE0EEENS1_30default_config_static_selectorELNS0_4arch9wavefront6targetE1EEEvT1_,@function
_ZN7rocprim17ROCPRIM_400000_NS6detail17trampoline_kernelINS0_14default_configENS1_25partition_config_selectorILNS1_17partition_subalgoE8ElNS0_10empty_typeEbEEZZNS1_14partition_implILS5_8ELb0ES3_jPlPS6_PKS6_NS0_5tupleIJS9_S6_EEENSD_IJSA_SA_EEENS0_18inequality_wrapperIZN2at6native12_GLOBAL__N_124unique_dim_cuda_templateIaEESt5tupleIJNSH_6TensorESM_SM_EERKSM_lbbbEUlllE0_EEPmJS6_EEE10hipError_tPvRmT3_T4_T5_T6_T7_T9_mT8_P12ihipStream_tbDpT10_ENKUlT_T0_E_clISt17integral_constantIbLb0EES1B_IbLb1EEEEDaS17_S18_EUlS17_E_NS1_11comp_targetILNS1_3genE0ELNS1_11target_archE4294967295ELNS1_3gpuE0ELNS1_3repE0EEENS1_30default_config_static_selectorELNS0_4arch9wavefront6targetE1EEEvT1_: ; @_ZN7rocprim17ROCPRIM_400000_NS6detail17trampoline_kernelINS0_14default_configENS1_25partition_config_selectorILNS1_17partition_subalgoE8ElNS0_10empty_typeEbEEZZNS1_14partition_implILS5_8ELb0ES3_jPlPS6_PKS6_NS0_5tupleIJS9_S6_EEENSD_IJSA_SA_EEENS0_18inequality_wrapperIZN2at6native12_GLOBAL__N_124unique_dim_cuda_templateIaEESt5tupleIJNSH_6TensorESM_SM_EERKSM_lbbbEUlllE0_EEPmJS6_EEE10hipError_tPvRmT3_T4_T5_T6_T7_T9_mT8_P12ihipStream_tbDpT10_ENKUlT_T0_E_clISt17integral_constantIbLb0EES1B_IbLb1EEEEDaS17_S18_EUlS17_E_NS1_11comp_targetILNS1_3genE0ELNS1_11target_archE4294967295ELNS1_3gpuE0ELNS1_3repE0EEENS1_30default_config_static_selectorELNS0_4arch9wavefront6targetE1EEEvT1_
; %bb.0:
	.section	.rodata,"a",@progbits
	.p2align	6, 0x0
	.amdhsa_kernel _ZN7rocprim17ROCPRIM_400000_NS6detail17trampoline_kernelINS0_14default_configENS1_25partition_config_selectorILNS1_17partition_subalgoE8ElNS0_10empty_typeEbEEZZNS1_14partition_implILS5_8ELb0ES3_jPlPS6_PKS6_NS0_5tupleIJS9_S6_EEENSD_IJSA_SA_EEENS0_18inequality_wrapperIZN2at6native12_GLOBAL__N_124unique_dim_cuda_templateIaEESt5tupleIJNSH_6TensorESM_SM_EERKSM_lbbbEUlllE0_EEPmJS6_EEE10hipError_tPvRmT3_T4_T5_T6_T7_T9_mT8_P12ihipStream_tbDpT10_ENKUlT_T0_E_clISt17integral_constantIbLb0EES1B_IbLb1EEEEDaS17_S18_EUlS17_E_NS1_11comp_targetILNS1_3genE0ELNS1_11target_archE4294967295ELNS1_3gpuE0ELNS1_3repE0EEENS1_30default_config_static_selectorELNS0_4arch9wavefront6targetE1EEEvT1_
		.amdhsa_group_segment_fixed_size 0
		.amdhsa_private_segment_fixed_size 0
		.amdhsa_kernarg_size 136
		.amdhsa_user_sgpr_count 6
		.amdhsa_user_sgpr_private_segment_buffer 1
		.amdhsa_user_sgpr_dispatch_ptr 0
		.amdhsa_user_sgpr_queue_ptr 0
		.amdhsa_user_sgpr_kernarg_segment_ptr 1
		.amdhsa_user_sgpr_dispatch_id 0
		.amdhsa_user_sgpr_flat_scratch_init 0
		.amdhsa_user_sgpr_kernarg_preload_length 0
		.amdhsa_user_sgpr_kernarg_preload_offset 0
		.amdhsa_user_sgpr_private_segment_size 0
		.amdhsa_uses_dynamic_stack 0
		.amdhsa_system_sgpr_private_segment_wavefront_offset 0
		.amdhsa_system_sgpr_workgroup_id_x 1
		.amdhsa_system_sgpr_workgroup_id_y 0
		.amdhsa_system_sgpr_workgroup_id_z 0
		.amdhsa_system_sgpr_workgroup_info 0
		.amdhsa_system_vgpr_workitem_id 0
		.amdhsa_next_free_vgpr 1
		.amdhsa_next_free_sgpr 0
		.amdhsa_accum_offset 4
		.amdhsa_reserve_vcc 0
		.amdhsa_reserve_flat_scratch 0
		.amdhsa_float_round_mode_32 0
		.amdhsa_float_round_mode_16_64 0
		.amdhsa_float_denorm_mode_32 3
		.amdhsa_float_denorm_mode_16_64 3
		.amdhsa_dx10_clamp 1
		.amdhsa_ieee_mode 1
		.amdhsa_fp16_overflow 0
		.amdhsa_tg_split 0
		.amdhsa_exception_fp_ieee_invalid_op 0
		.amdhsa_exception_fp_denorm_src 0
		.amdhsa_exception_fp_ieee_div_zero 0
		.amdhsa_exception_fp_ieee_overflow 0
		.amdhsa_exception_fp_ieee_underflow 0
		.amdhsa_exception_fp_ieee_inexact 0
		.amdhsa_exception_int_div_zero 0
	.end_amdhsa_kernel
	.section	.text._ZN7rocprim17ROCPRIM_400000_NS6detail17trampoline_kernelINS0_14default_configENS1_25partition_config_selectorILNS1_17partition_subalgoE8ElNS0_10empty_typeEbEEZZNS1_14partition_implILS5_8ELb0ES3_jPlPS6_PKS6_NS0_5tupleIJS9_S6_EEENSD_IJSA_SA_EEENS0_18inequality_wrapperIZN2at6native12_GLOBAL__N_124unique_dim_cuda_templateIaEESt5tupleIJNSH_6TensorESM_SM_EERKSM_lbbbEUlllE0_EEPmJS6_EEE10hipError_tPvRmT3_T4_T5_T6_T7_T9_mT8_P12ihipStream_tbDpT10_ENKUlT_T0_E_clISt17integral_constantIbLb0EES1B_IbLb1EEEEDaS17_S18_EUlS17_E_NS1_11comp_targetILNS1_3genE0ELNS1_11target_archE4294967295ELNS1_3gpuE0ELNS1_3repE0EEENS1_30default_config_static_selectorELNS0_4arch9wavefront6targetE1EEEvT1_,"axG",@progbits,_ZN7rocprim17ROCPRIM_400000_NS6detail17trampoline_kernelINS0_14default_configENS1_25partition_config_selectorILNS1_17partition_subalgoE8ElNS0_10empty_typeEbEEZZNS1_14partition_implILS5_8ELb0ES3_jPlPS6_PKS6_NS0_5tupleIJS9_S6_EEENSD_IJSA_SA_EEENS0_18inequality_wrapperIZN2at6native12_GLOBAL__N_124unique_dim_cuda_templateIaEESt5tupleIJNSH_6TensorESM_SM_EERKSM_lbbbEUlllE0_EEPmJS6_EEE10hipError_tPvRmT3_T4_T5_T6_T7_T9_mT8_P12ihipStream_tbDpT10_ENKUlT_T0_E_clISt17integral_constantIbLb0EES1B_IbLb1EEEEDaS17_S18_EUlS17_E_NS1_11comp_targetILNS1_3genE0ELNS1_11target_archE4294967295ELNS1_3gpuE0ELNS1_3repE0EEENS1_30default_config_static_selectorELNS0_4arch9wavefront6targetE1EEEvT1_,comdat
.Lfunc_end343:
	.size	_ZN7rocprim17ROCPRIM_400000_NS6detail17trampoline_kernelINS0_14default_configENS1_25partition_config_selectorILNS1_17partition_subalgoE8ElNS0_10empty_typeEbEEZZNS1_14partition_implILS5_8ELb0ES3_jPlPS6_PKS6_NS0_5tupleIJS9_S6_EEENSD_IJSA_SA_EEENS0_18inequality_wrapperIZN2at6native12_GLOBAL__N_124unique_dim_cuda_templateIaEESt5tupleIJNSH_6TensorESM_SM_EERKSM_lbbbEUlllE0_EEPmJS6_EEE10hipError_tPvRmT3_T4_T5_T6_T7_T9_mT8_P12ihipStream_tbDpT10_ENKUlT_T0_E_clISt17integral_constantIbLb0EES1B_IbLb1EEEEDaS17_S18_EUlS17_E_NS1_11comp_targetILNS1_3genE0ELNS1_11target_archE4294967295ELNS1_3gpuE0ELNS1_3repE0EEENS1_30default_config_static_selectorELNS0_4arch9wavefront6targetE1EEEvT1_, .Lfunc_end343-_ZN7rocprim17ROCPRIM_400000_NS6detail17trampoline_kernelINS0_14default_configENS1_25partition_config_selectorILNS1_17partition_subalgoE8ElNS0_10empty_typeEbEEZZNS1_14partition_implILS5_8ELb0ES3_jPlPS6_PKS6_NS0_5tupleIJS9_S6_EEENSD_IJSA_SA_EEENS0_18inequality_wrapperIZN2at6native12_GLOBAL__N_124unique_dim_cuda_templateIaEESt5tupleIJNSH_6TensorESM_SM_EERKSM_lbbbEUlllE0_EEPmJS6_EEE10hipError_tPvRmT3_T4_T5_T6_T7_T9_mT8_P12ihipStream_tbDpT10_ENKUlT_T0_E_clISt17integral_constantIbLb0EES1B_IbLb1EEEEDaS17_S18_EUlS17_E_NS1_11comp_targetILNS1_3genE0ELNS1_11target_archE4294967295ELNS1_3gpuE0ELNS1_3repE0EEENS1_30default_config_static_selectorELNS0_4arch9wavefront6targetE1EEEvT1_
                                        ; -- End function
	.section	.AMDGPU.csdata,"",@progbits
; Kernel info:
; codeLenInByte = 0
; NumSgprs: 4
; NumVgprs: 0
; NumAgprs: 0
; TotalNumVgprs: 0
; ScratchSize: 0
; MemoryBound: 0
; FloatMode: 240
; IeeeMode: 1
; LDSByteSize: 0 bytes/workgroup (compile time only)
; SGPRBlocks: 0
; VGPRBlocks: 0
; NumSGPRsForWavesPerEU: 4
; NumVGPRsForWavesPerEU: 1
; AccumOffset: 4
; Occupancy: 8
; WaveLimiterHint : 0
; COMPUTE_PGM_RSRC2:SCRATCH_EN: 0
; COMPUTE_PGM_RSRC2:USER_SGPR: 6
; COMPUTE_PGM_RSRC2:TRAP_HANDLER: 0
; COMPUTE_PGM_RSRC2:TGID_X_EN: 1
; COMPUTE_PGM_RSRC2:TGID_Y_EN: 0
; COMPUTE_PGM_RSRC2:TGID_Z_EN: 0
; COMPUTE_PGM_RSRC2:TIDIG_COMP_CNT: 0
; COMPUTE_PGM_RSRC3_GFX90A:ACCUM_OFFSET: 0
; COMPUTE_PGM_RSRC3_GFX90A:TG_SPLIT: 0
	.section	.text._ZN7rocprim17ROCPRIM_400000_NS6detail17trampoline_kernelINS0_14default_configENS1_25partition_config_selectorILNS1_17partition_subalgoE8ElNS0_10empty_typeEbEEZZNS1_14partition_implILS5_8ELb0ES3_jPlPS6_PKS6_NS0_5tupleIJS9_S6_EEENSD_IJSA_SA_EEENS0_18inequality_wrapperIZN2at6native12_GLOBAL__N_124unique_dim_cuda_templateIaEESt5tupleIJNSH_6TensorESM_SM_EERKSM_lbbbEUlllE0_EEPmJS6_EEE10hipError_tPvRmT3_T4_T5_T6_T7_T9_mT8_P12ihipStream_tbDpT10_ENKUlT_T0_E_clISt17integral_constantIbLb0EES1B_IbLb1EEEEDaS17_S18_EUlS17_E_NS1_11comp_targetILNS1_3genE5ELNS1_11target_archE942ELNS1_3gpuE9ELNS1_3repE0EEENS1_30default_config_static_selectorELNS0_4arch9wavefront6targetE1EEEvT1_,"axG",@progbits,_ZN7rocprim17ROCPRIM_400000_NS6detail17trampoline_kernelINS0_14default_configENS1_25partition_config_selectorILNS1_17partition_subalgoE8ElNS0_10empty_typeEbEEZZNS1_14partition_implILS5_8ELb0ES3_jPlPS6_PKS6_NS0_5tupleIJS9_S6_EEENSD_IJSA_SA_EEENS0_18inequality_wrapperIZN2at6native12_GLOBAL__N_124unique_dim_cuda_templateIaEESt5tupleIJNSH_6TensorESM_SM_EERKSM_lbbbEUlllE0_EEPmJS6_EEE10hipError_tPvRmT3_T4_T5_T6_T7_T9_mT8_P12ihipStream_tbDpT10_ENKUlT_T0_E_clISt17integral_constantIbLb0EES1B_IbLb1EEEEDaS17_S18_EUlS17_E_NS1_11comp_targetILNS1_3genE5ELNS1_11target_archE942ELNS1_3gpuE9ELNS1_3repE0EEENS1_30default_config_static_selectorELNS0_4arch9wavefront6targetE1EEEvT1_,comdat
	.globl	_ZN7rocprim17ROCPRIM_400000_NS6detail17trampoline_kernelINS0_14default_configENS1_25partition_config_selectorILNS1_17partition_subalgoE8ElNS0_10empty_typeEbEEZZNS1_14partition_implILS5_8ELb0ES3_jPlPS6_PKS6_NS0_5tupleIJS9_S6_EEENSD_IJSA_SA_EEENS0_18inequality_wrapperIZN2at6native12_GLOBAL__N_124unique_dim_cuda_templateIaEESt5tupleIJNSH_6TensorESM_SM_EERKSM_lbbbEUlllE0_EEPmJS6_EEE10hipError_tPvRmT3_T4_T5_T6_T7_T9_mT8_P12ihipStream_tbDpT10_ENKUlT_T0_E_clISt17integral_constantIbLb0EES1B_IbLb1EEEEDaS17_S18_EUlS17_E_NS1_11comp_targetILNS1_3genE5ELNS1_11target_archE942ELNS1_3gpuE9ELNS1_3repE0EEENS1_30default_config_static_selectorELNS0_4arch9wavefront6targetE1EEEvT1_ ; -- Begin function _ZN7rocprim17ROCPRIM_400000_NS6detail17trampoline_kernelINS0_14default_configENS1_25partition_config_selectorILNS1_17partition_subalgoE8ElNS0_10empty_typeEbEEZZNS1_14partition_implILS5_8ELb0ES3_jPlPS6_PKS6_NS0_5tupleIJS9_S6_EEENSD_IJSA_SA_EEENS0_18inequality_wrapperIZN2at6native12_GLOBAL__N_124unique_dim_cuda_templateIaEESt5tupleIJNSH_6TensorESM_SM_EERKSM_lbbbEUlllE0_EEPmJS6_EEE10hipError_tPvRmT3_T4_T5_T6_T7_T9_mT8_P12ihipStream_tbDpT10_ENKUlT_T0_E_clISt17integral_constantIbLb0EES1B_IbLb1EEEEDaS17_S18_EUlS17_E_NS1_11comp_targetILNS1_3genE5ELNS1_11target_archE942ELNS1_3gpuE9ELNS1_3repE0EEENS1_30default_config_static_selectorELNS0_4arch9wavefront6targetE1EEEvT1_
	.p2align	8
	.type	_ZN7rocprim17ROCPRIM_400000_NS6detail17trampoline_kernelINS0_14default_configENS1_25partition_config_selectorILNS1_17partition_subalgoE8ElNS0_10empty_typeEbEEZZNS1_14partition_implILS5_8ELb0ES3_jPlPS6_PKS6_NS0_5tupleIJS9_S6_EEENSD_IJSA_SA_EEENS0_18inequality_wrapperIZN2at6native12_GLOBAL__N_124unique_dim_cuda_templateIaEESt5tupleIJNSH_6TensorESM_SM_EERKSM_lbbbEUlllE0_EEPmJS6_EEE10hipError_tPvRmT3_T4_T5_T6_T7_T9_mT8_P12ihipStream_tbDpT10_ENKUlT_T0_E_clISt17integral_constantIbLb0EES1B_IbLb1EEEEDaS17_S18_EUlS17_E_NS1_11comp_targetILNS1_3genE5ELNS1_11target_archE942ELNS1_3gpuE9ELNS1_3repE0EEENS1_30default_config_static_selectorELNS0_4arch9wavefront6targetE1EEEvT1_,@function
_ZN7rocprim17ROCPRIM_400000_NS6detail17trampoline_kernelINS0_14default_configENS1_25partition_config_selectorILNS1_17partition_subalgoE8ElNS0_10empty_typeEbEEZZNS1_14partition_implILS5_8ELb0ES3_jPlPS6_PKS6_NS0_5tupleIJS9_S6_EEENSD_IJSA_SA_EEENS0_18inequality_wrapperIZN2at6native12_GLOBAL__N_124unique_dim_cuda_templateIaEESt5tupleIJNSH_6TensorESM_SM_EERKSM_lbbbEUlllE0_EEPmJS6_EEE10hipError_tPvRmT3_T4_T5_T6_T7_T9_mT8_P12ihipStream_tbDpT10_ENKUlT_T0_E_clISt17integral_constantIbLb0EES1B_IbLb1EEEEDaS17_S18_EUlS17_E_NS1_11comp_targetILNS1_3genE5ELNS1_11target_archE942ELNS1_3gpuE9ELNS1_3repE0EEENS1_30default_config_static_selectorELNS0_4arch9wavefront6targetE1EEEvT1_: ; @_ZN7rocprim17ROCPRIM_400000_NS6detail17trampoline_kernelINS0_14default_configENS1_25partition_config_selectorILNS1_17partition_subalgoE8ElNS0_10empty_typeEbEEZZNS1_14partition_implILS5_8ELb0ES3_jPlPS6_PKS6_NS0_5tupleIJS9_S6_EEENSD_IJSA_SA_EEENS0_18inequality_wrapperIZN2at6native12_GLOBAL__N_124unique_dim_cuda_templateIaEESt5tupleIJNSH_6TensorESM_SM_EERKSM_lbbbEUlllE0_EEPmJS6_EEE10hipError_tPvRmT3_T4_T5_T6_T7_T9_mT8_P12ihipStream_tbDpT10_ENKUlT_T0_E_clISt17integral_constantIbLb0EES1B_IbLb1EEEEDaS17_S18_EUlS17_E_NS1_11comp_targetILNS1_3genE5ELNS1_11target_archE942ELNS1_3gpuE9ELNS1_3repE0EEENS1_30default_config_static_selectorELNS0_4arch9wavefront6targetE1EEEvT1_
; %bb.0:
	.section	.rodata,"a",@progbits
	.p2align	6, 0x0
	.amdhsa_kernel _ZN7rocprim17ROCPRIM_400000_NS6detail17trampoline_kernelINS0_14default_configENS1_25partition_config_selectorILNS1_17partition_subalgoE8ElNS0_10empty_typeEbEEZZNS1_14partition_implILS5_8ELb0ES3_jPlPS6_PKS6_NS0_5tupleIJS9_S6_EEENSD_IJSA_SA_EEENS0_18inequality_wrapperIZN2at6native12_GLOBAL__N_124unique_dim_cuda_templateIaEESt5tupleIJNSH_6TensorESM_SM_EERKSM_lbbbEUlllE0_EEPmJS6_EEE10hipError_tPvRmT3_T4_T5_T6_T7_T9_mT8_P12ihipStream_tbDpT10_ENKUlT_T0_E_clISt17integral_constantIbLb0EES1B_IbLb1EEEEDaS17_S18_EUlS17_E_NS1_11comp_targetILNS1_3genE5ELNS1_11target_archE942ELNS1_3gpuE9ELNS1_3repE0EEENS1_30default_config_static_selectorELNS0_4arch9wavefront6targetE1EEEvT1_
		.amdhsa_group_segment_fixed_size 0
		.amdhsa_private_segment_fixed_size 0
		.amdhsa_kernarg_size 136
		.amdhsa_user_sgpr_count 6
		.amdhsa_user_sgpr_private_segment_buffer 1
		.amdhsa_user_sgpr_dispatch_ptr 0
		.amdhsa_user_sgpr_queue_ptr 0
		.amdhsa_user_sgpr_kernarg_segment_ptr 1
		.amdhsa_user_sgpr_dispatch_id 0
		.amdhsa_user_sgpr_flat_scratch_init 0
		.amdhsa_user_sgpr_kernarg_preload_length 0
		.amdhsa_user_sgpr_kernarg_preload_offset 0
		.amdhsa_user_sgpr_private_segment_size 0
		.amdhsa_uses_dynamic_stack 0
		.amdhsa_system_sgpr_private_segment_wavefront_offset 0
		.amdhsa_system_sgpr_workgroup_id_x 1
		.amdhsa_system_sgpr_workgroup_id_y 0
		.amdhsa_system_sgpr_workgroup_id_z 0
		.amdhsa_system_sgpr_workgroup_info 0
		.amdhsa_system_vgpr_workitem_id 0
		.amdhsa_next_free_vgpr 1
		.amdhsa_next_free_sgpr 0
		.amdhsa_accum_offset 4
		.amdhsa_reserve_vcc 0
		.amdhsa_reserve_flat_scratch 0
		.amdhsa_float_round_mode_32 0
		.amdhsa_float_round_mode_16_64 0
		.amdhsa_float_denorm_mode_32 3
		.amdhsa_float_denorm_mode_16_64 3
		.amdhsa_dx10_clamp 1
		.amdhsa_ieee_mode 1
		.amdhsa_fp16_overflow 0
		.amdhsa_tg_split 0
		.amdhsa_exception_fp_ieee_invalid_op 0
		.amdhsa_exception_fp_denorm_src 0
		.amdhsa_exception_fp_ieee_div_zero 0
		.amdhsa_exception_fp_ieee_overflow 0
		.amdhsa_exception_fp_ieee_underflow 0
		.amdhsa_exception_fp_ieee_inexact 0
		.amdhsa_exception_int_div_zero 0
	.end_amdhsa_kernel
	.section	.text._ZN7rocprim17ROCPRIM_400000_NS6detail17trampoline_kernelINS0_14default_configENS1_25partition_config_selectorILNS1_17partition_subalgoE8ElNS0_10empty_typeEbEEZZNS1_14partition_implILS5_8ELb0ES3_jPlPS6_PKS6_NS0_5tupleIJS9_S6_EEENSD_IJSA_SA_EEENS0_18inequality_wrapperIZN2at6native12_GLOBAL__N_124unique_dim_cuda_templateIaEESt5tupleIJNSH_6TensorESM_SM_EERKSM_lbbbEUlllE0_EEPmJS6_EEE10hipError_tPvRmT3_T4_T5_T6_T7_T9_mT8_P12ihipStream_tbDpT10_ENKUlT_T0_E_clISt17integral_constantIbLb0EES1B_IbLb1EEEEDaS17_S18_EUlS17_E_NS1_11comp_targetILNS1_3genE5ELNS1_11target_archE942ELNS1_3gpuE9ELNS1_3repE0EEENS1_30default_config_static_selectorELNS0_4arch9wavefront6targetE1EEEvT1_,"axG",@progbits,_ZN7rocprim17ROCPRIM_400000_NS6detail17trampoline_kernelINS0_14default_configENS1_25partition_config_selectorILNS1_17partition_subalgoE8ElNS0_10empty_typeEbEEZZNS1_14partition_implILS5_8ELb0ES3_jPlPS6_PKS6_NS0_5tupleIJS9_S6_EEENSD_IJSA_SA_EEENS0_18inequality_wrapperIZN2at6native12_GLOBAL__N_124unique_dim_cuda_templateIaEESt5tupleIJNSH_6TensorESM_SM_EERKSM_lbbbEUlllE0_EEPmJS6_EEE10hipError_tPvRmT3_T4_T5_T6_T7_T9_mT8_P12ihipStream_tbDpT10_ENKUlT_T0_E_clISt17integral_constantIbLb0EES1B_IbLb1EEEEDaS17_S18_EUlS17_E_NS1_11comp_targetILNS1_3genE5ELNS1_11target_archE942ELNS1_3gpuE9ELNS1_3repE0EEENS1_30default_config_static_selectorELNS0_4arch9wavefront6targetE1EEEvT1_,comdat
.Lfunc_end344:
	.size	_ZN7rocprim17ROCPRIM_400000_NS6detail17trampoline_kernelINS0_14default_configENS1_25partition_config_selectorILNS1_17partition_subalgoE8ElNS0_10empty_typeEbEEZZNS1_14partition_implILS5_8ELb0ES3_jPlPS6_PKS6_NS0_5tupleIJS9_S6_EEENSD_IJSA_SA_EEENS0_18inequality_wrapperIZN2at6native12_GLOBAL__N_124unique_dim_cuda_templateIaEESt5tupleIJNSH_6TensorESM_SM_EERKSM_lbbbEUlllE0_EEPmJS6_EEE10hipError_tPvRmT3_T4_T5_T6_T7_T9_mT8_P12ihipStream_tbDpT10_ENKUlT_T0_E_clISt17integral_constantIbLb0EES1B_IbLb1EEEEDaS17_S18_EUlS17_E_NS1_11comp_targetILNS1_3genE5ELNS1_11target_archE942ELNS1_3gpuE9ELNS1_3repE0EEENS1_30default_config_static_selectorELNS0_4arch9wavefront6targetE1EEEvT1_, .Lfunc_end344-_ZN7rocprim17ROCPRIM_400000_NS6detail17trampoline_kernelINS0_14default_configENS1_25partition_config_selectorILNS1_17partition_subalgoE8ElNS0_10empty_typeEbEEZZNS1_14partition_implILS5_8ELb0ES3_jPlPS6_PKS6_NS0_5tupleIJS9_S6_EEENSD_IJSA_SA_EEENS0_18inequality_wrapperIZN2at6native12_GLOBAL__N_124unique_dim_cuda_templateIaEESt5tupleIJNSH_6TensorESM_SM_EERKSM_lbbbEUlllE0_EEPmJS6_EEE10hipError_tPvRmT3_T4_T5_T6_T7_T9_mT8_P12ihipStream_tbDpT10_ENKUlT_T0_E_clISt17integral_constantIbLb0EES1B_IbLb1EEEEDaS17_S18_EUlS17_E_NS1_11comp_targetILNS1_3genE5ELNS1_11target_archE942ELNS1_3gpuE9ELNS1_3repE0EEENS1_30default_config_static_selectorELNS0_4arch9wavefront6targetE1EEEvT1_
                                        ; -- End function
	.section	.AMDGPU.csdata,"",@progbits
; Kernel info:
; codeLenInByte = 0
; NumSgprs: 4
; NumVgprs: 0
; NumAgprs: 0
; TotalNumVgprs: 0
; ScratchSize: 0
; MemoryBound: 0
; FloatMode: 240
; IeeeMode: 1
; LDSByteSize: 0 bytes/workgroup (compile time only)
; SGPRBlocks: 0
; VGPRBlocks: 0
; NumSGPRsForWavesPerEU: 4
; NumVGPRsForWavesPerEU: 1
; AccumOffset: 4
; Occupancy: 8
; WaveLimiterHint : 0
; COMPUTE_PGM_RSRC2:SCRATCH_EN: 0
; COMPUTE_PGM_RSRC2:USER_SGPR: 6
; COMPUTE_PGM_RSRC2:TRAP_HANDLER: 0
; COMPUTE_PGM_RSRC2:TGID_X_EN: 1
; COMPUTE_PGM_RSRC2:TGID_Y_EN: 0
; COMPUTE_PGM_RSRC2:TGID_Z_EN: 0
; COMPUTE_PGM_RSRC2:TIDIG_COMP_CNT: 0
; COMPUTE_PGM_RSRC3_GFX90A:ACCUM_OFFSET: 0
; COMPUTE_PGM_RSRC3_GFX90A:TG_SPLIT: 0
	.section	.text._ZN7rocprim17ROCPRIM_400000_NS6detail17trampoline_kernelINS0_14default_configENS1_25partition_config_selectorILNS1_17partition_subalgoE8ElNS0_10empty_typeEbEEZZNS1_14partition_implILS5_8ELb0ES3_jPlPS6_PKS6_NS0_5tupleIJS9_S6_EEENSD_IJSA_SA_EEENS0_18inequality_wrapperIZN2at6native12_GLOBAL__N_124unique_dim_cuda_templateIaEESt5tupleIJNSH_6TensorESM_SM_EERKSM_lbbbEUlllE0_EEPmJS6_EEE10hipError_tPvRmT3_T4_T5_T6_T7_T9_mT8_P12ihipStream_tbDpT10_ENKUlT_T0_E_clISt17integral_constantIbLb0EES1B_IbLb1EEEEDaS17_S18_EUlS17_E_NS1_11comp_targetILNS1_3genE4ELNS1_11target_archE910ELNS1_3gpuE8ELNS1_3repE0EEENS1_30default_config_static_selectorELNS0_4arch9wavefront6targetE1EEEvT1_,"axG",@progbits,_ZN7rocprim17ROCPRIM_400000_NS6detail17trampoline_kernelINS0_14default_configENS1_25partition_config_selectorILNS1_17partition_subalgoE8ElNS0_10empty_typeEbEEZZNS1_14partition_implILS5_8ELb0ES3_jPlPS6_PKS6_NS0_5tupleIJS9_S6_EEENSD_IJSA_SA_EEENS0_18inequality_wrapperIZN2at6native12_GLOBAL__N_124unique_dim_cuda_templateIaEESt5tupleIJNSH_6TensorESM_SM_EERKSM_lbbbEUlllE0_EEPmJS6_EEE10hipError_tPvRmT3_T4_T5_T6_T7_T9_mT8_P12ihipStream_tbDpT10_ENKUlT_T0_E_clISt17integral_constantIbLb0EES1B_IbLb1EEEEDaS17_S18_EUlS17_E_NS1_11comp_targetILNS1_3genE4ELNS1_11target_archE910ELNS1_3gpuE8ELNS1_3repE0EEENS1_30default_config_static_selectorELNS0_4arch9wavefront6targetE1EEEvT1_,comdat
	.globl	_ZN7rocprim17ROCPRIM_400000_NS6detail17trampoline_kernelINS0_14default_configENS1_25partition_config_selectorILNS1_17partition_subalgoE8ElNS0_10empty_typeEbEEZZNS1_14partition_implILS5_8ELb0ES3_jPlPS6_PKS6_NS0_5tupleIJS9_S6_EEENSD_IJSA_SA_EEENS0_18inequality_wrapperIZN2at6native12_GLOBAL__N_124unique_dim_cuda_templateIaEESt5tupleIJNSH_6TensorESM_SM_EERKSM_lbbbEUlllE0_EEPmJS6_EEE10hipError_tPvRmT3_T4_T5_T6_T7_T9_mT8_P12ihipStream_tbDpT10_ENKUlT_T0_E_clISt17integral_constantIbLb0EES1B_IbLb1EEEEDaS17_S18_EUlS17_E_NS1_11comp_targetILNS1_3genE4ELNS1_11target_archE910ELNS1_3gpuE8ELNS1_3repE0EEENS1_30default_config_static_selectorELNS0_4arch9wavefront6targetE1EEEvT1_ ; -- Begin function _ZN7rocprim17ROCPRIM_400000_NS6detail17trampoline_kernelINS0_14default_configENS1_25partition_config_selectorILNS1_17partition_subalgoE8ElNS0_10empty_typeEbEEZZNS1_14partition_implILS5_8ELb0ES3_jPlPS6_PKS6_NS0_5tupleIJS9_S6_EEENSD_IJSA_SA_EEENS0_18inequality_wrapperIZN2at6native12_GLOBAL__N_124unique_dim_cuda_templateIaEESt5tupleIJNSH_6TensorESM_SM_EERKSM_lbbbEUlllE0_EEPmJS6_EEE10hipError_tPvRmT3_T4_T5_T6_T7_T9_mT8_P12ihipStream_tbDpT10_ENKUlT_T0_E_clISt17integral_constantIbLb0EES1B_IbLb1EEEEDaS17_S18_EUlS17_E_NS1_11comp_targetILNS1_3genE4ELNS1_11target_archE910ELNS1_3gpuE8ELNS1_3repE0EEENS1_30default_config_static_selectorELNS0_4arch9wavefront6targetE1EEEvT1_
	.p2align	8
	.type	_ZN7rocprim17ROCPRIM_400000_NS6detail17trampoline_kernelINS0_14default_configENS1_25partition_config_selectorILNS1_17partition_subalgoE8ElNS0_10empty_typeEbEEZZNS1_14partition_implILS5_8ELb0ES3_jPlPS6_PKS6_NS0_5tupleIJS9_S6_EEENSD_IJSA_SA_EEENS0_18inequality_wrapperIZN2at6native12_GLOBAL__N_124unique_dim_cuda_templateIaEESt5tupleIJNSH_6TensorESM_SM_EERKSM_lbbbEUlllE0_EEPmJS6_EEE10hipError_tPvRmT3_T4_T5_T6_T7_T9_mT8_P12ihipStream_tbDpT10_ENKUlT_T0_E_clISt17integral_constantIbLb0EES1B_IbLb1EEEEDaS17_S18_EUlS17_E_NS1_11comp_targetILNS1_3genE4ELNS1_11target_archE910ELNS1_3gpuE8ELNS1_3repE0EEENS1_30default_config_static_selectorELNS0_4arch9wavefront6targetE1EEEvT1_,@function
_ZN7rocprim17ROCPRIM_400000_NS6detail17trampoline_kernelINS0_14default_configENS1_25partition_config_selectorILNS1_17partition_subalgoE8ElNS0_10empty_typeEbEEZZNS1_14partition_implILS5_8ELb0ES3_jPlPS6_PKS6_NS0_5tupleIJS9_S6_EEENSD_IJSA_SA_EEENS0_18inequality_wrapperIZN2at6native12_GLOBAL__N_124unique_dim_cuda_templateIaEESt5tupleIJNSH_6TensorESM_SM_EERKSM_lbbbEUlllE0_EEPmJS6_EEE10hipError_tPvRmT3_T4_T5_T6_T7_T9_mT8_P12ihipStream_tbDpT10_ENKUlT_T0_E_clISt17integral_constantIbLb0EES1B_IbLb1EEEEDaS17_S18_EUlS17_E_NS1_11comp_targetILNS1_3genE4ELNS1_11target_archE910ELNS1_3gpuE8ELNS1_3repE0EEENS1_30default_config_static_selectorELNS0_4arch9wavefront6targetE1EEEvT1_: ; @_ZN7rocprim17ROCPRIM_400000_NS6detail17trampoline_kernelINS0_14default_configENS1_25partition_config_selectorILNS1_17partition_subalgoE8ElNS0_10empty_typeEbEEZZNS1_14partition_implILS5_8ELb0ES3_jPlPS6_PKS6_NS0_5tupleIJS9_S6_EEENSD_IJSA_SA_EEENS0_18inequality_wrapperIZN2at6native12_GLOBAL__N_124unique_dim_cuda_templateIaEESt5tupleIJNSH_6TensorESM_SM_EERKSM_lbbbEUlllE0_EEPmJS6_EEE10hipError_tPvRmT3_T4_T5_T6_T7_T9_mT8_P12ihipStream_tbDpT10_ENKUlT_T0_E_clISt17integral_constantIbLb0EES1B_IbLb1EEEEDaS17_S18_EUlS17_E_NS1_11comp_targetILNS1_3genE4ELNS1_11target_archE910ELNS1_3gpuE8ELNS1_3repE0EEENS1_30default_config_static_selectorELNS0_4arch9wavefront6targetE1EEEvT1_
; %bb.0:
	s_load_dwordx2 s[28:29], s[4:5], 0x28
	s_load_dwordx8 s[20:27], s[4:5], 0x40
	s_load_dwordx4 s[16:19], s[4:5], 0x60
	v_cmp_ne_u32_e64 s[2:3], 0, v0
	v_cmp_eq_u32_e64 s[0:1], 0, v0
	s_and_saveexec_b64 s[6:7], s[0:1]
	s_cbranch_execz .LBB345_4
; %bb.1:
	s_mov_b64 s[10:11], exec
	v_mbcnt_lo_u32_b32 v1, s10, 0
	v_mbcnt_hi_u32_b32 v1, s11, v1
	v_cmp_eq_u32_e32 vcc, 0, v1
                                        ; implicit-def: $vgpr2
	s_and_saveexec_b64 s[8:9], vcc
	s_cbranch_execz .LBB345_3
; %bb.2:
	s_load_dwordx2 s[12:13], s[4:5], 0x78
	s_bcnt1_i32_b64 s10, s[10:11]
	v_mov_b32_e32 v2, 0
	v_mov_b32_e32 v3, s10
	s_waitcnt lgkmcnt(0)
	global_atomic_add v2, v2, v3, s[12:13] glc
.LBB345_3:
	s_or_b64 exec, exec, s[8:9]
	s_waitcnt vmcnt(0)
	v_readfirstlane_b32 s8, v2
	v_add_u32_e32 v1, s8, v1
	v_mov_b32_e32 v2, 0
	ds_write_b32 v2, v1
.LBB345_4:
	s_or_b64 exec, exec, s[6:7]
	v_mov_b32_e32 v3, 0
	s_load_dwordx4 s[8:11], s[4:5], 0x8
	s_load_dword s6, s[4:5], 0x70
	s_waitcnt lgkmcnt(0)
	s_barrier
	ds_read_b32 v1, v3
	s_waitcnt lgkmcnt(0)
	s_barrier
	global_load_dwordx2 v[4:5], v3, s[22:23]
	s_lshl_b64 s[4:5], s[10:11], 3
	s_mul_i32 s14, s6, 0x500
	s_add_u32 s8, s8, s4
	s_addc_u32 s4, s9, s5
	s_add_i32 s5, s14, s10
	s_add_i32 s6, s6, -1
	s_sub_i32 s48, s24, s5
	v_mov_b32_e32 v8, s4
	s_add_u32 s4, s10, s14
	s_addc_u32 s5, s11, 0
	v_readfirstlane_b32 s33, v1
	v_mov_b32_e32 v6, s24
	v_mov_b32_e32 v7, s25
	s_movk_i32 s7, 0x500
	s_cmp_eq_u32 s33, s6
	v_mul_lo_u32 v2, v1, s7
	v_cmp_ge_u64_e32 vcc, s[4:5], v[6:7]
	s_cselect_b64 s[24:25], -1, 0
	v_lshlrev_b64 v[2:3], 3, v[2:3]
	s_and_b64 s[6:7], vcc, s[24:25]
	v_add_co_u32_e64 v18, s[4:5], s8, v2
	s_xor_b64 s[30:31], s[6:7], -1
	s_mov_b64 s[12:13], -1
	v_addc_co_u32_e64 v19, s[4:5], v8, v3, s[4:5]
	s_and_b64 vcc, exec, s[30:31]
	s_waitcnt vmcnt(0)
	v_readfirstlane_b32 s22, v4
	v_readfirstlane_b32 s23, v5
	s_cbranch_vccz .LBB345_6
; %bb.5:
	v_lshlrev_b32_e32 v1, 3, v0
	v_add_co_u32_e32 v12, vcc, v18, v1
	v_addc_co_u32_e32 v13, vcc, 0, v19, vcc
	v_add_co_u32_e32 v2, vcc, 0x1000, v12
	v_readfirstlane_b32 s4, v18
	v_readfirstlane_b32 s5, v19
	v_addc_co_u32_e32 v3, vcc, 0, v13, vcc
	s_nop 3
	global_load_dwordx2 v[4:5], v1, s[4:5]
	global_load_dwordx2 v[6:7], v1, s[4:5] offset:2048
	global_load_dwordx2 v[8:9], v[2:3], off
	global_load_dwordx2 v[10:11], v[2:3], off offset:2048
	v_add_co_u32_e32 v2, vcc, 0x2000, v12
	v_addc_co_u32_e32 v3, vcc, 0, v13, vcc
	global_load_dwordx2 v[2:3], v[2:3], off
	s_mov_b64 s[12:13], 0
	s_waitcnt vmcnt(3)
	ds_write2st64_b64 v1, v[4:5], v[6:7] offset1:4
	s_waitcnt vmcnt(1)
	ds_write2st64_b64 v1, v[8:9], v[10:11] offset0:8 offset1:12
	s_waitcnt vmcnt(0)
	ds_write_b64 v1, v[2:3] offset:8192
	s_waitcnt lgkmcnt(0)
	s_barrier
.LBB345_6:
	s_andn2_b64 vcc, exec, s[12:13]
	s_addk_i32 s48, 0x500
	s_cbranch_vccnz .LBB345_18
; %bb.7:
	v_cmp_gt_u32_e32 vcc, s48, v0
                                        ; implicit-def: $vgpr2_vgpr3_vgpr4_vgpr5_vgpr6_vgpr7_vgpr8_vgpr9_vgpr10_vgpr11_vgpr12_vgpr13_vgpr14_vgpr15_vgpr16_vgpr17
	s_and_saveexec_b64 s[4:5], vcc
	s_cbranch_execz .LBB345_9
; %bb.8:
	v_lshlrev_b32_e32 v1, 3, v0
	v_readfirstlane_b32 s8, v18
	v_readfirstlane_b32 s9, v19
	s_nop 4
	global_load_dwordx2 v[2:3], v1, s[8:9]
.LBB345_9:
	s_or_b64 exec, exec, s[4:5]
	v_or_b32_e32 v1, 0x100, v0
	v_cmp_gt_u32_e32 vcc, s48, v1
	s_and_saveexec_b64 s[4:5], vcc
	s_cbranch_execz .LBB345_11
; %bb.10:
	v_lshlrev_b32_e32 v1, 3, v0
	v_readfirstlane_b32 s8, v18
	v_readfirstlane_b32 s9, v19
	s_nop 4
	global_load_dwordx2 v[4:5], v1, s[8:9] offset:2048
.LBB345_11:
	s_or_b64 exec, exec, s[4:5]
	v_or_b32_e32 v1, 0x200, v0
	v_cmp_gt_u32_e32 vcc, s48, v1
	s_and_saveexec_b64 s[4:5], vcc
	s_cbranch_execz .LBB345_13
; %bb.12:
	v_lshlrev_b32_e32 v1, 3, v1
	v_readfirstlane_b32 s8, v18
	v_readfirstlane_b32 s9, v19
	s_nop 4
	global_load_dwordx2 v[6:7], v1, s[8:9]
.LBB345_13:
	s_or_b64 exec, exec, s[4:5]
	v_or_b32_e32 v1, 0x300, v0
	v_cmp_gt_u32_e32 vcc, s48, v1
	s_and_saveexec_b64 s[4:5], vcc
	s_cbranch_execz .LBB345_15
; %bb.14:
	v_lshlrev_b32_e32 v1, 3, v1
	v_readfirstlane_b32 s8, v18
	v_readfirstlane_b32 s9, v19
	s_nop 4
	global_load_dwordx2 v[8:9], v1, s[8:9]
.LBB345_15:
	;; [unrolled: 12-line block ×3, first 2 shown]
	s_or_b64 exec, exec, s[4:5]
	v_lshlrev_b32_e32 v1, 3, v0
	s_waitcnt vmcnt(0)
	ds_write2st64_b64 v1, v[2:3], v[4:5] offset1:4
	ds_write2st64_b64 v1, v[6:7], v[8:9] offset0:8 offset1:12
	ds_write_b64 v1, v[10:11] offset:8192
	s_waitcnt lgkmcnt(0)
	s_barrier
.LBB345_18:
	v_mul_u32_u24_e32 v1, 5, v0
	v_lshlrev_b32_e32 v26, 3, v1
	ds_read2_b64 v[6:9], v26 offset1:1
	ds_read2_b64 v[2:5], v26 offset0:2 offset1:3
	ds_read_b64 v[10:11], v26 offset:32
	s_cmp_lg_u32 s33, 0
	s_cselect_b64 s[34:35], -1, 0
	s_cmp_lg_u64 s[10:11], 0
	s_cselect_b64 s[4:5], -1, 0
	s_or_b64 s[4:5], s[4:5], s[34:35]
	v_mad_u32_u24 v24, v0, 5, 1
	v_mad_u32_u24 v22, v0, 5, 2
	;; [unrolled: 1-line block ×4, first 2 shown]
	s_mov_b64 s[8:9], 0
	s_and_b64 vcc, exec, s[4:5]
	v_cmp_gt_i64_e64 s[4:5], s[26:27], 0
	s_waitcnt lgkmcnt(0)
	s_barrier
	s_cbranch_vccz .LBB345_27
; %bb.19:
	global_load_dwordx2 v[14:15], v[18:19], off offset:-8
	v_cndmask_b32_e64 v12, 0, 1, s[4:5]
	v_lshlrev_b32_e32 v27, 3, v0
	s_and_b64 vcc, exec, s[30:31]
	v_cmp_ne_u32_e64 s[4:5], 1, v12
	ds_write_b64 v27, v[10:11]
	s_cbranch_vccz .LBB345_28
; %bb.20:
	v_mul_lo_u32 v16, v5, s26
	v_mul_lo_u32 v17, v4, s27
	v_mad_u64_u32 v[12:13], s[10:11], v4, s26, 0
	s_and_b64 vcc, exec, s[4:5]
	v_add3_u32 v13, v13, v17, v16
	s_cbranch_vccnz .LBB345_31
; %bb.21:
	v_mov_b32_e32 v17, s17
	v_add_co_u32_e32 v16, vcc, s16, v12
	v_pk_mov_b32 v[18:19], s[16:17], s[16:17] op_sel:[0,1]
	v_addc_co_u32_e32 v17, vcc, v17, v13, vcc
	v_mad_u64_u32 v[18:19], s[8:9], v10, s26, v[18:19]
	v_mul_lo_u32 v20, v10, s27
	v_mul_lo_u32 v21, v11, s26
	v_add3_u32 v19, v21, v19, v20
	global_load_ubyte v20, v[16:17], off
	global_load_ubyte v21, v[18:19], off
	s_mov_b64 s[8:9], -1
	s_waitcnt vmcnt(0)
	v_cmp_eq_u16_e32 vcc, v20, v21
	s_and_saveexec_b64 s[10:11], vcc
	s_cbranch_execz .LBB345_30
; %bb.22:
	s_mov_b64 s[14:15], 1
	s_mov_b64 s[8:9], 0
                                        ; implicit-def: $sgpr12_sgpr13
	s_branch .LBB345_25
.LBB345_23:                             ;   in Loop: Header=BB345_25 Depth=1
	v_mov_b32_e32 v29, s15
	v_add_co_u32_e32 v20, vcc, s14, v16
	v_addc_co_u32_e32 v21, vcc, v17, v29, vcc
	v_add_co_u32_e32 v28, vcc, s14, v18
	v_addc_co_u32_e32 v29, vcc, v19, v29, vcc
	global_load_ubyte v30, v[20:21], off
	global_load_ubyte v31, v[28:29], off
	s_add_u32 s36, s14, 1
	s_addc_u32 s37, s15, 0
	s_andn2_b64 s[12:13], s[12:13], exec
	s_waitcnt vmcnt(0)
	v_cmp_ne_u16_e32 vcc, v30, v31
	s_and_b64 s[38:39], vcc, exec
	s_or_b64 s[12:13], s[12:13], s[38:39]
.LBB345_24:                             ;   in Loop: Header=BB345_25 Depth=1
	s_and_b64 s[38:39], exec, s[12:13]
	s_or_b64 s[8:9], s[38:39], s[8:9]
	v_pk_mov_b32 v[20:21], s[14:15], s[14:15] op_sel:[0,1]
	s_mov_b64 s[14:15], s[36:37]
	s_andn2_b64 exec, exec, s[8:9]
	s_cbranch_execz .LBB345_29
.LBB345_25:                             ; =>This Inner Loop Header: Depth=1
	s_or_b64 s[12:13], s[12:13], exec
	s_cmp_eq_u64 s[26:27], s[14:15]
	s_cbranch_scc0 .LBB345_23
; %bb.26:                               ;   in Loop: Header=BB345_25 Depth=1
                                        ; implicit-def: $sgpr36_sgpr37
	s_mov_b64 s[14:15], s[26:27]
	s_branch .LBB345_24
.LBB345_27:
                                        ; implicit-def: $sgpr12_sgpr13
                                        ; implicit-def: $vgpr13
                                        ; implicit-def: $vgpr16
	s_branch .LBB345_129
.LBB345_28:
                                        ; implicit-def: $sgpr12_sgpr13
                                        ; implicit-def: $vgpr13
                                        ; implicit-def: $vgpr16
	s_cbranch_execnz .LBB345_70
	s_branch .LBB345_128
.LBB345_29:
	s_or_b64 exec, exec, s[8:9]
	v_cmp_gt_i64_e32 vcc, s[26:27], v[20:21]
	s_orn2_b64 s[8:9], vcc, exec
.LBB345_30:
	s_or_b64 exec, exec, s[10:11]
.LBB345_31:
	v_mul_lo_u32 v16, v3, s26
	v_mul_lo_u32 v17, v2, s27
	v_mad_u64_u32 v[18:19], s[10:11], v2, s26, 0
	v_add3_u32 v19, v19, v17, v16
	s_mov_b64 s[10:11], 0
	s_and_b64 vcc, exec, s[4:5]
	s_mov_b64 s[12:13], 0
	s_cbranch_vccnz .LBB345_40
; %bb.32:
	v_mov_b32_e32 v17, s17
	v_add_co_u32_e32 v16, vcc, s16, v18
	v_addc_co_u32_e32 v17, vcc, v17, v19, vcc
	v_mov_b32_e32 v20, s17
	v_add_co_u32_e32 v12, vcc, s16, v12
	v_addc_co_u32_e32 v13, vcc, v20, v13, vcc
	global_load_ubyte v20, v[16:17], off
	global_load_ubyte v21, v[12:13], off
	s_mov_b64 s[12:13], -1
	s_waitcnt vmcnt(0)
	v_cmp_eq_u16_e32 vcc, v20, v21
	s_and_saveexec_b64 s[14:15], vcc
	s_cbranch_execz .LBB345_39
; %bb.33:
	s_mov_b64 s[38:39], 1
	s_mov_b64 s[12:13], 0
                                        ; implicit-def: $sgpr36_sgpr37
	s_branch .LBB345_36
.LBB345_34:                             ;   in Loop: Header=BB345_36 Depth=1
	v_mov_b32_e32 v29, s39
	v_add_co_u32_e32 v20, vcc, s38, v16
	v_addc_co_u32_e32 v21, vcc, v17, v29, vcc
	v_add_co_u32_e32 v28, vcc, s38, v12
	v_addc_co_u32_e32 v29, vcc, v13, v29, vcc
	global_load_ubyte v30, v[20:21], off
	global_load_ubyte v31, v[28:29], off
	s_add_u32 s40, s38, 1
	s_addc_u32 s41, s39, 0
	s_andn2_b64 s[36:37], s[36:37], exec
	s_waitcnt vmcnt(0)
	v_cmp_ne_u16_e32 vcc, v30, v31
	s_and_b64 s[42:43], vcc, exec
	s_or_b64 s[36:37], s[36:37], s[42:43]
.LBB345_35:                             ;   in Loop: Header=BB345_36 Depth=1
	s_and_b64 s[42:43], exec, s[36:37]
	s_or_b64 s[12:13], s[42:43], s[12:13]
	v_pk_mov_b32 v[20:21], s[38:39], s[38:39] op_sel:[0,1]
	s_mov_b64 s[38:39], s[40:41]
	s_andn2_b64 exec, exec, s[12:13]
	s_cbranch_execz .LBB345_38
.LBB345_36:                             ; =>This Inner Loop Header: Depth=1
	s_or_b64 s[36:37], s[36:37], exec
	s_cmp_eq_u64 s[26:27], s[38:39]
	s_cbranch_scc0 .LBB345_34
; %bb.37:                               ;   in Loop: Header=BB345_36 Depth=1
                                        ; implicit-def: $sgpr40_sgpr41
	s_mov_b64 s[38:39], s[26:27]
	s_branch .LBB345_35
.LBB345_38:
	s_or_b64 exec, exec, s[12:13]
	v_cmp_gt_i64_e32 vcc, s[26:27], v[20:21]
	s_orn2_b64 s[12:13], vcc, exec
.LBB345_39:
	s_or_b64 exec, exec, s[14:15]
.LBB345_40:
	v_mul_lo_u32 v12, v9, s26
	v_mul_lo_u32 v13, v8, s27
	v_mad_u64_u32 v[16:17], s[14:15], v8, s26, 0
	s_and_b64 vcc, exec, s[4:5]
	v_add3_u32 v17, v17, v13, v12
	s_cbranch_vccnz .LBB345_49
; %bb.41:
	v_mov_b32_e32 v13, s17
	v_add_co_u32_e32 v12, vcc, s16, v16
	v_addc_co_u32_e32 v13, vcc, v13, v17, vcc
	v_mov_b32_e32 v20, s17
	v_add_co_u32_e32 v18, vcc, s16, v18
	v_addc_co_u32_e32 v19, vcc, v20, v19, vcc
	global_load_ubyte v20, v[12:13], off
	global_load_ubyte v21, v[18:19], off
	s_mov_b64 s[10:11], -1
	s_waitcnt vmcnt(0)
	v_cmp_eq_u16_e32 vcc, v20, v21
	s_and_saveexec_b64 s[14:15], vcc
	s_cbranch_execz .LBB345_48
; %bb.42:
	s_mov_b64 s[38:39], 1
	s_mov_b64 s[10:11], 0
                                        ; implicit-def: $sgpr36_sgpr37
	s_branch .LBB345_45
.LBB345_43:                             ;   in Loop: Header=BB345_45 Depth=1
	v_mov_b32_e32 v29, s39
	v_add_co_u32_e32 v20, vcc, s38, v12
	v_addc_co_u32_e32 v21, vcc, v13, v29, vcc
	v_add_co_u32_e32 v28, vcc, s38, v18
	v_addc_co_u32_e32 v29, vcc, v19, v29, vcc
	global_load_ubyte v30, v[20:21], off
	global_load_ubyte v31, v[28:29], off
	s_add_u32 s40, s38, 1
	s_addc_u32 s41, s39, 0
	s_andn2_b64 s[36:37], s[36:37], exec
	s_waitcnt vmcnt(0)
	v_cmp_ne_u16_e32 vcc, v30, v31
	s_and_b64 s[42:43], vcc, exec
	s_or_b64 s[36:37], s[36:37], s[42:43]
.LBB345_44:                             ;   in Loop: Header=BB345_45 Depth=1
	s_and_b64 s[42:43], exec, s[36:37]
	s_or_b64 s[10:11], s[42:43], s[10:11]
	v_pk_mov_b32 v[20:21], s[38:39], s[38:39] op_sel:[0,1]
	s_mov_b64 s[38:39], s[40:41]
	s_andn2_b64 exec, exec, s[10:11]
	s_cbranch_execz .LBB345_47
.LBB345_45:                             ; =>This Inner Loop Header: Depth=1
	s_or_b64 s[36:37], s[36:37], exec
	s_cmp_eq_u64 s[26:27], s[38:39]
	s_cbranch_scc0 .LBB345_43
; %bb.46:                               ;   in Loop: Header=BB345_45 Depth=1
                                        ; implicit-def: $sgpr40_sgpr41
	s_mov_b64 s[38:39], s[26:27]
	s_branch .LBB345_44
.LBB345_47:
	s_or_b64 exec, exec, s[10:11]
	v_cmp_gt_i64_e32 vcc, s[26:27], v[20:21]
	s_orn2_b64 s[10:11], vcc, exec
.LBB345_48:
	s_or_b64 exec, exec, s[14:15]
.LBB345_49:
	v_mul_lo_u32 v18, v7, s26
	v_mul_lo_u32 v19, v6, s27
	v_mad_u64_u32 v[12:13], s[14:15], v6, s26, 0
	v_add3_u32 v13, v13, v19, v18
	s_and_b64 vcc, exec, s[4:5]
	s_mov_b64 s[36:37], 0
	s_cbranch_vccnz .LBB345_58
; %bb.50:
	v_mov_b32_e32 v19, s17
	v_add_co_u32_e32 v18, vcc, s16, v12
	v_addc_co_u32_e32 v19, vcc, v19, v13, vcc
	v_mov_b32_e32 v20, s17
	v_add_co_u32_e32 v16, vcc, s16, v16
	v_addc_co_u32_e32 v17, vcc, v20, v17, vcc
	global_load_ubyte v20, v[18:19], off
	global_load_ubyte v21, v[16:17], off
	s_mov_b64 s[36:37], -1
	s_waitcnt vmcnt(0)
	v_cmp_eq_u16_e32 vcc, v20, v21
	s_and_saveexec_b64 s[14:15], vcc
	s_cbranch_execz .LBB345_57
; %bb.51:
	s_mov_b64 s[40:41], 1
	s_mov_b64 s[36:37], 0
                                        ; implicit-def: $sgpr38_sgpr39
	s_branch .LBB345_54
.LBB345_52:                             ;   in Loop: Header=BB345_54 Depth=1
	v_mov_b32_e32 v29, s41
	v_add_co_u32_e32 v20, vcc, s40, v18
	v_addc_co_u32_e32 v21, vcc, v19, v29, vcc
	v_add_co_u32_e32 v28, vcc, s40, v16
	v_addc_co_u32_e32 v29, vcc, v17, v29, vcc
	global_load_ubyte v30, v[20:21], off
	global_load_ubyte v31, v[28:29], off
	s_add_u32 s42, s40, 1
	s_addc_u32 s43, s41, 0
	s_andn2_b64 s[38:39], s[38:39], exec
	s_waitcnt vmcnt(0)
	v_cmp_ne_u16_e32 vcc, v30, v31
	s_and_b64 s[44:45], vcc, exec
	s_or_b64 s[38:39], s[38:39], s[44:45]
.LBB345_53:                             ;   in Loop: Header=BB345_54 Depth=1
	s_and_b64 s[44:45], exec, s[38:39]
	s_or_b64 s[36:37], s[44:45], s[36:37]
	v_pk_mov_b32 v[20:21], s[40:41], s[40:41] op_sel:[0,1]
	s_mov_b64 s[40:41], s[42:43]
	s_andn2_b64 exec, exec, s[36:37]
	s_cbranch_execz .LBB345_56
.LBB345_54:                             ; =>This Inner Loop Header: Depth=1
	s_or_b64 s[38:39], s[38:39], exec
	s_cmp_eq_u64 s[26:27], s[40:41]
	s_cbranch_scc0 .LBB345_52
; %bb.55:                               ;   in Loop: Header=BB345_54 Depth=1
                                        ; implicit-def: $sgpr42_sgpr43
	s_mov_b64 s[40:41], s[26:27]
	s_branch .LBB345_53
.LBB345_56:
	s_or_b64 exec, exec, s[36:37]
	v_cmp_gt_i64_e32 vcc, s[26:27], v[20:21]
	s_orn2_b64 s[36:37], vcc, exec
.LBB345_57:
	s_or_b64 exec, exec, s[14:15]
.LBB345_58:
	s_waitcnt vmcnt(0)
	v_pk_mov_b32 v[18:19], v[14:15], v[14:15] op_sel:[0,1]
	s_waitcnt lgkmcnt(0)
	s_barrier
	s_and_saveexec_b64 s[14:15], s[2:3]
	s_cbranch_execz .LBB345_60
; %bb.59:
	v_add_u32_e32 v16, -8, v27
	ds_read_b64 v[18:19], v16
.LBB345_60:
	s_or_b64 exec, exec, s[14:15]
	v_cndmask_b32_e64 v17, 0, 1, s[12:13]
	v_cndmask_b32_e64 v16, 0, 1, s[10:11]
	;; [unrolled: 1-line block ×3, first 2 shown]
	v_lshlrev_b16_e32 v17, 8, v17
	v_lshlrev_b16_e32 v20, 8, v20
	v_or_b32_sdwa v21, v16, v17 dst_sel:WORD_1 dst_unused:UNUSED_PAD src0_sel:DWORD src1_sel:DWORD
	s_mov_b64 s[10:11], 0
	s_and_b64 vcc, exec, s[4:5]
	s_mov_b64 s[12:13], 0
	s_cbranch_vccnz .LBB345_69
; %bb.61:
	v_pk_mov_b32 v[16:17], s[16:17], s[16:17] op_sel:[0,1]
	s_waitcnt lgkmcnt(0)
	v_mad_u64_u32 v[16:17], s[12:13], v18, s26, v[16:17]
	v_mul_lo_u32 v18, v18, s27
	v_mul_lo_u32 v19, v19, s26
	v_add3_u32 v17, v19, v17, v18
	v_mov_b32_e32 v18, s17
	v_add_co_u32_e32 v12, vcc, s16, v12
	v_addc_co_u32_e32 v13, vcc, v18, v13, vcc
	global_load_ubyte v18, v[16:17], off
	global_load_ubyte v19, v[12:13], off
	s_mov_b64 s[12:13], -1
	s_waitcnt vmcnt(0)
	v_cmp_eq_u16_e32 vcc, v18, v19
	s_and_saveexec_b64 s[14:15], vcc
	s_cbranch_execz .LBB345_68
; %bb.62:
	s_mov_b64 s[38:39], 1
	s_mov_b64 s[12:13], 0
                                        ; implicit-def: $sgpr36_sgpr37
	s_branch .LBB345_65
.LBB345_63:                             ;   in Loop: Header=BB345_65 Depth=1
	v_mov_b32_e32 v29, s39
	v_add_co_u32_e32 v18, vcc, s38, v16
	v_addc_co_u32_e32 v19, vcc, v17, v29, vcc
	v_add_co_u32_e32 v28, vcc, s38, v12
	v_addc_co_u32_e32 v29, vcc, v13, v29, vcc
	global_load_ubyte v30, v[18:19], off
	global_load_ubyte v31, v[28:29], off
	s_add_u32 s40, s38, 1
	s_addc_u32 s41, s39, 0
	s_andn2_b64 s[36:37], s[36:37], exec
	s_waitcnt vmcnt(0)
	v_cmp_ne_u16_e32 vcc, v30, v31
	s_and_b64 s[42:43], vcc, exec
	s_or_b64 s[36:37], s[36:37], s[42:43]
.LBB345_64:                             ;   in Loop: Header=BB345_65 Depth=1
	s_and_b64 s[42:43], exec, s[36:37]
	s_or_b64 s[12:13], s[42:43], s[12:13]
	v_pk_mov_b32 v[18:19], s[38:39], s[38:39] op_sel:[0,1]
	s_mov_b64 s[38:39], s[40:41]
	s_andn2_b64 exec, exec, s[12:13]
	s_cbranch_execz .LBB345_67
.LBB345_65:                             ; =>This Inner Loop Header: Depth=1
	s_or_b64 s[36:37], s[36:37], exec
	s_cmp_eq_u64 s[26:27], s[38:39]
	s_cbranch_scc0 .LBB345_63
; %bb.66:                               ;   in Loop: Header=BB345_65 Depth=1
                                        ; implicit-def: $sgpr40_sgpr41
	s_mov_b64 s[38:39], s[26:27]
	s_branch .LBB345_64
.LBB345_67:
	s_or_b64 exec, exec, s[12:13]
	v_cmp_gt_i64_e32 vcc, s[26:27], v[18:19]
	s_orn2_b64 s[12:13], vcc, exec
.LBB345_68:
	s_or_b64 exec, exec, s[14:15]
.LBB345_69:
	v_cndmask_b32_e64 v13, 0, 1, s[8:9]
	v_or_b32_e32 v16, v20, v21
	s_and_b64 vcc, exec, s[10:11]
	s_cbranch_vccz .LBB345_128
.LBB345_70:
	v_cmp_gt_u32_e32 vcc, s48, v23
	s_mov_b64 s[10:11], 0
	s_mov_b64 s[8:9], 0
	s_and_saveexec_b64 s[12:13], vcc
	s_cbranch_execz .LBB345_81
; %bb.71:
	s_and_b64 vcc, exec, s[4:5]
	s_mov_b64 s[14:15], 0
	s_cbranch_vccnz .LBB345_80
; %bb.72:
	v_pk_mov_b32 v[16:17], s[16:17], s[16:17] op_sel:[0,1]
	v_mad_u64_u32 v[12:13], s[8:9], v4, s26, v[16:17]
	s_waitcnt lgkmcnt(0)
	v_mul_lo_u32 v18, v4, s27
	v_mul_lo_u32 v19, v5, s26
	v_add3_u32 v13, v19, v13, v18
	v_mad_u64_u32 v[16:17], s[8:9], v10, s26, v[16:17]
	v_mul_lo_u32 v18, v10, s27
	v_mul_lo_u32 v19, v11, s26
	v_add3_u32 v17, v19, v17, v18
	global_load_ubyte v18, v[12:13], off
	global_load_ubyte v19, v[16:17], off
	s_mov_b64 s[14:15], -1
	s_waitcnt vmcnt(0)
	v_cmp_eq_u16_e32 vcc, v18, v19
	s_and_saveexec_b64 s[8:9], vcc
	s_cbranch_execz .LBB345_79
; %bb.73:
	s_mov_b64 s[38:39], 1
	s_mov_b64 s[14:15], 0
                                        ; implicit-def: $sgpr36_sgpr37
	s_branch .LBB345_76
.LBB345_74:                             ;   in Loop: Header=BB345_76 Depth=1
	v_mov_b32_e32 v21, s39
	v_add_co_u32_e32 v18, vcc, s38, v12
	v_addc_co_u32_e32 v19, vcc, v13, v21, vcc
	v_add_co_u32_e32 v20, vcc, s38, v16
	v_addc_co_u32_e32 v21, vcc, v17, v21, vcc
	global_load_ubyte v28, v[18:19], off
	global_load_ubyte v29, v[20:21], off
	s_add_u32 s40, s38, 1
	s_addc_u32 s41, s39, 0
	s_andn2_b64 s[36:37], s[36:37], exec
	s_waitcnt vmcnt(0)
	v_cmp_ne_u16_e32 vcc, v28, v29
	s_and_b64 s[42:43], vcc, exec
	s_or_b64 s[36:37], s[36:37], s[42:43]
.LBB345_75:                             ;   in Loop: Header=BB345_76 Depth=1
	s_and_b64 s[42:43], exec, s[36:37]
	s_or_b64 s[14:15], s[42:43], s[14:15]
	v_pk_mov_b32 v[18:19], s[38:39], s[38:39] op_sel:[0,1]
	s_mov_b64 s[38:39], s[40:41]
	s_andn2_b64 exec, exec, s[14:15]
	s_cbranch_execz .LBB345_78
.LBB345_76:                             ; =>This Inner Loop Header: Depth=1
	s_or_b64 s[36:37], s[36:37], exec
	s_cmp_eq_u64 s[26:27], s[38:39]
	s_cbranch_scc0 .LBB345_74
; %bb.77:                               ;   in Loop: Header=BB345_76 Depth=1
                                        ; implicit-def: $sgpr40_sgpr41
	s_mov_b64 s[38:39], s[26:27]
	s_branch .LBB345_75
.LBB345_78:
	s_or_b64 exec, exec, s[14:15]
	v_cmp_gt_i64_e32 vcc, s[26:27], v[18:19]
	s_orn2_b64 s[14:15], vcc, exec
.LBB345_79:
	s_or_b64 exec, exec, s[8:9]
.LBB345_80:
	s_and_b64 s[8:9], s[14:15], exec
.LBB345_81:
	s_or_b64 exec, exec, s[12:13]
	v_cmp_gt_u32_e32 vcc, s48, v25
	s_and_saveexec_b64 s[12:13], vcc
	s_cbranch_execz .LBB345_92
; %bb.82:
	s_and_b64 vcc, exec, s[4:5]
	s_mov_b64 s[14:15], 0
	s_cbranch_vccnz .LBB345_91
; %bb.83:
	v_pk_mov_b32 v[16:17], s[16:17], s[16:17] op_sel:[0,1]
	v_mad_u64_u32 v[12:13], s[10:11], v2, s26, v[16:17]
	s_waitcnt lgkmcnt(0)
	v_mul_lo_u32 v18, v2, s27
	v_mul_lo_u32 v19, v3, s26
	v_add3_u32 v13, v19, v13, v18
	v_mad_u64_u32 v[16:17], s[10:11], v4, s26, v[16:17]
	v_mul_lo_u32 v18, v4, s27
	v_mul_lo_u32 v19, v5, s26
	v_add3_u32 v17, v19, v17, v18
	global_load_ubyte v18, v[12:13], off
	global_load_ubyte v19, v[16:17], off
	s_mov_b64 s[14:15], -1
	s_waitcnt vmcnt(0)
	v_cmp_eq_u16_e32 vcc, v18, v19
	s_and_saveexec_b64 s[10:11], vcc
	s_cbranch_execz .LBB345_90
; %bb.84:
	s_mov_b64 s[38:39], 1
	s_mov_b64 s[14:15], 0
                                        ; implicit-def: $sgpr36_sgpr37
	s_branch .LBB345_87
.LBB345_85:                             ;   in Loop: Header=BB345_87 Depth=1
	v_mov_b32_e32 v21, s39
	v_add_co_u32_e32 v18, vcc, s38, v12
	v_addc_co_u32_e32 v19, vcc, v13, v21, vcc
	v_add_co_u32_e32 v20, vcc, s38, v16
	v_addc_co_u32_e32 v21, vcc, v17, v21, vcc
	global_load_ubyte v28, v[18:19], off
	global_load_ubyte v29, v[20:21], off
	s_add_u32 s40, s38, 1
	s_addc_u32 s41, s39, 0
	s_andn2_b64 s[36:37], s[36:37], exec
	s_waitcnt vmcnt(0)
	v_cmp_ne_u16_e32 vcc, v28, v29
	s_and_b64 s[42:43], vcc, exec
	s_or_b64 s[36:37], s[36:37], s[42:43]
.LBB345_86:                             ;   in Loop: Header=BB345_87 Depth=1
	s_and_b64 s[42:43], exec, s[36:37]
	s_or_b64 s[14:15], s[42:43], s[14:15]
	v_pk_mov_b32 v[18:19], s[38:39], s[38:39] op_sel:[0,1]
	s_mov_b64 s[38:39], s[40:41]
	s_andn2_b64 exec, exec, s[14:15]
	s_cbranch_execz .LBB345_89
.LBB345_87:                             ; =>This Inner Loop Header: Depth=1
	s_or_b64 s[36:37], s[36:37], exec
	s_cmp_eq_u64 s[26:27], s[38:39]
	s_cbranch_scc0 .LBB345_85
; %bb.88:                               ;   in Loop: Header=BB345_87 Depth=1
                                        ; implicit-def: $sgpr40_sgpr41
	s_mov_b64 s[38:39], s[26:27]
	s_branch .LBB345_86
.LBB345_89:
	s_or_b64 exec, exec, s[14:15]
	v_cmp_gt_i64_e32 vcc, s[26:27], v[18:19]
	s_orn2_b64 s[14:15], vcc, exec
.LBB345_90:
	s_or_b64 exec, exec, s[10:11]
.LBB345_91:
	s_and_b64 s[10:11], s[14:15], exec
.LBB345_92:
	s_or_b64 exec, exec, s[12:13]
	v_cmp_gt_u32_e32 vcc, s48, v22
	s_mov_b64 s[12:13], 0
	s_mov_b64 s[14:15], 0
	s_and_saveexec_b64 s[36:37], vcc
	s_cbranch_execz .LBB345_103
; %bb.93:
	s_and_b64 vcc, exec, s[4:5]
	s_mov_b64 s[38:39], 0
	s_cbranch_vccnz .LBB345_102
; %bb.94:
	v_pk_mov_b32 v[16:17], s[16:17], s[16:17] op_sel:[0,1]
	v_mad_u64_u32 v[12:13], s[14:15], v8, s26, v[16:17]
	s_waitcnt lgkmcnt(0)
	v_mul_lo_u32 v18, v8, s27
	v_mul_lo_u32 v19, v9, s26
	v_add3_u32 v13, v19, v13, v18
	v_mad_u64_u32 v[16:17], s[14:15], v2, s26, v[16:17]
	v_mul_lo_u32 v18, v2, s27
	v_mul_lo_u32 v19, v3, s26
	v_add3_u32 v17, v19, v17, v18
	global_load_ubyte v18, v[12:13], off
	global_load_ubyte v19, v[16:17], off
	s_mov_b64 s[38:39], -1
	s_waitcnt vmcnt(0)
	v_cmp_eq_u16_e32 vcc, v18, v19
	s_and_saveexec_b64 s[14:15], vcc
	s_cbranch_execz .LBB345_101
; %bb.95:
	s_mov_b64 s[42:43], 1
	s_mov_b64 s[38:39], 0
                                        ; implicit-def: $sgpr40_sgpr41
	s_branch .LBB345_98
.LBB345_96:                             ;   in Loop: Header=BB345_98 Depth=1
	v_mov_b32_e32 v21, s43
	v_add_co_u32_e32 v18, vcc, s42, v12
	v_addc_co_u32_e32 v19, vcc, v13, v21, vcc
	v_add_co_u32_e32 v20, vcc, s42, v16
	v_addc_co_u32_e32 v21, vcc, v17, v21, vcc
	global_load_ubyte v28, v[18:19], off
	global_load_ubyte v29, v[20:21], off
	s_add_u32 s44, s42, 1
	s_addc_u32 s45, s43, 0
	s_andn2_b64 s[40:41], s[40:41], exec
	s_waitcnt vmcnt(0)
	v_cmp_ne_u16_e32 vcc, v28, v29
	s_and_b64 s[46:47], vcc, exec
	s_or_b64 s[40:41], s[40:41], s[46:47]
.LBB345_97:                             ;   in Loop: Header=BB345_98 Depth=1
	s_and_b64 s[46:47], exec, s[40:41]
	s_or_b64 s[38:39], s[46:47], s[38:39]
	v_pk_mov_b32 v[18:19], s[42:43], s[42:43] op_sel:[0,1]
	s_mov_b64 s[42:43], s[44:45]
	s_andn2_b64 exec, exec, s[38:39]
	s_cbranch_execz .LBB345_100
.LBB345_98:                             ; =>This Inner Loop Header: Depth=1
	s_or_b64 s[40:41], s[40:41], exec
	s_cmp_eq_u64 s[26:27], s[42:43]
	s_cbranch_scc0 .LBB345_96
; %bb.99:                               ;   in Loop: Header=BB345_98 Depth=1
                                        ; implicit-def: $sgpr44_sgpr45
	s_mov_b64 s[42:43], s[26:27]
	s_branch .LBB345_97
.LBB345_100:
	s_or_b64 exec, exec, s[38:39]
	v_cmp_gt_i64_e32 vcc, s[26:27], v[18:19]
	s_orn2_b64 s[38:39], vcc, exec
.LBB345_101:
	s_or_b64 exec, exec, s[14:15]
.LBB345_102:
	s_and_b64 s[14:15], s[38:39], exec
.LBB345_103:
	s_or_b64 exec, exec, s[36:37]
	v_cmp_gt_u32_e32 vcc, s48, v24
	s_and_saveexec_b64 s[36:37], vcc
	s_cbranch_execz .LBB345_114
; %bb.104:
	s_and_b64 vcc, exec, s[4:5]
	s_mov_b64 s[38:39], 0
	s_cbranch_vccnz .LBB345_113
; %bb.105:
	v_pk_mov_b32 v[16:17], s[16:17], s[16:17] op_sel:[0,1]
	v_mad_u64_u32 v[12:13], s[12:13], v6, s26, v[16:17]
	s_waitcnt lgkmcnt(0)
	v_mul_lo_u32 v18, v6, s27
	v_mul_lo_u32 v19, v7, s26
	v_add3_u32 v13, v19, v13, v18
	v_mad_u64_u32 v[16:17], s[12:13], v8, s26, v[16:17]
	v_mul_lo_u32 v18, v8, s27
	v_mul_lo_u32 v19, v9, s26
	v_add3_u32 v17, v19, v17, v18
	global_load_ubyte v18, v[12:13], off
	global_load_ubyte v19, v[16:17], off
	s_mov_b64 s[38:39], -1
	s_waitcnt vmcnt(0)
	v_cmp_eq_u16_e32 vcc, v18, v19
	s_and_saveexec_b64 s[12:13], vcc
	s_cbranch_execz .LBB345_112
; %bb.106:
	s_mov_b64 s[42:43], 1
	s_mov_b64 s[38:39], 0
                                        ; implicit-def: $sgpr40_sgpr41
	s_branch .LBB345_109
.LBB345_107:                            ;   in Loop: Header=BB345_109 Depth=1
	v_mov_b32_e32 v21, s43
	v_add_co_u32_e32 v18, vcc, s42, v12
	v_addc_co_u32_e32 v19, vcc, v13, v21, vcc
	v_add_co_u32_e32 v20, vcc, s42, v16
	v_addc_co_u32_e32 v21, vcc, v17, v21, vcc
	global_load_ubyte v28, v[18:19], off
	global_load_ubyte v29, v[20:21], off
	s_add_u32 s44, s42, 1
	s_addc_u32 s45, s43, 0
	s_andn2_b64 s[40:41], s[40:41], exec
	s_waitcnt vmcnt(0)
	v_cmp_ne_u16_e32 vcc, v28, v29
	s_and_b64 s[46:47], vcc, exec
	s_or_b64 s[40:41], s[40:41], s[46:47]
.LBB345_108:                            ;   in Loop: Header=BB345_109 Depth=1
	s_and_b64 s[46:47], exec, s[40:41]
	s_or_b64 s[38:39], s[46:47], s[38:39]
	v_pk_mov_b32 v[18:19], s[42:43], s[42:43] op_sel:[0,1]
	s_mov_b64 s[42:43], s[44:45]
	s_andn2_b64 exec, exec, s[38:39]
	s_cbranch_execz .LBB345_111
.LBB345_109:                            ; =>This Inner Loop Header: Depth=1
	s_or_b64 s[40:41], s[40:41], exec
	s_cmp_eq_u64 s[26:27], s[42:43]
	s_cbranch_scc0 .LBB345_107
; %bb.110:                              ;   in Loop: Header=BB345_109 Depth=1
                                        ; implicit-def: $sgpr44_sgpr45
	s_mov_b64 s[42:43], s[26:27]
	s_branch .LBB345_108
.LBB345_111:
	s_or_b64 exec, exec, s[38:39]
	v_cmp_gt_i64_e32 vcc, s[26:27], v[18:19]
	s_orn2_b64 s[38:39], vcc, exec
.LBB345_112:
	s_or_b64 exec, exec, s[12:13]
.LBB345_113:
	s_and_b64 s[12:13], s[38:39], exec
.LBB345_114:
	s_or_b64 exec, exec, s[36:37]
	s_waitcnt lgkmcnt(0)
	s_barrier
	s_and_saveexec_b64 s[36:37], s[2:3]
	s_cbranch_execz .LBB345_116
; %bb.115:
	v_add_u32_e32 v12, -8, v27
	s_waitcnt vmcnt(0)
	ds_read_b64 v[14:15], v12
.LBB345_116:
	s_or_b64 exec, exec, s[36:37]
	v_cndmask_b32_e64 v13, 0, 1, s[10:11]
	v_cndmask_b32_e64 v12, 0, 1, s[14:15]
	;; [unrolled: 1-line block ×3, first 2 shown]
	v_lshlrev_b16_e32 v13, 8, v13
	v_cmp_gt_u32_e32 vcc, s48, v1
	v_lshlrev_b16_e32 v18, 8, v16
	v_or_b32_sdwa v19, v12, v13 dst_sel:WORD_1 dst_unused:UNUSED_PAD src0_sel:DWORD src1_sel:DWORD
	s_mov_b64 s[12:13], 0
	s_and_saveexec_b64 s[10:11], vcc
	s_cbranch_execz .LBB345_127
; %bb.117:
	s_and_b64 vcc, exec, s[4:5]
	s_cbranch_vccnz .LBB345_126
; %bb.118:
	v_pk_mov_b32 v[16:17], s[16:17], s[16:17] op_sel:[0,1]
	s_waitcnt vmcnt(0) lgkmcnt(0)
	v_mad_u64_u32 v[12:13], s[4:5], v14, s26, v[16:17]
	v_mul_lo_u32 v14, v14, s27
	v_mul_lo_u32 v15, v15, s26
	v_add3_u32 v13, v15, v13, v14
	v_mad_u64_u32 v[14:15], s[4:5], v6, s26, v[16:17]
	v_mul_lo_u32 v16, v6, s27
	v_mul_lo_u32 v17, v7, s26
	v_add3_u32 v15, v17, v15, v16
	global_load_ubyte v16, v[12:13], off
	global_load_ubyte v17, v[14:15], off
	s_mov_b64 s[12:13], -1
	s_waitcnt vmcnt(0)
	v_cmp_eq_u16_e32 vcc, v16, v17
	s_and_saveexec_b64 s[4:5], vcc
	s_cbranch_execz .LBB345_125
; %bb.119:
	s_mov_b64 s[36:37], 1
	s_mov_b64 s[12:13], 0
                                        ; implicit-def: $sgpr14_sgpr15
	s_branch .LBB345_122
.LBB345_120:                            ;   in Loop: Header=BB345_122 Depth=1
	v_mov_b32_e32 v21, s37
	v_add_co_u32_e32 v16, vcc, s36, v12
	v_addc_co_u32_e32 v17, vcc, v13, v21, vcc
	v_add_co_u32_e32 v20, vcc, s36, v14
	v_addc_co_u32_e32 v21, vcc, v15, v21, vcc
	global_load_ubyte v27, v[16:17], off
	global_load_ubyte v28, v[20:21], off
	s_add_u32 s38, s36, 1
	s_addc_u32 s39, s37, 0
	s_andn2_b64 s[14:15], s[14:15], exec
	s_waitcnt vmcnt(0)
	v_cmp_ne_u16_e32 vcc, v27, v28
	s_and_b64 s[40:41], vcc, exec
	s_or_b64 s[14:15], s[14:15], s[40:41]
.LBB345_121:                            ;   in Loop: Header=BB345_122 Depth=1
	s_and_b64 s[40:41], exec, s[14:15]
	s_or_b64 s[12:13], s[40:41], s[12:13]
	v_pk_mov_b32 v[16:17], s[36:37], s[36:37] op_sel:[0,1]
	s_mov_b64 s[36:37], s[38:39]
	s_andn2_b64 exec, exec, s[12:13]
	s_cbranch_execz .LBB345_124
.LBB345_122:                            ; =>This Inner Loop Header: Depth=1
	s_or_b64 s[14:15], s[14:15], exec
	s_cmp_eq_u64 s[26:27], s[36:37]
	s_cbranch_scc0 .LBB345_120
; %bb.123:                              ;   in Loop: Header=BB345_122 Depth=1
                                        ; implicit-def: $sgpr38_sgpr39
	s_mov_b64 s[36:37], s[26:27]
	s_branch .LBB345_121
.LBB345_124:
	s_or_b64 exec, exec, s[12:13]
	v_cmp_gt_i64_e32 vcc, s[26:27], v[16:17]
	s_orn2_b64 s[12:13], vcc, exec
.LBB345_125:
	s_or_b64 exec, exec, s[4:5]
.LBB345_126:
	s_and_b64 s[12:13], s[12:13], exec
.LBB345_127:
	s_or_b64 exec, exec, s[10:11]
	v_cndmask_b32_e64 v13, 0, 1, s[8:9]
	v_or_b32_e32 v16, v18, v19
.LBB345_128:
	s_mov_b64 s[8:9], -1
	s_cbranch_execnz .LBB345_237
.LBB345_129:
	v_lshlrev_b32_e32 v12, 5, v0
	v_sub_u32_e32 v20, v26, v12
	s_mov_b64 s[12:13], 0
	v_cmp_gt_i64_e64 s[10:11], s[26:27], 0
	s_and_b64 vcc, exec, s[30:31]
	ds_write_b64 v20, v[10:11]
	s_cbranch_vccz .LBB345_137
; %bb.130:
	s_waitcnt vmcnt(0) lgkmcnt(1)
	v_mul_lo_u32 v14, v5, s26
	v_mul_lo_u32 v15, v4, s27
	v_mad_u64_u32 v[12:13], s[4:5], v4, s26, 0
	v_cndmask_b32_e64 v16, 0, 1, s[10:11]
	v_cmp_ne_u32_e64 s[4:5], 1, v16
	s_andn2_b64 vcc, exec, s[10:11]
	v_add3_u32 v13, v13, v15, v14
	s_cbranch_vccnz .LBB345_140
; %bb.131:
	v_mov_b32_e32 v15, s17
	v_add_co_u32_e32 v14, vcc, s16, v12
	v_pk_mov_b32 v[16:17], s[16:17], s[16:17] op_sel:[0,1]
	v_addc_co_u32_e32 v15, vcc, v15, v13, vcc
	v_mad_u64_u32 v[16:17], s[12:13], v10, s26, v[16:17]
	v_mul_lo_u32 v18, v10, s27
	v_mul_lo_u32 v19, v11, s26
	v_add3_u32 v17, v19, v17, v18
	global_load_ubyte v18, v[14:15], off
	global_load_ubyte v19, v[16:17], off
	s_mov_b64 s[12:13], -1
	s_waitcnt vmcnt(0)
	v_cmp_eq_u16_e32 vcc, v18, v19
	s_and_saveexec_b64 s[14:15], vcc
	s_cbranch_execz .LBB345_139
; %bb.132:
	s_mov_b64 s[38:39], 1
	s_mov_b64 s[12:13], 0
                                        ; implicit-def: $sgpr36_sgpr37
	s_branch .LBB345_135
.LBB345_133:                            ;   in Loop: Header=BB345_135 Depth=1
	v_mov_b32_e32 v21, s39
	v_add_co_u32_e32 v18, vcc, s38, v14
	v_addc_co_u32_e32 v19, vcc, v15, v21, vcc
	v_add_co_u32_e32 v26, vcc, s38, v16
	v_addc_co_u32_e32 v27, vcc, v17, v21, vcc
	global_load_ubyte v21, v[18:19], off
	global_load_ubyte v28, v[26:27], off
	s_add_u32 s40, s38, 1
	s_addc_u32 s41, s39, 0
	s_andn2_b64 s[36:37], s[36:37], exec
	s_waitcnt vmcnt(0)
	v_cmp_ne_u16_e32 vcc, v21, v28
	s_and_b64 s[42:43], vcc, exec
	s_or_b64 s[36:37], s[36:37], s[42:43]
.LBB345_134:                            ;   in Loop: Header=BB345_135 Depth=1
	s_and_b64 s[42:43], exec, s[36:37]
	s_or_b64 s[12:13], s[42:43], s[12:13]
	v_pk_mov_b32 v[18:19], s[38:39], s[38:39] op_sel:[0,1]
	s_mov_b64 s[38:39], s[40:41]
	s_andn2_b64 exec, exec, s[12:13]
	s_cbranch_execz .LBB345_138
.LBB345_135:                            ; =>This Inner Loop Header: Depth=1
	s_or_b64 s[36:37], s[36:37], exec
	s_cmp_eq_u64 s[26:27], s[38:39]
	s_cbranch_scc0 .LBB345_133
; %bb.136:                              ;   in Loop: Header=BB345_135 Depth=1
                                        ; implicit-def: $sgpr40_sgpr41
	s_mov_b64 s[38:39], s[26:27]
	s_branch .LBB345_134
.LBB345_137:
                                        ; implicit-def: $sgpr12_sgpr13
                                        ; implicit-def: $vgpr13
                                        ; implicit-def: $vgpr16
	s_cbranch_execnz .LBB345_179
	s_branch .LBB345_237
.LBB345_138:
	s_or_b64 exec, exec, s[12:13]
	v_cmp_gt_i64_e32 vcc, s[26:27], v[18:19]
	s_orn2_b64 s[12:13], vcc, exec
.LBB345_139:
	s_or_b64 exec, exec, s[14:15]
.LBB345_140:
	v_mul_lo_u32 v16, v3, s26
	v_mul_lo_u32 v17, v2, s27
	v_mad_u64_u32 v[14:15], s[14:15], v2, s26, 0
	v_add3_u32 v15, v15, v17, v16
	s_mov_b64 s[14:15], 0
	s_and_b64 vcc, exec, s[4:5]
	s_mov_b64 s[36:37], 0
	s_cbranch_vccnz .LBB345_149
; %bb.141:
	v_mov_b32_e32 v17, s17
	v_add_co_u32_e32 v16, vcc, s16, v14
	v_addc_co_u32_e32 v17, vcc, v17, v15, vcc
	v_mov_b32_e32 v18, s17
	v_add_co_u32_e32 v12, vcc, s16, v12
	v_addc_co_u32_e32 v13, vcc, v18, v13, vcc
	global_load_ubyte v18, v[16:17], off
	global_load_ubyte v19, v[12:13], off
	s_mov_b64 s[36:37], -1
	s_waitcnt vmcnt(0)
	v_cmp_eq_u16_e32 vcc, v18, v19
	s_and_saveexec_b64 s[38:39], vcc
	s_cbranch_execz .LBB345_148
; %bb.142:
	s_mov_b64 s[42:43], 1
	s_mov_b64 s[36:37], 0
                                        ; implicit-def: $sgpr40_sgpr41
	s_branch .LBB345_145
.LBB345_143:                            ;   in Loop: Header=BB345_145 Depth=1
	v_mov_b32_e32 v21, s43
	v_add_co_u32_e32 v18, vcc, s42, v16
	v_addc_co_u32_e32 v19, vcc, v17, v21, vcc
	v_add_co_u32_e32 v26, vcc, s42, v12
	v_addc_co_u32_e32 v27, vcc, v13, v21, vcc
	global_load_ubyte v21, v[18:19], off
	global_load_ubyte v28, v[26:27], off
	s_add_u32 s44, s42, 1
	s_addc_u32 s45, s43, 0
	s_andn2_b64 s[40:41], s[40:41], exec
	s_waitcnt vmcnt(0)
	v_cmp_ne_u16_e32 vcc, v21, v28
	s_and_b64 s[46:47], vcc, exec
	s_or_b64 s[40:41], s[40:41], s[46:47]
.LBB345_144:                            ;   in Loop: Header=BB345_145 Depth=1
	s_and_b64 s[46:47], exec, s[40:41]
	s_or_b64 s[36:37], s[46:47], s[36:37]
	v_pk_mov_b32 v[18:19], s[42:43], s[42:43] op_sel:[0,1]
	s_mov_b64 s[42:43], s[44:45]
	s_andn2_b64 exec, exec, s[36:37]
	s_cbranch_execz .LBB345_147
.LBB345_145:                            ; =>This Inner Loop Header: Depth=1
	s_or_b64 s[40:41], s[40:41], exec
	s_cmp_eq_u64 s[26:27], s[42:43]
	s_cbranch_scc0 .LBB345_143
; %bb.146:                              ;   in Loop: Header=BB345_145 Depth=1
                                        ; implicit-def: $sgpr44_sgpr45
	s_mov_b64 s[42:43], s[26:27]
	s_branch .LBB345_144
.LBB345_147:
	s_or_b64 exec, exec, s[36:37]
	v_cmp_gt_i64_e32 vcc, s[26:27], v[18:19]
	s_orn2_b64 s[36:37], vcc, exec
.LBB345_148:
	s_or_b64 exec, exec, s[38:39]
.LBB345_149:
	v_mul_lo_u32 v16, v9, s26
	v_mul_lo_u32 v17, v8, s27
	v_mad_u64_u32 v[12:13], s[38:39], v8, s26, 0
	s_and_b64 vcc, exec, s[4:5]
	v_add3_u32 v13, v13, v17, v16
	s_cbranch_vccnz .LBB345_158
; %bb.150:
	v_mov_b32_e32 v17, s17
	v_add_co_u32_e32 v16, vcc, s16, v12
	v_addc_co_u32_e32 v17, vcc, v17, v13, vcc
	v_mov_b32_e32 v18, s17
	v_add_co_u32_e32 v14, vcc, s16, v14
	v_addc_co_u32_e32 v15, vcc, v18, v15, vcc
	global_load_ubyte v18, v[16:17], off
	global_load_ubyte v19, v[14:15], off
	s_mov_b64 s[14:15], -1
	s_waitcnt vmcnt(0)
	v_cmp_eq_u16_e32 vcc, v18, v19
	s_and_saveexec_b64 s[38:39], vcc
	s_cbranch_execz .LBB345_157
; %bb.151:
	s_mov_b64 s[42:43], 1
	s_mov_b64 s[14:15], 0
                                        ; implicit-def: $sgpr40_sgpr41
	s_branch .LBB345_154
.LBB345_152:                            ;   in Loop: Header=BB345_154 Depth=1
	v_mov_b32_e32 v21, s43
	v_add_co_u32_e32 v18, vcc, s42, v16
	v_addc_co_u32_e32 v19, vcc, v17, v21, vcc
	v_add_co_u32_e32 v26, vcc, s42, v14
	v_addc_co_u32_e32 v27, vcc, v15, v21, vcc
	global_load_ubyte v21, v[18:19], off
	global_load_ubyte v28, v[26:27], off
	s_add_u32 s44, s42, 1
	s_addc_u32 s45, s43, 0
	s_andn2_b64 s[40:41], s[40:41], exec
	s_waitcnt vmcnt(0)
	v_cmp_ne_u16_e32 vcc, v21, v28
	s_and_b64 s[46:47], vcc, exec
	s_or_b64 s[40:41], s[40:41], s[46:47]
.LBB345_153:                            ;   in Loop: Header=BB345_154 Depth=1
	s_and_b64 s[46:47], exec, s[40:41]
	s_or_b64 s[14:15], s[46:47], s[14:15]
	v_pk_mov_b32 v[18:19], s[42:43], s[42:43] op_sel:[0,1]
	s_mov_b64 s[42:43], s[44:45]
	s_andn2_b64 exec, exec, s[14:15]
	s_cbranch_execz .LBB345_156
.LBB345_154:                            ; =>This Inner Loop Header: Depth=1
	s_or_b64 s[40:41], s[40:41], exec
	s_cmp_eq_u64 s[26:27], s[42:43]
	s_cbranch_scc0 .LBB345_152
; %bb.155:                              ;   in Loop: Header=BB345_154 Depth=1
                                        ; implicit-def: $sgpr44_sgpr45
	s_mov_b64 s[42:43], s[26:27]
	s_branch .LBB345_153
.LBB345_156:
	s_or_b64 exec, exec, s[14:15]
	v_cmp_gt_i64_e32 vcc, s[26:27], v[18:19]
	s_orn2_b64 s[14:15], vcc, exec
.LBB345_157:
	s_or_b64 exec, exec, s[38:39]
.LBB345_158:
	v_mul_lo_u32 v16, v7, s26
	v_mul_lo_u32 v17, v6, s27
	v_mad_u64_u32 v[14:15], s[38:39], v6, s26, 0
	v_add3_u32 v15, v15, v17, v16
	s_and_b64 vcc, exec, s[4:5]
	s_mov_b64 s[40:41], 0
	s_cbranch_vccnz .LBB345_167
; %bb.159:
	v_mov_b32_e32 v17, s17
	v_add_co_u32_e32 v16, vcc, s16, v14
	v_addc_co_u32_e32 v17, vcc, v17, v15, vcc
	v_mov_b32_e32 v18, s17
	v_add_co_u32_e32 v12, vcc, s16, v12
	v_addc_co_u32_e32 v13, vcc, v18, v13, vcc
	global_load_ubyte v18, v[16:17], off
	global_load_ubyte v19, v[12:13], off
	s_mov_b64 s[40:41], -1
	s_waitcnt vmcnt(0)
	v_cmp_eq_u16_e32 vcc, v18, v19
	s_and_saveexec_b64 s[38:39], vcc
	s_cbranch_execz .LBB345_166
; %bb.160:
	s_mov_b64 s[44:45], 1
	s_mov_b64 s[40:41], 0
                                        ; implicit-def: $sgpr42_sgpr43
	s_branch .LBB345_163
.LBB345_161:                            ;   in Loop: Header=BB345_163 Depth=1
	v_mov_b32_e32 v21, s45
	v_add_co_u32_e32 v18, vcc, s44, v16
	v_addc_co_u32_e32 v19, vcc, v17, v21, vcc
	v_add_co_u32_e32 v26, vcc, s44, v12
	v_addc_co_u32_e32 v27, vcc, v13, v21, vcc
	global_load_ubyte v21, v[18:19], off
	global_load_ubyte v28, v[26:27], off
	s_add_u32 s46, s44, 1
	s_addc_u32 s47, s45, 0
	s_andn2_b64 s[42:43], s[42:43], exec
	s_waitcnt vmcnt(0)
	v_cmp_ne_u16_e32 vcc, v21, v28
	s_and_b64 s[50:51], vcc, exec
	s_or_b64 s[42:43], s[42:43], s[50:51]
.LBB345_162:                            ;   in Loop: Header=BB345_163 Depth=1
	s_and_b64 s[50:51], exec, s[42:43]
	s_or_b64 s[40:41], s[50:51], s[40:41]
	v_pk_mov_b32 v[18:19], s[44:45], s[44:45] op_sel:[0,1]
	s_mov_b64 s[44:45], s[46:47]
	s_andn2_b64 exec, exec, s[40:41]
	s_cbranch_execz .LBB345_165
.LBB345_163:                            ; =>This Inner Loop Header: Depth=1
	s_or_b64 s[42:43], s[42:43], exec
	s_cmp_eq_u64 s[26:27], s[44:45]
	s_cbranch_scc0 .LBB345_161
; %bb.164:                              ;   in Loop: Header=BB345_163 Depth=1
                                        ; implicit-def: $sgpr46_sgpr47
	s_mov_b64 s[44:45], s[26:27]
	s_branch .LBB345_162
.LBB345_165:
	s_or_b64 exec, exec, s[40:41]
	v_cmp_gt_i64_e32 vcc, s[26:27], v[18:19]
	s_orn2_b64 s[40:41], vcc, exec
.LBB345_166:
	s_or_b64 exec, exec, s[38:39]
.LBB345_167:
	v_cndmask_b32_e64 v13, 0, 1, s[36:37]
	v_cndmask_b32_e64 v16, 0, 1, s[40:41]
	;; [unrolled: 1-line block ×3, first 2 shown]
	v_lshlrev_b16_e32 v16, 8, v16
	v_lshlrev_b16_e32 v13, 8, v13
	v_or_b32_e32 v16, 1, v16
	v_or_b32_sdwa v12, v12, v13 dst_sel:WORD_1 dst_unused:UNUSED_PAD src0_sel:DWORD src1_sel:DWORD
	v_or_b32_sdwa v12, v16, v12 dst_sel:DWORD dst_unused:UNUSED_PAD src0_sel:WORD_0 src1_sel:DWORD
	v_cndmask_b32_e64 v13, 0, 1, s[12:13]
	s_waitcnt lgkmcnt(0)
	s_barrier
	s_waitcnt lgkmcnt(0)
                                        ; implicit-def: $sgpr12_sgpr13
                                        ; implicit-def: $vgpr16
	s_and_saveexec_b64 s[14:15], s[2:3]
	s_xor_b64 s[14:15], exec, s[14:15]
	s_cbranch_execz .LBB345_178
; %bb.168:
	s_mov_b32 s42, 0x3020104
	s_and_b64 vcc, exec, s[4:5]
	s_mov_b64 s[12:13], 0
	s_cbranch_vccnz .LBB345_177
; %bb.169:
	v_add_u32_e32 v16, -8, v20
	ds_read_b64 v[16:17], v16
	v_pk_mov_b32 v[18:19], s[16:17], s[16:17] op_sel:[0,1]
	v_add_co_u32_e32 v14, vcc, s16, v14
	s_mov_b64 s[12:13], -1
	s_waitcnt lgkmcnt(0)
	v_mul_lo_u32 v21, v16, s27
	v_mul_lo_u32 v26, v17, s26
	v_mad_u64_u32 v[16:17], s[4:5], v16, s26, v[18:19]
	v_mov_b32_e32 v18, s17
	v_addc_co_u32_e32 v15, vcc, v18, v15, vcc
	v_add3_u32 v17, v26, v17, v21
	global_load_ubyte v18, v[14:15], off
	global_load_ubyte v19, v[16:17], off
	s_waitcnt vmcnt(0)
	v_cmp_eq_u16_e32 vcc, v19, v18
	s_and_saveexec_b64 s[4:5], vcc
	s_cbranch_execz .LBB345_176
; %bb.170:
	s_mov_b64 s[38:39], 1
	s_mov_b64 s[12:13], 0
                                        ; implicit-def: $sgpr36_sgpr37
	s_branch .LBB345_173
.LBB345_171:                            ;   in Loop: Header=BB345_173 Depth=1
	v_mov_b32_e32 v21, s39
	v_add_co_u32_e32 v18, vcc, s38, v16
	v_addc_co_u32_e32 v19, vcc, v17, v21, vcc
	v_add_co_u32_e32 v26, vcc, s38, v14
	v_addc_co_u32_e32 v27, vcc, v15, v21, vcc
	global_load_ubyte v21, v[18:19], off
	global_load_ubyte v28, v[26:27], off
	s_add_u32 s40, s38, 1
	s_addc_u32 s41, s39, 0
	s_andn2_b64 s[36:37], s[36:37], exec
	s_waitcnt vmcnt(0)
	v_cmp_ne_u16_e32 vcc, v21, v28
	s_and_b64 s[44:45], vcc, exec
	s_or_b64 s[36:37], s[36:37], s[44:45]
.LBB345_172:                            ;   in Loop: Header=BB345_173 Depth=1
	s_and_b64 s[44:45], exec, s[36:37]
	s_or_b64 s[12:13], s[44:45], s[12:13]
	v_pk_mov_b32 v[18:19], s[38:39], s[38:39] op_sel:[0,1]
	s_mov_b64 s[38:39], s[40:41]
	s_andn2_b64 exec, exec, s[12:13]
	s_cbranch_execz .LBB345_175
.LBB345_173:                            ; =>This Inner Loop Header: Depth=1
	s_or_b64 s[36:37], s[36:37], exec
	s_cmp_eq_u64 s[26:27], s[38:39]
	s_cbranch_scc0 .LBB345_171
; %bb.174:                              ;   in Loop: Header=BB345_173 Depth=1
                                        ; implicit-def: $sgpr40_sgpr41
	s_mov_b64 s[38:39], s[26:27]
	s_branch .LBB345_172
.LBB345_175:
	s_or_b64 exec, exec, s[12:13]
	v_cmp_gt_i64_e32 vcc, s[26:27], v[18:19]
	s_orn2_b64 s[12:13], vcc, exec
.LBB345_176:
	s_or_b64 exec, exec, s[4:5]
.LBB345_177:
	v_perm_b32 v16, v12, v12, s42
	s_and_b64 s[12:13], s[12:13], exec
	s_or_b64 s[8:9], s[8:9], exec
.LBB345_178:
	s_or_b64 exec, exec, s[14:15]
	s_branch .LBB345_237
.LBB345_179:
	v_cmp_gt_u32_e32 vcc, s48, v23
	s_mov_b64 s[12:13], 0
	s_mov_b64 s[4:5], 0
	s_and_saveexec_b64 s[14:15], vcc
	s_cbranch_execz .LBB345_190
; %bb.180:
	s_andn2_b64 vcc, exec, s[10:11]
	s_mov_b64 s[36:37], 0
	s_cbranch_vccnz .LBB345_189
; %bb.181:
	s_waitcnt vmcnt(0) lgkmcnt(1)
	v_pk_mov_b32 v[14:15], s[16:17], s[16:17] op_sel:[0,1]
	v_mad_u64_u32 v[12:13], s[4:5], v4, s26, v[14:15]
	v_mul_lo_u32 v16, v4, s27
	v_mul_lo_u32 v17, v5, s26
	v_add3_u32 v13, v17, v13, v16
	v_mad_u64_u32 v[14:15], s[4:5], v10, s26, v[14:15]
	v_mul_lo_u32 v16, v10, s27
	v_mul_lo_u32 v17, v11, s26
	v_add3_u32 v15, v17, v15, v16
	global_load_ubyte v16, v[12:13], off
	global_load_ubyte v17, v[14:15], off
	s_mov_b64 s[36:37], -1
	s_waitcnt vmcnt(0)
	v_cmp_eq_u16_e32 vcc, v16, v17
	s_and_saveexec_b64 s[4:5], vcc
	s_cbranch_execz .LBB345_188
; %bb.182:
	s_mov_b64 s[40:41], 1
	s_mov_b64 s[36:37], 0
                                        ; implicit-def: $sgpr38_sgpr39
	s_branch .LBB345_185
.LBB345_183:                            ;   in Loop: Header=BB345_185 Depth=1
	v_mov_b32_e32 v19, s41
	v_add_co_u32_e32 v16, vcc, s40, v12
	v_addc_co_u32_e32 v17, vcc, v13, v19, vcc
	v_add_co_u32_e32 v18, vcc, s40, v14
	v_addc_co_u32_e32 v19, vcc, v15, v19, vcc
	global_load_ubyte v21, v[16:17], off
	global_load_ubyte v26, v[18:19], off
	s_add_u32 s42, s40, 1
	s_addc_u32 s43, s41, 0
	s_andn2_b64 s[38:39], s[38:39], exec
	s_waitcnt vmcnt(0)
	v_cmp_ne_u16_e32 vcc, v21, v26
	s_and_b64 s[44:45], vcc, exec
	s_or_b64 s[38:39], s[38:39], s[44:45]
.LBB345_184:                            ;   in Loop: Header=BB345_185 Depth=1
	s_and_b64 s[44:45], exec, s[38:39]
	s_or_b64 s[36:37], s[44:45], s[36:37]
	v_pk_mov_b32 v[16:17], s[40:41], s[40:41] op_sel:[0,1]
	s_mov_b64 s[40:41], s[42:43]
	s_andn2_b64 exec, exec, s[36:37]
	s_cbranch_execz .LBB345_187
.LBB345_185:                            ; =>This Inner Loop Header: Depth=1
	s_or_b64 s[38:39], s[38:39], exec
	s_cmp_eq_u64 s[26:27], s[40:41]
	s_cbranch_scc0 .LBB345_183
; %bb.186:                              ;   in Loop: Header=BB345_185 Depth=1
                                        ; implicit-def: $sgpr42_sgpr43
	s_mov_b64 s[40:41], s[26:27]
	s_branch .LBB345_184
.LBB345_187:
	s_or_b64 exec, exec, s[36:37]
	v_cmp_gt_i64_e32 vcc, s[26:27], v[16:17]
	s_orn2_b64 s[36:37], vcc, exec
.LBB345_188:
	s_or_b64 exec, exec, s[4:5]
.LBB345_189:
	s_and_b64 s[4:5], s[36:37], exec
.LBB345_190:
	s_or_b64 exec, exec, s[14:15]
	v_cmp_gt_u32_e32 vcc, s48, v25
	s_and_saveexec_b64 s[14:15], vcc
	s_cbranch_execz .LBB345_201
; %bb.191:
	s_andn2_b64 vcc, exec, s[10:11]
	s_mov_b64 s[36:37], 0
	s_cbranch_vccnz .LBB345_200
; %bb.192:
	s_waitcnt vmcnt(0) lgkmcnt(1)
	v_pk_mov_b32 v[14:15], s[16:17], s[16:17] op_sel:[0,1]
	v_mad_u64_u32 v[12:13], s[12:13], v2, s26, v[14:15]
	v_mul_lo_u32 v16, v2, s27
	v_mul_lo_u32 v17, v3, s26
	v_add3_u32 v13, v17, v13, v16
	v_mad_u64_u32 v[14:15], s[12:13], v4, s26, v[14:15]
	v_mul_lo_u32 v16, v4, s27
	v_mul_lo_u32 v17, v5, s26
	v_add3_u32 v15, v17, v15, v16
	global_load_ubyte v16, v[12:13], off
	global_load_ubyte v17, v[14:15], off
	s_mov_b64 s[36:37], -1
	s_waitcnt vmcnt(0)
	v_cmp_eq_u16_e32 vcc, v16, v17
	s_and_saveexec_b64 s[12:13], vcc
	s_cbranch_execz .LBB345_199
; %bb.193:
	s_mov_b64 s[40:41], 1
	s_mov_b64 s[36:37], 0
                                        ; implicit-def: $sgpr38_sgpr39
	s_branch .LBB345_196
.LBB345_194:                            ;   in Loop: Header=BB345_196 Depth=1
	v_mov_b32_e32 v19, s41
	v_add_co_u32_e32 v16, vcc, s40, v12
	v_addc_co_u32_e32 v17, vcc, v13, v19, vcc
	v_add_co_u32_e32 v18, vcc, s40, v14
	v_addc_co_u32_e32 v19, vcc, v15, v19, vcc
	global_load_ubyte v21, v[16:17], off
	global_load_ubyte v26, v[18:19], off
	s_add_u32 s42, s40, 1
	s_addc_u32 s43, s41, 0
	s_andn2_b64 s[38:39], s[38:39], exec
	s_waitcnt vmcnt(0)
	v_cmp_ne_u16_e32 vcc, v21, v26
	s_and_b64 s[44:45], vcc, exec
	s_or_b64 s[38:39], s[38:39], s[44:45]
.LBB345_195:                            ;   in Loop: Header=BB345_196 Depth=1
	s_and_b64 s[44:45], exec, s[38:39]
	s_or_b64 s[36:37], s[44:45], s[36:37]
	v_pk_mov_b32 v[16:17], s[40:41], s[40:41] op_sel:[0,1]
	s_mov_b64 s[40:41], s[42:43]
	s_andn2_b64 exec, exec, s[36:37]
	s_cbranch_execz .LBB345_198
.LBB345_196:                            ; =>This Inner Loop Header: Depth=1
	s_or_b64 s[38:39], s[38:39], exec
	s_cmp_eq_u64 s[26:27], s[40:41]
	s_cbranch_scc0 .LBB345_194
; %bb.197:                              ;   in Loop: Header=BB345_196 Depth=1
                                        ; implicit-def: $sgpr42_sgpr43
	s_mov_b64 s[40:41], s[26:27]
	s_branch .LBB345_195
.LBB345_198:
	s_or_b64 exec, exec, s[36:37]
	v_cmp_gt_i64_e32 vcc, s[26:27], v[16:17]
	s_orn2_b64 s[36:37], vcc, exec
.LBB345_199:
	s_or_b64 exec, exec, s[12:13]
.LBB345_200:
	s_and_b64 s[12:13], s[36:37], exec
.LBB345_201:
	s_or_b64 exec, exec, s[14:15]
	v_cmp_gt_u32_e32 vcc, s48, v22
	s_mov_b64 s[14:15], 0
	s_mov_b64 s[36:37], 0
	s_and_saveexec_b64 s[38:39], vcc
	s_cbranch_execz .LBB345_212
; %bb.202:
	s_andn2_b64 vcc, exec, s[10:11]
	s_mov_b64 s[40:41], 0
	s_cbranch_vccnz .LBB345_211
; %bb.203:
	s_waitcnt vmcnt(0) lgkmcnt(1)
	v_pk_mov_b32 v[14:15], s[16:17], s[16:17] op_sel:[0,1]
	v_mad_u64_u32 v[12:13], s[36:37], v8, s26, v[14:15]
	v_mul_lo_u32 v16, v8, s27
	v_mul_lo_u32 v17, v9, s26
	v_add3_u32 v13, v17, v13, v16
	v_mad_u64_u32 v[14:15], s[36:37], v2, s26, v[14:15]
	v_mul_lo_u32 v16, v2, s27
	v_mul_lo_u32 v17, v3, s26
	v_add3_u32 v15, v17, v15, v16
	global_load_ubyte v16, v[12:13], off
	global_load_ubyte v17, v[14:15], off
	s_mov_b64 s[40:41], -1
	s_waitcnt vmcnt(0)
	v_cmp_eq_u16_e32 vcc, v16, v17
	s_and_saveexec_b64 s[36:37], vcc
	s_cbranch_execz .LBB345_210
; %bb.204:
	s_mov_b64 s[44:45], 1
	s_mov_b64 s[40:41], 0
                                        ; implicit-def: $sgpr42_sgpr43
	s_branch .LBB345_207
.LBB345_205:                            ;   in Loop: Header=BB345_207 Depth=1
	v_mov_b32_e32 v19, s45
	v_add_co_u32_e32 v16, vcc, s44, v12
	v_addc_co_u32_e32 v17, vcc, v13, v19, vcc
	v_add_co_u32_e32 v18, vcc, s44, v14
	v_addc_co_u32_e32 v19, vcc, v15, v19, vcc
	global_load_ubyte v21, v[16:17], off
	global_load_ubyte v26, v[18:19], off
	s_add_u32 s46, s44, 1
	s_addc_u32 s47, s45, 0
	s_andn2_b64 s[42:43], s[42:43], exec
	s_waitcnt vmcnt(0)
	v_cmp_ne_u16_e32 vcc, v21, v26
	s_and_b64 s[50:51], vcc, exec
	s_or_b64 s[42:43], s[42:43], s[50:51]
.LBB345_206:                            ;   in Loop: Header=BB345_207 Depth=1
	s_and_b64 s[50:51], exec, s[42:43]
	s_or_b64 s[40:41], s[50:51], s[40:41]
	v_pk_mov_b32 v[16:17], s[44:45], s[44:45] op_sel:[0,1]
	s_mov_b64 s[44:45], s[46:47]
	s_andn2_b64 exec, exec, s[40:41]
	s_cbranch_execz .LBB345_209
.LBB345_207:                            ; =>This Inner Loop Header: Depth=1
	s_or_b64 s[42:43], s[42:43], exec
	s_cmp_eq_u64 s[26:27], s[44:45]
	s_cbranch_scc0 .LBB345_205
; %bb.208:                              ;   in Loop: Header=BB345_207 Depth=1
                                        ; implicit-def: $sgpr46_sgpr47
	s_mov_b64 s[44:45], s[26:27]
	s_branch .LBB345_206
.LBB345_209:
	s_or_b64 exec, exec, s[40:41]
	v_cmp_gt_i64_e32 vcc, s[26:27], v[16:17]
	s_orn2_b64 s[40:41], vcc, exec
.LBB345_210:
	s_or_b64 exec, exec, s[36:37]
.LBB345_211:
	s_and_b64 s[36:37], s[40:41], exec
.LBB345_212:
	s_or_b64 exec, exec, s[38:39]
	v_cmp_gt_u32_e32 vcc, s48, v24
	s_and_saveexec_b64 s[38:39], vcc
	s_cbranch_execz .LBB345_223
; %bb.213:
	s_andn2_b64 vcc, exec, s[10:11]
	s_mov_b64 s[40:41], 0
	s_cbranch_vccnz .LBB345_222
; %bb.214:
	s_waitcnt vmcnt(0) lgkmcnt(1)
	v_pk_mov_b32 v[14:15], s[16:17], s[16:17] op_sel:[0,1]
	v_mad_u64_u32 v[12:13], s[14:15], v6, s26, v[14:15]
	v_mul_lo_u32 v16, v6, s27
	v_mul_lo_u32 v17, v7, s26
	v_add3_u32 v13, v17, v13, v16
	v_mad_u64_u32 v[14:15], s[14:15], v8, s26, v[14:15]
	v_mul_lo_u32 v16, v8, s27
	v_mul_lo_u32 v17, v9, s26
	v_add3_u32 v15, v17, v15, v16
	global_load_ubyte v16, v[12:13], off
	global_load_ubyte v17, v[14:15], off
	s_mov_b64 s[40:41], -1
	s_waitcnt vmcnt(0)
	v_cmp_eq_u16_e32 vcc, v16, v17
	s_and_saveexec_b64 s[14:15], vcc
	s_cbranch_execz .LBB345_221
; %bb.215:
	s_mov_b64 s[44:45], 1
	s_mov_b64 s[40:41], 0
                                        ; implicit-def: $sgpr42_sgpr43
	s_branch .LBB345_218
.LBB345_216:                            ;   in Loop: Header=BB345_218 Depth=1
	v_mov_b32_e32 v19, s45
	v_add_co_u32_e32 v16, vcc, s44, v12
	v_addc_co_u32_e32 v17, vcc, v13, v19, vcc
	v_add_co_u32_e32 v18, vcc, s44, v14
	v_addc_co_u32_e32 v19, vcc, v15, v19, vcc
	global_load_ubyte v21, v[16:17], off
	global_load_ubyte v26, v[18:19], off
	s_add_u32 s46, s44, 1
	s_addc_u32 s47, s45, 0
	s_andn2_b64 s[42:43], s[42:43], exec
	s_waitcnt vmcnt(0)
	v_cmp_ne_u16_e32 vcc, v21, v26
	s_and_b64 s[50:51], vcc, exec
	s_or_b64 s[42:43], s[42:43], s[50:51]
.LBB345_217:                            ;   in Loop: Header=BB345_218 Depth=1
	s_and_b64 s[50:51], exec, s[42:43]
	s_or_b64 s[40:41], s[50:51], s[40:41]
	v_pk_mov_b32 v[16:17], s[44:45], s[44:45] op_sel:[0,1]
	s_mov_b64 s[44:45], s[46:47]
	s_andn2_b64 exec, exec, s[40:41]
	s_cbranch_execz .LBB345_220
.LBB345_218:                            ; =>This Inner Loop Header: Depth=1
	s_or_b64 s[42:43], s[42:43], exec
	s_cmp_eq_u64 s[26:27], s[44:45]
	s_cbranch_scc0 .LBB345_216
; %bb.219:                              ;   in Loop: Header=BB345_218 Depth=1
                                        ; implicit-def: $sgpr46_sgpr47
	s_mov_b64 s[44:45], s[26:27]
	s_branch .LBB345_217
.LBB345_220:
	s_or_b64 exec, exec, s[40:41]
	v_cmp_gt_i64_e32 vcc, s[26:27], v[16:17]
	s_orn2_b64 s[40:41], vcc, exec
.LBB345_221:
	s_or_b64 exec, exec, s[14:15]
.LBB345_222:
	s_and_b64 s[14:15], s[40:41], exec
.LBB345_223:
	s_or_b64 exec, exec, s[38:39]
	v_cndmask_b32_e64 v13, 0, 1, s[12:13]
	s_waitcnt vmcnt(0) lgkmcnt(1)
	v_cndmask_b32_e64 v14, 0, 1, s[14:15]
	v_cndmask_b32_e64 v12, 0, 1, s[36:37]
	v_lshlrev_b16_e32 v14, 8, v14
	v_lshlrev_b16_e32 v13, 8, v13
	v_or_b32_e32 v14, 1, v14
	v_or_b32_sdwa v12, v12, v13 dst_sel:WORD_1 dst_unused:UNUSED_PAD src0_sel:DWORD src1_sel:DWORD
	v_or_b32_sdwa v12, v14, v12 dst_sel:DWORD dst_unused:UNUSED_PAD src0_sel:WORD_0 src1_sel:DWORD
	v_cndmask_b32_e64 v13, 0, 1, s[4:5]
	s_waitcnt lgkmcnt(0)
	s_barrier
	s_waitcnt lgkmcnt(0)
                                        ; implicit-def: $sgpr12_sgpr13
                                        ; implicit-def: $vgpr16
	s_and_saveexec_b64 s[4:5], s[2:3]
	s_cbranch_execz .LBB345_236
; %bb.224:
	v_cmp_gt_u32_e32 vcc, s48, v1
	s_mov_b32 s38, 0x3020104
	s_mov_b64 s[12:13], 0
	s_and_saveexec_b64 s[2:3], vcc
	s_cbranch_execz .LBB345_235
; %bb.225:
	s_andn2_b64 vcc, exec, s[10:11]
	s_cbranch_vccnz .LBB345_234
; %bb.226:
	v_add_u32_e32 v14, -8, v20
	ds_read_b64 v[14:15], v14
	v_pk_mov_b32 v[16:17], s[16:17], s[16:17] op_sel:[0,1]
	s_mov_b64 s[12:13], -1
	s_waitcnt lgkmcnt(0)
	v_mul_lo_u32 v18, v14, s27
	v_mul_lo_u32 v19, v15, s26
	v_mad_u64_u32 v[14:15], s[10:11], v14, s26, v[16:17]
	v_add3_u32 v15, v19, v15, v18
	v_mad_u64_u32 v[16:17], s[10:11], v6, s26, v[16:17]
	v_mul_lo_u32 v18, v6, s27
	v_mul_lo_u32 v19, v7, s26
	v_add3_u32 v17, v19, v17, v18
	global_load_ubyte v18, v[14:15], off
	global_load_ubyte v19, v[16:17], off
	s_waitcnt vmcnt(0)
	v_cmp_eq_u16_e32 vcc, v18, v19
	s_and_saveexec_b64 s[10:11], vcc
	s_cbranch_execz .LBB345_233
; %bb.227:
	s_mov_b64 s[16:17], 1
	s_mov_b64 s[12:13], 0
                                        ; implicit-def: $sgpr14_sgpr15
	s_branch .LBB345_230
.LBB345_228:                            ;   in Loop: Header=BB345_230 Depth=1
	v_mov_b32_e32 v21, s17
	v_add_co_u32_e32 v18, vcc, s16, v14
	v_addc_co_u32_e32 v19, vcc, v15, v21, vcc
	v_add_co_u32_e32 v20, vcc, s16, v16
	v_addc_co_u32_e32 v21, vcc, v17, v21, vcc
	global_load_ubyte v26, v[18:19], off
	global_load_ubyte v27, v[20:21], off
	s_add_u32 s36, s16, 1
	s_addc_u32 s37, s17, 0
	s_andn2_b64 s[14:15], s[14:15], exec
	s_waitcnt vmcnt(0)
	v_cmp_ne_u16_e32 vcc, v26, v27
	s_and_b64 s[40:41], vcc, exec
	s_or_b64 s[14:15], s[14:15], s[40:41]
.LBB345_229:                            ;   in Loop: Header=BB345_230 Depth=1
	s_and_b64 s[40:41], exec, s[14:15]
	s_or_b64 s[12:13], s[40:41], s[12:13]
	v_pk_mov_b32 v[18:19], s[16:17], s[16:17] op_sel:[0,1]
	s_mov_b64 s[16:17], s[36:37]
	s_andn2_b64 exec, exec, s[12:13]
	s_cbranch_execz .LBB345_232
.LBB345_230:                            ; =>This Inner Loop Header: Depth=1
	s_or_b64 s[14:15], s[14:15], exec
	s_cmp_eq_u64 s[26:27], s[16:17]
	s_cbranch_scc0 .LBB345_228
; %bb.231:                              ;   in Loop: Header=BB345_230 Depth=1
                                        ; implicit-def: $sgpr36_sgpr37
	s_mov_b64 s[16:17], s[26:27]
	s_branch .LBB345_229
.LBB345_232:
	s_or_b64 exec, exec, s[12:13]
	v_cmp_gt_i64_e32 vcc, s[26:27], v[18:19]
	s_orn2_b64 s[12:13], vcc, exec
.LBB345_233:
	s_or_b64 exec, exec, s[10:11]
.LBB345_234:
	s_and_b64 s[12:13], s[12:13], exec
.LBB345_235:
	s_or_b64 exec, exec, s[2:3]
	v_perm_b32 v16, v12, v12, s38
	s_and_b64 s[12:13], s[12:13], exec
	s_or_b64 s[8:9], s[8:9], exec
.LBB345_236:
	s_or_b64 exec, exec, s[4:5]
.LBB345_237:
	s_and_saveexec_b64 s[2:3], s[8:9]
	s_cbranch_execz .LBB345_239
; %bb.238:
	s_waitcnt vmcnt(0) lgkmcnt(0)
	v_lshrrev_b32_e32 v14, 24, v16
	s_movk_i32 s4, 0xff
	v_lshlrev_b16_e32 v14, 8, v14
	v_and_b32_sdwa v15, v16, s4 dst_sel:DWORD dst_unused:UNUSED_PAD src0_sel:WORD_1 src1_sel:DWORD
	v_or_b32_sdwa v14, v15, v14 dst_sel:WORD_1 dst_unused:UNUSED_PAD src0_sel:DWORD src1_sel:DWORD
	v_mov_b32_e32 v15, 8
	v_cndmask_b32_e64 v12, 0, 1, s[12:13]
	v_lshrrev_b32_sdwa v15, v15, v16 dst_sel:BYTE_1 dst_unused:UNUSED_PAD src0_sel:DWORD src1_sel:DWORD
	v_or_b32_e32 v12, v12, v15
	s_mov_b32 s4, 0xffff
	v_or_b32_sdwa v12, v12, v14 dst_sel:DWORD dst_unused:UNUSED_PAD src0_sel:WORD_0 src1_sel:DWORD
	v_and_b32_sdwa v13, s4, v13 dst_sel:DWORD dst_unused:UNUSED_PAD src0_sel:DWORD src1_sel:BYTE_0
.LBB345_239:
	s_or_b64 exec, exec, s[2:3]
	s_andn2_b64 vcc, exec, s[6:7]
	s_cbranch_vccnz .LBB345_241
; %bb.240:
	v_cmp_gt_u32_e32 vcc, s48, v1
	v_cndmask_b32_e32 v1, 0, v12, vcc
	v_and_b32_e32 v1, 0xffff00ff, v1
	v_cmp_gt_u32_e64 s[2:3], s48, v24
	v_cndmask_b32_e64 v1, v1, v12, s[2:3]
	s_waitcnt vmcnt(0) lgkmcnt(0)
	v_lshrrev_b32_e32 v14, 24, v1
	s_mov_b32 s4, 0x40c0100
	v_perm_b32 v1, v14, v1, s4
	v_cmp_gt_u32_e64 s[4:5], s48, v22
	v_cmp_gt_u32_e64 s[6:7], s48, v25
	v_cndmask_b32_e64 v1, v1, v12, s[4:5]
	s_or_b64 s[4:5], s[6:7], s[4:5]
	s_or_b64 s[2:3], s[4:5], s[2:3]
	s_or_b64 vcc, s[2:3], vcc
	v_and_b32_e32 v1, 0xffffff, v1
	v_cndmask_b32_e32 v14, 0, v13, vcc
	v_cndmask_b32_e64 v1, v1, v12, s[6:7]
	v_and_b32_e32 v14, 0xffffff00, v14
	v_cmp_gt_u32_e32 vcc, s48, v23
	v_cndmask_b32_e32 v1, v1, v12, vcc
	v_cndmask_b32_e32 v12, v14, v13, vcc
	s_mov_b32 s2, 0x3020104
	v_and_b32_e32 v13, 0xff, v12
	v_perm_b32 v12, v1, v1, s2
.LBB345_241:
	v_and_b32_e32 v1, 0xff, v12
	v_bfe_u32 v25, v12, 8, 8
	v_bfe_u32 v27, v12, 16, 8
	s_waitcnt vmcnt(0) lgkmcnt(0)
	v_alignbit_b32 v14, v13, v12, 24
	v_and_b32_e32 v28, 0xff, v14
	v_and_b32_e32 v14, 0xff, v13
	v_add3_u32 v15, v25, v1, v27
	v_add3_u32 v31, v15, v28, v14
	v_mbcnt_lo_u32_b32 v14, -1, 0
	v_mbcnt_hi_u32_b32 v29, -1, v14
	v_and_b32_e32 v14, 15, v29
	v_cmp_eq_u32_e64 s[14:15], 0, v14
	v_cmp_lt_u32_e64 s[12:13], 1, v14
	v_cmp_lt_u32_e64 s[10:11], 3, v14
	;; [unrolled: 1-line block ×3, first 2 shown]
	v_and_b32_e32 v14, 16, v29
	v_cmp_eq_u32_e64 s[6:7], 0, v14
	v_or_b32_e32 v14, 63, v0
	v_cmp_lt_u32_e64 s[2:3], 31, v29
	v_lshrrev_b32_e32 v30, 6, v0
	v_cmp_eq_u32_e64 s[4:5], v14, v0
	s_and_b64 vcc, exec, s[34:35]
	s_barrier
	s_cbranch_vccz .LBB345_268
; %bb.242:
	v_mov_b32_dpp v14, v31 row_shr:1 row_mask:0xf bank_mask:0xf
	v_cndmask_b32_e64 v14, v14, 0, s[14:15]
	v_add_u32_e32 v14, v14, v31
	s_nop 1
	v_mov_b32_dpp v15, v14 row_shr:2 row_mask:0xf bank_mask:0xf
	v_cndmask_b32_e64 v15, 0, v15, s[12:13]
	v_add_u32_e32 v14, v14, v15
	s_nop 1
	;; [unrolled: 4-line block ×4, first 2 shown]
	v_mov_b32_dpp v15, v14 row_bcast:15 row_mask:0xf bank_mask:0xf
	v_cndmask_b32_e64 v15, v15, 0, s[6:7]
	v_add_u32_e32 v14, v14, v15
	s_nop 1
	v_mov_b32_dpp v15, v14 row_bcast:31 row_mask:0xf bank_mask:0xf
	v_cndmask_b32_e64 v15, 0, v15, s[2:3]
	v_add_u32_e32 v14, v14, v15
	s_and_saveexec_b64 s[16:17], s[4:5]
	s_cbranch_execz .LBB345_244
; %bb.243:
	v_lshlrev_b32_e32 v15, 2, v30
	ds_write_b32 v15, v14
.LBB345_244:
	s_or_b64 exec, exec, s[16:17]
	v_cmp_gt_u32_e32 vcc, 4, v0
	s_waitcnt lgkmcnt(0)
	s_barrier
	s_and_saveexec_b64 s[16:17], vcc
	s_cbranch_execz .LBB345_246
; %bb.245:
	v_lshlrev_b32_e32 v15, 2, v0
	ds_read_b32 v16, v15
	v_and_b32_e32 v17, 3, v29
	v_cmp_ne_u32_e32 vcc, 0, v17
	s_waitcnt lgkmcnt(0)
	v_mov_b32_dpp v18, v16 row_shr:1 row_mask:0xf bank_mask:0xf
	v_cndmask_b32_e32 v18, 0, v18, vcc
	v_add_u32_e32 v16, v18, v16
	v_cmp_lt_u32_e32 vcc, 1, v17
	s_nop 0
	v_mov_b32_dpp v18, v16 row_shr:2 row_mask:0xf bank_mask:0xf
	v_cndmask_b32_e32 v17, 0, v18, vcc
	v_add_u32_e32 v16, v16, v17
	ds_write_b32 v15, v16
.LBB345_246:
	s_or_b64 exec, exec, s[16:17]
	v_cmp_gt_u32_e32 vcc, 64, v0
	v_cmp_lt_u32_e64 s[16:17], 63, v0
	s_waitcnt lgkmcnt(0)
	s_barrier
	s_waitcnt lgkmcnt(0)
                                        ; implicit-def: $vgpr24
	s_and_saveexec_b64 s[26:27], s[16:17]
	s_cbranch_execz .LBB345_248
; %bb.247:
	v_lshl_add_u32 v15, v30, 2, -4
	ds_read_b32 v24, v15
	s_waitcnt lgkmcnt(0)
	v_add_u32_e32 v14, v24, v14
.LBB345_248:
	s_or_b64 exec, exec, s[26:27]
	v_add_u32_e32 v15, -1, v29
	v_and_b32_e32 v16, 64, v29
	v_cmp_lt_i32_e64 s[16:17], v15, v16
	v_cndmask_b32_e64 v15, v15, v29, s[16:17]
	v_lshlrev_b32_e32 v15, 2, v15
	ds_bpermute_b32 v26, v15, v14
	v_cmp_eq_u32_e64 s[16:17], 0, v29
	s_and_saveexec_b64 s[26:27], vcc
	s_cbranch_execz .LBB345_267
; %bb.249:
	v_mov_b32_e32 v21, 0
	ds_read_b32 v14, v21 offset:12
	s_and_saveexec_b64 s[34:35], s[16:17]
	s_cbranch_execz .LBB345_251
; %bb.250:
	s_add_i32 s36, s33, 64
	s_mov_b32 s37, 0
	s_lshl_b64 s[36:37], s[36:37], 3
	s_add_u32 s36, s18, s36
	v_mov_b32_e32 v15, 1
	s_addc_u32 s37, s19, s37
	s_waitcnt lgkmcnt(0)
	global_store_dwordx2 v21, v[14:15], s[36:37]
.LBB345_251:
	s_or_b64 exec, exec, s[34:35]
	v_xad_u32 v16, v29, -1, s33
	v_add_u32_e32 v20, 64, v16
	v_lshlrev_b64 v[18:19], 3, v[20:21]
	v_mov_b32_e32 v15, s19
	v_add_co_u32_e32 v22, vcc, s18, v18
	v_addc_co_u32_e32 v23, vcc, v15, v19, vcc
	global_load_dwordx2 v[18:19], v[22:23], off glc
	s_waitcnt vmcnt(0)
	v_cmp_eq_u16_sdwa s[36:37], v19, v21 src0_sel:BYTE_0 src1_sel:DWORD
	s_and_saveexec_b64 s[34:35], s[36:37]
	s_cbranch_execz .LBB345_255
; %bb.252:
	s_mov_b64 s[36:37], 0
	v_mov_b32_e32 v15, 0
.LBB345_253:                            ; =>This Inner Loop Header: Depth=1
	global_load_dwordx2 v[18:19], v[22:23], off glc
	s_waitcnt vmcnt(0)
	v_cmp_ne_u16_sdwa s[38:39], v19, v15 src0_sel:BYTE_0 src1_sel:DWORD
	s_or_b64 s[36:37], s[38:39], s[36:37]
	s_andn2_b64 exec, exec, s[36:37]
	s_cbranch_execnz .LBB345_253
; %bb.254:
	s_or_b64 exec, exec, s[36:37]
.LBB345_255:
	s_or_b64 exec, exec, s[34:35]
	v_and_b32_e32 v32, 63, v29
	v_mov_b32_e32 v15, 2
	v_cmp_ne_u32_e32 vcc, 63, v32
	v_cmp_eq_u16_sdwa s[34:35], v19, v15 src0_sel:BYTE_0 src1_sel:DWORD
	v_lshlrev_b64 v[20:21], v29, -1
	v_addc_co_u32_e32 v23, vcc, 0, v29, vcc
	v_and_b32_e32 v17, s35, v21
	v_lshlrev_b32_e32 v33, 2, v23
	v_or_b32_e32 v17, 0x80000000, v17
	ds_bpermute_b32 v23, v33, v18
	v_and_b32_e32 v22, s34, v20
	v_ffbl_b32_e32 v17, v17
	v_add_u32_e32 v17, 32, v17
	v_ffbl_b32_e32 v22, v22
	v_min_u32_e32 v17, v22, v17
	v_cmp_lt_u32_e32 vcc, v32, v17
	s_waitcnt lgkmcnt(0)
	v_cndmask_b32_e32 v22, 0, v23, vcc
	v_cmp_gt_u32_e32 vcc, 62, v32
	v_add_u32_e32 v18, v22, v18
	v_cndmask_b32_e64 v22, 0, 1, vcc
	v_lshlrev_b32_e32 v22, 1, v22
	v_add_lshl_u32 v34, v22, v29, 2
	ds_bpermute_b32 v22, v34, v18
	v_add_u32_e32 v35, 2, v32
	v_cmp_le_u32_e32 vcc, v35, v17
	v_add_u32_e32 v37, 4, v32
	v_add_u32_e32 v39, 8, v32
	s_waitcnt lgkmcnt(0)
	v_cndmask_b32_e32 v22, 0, v22, vcc
	v_cmp_gt_u32_e32 vcc, 60, v32
	v_add_u32_e32 v18, v18, v22
	v_cndmask_b32_e64 v22, 0, 1, vcc
	v_lshlrev_b32_e32 v22, 2, v22
	v_add_lshl_u32 v36, v22, v29, 2
	ds_bpermute_b32 v22, v36, v18
	v_cmp_le_u32_e32 vcc, v37, v17
	v_add_u32_e32 v42, 16, v32
	v_add_u32_e32 v44, 32, v32
	s_waitcnt lgkmcnt(0)
	v_cndmask_b32_e32 v22, 0, v22, vcc
	v_cmp_gt_u32_e32 vcc, 56, v32
	v_add_u32_e32 v18, v18, v22
	v_cndmask_b32_e64 v22, 0, 1, vcc
	v_lshlrev_b32_e32 v22, 3, v22
	v_add_lshl_u32 v38, v22, v29, 2
	ds_bpermute_b32 v22, v38, v18
	v_cmp_le_u32_e32 vcc, v39, v17
	s_waitcnt lgkmcnt(0)
	v_cndmask_b32_e32 v22, 0, v22, vcc
	v_cmp_gt_u32_e32 vcc, 48, v32
	v_add_u32_e32 v18, v18, v22
	v_cndmask_b32_e64 v22, 0, 1, vcc
	v_lshlrev_b32_e32 v22, 4, v22
	v_add_lshl_u32 v41, v22, v29, 2
	ds_bpermute_b32 v22, v41, v18
	v_cmp_le_u32_e32 vcc, v42, v17
	;; [unrolled: 9-line block ×3, first 2 shown]
	s_waitcnt lgkmcnt(0)
	v_cndmask_b32_e32 v17, 0, v22, vcc
	v_add_u32_e32 v18, v18, v17
	v_mov_b32_e32 v17, 0
	s_branch .LBB345_257
.LBB345_256:                            ;   in Loop: Header=BB345_257 Depth=1
	s_or_b64 exec, exec, s[34:35]
	v_cmp_eq_u16_sdwa s[34:35], v19, v15 src0_sel:BYTE_0 src1_sel:DWORD
	v_and_b32_e32 v22, s35, v21
	v_or_b32_e32 v22, 0x80000000, v22
	ds_bpermute_b32 v45, v33, v18
	v_and_b32_e32 v23, s34, v20
	v_ffbl_b32_e32 v22, v22
	v_add_u32_e32 v22, 32, v22
	v_ffbl_b32_e32 v23, v23
	v_min_u32_e32 v22, v23, v22
	v_cmp_lt_u32_e32 vcc, v32, v22
	s_waitcnt lgkmcnt(0)
	v_cndmask_b32_e32 v23, 0, v45, vcc
	v_add_u32_e32 v18, v23, v18
	ds_bpermute_b32 v23, v34, v18
	v_cmp_le_u32_e32 vcc, v35, v22
	v_subrev_u32_e32 v16, 64, v16
	s_waitcnt lgkmcnt(0)
	v_cndmask_b32_e32 v23, 0, v23, vcc
	v_add_u32_e32 v18, v18, v23
	ds_bpermute_b32 v23, v36, v18
	v_cmp_le_u32_e32 vcc, v37, v22
	s_waitcnt lgkmcnt(0)
	v_cndmask_b32_e32 v23, 0, v23, vcc
	v_add_u32_e32 v18, v18, v23
	ds_bpermute_b32 v23, v38, v18
	v_cmp_le_u32_e32 vcc, v39, v22
	;; [unrolled: 5-line block ×4, first 2 shown]
	s_waitcnt lgkmcnt(0)
	v_cndmask_b32_e32 v22, 0, v23, vcc
	v_add3_u32 v18, v22, v40, v18
.LBB345_257:                            ; =>This Loop Header: Depth=1
                                        ;     Child Loop BB345_260 Depth 2
	v_cmp_ne_u16_sdwa s[34:35], v19, v15 src0_sel:BYTE_0 src1_sel:DWORD
	v_cndmask_b32_e64 v19, 0, 1, s[34:35]
	;;#ASMSTART
	;;#ASMEND
	v_cmp_ne_u32_e32 vcc, 0, v19
	s_cmp_lg_u64 vcc, exec
	v_mov_b32_e32 v40, v18
	s_cbranch_scc1 .LBB345_262
; %bb.258:                              ;   in Loop: Header=BB345_257 Depth=1
	v_lshlrev_b64 v[18:19], 3, v[16:17]
	v_mov_b32_e32 v23, s19
	v_add_co_u32_e32 v22, vcc, s18, v18
	v_addc_co_u32_e32 v23, vcc, v23, v19, vcc
	global_load_dwordx2 v[18:19], v[22:23], off glc
	s_waitcnt vmcnt(0)
	v_cmp_eq_u16_sdwa s[36:37], v19, v17 src0_sel:BYTE_0 src1_sel:DWORD
	s_and_saveexec_b64 s[34:35], s[36:37]
	s_cbranch_execz .LBB345_256
; %bb.259:                              ;   in Loop: Header=BB345_257 Depth=1
	s_mov_b64 s[36:37], 0
.LBB345_260:                            ;   Parent Loop BB345_257 Depth=1
                                        ; =>  This Inner Loop Header: Depth=2
	global_load_dwordx2 v[18:19], v[22:23], off glc
	s_waitcnt vmcnt(0)
	v_cmp_ne_u16_sdwa s[38:39], v19, v17 src0_sel:BYTE_0 src1_sel:DWORD
	s_or_b64 s[36:37], s[38:39], s[36:37]
	s_andn2_b64 exec, exec, s[36:37]
	s_cbranch_execnz .LBB345_260
; %bb.261:                              ;   in Loop: Header=BB345_257 Depth=1
	s_or_b64 exec, exec, s[36:37]
	s_branch .LBB345_256
.LBB345_262:                            ;   in Loop: Header=BB345_257 Depth=1
                                        ; implicit-def: $vgpr18
                                        ; implicit-def: $vgpr19
	s_cbranch_execz .LBB345_257
; %bb.263:
	s_and_saveexec_b64 s[34:35], s[16:17]
	s_cbranch_execz .LBB345_265
; %bb.264:
	s_add_i32 s36, s33, 64
	s_mov_b32 s37, 0
	s_lshl_b64 s[36:37], s[36:37], 3
	s_add_u32 s36, s18, s36
	v_add_u32_e32 v16, v40, v14
	v_mov_b32_e32 v17, 2
	s_addc_u32 s37, s19, s37
	v_mov_b32_e32 v15, 0
	s_movk_i32 s33, 0x2800
	global_store_dwordx2 v15, v[16:17], s[36:37]
	v_add_u32_e64 v15, s33, 0
	ds_write2_b32 v15, v14, v40 offset1:2
.LBB345_265:
	s_or_b64 exec, exec, s[34:35]
	s_and_b64 exec, exec, s[0:1]
	s_cbranch_execz .LBB345_267
; %bb.266:
	v_mov_b32_e32 v14, 0
	ds_write_b32 v14, v40 offset:12
.LBB345_267:
	s_or_b64 exec, exec, s[26:27]
	v_mov_b32_e32 v14, 0
	s_waitcnt lgkmcnt(0)
	s_barrier
	ds_read_b32 v14, v14 offset:12
	v_cndmask_b32_e64 v15, v26, v24, s[16:17]
	v_cndmask_b32_e64 v15, v15, 0, s[0:1]
	s_movk_i32 s16, 0x2800
	s_waitcnt lgkmcnt(0)
	v_add_u32_e32 v26, v14, v15
	v_add_u32_e64 v14, s16, 0
	s_barrier
	ds_read2_b32 v[14:15], v14 offset1:2
	v_add_u32_e32 v24, v26, v1
	v_add_u32_e32 v22, v24, v25
	;; [unrolled: 1-line block ×4, first 2 shown]
	v_lshrrev_b64 v[16:17], 24, v[12:13]
	s_branch .LBB345_278
.LBB345_268:
                                        ; implicit-def: $vgpr18
                                        ; implicit-def: $vgpr20
                                        ; implicit-def: $vgpr22
                                        ; implicit-def: $vgpr24
                                        ; implicit-def: $vgpr26
                                        ; implicit-def: $vgpr15
	v_lshrrev_b64 v[16:17], 24, v[12:13]
	s_cbranch_execz .LBB345_278
; %bb.269:
	s_waitcnt lgkmcnt(0)
	v_mov_b32_dpp v14, v31 row_shr:1 row_mask:0xf bank_mask:0xf
	v_cndmask_b32_e64 v14, v14, 0, s[14:15]
	v_add_u32_e32 v14, v14, v31
	s_nop 1
	v_mov_b32_dpp v15, v14 row_shr:2 row_mask:0xf bank_mask:0xf
	v_cndmask_b32_e64 v15, 0, v15, s[12:13]
	v_add_u32_e32 v14, v14, v15
	s_nop 1
	;; [unrolled: 4-line block ×4, first 2 shown]
	v_mov_b32_dpp v15, v14 row_bcast:15 row_mask:0xf bank_mask:0xf
	v_cndmask_b32_e64 v15, v15, 0, s[6:7]
	v_add_u32_e32 v14, v14, v15
	s_nop 1
	v_mov_b32_dpp v15, v14 row_bcast:31 row_mask:0xf bank_mask:0xf
	v_cndmask_b32_e64 v15, 0, v15, s[2:3]
	v_add_u32_e32 v14, v14, v15
	s_and_saveexec_b64 s[2:3], s[4:5]
	s_cbranch_execz .LBB345_271
; %bb.270:
	v_lshlrev_b32_e32 v15, 2, v30
	ds_write_b32 v15, v14
.LBB345_271:
	s_or_b64 exec, exec, s[2:3]
	v_cmp_gt_u32_e32 vcc, 4, v0
	s_waitcnt lgkmcnt(0)
	s_barrier
	s_and_saveexec_b64 s[2:3], vcc
	s_cbranch_execz .LBB345_273
; %bb.272:
	v_lshlrev_b32_e32 v15, 2, v0
	ds_read_b32 v17, v15
	v_and_b32_e32 v18, 3, v29
	v_cmp_ne_u32_e32 vcc, 0, v18
	s_waitcnt lgkmcnt(0)
	v_mov_b32_dpp v19, v17 row_shr:1 row_mask:0xf bank_mask:0xf
	v_cndmask_b32_e32 v19, 0, v19, vcc
	v_add_u32_e32 v17, v19, v17
	v_cmp_lt_u32_e32 vcc, 1, v18
	s_nop 0
	v_mov_b32_dpp v19, v17 row_shr:2 row_mask:0xf bank_mask:0xf
	v_cndmask_b32_e32 v18, 0, v19, vcc
	v_add_u32_e32 v17, v17, v18
	ds_write_b32 v15, v17
.LBB345_273:
	s_or_b64 exec, exec, s[2:3]
	v_cmp_lt_u32_e32 vcc, 63, v0
	v_mov_b32_e32 v15, 0
	v_mov_b32_e32 v17, 0
	s_waitcnt lgkmcnt(0)
	s_barrier
	s_and_saveexec_b64 s[2:3], vcc
	s_cbranch_execz .LBB345_275
; %bb.274:
	v_lshl_add_u32 v17, v30, 2, -4
	ds_read_b32 v17, v17
.LBB345_275:
	s_or_b64 exec, exec, s[2:3]
	v_add_u32_e32 v18, -1, v29
	v_and_b32_e32 v19, 64, v29
	v_cmp_lt_i32_e32 vcc, v18, v19
	v_cndmask_b32_e32 v18, v18, v29, vcc
	s_waitcnt lgkmcnt(0)
	v_add_u32_e32 v14, v17, v14
	v_lshlrev_b32_e32 v18, 2, v18
	ds_bpermute_b32 v18, v18, v14
	ds_read_b32 v14, v15 offset:12
	s_and_saveexec_b64 s[2:3], s[0:1]
	s_cbranch_execz .LBB345_277
; %bb.276:
	v_mov_b32_e32 v19, 0
	v_mov_b32_e32 v15, 2
	s_waitcnt lgkmcnt(0)
	global_store_dwordx2 v19, v[14:15], s[18:19] offset:512
.LBB345_277:
	s_or_b64 exec, exec, s[2:3]
	v_cmp_eq_u32_e32 vcc, 0, v29
	s_waitcnt lgkmcnt(1)
	v_cndmask_b32_e32 v17, v18, v17, vcc
	v_cndmask_b32_e64 v26, v17, 0, s[0:1]
	v_add_u32_e32 v24, v26, v1
	v_add_u32_e32 v22, v24, v25
	;; [unrolled: 1-line block ×3, first 2 shown]
	v_mov_b32_e32 v15, 0
	v_add_u32_e32 v18, v20, v28
	s_waitcnt lgkmcnt(0)
	s_barrier
.LBB345_278:
	s_movk_i32 s2, 0x101
	s_waitcnt lgkmcnt(0)
	v_cmp_gt_u32_e32 vcc, s2, v14
	v_lshrrev_b32_e32 v1, 8, v12
	s_mov_b64 s[2:3], -1
	s_cbranch_vccnz .LBB345_282
; %bb.279:
	s_and_b64 vcc, exec, s[2:3]
	s_cbranch_vccnz .LBB345_298
.LBB345_280:
	s_and_b64 s[0:1], s[0:1], s[24:25]
	s_and_saveexec_b64 s[2:3], s[0:1]
	s_cbranch_execnz .LBB345_312
.LBB345_281:
	s_endpgm
.LBB345_282:
	v_add_u32_e32 v17, v15, v14
	v_cmp_lt_u32_e32 vcc, v26, v17
	s_or_b64 s[4:5], s[30:31], vcc
	s_and_saveexec_b64 s[2:3], s[4:5]
	s_cbranch_execz .LBB345_285
; %bb.283:
	v_and_b32_e32 v19, 1, v12
	v_cmp_eq_u32_e32 vcc, 1, v19
	s_and_b64 exec, exec, vcc
	s_cbranch_execz .LBB345_285
; %bb.284:
	s_lshl_b64 s[4:5], s[22:23], 3
	s_add_u32 s4, s28, s4
	v_mov_b32_e32 v27, 0
	s_addc_u32 s5, s29, s5
	v_lshlrev_b64 v[28:29], 3, v[26:27]
	v_mov_b32_e32 v19, s5
	v_add_co_u32_e32 v28, vcc, s4, v28
	v_addc_co_u32_e32 v29, vcc, v19, v29, vcc
	global_store_dwordx2 v[28:29], v[6:7], off
.LBB345_285:
	s_or_b64 exec, exec, s[2:3]
	v_cmp_lt_u32_e32 vcc, v24, v17
	s_or_b64 s[4:5], s[30:31], vcc
	s_and_saveexec_b64 s[2:3], s[4:5]
	s_cbranch_execz .LBB345_288
; %bb.286:
	v_and_b32_e32 v19, 1, v1
	v_cmp_eq_u32_e32 vcc, 1, v19
	s_and_b64 exec, exec, vcc
	s_cbranch_execz .LBB345_288
; %bb.287:
	s_lshl_b64 s[4:5], s[22:23], 3
	s_add_u32 s4, s28, s4
	v_mov_b32_e32 v25, 0
	s_addc_u32 s5, s29, s5
	v_lshlrev_b64 v[28:29], 3, v[24:25]
	v_mov_b32_e32 v19, s5
	v_add_co_u32_e32 v28, vcc, s4, v28
	v_addc_co_u32_e32 v29, vcc, v19, v29, vcc
	global_store_dwordx2 v[28:29], v[8:9], off
.LBB345_288:
	s_or_b64 exec, exec, s[2:3]
	v_cmp_lt_u32_e32 vcc, v22, v17
	s_or_b64 s[4:5], s[30:31], vcc
	s_and_saveexec_b64 s[2:3], s[4:5]
	s_cbranch_execz .LBB345_291
; %bb.289:
	v_mov_b32_e32 v19, 1
	v_and_b32_sdwa v19, v19, v12 dst_sel:DWORD dst_unused:UNUSED_PAD src0_sel:DWORD src1_sel:WORD_1
	v_cmp_eq_u32_e32 vcc, 1, v19
	s_and_b64 exec, exec, vcc
	s_cbranch_execz .LBB345_291
; %bb.290:
	s_lshl_b64 s[4:5], s[22:23], 3
	s_add_u32 s4, s28, s4
	v_mov_b32_e32 v23, 0
	s_addc_u32 s5, s29, s5
	v_lshlrev_b64 v[28:29], 3, v[22:23]
	v_mov_b32_e32 v19, s5
	v_add_co_u32_e32 v28, vcc, s4, v28
	v_addc_co_u32_e32 v29, vcc, v19, v29, vcc
	global_store_dwordx2 v[28:29], v[2:3], off
.LBB345_291:
	s_or_b64 exec, exec, s[2:3]
	v_cmp_lt_u32_e32 vcc, v20, v17
	s_or_b64 s[4:5], s[30:31], vcc
	s_and_saveexec_b64 s[2:3], s[4:5]
	s_cbranch_execz .LBB345_294
; %bb.292:
	v_and_b32_e32 v19, 1, v16
	v_cmp_eq_u32_e32 vcc, 1, v19
	s_and_b64 exec, exec, vcc
	s_cbranch_execz .LBB345_294
; %bb.293:
	s_lshl_b64 s[4:5], s[22:23], 3
	s_add_u32 s4, s28, s4
	v_mov_b32_e32 v21, 0
	s_addc_u32 s5, s29, s5
	v_lshlrev_b64 v[28:29], 3, v[20:21]
	v_mov_b32_e32 v19, s5
	v_add_co_u32_e32 v28, vcc, s4, v28
	v_addc_co_u32_e32 v29, vcc, v19, v29, vcc
	global_store_dwordx2 v[28:29], v[4:5], off
.LBB345_294:
	s_or_b64 exec, exec, s[2:3]
	v_cmp_lt_u32_e32 vcc, v18, v17
	s_or_b64 s[4:5], s[30:31], vcc
	s_and_saveexec_b64 s[2:3], s[4:5]
	s_cbranch_execz .LBB345_297
; %bb.295:
	v_and_b32_e32 v17, 1, v13
	v_cmp_eq_u32_e32 vcc, 1, v17
	s_and_b64 exec, exec, vcc
	s_cbranch_execz .LBB345_297
; %bb.296:
	s_lshl_b64 s[4:5], s[22:23], 3
	s_add_u32 s4, s28, s4
	v_mov_b32_e32 v19, 0
	s_addc_u32 s5, s29, s5
	v_lshlrev_b64 v[28:29], 3, v[18:19]
	v_mov_b32_e32 v17, s5
	v_add_co_u32_e32 v28, vcc, s4, v28
	v_addc_co_u32_e32 v29, vcc, v17, v29, vcc
	global_store_dwordx2 v[28:29], v[10:11], off
.LBB345_297:
	s_or_b64 exec, exec, s[2:3]
	s_branch .LBB345_280
.LBB345_298:
	v_and_b32_e32 v17, 1, v12
	v_cmp_eq_u32_e32 vcc, 1, v17
	s_and_saveexec_b64 s[2:3], vcc
	s_cbranch_execz .LBB345_300
; %bb.299:
	v_sub_u32_e32 v17, v26, v15
	v_lshlrev_b32_e32 v17, 3, v17
	ds_write_b64 v17, v[6:7]
.LBB345_300:
	s_or_b64 exec, exec, s[2:3]
	v_and_b32_e32 v1, 1, v1
	v_cmp_eq_u32_e32 vcc, 1, v1
	s_and_saveexec_b64 s[2:3], vcc
	s_cbranch_execz .LBB345_302
; %bb.301:
	v_sub_u32_e32 v1, v24, v15
	v_lshlrev_b32_e32 v1, 3, v1
	ds_write_b64 v1, v[8:9]
.LBB345_302:
	s_or_b64 exec, exec, s[2:3]
	v_mov_b32_e32 v1, 1
	v_and_b32_sdwa v1, v1, v12 dst_sel:DWORD dst_unused:UNUSED_PAD src0_sel:DWORD src1_sel:WORD_1
	v_cmp_eq_u32_e32 vcc, 1, v1
	s_and_saveexec_b64 s[2:3], vcc
	s_cbranch_execz .LBB345_304
; %bb.303:
	v_sub_u32_e32 v1, v22, v15
	v_lshlrev_b32_e32 v1, 3, v1
	ds_write_b64 v1, v[2:3]
.LBB345_304:
	s_or_b64 exec, exec, s[2:3]
	v_and_b32_e32 v1, 1, v16
	v_cmp_eq_u32_e32 vcc, 1, v1
	s_and_saveexec_b64 s[2:3], vcc
	s_cbranch_execz .LBB345_306
; %bb.305:
	v_sub_u32_e32 v1, v20, v15
	v_lshlrev_b32_e32 v1, 3, v1
	ds_write_b64 v1, v[4:5]
.LBB345_306:
	s_or_b64 exec, exec, s[2:3]
	v_and_b32_e32 v1, 1, v13
	v_cmp_eq_u32_e32 vcc, 1, v1
	s_and_saveexec_b64 s[2:3], vcc
	s_cbranch_execz .LBB345_308
; %bb.307:
	v_sub_u32_e32 v1, v18, v15
	v_lshlrev_b32_e32 v1, 3, v1
	ds_write_b64 v1, v[10:11]
.LBB345_308:
	s_or_b64 exec, exec, s[2:3]
	v_cmp_lt_u32_e32 vcc, v0, v14
	s_waitcnt lgkmcnt(0)
	s_barrier
	s_and_saveexec_b64 s[2:3], vcc
	s_cbranch_execz .LBB345_311
; %bb.309:
	v_mov_b32_e32 v1, 0
	v_mov_b32_e32 v2, v15
	;; [unrolled: 1-line block ×3, first 2 shown]
	v_lshlrev_b64 v[2:3], 3, v[2:3]
	v_mov_b32_e32 v4, s29
	v_add_co_u32_e32 v2, vcc, s28, v2
	v_addc_co_u32_e32 v3, vcc, v4, v3, vcc
	s_lshl_b64 s[4:5], s[22:23], 3
	v_mov_b32_e32 v4, s5
	v_add_co_u32_e32 v2, vcc, s4, v2
	v_addc_co_u32_e32 v3, vcc, v3, v4, vcc
	v_lshlrev_b32_e32 v4, 3, v0
	s_mov_b64 s[4:5], 0
.LBB345_310:                            ; =>This Inner Loop Header: Depth=1
	ds_read_b64 v[6:7], v4
	v_lshlrev_b64 v[8:9], 3, v[0:1]
	v_add_co_u32_e32 v8, vcc, v2, v8
	v_add_u32_e32 v0, 0x100, v0
	v_addc_co_u32_e32 v9, vcc, v3, v9, vcc
	v_cmp_ge_u32_e32 vcc, v0, v14
	v_add_u32_e32 v4, 0x800, v4
	s_or_b64 s[4:5], vcc, s[4:5]
	s_waitcnt lgkmcnt(0)
	global_store_dwordx2 v[8:9], v[6:7], off
	s_andn2_b64 exec, exec, s[4:5]
	s_cbranch_execnz .LBB345_310
.LBB345_311:
	s_or_b64 exec, exec, s[2:3]
	s_and_b64 s[0:1], s[0:1], s[24:25]
	s_and_saveexec_b64 s[2:3], s[0:1]
	s_cbranch_execz .LBB345_281
.LBB345_312:
	v_mov_b32_e32 v0, s23
	v_add_co_u32_e32 v1, vcc, s22, v14
	v_addc_co_u32_e32 v3, vcc, 0, v0, vcc
	v_add_co_u32_e32 v0, vcc, v1, v15
	v_mov_b32_e32 v2, 0
	v_addc_co_u32_e32 v1, vcc, 0, v3, vcc
	global_store_dwordx2 v2, v[0:1], s[20:21]
	s_endpgm
	.section	.rodata,"a",@progbits
	.p2align	6, 0x0
	.amdhsa_kernel _ZN7rocprim17ROCPRIM_400000_NS6detail17trampoline_kernelINS0_14default_configENS1_25partition_config_selectorILNS1_17partition_subalgoE8ElNS0_10empty_typeEbEEZZNS1_14partition_implILS5_8ELb0ES3_jPlPS6_PKS6_NS0_5tupleIJS9_S6_EEENSD_IJSA_SA_EEENS0_18inequality_wrapperIZN2at6native12_GLOBAL__N_124unique_dim_cuda_templateIaEESt5tupleIJNSH_6TensorESM_SM_EERKSM_lbbbEUlllE0_EEPmJS6_EEE10hipError_tPvRmT3_T4_T5_T6_T7_T9_mT8_P12ihipStream_tbDpT10_ENKUlT_T0_E_clISt17integral_constantIbLb0EES1B_IbLb1EEEEDaS17_S18_EUlS17_E_NS1_11comp_targetILNS1_3genE4ELNS1_11target_archE910ELNS1_3gpuE8ELNS1_3repE0EEENS1_30default_config_static_selectorELNS0_4arch9wavefront6targetE1EEEvT1_
		.amdhsa_group_segment_fixed_size 10252
		.amdhsa_private_segment_fixed_size 0
		.amdhsa_kernarg_size 136
		.amdhsa_user_sgpr_count 6
		.amdhsa_user_sgpr_private_segment_buffer 1
		.amdhsa_user_sgpr_dispatch_ptr 0
		.amdhsa_user_sgpr_queue_ptr 0
		.amdhsa_user_sgpr_kernarg_segment_ptr 1
		.amdhsa_user_sgpr_dispatch_id 0
		.amdhsa_user_sgpr_flat_scratch_init 0
		.amdhsa_user_sgpr_kernarg_preload_length 0
		.amdhsa_user_sgpr_kernarg_preload_offset 0
		.amdhsa_user_sgpr_private_segment_size 0
		.amdhsa_uses_dynamic_stack 0
		.amdhsa_system_sgpr_private_segment_wavefront_offset 0
		.amdhsa_system_sgpr_workgroup_id_x 1
		.amdhsa_system_sgpr_workgroup_id_y 0
		.amdhsa_system_sgpr_workgroup_id_z 0
		.amdhsa_system_sgpr_workgroup_info 0
		.amdhsa_system_vgpr_workitem_id 0
		.amdhsa_next_free_vgpr 46
		.amdhsa_next_free_sgpr 52
		.amdhsa_accum_offset 48
		.amdhsa_reserve_vcc 1
		.amdhsa_reserve_flat_scratch 0
		.amdhsa_float_round_mode_32 0
		.amdhsa_float_round_mode_16_64 0
		.amdhsa_float_denorm_mode_32 3
		.amdhsa_float_denorm_mode_16_64 3
		.amdhsa_dx10_clamp 1
		.amdhsa_ieee_mode 1
		.amdhsa_fp16_overflow 0
		.amdhsa_tg_split 0
		.amdhsa_exception_fp_ieee_invalid_op 0
		.amdhsa_exception_fp_denorm_src 0
		.amdhsa_exception_fp_ieee_div_zero 0
		.amdhsa_exception_fp_ieee_overflow 0
		.amdhsa_exception_fp_ieee_underflow 0
		.amdhsa_exception_fp_ieee_inexact 0
		.amdhsa_exception_int_div_zero 0
	.end_amdhsa_kernel
	.section	.text._ZN7rocprim17ROCPRIM_400000_NS6detail17trampoline_kernelINS0_14default_configENS1_25partition_config_selectorILNS1_17partition_subalgoE8ElNS0_10empty_typeEbEEZZNS1_14partition_implILS5_8ELb0ES3_jPlPS6_PKS6_NS0_5tupleIJS9_S6_EEENSD_IJSA_SA_EEENS0_18inequality_wrapperIZN2at6native12_GLOBAL__N_124unique_dim_cuda_templateIaEESt5tupleIJNSH_6TensorESM_SM_EERKSM_lbbbEUlllE0_EEPmJS6_EEE10hipError_tPvRmT3_T4_T5_T6_T7_T9_mT8_P12ihipStream_tbDpT10_ENKUlT_T0_E_clISt17integral_constantIbLb0EES1B_IbLb1EEEEDaS17_S18_EUlS17_E_NS1_11comp_targetILNS1_3genE4ELNS1_11target_archE910ELNS1_3gpuE8ELNS1_3repE0EEENS1_30default_config_static_selectorELNS0_4arch9wavefront6targetE1EEEvT1_,"axG",@progbits,_ZN7rocprim17ROCPRIM_400000_NS6detail17trampoline_kernelINS0_14default_configENS1_25partition_config_selectorILNS1_17partition_subalgoE8ElNS0_10empty_typeEbEEZZNS1_14partition_implILS5_8ELb0ES3_jPlPS6_PKS6_NS0_5tupleIJS9_S6_EEENSD_IJSA_SA_EEENS0_18inequality_wrapperIZN2at6native12_GLOBAL__N_124unique_dim_cuda_templateIaEESt5tupleIJNSH_6TensorESM_SM_EERKSM_lbbbEUlllE0_EEPmJS6_EEE10hipError_tPvRmT3_T4_T5_T6_T7_T9_mT8_P12ihipStream_tbDpT10_ENKUlT_T0_E_clISt17integral_constantIbLb0EES1B_IbLb1EEEEDaS17_S18_EUlS17_E_NS1_11comp_targetILNS1_3genE4ELNS1_11target_archE910ELNS1_3gpuE8ELNS1_3repE0EEENS1_30default_config_static_selectorELNS0_4arch9wavefront6targetE1EEEvT1_,comdat
.Lfunc_end345:
	.size	_ZN7rocprim17ROCPRIM_400000_NS6detail17trampoline_kernelINS0_14default_configENS1_25partition_config_selectorILNS1_17partition_subalgoE8ElNS0_10empty_typeEbEEZZNS1_14partition_implILS5_8ELb0ES3_jPlPS6_PKS6_NS0_5tupleIJS9_S6_EEENSD_IJSA_SA_EEENS0_18inequality_wrapperIZN2at6native12_GLOBAL__N_124unique_dim_cuda_templateIaEESt5tupleIJNSH_6TensorESM_SM_EERKSM_lbbbEUlllE0_EEPmJS6_EEE10hipError_tPvRmT3_T4_T5_T6_T7_T9_mT8_P12ihipStream_tbDpT10_ENKUlT_T0_E_clISt17integral_constantIbLb0EES1B_IbLb1EEEEDaS17_S18_EUlS17_E_NS1_11comp_targetILNS1_3genE4ELNS1_11target_archE910ELNS1_3gpuE8ELNS1_3repE0EEENS1_30default_config_static_selectorELNS0_4arch9wavefront6targetE1EEEvT1_, .Lfunc_end345-_ZN7rocprim17ROCPRIM_400000_NS6detail17trampoline_kernelINS0_14default_configENS1_25partition_config_selectorILNS1_17partition_subalgoE8ElNS0_10empty_typeEbEEZZNS1_14partition_implILS5_8ELb0ES3_jPlPS6_PKS6_NS0_5tupleIJS9_S6_EEENSD_IJSA_SA_EEENS0_18inequality_wrapperIZN2at6native12_GLOBAL__N_124unique_dim_cuda_templateIaEESt5tupleIJNSH_6TensorESM_SM_EERKSM_lbbbEUlllE0_EEPmJS6_EEE10hipError_tPvRmT3_T4_T5_T6_T7_T9_mT8_P12ihipStream_tbDpT10_ENKUlT_T0_E_clISt17integral_constantIbLb0EES1B_IbLb1EEEEDaS17_S18_EUlS17_E_NS1_11comp_targetILNS1_3genE4ELNS1_11target_archE910ELNS1_3gpuE8ELNS1_3repE0EEENS1_30default_config_static_selectorELNS0_4arch9wavefront6targetE1EEEvT1_
                                        ; -- End function
	.section	.AMDGPU.csdata,"",@progbits
; Kernel info:
; codeLenInByte = 9936
; NumSgprs: 56
; NumVgprs: 46
; NumAgprs: 0
; TotalNumVgprs: 46
; ScratchSize: 0
; MemoryBound: 0
; FloatMode: 240
; IeeeMode: 1
; LDSByteSize: 10252 bytes/workgroup (compile time only)
; SGPRBlocks: 6
; VGPRBlocks: 5
; NumSGPRsForWavesPerEU: 56
; NumVGPRsForWavesPerEU: 46
; AccumOffset: 48
; Occupancy: 6
; WaveLimiterHint : 1
; COMPUTE_PGM_RSRC2:SCRATCH_EN: 0
; COMPUTE_PGM_RSRC2:USER_SGPR: 6
; COMPUTE_PGM_RSRC2:TRAP_HANDLER: 0
; COMPUTE_PGM_RSRC2:TGID_X_EN: 1
; COMPUTE_PGM_RSRC2:TGID_Y_EN: 0
; COMPUTE_PGM_RSRC2:TGID_Z_EN: 0
; COMPUTE_PGM_RSRC2:TIDIG_COMP_CNT: 0
; COMPUTE_PGM_RSRC3_GFX90A:ACCUM_OFFSET: 11
; COMPUTE_PGM_RSRC3_GFX90A:TG_SPLIT: 0
	.section	.text._ZN7rocprim17ROCPRIM_400000_NS6detail17trampoline_kernelINS0_14default_configENS1_25partition_config_selectorILNS1_17partition_subalgoE8ElNS0_10empty_typeEbEEZZNS1_14partition_implILS5_8ELb0ES3_jPlPS6_PKS6_NS0_5tupleIJS9_S6_EEENSD_IJSA_SA_EEENS0_18inequality_wrapperIZN2at6native12_GLOBAL__N_124unique_dim_cuda_templateIaEESt5tupleIJNSH_6TensorESM_SM_EERKSM_lbbbEUlllE0_EEPmJS6_EEE10hipError_tPvRmT3_T4_T5_T6_T7_T9_mT8_P12ihipStream_tbDpT10_ENKUlT_T0_E_clISt17integral_constantIbLb0EES1B_IbLb1EEEEDaS17_S18_EUlS17_E_NS1_11comp_targetILNS1_3genE3ELNS1_11target_archE908ELNS1_3gpuE7ELNS1_3repE0EEENS1_30default_config_static_selectorELNS0_4arch9wavefront6targetE1EEEvT1_,"axG",@progbits,_ZN7rocprim17ROCPRIM_400000_NS6detail17trampoline_kernelINS0_14default_configENS1_25partition_config_selectorILNS1_17partition_subalgoE8ElNS0_10empty_typeEbEEZZNS1_14partition_implILS5_8ELb0ES3_jPlPS6_PKS6_NS0_5tupleIJS9_S6_EEENSD_IJSA_SA_EEENS0_18inequality_wrapperIZN2at6native12_GLOBAL__N_124unique_dim_cuda_templateIaEESt5tupleIJNSH_6TensorESM_SM_EERKSM_lbbbEUlllE0_EEPmJS6_EEE10hipError_tPvRmT3_T4_T5_T6_T7_T9_mT8_P12ihipStream_tbDpT10_ENKUlT_T0_E_clISt17integral_constantIbLb0EES1B_IbLb1EEEEDaS17_S18_EUlS17_E_NS1_11comp_targetILNS1_3genE3ELNS1_11target_archE908ELNS1_3gpuE7ELNS1_3repE0EEENS1_30default_config_static_selectorELNS0_4arch9wavefront6targetE1EEEvT1_,comdat
	.globl	_ZN7rocprim17ROCPRIM_400000_NS6detail17trampoline_kernelINS0_14default_configENS1_25partition_config_selectorILNS1_17partition_subalgoE8ElNS0_10empty_typeEbEEZZNS1_14partition_implILS5_8ELb0ES3_jPlPS6_PKS6_NS0_5tupleIJS9_S6_EEENSD_IJSA_SA_EEENS0_18inequality_wrapperIZN2at6native12_GLOBAL__N_124unique_dim_cuda_templateIaEESt5tupleIJNSH_6TensorESM_SM_EERKSM_lbbbEUlllE0_EEPmJS6_EEE10hipError_tPvRmT3_T4_T5_T6_T7_T9_mT8_P12ihipStream_tbDpT10_ENKUlT_T0_E_clISt17integral_constantIbLb0EES1B_IbLb1EEEEDaS17_S18_EUlS17_E_NS1_11comp_targetILNS1_3genE3ELNS1_11target_archE908ELNS1_3gpuE7ELNS1_3repE0EEENS1_30default_config_static_selectorELNS0_4arch9wavefront6targetE1EEEvT1_ ; -- Begin function _ZN7rocprim17ROCPRIM_400000_NS6detail17trampoline_kernelINS0_14default_configENS1_25partition_config_selectorILNS1_17partition_subalgoE8ElNS0_10empty_typeEbEEZZNS1_14partition_implILS5_8ELb0ES3_jPlPS6_PKS6_NS0_5tupleIJS9_S6_EEENSD_IJSA_SA_EEENS0_18inequality_wrapperIZN2at6native12_GLOBAL__N_124unique_dim_cuda_templateIaEESt5tupleIJNSH_6TensorESM_SM_EERKSM_lbbbEUlllE0_EEPmJS6_EEE10hipError_tPvRmT3_T4_T5_T6_T7_T9_mT8_P12ihipStream_tbDpT10_ENKUlT_T0_E_clISt17integral_constantIbLb0EES1B_IbLb1EEEEDaS17_S18_EUlS17_E_NS1_11comp_targetILNS1_3genE3ELNS1_11target_archE908ELNS1_3gpuE7ELNS1_3repE0EEENS1_30default_config_static_selectorELNS0_4arch9wavefront6targetE1EEEvT1_
	.p2align	8
	.type	_ZN7rocprim17ROCPRIM_400000_NS6detail17trampoline_kernelINS0_14default_configENS1_25partition_config_selectorILNS1_17partition_subalgoE8ElNS0_10empty_typeEbEEZZNS1_14partition_implILS5_8ELb0ES3_jPlPS6_PKS6_NS0_5tupleIJS9_S6_EEENSD_IJSA_SA_EEENS0_18inequality_wrapperIZN2at6native12_GLOBAL__N_124unique_dim_cuda_templateIaEESt5tupleIJNSH_6TensorESM_SM_EERKSM_lbbbEUlllE0_EEPmJS6_EEE10hipError_tPvRmT3_T4_T5_T6_T7_T9_mT8_P12ihipStream_tbDpT10_ENKUlT_T0_E_clISt17integral_constantIbLb0EES1B_IbLb1EEEEDaS17_S18_EUlS17_E_NS1_11comp_targetILNS1_3genE3ELNS1_11target_archE908ELNS1_3gpuE7ELNS1_3repE0EEENS1_30default_config_static_selectorELNS0_4arch9wavefront6targetE1EEEvT1_,@function
_ZN7rocprim17ROCPRIM_400000_NS6detail17trampoline_kernelINS0_14default_configENS1_25partition_config_selectorILNS1_17partition_subalgoE8ElNS0_10empty_typeEbEEZZNS1_14partition_implILS5_8ELb0ES3_jPlPS6_PKS6_NS0_5tupleIJS9_S6_EEENSD_IJSA_SA_EEENS0_18inequality_wrapperIZN2at6native12_GLOBAL__N_124unique_dim_cuda_templateIaEESt5tupleIJNSH_6TensorESM_SM_EERKSM_lbbbEUlllE0_EEPmJS6_EEE10hipError_tPvRmT3_T4_T5_T6_T7_T9_mT8_P12ihipStream_tbDpT10_ENKUlT_T0_E_clISt17integral_constantIbLb0EES1B_IbLb1EEEEDaS17_S18_EUlS17_E_NS1_11comp_targetILNS1_3genE3ELNS1_11target_archE908ELNS1_3gpuE7ELNS1_3repE0EEENS1_30default_config_static_selectorELNS0_4arch9wavefront6targetE1EEEvT1_: ; @_ZN7rocprim17ROCPRIM_400000_NS6detail17trampoline_kernelINS0_14default_configENS1_25partition_config_selectorILNS1_17partition_subalgoE8ElNS0_10empty_typeEbEEZZNS1_14partition_implILS5_8ELb0ES3_jPlPS6_PKS6_NS0_5tupleIJS9_S6_EEENSD_IJSA_SA_EEENS0_18inequality_wrapperIZN2at6native12_GLOBAL__N_124unique_dim_cuda_templateIaEESt5tupleIJNSH_6TensorESM_SM_EERKSM_lbbbEUlllE0_EEPmJS6_EEE10hipError_tPvRmT3_T4_T5_T6_T7_T9_mT8_P12ihipStream_tbDpT10_ENKUlT_T0_E_clISt17integral_constantIbLb0EES1B_IbLb1EEEEDaS17_S18_EUlS17_E_NS1_11comp_targetILNS1_3genE3ELNS1_11target_archE908ELNS1_3gpuE7ELNS1_3repE0EEENS1_30default_config_static_selectorELNS0_4arch9wavefront6targetE1EEEvT1_
; %bb.0:
	.section	.rodata,"a",@progbits
	.p2align	6, 0x0
	.amdhsa_kernel _ZN7rocprim17ROCPRIM_400000_NS6detail17trampoline_kernelINS0_14default_configENS1_25partition_config_selectorILNS1_17partition_subalgoE8ElNS0_10empty_typeEbEEZZNS1_14partition_implILS5_8ELb0ES3_jPlPS6_PKS6_NS0_5tupleIJS9_S6_EEENSD_IJSA_SA_EEENS0_18inequality_wrapperIZN2at6native12_GLOBAL__N_124unique_dim_cuda_templateIaEESt5tupleIJNSH_6TensorESM_SM_EERKSM_lbbbEUlllE0_EEPmJS6_EEE10hipError_tPvRmT3_T4_T5_T6_T7_T9_mT8_P12ihipStream_tbDpT10_ENKUlT_T0_E_clISt17integral_constantIbLb0EES1B_IbLb1EEEEDaS17_S18_EUlS17_E_NS1_11comp_targetILNS1_3genE3ELNS1_11target_archE908ELNS1_3gpuE7ELNS1_3repE0EEENS1_30default_config_static_selectorELNS0_4arch9wavefront6targetE1EEEvT1_
		.amdhsa_group_segment_fixed_size 0
		.amdhsa_private_segment_fixed_size 0
		.amdhsa_kernarg_size 136
		.amdhsa_user_sgpr_count 6
		.amdhsa_user_sgpr_private_segment_buffer 1
		.amdhsa_user_sgpr_dispatch_ptr 0
		.amdhsa_user_sgpr_queue_ptr 0
		.amdhsa_user_sgpr_kernarg_segment_ptr 1
		.amdhsa_user_sgpr_dispatch_id 0
		.amdhsa_user_sgpr_flat_scratch_init 0
		.amdhsa_user_sgpr_kernarg_preload_length 0
		.amdhsa_user_sgpr_kernarg_preload_offset 0
		.amdhsa_user_sgpr_private_segment_size 0
		.amdhsa_uses_dynamic_stack 0
		.amdhsa_system_sgpr_private_segment_wavefront_offset 0
		.amdhsa_system_sgpr_workgroup_id_x 1
		.amdhsa_system_sgpr_workgroup_id_y 0
		.amdhsa_system_sgpr_workgroup_id_z 0
		.amdhsa_system_sgpr_workgroup_info 0
		.amdhsa_system_vgpr_workitem_id 0
		.amdhsa_next_free_vgpr 1
		.amdhsa_next_free_sgpr 0
		.amdhsa_accum_offset 4
		.amdhsa_reserve_vcc 0
		.amdhsa_reserve_flat_scratch 0
		.amdhsa_float_round_mode_32 0
		.amdhsa_float_round_mode_16_64 0
		.amdhsa_float_denorm_mode_32 3
		.amdhsa_float_denorm_mode_16_64 3
		.amdhsa_dx10_clamp 1
		.amdhsa_ieee_mode 1
		.amdhsa_fp16_overflow 0
		.amdhsa_tg_split 0
		.amdhsa_exception_fp_ieee_invalid_op 0
		.amdhsa_exception_fp_denorm_src 0
		.amdhsa_exception_fp_ieee_div_zero 0
		.amdhsa_exception_fp_ieee_overflow 0
		.amdhsa_exception_fp_ieee_underflow 0
		.amdhsa_exception_fp_ieee_inexact 0
		.amdhsa_exception_int_div_zero 0
	.end_amdhsa_kernel
	.section	.text._ZN7rocprim17ROCPRIM_400000_NS6detail17trampoline_kernelINS0_14default_configENS1_25partition_config_selectorILNS1_17partition_subalgoE8ElNS0_10empty_typeEbEEZZNS1_14partition_implILS5_8ELb0ES3_jPlPS6_PKS6_NS0_5tupleIJS9_S6_EEENSD_IJSA_SA_EEENS0_18inequality_wrapperIZN2at6native12_GLOBAL__N_124unique_dim_cuda_templateIaEESt5tupleIJNSH_6TensorESM_SM_EERKSM_lbbbEUlllE0_EEPmJS6_EEE10hipError_tPvRmT3_T4_T5_T6_T7_T9_mT8_P12ihipStream_tbDpT10_ENKUlT_T0_E_clISt17integral_constantIbLb0EES1B_IbLb1EEEEDaS17_S18_EUlS17_E_NS1_11comp_targetILNS1_3genE3ELNS1_11target_archE908ELNS1_3gpuE7ELNS1_3repE0EEENS1_30default_config_static_selectorELNS0_4arch9wavefront6targetE1EEEvT1_,"axG",@progbits,_ZN7rocprim17ROCPRIM_400000_NS6detail17trampoline_kernelINS0_14default_configENS1_25partition_config_selectorILNS1_17partition_subalgoE8ElNS0_10empty_typeEbEEZZNS1_14partition_implILS5_8ELb0ES3_jPlPS6_PKS6_NS0_5tupleIJS9_S6_EEENSD_IJSA_SA_EEENS0_18inequality_wrapperIZN2at6native12_GLOBAL__N_124unique_dim_cuda_templateIaEESt5tupleIJNSH_6TensorESM_SM_EERKSM_lbbbEUlllE0_EEPmJS6_EEE10hipError_tPvRmT3_T4_T5_T6_T7_T9_mT8_P12ihipStream_tbDpT10_ENKUlT_T0_E_clISt17integral_constantIbLb0EES1B_IbLb1EEEEDaS17_S18_EUlS17_E_NS1_11comp_targetILNS1_3genE3ELNS1_11target_archE908ELNS1_3gpuE7ELNS1_3repE0EEENS1_30default_config_static_selectorELNS0_4arch9wavefront6targetE1EEEvT1_,comdat
.Lfunc_end346:
	.size	_ZN7rocprim17ROCPRIM_400000_NS6detail17trampoline_kernelINS0_14default_configENS1_25partition_config_selectorILNS1_17partition_subalgoE8ElNS0_10empty_typeEbEEZZNS1_14partition_implILS5_8ELb0ES3_jPlPS6_PKS6_NS0_5tupleIJS9_S6_EEENSD_IJSA_SA_EEENS0_18inequality_wrapperIZN2at6native12_GLOBAL__N_124unique_dim_cuda_templateIaEESt5tupleIJNSH_6TensorESM_SM_EERKSM_lbbbEUlllE0_EEPmJS6_EEE10hipError_tPvRmT3_T4_T5_T6_T7_T9_mT8_P12ihipStream_tbDpT10_ENKUlT_T0_E_clISt17integral_constantIbLb0EES1B_IbLb1EEEEDaS17_S18_EUlS17_E_NS1_11comp_targetILNS1_3genE3ELNS1_11target_archE908ELNS1_3gpuE7ELNS1_3repE0EEENS1_30default_config_static_selectorELNS0_4arch9wavefront6targetE1EEEvT1_, .Lfunc_end346-_ZN7rocprim17ROCPRIM_400000_NS6detail17trampoline_kernelINS0_14default_configENS1_25partition_config_selectorILNS1_17partition_subalgoE8ElNS0_10empty_typeEbEEZZNS1_14partition_implILS5_8ELb0ES3_jPlPS6_PKS6_NS0_5tupleIJS9_S6_EEENSD_IJSA_SA_EEENS0_18inequality_wrapperIZN2at6native12_GLOBAL__N_124unique_dim_cuda_templateIaEESt5tupleIJNSH_6TensorESM_SM_EERKSM_lbbbEUlllE0_EEPmJS6_EEE10hipError_tPvRmT3_T4_T5_T6_T7_T9_mT8_P12ihipStream_tbDpT10_ENKUlT_T0_E_clISt17integral_constantIbLb0EES1B_IbLb1EEEEDaS17_S18_EUlS17_E_NS1_11comp_targetILNS1_3genE3ELNS1_11target_archE908ELNS1_3gpuE7ELNS1_3repE0EEENS1_30default_config_static_selectorELNS0_4arch9wavefront6targetE1EEEvT1_
                                        ; -- End function
	.section	.AMDGPU.csdata,"",@progbits
; Kernel info:
; codeLenInByte = 0
; NumSgprs: 4
; NumVgprs: 0
; NumAgprs: 0
; TotalNumVgprs: 0
; ScratchSize: 0
; MemoryBound: 0
; FloatMode: 240
; IeeeMode: 1
; LDSByteSize: 0 bytes/workgroup (compile time only)
; SGPRBlocks: 0
; VGPRBlocks: 0
; NumSGPRsForWavesPerEU: 4
; NumVGPRsForWavesPerEU: 1
; AccumOffset: 4
; Occupancy: 8
; WaveLimiterHint : 0
; COMPUTE_PGM_RSRC2:SCRATCH_EN: 0
; COMPUTE_PGM_RSRC2:USER_SGPR: 6
; COMPUTE_PGM_RSRC2:TRAP_HANDLER: 0
; COMPUTE_PGM_RSRC2:TGID_X_EN: 1
; COMPUTE_PGM_RSRC2:TGID_Y_EN: 0
; COMPUTE_PGM_RSRC2:TGID_Z_EN: 0
; COMPUTE_PGM_RSRC2:TIDIG_COMP_CNT: 0
; COMPUTE_PGM_RSRC3_GFX90A:ACCUM_OFFSET: 0
; COMPUTE_PGM_RSRC3_GFX90A:TG_SPLIT: 0
	.section	.text._ZN7rocprim17ROCPRIM_400000_NS6detail17trampoline_kernelINS0_14default_configENS1_25partition_config_selectorILNS1_17partition_subalgoE8ElNS0_10empty_typeEbEEZZNS1_14partition_implILS5_8ELb0ES3_jPlPS6_PKS6_NS0_5tupleIJS9_S6_EEENSD_IJSA_SA_EEENS0_18inequality_wrapperIZN2at6native12_GLOBAL__N_124unique_dim_cuda_templateIaEESt5tupleIJNSH_6TensorESM_SM_EERKSM_lbbbEUlllE0_EEPmJS6_EEE10hipError_tPvRmT3_T4_T5_T6_T7_T9_mT8_P12ihipStream_tbDpT10_ENKUlT_T0_E_clISt17integral_constantIbLb0EES1B_IbLb1EEEEDaS17_S18_EUlS17_E_NS1_11comp_targetILNS1_3genE2ELNS1_11target_archE906ELNS1_3gpuE6ELNS1_3repE0EEENS1_30default_config_static_selectorELNS0_4arch9wavefront6targetE1EEEvT1_,"axG",@progbits,_ZN7rocprim17ROCPRIM_400000_NS6detail17trampoline_kernelINS0_14default_configENS1_25partition_config_selectorILNS1_17partition_subalgoE8ElNS0_10empty_typeEbEEZZNS1_14partition_implILS5_8ELb0ES3_jPlPS6_PKS6_NS0_5tupleIJS9_S6_EEENSD_IJSA_SA_EEENS0_18inequality_wrapperIZN2at6native12_GLOBAL__N_124unique_dim_cuda_templateIaEESt5tupleIJNSH_6TensorESM_SM_EERKSM_lbbbEUlllE0_EEPmJS6_EEE10hipError_tPvRmT3_T4_T5_T6_T7_T9_mT8_P12ihipStream_tbDpT10_ENKUlT_T0_E_clISt17integral_constantIbLb0EES1B_IbLb1EEEEDaS17_S18_EUlS17_E_NS1_11comp_targetILNS1_3genE2ELNS1_11target_archE906ELNS1_3gpuE6ELNS1_3repE0EEENS1_30default_config_static_selectorELNS0_4arch9wavefront6targetE1EEEvT1_,comdat
	.globl	_ZN7rocprim17ROCPRIM_400000_NS6detail17trampoline_kernelINS0_14default_configENS1_25partition_config_selectorILNS1_17partition_subalgoE8ElNS0_10empty_typeEbEEZZNS1_14partition_implILS5_8ELb0ES3_jPlPS6_PKS6_NS0_5tupleIJS9_S6_EEENSD_IJSA_SA_EEENS0_18inequality_wrapperIZN2at6native12_GLOBAL__N_124unique_dim_cuda_templateIaEESt5tupleIJNSH_6TensorESM_SM_EERKSM_lbbbEUlllE0_EEPmJS6_EEE10hipError_tPvRmT3_T4_T5_T6_T7_T9_mT8_P12ihipStream_tbDpT10_ENKUlT_T0_E_clISt17integral_constantIbLb0EES1B_IbLb1EEEEDaS17_S18_EUlS17_E_NS1_11comp_targetILNS1_3genE2ELNS1_11target_archE906ELNS1_3gpuE6ELNS1_3repE0EEENS1_30default_config_static_selectorELNS0_4arch9wavefront6targetE1EEEvT1_ ; -- Begin function _ZN7rocprim17ROCPRIM_400000_NS6detail17trampoline_kernelINS0_14default_configENS1_25partition_config_selectorILNS1_17partition_subalgoE8ElNS0_10empty_typeEbEEZZNS1_14partition_implILS5_8ELb0ES3_jPlPS6_PKS6_NS0_5tupleIJS9_S6_EEENSD_IJSA_SA_EEENS0_18inequality_wrapperIZN2at6native12_GLOBAL__N_124unique_dim_cuda_templateIaEESt5tupleIJNSH_6TensorESM_SM_EERKSM_lbbbEUlllE0_EEPmJS6_EEE10hipError_tPvRmT3_T4_T5_T6_T7_T9_mT8_P12ihipStream_tbDpT10_ENKUlT_T0_E_clISt17integral_constantIbLb0EES1B_IbLb1EEEEDaS17_S18_EUlS17_E_NS1_11comp_targetILNS1_3genE2ELNS1_11target_archE906ELNS1_3gpuE6ELNS1_3repE0EEENS1_30default_config_static_selectorELNS0_4arch9wavefront6targetE1EEEvT1_
	.p2align	8
	.type	_ZN7rocprim17ROCPRIM_400000_NS6detail17trampoline_kernelINS0_14default_configENS1_25partition_config_selectorILNS1_17partition_subalgoE8ElNS0_10empty_typeEbEEZZNS1_14partition_implILS5_8ELb0ES3_jPlPS6_PKS6_NS0_5tupleIJS9_S6_EEENSD_IJSA_SA_EEENS0_18inequality_wrapperIZN2at6native12_GLOBAL__N_124unique_dim_cuda_templateIaEESt5tupleIJNSH_6TensorESM_SM_EERKSM_lbbbEUlllE0_EEPmJS6_EEE10hipError_tPvRmT3_T4_T5_T6_T7_T9_mT8_P12ihipStream_tbDpT10_ENKUlT_T0_E_clISt17integral_constantIbLb0EES1B_IbLb1EEEEDaS17_S18_EUlS17_E_NS1_11comp_targetILNS1_3genE2ELNS1_11target_archE906ELNS1_3gpuE6ELNS1_3repE0EEENS1_30default_config_static_selectorELNS0_4arch9wavefront6targetE1EEEvT1_,@function
_ZN7rocprim17ROCPRIM_400000_NS6detail17trampoline_kernelINS0_14default_configENS1_25partition_config_selectorILNS1_17partition_subalgoE8ElNS0_10empty_typeEbEEZZNS1_14partition_implILS5_8ELb0ES3_jPlPS6_PKS6_NS0_5tupleIJS9_S6_EEENSD_IJSA_SA_EEENS0_18inequality_wrapperIZN2at6native12_GLOBAL__N_124unique_dim_cuda_templateIaEESt5tupleIJNSH_6TensorESM_SM_EERKSM_lbbbEUlllE0_EEPmJS6_EEE10hipError_tPvRmT3_T4_T5_T6_T7_T9_mT8_P12ihipStream_tbDpT10_ENKUlT_T0_E_clISt17integral_constantIbLb0EES1B_IbLb1EEEEDaS17_S18_EUlS17_E_NS1_11comp_targetILNS1_3genE2ELNS1_11target_archE906ELNS1_3gpuE6ELNS1_3repE0EEENS1_30default_config_static_selectorELNS0_4arch9wavefront6targetE1EEEvT1_: ; @_ZN7rocprim17ROCPRIM_400000_NS6detail17trampoline_kernelINS0_14default_configENS1_25partition_config_selectorILNS1_17partition_subalgoE8ElNS0_10empty_typeEbEEZZNS1_14partition_implILS5_8ELb0ES3_jPlPS6_PKS6_NS0_5tupleIJS9_S6_EEENSD_IJSA_SA_EEENS0_18inequality_wrapperIZN2at6native12_GLOBAL__N_124unique_dim_cuda_templateIaEESt5tupleIJNSH_6TensorESM_SM_EERKSM_lbbbEUlllE0_EEPmJS6_EEE10hipError_tPvRmT3_T4_T5_T6_T7_T9_mT8_P12ihipStream_tbDpT10_ENKUlT_T0_E_clISt17integral_constantIbLb0EES1B_IbLb1EEEEDaS17_S18_EUlS17_E_NS1_11comp_targetILNS1_3genE2ELNS1_11target_archE906ELNS1_3gpuE6ELNS1_3repE0EEENS1_30default_config_static_selectorELNS0_4arch9wavefront6targetE1EEEvT1_
; %bb.0:
	.section	.rodata,"a",@progbits
	.p2align	6, 0x0
	.amdhsa_kernel _ZN7rocprim17ROCPRIM_400000_NS6detail17trampoline_kernelINS0_14default_configENS1_25partition_config_selectorILNS1_17partition_subalgoE8ElNS0_10empty_typeEbEEZZNS1_14partition_implILS5_8ELb0ES3_jPlPS6_PKS6_NS0_5tupleIJS9_S6_EEENSD_IJSA_SA_EEENS0_18inequality_wrapperIZN2at6native12_GLOBAL__N_124unique_dim_cuda_templateIaEESt5tupleIJNSH_6TensorESM_SM_EERKSM_lbbbEUlllE0_EEPmJS6_EEE10hipError_tPvRmT3_T4_T5_T6_T7_T9_mT8_P12ihipStream_tbDpT10_ENKUlT_T0_E_clISt17integral_constantIbLb0EES1B_IbLb1EEEEDaS17_S18_EUlS17_E_NS1_11comp_targetILNS1_3genE2ELNS1_11target_archE906ELNS1_3gpuE6ELNS1_3repE0EEENS1_30default_config_static_selectorELNS0_4arch9wavefront6targetE1EEEvT1_
		.amdhsa_group_segment_fixed_size 0
		.amdhsa_private_segment_fixed_size 0
		.amdhsa_kernarg_size 136
		.amdhsa_user_sgpr_count 6
		.amdhsa_user_sgpr_private_segment_buffer 1
		.amdhsa_user_sgpr_dispatch_ptr 0
		.amdhsa_user_sgpr_queue_ptr 0
		.amdhsa_user_sgpr_kernarg_segment_ptr 1
		.amdhsa_user_sgpr_dispatch_id 0
		.amdhsa_user_sgpr_flat_scratch_init 0
		.amdhsa_user_sgpr_kernarg_preload_length 0
		.amdhsa_user_sgpr_kernarg_preload_offset 0
		.amdhsa_user_sgpr_private_segment_size 0
		.amdhsa_uses_dynamic_stack 0
		.amdhsa_system_sgpr_private_segment_wavefront_offset 0
		.amdhsa_system_sgpr_workgroup_id_x 1
		.amdhsa_system_sgpr_workgroup_id_y 0
		.amdhsa_system_sgpr_workgroup_id_z 0
		.amdhsa_system_sgpr_workgroup_info 0
		.amdhsa_system_vgpr_workitem_id 0
		.amdhsa_next_free_vgpr 1
		.amdhsa_next_free_sgpr 0
		.amdhsa_accum_offset 4
		.amdhsa_reserve_vcc 0
		.amdhsa_reserve_flat_scratch 0
		.amdhsa_float_round_mode_32 0
		.amdhsa_float_round_mode_16_64 0
		.amdhsa_float_denorm_mode_32 3
		.amdhsa_float_denorm_mode_16_64 3
		.amdhsa_dx10_clamp 1
		.amdhsa_ieee_mode 1
		.amdhsa_fp16_overflow 0
		.amdhsa_tg_split 0
		.amdhsa_exception_fp_ieee_invalid_op 0
		.amdhsa_exception_fp_denorm_src 0
		.amdhsa_exception_fp_ieee_div_zero 0
		.amdhsa_exception_fp_ieee_overflow 0
		.amdhsa_exception_fp_ieee_underflow 0
		.amdhsa_exception_fp_ieee_inexact 0
		.amdhsa_exception_int_div_zero 0
	.end_amdhsa_kernel
	.section	.text._ZN7rocprim17ROCPRIM_400000_NS6detail17trampoline_kernelINS0_14default_configENS1_25partition_config_selectorILNS1_17partition_subalgoE8ElNS0_10empty_typeEbEEZZNS1_14partition_implILS5_8ELb0ES3_jPlPS6_PKS6_NS0_5tupleIJS9_S6_EEENSD_IJSA_SA_EEENS0_18inequality_wrapperIZN2at6native12_GLOBAL__N_124unique_dim_cuda_templateIaEESt5tupleIJNSH_6TensorESM_SM_EERKSM_lbbbEUlllE0_EEPmJS6_EEE10hipError_tPvRmT3_T4_T5_T6_T7_T9_mT8_P12ihipStream_tbDpT10_ENKUlT_T0_E_clISt17integral_constantIbLb0EES1B_IbLb1EEEEDaS17_S18_EUlS17_E_NS1_11comp_targetILNS1_3genE2ELNS1_11target_archE906ELNS1_3gpuE6ELNS1_3repE0EEENS1_30default_config_static_selectorELNS0_4arch9wavefront6targetE1EEEvT1_,"axG",@progbits,_ZN7rocprim17ROCPRIM_400000_NS6detail17trampoline_kernelINS0_14default_configENS1_25partition_config_selectorILNS1_17partition_subalgoE8ElNS0_10empty_typeEbEEZZNS1_14partition_implILS5_8ELb0ES3_jPlPS6_PKS6_NS0_5tupleIJS9_S6_EEENSD_IJSA_SA_EEENS0_18inequality_wrapperIZN2at6native12_GLOBAL__N_124unique_dim_cuda_templateIaEESt5tupleIJNSH_6TensorESM_SM_EERKSM_lbbbEUlllE0_EEPmJS6_EEE10hipError_tPvRmT3_T4_T5_T6_T7_T9_mT8_P12ihipStream_tbDpT10_ENKUlT_T0_E_clISt17integral_constantIbLb0EES1B_IbLb1EEEEDaS17_S18_EUlS17_E_NS1_11comp_targetILNS1_3genE2ELNS1_11target_archE906ELNS1_3gpuE6ELNS1_3repE0EEENS1_30default_config_static_selectorELNS0_4arch9wavefront6targetE1EEEvT1_,comdat
.Lfunc_end347:
	.size	_ZN7rocprim17ROCPRIM_400000_NS6detail17trampoline_kernelINS0_14default_configENS1_25partition_config_selectorILNS1_17partition_subalgoE8ElNS0_10empty_typeEbEEZZNS1_14partition_implILS5_8ELb0ES3_jPlPS6_PKS6_NS0_5tupleIJS9_S6_EEENSD_IJSA_SA_EEENS0_18inequality_wrapperIZN2at6native12_GLOBAL__N_124unique_dim_cuda_templateIaEESt5tupleIJNSH_6TensorESM_SM_EERKSM_lbbbEUlllE0_EEPmJS6_EEE10hipError_tPvRmT3_T4_T5_T6_T7_T9_mT8_P12ihipStream_tbDpT10_ENKUlT_T0_E_clISt17integral_constantIbLb0EES1B_IbLb1EEEEDaS17_S18_EUlS17_E_NS1_11comp_targetILNS1_3genE2ELNS1_11target_archE906ELNS1_3gpuE6ELNS1_3repE0EEENS1_30default_config_static_selectorELNS0_4arch9wavefront6targetE1EEEvT1_, .Lfunc_end347-_ZN7rocprim17ROCPRIM_400000_NS6detail17trampoline_kernelINS0_14default_configENS1_25partition_config_selectorILNS1_17partition_subalgoE8ElNS0_10empty_typeEbEEZZNS1_14partition_implILS5_8ELb0ES3_jPlPS6_PKS6_NS0_5tupleIJS9_S6_EEENSD_IJSA_SA_EEENS0_18inequality_wrapperIZN2at6native12_GLOBAL__N_124unique_dim_cuda_templateIaEESt5tupleIJNSH_6TensorESM_SM_EERKSM_lbbbEUlllE0_EEPmJS6_EEE10hipError_tPvRmT3_T4_T5_T6_T7_T9_mT8_P12ihipStream_tbDpT10_ENKUlT_T0_E_clISt17integral_constantIbLb0EES1B_IbLb1EEEEDaS17_S18_EUlS17_E_NS1_11comp_targetILNS1_3genE2ELNS1_11target_archE906ELNS1_3gpuE6ELNS1_3repE0EEENS1_30default_config_static_selectorELNS0_4arch9wavefront6targetE1EEEvT1_
                                        ; -- End function
	.section	.AMDGPU.csdata,"",@progbits
; Kernel info:
; codeLenInByte = 0
; NumSgprs: 4
; NumVgprs: 0
; NumAgprs: 0
; TotalNumVgprs: 0
; ScratchSize: 0
; MemoryBound: 0
; FloatMode: 240
; IeeeMode: 1
; LDSByteSize: 0 bytes/workgroup (compile time only)
; SGPRBlocks: 0
; VGPRBlocks: 0
; NumSGPRsForWavesPerEU: 4
; NumVGPRsForWavesPerEU: 1
; AccumOffset: 4
; Occupancy: 8
; WaveLimiterHint : 0
; COMPUTE_PGM_RSRC2:SCRATCH_EN: 0
; COMPUTE_PGM_RSRC2:USER_SGPR: 6
; COMPUTE_PGM_RSRC2:TRAP_HANDLER: 0
; COMPUTE_PGM_RSRC2:TGID_X_EN: 1
; COMPUTE_PGM_RSRC2:TGID_Y_EN: 0
; COMPUTE_PGM_RSRC2:TGID_Z_EN: 0
; COMPUTE_PGM_RSRC2:TIDIG_COMP_CNT: 0
; COMPUTE_PGM_RSRC3_GFX90A:ACCUM_OFFSET: 0
; COMPUTE_PGM_RSRC3_GFX90A:TG_SPLIT: 0
	.section	.text._ZN7rocprim17ROCPRIM_400000_NS6detail17trampoline_kernelINS0_14default_configENS1_25partition_config_selectorILNS1_17partition_subalgoE8ElNS0_10empty_typeEbEEZZNS1_14partition_implILS5_8ELb0ES3_jPlPS6_PKS6_NS0_5tupleIJS9_S6_EEENSD_IJSA_SA_EEENS0_18inequality_wrapperIZN2at6native12_GLOBAL__N_124unique_dim_cuda_templateIaEESt5tupleIJNSH_6TensorESM_SM_EERKSM_lbbbEUlllE0_EEPmJS6_EEE10hipError_tPvRmT3_T4_T5_T6_T7_T9_mT8_P12ihipStream_tbDpT10_ENKUlT_T0_E_clISt17integral_constantIbLb0EES1B_IbLb1EEEEDaS17_S18_EUlS17_E_NS1_11comp_targetILNS1_3genE10ELNS1_11target_archE1200ELNS1_3gpuE4ELNS1_3repE0EEENS1_30default_config_static_selectorELNS0_4arch9wavefront6targetE1EEEvT1_,"axG",@progbits,_ZN7rocprim17ROCPRIM_400000_NS6detail17trampoline_kernelINS0_14default_configENS1_25partition_config_selectorILNS1_17partition_subalgoE8ElNS0_10empty_typeEbEEZZNS1_14partition_implILS5_8ELb0ES3_jPlPS6_PKS6_NS0_5tupleIJS9_S6_EEENSD_IJSA_SA_EEENS0_18inequality_wrapperIZN2at6native12_GLOBAL__N_124unique_dim_cuda_templateIaEESt5tupleIJNSH_6TensorESM_SM_EERKSM_lbbbEUlllE0_EEPmJS6_EEE10hipError_tPvRmT3_T4_T5_T6_T7_T9_mT8_P12ihipStream_tbDpT10_ENKUlT_T0_E_clISt17integral_constantIbLb0EES1B_IbLb1EEEEDaS17_S18_EUlS17_E_NS1_11comp_targetILNS1_3genE10ELNS1_11target_archE1200ELNS1_3gpuE4ELNS1_3repE0EEENS1_30default_config_static_selectorELNS0_4arch9wavefront6targetE1EEEvT1_,comdat
	.globl	_ZN7rocprim17ROCPRIM_400000_NS6detail17trampoline_kernelINS0_14default_configENS1_25partition_config_selectorILNS1_17partition_subalgoE8ElNS0_10empty_typeEbEEZZNS1_14partition_implILS5_8ELb0ES3_jPlPS6_PKS6_NS0_5tupleIJS9_S6_EEENSD_IJSA_SA_EEENS0_18inequality_wrapperIZN2at6native12_GLOBAL__N_124unique_dim_cuda_templateIaEESt5tupleIJNSH_6TensorESM_SM_EERKSM_lbbbEUlllE0_EEPmJS6_EEE10hipError_tPvRmT3_T4_T5_T6_T7_T9_mT8_P12ihipStream_tbDpT10_ENKUlT_T0_E_clISt17integral_constantIbLb0EES1B_IbLb1EEEEDaS17_S18_EUlS17_E_NS1_11comp_targetILNS1_3genE10ELNS1_11target_archE1200ELNS1_3gpuE4ELNS1_3repE0EEENS1_30default_config_static_selectorELNS0_4arch9wavefront6targetE1EEEvT1_ ; -- Begin function _ZN7rocprim17ROCPRIM_400000_NS6detail17trampoline_kernelINS0_14default_configENS1_25partition_config_selectorILNS1_17partition_subalgoE8ElNS0_10empty_typeEbEEZZNS1_14partition_implILS5_8ELb0ES3_jPlPS6_PKS6_NS0_5tupleIJS9_S6_EEENSD_IJSA_SA_EEENS0_18inequality_wrapperIZN2at6native12_GLOBAL__N_124unique_dim_cuda_templateIaEESt5tupleIJNSH_6TensorESM_SM_EERKSM_lbbbEUlllE0_EEPmJS6_EEE10hipError_tPvRmT3_T4_T5_T6_T7_T9_mT8_P12ihipStream_tbDpT10_ENKUlT_T0_E_clISt17integral_constantIbLb0EES1B_IbLb1EEEEDaS17_S18_EUlS17_E_NS1_11comp_targetILNS1_3genE10ELNS1_11target_archE1200ELNS1_3gpuE4ELNS1_3repE0EEENS1_30default_config_static_selectorELNS0_4arch9wavefront6targetE1EEEvT1_
	.p2align	8
	.type	_ZN7rocprim17ROCPRIM_400000_NS6detail17trampoline_kernelINS0_14default_configENS1_25partition_config_selectorILNS1_17partition_subalgoE8ElNS0_10empty_typeEbEEZZNS1_14partition_implILS5_8ELb0ES3_jPlPS6_PKS6_NS0_5tupleIJS9_S6_EEENSD_IJSA_SA_EEENS0_18inequality_wrapperIZN2at6native12_GLOBAL__N_124unique_dim_cuda_templateIaEESt5tupleIJNSH_6TensorESM_SM_EERKSM_lbbbEUlllE0_EEPmJS6_EEE10hipError_tPvRmT3_T4_T5_T6_T7_T9_mT8_P12ihipStream_tbDpT10_ENKUlT_T0_E_clISt17integral_constantIbLb0EES1B_IbLb1EEEEDaS17_S18_EUlS17_E_NS1_11comp_targetILNS1_3genE10ELNS1_11target_archE1200ELNS1_3gpuE4ELNS1_3repE0EEENS1_30default_config_static_selectorELNS0_4arch9wavefront6targetE1EEEvT1_,@function
_ZN7rocprim17ROCPRIM_400000_NS6detail17trampoline_kernelINS0_14default_configENS1_25partition_config_selectorILNS1_17partition_subalgoE8ElNS0_10empty_typeEbEEZZNS1_14partition_implILS5_8ELb0ES3_jPlPS6_PKS6_NS0_5tupleIJS9_S6_EEENSD_IJSA_SA_EEENS0_18inequality_wrapperIZN2at6native12_GLOBAL__N_124unique_dim_cuda_templateIaEESt5tupleIJNSH_6TensorESM_SM_EERKSM_lbbbEUlllE0_EEPmJS6_EEE10hipError_tPvRmT3_T4_T5_T6_T7_T9_mT8_P12ihipStream_tbDpT10_ENKUlT_T0_E_clISt17integral_constantIbLb0EES1B_IbLb1EEEEDaS17_S18_EUlS17_E_NS1_11comp_targetILNS1_3genE10ELNS1_11target_archE1200ELNS1_3gpuE4ELNS1_3repE0EEENS1_30default_config_static_selectorELNS0_4arch9wavefront6targetE1EEEvT1_: ; @_ZN7rocprim17ROCPRIM_400000_NS6detail17trampoline_kernelINS0_14default_configENS1_25partition_config_selectorILNS1_17partition_subalgoE8ElNS0_10empty_typeEbEEZZNS1_14partition_implILS5_8ELb0ES3_jPlPS6_PKS6_NS0_5tupleIJS9_S6_EEENSD_IJSA_SA_EEENS0_18inequality_wrapperIZN2at6native12_GLOBAL__N_124unique_dim_cuda_templateIaEESt5tupleIJNSH_6TensorESM_SM_EERKSM_lbbbEUlllE0_EEPmJS6_EEE10hipError_tPvRmT3_T4_T5_T6_T7_T9_mT8_P12ihipStream_tbDpT10_ENKUlT_T0_E_clISt17integral_constantIbLb0EES1B_IbLb1EEEEDaS17_S18_EUlS17_E_NS1_11comp_targetILNS1_3genE10ELNS1_11target_archE1200ELNS1_3gpuE4ELNS1_3repE0EEENS1_30default_config_static_selectorELNS0_4arch9wavefront6targetE1EEEvT1_
; %bb.0:
	.section	.rodata,"a",@progbits
	.p2align	6, 0x0
	.amdhsa_kernel _ZN7rocprim17ROCPRIM_400000_NS6detail17trampoline_kernelINS0_14default_configENS1_25partition_config_selectorILNS1_17partition_subalgoE8ElNS0_10empty_typeEbEEZZNS1_14partition_implILS5_8ELb0ES3_jPlPS6_PKS6_NS0_5tupleIJS9_S6_EEENSD_IJSA_SA_EEENS0_18inequality_wrapperIZN2at6native12_GLOBAL__N_124unique_dim_cuda_templateIaEESt5tupleIJNSH_6TensorESM_SM_EERKSM_lbbbEUlllE0_EEPmJS6_EEE10hipError_tPvRmT3_T4_T5_T6_T7_T9_mT8_P12ihipStream_tbDpT10_ENKUlT_T0_E_clISt17integral_constantIbLb0EES1B_IbLb1EEEEDaS17_S18_EUlS17_E_NS1_11comp_targetILNS1_3genE10ELNS1_11target_archE1200ELNS1_3gpuE4ELNS1_3repE0EEENS1_30default_config_static_selectorELNS0_4arch9wavefront6targetE1EEEvT1_
		.amdhsa_group_segment_fixed_size 0
		.amdhsa_private_segment_fixed_size 0
		.amdhsa_kernarg_size 136
		.amdhsa_user_sgpr_count 6
		.amdhsa_user_sgpr_private_segment_buffer 1
		.amdhsa_user_sgpr_dispatch_ptr 0
		.amdhsa_user_sgpr_queue_ptr 0
		.amdhsa_user_sgpr_kernarg_segment_ptr 1
		.amdhsa_user_sgpr_dispatch_id 0
		.amdhsa_user_sgpr_flat_scratch_init 0
		.amdhsa_user_sgpr_kernarg_preload_length 0
		.amdhsa_user_sgpr_kernarg_preload_offset 0
		.amdhsa_user_sgpr_private_segment_size 0
		.amdhsa_uses_dynamic_stack 0
		.amdhsa_system_sgpr_private_segment_wavefront_offset 0
		.amdhsa_system_sgpr_workgroup_id_x 1
		.amdhsa_system_sgpr_workgroup_id_y 0
		.amdhsa_system_sgpr_workgroup_id_z 0
		.amdhsa_system_sgpr_workgroup_info 0
		.amdhsa_system_vgpr_workitem_id 0
		.amdhsa_next_free_vgpr 1
		.amdhsa_next_free_sgpr 0
		.amdhsa_accum_offset 4
		.amdhsa_reserve_vcc 0
		.amdhsa_reserve_flat_scratch 0
		.amdhsa_float_round_mode_32 0
		.amdhsa_float_round_mode_16_64 0
		.amdhsa_float_denorm_mode_32 3
		.amdhsa_float_denorm_mode_16_64 3
		.amdhsa_dx10_clamp 1
		.amdhsa_ieee_mode 1
		.amdhsa_fp16_overflow 0
		.amdhsa_tg_split 0
		.amdhsa_exception_fp_ieee_invalid_op 0
		.amdhsa_exception_fp_denorm_src 0
		.amdhsa_exception_fp_ieee_div_zero 0
		.amdhsa_exception_fp_ieee_overflow 0
		.amdhsa_exception_fp_ieee_underflow 0
		.amdhsa_exception_fp_ieee_inexact 0
		.amdhsa_exception_int_div_zero 0
	.end_amdhsa_kernel
	.section	.text._ZN7rocprim17ROCPRIM_400000_NS6detail17trampoline_kernelINS0_14default_configENS1_25partition_config_selectorILNS1_17partition_subalgoE8ElNS0_10empty_typeEbEEZZNS1_14partition_implILS5_8ELb0ES3_jPlPS6_PKS6_NS0_5tupleIJS9_S6_EEENSD_IJSA_SA_EEENS0_18inequality_wrapperIZN2at6native12_GLOBAL__N_124unique_dim_cuda_templateIaEESt5tupleIJNSH_6TensorESM_SM_EERKSM_lbbbEUlllE0_EEPmJS6_EEE10hipError_tPvRmT3_T4_T5_T6_T7_T9_mT8_P12ihipStream_tbDpT10_ENKUlT_T0_E_clISt17integral_constantIbLb0EES1B_IbLb1EEEEDaS17_S18_EUlS17_E_NS1_11comp_targetILNS1_3genE10ELNS1_11target_archE1200ELNS1_3gpuE4ELNS1_3repE0EEENS1_30default_config_static_selectorELNS0_4arch9wavefront6targetE1EEEvT1_,"axG",@progbits,_ZN7rocprim17ROCPRIM_400000_NS6detail17trampoline_kernelINS0_14default_configENS1_25partition_config_selectorILNS1_17partition_subalgoE8ElNS0_10empty_typeEbEEZZNS1_14partition_implILS5_8ELb0ES3_jPlPS6_PKS6_NS0_5tupleIJS9_S6_EEENSD_IJSA_SA_EEENS0_18inequality_wrapperIZN2at6native12_GLOBAL__N_124unique_dim_cuda_templateIaEESt5tupleIJNSH_6TensorESM_SM_EERKSM_lbbbEUlllE0_EEPmJS6_EEE10hipError_tPvRmT3_T4_T5_T6_T7_T9_mT8_P12ihipStream_tbDpT10_ENKUlT_T0_E_clISt17integral_constantIbLb0EES1B_IbLb1EEEEDaS17_S18_EUlS17_E_NS1_11comp_targetILNS1_3genE10ELNS1_11target_archE1200ELNS1_3gpuE4ELNS1_3repE0EEENS1_30default_config_static_selectorELNS0_4arch9wavefront6targetE1EEEvT1_,comdat
.Lfunc_end348:
	.size	_ZN7rocprim17ROCPRIM_400000_NS6detail17trampoline_kernelINS0_14default_configENS1_25partition_config_selectorILNS1_17partition_subalgoE8ElNS0_10empty_typeEbEEZZNS1_14partition_implILS5_8ELb0ES3_jPlPS6_PKS6_NS0_5tupleIJS9_S6_EEENSD_IJSA_SA_EEENS0_18inequality_wrapperIZN2at6native12_GLOBAL__N_124unique_dim_cuda_templateIaEESt5tupleIJNSH_6TensorESM_SM_EERKSM_lbbbEUlllE0_EEPmJS6_EEE10hipError_tPvRmT3_T4_T5_T6_T7_T9_mT8_P12ihipStream_tbDpT10_ENKUlT_T0_E_clISt17integral_constantIbLb0EES1B_IbLb1EEEEDaS17_S18_EUlS17_E_NS1_11comp_targetILNS1_3genE10ELNS1_11target_archE1200ELNS1_3gpuE4ELNS1_3repE0EEENS1_30default_config_static_selectorELNS0_4arch9wavefront6targetE1EEEvT1_, .Lfunc_end348-_ZN7rocprim17ROCPRIM_400000_NS6detail17trampoline_kernelINS0_14default_configENS1_25partition_config_selectorILNS1_17partition_subalgoE8ElNS0_10empty_typeEbEEZZNS1_14partition_implILS5_8ELb0ES3_jPlPS6_PKS6_NS0_5tupleIJS9_S6_EEENSD_IJSA_SA_EEENS0_18inequality_wrapperIZN2at6native12_GLOBAL__N_124unique_dim_cuda_templateIaEESt5tupleIJNSH_6TensorESM_SM_EERKSM_lbbbEUlllE0_EEPmJS6_EEE10hipError_tPvRmT3_T4_T5_T6_T7_T9_mT8_P12ihipStream_tbDpT10_ENKUlT_T0_E_clISt17integral_constantIbLb0EES1B_IbLb1EEEEDaS17_S18_EUlS17_E_NS1_11comp_targetILNS1_3genE10ELNS1_11target_archE1200ELNS1_3gpuE4ELNS1_3repE0EEENS1_30default_config_static_selectorELNS0_4arch9wavefront6targetE1EEEvT1_
                                        ; -- End function
	.section	.AMDGPU.csdata,"",@progbits
; Kernel info:
; codeLenInByte = 0
; NumSgprs: 4
; NumVgprs: 0
; NumAgprs: 0
; TotalNumVgprs: 0
; ScratchSize: 0
; MemoryBound: 0
; FloatMode: 240
; IeeeMode: 1
; LDSByteSize: 0 bytes/workgroup (compile time only)
; SGPRBlocks: 0
; VGPRBlocks: 0
; NumSGPRsForWavesPerEU: 4
; NumVGPRsForWavesPerEU: 1
; AccumOffset: 4
; Occupancy: 8
; WaveLimiterHint : 0
; COMPUTE_PGM_RSRC2:SCRATCH_EN: 0
; COMPUTE_PGM_RSRC2:USER_SGPR: 6
; COMPUTE_PGM_RSRC2:TRAP_HANDLER: 0
; COMPUTE_PGM_RSRC2:TGID_X_EN: 1
; COMPUTE_PGM_RSRC2:TGID_Y_EN: 0
; COMPUTE_PGM_RSRC2:TGID_Z_EN: 0
; COMPUTE_PGM_RSRC2:TIDIG_COMP_CNT: 0
; COMPUTE_PGM_RSRC3_GFX90A:ACCUM_OFFSET: 0
; COMPUTE_PGM_RSRC3_GFX90A:TG_SPLIT: 0
	.section	.text._ZN7rocprim17ROCPRIM_400000_NS6detail17trampoline_kernelINS0_14default_configENS1_25partition_config_selectorILNS1_17partition_subalgoE8ElNS0_10empty_typeEbEEZZNS1_14partition_implILS5_8ELb0ES3_jPlPS6_PKS6_NS0_5tupleIJS9_S6_EEENSD_IJSA_SA_EEENS0_18inequality_wrapperIZN2at6native12_GLOBAL__N_124unique_dim_cuda_templateIaEESt5tupleIJNSH_6TensorESM_SM_EERKSM_lbbbEUlllE0_EEPmJS6_EEE10hipError_tPvRmT3_T4_T5_T6_T7_T9_mT8_P12ihipStream_tbDpT10_ENKUlT_T0_E_clISt17integral_constantIbLb0EES1B_IbLb1EEEEDaS17_S18_EUlS17_E_NS1_11comp_targetILNS1_3genE9ELNS1_11target_archE1100ELNS1_3gpuE3ELNS1_3repE0EEENS1_30default_config_static_selectorELNS0_4arch9wavefront6targetE1EEEvT1_,"axG",@progbits,_ZN7rocprim17ROCPRIM_400000_NS6detail17trampoline_kernelINS0_14default_configENS1_25partition_config_selectorILNS1_17partition_subalgoE8ElNS0_10empty_typeEbEEZZNS1_14partition_implILS5_8ELb0ES3_jPlPS6_PKS6_NS0_5tupleIJS9_S6_EEENSD_IJSA_SA_EEENS0_18inequality_wrapperIZN2at6native12_GLOBAL__N_124unique_dim_cuda_templateIaEESt5tupleIJNSH_6TensorESM_SM_EERKSM_lbbbEUlllE0_EEPmJS6_EEE10hipError_tPvRmT3_T4_T5_T6_T7_T9_mT8_P12ihipStream_tbDpT10_ENKUlT_T0_E_clISt17integral_constantIbLb0EES1B_IbLb1EEEEDaS17_S18_EUlS17_E_NS1_11comp_targetILNS1_3genE9ELNS1_11target_archE1100ELNS1_3gpuE3ELNS1_3repE0EEENS1_30default_config_static_selectorELNS0_4arch9wavefront6targetE1EEEvT1_,comdat
	.globl	_ZN7rocprim17ROCPRIM_400000_NS6detail17trampoline_kernelINS0_14default_configENS1_25partition_config_selectorILNS1_17partition_subalgoE8ElNS0_10empty_typeEbEEZZNS1_14partition_implILS5_8ELb0ES3_jPlPS6_PKS6_NS0_5tupleIJS9_S6_EEENSD_IJSA_SA_EEENS0_18inequality_wrapperIZN2at6native12_GLOBAL__N_124unique_dim_cuda_templateIaEESt5tupleIJNSH_6TensorESM_SM_EERKSM_lbbbEUlllE0_EEPmJS6_EEE10hipError_tPvRmT3_T4_T5_T6_T7_T9_mT8_P12ihipStream_tbDpT10_ENKUlT_T0_E_clISt17integral_constantIbLb0EES1B_IbLb1EEEEDaS17_S18_EUlS17_E_NS1_11comp_targetILNS1_3genE9ELNS1_11target_archE1100ELNS1_3gpuE3ELNS1_3repE0EEENS1_30default_config_static_selectorELNS0_4arch9wavefront6targetE1EEEvT1_ ; -- Begin function _ZN7rocprim17ROCPRIM_400000_NS6detail17trampoline_kernelINS0_14default_configENS1_25partition_config_selectorILNS1_17partition_subalgoE8ElNS0_10empty_typeEbEEZZNS1_14partition_implILS5_8ELb0ES3_jPlPS6_PKS6_NS0_5tupleIJS9_S6_EEENSD_IJSA_SA_EEENS0_18inequality_wrapperIZN2at6native12_GLOBAL__N_124unique_dim_cuda_templateIaEESt5tupleIJNSH_6TensorESM_SM_EERKSM_lbbbEUlllE0_EEPmJS6_EEE10hipError_tPvRmT3_T4_T5_T6_T7_T9_mT8_P12ihipStream_tbDpT10_ENKUlT_T0_E_clISt17integral_constantIbLb0EES1B_IbLb1EEEEDaS17_S18_EUlS17_E_NS1_11comp_targetILNS1_3genE9ELNS1_11target_archE1100ELNS1_3gpuE3ELNS1_3repE0EEENS1_30default_config_static_selectorELNS0_4arch9wavefront6targetE1EEEvT1_
	.p2align	8
	.type	_ZN7rocprim17ROCPRIM_400000_NS6detail17trampoline_kernelINS0_14default_configENS1_25partition_config_selectorILNS1_17partition_subalgoE8ElNS0_10empty_typeEbEEZZNS1_14partition_implILS5_8ELb0ES3_jPlPS6_PKS6_NS0_5tupleIJS9_S6_EEENSD_IJSA_SA_EEENS0_18inequality_wrapperIZN2at6native12_GLOBAL__N_124unique_dim_cuda_templateIaEESt5tupleIJNSH_6TensorESM_SM_EERKSM_lbbbEUlllE0_EEPmJS6_EEE10hipError_tPvRmT3_T4_T5_T6_T7_T9_mT8_P12ihipStream_tbDpT10_ENKUlT_T0_E_clISt17integral_constantIbLb0EES1B_IbLb1EEEEDaS17_S18_EUlS17_E_NS1_11comp_targetILNS1_3genE9ELNS1_11target_archE1100ELNS1_3gpuE3ELNS1_3repE0EEENS1_30default_config_static_selectorELNS0_4arch9wavefront6targetE1EEEvT1_,@function
_ZN7rocprim17ROCPRIM_400000_NS6detail17trampoline_kernelINS0_14default_configENS1_25partition_config_selectorILNS1_17partition_subalgoE8ElNS0_10empty_typeEbEEZZNS1_14partition_implILS5_8ELb0ES3_jPlPS6_PKS6_NS0_5tupleIJS9_S6_EEENSD_IJSA_SA_EEENS0_18inequality_wrapperIZN2at6native12_GLOBAL__N_124unique_dim_cuda_templateIaEESt5tupleIJNSH_6TensorESM_SM_EERKSM_lbbbEUlllE0_EEPmJS6_EEE10hipError_tPvRmT3_T4_T5_T6_T7_T9_mT8_P12ihipStream_tbDpT10_ENKUlT_T0_E_clISt17integral_constantIbLb0EES1B_IbLb1EEEEDaS17_S18_EUlS17_E_NS1_11comp_targetILNS1_3genE9ELNS1_11target_archE1100ELNS1_3gpuE3ELNS1_3repE0EEENS1_30default_config_static_selectorELNS0_4arch9wavefront6targetE1EEEvT1_: ; @_ZN7rocprim17ROCPRIM_400000_NS6detail17trampoline_kernelINS0_14default_configENS1_25partition_config_selectorILNS1_17partition_subalgoE8ElNS0_10empty_typeEbEEZZNS1_14partition_implILS5_8ELb0ES3_jPlPS6_PKS6_NS0_5tupleIJS9_S6_EEENSD_IJSA_SA_EEENS0_18inequality_wrapperIZN2at6native12_GLOBAL__N_124unique_dim_cuda_templateIaEESt5tupleIJNSH_6TensorESM_SM_EERKSM_lbbbEUlllE0_EEPmJS6_EEE10hipError_tPvRmT3_T4_T5_T6_T7_T9_mT8_P12ihipStream_tbDpT10_ENKUlT_T0_E_clISt17integral_constantIbLb0EES1B_IbLb1EEEEDaS17_S18_EUlS17_E_NS1_11comp_targetILNS1_3genE9ELNS1_11target_archE1100ELNS1_3gpuE3ELNS1_3repE0EEENS1_30default_config_static_selectorELNS0_4arch9wavefront6targetE1EEEvT1_
; %bb.0:
	.section	.rodata,"a",@progbits
	.p2align	6, 0x0
	.amdhsa_kernel _ZN7rocprim17ROCPRIM_400000_NS6detail17trampoline_kernelINS0_14default_configENS1_25partition_config_selectorILNS1_17partition_subalgoE8ElNS0_10empty_typeEbEEZZNS1_14partition_implILS5_8ELb0ES3_jPlPS6_PKS6_NS0_5tupleIJS9_S6_EEENSD_IJSA_SA_EEENS0_18inequality_wrapperIZN2at6native12_GLOBAL__N_124unique_dim_cuda_templateIaEESt5tupleIJNSH_6TensorESM_SM_EERKSM_lbbbEUlllE0_EEPmJS6_EEE10hipError_tPvRmT3_T4_T5_T6_T7_T9_mT8_P12ihipStream_tbDpT10_ENKUlT_T0_E_clISt17integral_constantIbLb0EES1B_IbLb1EEEEDaS17_S18_EUlS17_E_NS1_11comp_targetILNS1_3genE9ELNS1_11target_archE1100ELNS1_3gpuE3ELNS1_3repE0EEENS1_30default_config_static_selectorELNS0_4arch9wavefront6targetE1EEEvT1_
		.amdhsa_group_segment_fixed_size 0
		.amdhsa_private_segment_fixed_size 0
		.amdhsa_kernarg_size 136
		.amdhsa_user_sgpr_count 6
		.amdhsa_user_sgpr_private_segment_buffer 1
		.amdhsa_user_sgpr_dispatch_ptr 0
		.amdhsa_user_sgpr_queue_ptr 0
		.amdhsa_user_sgpr_kernarg_segment_ptr 1
		.amdhsa_user_sgpr_dispatch_id 0
		.amdhsa_user_sgpr_flat_scratch_init 0
		.amdhsa_user_sgpr_kernarg_preload_length 0
		.amdhsa_user_sgpr_kernarg_preload_offset 0
		.amdhsa_user_sgpr_private_segment_size 0
		.amdhsa_uses_dynamic_stack 0
		.amdhsa_system_sgpr_private_segment_wavefront_offset 0
		.amdhsa_system_sgpr_workgroup_id_x 1
		.amdhsa_system_sgpr_workgroup_id_y 0
		.amdhsa_system_sgpr_workgroup_id_z 0
		.amdhsa_system_sgpr_workgroup_info 0
		.amdhsa_system_vgpr_workitem_id 0
		.amdhsa_next_free_vgpr 1
		.amdhsa_next_free_sgpr 0
		.amdhsa_accum_offset 4
		.amdhsa_reserve_vcc 0
		.amdhsa_reserve_flat_scratch 0
		.amdhsa_float_round_mode_32 0
		.amdhsa_float_round_mode_16_64 0
		.amdhsa_float_denorm_mode_32 3
		.amdhsa_float_denorm_mode_16_64 3
		.amdhsa_dx10_clamp 1
		.amdhsa_ieee_mode 1
		.amdhsa_fp16_overflow 0
		.amdhsa_tg_split 0
		.amdhsa_exception_fp_ieee_invalid_op 0
		.amdhsa_exception_fp_denorm_src 0
		.amdhsa_exception_fp_ieee_div_zero 0
		.amdhsa_exception_fp_ieee_overflow 0
		.amdhsa_exception_fp_ieee_underflow 0
		.amdhsa_exception_fp_ieee_inexact 0
		.amdhsa_exception_int_div_zero 0
	.end_amdhsa_kernel
	.section	.text._ZN7rocprim17ROCPRIM_400000_NS6detail17trampoline_kernelINS0_14default_configENS1_25partition_config_selectorILNS1_17partition_subalgoE8ElNS0_10empty_typeEbEEZZNS1_14partition_implILS5_8ELb0ES3_jPlPS6_PKS6_NS0_5tupleIJS9_S6_EEENSD_IJSA_SA_EEENS0_18inequality_wrapperIZN2at6native12_GLOBAL__N_124unique_dim_cuda_templateIaEESt5tupleIJNSH_6TensorESM_SM_EERKSM_lbbbEUlllE0_EEPmJS6_EEE10hipError_tPvRmT3_T4_T5_T6_T7_T9_mT8_P12ihipStream_tbDpT10_ENKUlT_T0_E_clISt17integral_constantIbLb0EES1B_IbLb1EEEEDaS17_S18_EUlS17_E_NS1_11comp_targetILNS1_3genE9ELNS1_11target_archE1100ELNS1_3gpuE3ELNS1_3repE0EEENS1_30default_config_static_selectorELNS0_4arch9wavefront6targetE1EEEvT1_,"axG",@progbits,_ZN7rocprim17ROCPRIM_400000_NS6detail17trampoline_kernelINS0_14default_configENS1_25partition_config_selectorILNS1_17partition_subalgoE8ElNS0_10empty_typeEbEEZZNS1_14partition_implILS5_8ELb0ES3_jPlPS6_PKS6_NS0_5tupleIJS9_S6_EEENSD_IJSA_SA_EEENS0_18inequality_wrapperIZN2at6native12_GLOBAL__N_124unique_dim_cuda_templateIaEESt5tupleIJNSH_6TensorESM_SM_EERKSM_lbbbEUlllE0_EEPmJS6_EEE10hipError_tPvRmT3_T4_T5_T6_T7_T9_mT8_P12ihipStream_tbDpT10_ENKUlT_T0_E_clISt17integral_constantIbLb0EES1B_IbLb1EEEEDaS17_S18_EUlS17_E_NS1_11comp_targetILNS1_3genE9ELNS1_11target_archE1100ELNS1_3gpuE3ELNS1_3repE0EEENS1_30default_config_static_selectorELNS0_4arch9wavefront6targetE1EEEvT1_,comdat
.Lfunc_end349:
	.size	_ZN7rocprim17ROCPRIM_400000_NS6detail17trampoline_kernelINS0_14default_configENS1_25partition_config_selectorILNS1_17partition_subalgoE8ElNS0_10empty_typeEbEEZZNS1_14partition_implILS5_8ELb0ES3_jPlPS6_PKS6_NS0_5tupleIJS9_S6_EEENSD_IJSA_SA_EEENS0_18inequality_wrapperIZN2at6native12_GLOBAL__N_124unique_dim_cuda_templateIaEESt5tupleIJNSH_6TensorESM_SM_EERKSM_lbbbEUlllE0_EEPmJS6_EEE10hipError_tPvRmT3_T4_T5_T6_T7_T9_mT8_P12ihipStream_tbDpT10_ENKUlT_T0_E_clISt17integral_constantIbLb0EES1B_IbLb1EEEEDaS17_S18_EUlS17_E_NS1_11comp_targetILNS1_3genE9ELNS1_11target_archE1100ELNS1_3gpuE3ELNS1_3repE0EEENS1_30default_config_static_selectorELNS0_4arch9wavefront6targetE1EEEvT1_, .Lfunc_end349-_ZN7rocprim17ROCPRIM_400000_NS6detail17trampoline_kernelINS0_14default_configENS1_25partition_config_selectorILNS1_17partition_subalgoE8ElNS0_10empty_typeEbEEZZNS1_14partition_implILS5_8ELb0ES3_jPlPS6_PKS6_NS0_5tupleIJS9_S6_EEENSD_IJSA_SA_EEENS0_18inequality_wrapperIZN2at6native12_GLOBAL__N_124unique_dim_cuda_templateIaEESt5tupleIJNSH_6TensorESM_SM_EERKSM_lbbbEUlllE0_EEPmJS6_EEE10hipError_tPvRmT3_T4_T5_T6_T7_T9_mT8_P12ihipStream_tbDpT10_ENKUlT_T0_E_clISt17integral_constantIbLb0EES1B_IbLb1EEEEDaS17_S18_EUlS17_E_NS1_11comp_targetILNS1_3genE9ELNS1_11target_archE1100ELNS1_3gpuE3ELNS1_3repE0EEENS1_30default_config_static_selectorELNS0_4arch9wavefront6targetE1EEEvT1_
                                        ; -- End function
	.section	.AMDGPU.csdata,"",@progbits
; Kernel info:
; codeLenInByte = 0
; NumSgprs: 4
; NumVgprs: 0
; NumAgprs: 0
; TotalNumVgprs: 0
; ScratchSize: 0
; MemoryBound: 0
; FloatMode: 240
; IeeeMode: 1
; LDSByteSize: 0 bytes/workgroup (compile time only)
; SGPRBlocks: 0
; VGPRBlocks: 0
; NumSGPRsForWavesPerEU: 4
; NumVGPRsForWavesPerEU: 1
; AccumOffset: 4
; Occupancy: 8
; WaveLimiterHint : 0
; COMPUTE_PGM_RSRC2:SCRATCH_EN: 0
; COMPUTE_PGM_RSRC2:USER_SGPR: 6
; COMPUTE_PGM_RSRC2:TRAP_HANDLER: 0
; COMPUTE_PGM_RSRC2:TGID_X_EN: 1
; COMPUTE_PGM_RSRC2:TGID_Y_EN: 0
; COMPUTE_PGM_RSRC2:TGID_Z_EN: 0
; COMPUTE_PGM_RSRC2:TIDIG_COMP_CNT: 0
; COMPUTE_PGM_RSRC3_GFX90A:ACCUM_OFFSET: 0
; COMPUTE_PGM_RSRC3_GFX90A:TG_SPLIT: 0
	.section	.text._ZN7rocprim17ROCPRIM_400000_NS6detail17trampoline_kernelINS0_14default_configENS1_25partition_config_selectorILNS1_17partition_subalgoE8ElNS0_10empty_typeEbEEZZNS1_14partition_implILS5_8ELb0ES3_jPlPS6_PKS6_NS0_5tupleIJS9_S6_EEENSD_IJSA_SA_EEENS0_18inequality_wrapperIZN2at6native12_GLOBAL__N_124unique_dim_cuda_templateIaEESt5tupleIJNSH_6TensorESM_SM_EERKSM_lbbbEUlllE0_EEPmJS6_EEE10hipError_tPvRmT3_T4_T5_T6_T7_T9_mT8_P12ihipStream_tbDpT10_ENKUlT_T0_E_clISt17integral_constantIbLb0EES1B_IbLb1EEEEDaS17_S18_EUlS17_E_NS1_11comp_targetILNS1_3genE8ELNS1_11target_archE1030ELNS1_3gpuE2ELNS1_3repE0EEENS1_30default_config_static_selectorELNS0_4arch9wavefront6targetE1EEEvT1_,"axG",@progbits,_ZN7rocprim17ROCPRIM_400000_NS6detail17trampoline_kernelINS0_14default_configENS1_25partition_config_selectorILNS1_17partition_subalgoE8ElNS0_10empty_typeEbEEZZNS1_14partition_implILS5_8ELb0ES3_jPlPS6_PKS6_NS0_5tupleIJS9_S6_EEENSD_IJSA_SA_EEENS0_18inequality_wrapperIZN2at6native12_GLOBAL__N_124unique_dim_cuda_templateIaEESt5tupleIJNSH_6TensorESM_SM_EERKSM_lbbbEUlllE0_EEPmJS6_EEE10hipError_tPvRmT3_T4_T5_T6_T7_T9_mT8_P12ihipStream_tbDpT10_ENKUlT_T0_E_clISt17integral_constantIbLb0EES1B_IbLb1EEEEDaS17_S18_EUlS17_E_NS1_11comp_targetILNS1_3genE8ELNS1_11target_archE1030ELNS1_3gpuE2ELNS1_3repE0EEENS1_30default_config_static_selectorELNS0_4arch9wavefront6targetE1EEEvT1_,comdat
	.globl	_ZN7rocprim17ROCPRIM_400000_NS6detail17trampoline_kernelINS0_14default_configENS1_25partition_config_selectorILNS1_17partition_subalgoE8ElNS0_10empty_typeEbEEZZNS1_14partition_implILS5_8ELb0ES3_jPlPS6_PKS6_NS0_5tupleIJS9_S6_EEENSD_IJSA_SA_EEENS0_18inequality_wrapperIZN2at6native12_GLOBAL__N_124unique_dim_cuda_templateIaEESt5tupleIJNSH_6TensorESM_SM_EERKSM_lbbbEUlllE0_EEPmJS6_EEE10hipError_tPvRmT3_T4_T5_T6_T7_T9_mT8_P12ihipStream_tbDpT10_ENKUlT_T0_E_clISt17integral_constantIbLb0EES1B_IbLb1EEEEDaS17_S18_EUlS17_E_NS1_11comp_targetILNS1_3genE8ELNS1_11target_archE1030ELNS1_3gpuE2ELNS1_3repE0EEENS1_30default_config_static_selectorELNS0_4arch9wavefront6targetE1EEEvT1_ ; -- Begin function _ZN7rocprim17ROCPRIM_400000_NS6detail17trampoline_kernelINS0_14default_configENS1_25partition_config_selectorILNS1_17partition_subalgoE8ElNS0_10empty_typeEbEEZZNS1_14partition_implILS5_8ELb0ES3_jPlPS6_PKS6_NS0_5tupleIJS9_S6_EEENSD_IJSA_SA_EEENS0_18inequality_wrapperIZN2at6native12_GLOBAL__N_124unique_dim_cuda_templateIaEESt5tupleIJNSH_6TensorESM_SM_EERKSM_lbbbEUlllE0_EEPmJS6_EEE10hipError_tPvRmT3_T4_T5_T6_T7_T9_mT8_P12ihipStream_tbDpT10_ENKUlT_T0_E_clISt17integral_constantIbLb0EES1B_IbLb1EEEEDaS17_S18_EUlS17_E_NS1_11comp_targetILNS1_3genE8ELNS1_11target_archE1030ELNS1_3gpuE2ELNS1_3repE0EEENS1_30default_config_static_selectorELNS0_4arch9wavefront6targetE1EEEvT1_
	.p2align	8
	.type	_ZN7rocprim17ROCPRIM_400000_NS6detail17trampoline_kernelINS0_14default_configENS1_25partition_config_selectorILNS1_17partition_subalgoE8ElNS0_10empty_typeEbEEZZNS1_14partition_implILS5_8ELb0ES3_jPlPS6_PKS6_NS0_5tupleIJS9_S6_EEENSD_IJSA_SA_EEENS0_18inequality_wrapperIZN2at6native12_GLOBAL__N_124unique_dim_cuda_templateIaEESt5tupleIJNSH_6TensorESM_SM_EERKSM_lbbbEUlllE0_EEPmJS6_EEE10hipError_tPvRmT3_T4_T5_T6_T7_T9_mT8_P12ihipStream_tbDpT10_ENKUlT_T0_E_clISt17integral_constantIbLb0EES1B_IbLb1EEEEDaS17_S18_EUlS17_E_NS1_11comp_targetILNS1_3genE8ELNS1_11target_archE1030ELNS1_3gpuE2ELNS1_3repE0EEENS1_30default_config_static_selectorELNS0_4arch9wavefront6targetE1EEEvT1_,@function
_ZN7rocprim17ROCPRIM_400000_NS6detail17trampoline_kernelINS0_14default_configENS1_25partition_config_selectorILNS1_17partition_subalgoE8ElNS0_10empty_typeEbEEZZNS1_14partition_implILS5_8ELb0ES3_jPlPS6_PKS6_NS0_5tupleIJS9_S6_EEENSD_IJSA_SA_EEENS0_18inequality_wrapperIZN2at6native12_GLOBAL__N_124unique_dim_cuda_templateIaEESt5tupleIJNSH_6TensorESM_SM_EERKSM_lbbbEUlllE0_EEPmJS6_EEE10hipError_tPvRmT3_T4_T5_T6_T7_T9_mT8_P12ihipStream_tbDpT10_ENKUlT_T0_E_clISt17integral_constantIbLb0EES1B_IbLb1EEEEDaS17_S18_EUlS17_E_NS1_11comp_targetILNS1_3genE8ELNS1_11target_archE1030ELNS1_3gpuE2ELNS1_3repE0EEENS1_30default_config_static_selectorELNS0_4arch9wavefront6targetE1EEEvT1_: ; @_ZN7rocprim17ROCPRIM_400000_NS6detail17trampoline_kernelINS0_14default_configENS1_25partition_config_selectorILNS1_17partition_subalgoE8ElNS0_10empty_typeEbEEZZNS1_14partition_implILS5_8ELb0ES3_jPlPS6_PKS6_NS0_5tupleIJS9_S6_EEENSD_IJSA_SA_EEENS0_18inequality_wrapperIZN2at6native12_GLOBAL__N_124unique_dim_cuda_templateIaEESt5tupleIJNSH_6TensorESM_SM_EERKSM_lbbbEUlllE0_EEPmJS6_EEE10hipError_tPvRmT3_T4_T5_T6_T7_T9_mT8_P12ihipStream_tbDpT10_ENKUlT_T0_E_clISt17integral_constantIbLb0EES1B_IbLb1EEEEDaS17_S18_EUlS17_E_NS1_11comp_targetILNS1_3genE8ELNS1_11target_archE1030ELNS1_3gpuE2ELNS1_3repE0EEENS1_30default_config_static_selectorELNS0_4arch9wavefront6targetE1EEEvT1_
; %bb.0:
	.section	.rodata,"a",@progbits
	.p2align	6, 0x0
	.amdhsa_kernel _ZN7rocprim17ROCPRIM_400000_NS6detail17trampoline_kernelINS0_14default_configENS1_25partition_config_selectorILNS1_17partition_subalgoE8ElNS0_10empty_typeEbEEZZNS1_14partition_implILS5_8ELb0ES3_jPlPS6_PKS6_NS0_5tupleIJS9_S6_EEENSD_IJSA_SA_EEENS0_18inequality_wrapperIZN2at6native12_GLOBAL__N_124unique_dim_cuda_templateIaEESt5tupleIJNSH_6TensorESM_SM_EERKSM_lbbbEUlllE0_EEPmJS6_EEE10hipError_tPvRmT3_T4_T5_T6_T7_T9_mT8_P12ihipStream_tbDpT10_ENKUlT_T0_E_clISt17integral_constantIbLb0EES1B_IbLb1EEEEDaS17_S18_EUlS17_E_NS1_11comp_targetILNS1_3genE8ELNS1_11target_archE1030ELNS1_3gpuE2ELNS1_3repE0EEENS1_30default_config_static_selectorELNS0_4arch9wavefront6targetE1EEEvT1_
		.amdhsa_group_segment_fixed_size 0
		.amdhsa_private_segment_fixed_size 0
		.amdhsa_kernarg_size 136
		.amdhsa_user_sgpr_count 6
		.amdhsa_user_sgpr_private_segment_buffer 1
		.amdhsa_user_sgpr_dispatch_ptr 0
		.amdhsa_user_sgpr_queue_ptr 0
		.amdhsa_user_sgpr_kernarg_segment_ptr 1
		.amdhsa_user_sgpr_dispatch_id 0
		.amdhsa_user_sgpr_flat_scratch_init 0
		.amdhsa_user_sgpr_kernarg_preload_length 0
		.amdhsa_user_sgpr_kernarg_preload_offset 0
		.amdhsa_user_sgpr_private_segment_size 0
		.amdhsa_uses_dynamic_stack 0
		.amdhsa_system_sgpr_private_segment_wavefront_offset 0
		.amdhsa_system_sgpr_workgroup_id_x 1
		.amdhsa_system_sgpr_workgroup_id_y 0
		.amdhsa_system_sgpr_workgroup_id_z 0
		.amdhsa_system_sgpr_workgroup_info 0
		.amdhsa_system_vgpr_workitem_id 0
		.amdhsa_next_free_vgpr 1
		.amdhsa_next_free_sgpr 0
		.amdhsa_accum_offset 4
		.amdhsa_reserve_vcc 0
		.amdhsa_reserve_flat_scratch 0
		.amdhsa_float_round_mode_32 0
		.amdhsa_float_round_mode_16_64 0
		.amdhsa_float_denorm_mode_32 3
		.amdhsa_float_denorm_mode_16_64 3
		.amdhsa_dx10_clamp 1
		.amdhsa_ieee_mode 1
		.amdhsa_fp16_overflow 0
		.amdhsa_tg_split 0
		.amdhsa_exception_fp_ieee_invalid_op 0
		.amdhsa_exception_fp_denorm_src 0
		.amdhsa_exception_fp_ieee_div_zero 0
		.amdhsa_exception_fp_ieee_overflow 0
		.amdhsa_exception_fp_ieee_underflow 0
		.amdhsa_exception_fp_ieee_inexact 0
		.amdhsa_exception_int_div_zero 0
	.end_amdhsa_kernel
	.section	.text._ZN7rocprim17ROCPRIM_400000_NS6detail17trampoline_kernelINS0_14default_configENS1_25partition_config_selectorILNS1_17partition_subalgoE8ElNS0_10empty_typeEbEEZZNS1_14partition_implILS5_8ELb0ES3_jPlPS6_PKS6_NS0_5tupleIJS9_S6_EEENSD_IJSA_SA_EEENS0_18inequality_wrapperIZN2at6native12_GLOBAL__N_124unique_dim_cuda_templateIaEESt5tupleIJNSH_6TensorESM_SM_EERKSM_lbbbEUlllE0_EEPmJS6_EEE10hipError_tPvRmT3_T4_T5_T6_T7_T9_mT8_P12ihipStream_tbDpT10_ENKUlT_T0_E_clISt17integral_constantIbLb0EES1B_IbLb1EEEEDaS17_S18_EUlS17_E_NS1_11comp_targetILNS1_3genE8ELNS1_11target_archE1030ELNS1_3gpuE2ELNS1_3repE0EEENS1_30default_config_static_selectorELNS0_4arch9wavefront6targetE1EEEvT1_,"axG",@progbits,_ZN7rocprim17ROCPRIM_400000_NS6detail17trampoline_kernelINS0_14default_configENS1_25partition_config_selectorILNS1_17partition_subalgoE8ElNS0_10empty_typeEbEEZZNS1_14partition_implILS5_8ELb0ES3_jPlPS6_PKS6_NS0_5tupleIJS9_S6_EEENSD_IJSA_SA_EEENS0_18inequality_wrapperIZN2at6native12_GLOBAL__N_124unique_dim_cuda_templateIaEESt5tupleIJNSH_6TensorESM_SM_EERKSM_lbbbEUlllE0_EEPmJS6_EEE10hipError_tPvRmT3_T4_T5_T6_T7_T9_mT8_P12ihipStream_tbDpT10_ENKUlT_T0_E_clISt17integral_constantIbLb0EES1B_IbLb1EEEEDaS17_S18_EUlS17_E_NS1_11comp_targetILNS1_3genE8ELNS1_11target_archE1030ELNS1_3gpuE2ELNS1_3repE0EEENS1_30default_config_static_selectorELNS0_4arch9wavefront6targetE1EEEvT1_,comdat
.Lfunc_end350:
	.size	_ZN7rocprim17ROCPRIM_400000_NS6detail17trampoline_kernelINS0_14default_configENS1_25partition_config_selectorILNS1_17partition_subalgoE8ElNS0_10empty_typeEbEEZZNS1_14partition_implILS5_8ELb0ES3_jPlPS6_PKS6_NS0_5tupleIJS9_S6_EEENSD_IJSA_SA_EEENS0_18inequality_wrapperIZN2at6native12_GLOBAL__N_124unique_dim_cuda_templateIaEESt5tupleIJNSH_6TensorESM_SM_EERKSM_lbbbEUlllE0_EEPmJS6_EEE10hipError_tPvRmT3_T4_T5_T6_T7_T9_mT8_P12ihipStream_tbDpT10_ENKUlT_T0_E_clISt17integral_constantIbLb0EES1B_IbLb1EEEEDaS17_S18_EUlS17_E_NS1_11comp_targetILNS1_3genE8ELNS1_11target_archE1030ELNS1_3gpuE2ELNS1_3repE0EEENS1_30default_config_static_selectorELNS0_4arch9wavefront6targetE1EEEvT1_, .Lfunc_end350-_ZN7rocprim17ROCPRIM_400000_NS6detail17trampoline_kernelINS0_14default_configENS1_25partition_config_selectorILNS1_17partition_subalgoE8ElNS0_10empty_typeEbEEZZNS1_14partition_implILS5_8ELb0ES3_jPlPS6_PKS6_NS0_5tupleIJS9_S6_EEENSD_IJSA_SA_EEENS0_18inequality_wrapperIZN2at6native12_GLOBAL__N_124unique_dim_cuda_templateIaEESt5tupleIJNSH_6TensorESM_SM_EERKSM_lbbbEUlllE0_EEPmJS6_EEE10hipError_tPvRmT3_T4_T5_T6_T7_T9_mT8_P12ihipStream_tbDpT10_ENKUlT_T0_E_clISt17integral_constantIbLb0EES1B_IbLb1EEEEDaS17_S18_EUlS17_E_NS1_11comp_targetILNS1_3genE8ELNS1_11target_archE1030ELNS1_3gpuE2ELNS1_3repE0EEENS1_30default_config_static_selectorELNS0_4arch9wavefront6targetE1EEEvT1_
                                        ; -- End function
	.section	.AMDGPU.csdata,"",@progbits
; Kernel info:
; codeLenInByte = 0
; NumSgprs: 4
; NumVgprs: 0
; NumAgprs: 0
; TotalNumVgprs: 0
; ScratchSize: 0
; MemoryBound: 0
; FloatMode: 240
; IeeeMode: 1
; LDSByteSize: 0 bytes/workgroup (compile time only)
; SGPRBlocks: 0
; VGPRBlocks: 0
; NumSGPRsForWavesPerEU: 4
; NumVGPRsForWavesPerEU: 1
; AccumOffset: 4
; Occupancy: 8
; WaveLimiterHint : 0
; COMPUTE_PGM_RSRC2:SCRATCH_EN: 0
; COMPUTE_PGM_RSRC2:USER_SGPR: 6
; COMPUTE_PGM_RSRC2:TRAP_HANDLER: 0
; COMPUTE_PGM_RSRC2:TGID_X_EN: 1
; COMPUTE_PGM_RSRC2:TGID_Y_EN: 0
; COMPUTE_PGM_RSRC2:TGID_Z_EN: 0
; COMPUTE_PGM_RSRC2:TIDIG_COMP_CNT: 0
; COMPUTE_PGM_RSRC3_GFX90A:ACCUM_OFFSET: 0
; COMPUTE_PGM_RSRC3_GFX90A:TG_SPLIT: 0
	.section	.text._ZN7rocprim17ROCPRIM_400000_NS6detail17trampoline_kernelINS0_14default_configENS1_25partition_config_selectorILNS1_17partition_subalgoE9EllbEEZZNS1_14partition_implILS5_9ELb0ES3_jPlS8_PNS0_10empty_typeENS0_5tupleIJS8_S9_EEENSB_IJS8_SA_EEENS0_18inequality_wrapperIZN2at6native12_GLOBAL__N_124unique_dim_cuda_templateIaEESt5tupleIJNSF_6TensorESK_SK_EERKSK_lbbbEUlllE0_EEPmJS9_EEE10hipError_tPvRmT3_T4_T5_T6_T7_T9_mT8_P12ihipStream_tbDpT10_ENKUlT_T0_E_clISt17integral_constantIbLb0EES1A_EEDaS15_S16_EUlS15_E_NS1_11comp_targetILNS1_3genE0ELNS1_11target_archE4294967295ELNS1_3gpuE0ELNS1_3repE0EEENS1_30default_config_static_selectorELNS0_4arch9wavefront6targetE1EEEvT1_,"axG",@progbits,_ZN7rocprim17ROCPRIM_400000_NS6detail17trampoline_kernelINS0_14default_configENS1_25partition_config_selectorILNS1_17partition_subalgoE9EllbEEZZNS1_14partition_implILS5_9ELb0ES3_jPlS8_PNS0_10empty_typeENS0_5tupleIJS8_S9_EEENSB_IJS8_SA_EEENS0_18inequality_wrapperIZN2at6native12_GLOBAL__N_124unique_dim_cuda_templateIaEESt5tupleIJNSF_6TensorESK_SK_EERKSK_lbbbEUlllE0_EEPmJS9_EEE10hipError_tPvRmT3_T4_T5_T6_T7_T9_mT8_P12ihipStream_tbDpT10_ENKUlT_T0_E_clISt17integral_constantIbLb0EES1A_EEDaS15_S16_EUlS15_E_NS1_11comp_targetILNS1_3genE0ELNS1_11target_archE4294967295ELNS1_3gpuE0ELNS1_3repE0EEENS1_30default_config_static_selectorELNS0_4arch9wavefront6targetE1EEEvT1_,comdat
	.globl	_ZN7rocprim17ROCPRIM_400000_NS6detail17trampoline_kernelINS0_14default_configENS1_25partition_config_selectorILNS1_17partition_subalgoE9EllbEEZZNS1_14partition_implILS5_9ELb0ES3_jPlS8_PNS0_10empty_typeENS0_5tupleIJS8_S9_EEENSB_IJS8_SA_EEENS0_18inequality_wrapperIZN2at6native12_GLOBAL__N_124unique_dim_cuda_templateIaEESt5tupleIJNSF_6TensorESK_SK_EERKSK_lbbbEUlllE0_EEPmJS9_EEE10hipError_tPvRmT3_T4_T5_T6_T7_T9_mT8_P12ihipStream_tbDpT10_ENKUlT_T0_E_clISt17integral_constantIbLb0EES1A_EEDaS15_S16_EUlS15_E_NS1_11comp_targetILNS1_3genE0ELNS1_11target_archE4294967295ELNS1_3gpuE0ELNS1_3repE0EEENS1_30default_config_static_selectorELNS0_4arch9wavefront6targetE1EEEvT1_ ; -- Begin function _ZN7rocprim17ROCPRIM_400000_NS6detail17trampoline_kernelINS0_14default_configENS1_25partition_config_selectorILNS1_17partition_subalgoE9EllbEEZZNS1_14partition_implILS5_9ELb0ES3_jPlS8_PNS0_10empty_typeENS0_5tupleIJS8_S9_EEENSB_IJS8_SA_EEENS0_18inequality_wrapperIZN2at6native12_GLOBAL__N_124unique_dim_cuda_templateIaEESt5tupleIJNSF_6TensorESK_SK_EERKSK_lbbbEUlllE0_EEPmJS9_EEE10hipError_tPvRmT3_T4_T5_T6_T7_T9_mT8_P12ihipStream_tbDpT10_ENKUlT_T0_E_clISt17integral_constantIbLb0EES1A_EEDaS15_S16_EUlS15_E_NS1_11comp_targetILNS1_3genE0ELNS1_11target_archE4294967295ELNS1_3gpuE0ELNS1_3repE0EEENS1_30default_config_static_selectorELNS0_4arch9wavefront6targetE1EEEvT1_
	.p2align	8
	.type	_ZN7rocprim17ROCPRIM_400000_NS6detail17trampoline_kernelINS0_14default_configENS1_25partition_config_selectorILNS1_17partition_subalgoE9EllbEEZZNS1_14partition_implILS5_9ELb0ES3_jPlS8_PNS0_10empty_typeENS0_5tupleIJS8_S9_EEENSB_IJS8_SA_EEENS0_18inequality_wrapperIZN2at6native12_GLOBAL__N_124unique_dim_cuda_templateIaEESt5tupleIJNSF_6TensorESK_SK_EERKSK_lbbbEUlllE0_EEPmJS9_EEE10hipError_tPvRmT3_T4_T5_T6_T7_T9_mT8_P12ihipStream_tbDpT10_ENKUlT_T0_E_clISt17integral_constantIbLb0EES1A_EEDaS15_S16_EUlS15_E_NS1_11comp_targetILNS1_3genE0ELNS1_11target_archE4294967295ELNS1_3gpuE0ELNS1_3repE0EEENS1_30default_config_static_selectorELNS0_4arch9wavefront6targetE1EEEvT1_,@function
_ZN7rocprim17ROCPRIM_400000_NS6detail17trampoline_kernelINS0_14default_configENS1_25partition_config_selectorILNS1_17partition_subalgoE9EllbEEZZNS1_14partition_implILS5_9ELb0ES3_jPlS8_PNS0_10empty_typeENS0_5tupleIJS8_S9_EEENSB_IJS8_SA_EEENS0_18inequality_wrapperIZN2at6native12_GLOBAL__N_124unique_dim_cuda_templateIaEESt5tupleIJNSF_6TensorESK_SK_EERKSK_lbbbEUlllE0_EEPmJS9_EEE10hipError_tPvRmT3_T4_T5_T6_T7_T9_mT8_P12ihipStream_tbDpT10_ENKUlT_T0_E_clISt17integral_constantIbLb0EES1A_EEDaS15_S16_EUlS15_E_NS1_11comp_targetILNS1_3genE0ELNS1_11target_archE4294967295ELNS1_3gpuE0ELNS1_3repE0EEENS1_30default_config_static_selectorELNS0_4arch9wavefront6targetE1EEEvT1_: ; @_ZN7rocprim17ROCPRIM_400000_NS6detail17trampoline_kernelINS0_14default_configENS1_25partition_config_selectorILNS1_17partition_subalgoE9EllbEEZZNS1_14partition_implILS5_9ELb0ES3_jPlS8_PNS0_10empty_typeENS0_5tupleIJS8_S9_EEENSB_IJS8_SA_EEENS0_18inequality_wrapperIZN2at6native12_GLOBAL__N_124unique_dim_cuda_templateIaEESt5tupleIJNSF_6TensorESK_SK_EERKSK_lbbbEUlllE0_EEPmJS9_EEE10hipError_tPvRmT3_T4_T5_T6_T7_T9_mT8_P12ihipStream_tbDpT10_ENKUlT_T0_E_clISt17integral_constantIbLb0EES1A_EEDaS15_S16_EUlS15_E_NS1_11comp_targetILNS1_3genE0ELNS1_11target_archE4294967295ELNS1_3gpuE0ELNS1_3repE0EEENS1_30default_config_static_selectorELNS0_4arch9wavefront6targetE1EEEvT1_
; %bb.0:
	.section	.rodata,"a",@progbits
	.p2align	6, 0x0
	.amdhsa_kernel _ZN7rocprim17ROCPRIM_400000_NS6detail17trampoline_kernelINS0_14default_configENS1_25partition_config_selectorILNS1_17partition_subalgoE9EllbEEZZNS1_14partition_implILS5_9ELb0ES3_jPlS8_PNS0_10empty_typeENS0_5tupleIJS8_S9_EEENSB_IJS8_SA_EEENS0_18inequality_wrapperIZN2at6native12_GLOBAL__N_124unique_dim_cuda_templateIaEESt5tupleIJNSF_6TensorESK_SK_EERKSK_lbbbEUlllE0_EEPmJS9_EEE10hipError_tPvRmT3_T4_T5_T6_T7_T9_mT8_P12ihipStream_tbDpT10_ENKUlT_T0_E_clISt17integral_constantIbLb0EES1A_EEDaS15_S16_EUlS15_E_NS1_11comp_targetILNS1_3genE0ELNS1_11target_archE4294967295ELNS1_3gpuE0ELNS1_3repE0EEENS1_30default_config_static_selectorELNS0_4arch9wavefront6targetE1EEEvT1_
		.amdhsa_group_segment_fixed_size 0
		.amdhsa_private_segment_fixed_size 0
		.amdhsa_kernarg_size 120
		.amdhsa_user_sgpr_count 6
		.amdhsa_user_sgpr_private_segment_buffer 1
		.amdhsa_user_sgpr_dispatch_ptr 0
		.amdhsa_user_sgpr_queue_ptr 0
		.amdhsa_user_sgpr_kernarg_segment_ptr 1
		.amdhsa_user_sgpr_dispatch_id 0
		.amdhsa_user_sgpr_flat_scratch_init 0
		.amdhsa_user_sgpr_kernarg_preload_length 0
		.amdhsa_user_sgpr_kernarg_preload_offset 0
		.amdhsa_user_sgpr_private_segment_size 0
		.amdhsa_uses_dynamic_stack 0
		.amdhsa_system_sgpr_private_segment_wavefront_offset 0
		.amdhsa_system_sgpr_workgroup_id_x 1
		.amdhsa_system_sgpr_workgroup_id_y 0
		.amdhsa_system_sgpr_workgroup_id_z 0
		.amdhsa_system_sgpr_workgroup_info 0
		.amdhsa_system_vgpr_workitem_id 0
		.amdhsa_next_free_vgpr 1
		.amdhsa_next_free_sgpr 0
		.amdhsa_accum_offset 4
		.amdhsa_reserve_vcc 0
		.amdhsa_reserve_flat_scratch 0
		.amdhsa_float_round_mode_32 0
		.amdhsa_float_round_mode_16_64 0
		.amdhsa_float_denorm_mode_32 3
		.amdhsa_float_denorm_mode_16_64 3
		.amdhsa_dx10_clamp 1
		.amdhsa_ieee_mode 1
		.amdhsa_fp16_overflow 0
		.amdhsa_tg_split 0
		.amdhsa_exception_fp_ieee_invalid_op 0
		.amdhsa_exception_fp_denorm_src 0
		.amdhsa_exception_fp_ieee_div_zero 0
		.amdhsa_exception_fp_ieee_overflow 0
		.amdhsa_exception_fp_ieee_underflow 0
		.amdhsa_exception_fp_ieee_inexact 0
		.amdhsa_exception_int_div_zero 0
	.end_amdhsa_kernel
	.section	.text._ZN7rocprim17ROCPRIM_400000_NS6detail17trampoline_kernelINS0_14default_configENS1_25partition_config_selectorILNS1_17partition_subalgoE9EllbEEZZNS1_14partition_implILS5_9ELb0ES3_jPlS8_PNS0_10empty_typeENS0_5tupleIJS8_S9_EEENSB_IJS8_SA_EEENS0_18inequality_wrapperIZN2at6native12_GLOBAL__N_124unique_dim_cuda_templateIaEESt5tupleIJNSF_6TensorESK_SK_EERKSK_lbbbEUlllE0_EEPmJS9_EEE10hipError_tPvRmT3_T4_T5_T6_T7_T9_mT8_P12ihipStream_tbDpT10_ENKUlT_T0_E_clISt17integral_constantIbLb0EES1A_EEDaS15_S16_EUlS15_E_NS1_11comp_targetILNS1_3genE0ELNS1_11target_archE4294967295ELNS1_3gpuE0ELNS1_3repE0EEENS1_30default_config_static_selectorELNS0_4arch9wavefront6targetE1EEEvT1_,"axG",@progbits,_ZN7rocprim17ROCPRIM_400000_NS6detail17trampoline_kernelINS0_14default_configENS1_25partition_config_selectorILNS1_17partition_subalgoE9EllbEEZZNS1_14partition_implILS5_9ELb0ES3_jPlS8_PNS0_10empty_typeENS0_5tupleIJS8_S9_EEENSB_IJS8_SA_EEENS0_18inequality_wrapperIZN2at6native12_GLOBAL__N_124unique_dim_cuda_templateIaEESt5tupleIJNSF_6TensorESK_SK_EERKSK_lbbbEUlllE0_EEPmJS9_EEE10hipError_tPvRmT3_T4_T5_T6_T7_T9_mT8_P12ihipStream_tbDpT10_ENKUlT_T0_E_clISt17integral_constantIbLb0EES1A_EEDaS15_S16_EUlS15_E_NS1_11comp_targetILNS1_3genE0ELNS1_11target_archE4294967295ELNS1_3gpuE0ELNS1_3repE0EEENS1_30default_config_static_selectorELNS0_4arch9wavefront6targetE1EEEvT1_,comdat
.Lfunc_end351:
	.size	_ZN7rocprim17ROCPRIM_400000_NS6detail17trampoline_kernelINS0_14default_configENS1_25partition_config_selectorILNS1_17partition_subalgoE9EllbEEZZNS1_14partition_implILS5_9ELb0ES3_jPlS8_PNS0_10empty_typeENS0_5tupleIJS8_S9_EEENSB_IJS8_SA_EEENS0_18inequality_wrapperIZN2at6native12_GLOBAL__N_124unique_dim_cuda_templateIaEESt5tupleIJNSF_6TensorESK_SK_EERKSK_lbbbEUlllE0_EEPmJS9_EEE10hipError_tPvRmT3_T4_T5_T6_T7_T9_mT8_P12ihipStream_tbDpT10_ENKUlT_T0_E_clISt17integral_constantIbLb0EES1A_EEDaS15_S16_EUlS15_E_NS1_11comp_targetILNS1_3genE0ELNS1_11target_archE4294967295ELNS1_3gpuE0ELNS1_3repE0EEENS1_30default_config_static_selectorELNS0_4arch9wavefront6targetE1EEEvT1_, .Lfunc_end351-_ZN7rocprim17ROCPRIM_400000_NS6detail17trampoline_kernelINS0_14default_configENS1_25partition_config_selectorILNS1_17partition_subalgoE9EllbEEZZNS1_14partition_implILS5_9ELb0ES3_jPlS8_PNS0_10empty_typeENS0_5tupleIJS8_S9_EEENSB_IJS8_SA_EEENS0_18inequality_wrapperIZN2at6native12_GLOBAL__N_124unique_dim_cuda_templateIaEESt5tupleIJNSF_6TensorESK_SK_EERKSK_lbbbEUlllE0_EEPmJS9_EEE10hipError_tPvRmT3_T4_T5_T6_T7_T9_mT8_P12ihipStream_tbDpT10_ENKUlT_T0_E_clISt17integral_constantIbLb0EES1A_EEDaS15_S16_EUlS15_E_NS1_11comp_targetILNS1_3genE0ELNS1_11target_archE4294967295ELNS1_3gpuE0ELNS1_3repE0EEENS1_30default_config_static_selectorELNS0_4arch9wavefront6targetE1EEEvT1_
                                        ; -- End function
	.section	.AMDGPU.csdata,"",@progbits
; Kernel info:
; codeLenInByte = 0
; NumSgprs: 4
; NumVgprs: 0
; NumAgprs: 0
; TotalNumVgprs: 0
; ScratchSize: 0
; MemoryBound: 0
; FloatMode: 240
; IeeeMode: 1
; LDSByteSize: 0 bytes/workgroup (compile time only)
; SGPRBlocks: 0
; VGPRBlocks: 0
; NumSGPRsForWavesPerEU: 4
; NumVGPRsForWavesPerEU: 1
; AccumOffset: 4
; Occupancy: 8
; WaveLimiterHint : 0
; COMPUTE_PGM_RSRC2:SCRATCH_EN: 0
; COMPUTE_PGM_RSRC2:USER_SGPR: 6
; COMPUTE_PGM_RSRC2:TRAP_HANDLER: 0
; COMPUTE_PGM_RSRC2:TGID_X_EN: 1
; COMPUTE_PGM_RSRC2:TGID_Y_EN: 0
; COMPUTE_PGM_RSRC2:TGID_Z_EN: 0
; COMPUTE_PGM_RSRC2:TIDIG_COMP_CNT: 0
; COMPUTE_PGM_RSRC3_GFX90A:ACCUM_OFFSET: 0
; COMPUTE_PGM_RSRC3_GFX90A:TG_SPLIT: 0
	.section	.text._ZN7rocprim17ROCPRIM_400000_NS6detail17trampoline_kernelINS0_14default_configENS1_25partition_config_selectorILNS1_17partition_subalgoE9EllbEEZZNS1_14partition_implILS5_9ELb0ES3_jPlS8_PNS0_10empty_typeENS0_5tupleIJS8_S9_EEENSB_IJS8_SA_EEENS0_18inequality_wrapperIZN2at6native12_GLOBAL__N_124unique_dim_cuda_templateIaEESt5tupleIJNSF_6TensorESK_SK_EERKSK_lbbbEUlllE0_EEPmJS9_EEE10hipError_tPvRmT3_T4_T5_T6_T7_T9_mT8_P12ihipStream_tbDpT10_ENKUlT_T0_E_clISt17integral_constantIbLb0EES1A_EEDaS15_S16_EUlS15_E_NS1_11comp_targetILNS1_3genE5ELNS1_11target_archE942ELNS1_3gpuE9ELNS1_3repE0EEENS1_30default_config_static_selectorELNS0_4arch9wavefront6targetE1EEEvT1_,"axG",@progbits,_ZN7rocprim17ROCPRIM_400000_NS6detail17trampoline_kernelINS0_14default_configENS1_25partition_config_selectorILNS1_17partition_subalgoE9EllbEEZZNS1_14partition_implILS5_9ELb0ES3_jPlS8_PNS0_10empty_typeENS0_5tupleIJS8_S9_EEENSB_IJS8_SA_EEENS0_18inequality_wrapperIZN2at6native12_GLOBAL__N_124unique_dim_cuda_templateIaEESt5tupleIJNSF_6TensorESK_SK_EERKSK_lbbbEUlllE0_EEPmJS9_EEE10hipError_tPvRmT3_T4_T5_T6_T7_T9_mT8_P12ihipStream_tbDpT10_ENKUlT_T0_E_clISt17integral_constantIbLb0EES1A_EEDaS15_S16_EUlS15_E_NS1_11comp_targetILNS1_3genE5ELNS1_11target_archE942ELNS1_3gpuE9ELNS1_3repE0EEENS1_30default_config_static_selectorELNS0_4arch9wavefront6targetE1EEEvT1_,comdat
	.globl	_ZN7rocprim17ROCPRIM_400000_NS6detail17trampoline_kernelINS0_14default_configENS1_25partition_config_selectorILNS1_17partition_subalgoE9EllbEEZZNS1_14partition_implILS5_9ELb0ES3_jPlS8_PNS0_10empty_typeENS0_5tupleIJS8_S9_EEENSB_IJS8_SA_EEENS0_18inequality_wrapperIZN2at6native12_GLOBAL__N_124unique_dim_cuda_templateIaEESt5tupleIJNSF_6TensorESK_SK_EERKSK_lbbbEUlllE0_EEPmJS9_EEE10hipError_tPvRmT3_T4_T5_T6_T7_T9_mT8_P12ihipStream_tbDpT10_ENKUlT_T0_E_clISt17integral_constantIbLb0EES1A_EEDaS15_S16_EUlS15_E_NS1_11comp_targetILNS1_3genE5ELNS1_11target_archE942ELNS1_3gpuE9ELNS1_3repE0EEENS1_30default_config_static_selectorELNS0_4arch9wavefront6targetE1EEEvT1_ ; -- Begin function _ZN7rocprim17ROCPRIM_400000_NS6detail17trampoline_kernelINS0_14default_configENS1_25partition_config_selectorILNS1_17partition_subalgoE9EllbEEZZNS1_14partition_implILS5_9ELb0ES3_jPlS8_PNS0_10empty_typeENS0_5tupleIJS8_S9_EEENSB_IJS8_SA_EEENS0_18inequality_wrapperIZN2at6native12_GLOBAL__N_124unique_dim_cuda_templateIaEESt5tupleIJNSF_6TensorESK_SK_EERKSK_lbbbEUlllE0_EEPmJS9_EEE10hipError_tPvRmT3_T4_T5_T6_T7_T9_mT8_P12ihipStream_tbDpT10_ENKUlT_T0_E_clISt17integral_constantIbLb0EES1A_EEDaS15_S16_EUlS15_E_NS1_11comp_targetILNS1_3genE5ELNS1_11target_archE942ELNS1_3gpuE9ELNS1_3repE0EEENS1_30default_config_static_selectorELNS0_4arch9wavefront6targetE1EEEvT1_
	.p2align	8
	.type	_ZN7rocprim17ROCPRIM_400000_NS6detail17trampoline_kernelINS0_14default_configENS1_25partition_config_selectorILNS1_17partition_subalgoE9EllbEEZZNS1_14partition_implILS5_9ELb0ES3_jPlS8_PNS0_10empty_typeENS0_5tupleIJS8_S9_EEENSB_IJS8_SA_EEENS0_18inequality_wrapperIZN2at6native12_GLOBAL__N_124unique_dim_cuda_templateIaEESt5tupleIJNSF_6TensorESK_SK_EERKSK_lbbbEUlllE0_EEPmJS9_EEE10hipError_tPvRmT3_T4_T5_T6_T7_T9_mT8_P12ihipStream_tbDpT10_ENKUlT_T0_E_clISt17integral_constantIbLb0EES1A_EEDaS15_S16_EUlS15_E_NS1_11comp_targetILNS1_3genE5ELNS1_11target_archE942ELNS1_3gpuE9ELNS1_3repE0EEENS1_30default_config_static_selectorELNS0_4arch9wavefront6targetE1EEEvT1_,@function
_ZN7rocprim17ROCPRIM_400000_NS6detail17trampoline_kernelINS0_14default_configENS1_25partition_config_selectorILNS1_17partition_subalgoE9EllbEEZZNS1_14partition_implILS5_9ELb0ES3_jPlS8_PNS0_10empty_typeENS0_5tupleIJS8_S9_EEENSB_IJS8_SA_EEENS0_18inequality_wrapperIZN2at6native12_GLOBAL__N_124unique_dim_cuda_templateIaEESt5tupleIJNSF_6TensorESK_SK_EERKSK_lbbbEUlllE0_EEPmJS9_EEE10hipError_tPvRmT3_T4_T5_T6_T7_T9_mT8_P12ihipStream_tbDpT10_ENKUlT_T0_E_clISt17integral_constantIbLb0EES1A_EEDaS15_S16_EUlS15_E_NS1_11comp_targetILNS1_3genE5ELNS1_11target_archE942ELNS1_3gpuE9ELNS1_3repE0EEENS1_30default_config_static_selectorELNS0_4arch9wavefront6targetE1EEEvT1_: ; @_ZN7rocprim17ROCPRIM_400000_NS6detail17trampoline_kernelINS0_14default_configENS1_25partition_config_selectorILNS1_17partition_subalgoE9EllbEEZZNS1_14partition_implILS5_9ELb0ES3_jPlS8_PNS0_10empty_typeENS0_5tupleIJS8_S9_EEENSB_IJS8_SA_EEENS0_18inequality_wrapperIZN2at6native12_GLOBAL__N_124unique_dim_cuda_templateIaEESt5tupleIJNSF_6TensorESK_SK_EERKSK_lbbbEUlllE0_EEPmJS9_EEE10hipError_tPvRmT3_T4_T5_T6_T7_T9_mT8_P12ihipStream_tbDpT10_ENKUlT_T0_E_clISt17integral_constantIbLb0EES1A_EEDaS15_S16_EUlS15_E_NS1_11comp_targetILNS1_3genE5ELNS1_11target_archE942ELNS1_3gpuE9ELNS1_3repE0EEENS1_30default_config_static_selectorELNS0_4arch9wavefront6targetE1EEEvT1_
; %bb.0:
	.section	.rodata,"a",@progbits
	.p2align	6, 0x0
	.amdhsa_kernel _ZN7rocprim17ROCPRIM_400000_NS6detail17trampoline_kernelINS0_14default_configENS1_25partition_config_selectorILNS1_17partition_subalgoE9EllbEEZZNS1_14partition_implILS5_9ELb0ES3_jPlS8_PNS0_10empty_typeENS0_5tupleIJS8_S9_EEENSB_IJS8_SA_EEENS0_18inequality_wrapperIZN2at6native12_GLOBAL__N_124unique_dim_cuda_templateIaEESt5tupleIJNSF_6TensorESK_SK_EERKSK_lbbbEUlllE0_EEPmJS9_EEE10hipError_tPvRmT3_T4_T5_T6_T7_T9_mT8_P12ihipStream_tbDpT10_ENKUlT_T0_E_clISt17integral_constantIbLb0EES1A_EEDaS15_S16_EUlS15_E_NS1_11comp_targetILNS1_3genE5ELNS1_11target_archE942ELNS1_3gpuE9ELNS1_3repE0EEENS1_30default_config_static_selectorELNS0_4arch9wavefront6targetE1EEEvT1_
		.amdhsa_group_segment_fixed_size 0
		.amdhsa_private_segment_fixed_size 0
		.amdhsa_kernarg_size 120
		.amdhsa_user_sgpr_count 6
		.amdhsa_user_sgpr_private_segment_buffer 1
		.amdhsa_user_sgpr_dispatch_ptr 0
		.amdhsa_user_sgpr_queue_ptr 0
		.amdhsa_user_sgpr_kernarg_segment_ptr 1
		.amdhsa_user_sgpr_dispatch_id 0
		.amdhsa_user_sgpr_flat_scratch_init 0
		.amdhsa_user_sgpr_kernarg_preload_length 0
		.amdhsa_user_sgpr_kernarg_preload_offset 0
		.amdhsa_user_sgpr_private_segment_size 0
		.amdhsa_uses_dynamic_stack 0
		.amdhsa_system_sgpr_private_segment_wavefront_offset 0
		.amdhsa_system_sgpr_workgroup_id_x 1
		.amdhsa_system_sgpr_workgroup_id_y 0
		.amdhsa_system_sgpr_workgroup_id_z 0
		.amdhsa_system_sgpr_workgroup_info 0
		.amdhsa_system_vgpr_workitem_id 0
		.amdhsa_next_free_vgpr 1
		.amdhsa_next_free_sgpr 0
		.amdhsa_accum_offset 4
		.amdhsa_reserve_vcc 0
		.amdhsa_reserve_flat_scratch 0
		.amdhsa_float_round_mode_32 0
		.amdhsa_float_round_mode_16_64 0
		.amdhsa_float_denorm_mode_32 3
		.amdhsa_float_denorm_mode_16_64 3
		.amdhsa_dx10_clamp 1
		.amdhsa_ieee_mode 1
		.amdhsa_fp16_overflow 0
		.amdhsa_tg_split 0
		.amdhsa_exception_fp_ieee_invalid_op 0
		.amdhsa_exception_fp_denorm_src 0
		.amdhsa_exception_fp_ieee_div_zero 0
		.amdhsa_exception_fp_ieee_overflow 0
		.amdhsa_exception_fp_ieee_underflow 0
		.amdhsa_exception_fp_ieee_inexact 0
		.amdhsa_exception_int_div_zero 0
	.end_amdhsa_kernel
	.section	.text._ZN7rocprim17ROCPRIM_400000_NS6detail17trampoline_kernelINS0_14default_configENS1_25partition_config_selectorILNS1_17partition_subalgoE9EllbEEZZNS1_14partition_implILS5_9ELb0ES3_jPlS8_PNS0_10empty_typeENS0_5tupleIJS8_S9_EEENSB_IJS8_SA_EEENS0_18inequality_wrapperIZN2at6native12_GLOBAL__N_124unique_dim_cuda_templateIaEESt5tupleIJNSF_6TensorESK_SK_EERKSK_lbbbEUlllE0_EEPmJS9_EEE10hipError_tPvRmT3_T4_T5_T6_T7_T9_mT8_P12ihipStream_tbDpT10_ENKUlT_T0_E_clISt17integral_constantIbLb0EES1A_EEDaS15_S16_EUlS15_E_NS1_11comp_targetILNS1_3genE5ELNS1_11target_archE942ELNS1_3gpuE9ELNS1_3repE0EEENS1_30default_config_static_selectorELNS0_4arch9wavefront6targetE1EEEvT1_,"axG",@progbits,_ZN7rocprim17ROCPRIM_400000_NS6detail17trampoline_kernelINS0_14default_configENS1_25partition_config_selectorILNS1_17partition_subalgoE9EllbEEZZNS1_14partition_implILS5_9ELb0ES3_jPlS8_PNS0_10empty_typeENS0_5tupleIJS8_S9_EEENSB_IJS8_SA_EEENS0_18inequality_wrapperIZN2at6native12_GLOBAL__N_124unique_dim_cuda_templateIaEESt5tupleIJNSF_6TensorESK_SK_EERKSK_lbbbEUlllE0_EEPmJS9_EEE10hipError_tPvRmT3_T4_T5_T6_T7_T9_mT8_P12ihipStream_tbDpT10_ENKUlT_T0_E_clISt17integral_constantIbLb0EES1A_EEDaS15_S16_EUlS15_E_NS1_11comp_targetILNS1_3genE5ELNS1_11target_archE942ELNS1_3gpuE9ELNS1_3repE0EEENS1_30default_config_static_selectorELNS0_4arch9wavefront6targetE1EEEvT1_,comdat
.Lfunc_end352:
	.size	_ZN7rocprim17ROCPRIM_400000_NS6detail17trampoline_kernelINS0_14default_configENS1_25partition_config_selectorILNS1_17partition_subalgoE9EllbEEZZNS1_14partition_implILS5_9ELb0ES3_jPlS8_PNS0_10empty_typeENS0_5tupleIJS8_S9_EEENSB_IJS8_SA_EEENS0_18inequality_wrapperIZN2at6native12_GLOBAL__N_124unique_dim_cuda_templateIaEESt5tupleIJNSF_6TensorESK_SK_EERKSK_lbbbEUlllE0_EEPmJS9_EEE10hipError_tPvRmT3_T4_T5_T6_T7_T9_mT8_P12ihipStream_tbDpT10_ENKUlT_T0_E_clISt17integral_constantIbLb0EES1A_EEDaS15_S16_EUlS15_E_NS1_11comp_targetILNS1_3genE5ELNS1_11target_archE942ELNS1_3gpuE9ELNS1_3repE0EEENS1_30default_config_static_selectorELNS0_4arch9wavefront6targetE1EEEvT1_, .Lfunc_end352-_ZN7rocprim17ROCPRIM_400000_NS6detail17trampoline_kernelINS0_14default_configENS1_25partition_config_selectorILNS1_17partition_subalgoE9EllbEEZZNS1_14partition_implILS5_9ELb0ES3_jPlS8_PNS0_10empty_typeENS0_5tupleIJS8_S9_EEENSB_IJS8_SA_EEENS0_18inequality_wrapperIZN2at6native12_GLOBAL__N_124unique_dim_cuda_templateIaEESt5tupleIJNSF_6TensorESK_SK_EERKSK_lbbbEUlllE0_EEPmJS9_EEE10hipError_tPvRmT3_T4_T5_T6_T7_T9_mT8_P12ihipStream_tbDpT10_ENKUlT_T0_E_clISt17integral_constantIbLb0EES1A_EEDaS15_S16_EUlS15_E_NS1_11comp_targetILNS1_3genE5ELNS1_11target_archE942ELNS1_3gpuE9ELNS1_3repE0EEENS1_30default_config_static_selectorELNS0_4arch9wavefront6targetE1EEEvT1_
                                        ; -- End function
	.section	.AMDGPU.csdata,"",@progbits
; Kernel info:
; codeLenInByte = 0
; NumSgprs: 4
; NumVgprs: 0
; NumAgprs: 0
; TotalNumVgprs: 0
; ScratchSize: 0
; MemoryBound: 0
; FloatMode: 240
; IeeeMode: 1
; LDSByteSize: 0 bytes/workgroup (compile time only)
; SGPRBlocks: 0
; VGPRBlocks: 0
; NumSGPRsForWavesPerEU: 4
; NumVGPRsForWavesPerEU: 1
; AccumOffset: 4
; Occupancy: 8
; WaveLimiterHint : 0
; COMPUTE_PGM_RSRC2:SCRATCH_EN: 0
; COMPUTE_PGM_RSRC2:USER_SGPR: 6
; COMPUTE_PGM_RSRC2:TRAP_HANDLER: 0
; COMPUTE_PGM_RSRC2:TGID_X_EN: 1
; COMPUTE_PGM_RSRC2:TGID_Y_EN: 0
; COMPUTE_PGM_RSRC2:TGID_Z_EN: 0
; COMPUTE_PGM_RSRC2:TIDIG_COMP_CNT: 0
; COMPUTE_PGM_RSRC3_GFX90A:ACCUM_OFFSET: 0
; COMPUTE_PGM_RSRC3_GFX90A:TG_SPLIT: 0
	.section	.text._ZN7rocprim17ROCPRIM_400000_NS6detail17trampoline_kernelINS0_14default_configENS1_25partition_config_selectorILNS1_17partition_subalgoE9EllbEEZZNS1_14partition_implILS5_9ELb0ES3_jPlS8_PNS0_10empty_typeENS0_5tupleIJS8_S9_EEENSB_IJS8_SA_EEENS0_18inequality_wrapperIZN2at6native12_GLOBAL__N_124unique_dim_cuda_templateIaEESt5tupleIJNSF_6TensorESK_SK_EERKSK_lbbbEUlllE0_EEPmJS9_EEE10hipError_tPvRmT3_T4_T5_T6_T7_T9_mT8_P12ihipStream_tbDpT10_ENKUlT_T0_E_clISt17integral_constantIbLb0EES1A_EEDaS15_S16_EUlS15_E_NS1_11comp_targetILNS1_3genE4ELNS1_11target_archE910ELNS1_3gpuE8ELNS1_3repE0EEENS1_30default_config_static_selectorELNS0_4arch9wavefront6targetE1EEEvT1_,"axG",@progbits,_ZN7rocprim17ROCPRIM_400000_NS6detail17trampoline_kernelINS0_14default_configENS1_25partition_config_selectorILNS1_17partition_subalgoE9EllbEEZZNS1_14partition_implILS5_9ELb0ES3_jPlS8_PNS0_10empty_typeENS0_5tupleIJS8_S9_EEENSB_IJS8_SA_EEENS0_18inequality_wrapperIZN2at6native12_GLOBAL__N_124unique_dim_cuda_templateIaEESt5tupleIJNSF_6TensorESK_SK_EERKSK_lbbbEUlllE0_EEPmJS9_EEE10hipError_tPvRmT3_T4_T5_T6_T7_T9_mT8_P12ihipStream_tbDpT10_ENKUlT_T0_E_clISt17integral_constantIbLb0EES1A_EEDaS15_S16_EUlS15_E_NS1_11comp_targetILNS1_3genE4ELNS1_11target_archE910ELNS1_3gpuE8ELNS1_3repE0EEENS1_30default_config_static_selectorELNS0_4arch9wavefront6targetE1EEEvT1_,comdat
	.globl	_ZN7rocprim17ROCPRIM_400000_NS6detail17trampoline_kernelINS0_14default_configENS1_25partition_config_selectorILNS1_17partition_subalgoE9EllbEEZZNS1_14partition_implILS5_9ELb0ES3_jPlS8_PNS0_10empty_typeENS0_5tupleIJS8_S9_EEENSB_IJS8_SA_EEENS0_18inequality_wrapperIZN2at6native12_GLOBAL__N_124unique_dim_cuda_templateIaEESt5tupleIJNSF_6TensorESK_SK_EERKSK_lbbbEUlllE0_EEPmJS9_EEE10hipError_tPvRmT3_T4_T5_T6_T7_T9_mT8_P12ihipStream_tbDpT10_ENKUlT_T0_E_clISt17integral_constantIbLb0EES1A_EEDaS15_S16_EUlS15_E_NS1_11comp_targetILNS1_3genE4ELNS1_11target_archE910ELNS1_3gpuE8ELNS1_3repE0EEENS1_30default_config_static_selectorELNS0_4arch9wavefront6targetE1EEEvT1_ ; -- Begin function _ZN7rocprim17ROCPRIM_400000_NS6detail17trampoline_kernelINS0_14default_configENS1_25partition_config_selectorILNS1_17partition_subalgoE9EllbEEZZNS1_14partition_implILS5_9ELb0ES3_jPlS8_PNS0_10empty_typeENS0_5tupleIJS8_S9_EEENSB_IJS8_SA_EEENS0_18inequality_wrapperIZN2at6native12_GLOBAL__N_124unique_dim_cuda_templateIaEESt5tupleIJNSF_6TensorESK_SK_EERKSK_lbbbEUlllE0_EEPmJS9_EEE10hipError_tPvRmT3_T4_T5_T6_T7_T9_mT8_P12ihipStream_tbDpT10_ENKUlT_T0_E_clISt17integral_constantIbLb0EES1A_EEDaS15_S16_EUlS15_E_NS1_11comp_targetILNS1_3genE4ELNS1_11target_archE910ELNS1_3gpuE8ELNS1_3repE0EEENS1_30default_config_static_selectorELNS0_4arch9wavefront6targetE1EEEvT1_
	.p2align	8
	.type	_ZN7rocprim17ROCPRIM_400000_NS6detail17trampoline_kernelINS0_14default_configENS1_25partition_config_selectorILNS1_17partition_subalgoE9EllbEEZZNS1_14partition_implILS5_9ELb0ES3_jPlS8_PNS0_10empty_typeENS0_5tupleIJS8_S9_EEENSB_IJS8_SA_EEENS0_18inequality_wrapperIZN2at6native12_GLOBAL__N_124unique_dim_cuda_templateIaEESt5tupleIJNSF_6TensorESK_SK_EERKSK_lbbbEUlllE0_EEPmJS9_EEE10hipError_tPvRmT3_T4_T5_T6_T7_T9_mT8_P12ihipStream_tbDpT10_ENKUlT_T0_E_clISt17integral_constantIbLb0EES1A_EEDaS15_S16_EUlS15_E_NS1_11comp_targetILNS1_3genE4ELNS1_11target_archE910ELNS1_3gpuE8ELNS1_3repE0EEENS1_30default_config_static_selectorELNS0_4arch9wavefront6targetE1EEEvT1_,@function
_ZN7rocprim17ROCPRIM_400000_NS6detail17trampoline_kernelINS0_14default_configENS1_25partition_config_selectorILNS1_17partition_subalgoE9EllbEEZZNS1_14partition_implILS5_9ELb0ES3_jPlS8_PNS0_10empty_typeENS0_5tupleIJS8_S9_EEENSB_IJS8_SA_EEENS0_18inequality_wrapperIZN2at6native12_GLOBAL__N_124unique_dim_cuda_templateIaEESt5tupleIJNSF_6TensorESK_SK_EERKSK_lbbbEUlllE0_EEPmJS9_EEE10hipError_tPvRmT3_T4_T5_T6_T7_T9_mT8_P12ihipStream_tbDpT10_ENKUlT_T0_E_clISt17integral_constantIbLb0EES1A_EEDaS15_S16_EUlS15_E_NS1_11comp_targetILNS1_3genE4ELNS1_11target_archE910ELNS1_3gpuE8ELNS1_3repE0EEENS1_30default_config_static_selectorELNS0_4arch9wavefront6targetE1EEEvT1_: ; @_ZN7rocprim17ROCPRIM_400000_NS6detail17trampoline_kernelINS0_14default_configENS1_25partition_config_selectorILNS1_17partition_subalgoE9EllbEEZZNS1_14partition_implILS5_9ELb0ES3_jPlS8_PNS0_10empty_typeENS0_5tupleIJS8_S9_EEENSB_IJS8_SA_EEENS0_18inequality_wrapperIZN2at6native12_GLOBAL__N_124unique_dim_cuda_templateIaEESt5tupleIJNSF_6TensorESK_SK_EERKSK_lbbbEUlllE0_EEPmJS9_EEE10hipError_tPvRmT3_T4_T5_T6_T7_T9_mT8_P12ihipStream_tbDpT10_ENKUlT_T0_E_clISt17integral_constantIbLb0EES1A_EEDaS15_S16_EUlS15_E_NS1_11comp_targetILNS1_3genE4ELNS1_11target_archE910ELNS1_3gpuE8ELNS1_3repE0EEENS1_30default_config_static_selectorELNS0_4arch9wavefront6targetE1EEEvT1_
; %bb.0:
	s_load_dwordx8 s[20:27], s[4:5], 0x40
	s_load_dwordx4 s[0:3], s[4:5], 0x8
	s_load_dwordx2 s[10:11], s[4:5], 0x18
	s_load_dword s8, s[4:5], 0x70
	s_mov_b32 s13, 0
	s_waitcnt lgkmcnt(0)
	v_mov_b32_e32 v2, s24
	s_lshl_b64 s[14:15], s[2:3], 3
	s_add_u32 s18, s0, s14
	s_addc_u32 s19, s1, s15
	s_add_i32 s9, s8, -1
	s_lshl_b32 s0, s9, 9
	s_add_i32 s0, s2, s0
	s_lshl_b32 s12, s6, 9
	s_sub_i32 s7, s24, s0
	s_lshl_b32 s0, s8, 9
	s_add_u32 s0, s2, s0
	s_addc_u32 s1, s3, 0
	v_mov_b32_e32 v3, s25
	s_cmp_eq_u32 s6, s9
	s_load_dwordx2 s[22:23], s[22:23], 0x0
	v_cmp_ge_u64_e32 vcc, s[0:1], v[2:3]
	s_cselect_b64 s[24:25], -1, 0
	s_and_b64 s[8:9], s[24:25], vcc
	s_xor_b64 s[34:35], s[8:9], -1
	s_lshl_b64 s[16:17], s[12:13], 3
	s_add_u32 s12, s18, s16
	s_mov_b64 s[0:1], -1
	s_addc_u32 s13, s19, s17
	s_and_b64 vcc, exec, s[34:35]
	v_lshrrev_b32_e32 v18, 2, v0
	s_cbranch_vccz .LBB353_2
; %bb.1:
	v_lshlrev_b32_e32 v1, 3, v0
	global_load_dwordx2 v[2:3], v1, s[12:13]
	global_load_dwordx2 v[4:5], v1, s[12:13] offset:1024
	global_load_dwordx2 v[6:7], v1, s[12:13] offset:2048
	;; [unrolled: 1-line block ×3, first 2 shown]
	v_or_b32_e32 v11, 0x80, v0
	v_or_b32_e32 v12, 0x100, v0
	;; [unrolled: 1-line block ×3, first 2 shown]
	v_and_b32_e32 v10, 24, v18
	v_lshrrev_b32_e32 v11, 2, v11
	v_lshrrev_b32_e32 v12, 2, v12
	;; [unrolled: 1-line block ×3, first 2 shown]
	v_add_u32_e32 v10, v10, v1
	v_and_b32_e32 v11, 56, v11
	v_and_b32_e32 v12, 0x58, v12
	;; [unrolled: 1-line block ×3, first 2 shown]
	v_add_u32_e32 v11, v11, v1
	v_add_u32_e32 v12, v12, v1
	;; [unrolled: 1-line block ×3, first 2 shown]
	s_mov_b64 s[0:1], 0
	s_waitcnt vmcnt(3)
	ds_write_b64 v10, v[2:3]
	s_waitcnt vmcnt(2)
	ds_write_b64 v11, v[4:5] offset:1024
	s_waitcnt vmcnt(1)
	ds_write_b64 v12, v[6:7] offset:2048
	;; [unrolled: 2-line block ×3, first 2 shown]
	s_waitcnt lgkmcnt(0)
	s_barrier
.LBB353_2:
	s_load_dwordx4 s[28:31], s[4:5], 0x60
	s_andn2_b64 vcc, exec, s[0:1]
	v_cmp_gt_u32_e64 s[0:1], s7, v0
	s_cbranch_vccnz .LBB353_12
; %bb.3:
                                        ; implicit-def: $vgpr2_vgpr3_vgpr4_vgpr5_vgpr6_vgpr7_vgpr8_vgpr9
	s_and_saveexec_b64 s[18:19], s[0:1]
	s_cbranch_execz .LBB353_5
; %bb.4:
	v_lshlrev_b32_e32 v1, 3, v0
	global_load_dwordx2 v[2:3], v1, s[12:13]
.LBB353_5:
	s_or_b64 exec, exec, s[18:19]
	v_or_b32_e32 v1, 0x80, v0
	v_cmp_gt_u32_e32 vcc, s7, v1
	s_and_saveexec_b64 s[0:1], vcc
	s_cbranch_execz .LBB353_7
; %bb.6:
	v_lshlrev_b32_e32 v4, 3, v0
	global_load_dwordx2 v[4:5], v4, s[12:13] offset:1024
.LBB353_7:
	s_or_b64 exec, exec, s[0:1]
	v_or_b32_e32 v10, 0x100, v0
	v_cmp_gt_u32_e32 vcc, s7, v10
	s_and_saveexec_b64 s[0:1], vcc
	s_cbranch_execz .LBB353_9
; %bb.8:
	v_lshlrev_b32_e32 v6, 3, v0
	global_load_dwordx2 v[6:7], v6, s[12:13] offset:2048
.LBB353_9:
	;; [unrolled: 9-line block ×3, first 2 shown]
	s_or_b64 exec, exec, s[0:1]
	v_lshrrev_b32_e32 v1, 2, v1
	v_lshlrev_b32_e32 v13, 3, v0
	v_and_b32_e32 v1, 56, v1
	v_add_u32_e32 v1, v1, v13
	s_waitcnt vmcnt(0)
	ds_write_b64 v1, v[4:5] offset:1024
	v_lshrrev_b32_e32 v1, 2, v10
	v_and_b32_e32 v1, 0x78, v1
	v_add_u32_e32 v1, v1, v13
	ds_write_b64 v1, v[6:7] offset:2048
	v_lshrrev_b32_e32 v1, 2, v11
	v_and_b32_e32 v12, 24, v18
	v_and_b32_e32 v1, 0x78, v1
	v_add_u32_e32 v12, v12, v13
	v_add_u32_e32 v1, v1, v13
	ds_write_b64 v12, v[2:3]
	ds_write_b64 v1, v[8:9] offset:3072
	s_waitcnt lgkmcnt(0)
	s_barrier
.LBB353_12:
	v_lshlrev_b32_e32 v1, 2, v0
	v_lshrrev_b32_e32 v2, 3, v0
	v_add_lshl_u32 v19, v2, v1, 3
	s_waitcnt lgkmcnt(0)
	ds_read2_b64 v[14:17], v19 offset1:1
	ds_read2_b64 v[10:13], v19 offset0:2 offset1:3
	s_add_u32 s0, s10, s14
	s_addc_u32 s1, s11, s15
	s_add_u32 s0, s0, s16
	s_addc_u32 s1, s1, s17
	s_mov_b64 s[10:11], -1
	s_and_b64 vcc, exec, s[34:35]
	s_waitcnt lgkmcnt(0)
	s_barrier
	s_cbranch_vccz .LBB353_14
; %bb.13:
	v_lshlrev_b32_e32 v20, 3, v0
	global_load_dwordx2 v[2:3], v20, s[0:1]
	global_load_dwordx2 v[4:5], v20, s[0:1] offset:1024
	global_load_dwordx2 v[6:7], v20, s[0:1] offset:2048
	;; [unrolled: 1-line block ×3, first 2 shown]
	v_or_b32_e32 v22, 0x80, v0
	v_or_b32_e32 v23, 0x100, v0
	;; [unrolled: 1-line block ×3, first 2 shown]
	v_and_b32_e32 v21, 24, v18
	v_lshrrev_b32_e32 v22, 2, v22
	v_lshrrev_b32_e32 v23, 2, v23
	;; [unrolled: 1-line block ×3, first 2 shown]
	v_add_u32_e32 v21, v21, v20
	v_and_b32_e32 v22, 56, v22
	v_and_b32_e32 v23, 0x58, v23
	v_and_b32_e32 v24, 0x78, v24
	v_add_u32_e32 v22, v22, v20
	v_add_u32_e32 v23, v23, v20
	;; [unrolled: 1-line block ×3, first 2 shown]
	s_mov_b64 s[10:11], 0
	s_waitcnt vmcnt(3)
	ds_write_b64 v21, v[2:3]
	s_waitcnt vmcnt(2)
	ds_write_b64 v22, v[4:5] offset:1024
	s_waitcnt vmcnt(1)
	ds_write_b64 v23, v[6:7] offset:2048
	;; [unrolled: 2-line block ×3, first 2 shown]
	s_waitcnt lgkmcnt(0)
	s_barrier
.LBB353_14:
	s_andn2_b64 vcc, exec, s[10:11]
	s_cbranch_vccnz .LBB353_24
; %bb.15:
	v_cmp_gt_u32_e32 vcc, s7, v0
                                        ; implicit-def: $vgpr2_vgpr3
	s_and_saveexec_b64 s[10:11], vcc
	s_cbranch_execz .LBB353_17
; %bb.16:
	v_lshlrev_b32_e32 v2, 3, v0
	global_load_dwordx2 v[2:3], v2, s[0:1]
.LBB353_17:
	s_or_b64 exec, exec, s[10:11]
	v_or_b32_e32 v20, 0x80, v0
	v_cmp_gt_u32_e32 vcc, s7, v20
                                        ; implicit-def: $vgpr4_vgpr5
	s_and_saveexec_b64 s[10:11], vcc
	s_cbranch_execz .LBB353_19
; %bb.18:
	v_lshlrev_b32_e32 v4, 3, v0
	global_load_dwordx2 v[4:5], v4, s[0:1] offset:1024
.LBB353_19:
	s_or_b64 exec, exec, s[10:11]
	v_or_b32_e32 v21, 0x100, v0
	v_cmp_gt_u32_e32 vcc, s7, v21
                                        ; implicit-def: $vgpr6_vgpr7
	s_and_saveexec_b64 s[10:11], vcc
	s_cbranch_execz .LBB353_21
; %bb.20:
	v_lshlrev_b32_e32 v6, 3, v0
	global_load_dwordx2 v[6:7], v6, s[0:1] offset:2048
.LBB353_21:
	s_or_b64 exec, exec, s[10:11]
	v_or_b32_e32 v22, 0x180, v0
	v_cmp_gt_u32_e32 vcc, s7, v22
                                        ; implicit-def: $vgpr8_vgpr9
	s_and_saveexec_b64 s[10:11], vcc
	s_cbranch_execz .LBB353_23
; %bb.22:
	v_lshlrev_b32_e32 v8, 3, v0
	global_load_dwordx2 v[8:9], v8, s[0:1] offset:3072
.LBB353_23:
	s_or_b64 exec, exec, s[10:11]
	v_and_b32_e32 v18, 24, v18
	v_lshlrev_b32_e32 v23, 3, v0
	v_add_u32_e32 v18, v18, v23
	s_waitcnt vmcnt(0)
	ds_write_b64 v18, v[2:3]
	v_lshrrev_b32_e32 v2, 2, v20
	v_and_b32_e32 v2, 56, v2
	v_add_u32_e32 v2, v2, v23
	ds_write_b64 v2, v[4:5] offset:1024
	v_lshrrev_b32_e32 v2, 2, v21
	v_and_b32_e32 v2, 0x78, v2
	v_add_u32_e32 v2, v2, v23
	ds_write_b64 v2, v[6:7] offset:2048
	;; [unrolled: 4-line block ×3, first 2 shown]
	s_waitcnt lgkmcnt(0)
	s_barrier
.LBB353_24:
	ds_read2_b64 v[6:9], v19 offset1:1
	ds_read2_b64 v[2:5], v19 offset0:2 offset1:3
	s_cmp_lg_u32 s6, 0
	s_cselect_b64 s[16:17], -1, 0
	s_cmp_lg_u64 s[2:3], 0
	s_cselect_b64 s[0:1], -1, 0
	s_or_b64 s[0:1], s[16:17], s[0:1]
	s_mov_b64 s[10:11], 0
	s_and_b64 vcc, exec, s[0:1]
	v_cmp_gt_i64_e64 s[0:1], s[26:27], 0
	s_waitcnt lgkmcnt(0)
	s_barrier
	s_cbranch_vccz .LBB353_33
; %bb.25:
	s_add_u32 s2, s12, -8
	s_addc_u32 s3, s13, -1
	s_load_dwordx2 s[2:3], s[2:3], 0x0
	v_cndmask_b32_e64 v18, 0, 1, s[0:1]
	v_lshlrev_b32_e32 v26, 3, v0
	s_and_b64 vcc, exec, s[34:35]
	v_cmp_ne_u32_e64 s[0:1], 1, v18
	ds_write_b64 v26, v[12:13]
	s_cbranch_vccz .LBB353_34
; %bb.26:
	v_mul_lo_u32 v20, v11, s26
	v_mul_lo_u32 v21, v10, s27
	v_mad_u64_u32 v[18:19], s[12:13], v10, s26, 0
	s_and_b64 vcc, exec, s[0:1]
	v_add3_u32 v19, v19, v21, v20
	s_cbranch_vccnz .LBB353_37
; %bb.27:
	v_mov_b32_e32 v21, s29
	v_add_co_u32_e32 v20, vcc, s28, v18
	v_pk_mov_b32 v[22:23], s[28:29], s[28:29] op_sel:[0,1]
	v_addc_co_u32_e32 v21, vcc, v21, v19, vcc
	v_mad_u64_u32 v[22:23], s[10:11], v12, s26, v[22:23]
	v_mul_lo_u32 v24, v12, s27
	v_mul_lo_u32 v25, v13, s26
	v_add3_u32 v23, v25, v23, v24
	global_load_ubyte v24, v[20:21], off
	global_load_ubyte v25, v[22:23], off
	s_mov_b64 s[10:11], -1
	s_waitcnt vmcnt(0)
	v_cmp_eq_u16_e32 vcc, v24, v25
	s_and_saveexec_b64 s[12:13], vcc
	s_cbranch_execz .LBB353_36
; %bb.28:
	s_mov_b64 s[18:19], 1
	s_mov_b64 s[10:11], 0
                                        ; implicit-def: $sgpr14_sgpr15
	s_branch .LBB353_31
.LBB353_29:                             ;   in Loop: Header=BB353_31 Depth=1
	v_mov_b32_e32 v27, s19
	v_add_co_u32_e32 v24, vcc, s18, v20
	v_addc_co_u32_e32 v25, vcc, v21, v27, vcc
	v_add_co_u32_e32 v28, vcc, s18, v22
	v_addc_co_u32_e32 v29, vcc, v23, v27, vcc
	global_load_ubyte v27, v[24:25], off
	global_load_ubyte v30, v[28:29], off
	s_add_u32 s36, s18, 1
	s_addc_u32 s37, s19, 0
	s_andn2_b64 s[14:15], s[14:15], exec
	s_waitcnt vmcnt(0)
	v_cmp_ne_u16_e32 vcc, v27, v30
	s_and_b64 s[38:39], vcc, exec
	s_or_b64 s[14:15], s[14:15], s[38:39]
.LBB353_30:                             ;   in Loop: Header=BB353_31 Depth=1
	s_and_b64 s[38:39], exec, s[14:15]
	s_or_b64 s[10:11], s[38:39], s[10:11]
	v_pk_mov_b32 v[24:25], s[18:19], s[18:19] op_sel:[0,1]
	s_mov_b64 s[18:19], s[36:37]
	s_andn2_b64 exec, exec, s[10:11]
	s_cbranch_execz .LBB353_35
.LBB353_31:                             ; =>This Inner Loop Header: Depth=1
	s_or_b64 s[14:15], s[14:15], exec
	s_cmp_eq_u64 s[26:27], s[18:19]
	s_cbranch_scc0 .LBB353_29
; %bb.32:                               ;   in Loop: Header=BB353_31 Depth=1
                                        ; implicit-def: $sgpr36_sgpr37
	s_mov_b64 s[18:19], s[26:27]
	s_branch .LBB353_30
.LBB353_33:
                                        ; implicit-def: $sgpr12_sgpr13
                                        ; implicit-def: $vgpr28
	s_branch .LBB353_115
.LBB353_34:
                                        ; implicit-def: $sgpr12_sgpr13
                                        ; implicit-def: $vgpr28
	s_cbranch_execnz .LBB353_67
	s_branch .LBB353_114
.LBB353_35:
	s_or_b64 exec, exec, s[10:11]
	v_cmp_gt_i64_e32 vcc, s[26:27], v[24:25]
	s_orn2_b64 s[10:11], vcc, exec
.LBB353_36:
	s_or_b64 exec, exec, s[12:13]
.LBB353_37:
	v_mul_lo_u32 v22, v17, s26
	v_mul_lo_u32 v23, v16, s27
	v_mad_u64_u32 v[20:21], s[12:13], v16, s26, 0
	v_add3_u32 v21, v21, v23, v22
	s_mov_b64 s[12:13], 0
	s_and_b64 vcc, exec, s[0:1]
	s_mov_b64 s[14:15], 0
	s_cbranch_vccnz .LBB353_46
; %bb.38:
	v_mov_b32_e32 v23, s29
	v_add_co_u32_e32 v22, vcc, s28, v20
	v_addc_co_u32_e32 v23, vcc, v23, v21, vcc
	v_mov_b32_e32 v24, s29
	v_add_co_u32_e32 v18, vcc, s28, v18
	v_addc_co_u32_e32 v19, vcc, v24, v19, vcc
	global_load_ubyte v24, v[22:23], off
	global_load_ubyte v25, v[18:19], off
	s_mov_b64 s[14:15], -1
	s_waitcnt vmcnt(0)
	v_cmp_eq_u16_e32 vcc, v24, v25
	s_and_saveexec_b64 s[18:19], vcc
	s_cbranch_execz .LBB353_45
; %bb.39:
	s_mov_b64 s[38:39], 1
	s_mov_b64 s[14:15], 0
                                        ; implicit-def: $sgpr36_sgpr37
	s_branch .LBB353_42
.LBB353_40:                             ;   in Loop: Header=BB353_42 Depth=1
	v_mov_b32_e32 v27, s39
	v_add_co_u32_e32 v24, vcc, s38, v22
	v_addc_co_u32_e32 v25, vcc, v23, v27, vcc
	v_add_co_u32_e32 v28, vcc, s38, v18
	v_addc_co_u32_e32 v29, vcc, v19, v27, vcc
	global_load_ubyte v27, v[24:25], off
	global_load_ubyte v30, v[28:29], off
	s_add_u32 s40, s38, 1
	s_addc_u32 s41, s39, 0
	s_andn2_b64 s[36:37], s[36:37], exec
	s_waitcnt vmcnt(0)
	v_cmp_ne_u16_e32 vcc, v27, v30
	s_and_b64 s[42:43], vcc, exec
	s_or_b64 s[36:37], s[36:37], s[42:43]
.LBB353_41:                             ;   in Loop: Header=BB353_42 Depth=1
	s_and_b64 s[42:43], exec, s[36:37]
	s_or_b64 s[14:15], s[42:43], s[14:15]
	v_pk_mov_b32 v[24:25], s[38:39], s[38:39] op_sel:[0,1]
	s_mov_b64 s[38:39], s[40:41]
	s_andn2_b64 exec, exec, s[14:15]
	s_cbranch_execz .LBB353_44
.LBB353_42:                             ; =>This Inner Loop Header: Depth=1
	s_or_b64 s[36:37], s[36:37], exec
	s_cmp_eq_u64 s[26:27], s[38:39]
	s_cbranch_scc0 .LBB353_40
; %bb.43:                               ;   in Loop: Header=BB353_42 Depth=1
                                        ; implicit-def: $sgpr40_sgpr41
	s_mov_b64 s[38:39], s[26:27]
	s_branch .LBB353_41
.LBB353_44:
	s_or_b64 exec, exec, s[14:15]
	v_cmp_gt_i64_e32 vcc, s[26:27], v[24:25]
	s_orn2_b64 s[14:15], vcc, exec
.LBB353_45:
	s_or_b64 exec, exec, s[18:19]
.LBB353_46:
	v_mul_lo_u32 v22, v15, s26
	v_mul_lo_u32 v23, v14, s27
	v_mad_u64_u32 v[18:19], s[18:19], v14, s26, 0
	s_and_b64 vcc, exec, s[0:1]
	v_add3_u32 v19, v19, v23, v22
	s_cbranch_vccnz .LBB353_55
; %bb.47:
	v_mov_b32_e32 v23, s29
	v_add_co_u32_e32 v22, vcc, s28, v18
	v_addc_co_u32_e32 v23, vcc, v23, v19, vcc
	v_mov_b32_e32 v24, s29
	v_add_co_u32_e32 v20, vcc, s28, v20
	v_addc_co_u32_e32 v21, vcc, v24, v21, vcc
	global_load_ubyte v24, v[22:23], off
	global_load_ubyte v25, v[20:21], off
	s_mov_b64 s[12:13], -1
	s_waitcnt vmcnt(0)
	v_cmp_eq_u16_e32 vcc, v24, v25
	s_and_saveexec_b64 s[18:19], vcc
	s_cbranch_execz .LBB353_54
; %bb.48:
	s_mov_b64 s[38:39], 1
	s_mov_b64 s[12:13], 0
                                        ; implicit-def: $sgpr36_sgpr37
	s_branch .LBB353_51
.LBB353_49:                             ;   in Loop: Header=BB353_51 Depth=1
	v_mov_b32_e32 v27, s39
	v_add_co_u32_e32 v24, vcc, s38, v22
	v_addc_co_u32_e32 v25, vcc, v23, v27, vcc
	v_add_co_u32_e32 v28, vcc, s38, v20
	v_addc_co_u32_e32 v29, vcc, v21, v27, vcc
	global_load_ubyte v27, v[24:25], off
	global_load_ubyte v30, v[28:29], off
	s_add_u32 s40, s38, 1
	s_addc_u32 s41, s39, 0
	s_andn2_b64 s[36:37], s[36:37], exec
	s_waitcnt vmcnt(0)
	v_cmp_ne_u16_e32 vcc, v27, v30
	s_and_b64 s[42:43], vcc, exec
	s_or_b64 s[36:37], s[36:37], s[42:43]
.LBB353_50:                             ;   in Loop: Header=BB353_51 Depth=1
	s_and_b64 s[42:43], exec, s[36:37]
	s_or_b64 s[12:13], s[42:43], s[12:13]
	v_pk_mov_b32 v[24:25], s[38:39], s[38:39] op_sel:[0,1]
	s_mov_b64 s[38:39], s[40:41]
	s_andn2_b64 exec, exec, s[12:13]
	s_cbranch_execz .LBB353_53
.LBB353_51:                             ; =>This Inner Loop Header: Depth=1
	s_or_b64 s[36:37], s[36:37], exec
	s_cmp_eq_u64 s[26:27], s[38:39]
	s_cbranch_scc0 .LBB353_49
; %bb.52:                               ;   in Loop: Header=BB353_51 Depth=1
                                        ; implicit-def: $sgpr40_sgpr41
	s_mov_b64 s[38:39], s[26:27]
	s_branch .LBB353_50
.LBB353_53:
	s_or_b64 exec, exec, s[12:13]
	v_cmp_gt_i64_e32 vcc, s[26:27], v[24:25]
	s_orn2_b64 s[12:13], vcc, exec
.LBB353_54:
	s_or_b64 exec, exec, s[18:19]
.LBB353_55:
	v_cmp_ne_u32_e32 vcc, 0, v0
	s_waitcnt lgkmcnt(0)
	v_pk_mov_b32 v[22:23], s[2:3], s[2:3] op_sel:[0,1]
	s_barrier
	s_and_saveexec_b64 s[18:19], vcc
	s_cbranch_execz .LBB353_57
; %bb.56:
	v_add_u32_e32 v20, -8, v26
	ds_read_b64 v[22:23], v20
.LBB353_57:
	s_or_b64 exec, exec, s[18:19]
	v_cndmask_b32_e64 v21, 0, 1, s[10:11]
	v_cndmask_b32_e64 v20, 0, 1, s[14:15]
	v_cndmask_b32_e64 v24, 0, 1, s[12:13]
	v_lshlrev_b16_e32 v21, 8, v21
	v_lshlrev_b16_e32 v24, 8, v24
	v_or_b32_sdwa v25, v20, v21 dst_sel:WORD_1 dst_unused:UNUSED_PAD src0_sel:DWORD src1_sel:DWORD
	s_mov_b64 s[10:11], 0
	s_and_b64 vcc, exec, s[0:1]
	s_mov_b64 s[12:13], 0
	s_cbranch_vccnz .LBB353_66
; %bb.58:
	v_pk_mov_b32 v[20:21], s[28:29], s[28:29] op_sel:[0,1]
	s_waitcnt lgkmcnt(0)
	v_mad_u64_u32 v[20:21], s[12:13], v22, s26, v[20:21]
	v_mul_lo_u32 v22, v22, s27
	v_mul_lo_u32 v23, v23, s26
	v_add3_u32 v21, v23, v21, v22
	v_mov_b32_e32 v22, s29
	v_add_co_u32_e32 v18, vcc, s28, v18
	v_addc_co_u32_e32 v19, vcc, v22, v19, vcc
	global_load_ubyte v22, v[20:21], off
	global_load_ubyte v23, v[18:19], off
	s_mov_b64 s[12:13], -1
	s_waitcnt vmcnt(0)
	v_cmp_eq_u16_e32 vcc, v22, v23
	s_and_saveexec_b64 s[14:15], vcc
	s_cbranch_execz .LBB353_65
; %bb.59:
	s_mov_b64 s[36:37], 1
	s_mov_b64 s[12:13], 0
                                        ; implicit-def: $sgpr18_sgpr19
	s_branch .LBB353_62
.LBB353_60:                             ;   in Loop: Header=BB353_62 Depth=1
	v_mov_b32_e32 v27, s37
	v_add_co_u32_e32 v22, vcc, s36, v20
	v_addc_co_u32_e32 v23, vcc, v21, v27, vcc
	v_add_co_u32_e32 v28, vcc, s36, v18
	v_addc_co_u32_e32 v29, vcc, v19, v27, vcc
	global_load_ubyte v27, v[22:23], off
	global_load_ubyte v30, v[28:29], off
	s_add_u32 s38, s36, 1
	s_addc_u32 s39, s37, 0
	s_andn2_b64 s[18:19], s[18:19], exec
	s_waitcnt vmcnt(0)
	v_cmp_ne_u16_e32 vcc, v27, v30
	s_and_b64 s[40:41], vcc, exec
	s_or_b64 s[18:19], s[18:19], s[40:41]
.LBB353_61:                             ;   in Loop: Header=BB353_62 Depth=1
	s_and_b64 s[40:41], exec, s[18:19]
	s_or_b64 s[12:13], s[40:41], s[12:13]
	v_pk_mov_b32 v[22:23], s[36:37], s[36:37] op_sel:[0,1]
	s_mov_b64 s[36:37], s[38:39]
	s_andn2_b64 exec, exec, s[12:13]
	s_cbranch_execz .LBB353_64
.LBB353_62:                             ; =>This Inner Loop Header: Depth=1
	s_or_b64 s[18:19], s[18:19], exec
	s_cmp_eq_u64 s[26:27], s[36:37]
	s_cbranch_scc0 .LBB353_60
; %bb.63:                               ;   in Loop: Header=BB353_62 Depth=1
                                        ; implicit-def: $sgpr38_sgpr39
	s_mov_b64 s[36:37], s[26:27]
	s_branch .LBB353_61
.LBB353_64:
	s_or_b64 exec, exec, s[12:13]
	v_cmp_gt_i64_e32 vcc, s[26:27], v[22:23]
	s_orn2_b64 s[12:13], vcc, exec
.LBB353_65:
	s_or_b64 exec, exec, s[14:15]
.LBB353_66:
	v_or_b32_e32 v28, v24, v25
	s_and_b64 vcc, exec, s[10:11]
	s_cbranch_vccz .LBB353_114
.LBB353_67:
	v_or_b32_e32 v18, 3, v1
	v_cmp_gt_u32_e32 vcc, s7, v18
	s_mov_b64 s[12:13], 0
	s_mov_b64 s[10:11], 0
	s_and_saveexec_b64 s[14:15], vcc
	s_cbranch_execz .LBB353_78
; %bb.68:
	s_and_b64 vcc, exec, s[0:1]
	s_mov_b64 s[18:19], 0
	s_cbranch_vccnz .LBB353_77
; %bb.69:
	v_pk_mov_b32 v[20:21], s[28:29], s[28:29] op_sel:[0,1]
	v_mad_u64_u32 v[18:19], s[10:11], v10, s26, v[20:21]
	s_waitcnt lgkmcnt(0)
	v_mul_lo_u32 v22, v10, s27
	v_mul_lo_u32 v23, v11, s26
	v_add3_u32 v19, v23, v19, v22
	v_mad_u64_u32 v[20:21], s[10:11], v12, s26, v[20:21]
	v_mul_lo_u32 v22, v12, s27
	v_mul_lo_u32 v23, v13, s26
	v_add3_u32 v21, v23, v21, v22
	global_load_ubyte v22, v[18:19], off
	global_load_ubyte v23, v[20:21], off
	s_mov_b64 s[18:19], -1
	s_waitcnt vmcnt(0)
	v_cmp_eq_u16_e32 vcc, v22, v23
	s_and_saveexec_b64 s[10:11], vcc
	s_cbranch_execz .LBB353_76
; %bb.70:
	s_mov_b64 s[38:39], 1
	s_mov_b64 s[18:19], 0
                                        ; implicit-def: $sgpr36_sgpr37
	s_branch .LBB353_73
.LBB353_71:                             ;   in Loop: Header=BB353_73 Depth=1
	v_mov_b32_e32 v25, s39
	v_add_co_u32_e32 v22, vcc, s38, v18
	v_addc_co_u32_e32 v23, vcc, v19, v25, vcc
	v_add_co_u32_e32 v24, vcc, s38, v20
	v_addc_co_u32_e32 v25, vcc, v21, v25, vcc
	global_load_ubyte v27, v[22:23], off
	global_load_ubyte v28, v[24:25], off
	s_add_u32 s40, s38, 1
	s_addc_u32 s41, s39, 0
	s_andn2_b64 s[36:37], s[36:37], exec
	s_waitcnt vmcnt(0)
	v_cmp_ne_u16_e32 vcc, v27, v28
	s_and_b64 s[42:43], vcc, exec
	s_or_b64 s[36:37], s[36:37], s[42:43]
.LBB353_72:                             ;   in Loop: Header=BB353_73 Depth=1
	s_and_b64 s[42:43], exec, s[36:37]
	s_or_b64 s[18:19], s[42:43], s[18:19]
	v_pk_mov_b32 v[22:23], s[38:39], s[38:39] op_sel:[0,1]
	s_mov_b64 s[38:39], s[40:41]
	s_andn2_b64 exec, exec, s[18:19]
	s_cbranch_execz .LBB353_75
.LBB353_73:                             ; =>This Inner Loop Header: Depth=1
	s_or_b64 s[36:37], s[36:37], exec
	s_cmp_eq_u64 s[26:27], s[38:39]
	s_cbranch_scc0 .LBB353_71
; %bb.74:                               ;   in Loop: Header=BB353_73 Depth=1
                                        ; implicit-def: $sgpr40_sgpr41
	s_mov_b64 s[38:39], s[26:27]
	s_branch .LBB353_72
.LBB353_75:
	s_or_b64 exec, exec, s[18:19]
	v_cmp_gt_i64_e32 vcc, s[26:27], v[22:23]
	s_orn2_b64 s[18:19], vcc, exec
.LBB353_76:
	s_or_b64 exec, exec, s[10:11]
.LBB353_77:
	s_and_b64 s[10:11], s[18:19], exec
.LBB353_78:
	s_or_b64 exec, exec, s[14:15]
	v_or_b32_e32 v18, 2, v1
	v_cmp_gt_u32_e32 vcc, s7, v18
	s_and_saveexec_b64 s[14:15], vcc
	s_cbranch_execz .LBB353_89
; %bb.79:
	s_and_b64 vcc, exec, s[0:1]
	s_mov_b64 s[18:19], 0
	s_cbranch_vccnz .LBB353_88
; %bb.80:
	v_pk_mov_b32 v[20:21], s[28:29], s[28:29] op_sel:[0,1]
	v_mad_u64_u32 v[18:19], s[12:13], v16, s26, v[20:21]
	s_waitcnt lgkmcnt(0)
	v_mul_lo_u32 v22, v16, s27
	v_mul_lo_u32 v23, v17, s26
	v_add3_u32 v19, v23, v19, v22
	v_mad_u64_u32 v[20:21], s[12:13], v10, s26, v[20:21]
	v_mul_lo_u32 v22, v10, s27
	v_mul_lo_u32 v23, v11, s26
	v_add3_u32 v21, v23, v21, v22
	global_load_ubyte v22, v[18:19], off
	global_load_ubyte v23, v[20:21], off
	s_mov_b64 s[18:19], -1
	s_waitcnt vmcnt(0)
	v_cmp_eq_u16_e32 vcc, v22, v23
	s_and_saveexec_b64 s[12:13], vcc
	s_cbranch_execz .LBB353_87
; %bb.81:
	s_mov_b64 s[38:39], 1
	s_mov_b64 s[18:19], 0
                                        ; implicit-def: $sgpr36_sgpr37
	s_branch .LBB353_84
.LBB353_82:                             ;   in Loop: Header=BB353_84 Depth=1
	v_mov_b32_e32 v25, s39
	v_add_co_u32_e32 v22, vcc, s38, v18
	v_addc_co_u32_e32 v23, vcc, v19, v25, vcc
	v_add_co_u32_e32 v24, vcc, s38, v20
	v_addc_co_u32_e32 v25, vcc, v21, v25, vcc
	global_load_ubyte v27, v[22:23], off
	global_load_ubyte v28, v[24:25], off
	s_add_u32 s40, s38, 1
	s_addc_u32 s41, s39, 0
	s_andn2_b64 s[36:37], s[36:37], exec
	s_waitcnt vmcnt(0)
	v_cmp_ne_u16_e32 vcc, v27, v28
	s_and_b64 s[42:43], vcc, exec
	s_or_b64 s[36:37], s[36:37], s[42:43]
.LBB353_83:                             ;   in Loop: Header=BB353_84 Depth=1
	s_and_b64 s[42:43], exec, s[36:37]
	s_or_b64 s[18:19], s[42:43], s[18:19]
	v_pk_mov_b32 v[22:23], s[38:39], s[38:39] op_sel:[0,1]
	s_mov_b64 s[38:39], s[40:41]
	s_andn2_b64 exec, exec, s[18:19]
	s_cbranch_execz .LBB353_86
.LBB353_84:                             ; =>This Inner Loop Header: Depth=1
	s_or_b64 s[36:37], s[36:37], exec
	s_cmp_eq_u64 s[26:27], s[38:39]
	s_cbranch_scc0 .LBB353_82
; %bb.85:                               ;   in Loop: Header=BB353_84 Depth=1
                                        ; implicit-def: $sgpr40_sgpr41
	s_mov_b64 s[38:39], s[26:27]
	s_branch .LBB353_83
.LBB353_86:
	s_or_b64 exec, exec, s[18:19]
	v_cmp_gt_i64_e32 vcc, s[26:27], v[22:23]
	s_orn2_b64 s[18:19], vcc, exec
.LBB353_87:
	s_or_b64 exec, exec, s[12:13]
.LBB353_88:
	s_and_b64 s[12:13], s[18:19], exec
.LBB353_89:
	s_or_b64 exec, exec, s[14:15]
	v_or_b32_e32 v18, 1, v1
	v_cmp_gt_u32_e32 vcc, s7, v18
	s_mov_b64 s[18:19], 0
	s_and_saveexec_b64 s[14:15], vcc
	s_cbranch_execz .LBB353_100
; %bb.90:
	s_and_b64 vcc, exec, s[0:1]
	s_mov_b64 s[36:37], 0
	s_cbranch_vccnz .LBB353_99
; %bb.91:
	v_pk_mov_b32 v[20:21], s[28:29], s[28:29] op_sel:[0,1]
	v_mad_u64_u32 v[18:19], s[18:19], v14, s26, v[20:21]
	s_waitcnt lgkmcnt(0)
	v_mul_lo_u32 v22, v14, s27
	v_mul_lo_u32 v23, v15, s26
	v_add3_u32 v19, v23, v19, v22
	v_mad_u64_u32 v[20:21], s[18:19], v16, s26, v[20:21]
	v_mul_lo_u32 v22, v16, s27
	v_mul_lo_u32 v23, v17, s26
	v_add3_u32 v21, v23, v21, v22
	global_load_ubyte v22, v[18:19], off
	global_load_ubyte v23, v[20:21], off
	s_mov_b64 s[36:37], -1
	s_waitcnt vmcnt(0)
	v_cmp_eq_u16_e32 vcc, v22, v23
	s_and_saveexec_b64 s[18:19], vcc
	s_cbranch_execz .LBB353_98
; %bb.92:
	s_mov_b64 s[40:41], 1
	s_mov_b64 s[36:37], 0
                                        ; implicit-def: $sgpr38_sgpr39
	s_branch .LBB353_95
.LBB353_93:                             ;   in Loop: Header=BB353_95 Depth=1
	v_mov_b32_e32 v25, s41
	v_add_co_u32_e32 v22, vcc, s40, v18
	v_addc_co_u32_e32 v23, vcc, v19, v25, vcc
	v_add_co_u32_e32 v24, vcc, s40, v20
	v_addc_co_u32_e32 v25, vcc, v21, v25, vcc
	global_load_ubyte v27, v[22:23], off
	global_load_ubyte v28, v[24:25], off
	s_add_u32 s42, s40, 1
	s_addc_u32 s43, s41, 0
	s_andn2_b64 s[38:39], s[38:39], exec
	s_waitcnt vmcnt(0)
	v_cmp_ne_u16_e32 vcc, v27, v28
	s_and_b64 s[44:45], vcc, exec
	s_or_b64 s[38:39], s[38:39], s[44:45]
.LBB353_94:                             ;   in Loop: Header=BB353_95 Depth=1
	s_and_b64 s[44:45], exec, s[38:39]
	s_or_b64 s[36:37], s[44:45], s[36:37]
	v_pk_mov_b32 v[22:23], s[40:41], s[40:41] op_sel:[0,1]
	s_mov_b64 s[40:41], s[42:43]
	s_andn2_b64 exec, exec, s[36:37]
	s_cbranch_execz .LBB353_97
.LBB353_95:                             ; =>This Inner Loop Header: Depth=1
	s_or_b64 s[38:39], s[38:39], exec
	s_cmp_eq_u64 s[26:27], s[40:41]
	s_cbranch_scc0 .LBB353_93
; %bb.96:                               ;   in Loop: Header=BB353_95 Depth=1
                                        ; implicit-def: $sgpr42_sgpr43
	s_mov_b64 s[40:41], s[26:27]
	s_branch .LBB353_94
.LBB353_97:
	s_or_b64 exec, exec, s[36:37]
	v_cmp_gt_i64_e32 vcc, s[26:27], v[22:23]
	s_orn2_b64 s[36:37], vcc, exec
.LBB353_98:
	s_or_b64 exec, exec, s[18:19]
.LBB353_99:
	s_and_b64 s[18:19], s[36:37], exec
.LBB353_100:
	s_or_b64 exec, exec, s[14:15]
	v_cmp_ne_u32_e32 vcc, 0, v0
	s_waitcnt lgkmcnt(0)
	v_pk_mov_b32 v[20:21], s[2:3], s[2:3] op_sel:[0,1]
	s_barrier
	s_and_saveexec_b64 s[2:3], vcc
	s_cbranch_execz .LBB353_102
; %bb.101:
	v_add_u32_e32 v18, -8, v26
	ds_read_b64 v[20:21], v18
.LBB353_102:
	s_or_b64 exec, exec, s[2:3]
	v_cndmask_b32_e64 v19, 0, 1, s[10:11]
	v_cndmask_b32_e64 v18, 0, 1, s[12:13]
	;; [unrolled: 1-line block ×3, first 2 shown]
	v_lshlrev_b16_e32 v19, 8, v19
	v_lshlrev_b16_e32 v24, 8, v22
	v_or_b32_sdwa v25, v18, v19 dst_sel:WORD_1 dst_unused:UNUSED_PAD src0_sel:DWORD src1_sel:DWORD
	v_cmp_gt_u32_e32 vcc, s7, v1
	s_mov_b64 s[12:13], 0
	s_and_saveexec_b64 s[2:3], vcc
	s_cbranch_execz .LBB353_113
; %bb.103:
	s_and_b64 vcc, exec, s[0:1]
	s_mov_b64 s[10:11], 0
	s_cbranch_vccnz .LBB353_112
; %bb.104:
	v_pk_mov_b32 v[22:23], s[28:29], s[28:29] op_sel:[0,1]
	s_waitcnt lgkmcnt(0)
	v_mad_u64_u32 v[18:19], s[0:1], v20, s26, v[22:23]
	v_mul_lo_u32 v20, v20, s27
	v_mul_lo_u32 v21, v21, s26
	v_add3_u32 v19, v21, v19, v20
	v_mad_u64_u32 v[20:21], s[0:1], v14, s26, v[22:23]
	v_mul_lo_u32 v22, v14, s27
	v_mul_lo_u32 v23, v15, s26
	v_add3_u32 v21, v23, v21, v22
	global_load_ubyte v22, v[18:19], off
	global_load_ubyte v23, v[20:21], off
	s_mov_b64 s[10:11], -1
	s_waitcnt vmcnt(0)
	v_cmp_eq_u16_e32 vcc, v22, v23
	s_and_saveexec_b64 s[0:1], vcc
	s_cbranch_execz .LBB353_111
; %bb.105:
	s_mov_b64 s[14:15], 1
	s_mov_b64 s[10:11], 0
                                        ; implicit-def: $sgpr12_sgpr13
	s_branch .LBB353_108
.LBB353_106:                            ;   in Loop: Header=BB353_108 Depth=1
	v_mov_b32_e32 v27, s15
	v_add_co_u32_e32 v22, vcc, s14, v18
	v_addc_co_u32_e32 v23, vcc, v19, v27, vcc
	v_add_co_u32_e32 v26, vcc, s14, v20
	v_addc_co_u32_e32 v27, vcc, v21, v27, vcc
	global_load_ubyte v28, v[22:23], off
	global_load_ubyte v29, v[26:27], off
	s_add_u32 s18, s14, 1
	s_addc_u32 s19, s15, 0
	s_andn2_b64 s[12:13], s[12:13], exec
	s_waitcnt vmcnt(0)
	v_cmp_ne_u16_e32 vcc, v28, v29
	s_and_b64 s[36:37], vcc, exec
	s_or_b64 s[12:13], s[12:13], s[36:37]
.LBB353_107:                            ;   in Loop: Header=BB353_108 Depth=1
	s_and_b64 s[36:37], exec, s[12:13]
	s_or_b64 s[10:11], s[36:37], s[10:11]
	v_pk_mov_b32 v[22:23], s[14:15], s[14:15] op_sel:[0,1]
	s_mov_b64 s[14:15], s[18:19]
	s_andn2_b64 exec, exec, s[10:11]
	s_cbranch_execz .LBB353_110
.LBB353_108:                            ; =>This Inner Loop Header: Depth=1
	s_or_b64 s[12:13], s[12:13], exec
	s_cmp_eq_u64 s[26:27], s[14:15]
	s_cbranch_scc0 .LBB353_106
; %bb.109:                              ;   in Loop: Header=BB353_108 Depth=1
                                        ; implicit-def: $sgpr18_sgpr19
	s_mov_b64 s[14:15], s[26:27]
	s_branch .LBB353_107
.LBB353_110:
	s_or_b64 exec, exec, s[10:11]
	v_cmp_gt_i64_e32 vcc, s[26:27], v[22:23]
	s_orn2_b64 s[10:11], vcc, exec
.LBB353_111:
	s_or_b64 exec, exec, s[0:1]
.LBB353_112:
	s_and_b64 s[12:13], s[10:11], exec
.LBB353_113:
	s_or_b64 exec, exec, s[2:3]
	v_or_b32_e32 v28, v24, v25
.LBB353_114:
	s_mov_b64 s[10:11], -1
	s_cbranch_execnz .LBB353_203
.LBB353_115:
	v_lshlrev_b32_e32 v26, 3, v0
	s_mov_b64 s[12:13], 0
	s_waitcnt lgkmcnt(0)
	v_cmp_gt_i64_e64 s[2:3], s[26:27], 0
	s_and_b64 vcc, exec, s[34:35]
	ds_write_b64 v26, v[12:13]
	s_cbranch_vccz .LBB353_123
; %bb.116:
	v_mul_lo_u32 v20, v11, s26
	v_mul_lo_u32 v21, v10, s27
	v_mad_u64_u32 v[18:19], s[0:1], v10, s26, 0
	v_cndmask_b32_e64 v22, 0, 1, s[2:3]
	v_cmp_ne_u32_e64 s[0:1], 1, v22
	s_andn2_b64 vcc, exec, s[2:3]
	v_add3_u32 v19, v19, v21, v20
	s_cbranch_vccnz .LBB353_126
; %bb.117:
	v_mov_b32_e32 v21, s29
	v_add_co_u32_e32 v20, vcc, s28, v18
	v_pk_mov_b32 v[22:23], s[28:29], s[28:29] op_sel:[0,1]
	v_addc_co_u32_e32 v21, vcc, v21, v19, vcc
	v_mad_u64_u32 v[22:23], s[12:13], v12, s26, v[22:23]
	v_mul_lo_u32 v24, v12, s27
	v_mul_lo_u32 v25, v13, s26
	v_add3_u32 v23, v25, v23, v24
	global_load_ubyte v24, v[20:21], off
	global_load_ubyte v25, v[22:23], off
	s_mov_b64 s[12:13], -1
	s_waitcnt vmcnt(0)
	v_cmp_eq_u16_e32 vcc, v24, v25
	s_and_saveexec_b64 s[14:15], vcc
	s_cbranch_execz .LBB353_125
; %bb.118:
	s_mov_b64 s[36:37], 1
	s_mov_b64 s[12:13], 0
                                        ; implicit-def: $sgpr18_sgpr19
	s_branch .LBB353_121
.LBB353_119:                            ;   in Loop: Header=BB353_121 Depth=1
	v_mov_b32_e32 v27, s37
	v_add_co_u32_e32 v24, vcc, s36, v20
	v_addc_co_u32_e32 v25, vcc, v21, v27, vcc
	v_add_co_u32_e32 v28, vcc, s36, v22
	v_addc_co_u32_e32 v29, vcc, v23, v27, vcc
	global_load_ubyte v27, v[24:25], off
	global_load_ubyte v30, v[28:29], off
	s_add_u32 s38, s36, 1
	s_addc_u32 s39, s37, 0
	s_andn2_b64 s[18:19], s[18:19], exec
	s_waitcnt vmcnt(0)
	v_cmp_ne_u16_e32 vcc, v27, v30
	s_and_b64 s[40:41], vcc, exec
	s_or_b64 s[18:19], s[18:19], s[40:41]
.LBB353_120:                            ;   in Loop: Header=BB353_121 Depth=1
	s_and_b64 s[40:41], exec, s[18:19]
	s_or_b64 s[12:13], s[40:41], s[12:13]
	v_pk_mov_b32 v[24:25], s[36:37], s[36:37] op_sel:[0,1]
	s_mov_b64 s[36:37], s[38:39]
	s_andn2_b64 exec, exec, s[12:13]
	s_cbranch_execz .LBB353_124
.LBB353_121:                            ; =>This Inner Loop Header: Depth=1
	s_or_b64 s[18:19], s[18:19], exec
	s_cmp_eq_u64 s[26:27], s[36:37]
	s_cbranch_scc0 .LBB353_119
; %bb.122:                              ;   in Loop: Header=BB353_121 Depth=1
                                        ; implicit-def: $sgpr38_sgpr39
	s_mov_b64 s[36:37], s[26:27]
	s_branch .LBB353_120
.LBB353_123:
                                        ; implicit-def: $sgpr12_sgpr13
                                        ; implicit-def: $vgpr28
	s_cbranch_execnz .LBB353_156
	s_branch .LBB353_203
.LBB353_124:
	s_or_b64 exec, exec, s[12:13]
	v_cmp_gt_i64_e32 vcc, s[26:27], v[24:25]
	s_orn2_b64 s[12:13], vcc, exec
.LBB353_125:
	s_or_b64 exec, exec, s[14:15]
.LBB353_126:
	v_mul_lo_u32 v22, v17, s26
	v_mul_lo_u32 v23, v16, s27
	v_mad_u64_u32 v[20:21], s[14:15], v16, s26, 0
	v_add3_u32 v21, v21, v23, v22
	s_mov_b64 s[14:15], 0
	s_and_b64 vcc, exec, s[0:1]
	s_mov_b64 s[18:19], 0
	s_cbranch_vccnz .LBB353_135
; %bb.127:
	v_mov_b32_e32 v23, s29
	v_add_co_u32_e32 v22, vcc, s28, v20
	v_addc_co_u32_e32 v23, vcc, v23, v21, vcc
	v_mov_b32_e32 v24, s29
	v_add_co_u32_e32 v18, vcc, s28, v18
	v_addc_co_u32_e32 v19, vcc, v24, v19, vcc
	global_load_ubyte v24, v[22:23], off
	global_load_ubyte v25, v[18:19], off
	s_mov_b64 s[18:19], -1
	s_waitcnt vmcnt(0)
	v_cmp_eq_u16_e32 vcc, v24, v25
	s_and_saveexec_b64 s[36:37], vcc
	s_cbranch_execz .LBB353_134
; %bb.128:
	s_mov_b64 s[40:41], 1
	s_mov_b64 s[18:19], 0
                                        ; implicit-def: $sgpr38_sgpr39
	s_branch .LBB353_131
.LBB353_129:                            ;   in Loop: Header=BB353_131 Depth=1
	v_mov_b32_e32 v27, s41
	v_add_co_u32_e32 v24, vcc, s40, v22
	v_addc_co_u32_e32 v25, vcc, v23, v27, vcc
	v_add_co_u32_e32 v28, vcc, s40, v18
	v_addc_co_u32_e32 v29, vcc, v19, v27, vcc
	global_load_ubyte v27, v[24:25], off
	global_load_ubyte v30, v[28:29], off
	s_add_u32 s42, s40, 1
	s_addc_u32 s43, s41, 0
	s_andn2_b64 s[38:39], s[38:39], exec
	s_waitcnt vmcnt(0)
	v_cmp_ne_u16_e32 vcc, v27, v30
	s_and_b64 s[44:45], vcc, exec
	s_or_b64 s[38:39], s[38:39], s[44:45]
.LBB353_130:                            ;   in Loop: Header=BB353_131 Depth=1
	s_and_b64 s[44:45], exec, s[38:39]
	s_or_b64 s[18:19], s[44:45], s[18:19]
	v_pk_mov_b32 v[24:25], s[40:41], s[40:41] op_sel:[0,1]
	s_mov_b64 s[40:41], s[42:43]
	s_andn2_b64 exec, exec, s[18:19]
	s_cbranch_execz .LBB353_133
.LBB353_131:                            ; =>This Inner Loop Header: Depth=1
	s_or_b64 s[38:39], s[38:39], exec
	s_cmp_eq_u64 s[26:27], s[40:41]
	s_cbranch_scc0 .LBB353_129
; %bb.132:                              ;   in Loop: Header=BB353_131 Depth=1
                                        ; implicit-def: $sgpr42_sgpr43
	s_mov_b64 s[40:41], s[26:27]
	s_branch .LBB353_130
.LBB353_133:
	s_or_b64 exec, exec, s[18:19]
	v_cmp_gt_i64_e32 vcc, s[26:27], v[24:25]
	s_orn2_b64 s[18:19], vcc, exec
.LBB353_134:
	s_or_b64 exec, exec, s[36:37]
.LBB353_135:
	v_mul_lo_u32 v22, v15, s26
	v_mul_lo_u32 v23, v14, s27
	v_mad_u64_u32 v[18:19], s[36:37], v14, s26, 0
	s_and_b64 vcc, exec, s[0:1]
	v_add3_u32 v19, v19, v23, v22
	s_cbranch_vccnz .LBB353_144
; %bb.136:
	v_mov_b32_e32 v23, s29
	v_add_co_u32_e32 v22, vcc, s28, v18
	v_addc_co_u32_e32 v23, vcc, v23, v19, vcc
	v_mov_b32_e32 v24, s29
	v_add_co_u32_e32 v20, vcc, s28, v20
	v_addc_co_u32_e32 v21, vcc, v24, v21, vcc
	global_load_ubyte v24, v[22:23], off
	global_load_ubyte v25, v[20:21], off
	s_mov_b64 s[14:15], -1
	s_waitcnt vmcnt(0)
	v_cmp_eq_u16_e32 vcc, v24, v25
	s_and_saveexec_b64 s[36:37], vcc
	s_cbranch_execz .LBB353_143
; %bb.137:
	s_mov_b64 s[40:41], 1
	s_mov_b64 s[14:15], 0
                                        ; implicit-def: $sgpr38_sgpr39
	s_branch .LBB353_140
.LBB353_138:                            ;   in Loop: Header=BB353_140 Depth=1
	v_mov_b32_e32 v27, s41
	v_add_co_u32_e32 v24, vcc, s40, v22
	v_addc_co_u32_e32 v25, vcc, v23, v27, vcc
	v_add_co_u32_e32 v28, vcc, s40, v20
	v_addc_co_u32_e32 v29, vcc, v21, v27, vcc
	global_load_ubyte v27, v[24:25], off
	global_load_ubyte v30, v[28:29], off
	s_add_u32 s42, s40, 1
	s_addc_u32 s43, s41, 0
	s_andn2_b64 s[38:39], s[38:39], exec
	s_waitcnt vmcnt(0)
	v_cmp_ne_u16_e32 vcc, v27, v30
	s_and_b64 s[44:45], vcc, exec
	s_or_b64 s[38:39], s[38:39], s[44:45]
.LBB353_139:                            ;   in Loop: Header=BB353_140 Depth=1
	s_and_b64 s[44:45], exec, s[38:39]
	s_or_b64 s[14:15], s[44:45], s[14:15]
	v_pk_mov_b32 v[24:25], s[40:41], s[40:41] op_sel:[0,1]
	s_mov_b64 s[40:41], s[42:43]
	s_andn2_b64 exec, exec, s[14:15]
	s_cbranch_execz .LBB353_142
.LBB353_140:                            ; =>This Inner Loop Header: Depth=1
	s_or_b64 s[38:39], s[38:39], exec
	s_cmp_eq_u64 s[26:27], s[40:41]
	s_cbranch_scc0 .LBB353_138
; %bb.141:                              ;   in Loop: Header=BB353_140 Depth=1
                                        ; implicit-def: $sgpr42_sgpr43
	s_mov_b64 s[40:41], s[26:27]
	s_branch .LBB353_139
.LBB353_142:
	s_or_b64 exec, exec, s[14:15]
	v_cmp_gt_i64_e32 vcc, s[26:27], v[24:25]
	s_orn2_b64 s[14:15], vcc, exec
.LBB353_143:
	s_or_b64 exec, exec, s[36:37]
.LBB353_144:
	v_cndmask_b32_e64 v21, 0, 1, s[12:13]
	v_cndmask_b32_e64 v22, 0, 1, s[14:15]
	;; [unrolled: 1-line block ×3, first 2 shown]
	v_lshlrev_b16_e32 v22, 8, v22
	v_lshlrev_b16_e32 v21, 8, v21
	v_or_b32_e32 v22, 1, v22
	v_or_b32_sdwa v20, v20, v21 dst_sel:WORD_1 dst_unused:UNUSED_PAD src0_sel:DWORD src1_sel:DWORD
	v_or_b32_sdwa v28, v22, v20 dst_sel:DWORD dst_unused:UNUSED_PAD src0_sel:WORD_0 src1_sel:DWORD
	v_cmp_ne_u32_e32 vcc, 0, v0
	s_waitcnt lgkmcnt(0)
	s_barrier
	s_waitcnt lgkmcnt(0)
                                        ; implicit-def: $sgpr12_sgpr13
	s_and_saveexec_b64 s[14:15], vcc
	s_xor_b64 s[14:15], exec, s[14:15]
	s_cbranch_execz .LBB353_155
; %bb.145:
	s_and_b64 vcc, exec, s[0:1]
	s_mov_b64 s[12:13], 0
	s_cbranch_vccnz .LBB353_154
; %bb.146:
	v_add_u32_e32 v20, -8, v26
	ds_read_b64 v[20:21], v20
	v_pk_mov_b32 v[22:23], s[28:29], s[28:29] op_sel:[0,1]
	v_add_co_u32_e32 v18, vcc, s28, v18
	s_mov_b64 s[12:13], -1
	s_waitcnt lgkmcnt(0)
	v_mul_lo_u32 v24, v20, s27
	v_mul_lo_u32 v25, v21, s26
	v_mad_u64_u32 v[20:21], s[0:1], v20, s26, v[22:23]
	v_mov_b32_e32 v22, s29
	v_addc_co_u32_e32 v19, vcc, v22, v19, vcc
	v_add3_u32 v21, v25, v21, v24
	global_load_ubyte v22, v[18:19], off
	global_load_ubyte v23, v[20:21], off
	s_waitcnt vmcnt(0)
	v_cmp_eq_u16_e32 vcc, v23, v22
	s_and_saveexec_b64 s[0:1], vcc
	s_cbranch_execz .LBB353_153
; %bb.147:
	s_mov_b64 s[36:37], 1
	s_mov_b64 s[12:13], 0
                                        ; implicit-def: $sgpr18_sgpr19
	s_branch .LBB353_150
.LBB353_148:                            ;   in Loop: Header=BB353_150 Depth=1
	v_mov_b32_e32 v25, s37
	v_add_co_u32_e32 v22, vcc, s36, v20
	v_addc_co_u32_e32 v23, vcc, v21, v25, vcc
	v_add_co_u32_e32 v24, vcc, s36, v18
	v_addc_co_u32_e32 v25, vcc, v19, v25, vcc
	global_load_ubyte v27, v[22:23], off
	global_load_ubyte v29, v[24:25], off
	s_add_u32 s38, s36, 1
	s_addc_u32 s39, s37, 0
	s_andn2_b64 s[18:19], s[18:19], exec
	s_waitcnt vmcnt(0)
	v_cmp_ne_u16_e32 vcc, v27, v29
	s_and_b64 s[40:41], vcc, exec
	s_or_b64 s[18:19], s[18:19], s[40:41]
.LBB353_149:                            ;   in Loop: Header=BB353_150 Depth=1
	s_and_b64 s[40:41], exec, s[18:19]
	s_or_b64 s[12:13], s[40:41], s[12:13]
	v_pk_mov_b32 v[22:23], s[36:37], s[36:37] op_sel:[0,1]
	s_mov_b64 s[36:37], s[38:39]
	s_andn2_b64 exec, exec, s[12:13]
	s_cbranch_execz .LBB353_152
.LBB353_150:                            ; =>This Inner Loop Header: Depth=1
	s_or_b64 s[18:19], s[18:19], exec
	s_cmp_eq_u64 s[26:27], s[36:37]
	s_cbranch_scc0 .LBB353_148
; %bb.151:                              ;   in Loop: Header=BB353_150 Depth=1
                                        ; implicit-def: $sgpr38_sgpr39
	s_mov_b64 s[36:37], s[26:27]
	s_branch .LBB353_149
.LBB353_152:
	s_or_b64 exec, exec, s[12:13]
	v_cmp_gt_i64_e32 vcc, s[26:27], v[22:23]
	s_orn2_b64 s[12:13], vcc, exec
.LBB353_153:
	s_or_b64 exec, exec, s[0:1]
.LBB353_154:
	s_and_b64 s[12:13], s[12:13], exec
	s_or_b64 s[10:11], s[10:11], exec
.LBB353_155:
	s_or_b64 exec, exec, s[14:15]
	s_branch .LBB353_203
.LBB353_156:
	v_or_b32_e32 v18, 3, v1
	v_cmp_gt_u32_e32 vcc, s7, v18
	s_mov_b64 s[12:13], 0
	s_mov_b64 s[0:1], 0
	s_and_saveexec_b64 s[14:15], vcc
	s_cbranch_execz .LBB353_167
; %bb.157:
	s_andn2_b64 vcc, exec, s[2:3]
	s_mov_b64 s[18:19], 0
	s_cbranch_vccnz .LBB353_166
; %bb.158:
	v_pk_mov_b32 v[20:21], s[28:29], s[28:29] op_sel:[0,1]
	v_mad_u64_u32 v[18:19], s[0:1], v10, s26, v[20:21]
	v_mul_lo_u32 v22, v10, s27
	v_mul_lo_u32 v23, v11, s26
	v_add3_u32 v19, v23, v19, v22
	v_mad_u64_u32 v[20:21], s[0:1], v12, s26, v[20:21]
	v_mul_lo_u32 v22, v12, s27
	v_mul_lo_u32 v23, v13, s26
	v_add3_u32 v21, v23, v21, v22
	global_load_ubyte v22, v[18:19], off
	global_load_ubyte v23, v[20:21], off
	s_mov_b64 s[18:19], -1
	s_waitcnt vmcnt(0)
	v_cmp_eq_u16_e32 vcc, v22, v23
	s_and_saveexec_b64 s[0:1], vcc
	s_cbranch_execz .LBB353_165
; %bb.159:
	s_mov_b64 s[38:39], 1
	s_mov_b64 s[18:19], 0
                                        ; implicit-def: $sgpr36_sgpr37
	s_branch .LBB353_162
.LBB353_160:                            ;   in Loop: Header=BB353_162 Depth=1
	v_mov_b32_e32 v25, s39
	v_add_co_u32_e32 v22, vcc, s38, v18
	v_addc_co_u32_e32 v23, vcc, v19, v25, vcc
	v_add_co_u32_e32 v24, vcc, s38, v20
	v_addc_co_u32_e32 v25, vcc, v21, v25, vcc
	global_load_ubyte v27, v[22:23], off
	global_load_ubyte v28, v[24:25], off
	s_add_u32 s40, s38, 1
	s_addc_u32 s41, s39, 0
	s_andn2_b64 s[36:37], s[36:37], exec
	s_waitcnt vmcnt(0)
	v_cmp_ne_u16_e32 vcc, v27, v28
	s_and_b64 s[42:43], vcc, exec
	s_or_b64 s[36:37], s[36:37], s[42:43]
.LBB353_161:                            ;   in Loop: Header=BB353_162 Depth=1
	s_and_b64 s[42:43], exec, s[36:37]
	s_or_b64 s[18:19], s[42:43], s[18:19]
	v_pk_mov_b32 v[22:23], s[38:39], s[38:39] op_sel:[0,1]
	s_mov_b64 s[38:39], s[40:41]
	s_andn2_b64 exec, exec, s[18:19]
	s_cbranch_execz .LBB353_164
.LBB353_162:                            ; =>This Inner Loop Header: Depth=1
	s_or_b64 s[36:37], s[36:37], exec
	s_cmp_eq_u64 s[26:27], s[38:39]
	s_cbranch_scc0 .LBB353_160
; %bb.163:                              ;   in Loop: Header=BB353_162 Depth=1
                                        ; implicit-def: $sgpr40_sgpr41
	s_mov_b64 s[38:39], s[26:27]
	s_branch .LBB353_161
.LBB353_164:
	s_or_b64 exec, exec, s[18:19]
	v_cmp_gt_i64_e32 vcc, s[26:27], v[22:23]
	s_orn2_b64 s[18:19], vcc, exec
.LBB353_165:
	s_or_b64 exec, exec, s[0:1]
.LBB353_166:
	s_and_b64 s[0:1], s[18:19], exec
.LBB353_167:
	s_or_b64 exec, exec, s[14:15]
	v_or_b32_e32 v18, 2, v1
	v_cmp_gt_u32_e32 vcc, s7, v18
	s_and_saveexec_b64 s[14:15], vcc
	s_cbranch_execz .LBB353_178
; %bb.168:
	s_andn2_b64 vcc, exec, s[2:3]
	s_mov_b64 s[18:19], 0
	s_cbranch_vccnz .LBB353_177
; %bb.169:
	v_pk_mov_b32 v[20:21], s[28:29], s[28:29] op_sel:[0,1]
	v_mad_u64_u32 v[18:19], s[12:13], v16, s26, v[20:21]
	v_mul_lo_u32 v22, v16, s27
	v_mul_lo_u32 v23, v17, s26
	v_add3_u32 v19, v23, v19, v22
	v_mad_u64_u32 v[20:21], s[12:13], v10, s26, v[20:21]
	v_mul_lo_u32 v22, v10, s27
	v_mul_lo_u32 v23, v11, s26
	v_add3_u32 v21, v23, v21, v22
	global_load_ubyte v22, v[18:19], off
	global_load_ubyte v23, v[20:21], off
	s_mov_b64 s[18:19], -1
	s_waitcnt vmcnt(0)
	v_cmp_eq_u16_e32 vcc, v22, v23
	s_and_saveexec_b64 s[12:13], vcc
	s_cbranch_execz .LBB353_176
; %bb.170:
	s_mov_b64 s[38:39], 1
	s_mov_b64 s[18:19], 0
                                        ; implicit-def: $sgpr36_sgpr37
	s_branch .LBB353_173
.LBB353_171:                            ;   in Loop: Header=BB353_173 Depth=1
	v_mov_b32_e32 v25, s39
	v_add_co_u32_e32 v22, vcc, s38, v18
	v_addc_co_u32_e32 v23, vcc, v19, v25, vcc
	v_add_co_u32_e32 v24, vcc, s38, v20
	v_addc_co_u32_e32 v25, vcc, v21, v25, vcc
	global_load_ubyte v27, v[22:23], off
	global_load_ubyte v28, v[24:25], off
	s_add_u32 s40, s38, 1
	s_addc_u32 s41, s39, 0
	s_andn2_b64 s[36:37], s[36:37], exec
	s_waitcnt vmcnt(0)
	v_cmp_ne_u16_e32 vcc, v27, v28
	s_and_b64 s[42:43], vcc, exec
	s_or_b64 s[36:37], s[36:37], s[42:43]
.LBB353_172:                            ;   in Loop: Header=BB353_173 Depth=1
	s_and_b64 s[42:43], exec, s[36:37]
	s_or_b64 s[18:19], s[42:43], s[18:19]
	v_pk_mov_b32 v[22:23], s[38:39], s[38:39] op_sel:[0,1]
	s_mov_b64 s[38:39], s[40:41]
	s_andn2_b64 exec, exec, s[18:19]
	s_cbranch_execz .LBB353_175
.LBB353_173:                            ; =>This Inner Loop Header: Depth=1
	s_or_b64 s[36:37], s[36:37], exec
	s_cmp_eq_u64 s[26:27], s[38:39]
	s_cbranch_scc0 .LBB353_171
; %bb.174:                              ;   in Loop: Header=BB353_173 Depth=1
                                        ; implicit-def: $sgpr40_sgpr41
	s_mov_b64 s[38:39], s[26:27]
	s_branch .LBB353_172
.LBB353_175:
	s_or_b64 exec, exec, s[18:19]
	v_cmp_gt_i64_e32 vcc, s[26:27], v[22:23]
	s_orn2_b64 s[18:19], vcc, exec
.LBB353_176:
	s_or_b64 exec, exec, s[12:13]
.LBB353_177:
	s_and_b64 s[12:13], s[18:19], exec
.LBB353_178:
	s_or_b64 exec, exec, s[14:15]
	v_or_b32_e32 v18, 1, v1
	v_cmp_gt_u32_e32 vcc, s7, v18
	s_mov_b64 s[18:19], 0
	s_and_saveexec_b64 s[14:15], vcc
	s_cbranch_execz .LBB353_189
; %bb.179:
	s_andn2_b64 vcc, exec, s[2:3]
	s_mov_b64 s[36:37], 0
	s_cbranch_vccnz .LBB353_188
; %bb.180:
	v_pk_mov_b32 v[20:21], s[28:29], s[28:29] op_sel:[0,1]
	v_mad_u64_u32 v[18:19], s[18:19], v14, s26, v[20:21]
	v_mul_lo_u32 v22, v14, s27
	v_mul_lo_u32 v23, v15, s26
	v_add3_u32 v19, v23, v19, v22
	v_mad_u64_u32 v[20:21], s[18:19], v16, s26, v[20:21]
	v_mul_lo_u32 v22, v16, s27
	v_mul_lo_u32 v23, v17, s26
	v_add3_u32 v21, v23, v21, v22
	global_load_ubyte v22, v[18:19], off
	global_load_ubyte v23, v[20:21], off
	s_mov_b64 s[36:37], -1
	s_waitcnt vmcnt(0)
	v_cmp_eq_u16_e32 vcc, v22, v23
	s_and_saveexec_b64 s[18:19], vcc
	s_cbranch_execz .LBB353_187
; %bb.181:
	s_mov_b64 s[40:41], 1
	s_mov_b64 s[36:37], 0
                                        ; implicit-def: $sgpr38_sgpr39
	s_branch .LBB353_184
.LBB353_182:                            ;   in Loop: Header=BB353_184 Depth=1
	v_mov_b32_e32 v25, s41
	v_add_co_u32_e32 v22, vcc, s40, v18
	v_addc_co_u32_e32 v23, vcc, v19, v25, vcc
	v_add_co_u32_e32 v24, vcc, s40, v20
	v_addc_co_u32_e32 v25, vcc, v21, v25, vcc
	global_load_ubyte v27, v[22:23], off
	global_load_ubyte v28, v[24:25], off
	s_add_u32 s42, s40, 1
	s_addc_u32 s43, s41, 0
	s_andn2_b64 s[38:39], s[38:39], exec
	s_waitcnt vmcnt(0)
	v_cmp_ne_u16_e32 vcc, v27, v28
	s_and_b64 s[44:45], vcc, exec
	s_or_b64 s[38:39], s[38:39], s[44:45]
.LBB353_183:                            ;   in Loop: Header=BB353_184 Depth=1
	s_and_b64 s[44:45], exec, s[38:39]
	s_or_b64 s[36:37], s[44:45], s[36:37]
	v_pk_mov_b32 v[22:23], s[40:41], s[40:41] op_sel:[0,1]
	s_mov_b64 s[40:41], s[42:43]
	s_andn2_b64 exec, exec, s[36:37]
	s_cbranch_execz .LBB353_186
.LBB353_184:                            ; =>This Inner Loop Header: Depth=1
	s_or_b64 s[38:39], s[38:39], exec
	s_cmp_eq_u64 s[26:27], s[40:41]
	s_cbranch_scc0 .LBB353_182
; %bb.185:                              ;   in Loop: Header=BB353_184 Depth=1
                                        ; implicit-def: $sgpr42_sgpr43
	s_mov_b64 s[40:41], s[26:27]
	s_branch .LBB353_183
.LBB353_186:
	s_or_b64 exec, exec, s[36:37]
	v_cmp_gt_i64_e32 vcc, s[26:27], v[22:23]
	s_orn2_b64 s[36:37], vcc, exec
.LBB353_187:
	s_or_b64 exec, exec, s[18:19]
.LBB353_188:
	s_and_b64 s[18:19], s[36:37], exec
.LBB353_189:
	s_or_b64 exec, exec, s[14:15]
	v_cndmask_b32_e64 v19, 0, 1, s[0:1]
	v_cndmask_b32_e64 v20, 0, 1, s[18:19]
	;; [unrolled: 1-line block ×3, first 2 shown]
	v_lshlrev_b16_e32 v20, 8, v20
	v_lshlrev_b16_e32 v19, 8, v19
	v_or_b32_e32 v20, 1, v20
	v_or_b32_sdwa v18, v18, v19 dst_sel:WORD_1 dst_unused:UNUSED_PAD src0_sel:DWORD src1_sel:DWORD
	v_or_b32_sdwa v28, v20, v18 dst_sel:DWORD dst_unused:UNUSED_PAD src0_sel:WORD_0 src1_sel:DWORD
	v_cmp_ne_u32_e32 vcc, 0, v0
	s_waitcnt lgkmcnt(0)
	s_barrier
	s_waitcnt lgkmcnt(0)
                                        ; implicit-def: $sgpr12_sgpr13
	s_and_saveexec_b64 s[0:1], vcc
	s_cbranch_execz .LBB353_202
; %bb.190:
	v_cmp_gt_u32_e32 vcc, s7, v1
	s_mov_b64 s[14:15], 0
	s_and_saveexec_b64 s[12:13], vcc
	s_cbranch_execz .LBB353_201
; %bb.191:
	s_andn2_b64 vcc, exec, s[2:3]
	s_cbranch_vccnz .LBB353_200
; %bb.192:
	v_add_u32_e32 v18, -8, v26
	ds_read_b64 v[18:19], v18
	v_pk_mov_b32 v[20:21], s[28:29], s[28:29] op_sel:[0,1]
	s_mov_b64 s[14:15], -1
	s_waitcnt lgkmcnt(0)
	v_mul_lo_u32 v22, v18, s27
	v_mul_lo_u32 v23, v19, s26
	v_mad_u64_u32 v[18:19], s[2:3], v18, s26, v[20:21]
	v_add3_u32 v19, v23, v19, v22
	v_mad_u64_u32 v[20:21], s[2:3], v14, s26, v[20:21]
	v_mul_lo_u32 v22, v14, s27
	v_mul_lo_u32 v23, v15, s26
	v_add3_u32 v21, v23, v21, v22
	global_load_ubyte v22, v[18:19], off
	global_load_ubyte v23, v[20:21], off
	s_waitcnt vmcnt(0)
	v_cmp_eq_u16_e32 vcc, v22, v23
	s_and_saveexec_b64 s[2:3], vcc
	s_cbranch_execz .LBB353_199
; %bb.193:
	s_mov_b64 s[28:29], 1
	s_mov_b64 s[14:15], 0
                                        ; implicit-def: $sgpr18_sgpr19
	s_branch .LBB353_196
.LBB353_194:                            ;   in Loop: Header=BB353_196 Depth=1
	v_mov_b32_e32 v25, s29
	v_add_co_u32_e32 v22, vcc, s28, v18
	v_addc_co_u32_e32 v23, vcc, v19, v25, vcc
	v_add_co_u32_e32 v24, vcc, s28, v20
	v_addc_co_u32_e32 v25, vcc, v21, v25, vcc
	global_load_ubyte v26, v[22:23], off
	global_load_ubyte v27, v[24:25], off
	s_add_u32 s36, s28, 1
	s_addc_u32 s37, s29, 0
	s_andn2_b64 s[18:19], s[18:19], exec
	s_waitcnt vmcnt(0)
	v_cmp_ne_u16_e32 vcc, v26, v27
	s_and_b64 s[38:39], vcc, exec
	s_or_b64 s[18:19], s[18:19], s[38:39]
.LBB353_195:                            ;   in Loop: Header=BB353_196 Depth=1
	s_and_b64 s[38:39], exec, s[18:19]
	s_or_b64 s[14:15], s[38:39], s[14:15]
	v_pk_mov_b32 v[22:23], s[28:29], s[28:29] op_sel:[0,1]
	s_mov_b64 s[28:29], s[36:37]
	s_andn2_b64 exec, exec, s[14:15]
	s_cbranch_execz .LBB353_198
.LBB353_196:                            ; =>This Inner Loop Header: Depth=1
	s_or_b64 s[18:19], s[18:19], exec
	s_cmp_eq_u64 s[26:27], s[28:29]
	s_cbranch_scc0 .LBB353_194
; %bb.197:                              ;   in Loop: Header=BB353_196 Depth=1
                                        ; implicit-def: $sgpr36_sgpr37
	s_mov_b64 s[28:29], s[26:27]
	s_branch .LBB353_195
.LBB353_198:
	s_or_b64 exec, exec, s[14:15]
	v_cmp_gt_i64_e32 vcc, s[26:27], v[22:23]
	s_orn2_b64 s[14:15], vcc, exec
.LBB353_199:
	s_or_b64 exec, exec, s[2:3]
.LBB353_200:
	s_and_b64 s[14:15], s[14:15], exec
.LBB353_201:
	s_or_b64 exec, exec, s[12:13]
	s_and_b64 s[12:13], s[14:15], exec
	s_or_b64 s[10:11], s[10:11], exec
.LBB353_202:
	s_or_b64 exec, exec, s[0:1]
.LBB353_203:
	s_and_saveexec_b64 s[0:1], s[10:11]
	s_cbranch_execz .LBB353_205
; %bb.204:
	v_and_b32_e32 v18, 0xffffff00, v28
	v_cndmask_b32_e64 v19, 0, 1, s[12:13]
	v_or_b32_e32 v18, v19, v18
	v_and_b32_e32 v18, 0xffff, v18
	s_waitcnt lgkmcnt(0)
	s_mov_b32 s2, 0xffff0000
	v_and_or_b32 v28, v28, s2, v18
.LBB353_205:
	s_or_b64 exec, exec, s[0:1]
	s_andn2_b64 vcc, exec, s[8:9]
	s_cbranch_vccnz .LBB353_207
; %bb.206:
	v_cmp_gt_u32_e32 vcc, s7, v1
	v_cndmask_b32_e32 v18, 0, v28, vcc
	v_or_b32_e32 v19, 1, v1
	v_and_b32_e32 v18, 0xff, v18
	v_cmp_gt_u32_e32 vcc, s7, v19
	v_cndmask_b32_e32 v18, v18, v28, vcc
	v_or_b32_e32 v19, 2, v1
	v_and_b32_e32 v18, 0xffff, v18
	;; [unrolled: 4-line block ×3, first 2 shown]
	v_cmp_gt_u32_e32 vcc, s7, v19
	v_cndmask_b32_e32 v28, v18, v28, vcc
.LBB353_207:
	v_bfe_u32 v30, v28, 16, 8
	v_lshrrev_b32_e32 v29, 24, v28
	v_add_u32_sdwa v18, v28, v28 dst_sel:DWORD dst_unused:UNUSED_PAD src0_sel:BYTE_1 src1_sel:BYTE_0
	v_add3_u32 v33, v18, v30, v29
	v_mbcnt_lo_u32_b32 v18, -1, 0
	v_mbcnt_hi_u32_b32 v31, -1, v18
	v_and_b32_e32 v18, 15, v31
	v_cmp_eq_u32_e64 s[14:15], 0, v18
	v_cmp_lt_u32_e64 s[12:13], 1, v18
	v_cmp_lt_u32_e64 s[10:11], 3, v18
	;; [unrolled: 1-line block ×3, first 2 shown]
	v_and_b32_e32 v18, 16, v31
	v_cmp_eq_u32_e64 s[18:19], 0, v18
	v_or_b32_e32 v18, 63, v0
	v_cmp_lt_u32_e64 s[0:1], 31, v31
	v_lshrrev_b32_e32 v32, 6, v0
	s_waitcnt lgkmcnt(0)
	v_cmp_eq_u32_e64 s[2:3], v18, v0
	s_and_b64 vcc, exec, s[16:17]
	s_barrier
	s_cbranch_vccz .LBB353_234
; %bb.208:
	v_mov_b32_dpp v18, v33 row_shr:1 row_mask:0xf bank_mask:0xf
	v_cndmask_b32_e64 v18, v18, 0, s[14:15]
	v_add_u32_e32 v18, v18, v33
	s_nop 1
	v_mov_b32_dpp v19, v18 row_shr:2 row_mask:0xf bank_mask:0xf
	v_cndmask_b32_e64 v19, 0, v19, s[12:13]
	v_add_u32_e32 v18, v18, v19
	s_nop 1
	;; [unrolled: 4-line block ×4, first 2 shown]
	v_mov_b32_dpp v19, v18 row_bcast:15 row_mask:0xf bank_mask:0xf
	v_cndmask_b32_e64 v19, v19, 0, s[18:19]
	v_add_u32_e32 v18, v18, v19
	s_nop 1
	v_mov_b32_dpp v19, v18 row_bcast:31 row_mask:0xf bank_mask:0xf
	v_cndmask_b32_e64 v19, 0, v19, s[0:1]
	v_add_u32_e32 v18, v18, v19
	s_and_saveexec_b64 s[16:17], s[2:3]
	s_cbranch_execz .LBB353_210
; %bb.209:
	v_lshlrev_b32_e32 v19, 2, v32
	ds_write_b32 v19, v18
.LBB353_210:
	s_or_b64 exec, exec, s[16:17]
	v_cmp_gt_u32_e32 vcc, 2, v0
	s_waitcnt lgkmcnt(0)
	s_barrier
	s_and_saveexec_b64 s[16:17], vcc
	s_cbranch_execz .LBB353_212
; %bb.211:
	ds_read_b32 v19, v1
	v_bfe_i32 v20, v31, 0, 1
	s_waitcnt lgkmcnt(0)
	v_mov_b32_dpp v21, v19 row_shr:1 row_mask:0xf bank_mask:0xf
	v_and_b32_e32 v20, v20, v21
	v_add_u32_e32 v19, v20, v19
	ds_write_b32 v1, v19
.LBB353_212:
	s_or_b64 exec, exec, s[16:17]
	v_cmp_gt_u32_e32 vcc, 64, v0
	v_cmp_lt_u32_e64 s[16:17], 63, v0
	s_waitcnt lgkmcnt(0)
	s_barrier
	s_waitcnt lgkmcnt(0)
                                        ; implicit-def: $vgpr34
	s_and_saveexec_b64 s[26:27], s[16:17]
	s_cbranch_execz .LBB353_214
; %bb.213:
	v_lshl_add_u32 v19, v32, 2, -4
	ds_read_b32 v34, v19
	s_waitcnt lgkmcnt(0)
	v_add_u32_e32 v18, v34, v18
.LBB353_214:
	s_or_b64 exec, exec, s[26:27]
	v_add_u32_e32 v19, -1, v31
	v_and_b32_e32 v20, 64, v31
	v_cmp_lt_i32_e64 s[16:17], v19, v20
	v_cndmask_b32_e64 v19, v19, v31, s[16:17]
	v_lshlrev_b32_e32 v19, 2, v19
	ds_bpermute_b32 v35, v19, v18
	v_cmp_eq_u32_e64 s[16:17], 0, v31
	s_and_saveexec_b64 s[26:27], vcc
	s_cbranch_execz .LBB353_233
; %bb.215:
	v_mov_b32_e32 v25, 0
	ds_read_b32 v18, v25 offset:4
	s_and_saveexec_b64 s[28:29], s[16:17]
	s_cbranch_execz .LBB353_217
; %bb.216:
	s_add_i32 s36, s6, 64
	s_mov_b32 s37, 0
	s_lshl_b64 s[36:37], s[36:37], 3
	s_add_u32 s36, s30, s36
	v_mov_b32_e32 v19, 1
	s_addc_u32 s37, s31, s37
	s_waitcnt lgkmcnt(0)
	global_store_dwordx2 v25, v[18:19], s[36:37]
.LBB353_217:
	s_or_b64 exec, exec, s[28:29]
	v_xad_u32 v20, v31, -1, s6
	v_add_u32_e32 v24, 64, v20
	v_lshlrev_b64 v[22:23], 3, v[24:25]
	v_mov_b32_e32 v19, s31
	v_add_co_u32_e32 v26, vcc, s30, v22
	v_addc_co_u32_e32 v27, vcc, v19, v23, vcc
	global_load_dwordx2 v[22:23], v[26:27], off glc
	s_waitcnt vmcnt(0)
	v_cmp_eq_u16_sdwa s[36:37], v23, v25 src0_sel:BYTE_0 src1_sel:DWORD
	s_and_saveexec_b64 s[28:29], s[36:37]
	s_cbranch_execz .LBB353_221
; %bb.218:
	s_mov_b64 s[36:37], 0
	v_mov_b32_e32 v19, 0
.LBB353_219:                            ; =>This Inner Loop Header: Depth=1
	global_load_dwordx2 v[22:23], v[26:27], off glc
	s_waitcnt vmcnt(0)
	v_cmp_ne_u16_sdwa s[38:39], v23, v19 src0_sel:BYTE_0 src1_sel:DWORD
	s_or_b64 s[36:37], s[38:39], s[36:37]
	s_andn2_b64 exec, exec, s[36:37]
	s_cbranch_execnz .LBB353_219
; %bb.220:
	s_or_b64 exec, exec, s[36:37]
.LBB353_221:
	s_or_b64 exec, exec, s[28:29]
	v_and_b32_e32 v36, 63, v31
	v_mov_b32_e32 v19, 2
	v_cmp_ne_u32_e32 vcc, 63, v36
	v_cmp_eq_u16_sdwa s[28:29], v23, v19 src0_sel:BYTE_0 src1_sel:DWORD
	v_lshlrev_b64 v[24:25], v31, -1
	v_addc_co_u32_e32 v27, vcc, 0, v31, vcc
	v_and_b32_e32 v21, s29, v25
	v_lshlrev_b32_e32 v37, 2, v27
	v_or_b32_e32 v21, 0x80000000, v21
	ds_bpermute_b32 v27, v37, v22
	v_and_b32_e32 v26, s28, v24
	v_ffbl_b32_e32 v21, v21
	v_add_u32_e32 v21, 32, v21
	v_ffbl_b32_e32 v26, v26
	v_min_u32_e32 v21, v26, v21
	v_cmp_lt_u32_e32 vcc, v36, v21
	s_waitcnt lgkmcnt(0)
	v_cndmask_b32_e32 v26, 0, v27, vcc
	v_cmp_gt_u32_e32 vcc, 62, v36
	v_add_u32_e32 v22, v26, v22
	v_cndmask_b32_e64 v26, 0, 1, vcc
	v_lshlrev_b32_e32 v26, 1, v26
	v_add_lshl_u32 v38, v26, v31, 2
	ds_bpermute_b32 v26, v38, v22
	v_add_u32_e32 v39, 2, v36
	v_cmp_le_u32_e32 vcc, v39, v21
	v_add_u32_e32 v41, 4, v36
	v_add_u32_e32 v43, 8, v36
	s_waitcnt lgkmcnt(0)
	v_cndmask_b32_e32 v26, 0, v26, vcc
	v_cmp_gt_u32_e32 vcc, 60, v36
	v_add_u32_e32 v22, v22, v26
	v_cndmask_b32_e64 v26, 0, 1, vcc
	v_lshlrev_b32_e32 v26, 2, v26
	v_add_lshl_u32 v40, v26, v31, 2
	ds_bpermute_b32 v26, v40, v22
	v_cmp_le_u32_e32 vcc, v41, v21
	v_add_u32_e32 v46, 16, v36
	v_add_u32_e32 v48, 32, v36
	s_waitcnt lgkmcnt(0)
	v_cndmask_b32_e32 v26, 0, v26, vcc
	v_cmp_gt_u32_e32 vcc, 56, v36
	v_add_u32_e32 v22, v22, v26
	v_cndmask_b32_e64 v26, 0, 1, vcc
	v_lshlrev_b32_e32 v26, 3, v26
	v_add_lshl_u32 v42, v26, v31, 2
	ds_bpermute_b32 v26, v42, v22
	v_cmp_le_u32_e32 vcc, v43, v21
	s_waitcnt lgkmcnt(0)
	v_cndmask_b32_e32 v26, 0, v26, vcc
	v_cmp_gt_u32_e32 vcc, 48, v36
	v_add_u32_e32 v22, v22, v26
	v_cndmask_b32_e64 v26, 0, 1, vcc
	v_lshlrev_b32_e32 v26, 4, v26
	v_add_lshl_u32 v45, v26, v31, 2
	ds_bpermute_b32 v26, v45, v22
	v_cmp_le_u32_e32 vcc, v46, v21
	;; [unrolled: 9-line block ×3, first 2 shown]
	s_waitcnt lgkmcnt(0)
	v_cndmask_b32_e32 v21, 0, v26, vcc
	v_add_u32_e32 v22, v22, v21
	v_mov_b32_e32 v21, 0
	s_branch .LBB353_223
.LBB353_222:                            ;   in Loop: Header=BB353_223 Depth=1
	s_or_b64 exec, exec, s[28:29]
	v_cmp_eq_u16_sdwa s[28:29], v23, v19 src0_sel:BYTE_0 src1_sel:DWORD
	v_and_b32_e32 v26, s29, v25
	v_or_b32_e32 v26, 0x80000000, v26
	ds_bpermute_b32 v49, v37, v22
	v_and_b32_e32 v27, s28, v24
	v_ffbl_b32_e32 v26, v26
	v_add_u32_e32 v26, 32, v26
	v_ffbl_b32_e32 v27, v27
	v_min_u32_e32 v26, v27, v26
	v_cmp_lt_u32_e32 vcc, v36, v26
	s_waitcnt lgkmcnt(0)
	v_cndmask_b32_e32 v27, 0, v49, vcc
	v_add_u32_e32 v22, v27, v22
	ds_bpermute_b32 v27, v38, v22
	v_cmp_le_u32_e32 vcc, v39, v26
	v_subrev_u32_e32 v20, 64, v20
	s_waitcnt lgkmcnt(0)
	v_cndmask_b32_e32 v27, 0, v27, vcc
	v_add_u32_e32 v22, v22, v27
	ds_bpermute_b32 v27, v40, v22
	v_cmp_le_u32_e32 vcc, v41, v26
	s_waitcnt lgkmcnt(0)
	v_cndmask_b32_e32 v27, 0, v27, vcc
	v_add_u32_e32 v22, v22, v27
	ds_bpermute_b32 v27, v42, v22
	v_cmp_le_u32_e32 vcc, v43, v26
	;; [unrolled: 5-line block ×4, first 2 shown]
	s_waitcnt lgkmcnt(0)
	v_cndmask_b32_e32 v26, 0, v27, vcc
	v_add3_u32 v22, v26, v44, v22
.LBB353_223:                            ; =>This Loop Header: Depth=1
                                        ;     Child Loop BB353_226 Depth 2
	v_cmp_ne_u16_sdwa s[28:29], v23, v19 src0_sel:BYTE_0 src1_sel:DWORD
	v_cndmask_b32_e64 v23, 0, 1, s[28:29]
	;;#ASMSTART
	;;#ASMEND
	v_cmp_ne_u32_e32 vcc, 0, v23
	s_cmp_lg_u64 vcc, exec
	v_mov_b32_e32 v44, v22
	s_cbranch_scc1 .LBB353_228
; %bb.224:                              ;   in Loop: Header=BB353_223 Depth=1
	v_lshlrev_b64 v[22:23], 3, v[20:21]
	v_mov_b32_e32 v27, s31
	v_add_co_u32_e32 v26, vcc, s30, v22
	v_addc_co_u32_e32 v27, vcc, v27, v23, vcc
	global_load_dwordx2 v[22:23], v[26:27], off glc
	s_waitcnt vmcnt(0)
	v_cmp_eq_u16_sdwa s[36:37], v23, v21 src0_sel:BYTE_0 src1_sel:DWORD
	s_and_saveexec_b64 s[28:29], s[36:37]
	s_cbranch_execz .LBB353_222
; %bb.225:                              ;   in Loop: Header=BB353_223 Depth=1
	s_mov_b64 s[36:37], 0
.LBB353_226:                            ;   Parent Loop BB353_223 Depth=1
                                        ; =>  This Inner Loop Header: Depth=2
	global_load_dwordx2 v[22:23], v[26:27], off glc
	s_waitcnt vmcnt(0)
	v_cmp_ne_u16_sdwa s[38:39], v23, v21 src0_sel:BYTE_0 src1_sel:DWORD
	s_or_b64 s[36:37], s[38:39], s[36:37]
	s_andn2_b64 exec, exec, s[36:37]
	s_cbranch_execnz .LBB353_226
; %bb.227:                              ;   in Loop: Header=BB353_223 Depth=1
	s_or_b64 exec, exec, s[36:37]
	s_branch .LBB353_222
.LBB353_228:                            ;   in Loop: Header=BB353_223 Depth=1
                                        ; implicit-def: $vgpr22
                                        ; implicit-def: $vgpr23
	s_cbranch_execz .LBB353_223
; %bb.229:
	s_and_saveexec_b64 s[28:29], s[16:17]
	s_cbranch_execz .LBB353_231
; %bb.230:
	s_add_i32 s6, s6, 64
	s_mov_b32 s7, 0
	s_lshl_b64 s[6:7], s[6:7], 3
	s_add_u32 s6, s30, s6
	v_add_u32_e32 v20, v44, v18
	v_mov_b32_e32 v21, 2
	s_addc_u32 s7, s31, s7
	v_mov_b32_e32 v19, 0
	global_store_dwordx2 v19, v[20:21], s[6:7]
	s_movk_i32 s6, 0x1000
	v_add_u32_e64 v19, s6, 0
	ds_write2_b32 v19, v18, v44 offset0:32 offset1:34
.LBB353_231:
	s_or_b64 exec, exec, s[28:29]
	v_cmp_eq_u32_e32 vcc, 0, v0
	s_and_b64 exec, exec, vcc
	s_cbranch_execz .LBB353_233
; %bb.232:
	v_mov_b32_e32 v18, 0
	ds_write_b32 v18, v44 offset:4
.LBB353_233:
	s_or_b64 exec, exec, s[26:27]
	v_mov_b32_e32 v19, 0
	s_waitcnt lgkmcnt(0)
	s_barrier
	ds_read_b32 v19, v19 offset:4
	s_movk_i32 s6, 0x1000
	v_add_u32_e64 v20, s6, 0
	v_cndmask_b32_e64 v18, v35, v34, s[16:17]
	v_cmp_ne_u32_e32 vcc, 0, v0
	s_waitcnt lgkmcnt(0)
	s_barrier
	ds_read2_b32 v[26:27], v20 offset0:32 offset1:34
	v_cndmask_b32_e32 v18, 0, v18, vcc
	v_add_u32_e32 v24, v19, v18
	v_add_u32_sdwa v22, v24, v28 dst_sel:DWORD dst_unused:UNUSED_PAD src0_sel:DWORD src1_sel:BYTE_0
	v_add_u32_sdwa v20, v22, v28 dst_sel:DWORD dst_unused:UNUSED_PAD src0_sel:DWORD src1_sel:BYTE_1
	v_add_u32_e32 v18, v20, v30
	s_waitcnt lgkmcnt(0)
	v_readfirstlane_b32 s26, v26
	v_readfirstlane_b32 s16, v27
	s_branch .LBB353_244
.LBB353_234:
                                        ; implicit-def: $vgpr18
                                        ; implicit-def: $vgpr20
                                        ; implicit-def: $vgpr22
                                        ; implicit-def: $vgpr24
                                        ; implicit-def: $sgpr16
                                        ; implicit-def: $sgpr26
	s_cbranch_execz .LBB353_244
; %bb.235:
	s_nop 0
	v_mov_b32_dpp v18, v33 row_shr:1 row_mask:0xf bank_mask:0xf
	v_cndmask_b32_e64 v18, v18, 0, s[14:15]
	v_add_u32_e32 v18, v18, v33
	s_nop 1
	v_mov_b32_dpp v19, v18 row_shr:2 row_mask:0xf bank_mask:0xf
	v_cndmask_b32_e64 v19, 0, v19, s[12:13]
	v_add_u32_e32 v18, v18, v19
	;; [unrolled: 4-line block ×4, first 2 shown]
	s_nop 1
	v_mov_b32_dpp v19, v18 row_bcast:15 row_mask:0xf bank_mask:0xf
	v_cndmask_b32_e64 v19, v19, 0, s[18:19]
	v_add_u32_e32 v18, v18, v19
	s_nop 1
	v_mov_b32_dpp v19, v18 row_bcast:31 row_mask:0xf bank_mask:0xf
	v_cndmask_b32_e64 v19, 0, v19, s[0:1]
	v_add_u32_e32 v18, v18, v19
	s_and_saveexec_b64 s[0:1], s[2:3]
	s_cbranch_execz .LBB353_237
; %bb.236:
	v_lshlrev_b32_e32 v19, 2, v32
	ds_write_b32 v19, v18
.LBB353_237:
	s_or_b64 exec, exec, s[0:1]
	v_cmp_gt_u32_e32 vcc, 2, v0
	s_waitcnt lgkmcnt(0)
	s_barrier
	s_and_saveexec_b64 s[0:1], vcc
	s_cbranch_execz .LBB353_239
; %bb.238:
	ds_read_b32 v19, v1
	v_bfe_i32 v20, v31, 0, 1
	s_waitcnt lgkmcnt(0)
	v_mov_b32_dpp v21, v19 row_shr:1 row_mask:0xf bank_mask:0xf
	v_and_b32_e32 v20, v20, v21
	v_add_u32_e32 v19, v20, v19
	ds_write_b32 v1, v19
.LBB353_239:
	s_or_b64 exec, exec, s[0:1]
	v_cmp_lt_u32_e32 vcc, 63, v0
	v_mov_b32_e32 v19, 0
	v_mov_b32_e32 v1, 0
	s_waitcnt lgkmcnt(0)
	s_barrier
	s_and_saveexec_b64 s[0:1], vcc
	s_cbranch_execz .LBB353_241
; %bb.240:
	v_lshl_add_u32 v1, v32, 2, -4
	ds_read_b32 v1, v1
.LBB353_241:
	s_or_b64 exec, exec, s[0:1]
	v_add_u32_e32 v20, -1, v31
	v_and_b32_e32 v21, 64, v31
	v_cmp_lt_i32_e32 vcc, v20, v21
	v_cndmask_b32_e32 v20, v20, v31, vcc
	s_waitcnt lgkmcnt(0)
	v_add_u32_e32 v18, v1, v18
	v_lshlrev_b32_e32 v20, 2, v20
	ds_read_b32 v19, v19 offset:4
	ds_bpermute_b32 v18, v20, v18
	s_mov_b32 s16, 0
	v_cmp_eq_u32_e32 vcc, 0, v0
	s_waitcnt lgkmcnt(1)
	v_readfirstlane_b32 s26, v19
	s_and_saveexec_b64 s[0:1], vcc
	s_cbranch_execz .LBB353_243
; %bb.242:
	v_mov_b32_e32 v19, 0
	v_mov_b32_e32 v20, s26
	v_mov_b32_e32 v21, 2
	global_store_dwordx2 v19, v[20:21], s[30:31] offset:512
.LBB353_243:
	s_or_b64 exec, exec, s[0:1]
	v_cmp_eq_u32_e64 s[0:1], 0, v31
	s_waitcnt lgkmcnt(0)
	v_cndmask_b32_e64 v1, v18, v1, s[0:1]
	v_cndmask_b32_e64 v24, v1, 0, vcc
	v_add_u32_sdwa v22, v24, v28 dst_sel:DWORD dst_unused:UNUSED_PAD src0_sel:DWORD src1_sel:BYTE_0
	v_add_u32_sdwa v20, v22, v28 dst_sel:DWORD dst_unused:UNUSED_PAD src0_sel:DWORD src1_sel:BYTE_1
	v_add_u32_e32 v18, v20, v30
	s_barrier
.LBB353_244:
	s_load_dwordx4 s[4:7], s[4:5], 0x28
	s_cmpk_lt_u32 s26, 0x81
	s_cselect_b64 s[2:3], -1, 0
	v_lshrrev_b32_e32 v1, 8, v28
	s_mov_b64 s[0:1], -1
	s_and_b64 vcc, exec, s[2:3]
	s_cbranch_vccz .LBB353_258
; %bb.245:
	s_add_i32 s8, s16, s26
	v_cmp_gt_u32_e32 vcc, s8, v24
	s_or_b64 s[10:11], s[34:35], vcc
	s_and_saveexec_b64 s[0:1], s[10:11]
	s_cbranch_execz .LBB353_248
; %bb.246:
	v_and_b32_e32 v19, 1, v28
	v_cmp_eq_u32_e32 vcc, 1, v19
	s_and_b64 exec, exec, vcc
	s_cbranch_execz .LBB353_248
; %bb.247:
	s_lshl_b64 s[10:11], s[22:23], 3
	s_waitcnt lgkmcnt(0)
	s_add_u32 s9, s4, s10
	v_mov_b32_e32 v25, 0
	s_addc_u32 s10, s5, s11
	v_lshlrev_b64 v[26:27], 3, v[24:25]
	v_mov_b32_e32 v19, s10
	v_add_co_u32_e32 v26, vcc, s9, v26
	v_addc_co_u32_e32 v27, vcc, v19, v27, vcc
	global_store_dwordx2 v[26:27], v[14:15], off
.LBB353_248:
	s_or_b64 exec, exec, s[0:1]
	v_cmp_gt_u32_e32 vcc, s8, v22
	s_or_b64 s[10:11], s[34:35], vcc
	s_and_saveexec_b64 s[0:1], s[10:11]
	s_cbranch_execz .LBB353_251
; %bb.249:
	v_and_b32_e32 v19, 1, v1
	v_cmp_eq_u32_e32 vcc, 1, v19
	s_and_b64 exec, exec, vcc
	s_cbranch_execz .LBB353_251
; %bb.250:
	s_lshl_b64 s[10:11], s[22:23], 3
	s_waitcnt lgkmcnt(0)
	s_add_u32 s9, s4, s10
	v_mov_b32_e32 v23, 0
	s_addc_u32 s10, s5, s11
	v_lshlrev_b64 v[26:27], 3, v[22:23]
	v_mov_b32_e32 v19, s10
	v_add_co_u32_e32 v26, vcc, s9, v26
	v_addc_co_u32_e32 v27, vcc, v19, v27, vcc
	global_store_dwordx2 v[26:27], v[16:17], off
.LBB353_251:
	s_or_b64 exec, exec, s[0:1]
	v_cmp_gt_u32_e32 vcc, s8, v20
	s_or_b64 s[10:11], s[34:35], vcc
	s_and_saveexec_b64 s[0:1], s[10:11]
	s_cbranch_execz .LBB353_254
; %bb.252:
	v_mov_b32_e32 v19, 1
	v_and_b32_sdwa v19, v19, v28 dst_sel:DWORD dst_unused:UNUSED_PAD src0_sel:DWORD src1_sel:WORD_1
	v_cmp_eq_u32_e32 vcc, 1, v19
	s_and_b64 exec, exec, vcc
	s_cbranch_execz .LBB353_254
; %bb.253:
	s_lshl_b64 s[10:11], s[22:23], 3
	s_waitcnt lgkmcnt(0)
	s_add_u32 s9, s4, s10
	v_mov_b32_e32 v21, 0
	s_addc_u32 s10, s5, s11
	v_lshlrev_b64 v[26:27], 3, v[20:21]
	v_mov_b32_e32 v19, s10
	v_add_co_u32_e32 v26, vcc, s9, v26
	v_addc_co_u32_e32 v27, vcc, v19, v27, vcc
	global_store_dwordx2 v[26:27], v[10:11], off
.LBB353_254:
	s_or_b64 exec, exec, s[0:1]
	v_cmp_gt_u32_e32 vcc, s8, v18
	s_or_b64 s[8:9], s[34:35], vcc
	s_and_saveexec_b64 s[0:1], s[8:9]
	s_cbranch_execz .LBB353_257
; %bb.255:
	v_and_b32_e32 v19, 1, v29
	v_cmp_eq_u32_e32 vcc, 1, v19
	s_and_b64 exec, exec, vcc
	s_cbranch_execz .LBB353_257
; %bb.256:
	s_lshl_b64 s[8:9], s[22:23], 3
	s_waitcnt lgkmcnt(0)
	s_add_u32 s8, s4, s8
	v_mov_b32_e32 v19, 0
	s_addc_u32 s9, s5, s9
	v_lshlrev_b64 v[26:27], 3, v[18:19]
	v_mov_b32_e32 v19, s9
	v_add_co_u32_e32 v26, vcc, s8, v26
	v_addc_co_u32_e32 v27, vcc, v19, v27, vcc
	global_store_dwordx2 v[26:27], v[12:13], off
.LBB353_257:
	s_or_b64 exec, exec, s[0:1]
	s_mov_b64 s[0:1], 0
.LBB353_258:
	v_and_b32_e32 v26, 1, v28
	s_and_b64 vcc, exec, s[0:1]
	v_cmp_eq_u32_e64 s[0:1], 1, v26
	s_cbranch_vccz .LBB353_271
; %bb.259:
	s_and_saveexec_b64 s[8:9], s[0:1]
	s_cbranch_execz .LBB353_261
; %bb.260:
	v_subrev_u32_e32 v19, s16, v24
	v_lshlrev_b32_e32 v19, 3, v19
	ds_write_b64 v19, v[14:15]
.LBB353_261:
	s_or_b64 exec, exec, s[8:9]
	v_and_b32_e32 v14, 1, v1
	v_cmp_eq_u32_e32 vcc, 1, v14
	s_and_saveexec_b64 s[0:1], vcc
	s_cbranch_execz .LBB353_263
; %bb.262:
	v_subrev_u32_e32 v14, s16, v22
	v_lshlrev_b32_e32 v14, 3, v14
	ds_write_b64 v14, v[16:17]
.LBB353_263:
	s_or_b64 exec, exec, s[0:1]
	v_mov_b32_e32 v14, 1
	v_and_b32_sdwa v14, v14, v28 dst_sel:DWORD dst_unused:UNUSED_PAD src0_sel:DWORD src1_sel:WORD_1
	v_cmp_eq_u32_e32 vcc, 1, v14
	s_and_saveexec_b64 s[0:1], vcc
	s_cbranch_execz .LBB353_265
; %bb.264:
	v_subrev_u32_e32 v14, s16, v20
	v_lshlrev_b32_e32 v14, 3, v14
	ds_write_b64 v14, v[10:11]
.LBB353_265:
	s_or_b64 exec, exec, s[0:1]
	v_and_b32_e32 v10, 1, v29
	v_cmp_eq_u32_e32 vcc, 1, v10
	s_and_saveexec_b64 s[0:1], vcc
	s_cbranch_execz .LBB353_267
; %bb.266:
	v_subrev_u32_e32 v10, s16, v18
	v_lshlrev_b32_e32 v10, 3, v10
	ds_write_b64 v10, v[12:13]
.LBB353_267:
	s_or_b64 exec, exec, s[0:1]
	v_cmp_gt_u32_e32 vcc, s26, v0
	s_waitcnt lgkmcnt(0)
	s_barrier
	s_and_saveexec_b64 s[0:1], vcc
	s_cbranch_execz .LBB353_270
; %bb.268:
	s_mov_b32 s17, 0
	s_lshl_b64 s[8:9], s[16:17], 3
	s_add_u32 s8, s4, s8
	s_addc_u32 s9, s5, s9
	s_lshl_b64 s[4:5], s[22:23], 3
	s_add_u32 s8, s8, s4
	s_addc_u32 s9, s9, s5
	v_lshlrev_b32_e32 v12, 3, v0
	s_mov_b64 s[4:5], 0
	v_mov_b32_e32 v11, 0
	v_mov_b32_e32 v13, s9
	;; [unrolled: 1-line block ×3, first 2 shown]
.LBB353_269:                            ; =>This Inner Loop Header: Depth=1
	ds_read_b64 v[14:15], v12
	v_lshlrev_b64 v[16:17], 3, v[10:11]
	v_add_co_u32_e32 v16, vcc, s8, v16
	v_add_u32_e32 v10, 0x80, v10
	v_addc_co_u32_e32 v17, vcc, v13, v17, vcc
	v_cmp_le_u32_e32 vcc, s26, v10
	v_add_u32_e32 v12, 0x400, v12
	s_or_b64 s[4:5], vcc, s[4:5]
	s_waitcnt lgkmcnt(0)
	global_store_dwordx2 v[16:17], v[14:15], off
	s_andn2_b64 exec, exec, s[4:5]
	s_cbranch_execnz .LBB353_269
.LBB353_270:
	s_or_b64 exec, exec, s[0:1]
.LBB353_271:
	s_mov_b64 s[0:1], -1
	s_and_b64 vcc, exec, s[2:3]
	s_waitcnt lgkmcnt(0)
	s_barrier
	s_cbranch_vccnz .LBB353_275
; %bb.272:
	s_and_b64 vcc, exec, s[0:1]
	s_cbranch_vccnz .LBB353_288
.LBB353_273:
	v_cmp_eq_u32_e32 vcc, 0, v0
	s_and_b64 s[0:1], vcc, s[24:25]
	s_and_saveexec_b64 s[2:3], s[0:1]
	s_cbranch_execnz .LBB353_300
.LBB353_274:
	s_endpgm
.LBB353_275:
	s_add_i32 s2, s16, s26
	v_cmp_gt_u32_e32 vcc, s2, v24
	s_or_b64 s[4:5], s[34:35], vcc
	s_and_saveexec_b64 s[0:1], s[4:5]
	s_cbranch_execz .LBB353_278
; %bb.276:
	v_cmp_eq_u32_e32 vcc, 1, v26
	s_and_b64 exec, exec, vcc
	s_cbranch_execz .LBB353_278
; %bb.277:
	s_lshl_b64 s[4:5], s[22:23], 3
	s_add_u32 s3, s6, s4
	v_mov_b32_e32 v25, 0
	s_addc_u32 s4, s7, s5
	v_lshlrev_b64 v[10:11], 3, v[24:25]
	v_mov_b32_e32 v12, s4
	v_add_co_u32_e32 v10, vcc, s3, v10
	v_addc_co_u32_e32 v11, vcc, v12, v11, vcc
	global_store_dwordx2 v[10:11], v[6:7], off
.LBB353_278:
	s_or_b64 exec, exec, s[0:1]
	v_cmp_gt_u32_e32 vcc, s2, v22
	s_or_b64 s[4:5], s[34:35], vcc
	s_and_saveexec_b64 s[0:1], s[4:5]
	s_cbranch_execz .LBB353_281
; %bb.279:
	v_and_b32_e32 v10, 1, v1
	v_cmp_eq_u32_e32 vcc, 1, v10
	s_and_b64 exec, exec, vcc
	s_cbranch_execz .LBB353_281
; %bb.280:
	s_lshl_b64 s[4:5], s[22:23], 3
	s_add_u32 s3, s6, s4
	v_mov_b32_e32 v23, 0
	s_addc_u32 s4, s7, s5
	v_lshlrev_b64 v[10:11], 3, v[22:23]
	v_mov_b32_e32 v12, s4
	v_add_co_u32_e32 v10, vcc, s3, v10
	v_addc_co_u32_e32 v11, vcc, v12, v11, vcc
	global_store_dwordx2 v[10:11], v[8:9], off
.LBB353_281:
	s_or_b64 exec, exec, s[0:1]
	v_cmp_gt_u32_e32 vcc, s2, v20
	s_or_b64 s[4:5], s[34:35], vcc
	s_and_saveexec_b64 s[0:1], s[4:5]
	s_cbranch_execz .LBB353_284
; %bb.282:
	v_mov_b32_e32 v10, 1
	v_and_b32_sdwa v10, v10, v28 dst_sel:DWORD dst_unused:UNUSED_PAD src0_sel:DWORD src1_sel:WORD_1
	v_cmp_eq_u32_e32 vcc, 1, v10
	s_and_b64 exec, exec, vcc
	s_cbranch_execz .LBB353_284
; %bb.283:
	s_lshl_b64 s[4:5], s[22:23], 3
	s_add_u32 s3, s6, s4
	v_mov_b32_e32 v21, 0
	s_addc_u32 s4, s7, s5
	v_lshlrev_b64 v[10:11], 3, v[20:21]
	v_mov_b32_e32 v12, s4
	v_add_co_u32_e32 v10, vcc, s3, v10
	v_addc_co_u32_e32 v11, vcc, v12, v11, vcc
	global_store_dwordx2 v[10:11], v[2:3], off
.LBB353_284:
	s_or_b64 exec, exec, s[0:1]
	v_cmp_gt_u32_e32 vcc, s2, v18
	s_or_b64 s[2:3], s[34:35], vcc
	s_and_saveexec_b64 s[0:1], s[2:3]
	s_cbranch_execz .LBB353_287
; %bb.285:
	v_and_b32_e32 v10, 1, v29
	v_cmp_eq_u32_e32 vcc, 1, v10
	s_and_b64 exec, exec, vcc
	s_cbranch_execz .LBB353_287
; %bb.286:
	s_lshl_b64 s[2:3], s[22:23], 3
	s_add_u32 s2, s6, s2
	v_mov_b32_e32 v19, 0
	s_addc_u32 s3, s7, s3
	v_lshlrev_b64 v[10:11], 3, v[18:19]
	v_mov_b32_e32 v12, s3
	v_add_co_u32_e32 v10, vcc, s2, v10
	v_addc_co_u32_e32 v11, vcc, v12, v11, vcc
	global_store_dwordx2 v[10:11], v[4:5], off
.LBB353_287:
	s_or_b64 exec, exec, s[0:1]
	s_branch .LBB353_273
.LBB353_288:
	v_cmp_eq_u32_e32 vcc, 1, v26
	s_and_saveexec_b64 s[0:1], vcc
	s_cbranch_execz .LBB353_290
; %bb.289:
	v_subrev_u32_e32 v10, s16, v24
	v_lshlrev_b32_e32 v10, 3, v10
	ds_write_b64 v10, v[6:7]
.LBB353_290:
	s_or_b64 exec, exec, s[0:1]
	v_and_b32_e32 v1, 1, v1
	v_cmp_eq_u32_e32 vcc, 1, v1
	s_and_saveexec_b64 s[0:1], vcc
	s_cbranch_execz .LBB353_292
; %bb.291:
	v_subrev_u32_e32 v1, s16, v22
	v_lshlrev_b32_e32 v1, 3, v1
	ds_write_b64 v1, v[8:9]
.LBB353_292:
	s_or_b64 exec, exec, s[0:1]
	v_mov_b32_e32 v1, 1
	v_and_b32_sdwa v1, v1, v28 dst_sel:DWORD dst_unused:UNUSED_PAD src0_sel:DWORD src1_sel:WORD_1
	v_cmp_eq_u32_e32 vcc, 1, v1
	s_and_saveexec_b64 s[0:1], vcc
	s_cbranch_execz .LBB353_294
; %bb.293:
	v_subrev_u32_e32 v1, s16, v20
	v_lshlrev_b32_e32 v1, 3, v1
	ds_write_b64 v1, v[2:3]
.LBB353_294:
	s_or_b64 exec, exec, s[0:1]
	v_and_b32_e32 v1, 1, v29
	v_cmp_eq_u32_e32 vcc, 1, v1
	s_and_saveexec_b64 s[0:1], vcc
	s_cbranch_execz .LBB353_296
; %bb.295:
	v_subrev_u32_e32 v1, s16, v18
	v_lshlrev_b32_e32 v1, 3, v1
	ds_write_b64 v1, v[4:5]
.LBB353_296:
	s_or_b64 exec, exec, s[0:1]
	v_cmp_gt_u32_e32 vcc, s26, v0
	s_waitcnt lgkmcnt(0)
	s_barrier
	s_and_saveexec_b64 s[0:1], vcc
	s_cbranch_execz .LBB353_299
; %bb.297:
	s_mov_b32 s17, 0
	s_lshl_b64 s[2:3], s[16:17], 3
	s_add_u32 s4, s6, s2
	s_addc_u32 s5, s7, s3
	s_lshl_b64 s[2:3], s[22:23], 3
	s_add_u32 s4, s4, s2
	s_addc_u32 s5, s5, s3
	v_lshlrev_b32_e32 v1, 3, v0
	s_mov_b64 s[2:3], 0
	v_mov_b32_e32 v3, 0
	v_mov_b32_e32 v4, s5
	;; [unrolled: 1-line block ×3, first 2 shown]
.LBB353_298:                            ; =>This Inner Loop Header: Depth=1
	ds_read_b64 v[6:7], v1
	v_lshlrev_b64 v[8:9], 3, v[2:3]
	v_add_co_u32_e32 v8, vcc, s4, v8
	v_add_u32_e32 v2, 0x80, v2
	v_addc_co_u32_e32 v9, vcc, v4, v9, vcc
	v_cmp_le_u32_e32 vcc, s26, v2
	v_add_u32_e32 v1, 0x400, v1
	s_or_b64 s[2:3], vcc, s[2:3]
	s_waitcnt lgkmcnt(0)
	global_store_dwordx2 v[8:9], v[6:7], off
	s_andn2_b64 exec, exec, s[2:3]
	s_cbranch_execnz .LBB353_298
.LBB353_299:
	s_or_b64 exec, exec, s[0:1]
	v_cmp_eq_u32_e32 vcc, 0, v0
	s_and_b64 s[0:1], vcc, s[24:25]
	s_and_saveexec_b64 s[2:3], s[0:1]
	s_cbranch_execz .LBB353_274
.LBB353_300:
	s_add_u32 s0, s22, s26
	s_addc_u32 s1, s23, 0
	s_add_u32 s0, s0, s16
	s_addc_u32 s1, s1, 0
	v_mov_b32_e32 v2, 0
	v_pk_mov_b32 v[0:1], s[0:1], s[0:1] op_sel:[0,1]
	global_store_dwordx2 v2, v[0:1], s[20:21]
	s_endpgm
	.section	.rodata,"a",@progbits
	.p2align	6, 0x0
	.amdhsa_kernel _ZN7rocprim17ROCPRIM_400000_NS6detail17trampoline_kernelINS0_14default_configENS1_25partition_config_selectorILNS1_17partition_subalgoE9EllbEEZZNS1_14partition_implILS5_9ELb0ES3_jPlS8_PNS0_10empty_typeENS0_5tupleIJS8_S9_EEENSB_IJS8_SA_EEENS0_18inequality_wrapperIZN2at6native12_GLOBAL__N_124unique_dim_cuda_templateIaEESt5tupleIJNSF_6TensorESK_SK_EERKSK_lbbbEUlllE0_EEPmJS9_EEE10hipError_tPvRmT3_T4_T5_T6_T7_T9_mT8_P12ihipStream_tbDpT10_ENKUlT_T0_E_clISt17integral_constantIbLb0EES1A_EEDaS15_S16_EUlS15_E_NS1_11comp_targetILNS1_3genE4ELNS1_11target_archE910ELNS1_3gpuE8ELNS1_3repE0EEENS1_30default_config_static_selectorELNS0_4arch9wavefront6targetE1EEEvT1_
		.amdhsa_group_segment_fixed_size 4236
		.amdhsa_private_segment_fixed_size 0
		.amdhsa_kernarg_size 120
		.amdhsa_user_sgpr_count 6
		.amdhsa_user_sgpr_private_segment_buffer 1
		.amdhsa_user_sgpr_dispatch_ptr 0
		.amdhsa_user_sgpr_queue_ptr 0
		.amdhsa_user_sgpr_kernarg_segment_ptr 1
		.amdhsa_user_sgpr_dispatch_id 0
		.amdhsa_user_sgpr_flat_scratch_init 0
		.amdhsa_user_sgpr_kernarg_preload_length 0
		.amdhsa_user_sgpr_kernarg_preload_offset 0
		.amdhsa_user_sgpr_private_segment_size 0
		.amdhsa_uses_dynamic_stack 0
		.amdhsa_system_sgpr_private_segment_wavefront_offset 0
		.amdhsa_system_sgpr_workgroup_id_x 1
		.amdhsa_system_sgpr_workgroup_id_y 0
		.amdhsa_system_sgpr_workgroup_id_z 0
		.amdhsa_system_sgpr_workgroup_info 0
		.amdhsa_system_vgpr_workitem_id 0
		.amdhsa_next_free_vgpr 50
		.amdhsa_next_free_sgpr 46
		.amdhsa_accum_offset 52
		.amdhsa_reserve_vcc 1
		.amdhsa_reserve_flat_scratch 0
		.amdhsa_float_round_mode_32 0
		.amdhsa_float_round_mode_16_64 0
		.amdhsa_float_denorm_mode_32 3
		.amdhsa_float_denorm_mode_16_64 3
		.amdhsa_dx10_clamp 1
		.amdhsa_ieee_mode 1
		.amdhsa_fp16_overflow 0
		.amdhsa_tg_split 0
		.amdhsa_exception_fp_ieee_invalid_op 0
		.amdhsa_exception_fp_denorm_src 0
		.amdhsa_exception_fp_ieee_div_zero 0
		.amdhsa_exception_fp_ieee_overflow 0
		.amdhsa_exception_fp_ieee_underflow 0
		.amdhsa_exception_fp_ieee_inexact 0
		.amdhsa_exception_int_div_zero 0
	.end_amdhsa_kernel
	.section	.text._ZN7rocprim17ROCPRIM_400000_NS6detail17trampoline_kernelINS0_14default_configENS1_25partition_config_selectorILNS1_17partition_subalgoE9EllbEEZZNS1_14partition_implILS5_9ELb0ES3_jPlS8_PNS0_10empty_typeENS0_5tupleIJS8_S9_EEENSB_IJS8_SA_EEENS0_18inequality_wrapperIZN2at6native12_GLOBAL__N_124unique_dim_cuda_templateIaEESt5tupleIJNSF_6TensorESK_SK_EERKSK_lbbbEUlllE0_EEPmJS9_EEE10hipError_tPvRmT3_T4_T5_T6_T7_T9_mT8_P12ihipStream_tbDpT10_ENKUlT_T0_E_clISt17integral_constantIbLb0EES1A_EEDaS15_S16_EUlS15_E_NS1_11comp_targetILNS1_3genE4ELNS1_11target_archE910ELNS1_3gpuE8ELNS1_3repE0EEENS1_30default_config_static_selectorELNS0_4arch9wavefront6targetE1EEEvT1_,"axG",@progbits,_ZN7rocprim17ROCPRIM_400000_NS6detail17trampoline_kernelINS0_14default_configENS1_25partition_config_selectorILNS1_17partition_subalgoE9EllbEEZZNS1_14partition_implILS5_9ELb0ES3_jPlS8_PNS0_10empty_typeENS0_5tupleIJS8_S9_EEENSB_IJS8_SA_EEENS0_18inequality_wrapperIZN2at6native12_GLOBAL__N_124unique_dim_cuda_templateIaEESt5tupleIJNSF_6TensorESK_SK_EERKSK_lbbbEUlllE0_EEPmJS9_EEE10hipError_tPvRmT3_T4_T5_T6_T7_T9_mT8_P12ihipStream_tbDpT10_ENKUlT_T0_E_clISt17integral_constantIbLb0EES1A_EEDaS15_S16_EUlS15_E_NS1_11comp_targetILNS1_3genE4ELNS1_11target_archE910ELNS1_3gpuE8ELNS1_3repE0EEENS1_30default_config_static_selectorELNS0_4arch9wavefront6targetE1EEEvT1_,comdat
.Lfunc_end353:
	.size	_ZN7rocprim17ROCPRIM_400000_NS6detail17trampoline_kernelINS0_14default_configENS1_25partition_config_selectorILNS1_17partition_subalgoE9EllbEEZZNS1_14partition_implILS5_9ELb0ES3_jPlS8_PNS0_10empty_typeENS0_5tupleIJS8_S9_EEENSB_IJS8_SA_EEENS0_18inequality_wrapperIZN2at6native12_GLOBAL__N_124unique_dim_cuda_templateIaEESt5tupleIJNSF_6TensorESK_SK_EERKSK_lbbbEUlllE0_EEPmJS9_EEE10hipError_tPvRmT3_T4_T5_T6_T7_T9_mT8_P12ihipStream_tbDpT10_ENKUlT_T0_E_clISt17integral_constantIbLb0EES1A_EEDaS15_S16_EUlS15_E_NS1_11comp_targetILNS1_3genE4ELNS1_11target_archE910ELNS1_3gpuE8ELNS1_3repE0EEENS1_30default_config_static_selectorELNS0_4arch9wavefront6targetE1EEEvT1_, .Lfunc_end353-_ZN7rocprim17ROCPRIM_400000_NS6detail17trampoline_kernelINS0_14default_configENS1_25partition_config_selectorILNS1_17partition_subalgoE9EllbEEZZNS1_14partition_implILS5_9ELb0ES3_jPlS8_PNS0_10empty_typeENS0_5tupleIJS8_S9_EEENSB_IJS8_SA_EEENS0_18inequality_wrapperIZN2at6native12_GLOBAL__N_124unique_dim_cuda_templateIaEESt5tupleIJNSF_6TensorESK_SK_EERKSK_lbbbEUlllE0_EEPmJS9_EEE10hipError_tPvRmT3_T4_T5_T6_T7_T9_mT8_P12ihipStream_tbDpT10_ENKUlT_T0_E_clISt17integral_constantIbLb0EES1A_EEDaS15_S16_EUlS15_E_NS1_11comp_targetILNS1_3genE4ELNS1_11target_archE910ELNS1_3gpuE8ELNS1_3repE0EEENS1_30default_config_static_selectorELNS0_4arch9wavefront6targetE1EEEvT1_
                                        ; -- End function
	.section	.AMDGPU.csdata,"",@progbits
; Kernel info:
; codeLenInByte = 9480
; NumSgprs: 50
; NumVgprs: 50
; NumAgprs: 0
; TotalNumVgprs: 50
; ScratchSize: 0
; MemoryBound: 0
; FloatMode: 240
; IeeeMode: 1
; LDSByteSize: 4236 bytes/workgroup (compile time only)
; SGPRBlocks: 6
; VGPRBlocks: 6
; NumSGPRsForWavesPerEU: 50
; NumVGPRsForWavesPerEU: 50
; AccumOffset: 52
; Occupancy: 8
; WaveLimiterHint : 1
; COMPUTE_PGM_RSRC2:SCRATCH_EN: 0
; COMPUTE_PGM_RSRC2:USER_SGPR: 6
; COMPUTE_PGM_RSRC2:TRAP_HANDLER: 0
; COMPUTE_PGM_RSRC2:TGID_X_EN: 1
; COMPUTE_PGM_RSRC2:TGID_Y_EN: 0
; COMPUTE_PGM_RSRC2:TGID_Z_EN: 0
; COMPUTE_PGM_RSRC2:TIDIG_COMP_CNT: 0
; COMPUTE_PGM_RSRC3_GFX90A:ACCUM_OFFSET: 12
; COMPUTE_PGM_RSRC3_GFX90A:TG_SPLIT: 0
	.section	.text._ZN7rocprim17ROCPRIM_400000_NS6detail17trampoline_kernelINS0_14default_configENS1_25partition_config_selectorILNS1_17partition_subalgoE9EllbEEZZNS1_14partition_implILS5_9ELb0ES3_jPlS8_PNS0_10empty_typeENS0_5tupleIJS8_S9_EEENSB_IJS8_SA_EEENS0_18inequality_wrapperIZN2at6native12_GLOBAL__N_124unique_dim_cuda_templateIaEESt5tupleIJNSF_6TensorESK_SK_EERKSK_lbbbEUlllE0_EEPmJS9_EEE10hipError_tPvRmT3_T4_T5_T6_T7_T9_mT8_P12ihipStream_tbDpT10_ENKUlT_T0_E_clISt17integral_constantIbLb0EES1A_EEDaS15_S16_EUlS15_E_NS1_11comp_targetILNS1_3genE3ELNS1_11target_archE908ELNS1_3gpuE7ELNS1_3repE0EEENS1_30default_config_static_selectorELNS0_4arch9wavefront6targetE1EEEvT1_,"axG",@progbits,_ZN7rocprim17ROCPRIM_400000_NS6detail17trampoline_kernelINS0_14default_configENS1_25partition_config_selectorILNS1_17partition_subalgoE9EllbEEZZNS1_14partition_implILS5_9ELb0ES3_jPlS8_PNS0_10empty_typeENS0_5tupleIJS8_S9_EEENSB_IJS8_SA_EEENS0_18inequality_wrapperIZN2at6native12_GLOBAL__N_124unique_dim_cuda_templateIaEESt5tupleIJNSF_6TensorESK_SK_EERKSK_lbbbEUlllE0_EEPmJS9_EEE10hipError_tPvRmT3_T4_T5_T6_T7_T9_mT8_P12ihipStream_tbDpT10_ENKUlT_T0_E_clISt17integral_constantIbLb0EES1A_EEDaS15_S16_EUlS15_E_NS1_11comp_targetILNS1_3genE3ELNS1_11target_archE908ELNS1_3gpuE7ELNS1_3repE0EEENS1_30default_config_static_selectorELNS0_4arch9wavefront6targetE1EEEvT1_,comdat
	.globl	_ZN7rocprim17ROCPRIM_400000_NS6detail17trampoline_kernelINS0_14default_configENS1_25partition_config_selectorILNS1_17partition_subalgoE9EllbEEZZNS1_14partition_implILS5_9ELb0ES3_jPlS8_PNS0_10empty_typeENS0_5tupleIJS8_S9_EEENSB_IJS8_SA_EEENS0_18inequality_wrapperIZN2at6native12_GLOBAL__N_124unique_dim_cuda_templateIaEESt5tupleIJNSF_6TensorESK_SK_EERKSK_lbbbEUlllE0_EEPmJS9_EEE10hipError_tPvRmT3_T4_T5_T6_T7_T9_mT8_P12ihipStream_tbDpT10_ENKUlT_T0_E_clISt17integral_constantIbLb0EES1A_EEDaS15_S16_EUlS15_E_NS1_11comp_targetILNS1_3genE3ELNS1_11target_archE908ELNS1_3gpuE7ELNS1_3repE0EEENS1_30default_config_static_selectorELNS0_4arch9wavefront6targetE1EEEvT1_ ; -- Begin function _ZN7rocprim17ROCPRIM_400000_NS6detail17trampoline_kernelINS0_14default_configENS1_25partition_config_selectorILNS1_17partition_subalgoE9EllbEEZZNS1_14partition_implILS5_9ELb0ES3_jPlS8_PNS0_10empty_typeENS0_5tupleIJS8_S9_EEENSB_IJS8_SA_EEENS0_18inequality_wrapperIZN2at6native12_GLOBAL__N_124unique_dim_cuda_templateIaEESt5tupleIJNSF_6TensorESK_SK_EERKSK_lbbbEUlllE0_EEPmJS9_EEE10hipError_tPvRmT3_T4_T5_T6_T7_T9_mT8_P12ihipStream_tbDpT10_ENKUlT_T0_E_clISt17integral_constantIbLb0EES1A_EEDaS15_S16_EUlS15_E_NS1_11comp_targetILNS1_3genE3ELNS1_11target_archE908ELNS1_3gpuE7ELNS1_3repE0EEENS1_30default_config_static_selectorELNS0_4arch9wavefront6targetE1EEEvT1_
	.p2align	8
	.type	_ZN7rocprim17ROCPRIM_400000_NS6detail17trampoline_kernelINS0_14default_configENS1_25partition_config_selectorILNS1_17partition_subalgoE9EllbEEZZNS1_14partition_implILS5_9ELb0ES3_jPlS8_PNS0_10empty_typeENS0_5tupleIJS8_S9_EEENSB_IJS8_SA_EEENS0_18inequality_wrapperIZN2at6native12_GLOBAL__N_124unique_dim_cuda_templateIaEESt5tupleIJNSF_6TensorESK_SK_EERKSK_lbbbEUlllE0_EEPmJS9_EEE10hipError_tPvRmT3_T4_T5_T6_T7_T9_mT8_P12ihipStream_tbDpT10_ENKUlT_T0_E_clISt17integral_constantIbLb0EES1A_EEDaS15_S16_EUlS15_E_NS1_11comp_targetILNS1_3genE3ELNS1_11target_archE908ELNS1_3gpuE7ELNS1_3repE0EEENS1_30default_config_static_selectorELNS0_4arch9wavefront6targetE1EEEvT1_,@function
_ZN7rocprim17ROCPRIM_400000_NS6detail17trampoline_kernelINS0_14default_configENS1_25partition_config_selectorILNS1_17partition_subalgoE9EllbEEZZNS1_14partition_implILS5_9ELb0ES3_jPlS8_PNS0_10empty_typeENS0_5tupleIJS8_S9_EEENSB_IJS8_SA_EEENS0_18inequality_wrapperIZN2at6native12_GLOBAL__N_124unique_dim_cuda_templateIaEESt5tupleIJNSF_6TensorESK_SK_EERKSK_lbbbEUlllE0_EEPmJS9_EEE10hipError_tPvRmT3_T4_T5_T6_T7_T9_mT8_P12ihipStream_tbDpT10_ENKUlT_T0_E_clISt17integral_constantIbLb0EES1A_EEDaS15_S16_EUlS15_E_NS1_11comp_targetILNS1_3genE3ELNS1_11target_archE908ELNS1_3gpuE7ELNS1_3repE0EEENS1_30default_config_static_selectorELNS0_4arch9wavefront6targetE1EEEvT1_: ; @_ZN7rocprim17ROCPRIM_400000_NS6detail17trampoline_kernelINS0_14default_configENS1_25partition_config_selectorILNS1_17partition_subalgoE9EllbEEZZNS1_14partition_implILS5_9ELb0ES3_jPlS8_PNS0_10empty_typeENS0_5tupleIJS8_S9_EEENSB_IJS8_SA_EEENS0_18inequality_wrapperIZN2at6native12_GLOBAL__N_124unique_dim_cuda_templateIaEESt5tupleIJNSF_6TensorESK_SK_EERKSK_lbbbEUlllE0_EEPmJS9_EEE10hipError_tPvRmT3_T4_T5_T6_T7_T9_mT8_P12ihipStream_tbDpT10_ENKUlT_T0_E_clISt17integral_constantIbLb0EES1A_EEDaS15_S16_EUlS15_E_NS1_11comp_targetILNS1_3genE3ELNS1_11target_archE908ELNS1_3gpuE7ELNS1_3repE0EEENS1_30default_config_static_selectorELNS0_4arch9wavefront6targetE1EEEvT1_
; %bb.0:
	.section	.rodata,"a",@progbits
	.p2align	6, 0x0
	.amdhsa_kernel _ZN7rocprim17ROCPRIM_400000_NS6detail17trampoline_kernelINS0_14default_configENS1_25partition_config_selectorILNS1_17partition_subalgoE9EllbEEZZNS1_14partition_implILS5_9ELb0ES3_jPlS8_PNS0_10empty_typeENS0_5tupleIJS8_S9_EEENSB_IJS8_SA_EEENS0_18inequality_wrapperIZN2at6native12_GLOBAL__N_124unique_dim_cuda_templateIaEESt5tupleIJNSF_6TensorESK_SK_EERKSK_lbbbEUlllE0_EEPmJS9_EEE10hipError_tPvRmT3_T4_T5_T6_T7_T9_mT8_P12ihipStream_tbDpT10_ENKUlT_T0_E_clISt17integral_constantIbLb0EES1A_EEDaS15_S16_EUlS15_E_NS1_11comp_targetILNS1_3genE3ELNS1_11target_archE908ELNS1_3gpuE7ELNS1_3repE0EEENS1_30default_config_static_selectorELNS0_4arch9wavefront6targetE1EEEvT1_
		.amdhsa_group_segment_fixed_size 0
		.amdhsa_private_segment_fixed_size 0
		.amdhsa_kernarg_size 120
		.amdhsa_user_sgpr_count 6
		.amdhsa_user_sgpr_private_segment_buffer 1
		.amdhsa_user_sgpr_dispatch_ptr 0
		.amdhsa_user_sgpr_queue_ptr 0
		.amdhsa_user_sgpr_kernarg_segment_ptr 1
		.amdhsa_user_sgpr_dispatch_id 0
		.amdhsa_user_sgpr_flat_scratch_init 0
		.amdhsa_user_sgpr_kernarg_preload_length 0
		.amdhsa_user_sgpr_kernarg_preload_offset 0
		.amdhsa_user_sgpr_private_segment_size 0
		.amdhsa_uses_dynamic_stack 0
		.amdhsa_system_sgpr_private_segment_wavefront_offset 0
		.amdhsa_system_sgpr_workgroup_id_x 1
		.amdhsa_system_sgpr_workgroup_id_y 0
		.amdhsa_system_sgpr_workgroup_id_z 0
		.amdhsa_system_sgpr_workgroup_info 0
		.amdhsa_system_vgpr_workitem_id 0
		.amdhsa_next_free_vgpr 1
		.amdhsa_next_free_sgpr 0
		.amdhsa_accum_offset 4
		.amdhsa_reserve_vcc 0
		.amdhsa_reserve_flat_scratch 0
		.amdhsa_float_round_mode_32 0
		.amdhsa_float_round_mode_16_64 0
		.amdhsa_float_denorm_mode_32 3
		.amdhsa_float_denorm_mode_16_64 3
		.amdhsa_dx10_clamp 1
		.amdhsa_ieee_mode 1
		.amdhsa_fp16_overflow 0
		.amdhsa_tg_split 0
		.amdhsa_exception_fp_ieee_invalid_op 0
		.amdhsa_exception_fp_denorm_src 0
		.amdhsa_exception_fp_ieee_div_zero 0
		.amdhsa_exception_fp_ieee_overflow 0
		.amdhsa_exception_fp_ieee_underflow 0
		.amdhsa_exception_fp_ieee_inexact 0
		.amdhsa_exception_int_div_zero 0
	.end_amdhsa_kernel
	.section	.text._ZN7rocprim17ROCPRIM_400000_NS6detail17trampoline_kernelINS0_14default_configENS1_25partition_config_selectorILNS1_17partition_subalgoE9EllbEEZZNS1_14partition_implILS5_9ELb0ES3_jPlS8_PNS0_10empty_typeENS0_5tupleIJS8_S9_EEENSB_IJS8_SA_EEENS0_18inequality_wrapperIZN2at6native12_GLOBAL__N_124unique_dim_cuda_templateIaEESt5tupleIJNSF_6TensorESK_SK_EERKSK_lbbbEUlllE0_EEPmJS9_EEE10hipError_tPvRmT3_T4_T5_T6_T7_T9_mT8_P12ihipStream_tbDpT10_ENKUlT_T0_E_clISt17integral_constantIbLb0EES1A_EEDaS15_S16_EUlS15_E_NS1_11comp_targetILNS1_3genE3ELNS1_11target_archE908ELNS1_3gpuE7ELNS1_3repE0EEENS1_30default_config_static_selectorELNS0_4arch9wavefront6targetE1EEEvT1_,"axG",@progbits,_ZN7rocprim17ROCPRIM_400000_NS6detail17trampoline_kernelINS0_14default_configENS1_25partition_config_selectorILNS1_17partition_subalgoE9EllbEEZZNS1_14partition_implILS5_9ELb0ES3_jPlS8_PNS0_10empty_typeENS0_5tupleIJS8_S9_EEENSB_IJS8_SA_EEENS0_18inequality_wrapperIZN2at6native12_GLOBAL__N_124unique_dim_cuda_templateIaEESt5tupleIJNSF_6TensorESK_SK_EERKSK_lbbbEUlllE0_EEPmJS9_EEE10hipError_tPvRmT3_T4_T5_T6_T7_T9_mT8_P12ihipStream_tbDpT10_ENKUlT_T0_E_clISt17integral_constantIbLb0EES1A_EEDaS15_S16_EUlS15_E_NS1_11comp_targetILNS1_3genE3ELNS1_11target_archE908ELNS1_3gpuE7ELNS1_3repE0EEENS1_30default_config_static_selectorELNS0_4arch9wavefront6targetE1EEEvT1_,comdat
.Lfunc_end354:
	.size	_ZN7rocprim17ROCPRIM_400000_NS6detail17trampoline_kernelINS0_14default_configENS1_25partition_config_selectorILNS1_17partition_subalgoE9EllbEEZZNS1_14partition_implILS5_9ELb0ES3_jPlS8_PNS0_10empty_typeENS0_5tupleIJS8_S9_EEENSB_IJS8_SA_EEENS0_18inequality_wrapperIZN2at6native12_GLOBAL__N_124unique_dim_cuda_templateIaEESt5tupleIJNSF_6TensorESK_SK_EERKSK_lbbbEUlllE0_EEPmJS9_EEE10hipError_tPvRmT3_T4_T5_T6_T7_T9_mT8_P12ihipStream_tbDpT10_ENKUlT_T0_E_clISt17integral_constantIbLb0EES1A_EEDaS15_S16_EUlS15_E_NS1_11comp_targetILNS1_3genE3ELNS1_11target_archE908ELNS1_3gpuE7ELNS1_3repE0EEENS1_30default_config_static_selectorELNS0_4arch9wavefront6targetE1EEEvT1_, .Lfunc_end354-_ZN7rocprim17ROCPRIM_400000_NS6detail17trampoline_kernelINS0_14default_configENS1_25partition_config_selectorILNS1_17partition_subalgoE9EllbEEZZNS1_14partition_implILS5_9ELb0ES3_jPlS8_PNS0_10empty_typeENS0_5tupleIJS8_S9_EEENSB_IJS8_SA_EEENS0_18inequality_wrapperIZN2at6native12_GLOBAL__N_124unique_dim_cuda_templateIaEESt5tupleIJNSF_6TensorESK_SK_EERKSK_lbbbEUlllE0_EEPmJS9_EEE10hipError_tPvRmT3_T4_T5_T6_T7_T9_mT8_P12ihipStream_tbDpT10_ENKUlT_T0_E_clISt17integral_constantIbLb0EES1A_EEDaS15_S16_EUlS15_E_NS1_11comp_targetILNS1_3genE3ELNS1_11target_archE908ELNS1_3gpuE7ELNS1_3repE0EEENS1_30default_config_static_selectorELNS0_4arch9wavefront6targetE1EEEvT1_
                                        ; -- End function
	.section	.AMDGPU.csdata,"",@progbits
; Kernel info:
; codeLenInByte = 0
; NumSgprs: 4
; NumVgprs: 0
; NumAgprs: 0
; TotalNumVgprs: 0
; ScratchSize: 0
; MemoryBound: 0
; FloatMode: 240
; IeeeMode: 1
; LDSByteSize: 0 bytes/workgroup (compile time only)
; SGPRBlocks: 0
; VGPRBlocks: 0
; NumSGPRsForWavesPerEU: 4
; NumVGPRsForWavesPerEU: 1
; AccumOffset: 4
; Occupancy: 8
; WaveLimiterHint : 0
; COMPUTE_PGM_RSRC2:SCRATCH_EN: 0
; COMPUTE_PGM_RSRC2:USER_SGPR: 6
; COMPUTE_PGM_RSRC2:TRAP_HANDLER: 0
; COMPUTE_PGM_RSRC2:TGID_X_EN: 1
; COMPUTE_PGM_RSRC2:TGID_Y_EN: 0
; COMPUTE_PGM_RSRC2:TGID_Z_EN: 0
; COMPUTE_PGM_RSRC2:TIDIG_COMP_CNT: 0
; COMPUTE_PGM_RSRC3_GFX90A:ACCUM_OFFSET: 0
; COMPUTE_PGM_RSRC3_GFX90A:TG_SPLIT: 0
	.section	.text._ZN7rocprim17ROCPRIM_400000_NS6detail17trampoline_kernelINS0_14default_configENS1_25partition_config_selectorILNS1_17partition_subalgoE9EllbEEZZNS1_14partition_implILS5_9ELb0ES3_jPlS8_PNS0_10empty_typeENS0_5tupleIJS8_S9_EEENSB_IJS8_SA_EEENS0_18inequality_wrapperIZN2at6native12_GLOBAL__N_124unique_dim_cuda_templateIaEESt5tupleIJNSF_6TensorESK_SK_EERKSK_lbbbEUlllE0_EEPmJS9_EEE10hipError_tPvRmT3_T4_T5_T6_T7_T9_mT8_P12ihipStream_tbDpT10_ENKUlT_T0_E_clISt17integral_constantIbLb0EES1A_EEDaS15_S16_EUlS15_E_NS1_11comp_targetILNS1_3genE2ELNS1_11target_archE906ELNS1_3gpuE6ELNS1_3repE0EEENS1_30default_config_static_selectorELNS0_4arch9wavefront6targetE1EEEvT1_,"axG",@progbits,_ZN7rocprim17ROCPRIM_400000_NS6detail17trampoline_kernelINS0_14default_configENS1_25partition_config_selectorILNS1_17partition_subalgoE9EllbEEZZNS1_14partition_implILS5_9ELb0ES3_jPlS8_PNS0_10empty_typeENS0_5tupleIJS8_S9_EEENSB_IJS8_SA_EEENS0_18inequality_wrapperIZN2at6native12_GLOBAL__N_124unique_dim_cuda_templateIaEESt5tupleIJNSF_6TensorESK_SK_EERKSK_lbbbEUlllE0_EEPmJS9_EEE10hipError_tPvRmT3_T4_T5_T6_T7_T9_mT8_P12ihipStream_tbDpT10_ENKUlT_T0_E_clISt17integral_constantIbLb0EES1A_EEDaS15_S16_EUlS15_E_NS1_11comp_targetILNS1_3genE2ELNS1_11target_archE906ELNS1_3gpuE6ELNS1_3repE0EEENS1_30default_config_static_selectorELNS0_4arch9wavefront6targetE1EEEvT1_,comdat
	.globl	_ZN7rocprim17ROCPRIM_400000_NS6detail17trampoline_kernelINS0_14default_configENS1_25partition_config_selectorILNS1_17partition_subalgoE9EllbEEZZNS1_14partition_implILS5_9ELb0ES3_jPlS8_PNS0_10empty_typeENS0_5tupleIJS8_S9_EEENSB_IJS8_SA_EEENS0_18inequality_wrapperIZN2at6native12_GLOBAL__N_124unique_dim_cuda_templateIaEESt5tupleIJNSF_6TensorESK_SK_EERKSK_lbbbEUlllE0_EEPmJS9_EEE10hipError_tPvRmT3_T4_T5_T6_T7_T9_mT8_P12ihipStream_tbDpT10_ENKUlT_T0_E_clISt17integral_constantIbLb0EES1A_EEDaS15_S16_EUlS15_E_NS1_11comp_targetILNS1_3genE2ELNS1_11target_archE906ELNS1_3gpuE6ELNS1_3repE0EEENS1_30default_config_static_selectorELNS0_4arch9wavefront6targetE1EEEvT1_ ; -- Begin function _ZN7rocprim17ROCPRIM_400000_NS6detail17trampoline_kernelINS0_14default_configENS1_25partition_config_selectorILNS1_17partition_subalgoE9EllbEEZZNS1_14partition_implILS5_9ELb0ES3_jPlS8_PNS0_10empty_typeENS0_5tupleIJS8_S9_EEENSB_IJS8_SA_EEENS0_18inequality_wrapperIZN2at6native12_GLOBAL__N_124unique_dim_cuda_templateIaEESt5tupleIJNSF_6TensorESK_SK_EERKSK_lbbbEUlllE0_EEPmJS9_EEE10hipError_tPvRmT3_T4_T5_T6_T7_T9_mT8_P12ihipStream_tbDpT10_ENKUlT_T0_E_clISt17integral_constantIbLb0EES1A_EEDaS15_S16_EUlS15_E_NS1_11comp_targetILNS1_3genE2ELNS1_11target_archE906ELNS1_3gpuE6ELNS1_3repE0EEENS1_30default_config_static_selectorELNS0_4arch9wavefront6targetE1EEEvT1_
	.p2align	8
	.type	_ZN7rocprim17ROCPRIM_400000_NS6detail17trampoline_kernelINS0_14default_configENS1_25partition_config_selectorILNS1_17partition_subalgoE9EllbEEZZNS1_14partition_implILS5_9ELb0ES3_jPlS8_PNS0_10empty_typeENS0_5tupleIJS8_S9_EEENSB_IJS8_SA_EEENS0_18inequality_wrapperIZN2at6native12_GLOBAL__N_124unique_dim_cuda_templateIaEESt5tupleIJNSF_6TensorESK_SK_EERKSK_lbbbEUlllE0_EEPmJS9_EEE10hipError_tPvRmT3_T4_T5_T6_T7_T9_mT8_P12ihipStream_tbDpT10_ENKUlT_T0_E_clISt17integral_constantIbLb0EES1A_EEDaS15_S16_EUlS15_E_NS1_11comp_targetILNS1_3genE2ELNS1_11target_archE906ELNS1_3gpuE6ELNS1_3repE0EEENS1_30default_config_static_selectorELNS0_4arch9wavefront6targetE1EEEvT1_,@function
_ZN7rocprim17ROCPRIM_400000_NS6detail17trampoline_kernelINS0_14default_configENS1_25partition_config_selectorILNS1_17partition_subalgoE9EllbEEZZNS1_14partition_implILS5_9ELb0ES3_jPlS8_PNS0_10empty_typeENS0_5tupleIJS8_S9_EEENSB_IJS8_SA_EEENS0_18inequality_wrapperIZN2at6native12_GLOBAL__N_124unique_dim_cuda_templateIaEESt5tupleIJNSF_6TensorESK_SK_EERKSK_lbbbEUlllE0_EEPmJS9_EEE10hipError_tPvRmT3_T4_T5_T6_T7_T9_mT8_P12ihipStream_tbDpT10_ENKUlT_T0_E_clISt17integral_constantIbLb0EES1A_EEDaS15_S16_EUlS15_E_NS1_11comp_targetILNS1_3genE2ELNS1_11target_archE906ELNS1_3gpuE6ELNS1_3repE0EEENS1_30default_config_static_selectorELNS0_4arch9wavefront6targetE1EEEvT1_: ; @_ZN7rocprim17ROCPRIM_400000_NS6detail17trampoline_kernelINS0_14default_configENS1_25partition_config_selectorILNS1_17partition_subalgoE9EllbEEZZNS1_14partition_implILS5_9ELb0ES3_jPlS8_PNS0_10empty_typeENS0_5tupleIJS8_S9_EEENSB_IJS8_SA_EEENS0_18inequality_wrapperIZN2at6native12_GLOBAL__N_124unique_dim_cuda_templateIaEESt5tupleIJNSF_6TensorESK_SK_EERKSK_lbbbEUlllE0_EEPmJS9_EEE10hipError_tPvRmT3_T4_T5_T6_T7_T9_mT8_P12ihipStream_tbDpT10_ENKUlT_T0_E_clISt17integral_constantIbLb0EES1A_EEDaS15_S16_EUlS15_E_NS1_11comp_targetILNS1_3genE2ELNS1_11target_archE906ELNS1_3gpuE6ELNS1_3repE0EEENS1_30default_config_static_selectorELNS0_4arch9wavefront6targetE1EEEvT1_
; %bb.0:
	.section	.rodata,"a",@progbits
	.p2align	6, 0x0
	.amdhsa_kernel _ZN7rocprim17ROCPRIM_400000_NS6detail17trampoline_kernelINS0_14default_configENS1_25partition_config_selectorILNS1_17partition_subalgoE9EllbEEZZNS1_14partition_implILS5_9ELb0ES3_jPlS8_PNS0_10empty_typeENS0_5tupleIJS8_S9_EEENSB_IJS8_SA_EEENS0_18inequality_wrapperIZN2at6native12_GLOBAL__N_124unique_dim_cuda_templateIaEESt5tupleIJNSF_6TensorESK_SK_EERKSK_lbbbEUlllE0_EEPmJS9_EEE10hipError_tPvRmT3_T4_T5_T6_T7_T9_mT8_P12ihipStream_tbDpT10_ENKUlT_T0_E_clISt17integral_constantIbLb0EES1A_EEDaS15_S16_EUlS15_E_NS1_11comp_targetILNS1_3genE2ELNS1_11target_archE906ELNS1_3gpuE6ELNS1_3repE0EEENS1_30default_config_static_selectorELNS0_4arch9wavefront6targetE1EEEvT1_
		.amdhsa_group_segment_fixed_size 0
		.amdhsa_private_segment_fixed_size 0
		.amdhsa_kernarg_size 120
		.amdhsa_user_sgpr_count 6
		.amdhsa_user_sgpr_private_segment_buffer 1
		.amdhsa_user_sgpr_dispatch_ptr 0
		.amdhsa_user_sgpr_queue_ptr 0
		.amdhsa_user_sgpr_kernarg_segment_ptr 1
		.amdhsa_user_sgpr_dispatch_id 0
		.amdhsa_user_sgpr_flat_scratch_init 0
		.amdhsa_user_sgpr_kernarg_preload_length 0
		.amdhsa_user_sgpr_kernarg_preload_offset 0
		.amdhsa_user_sgpr_private_segment_size 0
		.amdhsa_uses_dynamic_stack 0
		.amdhsa_system_sgpr_private_segment_wavefront_offset 0
		.amdhsa_system_sgpr_workgroup_id_x 1
		.amdhsa_system_sgpr_workgroup_id_y 0
		.amdhsa_system_sgpr_workgroup_id_z 0
		.amdhsa_system_sgpr_workgroup_info 0
		.amdhsa_system_vgpr_workitem_id 0
		.amdhsa_next_free_vgpr 1
		.amdhsa_next_free_sgpr 0
		.amdhsa_accum_offset 4
		.amdhsa_reserve_vcc 0
		.amdhsa_reserve_flat_scratch 0
		.amdhsa_float_round_mode_32 0
		.amdhsa_float_round_mode_16_64 0
		.amdhsa_float_denorm_mode_32 3
		.amdhsa_float_denorm_mode_16_64 3
		.amdhsa_dx10_clamp 1
		.amdhsa_ieee_mode 1
		.amdhsa_fp16_overflow 0
		.amdhsa_tg_split 0
		.amdhsa_exception_fp_ieee_invalid_op 0
		.amdhsa_exception_fp_denorm_src 0
		.amdhsa_exception_fp_ieee_div_zero 0
		.amdhsa_exception_fp_ieee_overflow 0
		.amdhsa_exception_fp_ieee_underflow 0
		.amdhsa_exception_fp_ieee_inexact 0
		.amdhsa_exception_int_div_zero 0
	.end_amdhsa_kernel
	.section	.text._ZN7rocprim17ROCPRIM_400000_NS6detail17trampoline_kernelINS0_14default_configENS1_25partition_config_selectorILNS1_17partition_subalgoE9EllbEEZZNS1_14partition_implILS5_9ELb0ES3_jPlS8_PNS0_10empty_typeENS0_5tupleIJS8_S9_EEENSB_IJS8_SA_EEENS0_18inequality_wrapperIZN2at6native12_GLOBAL__N_124unique_dim_cuda_templateIaEESt5tupleIJNSF_6TensorESK_SK_EERKSK_lbbbEUlllE0_EEPmJS9_EEE10hipError_tPvRmT3_T4_T5_T6_T7_T9_mT8_P12ihipStream_tbDpT10_ENKUlT_T0_E_clISt17integral_constantIbLb0EES1A_EEDaS15_S16_EUlS15_E_NS1_11comp_targetILNS1_3genE2ELNS1_11target_archE906ELNS1_3gpuE6ELNS1_3repE0EEENS1_30default_config_static_selectorELNS0_4arch9wavefront6targetE1EEEvT1_,"axG",@progbits,_ZN7rocprim17ROCPRIM_400000_NS6detail17trampoline_kernelINS0_14default_configENS1_25partition_config_selectorILNS1_17partition_subalgoE9EllbEEZZNS1_14partition_implILS5_9ELb0ES3_jPlS8_PNS0_10empty_typeENS0_5tupleIJS8_S9_EEENSB_IJS8_SA_EEENS0_18inequality_wrapperIZN2at6native12_GLOBAL__N_124unique_dim_cuda_templateIaEESt5tupleIJNSF_6TensorESK_SK_EERKSK_lbbbEUlllE0_EEPmJS9_EEE10hipError_tPvRmT3_T4_T5_T6_T7_T9_mT8_P12ihipStream_tbDpT10_ENKUlT_T0_E_clISt17integral_constantIbLb0EES1A_EEDaS15_S16_EUlS15_E_NS1_11comp_targetILNS1_3genE2ELNS1_11target_archE906ELNS1_3gpuE6ELNS1_3repE0EEENS1_30default_config_static_selectorELNS0_4arch9wavefront6targetE1EEEvT1_,comdat
.Lfunc_end355:
	.size	_ZN7rocprim17ROCPRIM_400000_NS6detail17trampoline_kernelINS0_14default_configENS1_25partition_config_selectorILNS1_17partition_subalgoE9EllbEEZZNS1_14partition_implILS5_9ELb0ES3_jPlS8_PNS0_10empty_typeENS0_5tupleIJS8_S9_EEENSB_IJS8_SA_EEENS0_18inequality_wrapperIZN2at6native12_GLOBAL__N_124unique_dim_cuda_templateIaEESt5tupleIJNSF_6TensorESK_SK_EERKSK_lbbbEUlllE0_EEPmJS9_EEE10hipError_tPvRmT3_T4_T5_T6_T7_T9_mT8_P12ihipStream_tbDpT10_ENKUlT_T0_E_clISt17integral_constantIbLb0EES1A_EEDaS15_S16_EUlS15_E_NS1_11comp_targetILNS1_3genE2ELNS1_11target_archE906ELNS1_3gpuE6ELNS1_3repE0EEENS1_30default_config_static_selectorELNS0_4arch9wavefront6targetE1EEEvT1_, .Lfunc_end355-_ZN7rocprim17ROCPRIM_400000_NS6detail17trampoline_kernelINS0_14default_configENS1_25partition_config_selectorILNS1_17partition_subalgoE9EllbEEZZNS1_14partition_implILS5_9ELb0ES3_jPlS8_PNS0_10empty_typeENS0_5tupleIJS8_S9_EEENSB_IJS8_SA_EEENS0_18inequality_wrapperIZN2at6native12_GLOBAL__N_124unique_dim_cuda_templateIaEESt5tupleIJNSF_6TensorESK_SK_EERKSK_lbbbEUlllE0_EEPmJS9_EEE10hipError_tPvRmT3_T4_T5_T6_T7_T9_mT8_P12ihipStream_tbDpT10_ENKUlT_T0_E_clISt17integral_constantIbLb0EES1A_EEDaS15_S16_EUlS15_E_NS1_11comp_targetILNS1_3genE2ELNS1_11target_archE906ELNS1_3gpuE6ELNS1_3repE0EEENS1_30default_config_static_selectorELNS0_4arch9wavefront6targetE1EEEvT1_
                                        ; -- End function
	.section	.AMDGPU.csdata,"",@progbits
; Kernel info:
; codeLenInByte = 0
; NumSgprs: 4
; NumVgprs: 0
; NumAgprs: 0
; TotalNumVgprs: 0
; ScratchSize: 0
; MemoryBound: 0
; FloatMode: 240
; IeeeMode: 1
; LDSByteSize: 0 bytes/workgroup (compile time only)
; SGPRBlocks: 0
; VGPRBlocks: 0
; NumSGPRsForWavesPerEU: 4
; NumVGPRsForWavesPerEU: 1
; AccumOffset: 4
; Occupancy: 8
; WaveLimiterHint : 0
; COMPUTE_PGM_RSRC2:SCRATCH_EN: 0
; COMPUTE_PGM_RSRC2:USER_SGPR: 6
; COMPUTE_PGM_RSRC2:TRAP_HANDLER: 0
; COMPUTE_PGM_RSRC2:TGID_X_EN: 1
; COMPUTE_PGM_RSRC2:TGID_Y_EN: 0
; COMPUTE_PGM_RSRC2:TGID_Z_EN: 0
; COMPUTE_PGM_RSRC2:TIDIG_COMP_CNT: 0
; COMPUTE_PGM_RSRC3_GFX90A:ACCUM_OFFSET: 0
; COMPUTE_PGM_RSRC3_GFX90A:TG_SPLIT: 0
	.section	.text._ZN7rocprim17ROCPRIM_400000_NS6detail17trampoline_kernelINS0_14default_configENS1_25partition_config_selectorILNS1_17partition_subalgoE9EllbEEZZNS1_14partition_implILS5_9ELb0ES3_jPlS8_PNS0_10empty_typeENS0_5tupleIJS8_S9_EEENSB_IJS8_SA_EEENS0_18inequality_wrapperIZN2at6native12_GLOBAL__N_124unique_dim_cuda_templateIaEESt5tupleIJNSF_6TensorESK_SK_EERKSK_lbbbEUlllE0_EEPmJS9_EEE10hipError_tPvRmT3_T4_T5_T6_T7_T9_mT8_P12ihipStream_tbDpT10_ENKUlT_T0_E_clISt17integral_constantIbLb0EES1A_EEDaS15_S16_EUlS15_E_NS1_11comp_targetILNS1_3genE10ELNS1_11target_archE1200ELNS1_3gpuE4ELNS1_3repE0EEENS1_30default_config_static_selectorELNS0_4arch9wavefront6targetE1EEEvT1_,"axG",@progbits,_ZN7rocprim17ROCPRIM_400000_NS6detail17trampoline_kernelINS0_14default_configENS1_25partition_config_selectorILNS1_17partition_subalgoE9EllbEEZZNS1_14partition_implILS5_9ELb0ES3_jPlS8_PNS0_10empty_typeENS0_5tupleIJS8_S9_EEENSB_IJS8_SA_EEENS0_18inequality_wrapperIZN2at6native12_GLOBAL__N_124unique_dim_cuda_templateIaEESt5tupleIJNSF_6TensorESK_SK_EERKSK_lbbbEUlllE0_EEPmJS9_EEE10hipError_tPvRmT3_T4_T5_T6_T7_T9_mT8_P12ihipStream_tbDpT10_ENKUlT_T0_E_clISt17integral_constantIbLb0EES1A_EEDaS15_S16_EUlS15_E_NS1_11comp_targetILNS1_3genE10ELNS1_11target_archE1200ELNS1_3gpuE4ELNS1_3repE0EEENS1_30default_config_static_selectorELNS0_4arch9wavefront6targetE1EEEvT1_,comdat
	.globl	_ZN7rocprim17ROCPRIM_400000_NS6detail17trampoline_kernelINS0_14default_configENS1_25partition_config_selectorILNS1_17partition_subalgoE9EllbEEZZNS1_14partition_implILS5_9ELb0ES3_jPlS8_PNS0_10empty_typeENS0_5tupleIJS8_S9_EEENSB_IJS8_SA_EEENS0_18inequality_wrapperIZN2at6native12_GLOBAL__N_124unique_dim_cuda_templateIaEESt5tupleIJNSF_6TensorESK_SK_EERKSK_lbbbEUlllE0_EEPmJS9_EEE10hipError_tPvRmT3_T4_T5_T6_T7_T9_mT8_P12ihipStream_tbDpT10_ENKUlT_T0_E_clISt17integral_constantIbLb0EES1A_EEDaS15_S16_EUlS15_E_NS1_11comp_targetILNS1_3genE10ELNS1_11target_archE1200ELNS1_3gpuE4ELNS1_3repE0EEENS1_30default_config_static_selectorELNS0_4arch9wavefront6targetE1EEEvT1_ ; -- Begin function _ZN7rocprim17ROCPRIM_400000_NS6detail17trampoline_kernelINS0_14default_configENS1_25partition_config_selectorILNS1_17partition_subalgoE9EllbEEZZNS1_14partition_implILS5_9ELb0ES3_jPlS8_PNS0_10empty_typeENS0_5tupleIJS8_S9_EEENSB_IJS8_SA_EEENS0_18inequality_wrapperIZN2at6native12_GLOBAL__N_124unique_dim_cuda_templateIaEESt5tupleIJNSF_6TensorESK_SK_EERKSK_lbbbEUlllE0_EEPmJS9_EEE10hipError_tPvRmT3_T4_T5_T6_T7_T9_mT8_P12ihipStream_tbDpT10_ENKUlT_T0_E_clISt17integral_constantIbLb0EES1A_EEDaS15_S16_EUlS15_E_NS1_11comp_targetILNS1_3genE10ELNS1_11target_archE1200ELNS1_3gpuE4ELNS1_3repE0EEENS1_30default_config_static_selectorELNS0_4arch9wavefront6targetE1EEEvT1_
	.p2align	8
	.type	_ZN7rocprim17ROCPRIM_400000_NS6detail17trampoline_kernelINS0_14default_configENS1_25partition_config_selectorILNS1_17partition_subalgoE9EllbEEZZNS1_14partition_implILS5_9ELb0ES3_jPlS8_PNS0_10empty_typeENS0_5tupleIJS8_S9_EEENSB_IJS8_SA_EEENS0_18inequality_wrapperIZN2at6native12_GLOBAL__N_124unique_dim_cuda_templateIaEESt5tupleIJNSF_6TensorESK_SK_EERKSK_lbbbEUlllE0_EEPmJS9_EEE10hipError_tPvRmT3_T4_T5_T6_T7_T9_mT8_P12ihipStream_tbDpT10_ENKUlT_T0_E_clISt17integral_constantIbLb0EES1A_EEDaS15_S16_EUlS15_E_NS1_11comp_targetILNS1_3genE10ELNS1_11target_archE1200ELNS1_3gpuE4ELNS1_3repE0EEENS1_30default_config_static_selectorELNS0_4arch9wavefront6targetE1EEEvT1_,@function
_ZN7rocprim17ROCPRIM_400000_NS6detail17trampoline_kernelINS0_14default_configENS1_25partition_config_selectorILNS1_17partition_subalgoE9EllbEEZZNS1_14partition_implILS5_9ELb0ES3_jPlS8_PNS0_10empty_typeENS0_5tupleIJS8_S9_EEENSB_IJS8_SA_EEENS0_18inequality_wrapperIZN2at6native12_GLOBAL__N_124unique_dim_cuda_templateIaEESt5tupleIJNSF_6TensorESK_SK_EERKSK_lbbbEUlllE0_EEPmJS9_EEE10hipError_tPvRmT3_T4_T5_T6_T7_T9_mT8_P12ihipStream_tbDpT10_ENKUlT_T0_E_clISt17integral_constantIbLb0EES1A_EEDaS15_S16_EUlS15_E_NS1_11comp_targetILNS1_3genE10ELNS1_11target_archE1200ELNS1_3gpuE4ELNS1_3repE0EEENS1_30default_config_static_selectorELNS0_4arch9wavefront6targetE1EEEvT1_: ; @_ZN7rocprim17ROCPRIM_400000_NS6detail17trampoline_kernelINS0_14default_configENS1_25partition_config_selectorILNS1_17partition_subalgoE9EllbEEZZNS1_14partition_implILS5_9ELb0ES3_jPlS8_PNS0_10empty_typeENS0_5tupleIJS8_S9_EEENSB_IJS8_SA_EEENS0_18inequality_wrapperIZN2at6native12_GLOBAL__N_124unique_dim_cuda_templateIaEESt5tupleIJNSF_6TensorESK_SK_EERKSK_lbbbEUlllE0_EEPmJS9_EEE10hipError_tPvRmT3_T4_T5_T6_T7_T9_mT8_P12ihipStream_tbDpT10_ENKUlT_T0_E_clISt17integral_constantIbLb0EES1A_EEDaS15_S16_EUlS15_E_NS1_11comp_targetILNS1_3genE10ELNS1_11target_archE1200ELNS1_3gpuE4ELNS1_3repE0EEENS1_30default_config_static_selectorELNS0_4arch9wavefront6targetE1EEEvT1_
; %bb.0:
	.section	.rodata,"a",@progbits
	.p2align	6, 0x0
	.amdhsa_kernel _ZN7rocprim17ROCPRIM_400000_NS6detail17trampoline_kernelINS0_14default_configENS1_25partition_config_selectorILNS1_17partition_subalgoE9EllbEEZZNS1_14partition_implILS5_9ELb0ES3_jPlS8_PNS0_10empty_typeENS0_5tupleIJS8_S9_EEENSB_IJS8_SA_EEENS0_18inequality_wrapperIZN2at6native12_GLOBAL__N_124unique_dim_cuda_templateIaEESt5tupleIJNSF_6TensorESK_SK_EERKSK_lbbbEUlllE0_EEPmJS9_EEE10hipError_tPvRmT3_T4_T5_T6_T7_T9_mT8_P12ihipStream_tbDpT10_ENKUlT_T0_E_clISt17integral_constantIbLb0EES1A_EEDaS15_S16_EUlS15_E_NS1_11comp_targetILNS1_3genE10ELNS1_11target_archE1200ELNS1_3gpuE4ELNS1_3repE0EEENS1_30default_config_static_selectorELNS0_4arch9wavefront6targetE1EEEvT1_
		.amdhsa_group_segment_fixed_size 0
		.amdhsa_private_segment_fixed_size 0
		.amdhsa_kernarg_size 120
		.amdhsa_user_sgpr_count 6
		.amdhsa_user_sgpr_private_segment_buffer 1
		.amdhsa_user_sgpr_dispatch_ptr 0
		.amdhsa_user_sgpr_queue_ptr 0
		.amdhsa_user_sgpr_kernarg_segment_ptr 1
		.amdhsa_user_sgpr_dispatch_id 0
		.amdhsa_user_sgpr_flat_scratch_init 0
		.amdhsa_user_sgpr_kernarg_preload_length 0
		.amdhsa_user_sgpr_kernarg_preload_offset 0
		.amdhsa_user_sgpr_private_segment_size 0
		.amdhsa_uses_dynamic_stack 0
		.amdhsa_system_sgpr_private_segment_wavefront_offset 0
		.amdhsa_system_sgpr_workgroup_id_x 1
		.amdhsa_system_sgpr_workgroup_id_y 0
		.amdhsa_system_sgpr_workgroup_id_z 0
		.amdhsa_system_sgpr_workgroup_info 0
		.amdhsa_system_vgpr_workitem_id 0
		.amdhsa_next_free_vgpr 1
		.amdhsa_next_free_sgpr 0
		.amdhsa_accum_offset 4
		.amdhsa_reserve_vcc 0
		.amdhsa_reserve_flat_scratch 0
		.amdhsa_float_round_mode_32 0
		.amdhsa_float_round_mode_16_64 0
		.amdhsa_float_denorm_mode_32 3
		.amdhsa_float_denorm_mode_16_64 3
		.amdhsa_dx10_clamp 1
		.amdhsa_ieee_mode 1
		.amdhsa_fp16_overflow 0
		.amdhsa_tg_split 0
		.amdhsa_exception_fp_ieee_invalid_op 0
		.amdhsa_exception_fp_denorm_src 0
		.amdhsa_exception_fp_ieee_div_zero 0
		.amdhsa_exception_fp_ieee_overflow 0
		.amdhsa_exception_fp_ieee_underflow 0
		.amdhsa_exception_fp_ieee_inexact 0
		.amdhsa_exception_int_div_zero 0
	.end_amdhsa_kernel
	.section	.text._ZN7rocprim17ROCPRIM_400000_NS6detail17trampoline_kernelINS0_14default_configENS1_25partition_config_selectorILNS1_17partition_subalgoE9EllbEEZZNS1_14partition_implILS5_9ELb0ES3_jPlS8_PNS0_10empty_typeENS0_5tupleIJS8_S9_EEENSB_IJS8_SA_EEENS0_18inequality_wrapperIZN2at6native12_GLOBAL__N_124unique_dim_cuda_templateIaEESt5tupleIJNSF_6TensorESK_SK_EERKSK_lbbbEUlllE0_EEPmJS9_EEE10hipError_tPvRmT3_T4_T5_T6_T7_T9_mT8_P12ihipStream_tbDpT10_ENKUlT_T0_E_clISt17integral_constantIbLb0EES1A_EEDaS15_S16_EUlS15_E_NS1_11comp_targetILNS1_3genE10ELNS1_11target_archE1200ELNS1_3gpuE4ELNS1_3repE0EEENS1_30default_config_static_selectorELNS0_4arch9wavefront6targetE1EEEvT1_,"axG",@progbits,_ZN7rocprim17ROCPRIM_400000_NS6detail17trampoline_kernelINS0_14default_configENS1_25partition_config_selectorILNS1_17partition_subalgoE9EllbEEZZNS1_14partition_implILS5_9ELb0ES3_jPlS8_PNS0_10empty_typeENS0_5tupleIJS8_S9_EEENSB_IJS8_SA_EEENS0_18inequality_wrapperIZN2at6native12_GLOBAL__N_124unique_dim_cuda_templateIaEESt5tupleIJNSF_6TensorESK_SK_EERKSK_lbbbEUlllE0_EEPmJS9_EEE10hipError_tPvRmT3_T4_T5_T6_T7_T9_mT8_P12ihipStream_tbDpT10_ENKUlT_T0_E_clISt17integral_constantIbLb0EES1A_EEDaS15_S16_EUlS15_E_NS1_11comp_targetILNS1_3genE10ELNS1_11target_archE1200ELNS1_3gpuE4ELNS1_3repE0EEENS1_30default_config_static_selectorELNS0_4arch9wavefront6targetE1EEEvT1_,comdat
.Lfunc_end356:
	.size	_ZN7rocprim17ROCPRIM_400000_NS6detail17trampoline_kernelINS0_14default_configENS1_25partition_config_selectorILNS1_17partition_subalgoE9EllbEEZZNS1_14partition_implILS5_9ELb0ES3_jPlS8_PNS0_10empty_typeENS0_5tupleIJS8_S9_EEENSB_IJS8_SA_EEENS0_18inequality_wrapperIZN2at6native12_GLOBAL__N_124unique_dim_cuda_templateIaEESt5tupleIJNSF_6TensorESK_SK_EERKSK_lbbbEUlllE0_EEPmJS9_EEE10hipError_tPvRmT3_T4_T5_T6_T7_T9_mT8_P12ihipStream_tbDpT10_ENKUlT_T0_E_clISt17integral_constantIbLb0EES1A_EEDaS15_S16_EUlS15_E_NS1_11comp_targetILNS1_3genE10ELNS1_11target_archE1200ELNS1_3gpuE4ELNS1_3repE0EEENS1_30default_config_static_selectorELNS0_4arch9wavefront6targetE1EEEvT1_, .Lfunc_end356-_ZN7rocprim17ROCPRIM_400000_NS6detail17trampoline_kernelINS0_14default_configENS1_25partition_config_selectorILNS1_17partition_subalgoE9EllbEEZZNS1_14partition_implILS5_9ELb0ES3_jPlS8_PNS0_10empty_typeENS0_5tupleIJS8_S9_EEENSB_IJS8_SA_EEENS0_18inequality_wrapperIZN2at6native12_GLOBAL__N_124unique_dim_cuda_templateIaEESt5tupleIJNSF_6TensorESK_SK_EERKSK_lbbbEUlllE0_EEPmJS9_EEE10hipError_tPvRmT3_T4_T5_T6_T7_T9_mT8_P12ihipStream_tbDpT10_ENKUlT_T0_E_clISt17integral_constantIbLb0EES1A_EEDaS15_S16_EUlS15_E_NS1_11comp_targetILNS1_3genE10ELNS1_11target_archE1200ELNS1_3gpuE4ELNS1_3repE0EEENS1_30default_config_static_selectorELNS0_4arch9wavefront6targetE1EEEvT1_
                                        ; -- End function
	.section	.AMDGPU.csdata,"",@progbits
; Kernel info:
; codeLenInByte = 0
; NumSgprs: 4
; NumVgprs: 0
; NumAgprs: 0
; TotalNumVgprs: 0
; ScratchSize: 0
; MemoryBound: 0
; FloatMode: 240
; IeeeMode: 1
; LDSByteSize: 0 bytes/workgroup (compile time only)
; SGPRBlocks: 0
; VGPRBlocks: 0
; NumSGPRsForWavesPerEU: 4
; NumVGPRsForWavesPerEU: 1
; AccumOffset: 4
; Occupancy: 8
; WaveLimiterHint : 0
; COMPUTE_PGM_RSRC2:SCRATCH_EN: 0
; COMPUTE_PGM_RSRC2:USER_SGPR: 6
; COMPUTE_PGM_RSRC2:TRAP_HANDLER: 0
; COMPUTE_PGM_RSRC2:TGID_X_EN: 1
; COMPUTE_PGM_RSRC2:TGID_Y_EN: 0
; COMPUTE_PGM_RSRC2:TGID_Z_EN: 0
; COMPUTE_PGM_RSRC2:TIDIG_COMP_CNT: 0
; COMPUTE_PGM_RSRC3_GFX90A:ACCUM_OFFSET: 0
; COMPUTE_PGM_RSRC3_GFX90A:TG_SPLIT: 0
	.section	.text._ZN7rocprim17ROCPRIM_400000_NS6detail17trampoline_kernelINS0_14default_configENS1_25partition_config_selectorILNS1_17partition_subalgoE9EllbEEZZNS1_14partition_implILS5_9ELb0ES3_jPlS8_PNS0_10empty_typeENS0_5tupleIJS8_S9_EEENSB_IJS8_SA_EEENS0_18inequality_wrapperIZN2at6native12_GLOBAL__N_124unique_dim_cuda_templateIaEESt5tupleIJNSF_6TensorESK_SK_EERKSK_lbbbEUlllE0_EEPmJS9_EEE10hipError_tPvRmT3_T4_T5_T6_T7_T9_mT8_P12ihipStream_tbDpT10_ENKUlT_T0_E_clISt17integral_constantIbLb0EES1A_EEDaS15_S16_EUlS15_E_NS1_11comp_targetILNS1_3genE9ELNS1_11target_archE1100ELNS1_3gpuE3ELNS1_3repE0EEENS1_30default_config_static_selectorELNS0_4arch9wavefront6targetE1EEEvT1_,"axG",@progbits,_ZN7rocprim17ROCPRIM_400000_NS6detail17trampoline_kernelINS0_14default_configENS1_25partition_config_selectorILNS1_17partition_subalgoE9EllbEEZZNS1_14partition_implILS5_9ELb0ES3_jPlS8_PNS0_10empty_typeENS0_5tupleIJS8_S9_EEENSB_IJS8_SA_EEENS0_18inequality_wrapperIZN2at6native12_GLOBAL__N_124unique_dim_cuda_templateIaEESt5tupleIJNSF_6TensorESK_SK_EERKSK_lbbbEUlllE0_EEPmJS9_EEE10hipError_tPvRmT3_T4_T5_T6_T7_T9_mT8_P12ihipStream_tbDpT10_ENKUlT_T0_E_clISt17integral_constantIbLb0EES1A_EEDaS15_S16_EUlS15_E_NS1_11comp_targetILNS1_3genE9ELNS1_11target_archE1100ELNS1_3gpuE3ELNS1_3repE0EEENS1_30default_config_static_selectorELNS0_4arch9wavefront6targetE1EEEvT1_,comdat
	.globl	_ZN7rocprim17ROCPRIM_400000_NS6detail17trampoline_kernelINS0_14default_configENS1_25partition_config_selectorILNS1_17partition_subalgoE9EllbEEZZNS1_14partition_implILS5_9ELb0ES3_jPlS8_PNS0_10empty_typeENS0_5tupleIJS8_S9_EEENSB_IJS8_SA_EEENS0_18inequality_wrapperIZN2at6native12_GLOBAL__N_124unique_dim_cuda_templateIaEESt5tupleIJNSF_6TensorESK_SK_EERKSK_lbbbEUlllE0_EEPmJS9_EEE10hipError_tPvRmT3_T4_T5_T6_T7_T9_mT8_P12ihipStream_tbDpT10_ENKUlT_T0_E_clISt17integral_constantIbLb0EES1A_EEDaS15_S16_EUlS15_E_NS1_11comp_targetILNS1_3genE9ELNS1_11target_archE1100ELNS1_3gpuE3ELNS1_3repE0EEENS1_30default_config_static_selectorELNS0_4arch9wavefront6targetE1EEEvT1_ ; -- Begin function _ZN7rocprim17ROCPRIM_400000_NS6detail17trampoline_kernelINS0_14default_configENS1_25partition_config_selectorILNS1_17partition_subalgoE9EllbEEZZNS1_14partition_implILS5_9ELb0ES3_jPlS8_PNS0_10empty_typeENS0_5tupleIJS8_S9_EEENSB_IJS8_SA_EEENS0_18inequality_wrapperIZN2at6native12_GLOBAL__N_124unique_dim_cuda_templateIaEESt5tupleIJNSF_6TensorESK_SK_EERKSK_lbbbEUlllE0_EEPmJS9_EEE10hipError_tPvRmT3_T4_T5_T6_T7_T9_mT8_P12ihipStream_tbDpT10_ENKUlT_T0_E_clISt17integral_constantIbLb0EES1A_EEDaS15_S16_EUlS15_E_NS1_11comp_targetILNS1_3genE9ELNS1_11target_archE1100ELNS1_3gpuE3ELNS1_3repE0EEENS1_30default_config_static_selectorELNS0_4arch9wavefront6targetE1EEEvT1_
	.p2align	8
	.type	_ZN7rocprim17ROCPRIM_400000_NS6detail17trampoline_kernelINS0_14default_configENS1_25partition_config_selectorILNS1_17partition_subalgoE9EllbEEZZNS1_14partition_implILS5_9ELb0ES3_jPlS8_PNS0_10empty_typeENS0_5tupleIJS8_S9_EEENSB_IJS8_SA_EEENS0_18inequality_wrapperIZN2at6native12_GLOBAL__N_124unique_dim_cuda_templateIaEESt5tupleIJNSF_6TensorESK_SK_EERKSK_lbbbEUlllE0_EEPmJS9_EEE10hipError_tPvRmT3_T4_T5_T6_T7_T9_mT8_P12ihipStream_tbDpT10_ENKUlT_T0_E_clISt17integral_constantIbLb0EES1A_EEDaS15_S16_EUlS15_E_NS1_11comp_targetILNS1_3genE9ELNS1_11target_archE1100ELNS1_3gpuE3ELNS1_3repE0EEENS1_30default_config_static_selectorELNS0_4arch9wavefront6targetE1EEEvT1_,@function
_ZN7rocprim17ROCPRIM_400000_NS6detail17trampoline_kernelINS0_14default_configENS1_25partition_config_selectorILNS1_17partition_subalgoE9EllbEEZZNS1_14partition_implILS5_9ELb0ES3_jPlS8_PNS0_10empty_typeENS0_5tupleIJS8_S9_EEENSB_IJS8_SA_EEENS0_18inequality_wrapperIZN2at6native12_GLOBAL__N_124unique_dim_cuda_templateIaEESt5tupleIJNSF_6TensorESK_SK_EERKSK_lbbbEUlllE0_EEPmJS9_EEE10hipError_tPvRmT3_T4_T5_T6_T7_T9_mT8_P12ihipStream_tbDpT10_ENKUlT_T0_E_clISt17integral_constantIbLb0EES1A_EEDaS15_S16_EUlS15_E_NS1_11comp_targetILNS1_3genE9ELNS1_11target_archE1100ELNS1_3gpuE3ELNS1_3repE0EEENS1_30default_config_static_selectorELNS0_4arch9wavefront6targetE1EEEvT1_: ; @_ZN7rocprim17ROCPRIM_400000_NS6detail17trampoline_kernelINS0_14default_configENS1_25partition_config_selectorILNS1_17partition_subalgoE9EllbEEZZNS1_14partition_implILS5_9ELb0ES3_jPlS8_PNS0_10empty_typeENS0_5tupleIJS8_S9_EEENSB_IJS8_SA_EEENS0_18inequality_wrapperIZN2at6native12_GLOBAL__N_124unique_dim_cuda_templateIaEESt5tupleIJNSF_6TensorESK_SK_EERKSK_lbbbEUlllE0_EEPmJS9_EEE10hipError_tPvRmT3_T4_T5_T6_T7_T9_mT8_P12ihipStream_tbDpT10_ENKUlT_T0_E_clISt17integral_constantIbLb0EES1A_EEDaS15_S16_EUlS15_E_NS1_11comp_targetILNS1_3genE9ELNS1_11target_archE1100ELNS1_3gpuE3ELNS1_3repE0EEENS1_30default_config_static_selectorELNS0_4arch9wavefront6targetE1EEEvT1_
; %bb.0:
	.section	.rodata,"a",@progbits
	.p2align	6, 0x0
	.amdhsa_kernel _ZN7rocprim17ROCPRIM_400000_NS6detail17trampoline_kernelINS0_14default_configENS1_25partition_config_selectorILNS1_17partition_subalgoE9EllbEEZZNS1_14partition_implILS5_9ELb0ES3_jPlS8_PNS0_10empty_typeENS0_5tupleIJS8_S9_EEENSB_IJS8_SA_EEENS0_18inequality_wrapperIZN2at6native12_GLOBAL__N_124unique_dim_cuda_templateIaEESt5tupleIJNSF_6TensorESK_SK_EERKSK_lbbbEUlllE0_EEPmJS9_EEE10hipError_tPvRmT3_T4_T5_T6_T7_T9_mT8_P12ihipStream_tbDpT10_ENKUlT_T0_E_clISt17integral_constantIbLb0EES1A_EEDaS15_S16_EUlS15_E_NS1_11comp_targetILNS1_3genE9ELNS1_11target_archE1100ELNS1_3gpuE3ELNS1_3repE0EEENS1_30default_config_static_selectorELNS0_4arch9wavefront6targetE1EEEvT1_
		.amdhsa_group_segment_fixed_size 0
		.amdhsa_private_segment_fixed_size 0
		.amdhsa_kernarg_size 120
		.amdhsa_user_sgpr_count 6
		.amdhsa_user_sgpr_private_segment_buffer 1
		.amdhsa_user_sgpr_dispatch_ptr 0
		.amdhsa_user_sgpr_queue_ptr 0
		.amdhsa_user_sgpr_kernarg_segment_ptr 1
		.amdhsa_user_sgpr_dispatch_id 0
		.amdhsa_user_sgpr_flat_scratch_init 0
		.amdhsa_user_sgpr_kernarg_preload_length 0
		.amdhsa_user_sgpr_kernarg_preload_offset 0
		.amdhsa_user_sgpr_private_segment_size 0
		.amdhsa_uses_dynamic_stack 0
		.amdhsa_system_sgpr_private_segment_wavefront_offset 0
		.amdhsa_system_sgpr_workgroup_id_x 1
		.amdhsa_system_sgpr_workgroup_id_y 0
		.amdhsa_system_sgpr_workgroup_id_z 0
		.amdhsa_system_sgpr_workgroup_info 0
		.amdhsa_system_vgpr_workitem_id 0
		.amdhsa_next_free_vgpr 1
		.amdhsa_next_free_sgpr 0
		.amdhsa_accum_offset 4
		.amdhsa_reserve_vcc 0
		.amdhsa_reserve_flat_scratch 0
		.amdhsa_float_round_mode_32 0
		.amdhsa_float_round_mode_16_64 0
		.amdhsa_float_denorm_mode_32 3
		.amdhsa_float_denorm_mode_16_64 3
		.amdhsa_dx10_clamp 1
		.amdhsa_ieee_mode 1
		.amdhsa_fp16_overflow 0
		.amdhsa_tg_split 0
		.amdhsa_exception_fp_ieee_invalid_op 0
		.amdhsa_exception_fp_denorm_src 0
		.amdhsa_exception_fp_ieee_div_zero 0
		.amdhsa_exception_fp_ieee_overflow 0
		.amdhsa_exception_fp_ieee_underflow 0
		.amdhsa_exception_fp_ieee_inexact 0
		.amdhsa_exception_int_div_zero 0
	.end_amdhsa_kernel
	.section	.text._ZN7rocprim17ROCPRIM_400000_NS6detail17trampoline_kernelINS0_14default_configENS1_25partition_config_selectorILNS1_17partition_subalgoE9EllbEEZZNS1_14partition_implILS5_9ELb0ES3_jPlS8_PNS0_10empty_typeENS0_5tupleIJS8_S9_EEENSB_IJS8_SA_EEENS0_18inequality_wrapperIZN2at6native12_GLOBAL__N_124unique_dim_cuda_templateIaEESt5tupleIJNSF_6TensorESK_SK_EERKSK_lbbbEUlllE0_EEPmJS9_EEE10hipError_tPvRmT3_T4_T5_T6_T7_T9_mT8_P12ihipStream_tbDpT10_ENKUlT_T0_E_clISt17integral_constantIbLb0EES1A_EEDaS15_S16_EUlS15_E_NS1_11comp_targetILNS1_3genE9ELNS1_11target_archE1100ELNS1_3gpuE3ELNS1_3repE0EEENS1_30default_config_static_selectorELNS0_4arch9wavefront6targetE1EEEvT1_,"axG",@progbits,_ZN7rocprim17ROCPRIM_400000_NS6detail17trampoline_kernelINS0_14default_configENS1_25partition_config_selectorILNS1_17partition_subalgoE9EllbEEZZNS1_14partition_implILS5_9ELb0ES3_jPlS8_PNS0_10empty_typeENS0_5tupleIJS8_S9_EEENSB_IJS8_SA_EEENS0_18inequality_wrapperIZN2at6native12_GLOBAL__N_124unique_dim_cuda_templateIaEESt5tupleIJNSF_6TensorESK_SK_EERKSK_lbbbEUlllE0_EEPmJS9_EEE10hipError_tPvRmT3_T4_T5_T6_T7_T9_mT8_P12ihipStream_tbDpT10_ENKUlT_T0_E_clISt17integral_constantIbLb0EES1A_EEDaS15_S16_EUlS15_E_NS1_11comp_targetILNS1_3genE9ELNS1_11target_archE1100ELNS1_3gpuE3ELNS1_3repE0EEENS1_30default_config_static_selectorELNS0_4arch9wavefront6targetE1EEEvT1_,comdat
.Lfunc_end357:
	.size	_ZN7rocprim17ROCPRIM_400000_NS6detail17trampoline_kernelINS0_14default_configENS1_25partition_config_selectorILNS1_17partition_subalgoE9EllbEEZZNS1_14partition_implILS5_9ELb0ES3_jPlS8_PNS0_10empty_typeENS0_5tupleIJS8_S9_EEENSB_IJS8_SA_EEENS0_18inequality_wrapperIZN2at6native12_GLOBAL__N_124unique_dim_cuda_templateIaEESt5tupleIJNSF_6TensorESK_SK_EERKSK_lbbbEUlllE0_EEPmJS9_EEE10hipError_tPvRmT3_T4_T5_T6_T7_T9_mT8_P12ihipStream_tbDpT10_ENKUlT_T0_E_clISt17integral_constantIbLb0EES1A_EEDaS15_S16_EUlS15_E_NS1_11comp_targetILNS1_3genE9ELNS1_11target_archE1100ELNS1_3gpuE3ELNS1_3repE0EEENS1_30default_config_static_selectorELNS0_4arch9wavefront6targetE1EEEvT1_, .Lfunc_end357-_ZN7rocprim17ROCPRIM_400000_NS6detail17trampoline_kernelINS0_14default_configENS1_25partition_config_selectorILNS1_17partition_subalgoE9EllbEEZZNS1_14partition_implILS5_9ELb0ES3_jPlS8_PNS0_10empty_typeENS0_5tupleIJS8_S9_EEENSB_IJS8_SA_EEENS0_18inequality_wrapperIZN2at6native12_GLOBAL__N_124unique_dim_cuda_templateIaEESt5tupleIJNSF_6TensorESK_SK_EERKSK_lbbbEUlllE0_EEPmJS9_EEE10hipError_tPvRmT3_T4_T5_T6_T7_T9_mT8_P12ihipStream_tbDpT10_ENKUlT_T0_E_clISt17integral_constantIbLb0EES1A_EEDaS15_S16_EUlS15_E_NS1_11comp_targetILNS1_3genE9ELNS1_11target_archE1100ELNS1_3gpuE3ELNS1_3repE0EEENS1_30default_config_static_selectorELNS0_4arch9wavefront6targetE1EEEvT1_
                                        ; -- End function
	.section	.AMDGPU.csdata,"",@progbits
; Kernel info:
; codeLenInByte = 0
; NumSgprs: 4
; NumVgprs: 0
; NumAgprs: 0
; TotalNumVgprs: 0
; ScratchSize: 0
; MemoryBound: 0
; FloatMode: 240
; IeeeMode: 1
; LDSByteSize: 0 bytes/workgroup (compile time only)
; SGPRBlocks: 0
; VGPRBlocks: 0
; NumSGPRsForWavesPerEU: 4
; NumVGPRsForWavesPerEU: 1
; AccumOffset: 4
; Occupancy: 8
; WaveLimiterHint : 0
; COMPUTE_PGM_RSRC2:SCRATCH_EN: 0
; COMPUTE_PGM_RSRC2:USER_SGPR: 6
; COMPUTE_PGM_RSRC2:TRAP_HANDLER: 0
; COMPUTE_PGM_RSRC2:TGID_X_EN: 1
; COMPUTE_PGM_RSRC2:TGID_Y_EN: 0
; COMPUTE_PGM_RSRC2:TGID_Z_EN: 0
; COMPUTE_PGM_RSRC2:TIDIG_COMP_CNT: 0
; COMPUTE_PGM_RSRC3_GFX90A:ACCUM_OFFSET: 0
; COMPUTE_PGM_RSRC3_GFX90A:TG_SPLIT: 0
	.section	.text._ZN7rocprim17ROCPRIM_400000_NS6detail17trampoline_kernelINS0_14default_configENS1_25partition_config_selectorILNS1_17partition_subalgoE9EllbEEZZNS1_14partition_implILS5_9ELb0ES3_jPlS8_PNS0_10empty_typeENS0_5tupleIJS8_S9_EEENSB_IJS8_SA_EEENS0_18inequality_wrapperIZN2at6native12_GLOBAL__N_124unique_dim_cuda_templateIaEESt5tupleIJNSF_6TensorESK_SK_EERKSK_lbbbEUlllE0_EEPmJS9_EEE10hipError_tPvRmT3_T4_T5_T6_T7_T9_mT8_P12ihipStream_tbDpT10_ENKUlT_T0_E_clISt17integral_constantIbLb0EES1A_EEDaS15_S16_EUlS15_E_NS1_11comp_targetILNS1_3genE8ELNS1_11target_archE1030ELNS1_3gpuE2ELNS1_3repE0EEENS1_30default_config_static_selectorELNS0_4arch9wavefront6targetE1EEEvT1_,"axG",@progbits,_ZN7rocprim17ROCPRIM_400000_NS6detail17trampoline_kernelINS0_14default_configENS1_25partition_config_selectorILNS1_17partition_subalgoE9EllbEEZZNS1_14partition_implILS5_9ELb0ES3_jPlS8_PNS0_10empty_typeENS0_5tupleIJS8_S9_EEENSB_IJS8_SA_EEENS0_18inequality_wrapperIZN2at6native12_GLOBAL__N_124unique_dim_cuda_templateIaEESt5tupleIJNSF_6TensorESK_SK_EERKSK_lbbbEUlllE0_EEPmJS9_EEE10hipError_tPvRmT3_T4_T5_T6_T7_T9_mT8_P12ihipStream_tbDpT10_ENKUlT_T0_E_clISt17integral_constantIbLb0EES1A_EEDaS15_S16_EUlS15_E_NS1_11comp_targetILNS1_3genE8ELNS1_11target_archE1030ELNS1_3gpuE2ELNS1_3repE0EEENS1_30default_config_static_selectorELNS0_4arch9wavefront6targetE1EEEvT1_,comdat
	.globl	_ZN7rocprim17ROCPRIM_400000_NS6detail17trampoline_kernelINS0_14default_configENS1_25partition_config_selectorILNS1_17partition_subalgoE9EllbEEZZNS1_14partition_implILS5_9ELb0ES3_jPlS8_PNS0_10empty_typeENS0_5tupleIJS8_S9_EEENSB_IJS8_SA_EEENS0_18inequality_wrapperIZN2at6native12_GLOBAL__N_124unique_dim_cuda_templateIaEESt5tupleIJNSF_6TensorESK_SK_EERKSK_lbbbEUlllE0_EEPmJS9_EEE10hipError_tPvRmT3_T4_T5_T6_T7_T9_mT8_P12ihipStream_tbDpT10_ENKUlT_T0_E_clISt17integral_constantIbLb0EES1A_EEDaS15_S16_EUlS15_E_NS1_11comp_targetILNS1_3genE8ELNS1_11target_archE1030ELNS1_3gpuE2ELNS1_3repE0EEENS1_30default_config_static_selectorELNS0_4arch9wavefront6targetE1EEEvT1_ ; -- Begin function _ZN7rocprim17ROCPRIM_400000_NS6detail17trampoline_kernelINS0_14default_configENS1_25partition_config_selectorILNS1_17partition_subalgoE9EllbEEZZNS1_14partition_implILS5_9ELb0ES3_jPlS8_PNS0_10empty_typeENS0_5tupleIJS8_S9_EEENSB_IJS8_SA_EEENS0_18inequality_wrapperIZN2at6native12_GLOBAL__N_124unique_dim_cuda_templateIaEESt5tupleIJNSF_6TensorESK_SK_EERKSK_lbbbEUlllE0_EEPmJS9_EEE10hipError_tPvRmT3_T4_T5_T6_T7_T9_mT8_P12ihipStream_tbDpT10_ENKUlT_T0_E_clISt17integral_constantIbLb0EES1A_EEDaS15_S16_EUlS15_E_NS1_11comp_targetILNS1_3genE8ELNS1_11target_archE1030ELNS1_3gpuE2ELNS1_3repE0EEENS1_30default_config_static_selectorELNS0_4arch9wavefront6targetE1EEEvT1_
	.p2align	8
	.type	_ZN7rocprim17ROCPRIM_400000_NS6detail17trampoline_kernelINS0_14default_configENS1_25partition_config_selectorILNS1_17partition_subalgoE9EllbEEZZNS1_14partition_implILS5_9ELb0ES3_jPlS8_PNS0_10empty_typeENS0_5tupleIJS8_S9_EEENSB_IJS8_SA_EEENS0_18inequality_wrapperIZN2at6native12_GLOBAL__N_124unique_dim_cuda_templateIaEESt5tupleIJNSF_6TensorESK_SK_EERKSK_lbbbEUlllE0_EEPmJS9_EEE10hipError_tPvRmT3_T4_T5_T6_T7_T9_mT8_P12ihipStream_tbDpT10_ENKUlT_T0_E_clISt17integral_constantIbLb0EES1A_EEDaS15_S16_EUlS15_E_NS1_11comp_targetILNS1_3genE8ELNS1_11target_archE1030ELNS1_3gpuE2ELNS1_3repE0EEENS1_30default_config_static_selectorELNS0_4arch9wavefront6targetE1EEEvT1_,@function
_ZN7rocprim17ROCPRIM_400000_NS6detail17trampoline_kernelINS0_14default_configENS1_25partition_config_selectorILNS1_17partition_subalgoE9EllbEEZZNS1_14partition_implILS5_9ELb0ES3_jPlS8_PNS0_10empty_typeENS0_5tupleIJS8_S9_EEENSB_IJS8_SA_EEENS0_18inequality_wrapperIZN2at6native12_GLOBAL__N_124unique_dim_cuda_templateIaEESt5tupleIJNSF_6TensorESK_SK_EERKSK_lbbbEUlllE0_EEPmJS9_EEE10hipError_tPvRmT3_T4_T5_T6_T7_T9_mT8_P12ihipStream_tbDpT10_ENKUlT_T0_E_clISt17integral_constantIbLb0EES1A_EEDaS15_S16_EUlS15_E_NS1_11comp_targetILNS1_3genE8ELNS1_11target_archE1030ELNS1_3gpuE2ELNS1_3repE0EEENS1_30default_config_static_selectorELNS0_4arch9wavefront6targetE1EEEvT1_: ; @_ZN7rocprim17ROCPRIM_400000_NS6detail17trampoline_kernelINS0_14default_configENS1_25partition_config_selectorILNS1_17partition_subalgoE9EllbEEZZNS1_14partition_implILS5_9ELb0ES3_jPlS8_PNS0_10empty_typeENS0_5tupleIJS8_S9_EEENSB_IJS8_SA_EEENS0_18inequality_wrapperIZN2at6native12_GLOBAL__N_124unique_dim_cuda_templateIaEESt5tupleIJNSF_6TensorESK_SK_EERKSK_lbbbEUlllE0_EEPmJS9_EEE10hipError_tPvRmT3_T4_T5_T6_T7_T9_mT8_P12ihipStream_tbDpT10_ENKUlT_T0_E_clISt17integral_constantIbLb0EES1A_EEDaS15_S16_EUlS15_E_NS1_11comp_targetILNS1_3genE8ELNS1_11target_archE1030ELNS1_3gpuE2ELNS1_3repE0EEENS1_30default_config_static_selectorELNS0_4arch9wavefront6targetE1EEEvT1_
; %bb.0:
	.section	.rodata,"a",@progbits
	.p2align	6, 0x0
	.amdhsa_kernel _ZN7rocprim17ROCPRIM_400000_NS6detail17trampoline_kernelINS0_14default_configENS1_25partition_config_selectorILNS1_17partition_subalgoE9EllbEEZZNS1_14partition_implILS5_9ELb0ES3_jPlS8_PNS0_10empty_typeENS0_5tupleIJS8_S9_EEENSB_IJS8_SA_EEENS0_18inequality_wrapperIZN2at6native12_GLOBAL__N_124unique_dim_cuda_templateIaEESt5tupleIJNSF_6TensorESK_SK_EERKSK_lbbbEUlllE0_EEPmJS9_EEE10hipError_tPvRmT3_T4_T5_T6_T7_T9_mT8_P12ihipStream_tbDpT10_ENKUlT_T0_E_clISt17integral_constantIbLb0EES1A_EEDaS15_S16_EUlS15_E_NS1_11comp_targetILNS1_3genE8ELNS1_11target_archE1030ELNS1_3gpuE2ELNS1_3repE0EEENS1_30default_config_static_selectorELNS0_4arch9wavefront6targetE1EEEvT1_
		.amdhsa_group_segment_fixed_size 0
		.amdhsa_private_segment_fixed_size 0
		.amdhsa_kernarg_size 120
		.amdhsa_user_sgpr_count 6
		.amdhsa_user_sgpr_private_segment_buffer 1
		.amdhsa_user_sgpr_dispatch_ptr 0
		.amdhsa_user_sgpr_queue_ptr 0
		.amdhsa_user_sgpr_kernarg_segment_ptr 1
		.amdhsa_user_sgpr_dispatch_id 0
		.amdhsa_user_sgpr_flat_scratch_init 0
		.amdhsa_user_sgpr_kernarg_preload_length 0
		.amdhsa_user_sgpr_kernarg_preload_offset 0
		.amdhsa_user_sgpr_private_segment_size 0
		.amdhsa_uses_dynamic_stack 0
		.amdhsa_system_sgpr_private_segment_wavefront_offset 0
		.amdhsa_system_sgpr_workgroup_id_x 1
		.amdhsa_system_sgpr_workgroup_id_y 0
		.amdhsa_system_sgpr_workgroup_id_z 0
		.amdhsa_system_sgpr_workgroup_info 0
		.amdhsa_system_vgpr_workitem_id 0
		.amdhsa_next_free_vgpr 1
		.amdhsa_next_free_sgpr 0
		.amdhsa_accum_offset 4
		.amdhsa_reserve_vcc 0
		.amdhsa_reserve_flat_scratch 0
		.amdhsa_float_round_mode_32 0
		.amdhsa_float_round_mode_16_64 0
		.amdhsa_float_denorm_mode_32 3
		.amdhsa_float_denorm_mode_16_64 3
		.amdhsa_dx10_clamp 1
		.amdhsa_ieee_mode 1
		.amdhsa_fp16_overflow 0
		.amdhsa_tg_split 0
		.amdhsa_exception_fp_ieee_invalid_op 0
		.amdhsa_exception_fp_denorm_src 0
		.amdhsa_exception_fp_ieee_div_zero 0
		.amdhsa_exception_fp_ieee_overflow 0
		.amdhsa_exception_fp_ieee_underflow 0
		.amdhsa_exception_fp_ieee_inexact 0
		.amdhsa_exception_int_div_zero 0
	.end_amdhsa_kernel
	.section	.text._ZN7rocprim17ROCPRIM_400000_NS6detail17trampoline_kernelINS0_14default_configENS1_25partition_config_selectorILNS1_17partition_subalgoE9EllbEEZZNS1_14partition_implILS5_9ELb0ES3_jPlS8_PNS0_10empty_typeENS0_5tupleIJS8_S9_EEENSB_IJS8_SA_EEENS0_18inequality_wrapperIZN2at6native12_GLOBAL__N_124unique_dim_cuda_templateIaEESt5tupleIJNSF_6TensorESK_SK_EERKSK_lbbbEUlllE0_EEPmJS9_EEE10hipError_tPvRmT3_T4_T5_T6_T7_T9_mT8_P12ihipStream_tbDpT10_ENKUlT_T0_E_clISt17integral_constantIbLb0EES1A_EEDaS15_S16_EUlS15_E_NS1_11comp_targetILNS1_3genE8ELNS1_11target_archE1030ELNS1_3gpuE2ELNS1_3repE0EEENS1_30default_config_static_selectorELNS0_4arch9wavefront6targetE1EEEvT1_,"axG",@progbits,_ZN7rocprim17ROCPRIM_400000_NS6detail17trampoline_kernelINS0_14default_configENS1_25partition_config_selectorILNS1_17partition_subalgoE9EllbEEZZNS1_14partition_implILS5_9ELb0ES3_jPlS8_PNS0_10empty_typeENS0_5tupleIJS8_S9_EEENSB_IJS8_SA_EEENS0_18inequality_wrapperIZN2at6native12_GLOBAL__N_124unique_dim_cuda_templateIaEESt5tupleIJNSF_6TensorESK_SK_EERKSK_lbbbEUlllE0_EEPmJS9_EEE10hipError_tPvRmT3_T4_T5_T6_T7_T9_mT8_P12ihipStream_tbDpT10_ENKUlT_T0_E_clISt17integral_constantIbLb0EES1A_EEDaS15_S16_EUlS15_E_NS1_11comp_targetILNS1_3genE8ELNS1_11target_archE1030ELNS1_3gpuE2ELNS1_3repE0EEENS1_30default_config_static_selectorELNS0_4arch9wavefront6targetE1EEEvT1_,comdat
.Lfunc_end358:
	.size	_ZN7rocprim17ROCPRIM_400000_NS6detail17trampoline_kernelINS0_14default_configENS1_25partition_config_selectorILNS1_17partition_subalgoE9EllbEEZZNS1_14partition_implILS5_9ELb0ES3_jPlS8_PNS0_10empty_typeENS0_5tupleIJS8_S9_EEENSB_IJS8_SA_EEENS0_18inequality_wrapperIZN2at6native12_GLOBAL__N_124unique_dim_cuda_templateIaEESt5tupleIJNSF_6TensorESK_SK_EERKSK_lbbbEUlllE0_EEPmJS9_EEE10hipError_tPvRmT3_T4_T5_T6_T7_T9_mT8_P12ihipStream_tbDpT10_ENKUlT_T0_E_clISt17integral_constantIbLb0EES1A_EEDaS15_S16_EUlS15_E_NS1_11comp_targetILNS1_3genE8ELNS1_11target_archE1030ELNS1_3gpuE2ELNS1_3repE0EEENS1_30default_config_static_selectorELNS0_4arch9wavefront6targetE1EEEvT1_, .Lfunc_end358-_ZN7rocprim17ROCPRIM_400000_NS6detail17trampoline_kernelINS0_14default_configENS1_25partition_config_selectorILNS1_17partition_subalgoE9EllbEEZZNS1_14partition_implILS5_9ELb0ES3_jPlS8_PNS0_10empty_typeENS0_5tupleIJS8_S9_EEENSB_IJS8_SA_EEENS0_18inequality_wrapperIZN2at6native12_GLOBAL__N_124unique_dim_cuda_templateIaEESt5tupleIJNSF_6TensorESK_SK_EERKSK_lbbbEUlllE0_EEPmJS9_EEE10hipError_tPvRmT3_T4_T5_T6_T7_T9_mT8_P12ihipStream_tbDpT10_ENKUlT_T0_E_clISt17integral_constantIbLb0EES1A_EEDaS15_S16_EUlS15_E_NS1_11comp_targetILNS1_3genE8ELNS1_11target_archE1030ELNS1_3gpuE2ELNS1_3repE0EEENS1_30default_config_static_selectorELNS0_4arch9wavefront6targetE1EEEvT1_
                                        ; -- End function
	.section	.AMDGPU.csdata,"",@progbits
; Kernel info:
; codeLenInByte = 0
; NumSgprs: 4
; NumVgprs: 0
; NumAgprs: 0
; TotalNumVgprs: 0
; ScratchSize: 0
; MemoryBound: 0
; FloatMode: 240
; IeeeMode: 1
; LDSByteSize: 0 bytes/workgroup (compile time only)
; SGPRBlocks: 0
; VGPRBlocks: 0
; NumSGPRsForWavesPerEU: 4
; NumVGPRsForWavesPerEU: 1
; AccumOffset: 4
; Occupancy: 8
; WaveLimiterHint : 0
; COMPUTE_PGM_RSRC2:SCRATCH_EN: 0
; COMPUTE_PGM_RSRC2:USER_SGPR: 6
; COMPUTE_PGM_RSRC2:TRAP_HANDLER: 0
; COMPUTE_PGM_RSRC2:TGID_X_EN: 1
; COMPUTE_PGM_RSRC2:TGID_Y_EN: 0
; COMPUTE_PGM_RSRC2:TGID_Z_EN: 0
; COMPUTE_PGM_RSRC2:TIDIG_COMP_CNT: 0
; COMPUTE_PGM_RSRC3_GFX90A:ACCUM_OFFSET: 0
; COMPUTE_PGM_RSRC3_GFX90A:TG_SPLIT: 0
	.section	.text._ZN7rocprim17ROCPRIM_400000_NS6detail17trampoline_kernelINS0_14default_configENS1_25partition_config_selectorILNS1_17partition_subalgoE9EllbEEZZNS1_14partition_implILS5_9ELb0ES3_jPlS8_PNS0_10empty_typeENS0_5tupleIJS8_S9_EEENSB_IJS8_SA_EEENS0_18inequality_wrapperIZN2at6native12_GLOBAL__N_124unique_dim_cuda_templateIaEESt5tupleIJNSF_6TensorESK_SK_EERKSK_lbbbEUlllE0_EEPmJS9_EEE10hipError_tPvRmT3_T4_T5_T6_T7_T9_mT8_P12ihipStream_tbDpT10_ENKUlT_T0_E_clISt17integral_constantIbLb1EES1A_EEDaS15_S16_EUlS15_E_NS1_11comp_targetILNS1_3genE0ELNS1_11target_archE4294967295ELNS1_3gpuE0ELNS1_3repE0EEENS1_30default_config_static_selectorELNS0_4arch9wavefront6targetE1EEEvT1_,"axG",@progbits,_ZN7rocprim17ROCPRIM_400000_NS6detail17trampoline_kernelINS0_14default_configENS1_25partition_config_selectorILNS1_17partition_subalgoE9EllbEEZZNS1_14partition_implILS5_9ELb0ES3_jPlS8_PNS0_10empty_typeENS0_5tupleIJS8_S9_EEENSB_IJS8_SA_EEENS0_18inequality_wrapperIZN2at6native12_GLOBAL__N_124unique_dim_cuda_templateIaEESt5tupleIJNSF_6TensorESK_SK_EERKSK_lbbbEUlllE0_EEPmJS9_EEE10hipError_tPvRmT3_T4_T5_T6_T7_T9_mT8_P12ihipStream_tbDpT10_ENKUlT_T0_E_clISt17integral_constantIbLb1EES1A_EEDaS15_S16_EUlS15_E_NS1_11comp_targetILNS1_3genE0ELNS1_11target_archE4294967295ELNS1_3gpuE0ELNS1_3repE0EEENS1_30default_config_static_selectorELNS0_4arch9wavefront6targetE1EEEvT1_,comdat
	.globl	_ZN7rocprim17ROCPRIM_400000_NS6detail17trampoline_kernelINS0_14default_configENS1_25partition_config_selectorILNS1_17partition_subalgoE9EllbEEZZNS1_14partition_implILS5_9ELb0ES3_jPlS8_PNS0_10empty_typeENS0_5tupleIJS8_S9_EEENSB_IJS8_SA_EEENS0_18inequality_wrapperIZN2at6native12_GLOBAL__N_124unique_dim_cuda_templateIaEESt5tupleIJNSF_6TensorESK_SK_EERKSK_lbbbEUlllE0_EEPmJS9_EEE10hipError_tPvRmT3_T4_T5_T6_T7_T9_mT8_P12ihipStream_tbDpT10_ENKUlT_T0_E_clISt17integral_constantIbLb1EES1A_EEDaS15_S16_EUlS15_E_NS1_11comp_targetILNS1_3genE0ELNS1_11target_archE4294967295ELNS1_3gpuE0ELNS1_3repE0EEENS1_30default_config_static_selectorELNS0_4arch9wavefront6targetE1EEEvT1_ ; -- Begin function _ZN7rocprim17ROCPRIM_400000_NS6detail17trampoline_kernelINS0_14default_configENS1_25partition_config_selectorILNS1_17partition_subalgoE9EllbEEZZNS1_14partition_implILS5_9ELb0ES3_jPlS8_PNS0_10empty_typeENS0_5tupleIJS8_S9_EEENSB_IJS8_SA_EEENS0_18inequality_wrapperIZN2at6native12_GLOBAL__N_124unique_dim_cuda_templateIaEESt5tupleIJNSF_6TensorESK_SK_EERKSK_lbbbEUlllE0_EEPmJS9_EEE10hipError_tPvRmT3_T4_T5_T6_T7_T9_mT8_P12ihipStream_tbDpT10_ENKUlT_T0_E_clISt17integral_constantIbLb1EES1A_EEDaS15_S16_EUlS15_E_NS1_11comp_targetILNS1_3genE0ELNS1_11target_archE4294967295ELNS1_3gpuE0ELNS1_3repE0EEENS1_30default_config_static_selectorELNS0_4arch9wavefront6targetE1EEEvT1_
	.p2align	8
	.type	_ZN7rocprim17ROCPRIM_400000_NS6detail17trampoline_kernelINS0_14default_configENS1_25partition_config_selectorILNS1_17partition_subalgoE9EllbEEZZNS1_14partition_implILS5_9ELb0ES3_jPlS8_PNS0_10empty_typeENS0_5tupleIJS8_S9_EEENSB_IJS8_SA_EEENS0_18inequality_wrapperIZN2at6native12_GLOBAL__N_124unique_dim_cuda_templateIaEESt5tupleIJNSF_6TensorESK_SK_EERKSK_lbbbEUlllE0_EEPmJS9_EEE10hipError_tPvRmT3_T4_T5_T6_T7_T9_mT8_P12ihipStream_tbDpT10_ENKUlT_T0_E_clISt17integral_constantIbLb1EES1A_EEDaS15_S16_EUlS15_E_NS1_11comp_targetILNS1_3genE0ELNS1_11target_archE4294967295ELNS1_3gpuE0ELNS1_3repE0EEENS1_30default_config_static_selectorELNS0_4arch9wavefront6targetE1EEEvT1_,@function
_ZN7rocprim17ROCPRIM_400000_NS6detail17trampoline_kernelINS0_14default_configENS1_25partition_config_selectorILNS1_17partition_subalgoE9EllbEEZZNS1_14partition_implILS5_9ELb0ES3_jPlS8_PNS0_10empty_typeENS0_5tupleIJS8_S9_EEENSB_IJS8_SA_EEENS0_18inequality_wrapperIZN2at6native12_GLOBAL__N_124unique_dim_cuda_templateIaEESt5tupleIJNSF_6TensorESK_SK_EERKSK_lbbbEUlllE0_EEPmJS9_EEE10hipError_tPvRmT3_T4_T5_T6_T7_T9_mT8_P12ihipStream_tbDpT10_ENKUlT_T0_E_clISt17integral_constantIbLb1EES1A_EEDaS15_S16_EUlS15_E_NS1_11comp_targetILNS1_3genE0ELNS1_11target_archE4294967295ELNS1_3gpuE0ELNS1_3repE0EEENS1_30default_config_static_selectorELNS0_4arch9wavefront6targetE1EEEvT1_: ; @_ZN7rocprim17ROCPRIM_400000_NS6detail17trampoline_kernelINS0_14default_configENS1_25partition_config_selectorILNS1_17partition_subalgoE9EllbEEZZNS1_14partition_implILS5_9ELb0ES3_jPlS8_PNS0_10empty_typeENS0_5tupleIJS8_S9_EEENSB_IJS8_SA_EEENS0_18inequality_wrapperIZN2at6native12_GLOBAL__N_124unique_dim_cuda_templateIaEESt5tupleIJNSF_6TensorESK_SK_EERKSK_lbbbEUlllE0_EEPmJS9_EEE10hipError_tPvRmT3_T4_T5_T6_T7_T9_mT8_P12ihipStream_tbDpT10_ENKUlT_T0_E_clISt17integral_constantIbLb1EES1A_EEDaS15_S16_EUlS15_E_NS1_11comp_targetILNS1_3genE0ELNS1_11target_archE4294967295ELNS1_3gpuE0ELNS1_3repE0EEENS1_30default_config_static_selectorELNS0_4arch9wavefront6targetE1EEEvT1_
; %bb.0:
	.section	.rodata,"a",@progbits
	.p2align	6, 0x0
	.amdhsa_kernel _ZN7rocprim17ROCPRIM_400000_NS6detail17trampoline_kernelINS0_14default_configENS1_25partition_config_selectorILNS1_17partition_subalgoE9EllbEEZZNS1_14partition_implILS5_9ELb0ES3_jPlS8_PNS0_10empty_typeENS0_5tupleIJS8_S9_EEENSB_IJS8_SA_EEENS0_18inequality_wrapperIZN2at6native12_GLOBAL__N_124unique_dim_cuda_templateIaEESt5tupleIJNSF_6TensorESK_SK_EERKSK_lbbbEUlllE0_EEPmJS9_EEE10hipError_tPvRmT3_T4_T5_T6_T7_T9_mT8_P12ihipStream_tbDpT10_ENKUlT_T0_E_clISt17integral_constantIbLb1EES1A_EEDaS15_S16_EUlS15_E_NS1_11comp_targetILNS1_3genE0ELNS1_11target_archE4294967295ELNS1_3gpuE0ELNS1_3repE0EEENS1_30default_config_static_selectorELNS0_4arch9wavefront6targetE1EEEvT1_
		.amdhsa_group_segment_fixed_size 0
		.amdhsa_private_segment_fixed_size 0
		.amdhsa_kernarg_size 136
		.amdhsa_user_sgpr_count 6
		.amdhsa_user_sgpr_private_segment_buffer 1
		.amdhsa_user_sgpr_dispatch_ptr 0
		.amdhsa_user_sgpr_queue_ptr 0
		.amdhsa_user_sgpr_kernarg_segment_ptr 1
		.amdhsa_user_sgpr_dispatch_id 0
		.amdhsa_user_sgpr_flat_scratch_init 0
		.amdhsa_user_sgpr_kernarg_preload_length 0
		.amdhsa_user_sgpr_kernarg_preload_offset 0
		.amdhsa_user_sgpr_private_segment_size 0
		.amdhsa_uses_dynamic_stack 0
		.amdhsa_system_sgpr_private_segment_wavefront_offset 0
		.amdhsa_system_sgpr_workgroup_id_x 1
		.amdhsa_system_sgpr_workgroup_id_y 0
		.amdhsa_system_sgpr_workgroup_id_z 0
		.amdhsa_system_sgpr_workgroup_info 0
		.amdhsa_system_vgpr_workitem_id 0
		.amdhsa_next_free_vgpr 1
		.amdhsa_next_free_sgpr 0
		.amdhsa_accum_offset 4
		.amdhsa_reserve_vcc 0
		.amdhsa_reserve_flat_scratch 0
		.amdhsa_float_round_mode_32 0
		.amdhsa_float_round_mode_16_64 0
		.amdhsa_float_denorm_mode_32 3
		.amdhsa_float_denorm_mode_16_64 3
		.amdhsa_dx10_clamp 1
		.amdhsa_ieee_mode 1
		.amdhsa_fp16_overflow 0
		.amdhsa_tg_split 0
		.amdhsa_exception_fp_ieee_invalid_op 0
		.amdhsa_exception_fp_denorm_src 0
		.amdhsa_exception_fp_ieee_div_zero 0
		.amdhsa_exception_fp_ieee_overflow 0
		.amdhsa_exception_fp_ieee_underflow 0
		.amdhsa_exception_fp_ieee_inexact 0
		.amdhsa_exception_int_div_zero 0
	.end_amdhsa_kernel
	.section	.text._ZN7rocprim17ROCPRIM_400000_NS6detail17trampoline_kernelINS0_14default_configENS1_25partition_config_selectorILNS1_17partition_subalgoE9EllbEEZZNS1_14partition_implILS5_9ELb0ES3_jPlS8_PNS0_10empty_typeENS0_5tupleIJS8_S9_EEENSB_IJS8_SA_EEENS0_18inequality_wrapperIZN2at6native12_GLOBAL__N_124unique_dim_cuda_templateIaEESt5tupleIJNSF_6TensorESK_SK_EERKSK_lbbbEUlllE0_EEPmJS9_EEE10hipError_tPvRmT3_T4_T5_T6_T7_T9_mT8_P12ihipStream_tbDpT10_ENKUlT_T0_E_clISt17integral_constantIbLb1EES1A_EEDaS15_S16_EUlS15_E_NS1_11comp_targetILNS1_3genE0ELNS1_11target_archE4294967295ELNS1_3gpuE0ELNS1_3repE0EEENS1_30default_config_static_selectorELNS0_4arch9wavefront6targetE1EEEvT1_,"axG",@progbits,_ZN7rocprim17ROCPRIM_400000_NS6detail17trampoline_kernelINS0_14default_configENS1_25partition_config_selectorILNS1_17partition_subalgoE9EllbEEZZNS1_14partition_implILS5_9ELb0ES3_jPlS8_PNS0_10empty_typeENS0_5tupleIJS8_S9_EEENSB_IJS8_SA_EEENS0_18inequality_wrapperIZN2at6native12_GLOBAL__N_124unique_dim_cuda_templateIaEESt5tupleIJNSF_6TensorESK_SK_EERKSK_lbbbEUlllE0_EEPmJS9_EEE10hipError_tPvRmT3_T4_T5_T6_T7_T9_mT8_P12ihipStream_tbDpT10_ENKUlT_T0_E_clISt17integral_constantIbLb1EES1A_EEDaS15_S16_EUlS15_E_NS1_11comp_targetILNS1_3genE0ELNS1_11target_archE4294967295ELNS1_3gpuE0ELNS1_3repE0EEENS1_30default_config_static_selectorELNS0_4arch9wavefront6targetE1EEEvT1_,comdat
.Lfunc_end359:
	.size	_ZN7rocprim17ROCPRIM_400000_NS6detail17trampoline_kernelINS0_14default_configENS1_25partition_config_selectorILNS1_17partition_subalgoE9EllbEEZZNS1_14partition_implILS5_9ELb0ES3_jPlS8_PNS0_10empty_typeENS0_5tupleIJS8_S9_EEENSB_IJS8_SA_EEENS0_18inequality_wrapperIZN2at6native12_GLOBAL__N_124unique_dim_cuda_templateIaEESt5tupleIJNSF_6TensorESK_SK_EERKSK_lbbbEUlllE0_EEPmJS9_EEE10hipError_tPvRmT3_T4_T5_T6_T7_T9_mT8_P12ihipStream_tbDpT10_ENKUlT_T0_E_clISt17integral_constantIbLb1EES1A_EEDaS15_S16_EUlS15_E_NS1_11comp_targetILNS1_3genE0ELNS1_11target_archE4294967295ELNS1_3gpuE0ELNS1_3repE0EEENS1_30default_config_static_selectorELNS0_4arch9wavefront6targetE1EEEvT1_, .Lfunc_end359-_ZN7rocprim17ROCPRIM_400000_NS6detail17trampoline_kernelINS0_14default_configENS1_25partition_config_selectorILNS1_17partition_subalgoE9EllbEEZZNS1_14partition_implILS5_9ELb0ES3_jPlS8_PNS0_10empty_typeENS0_5tupleIJS8_S9_EEENSB_IJS8_SA_EEENS0_18inequality_wrapperIZN2at6native12_GLOBAL__N_124unique_dim_cuda_templateIaEESt5tupleIJNSF_6TensorESK_SK_EERKSK_lbbbEUlllE0_EEPmJS9_EEE10hipError_tPvRmT3_T4_T5_T6_T7_T9_mT8_P12ihipStream_tbDpT10_ENKUlT_T0_E_clISt17integral_constantIbLb1EES1A_EEDaS15_S16_EUlS15_E_NS1_11comp_targetILNS1_3genE0ELNS1_11target_archE4294967295ELNS1_3gpuE0ELNS1_3repE0EEENS1_30default_config_static_selectorELNS0_4arch9wavefront6targetE1EEEvT1_
                                        ; -- End function
	.section	.AMDGPU.csdata,"",@progbits
; Kernel info:
; codeLenInByte = 0
; NumSgprs: 4
; NumVgprs: 0
; NumAgprs: 0
; TotalNumVgprs: 0
; ScratchSize: 0
; MemoryBound: 0
; FloatMode: 240
; IeeeMode: 1
; LDSByteSize: 0 bytes/workgroup (compile time only)
; SGPRBlocks: 0
; VGPRBlocks: 0
; NumSGPRsForWavesPerEU: 4
; NumVGPRsForWavesPerEU: 1
; AccumOffset: 4
; Occupancy: 8
; WaveLimiterHint : 0
; COMPUTE_PGM_RSRC2:SCRATCH_EN: 0
; COMPUTE_PGM_RSRC2:USER_SGPR: 6
; COMPUTE_PGM_RSRC2:TRAP_HANDLER: 0
; COMPUTE_PGM_RSRC2:TGID_X_EN: 1
; COMPUTE_PGM_RSRC2:TGID_Y_EN: 0
; COMPUTE_PGM_RSRC2:TGID_Z_EN: 0
; COMPUTE_PGM_RSRC2:TIDIG_COMP_CNT: 0
; COMPUTE_PGM_RSRC3_GFX90A:ACCUM_OFFSET: 0
; COMPUTE_PGM_RSRC3_GFX90A:TG_SPLIT: 0
	.section	.text._ZN7rocprim17ROCPRIM_400000_NS6detail17trampoline_kernelINS0_14default_configENS1_25partition_config_selectorILNS1_17partition_subalgoE9EllbEEZZNS1_14partition_implILS5_9ELb0ES3_jPlS8_PNS0_10empty_typeENS0_5tupleIJS8_S9_EEENSB_IJS8_SA_EEENS0_18inequality_wrapperIZN2at6native12_GLOBAL__N_124unique_dim_cuda_templateIaEESt5tupleIJNSF_6TensorESK_SK_EERKSK_lbbbEUlllE0_EEPmJS9_EEE10hipError_tPvRmT3_T4_T5_T6_T7_T9_mT8_P12ihipStream_tbDpT10_ENKUlT_T0_E_clISt17integral_constantIbLb1EES1A_EEDaS15_S16_EUlS15_E_NS1_11comp_targetILNS1_3genE5ELNS1_11target_archE942ELNS1_3gpuE9ELNS1_3repE0EEENS1_30default_config_static_selectorELNS0_4arch9wavefront6targetE1EEEvT1_,"axG",@progbits,_ZN7rocprim17ROCPRIM_400000_NS6detail17trampoline_kernelINS0_14default_configENS1_25partition_config_selectorILNS1_17partition_subalgoE9EllbEEZZNS1_14partition_implILS5_9ELb0ES3_jPlS8_PNS0_10empty_typeENS0_5tupleIJS8_S9_EEENSB_IJS8_SA_EEENS0_18inequality_wrapperIZN2at6native12_GLOBAL__N_124unique_dim_cuda_templateIaEESt5tupleIJNSF_6TensorESK_SK_EERKSK_lbbbEUlllE0_EEPmJS9_EEE10hipError_tPvRmT3_T4_T5_T6_T7_T9_mT8_P12ihipStream_tbDpT10_ENKUlT_T0_E_clISt17integral_constantIbLb1EES1A_EEDaS15_S16_EUlS15_E_NS1_11comp_targetILNS1_3genE5ELNS1_11target_archE942ELNS1_3gpuE9ELNS1_3repE0EEENS1_30default_config_static_selectorELNS0_4arch9wavefront6targetE1EEEvT1_,comdat
	.globl	_ZN7rocprim17ROCPRIM_400000_NS6detail17trampoline_kernelINS0_14default_configENS1_25partition_config_selectorILNS1_17partition_subalgoE9EllbEEZZNS1_14partition_implILS5_9ELb0ES3_jPlS8_PNS0_10empty_typeENS0_5tupleIJS8_S9_EEENSB_IJS8_SA_EEENS0_18inequality_wrapperIZN2at6native12_GLOBAL__N_124unique_dim_cuda_templateIaEESt5tupleIJNSF_6TensorESK_SK_EERKSK_lbbbEUlllE0_EEPmJS9_EEE10hipError_tPvRmT3_T4_T5_T6_T7_T9_mT8_P12ihipStream_tbDpT10_ENKUlT_T0_E_clISt17integral_constantIbLb1EES1A_EEDaS15_S16_EUlS15_E_NS1_11comp_targetILNS1_3genE5ELNS1_11target_archE942ELNS1_3gpuE9ELNS1_3repE0EEENS1_30default_config_static_selectorELNS0_4arch9wavefront6targetE1EEEvT1_ ; -- Begin function _ZN7rocprim17ROCPRIM_400000_NS6detail17trampoline_kernelINS0_14default_configENS1_25partition_config_selectorILNS1_17partition_subalgoE9EllbEEZZNS1_14partition_implILS5_9ELb0ES3_jPlS8_PNS0_10empty_typeENS0_5tupleIJS8_S9_EEENSB_IJS8_SA_EEENS0_18inequality_wrapperIZN2at6native12_GLOBAL__N_124unique_dim_cuda_templateIaEESt5tupleIJNSF_6TensorESK_SK_EERKSK_lbbbEUlllE0_EEPmJS9_EEE10hipError_tPvRmT3_T4_T5_T6_T7_T9_mT8_P12ihipStream_tbDpT10_ENKUlT_T0_E_clISt17integral_constantIbLb1EES1A_EEDaS15_S16_EUlS15_E_NS1_11comp_targetILNS1_3genE5ELNS1_11target_archE942ELNS1_3gpuE9ELNS1_3repE0EEENS1_30default_config_static_selectorELNS0_4arch9wavefront6targetE1EEEvT1_
	.p2align	8
	.type	_ZN7rocprim17ROCPRIM_400000_NS6detail17trampoline_kernelINS0_14default_configENS1_25partition_config_selectorILNS1_17partition_subalgoE9EllbEEZZNS1_14partition_implILS5_9ELb0ES3_jPlS8_PNS0_10empty_typeENS0_5tupleIJS8_S9_EEENSB_IJS8_SA_EEENS0_18inequality_wrapperIZN2at6native12_GLOBAL__N_124unique_dim_cuda_templateIaEESt5tupleIJNSF_6TensorESK_SK_EERKSK_lbbbEUlllE0_EEPmJS9_EEE10hipError_tPvRmT3_T4_T5_T6_T7_T9_mT8_P12ihipStream_tbDpT10_ENKUlT_T0_E_clISt17integral_constantIbLb1EES1A_EEDaS15_S16_EUlS15_E_NS1_11comp_targetILNS1_3genE5ELNS1_11target_archE942ELNS1_3gpuE9ELNS1_3repE0EEENS1_30default_config_static_selectorELNS0_4arch9wavefront6targetE1EEEvT1_,@function
_ZN7rocprim17ROCPRIM_400000_NS6detail17trampoline_kernelINS0_14default_configENS1_25partition_config_selectorILNS1_17partition_subalgoE9EllbEEZZNS1_14partition_implILS5_9ELb0ES3_jPlS8_PNS0_10empty_typeENS0_5tupleIJS8_S9_EEENSB_IJS8_SA_EEENS0_18inequality_wrapperIZN2at6native12_GLOBAL__N_124unique_dim_cuda_templateIaEESt5tupleIJNSF_6TensorESK_SK_EERKSK_lbbbEUlllE0_EEPmJS9_EEE10hipError_tPvRmT3_T4_T5_T6_T7_T9_mT8_P12ihipStream_tbDpT10_ENKUlT_T0_E_clISt17integral_constantIbLb1EES1A_EEDaS15_S16_EUlS15_E_NS1_11comp_targetILNS1_3genE5ELNS1_11target_archE942ELNS1_3gpuE9ELNS1_3repE0EEENS1_30default_config_static_selectorELNS0_4arch9wavefront6targetE1EEEvT1_: ; @_ZN7rocprim17ROCPRIM_400000_NS6detail17trampoline_kernelINS0_14default_configENS1_25partition_config_selectorILNS1_17partition_subalgoE9EllbEEZZNS1_14partition_implILS5_9ELb0ES3_jPlS8_PNS0_10empty_typeENS0_5tupleIJS8_S9_EEENSB_IJS8_SA_EEENS0_18inequality_wrapperIZN2at6native12_GLOBAL__N_124unique_dim_cuda_templateIaEESt5tupleIJNSF_6TensorESK_SK_EERKSK_lbbbEUlllE0_EEPmJS9_EEE10hipError_tPvRmT3_T4_T5_T6_T7_T9_mT8_P12ihipStream_tbDpT10_ENKUlT_T0_E_clISt17integral_constantIbLb1EES1A_EEDaS15_S16_EUlS15_E_NS1_11comp_targetILNS1_3genE5ELNS1_11target_archE942ELNS1_3gpuE9ELNS1_3repE0EEENS1_30default_config_static_selectorELNS0_4arch9wavefront6targetE1EEEvT1_
; %bb.0:
	.section	.rodata,"a",@progbits
	.p2align	6, 0x0
	.amdhsa_kernel _ZN7rocprim17ROCPRIM_400000_NS6detail17trampoline_kernelINS0_14default_configENS1_25partition_config_selectorILNS1_17partition_subalgoE9EllbEEZZNS1_14partition_implILS5_9ELb0ES3_jPlS8_PNS0_10empty_typeENS0_5tupleIJS8_S9_EEENSB_IJS8_SA_EEENS0_18inequality_wrapperIZN2at6native12_GLOBAL__N_124unique_dim_cuda_templateIaEESt5tupleIJNSF_6TensorESK_SK_EERKSK_lbbbEUlllE0_EEPmJS9_EEE10hipError_tPvRmT3_T4_T5_T6_T7_T9_mT8_P12ihipStream_tbDpT10_ENKUlT_T0_E_clISt17integral_constantIbLb1EES1A_EEDaS15_S16_EUlS15_E_NS1_11comp_targetILNS1_3genE5ELNS1_11target_archE942ELNS1_3gpuE9ELNS1_3repE0EEENS1_30default_config_static_selectorELNS0_4arch9wavefront6targetE1EEEvT1_
		.amdhsa_group_segment_fixed_size 0
		.amdhsa_private_segment_fixed_size 0
		.amdhsa_kernarg_size 136
		.amdhsa_user_sgpr_count 6
		.amdhsa_user_sgpr_private_segment_buffer 1
		.amdhsa_user_sgpr_dispatch_ptr 0
		.amdhsa_user_sgpr_queue_ptr 0
		.amdhsa_user_sgpr_kernarg_segment_ptr 1
		.amdhsa_user_sgpr_dispatch_id 0
		.amdhsa_user_sgpr_flat_scratch_init 0
		.amdhsa_user_sgpr_kernarg_preload_length 0
		.amdhsa_user_sgpr_kernarg_preload_offset 0
		.amdhsa_user_sgpr_private_segment_size 0
		.amdhsa_uses_dynamic_stack 0
		.amdhsa_system_sgpr_private_segment_wavefront_offset 0
		.amdhsa_system_sgpr_workgroup_id_x 1
		.amdhsa_system_sgpr_workgroup_id_y 0
		.amdhsa_system_sgpr_workgroup_id_z 0
		.amdhsa_system_sgpr_workgroup_info 0
		.amdhsa_system_vgpr_workitem_id 0
		.amdhsa_next_free_vgpr 1
		.amdhsa_next_free_sgpr 0
		.amdhsa_accum_offset 4
		.amdhsa_reserve_vcc 0
		.amdhsa_reserve_flat_scratch 0
		.amdhsa_float_round_mode_32 0
		.amdhsa_float_round_mode_16_64 0
		.amdhsa_float_denorm_mode_32 3
		.amdhsa_float_denorm_mode_16_64 3
		.amdhsa_dx10_clamp 1
		.amdhsa_ieee_mode 1
		.amdhsa_fp16_overflow 0
		.amdhsa_tg_split 0
		.amdhsa_exception_fp_ieee_invalid_op 0
		.amdhsa_exception_fp_denorm_src 0
		.amdhsa_exception_fp_ieee_div_zero 0
		.amdhsa_exception_fp_ieee_overflow 0
		.amdhsa_exception_fp_ieee_underflow 0
		.amdhsa_exception_fp_ieee_inexact 0
		.amdhsa_exception_int_div_zero 0
	.end_amdhsa_kernel
	.section	.text._ZN7rocprim17ROCPRIM_400000_NS6detail17trampoline_kernelINS0_14default_configENS1_25partition_config_selectorILNS1_17partition_subalgoE9EllbEEZZNS1_14partition_implILS5_9ELb0ES3_jPlS8_PNS0_10empty_typeENS0_5tupleIJS8_S9_EEENSB_IJS8_SA_EEENS0_18inequality_wrapperIZN2at6native12_GLOBAL__N_124unique_dim_cuda_templateIaEESt5tupleIJNSF_6TensorESK_SK_EERKSK_lbbbEUlllE0_EEPmJS9_EEE10hipError_tPvRmT3_T4_T5_T6_T7_T9_mT8_P12ihipStream_tbDpT10_ENKUlT_T0_E_clISt17integral_constantIbLb1EES1A_EEDaS15_S16_EUlS15_E_NS1_11comp_targetILNS1_3genE5ELNS1_11target_archE942ELNS1_3gpuE9ELNS1_3repE0EEENS1_30default_config_static_selectorELNS0_4arch9wavefront6targetE1EEEvT1_,"axG",@progbits,_ZN7rocprim17ROCPRIM_400000_NS6detail17trampoline_kernelINS0_14default_configENS1_25partition_config_selectorILNS1_17partition_subalgoE9EllbEEZZNS1_14partition_implILS5_9ELb0ES3_jPlS8_PNS0_10empty_typeENS0_5tupleIJS8_S9_EEENSB_IJS8_SA_EEENS0_18inequality_wrapperIZN2at6native12_GLOBAL__N_124unique_dim_cuda_templateIaEESt5tupleIJNSF_6TensorESK_SK_EERKSK_lbbbEUlllE0_EEPmJS9_EEE10hipError_tPvRmT3_T4_T5_T6_T7_T9_mT8_P12ihipStream_tbDpT10_ENKUlT_T0_E_clISt17integral_constantIbLb1EES1A_EEDaS15_S16_EUlS15_E_NS1_11comp_targetILNS1_3genE5ELNS1_11target_archE942ELNS1_3gpuE9ELNS1_3repE0EEENS1_30default_config_static_selectorELNS0_4arch9wavefront6targetE1EEEvT1_,comdat
.Lfunc_end360:
	.size	_ZN7rocprim17ROCPRIM_400000_NS6detail17trampoline_kernelINS0_14default_configENS1_25partition_config_selectorILNS1_17partition_subalgoE9EllbEEZZNS1_14partition_implILS5_9ELb0ES3_jPlS8_PNS0_10empty_typeENS0_5tupleIJS8_S9_EEENSB_IJS8_SA_EEENS0_18inequality_wrapperIZN2at6native12_GLOBAL__N_124unique_dim_cuda_templateIaEESt5tupleIJNSF_6TensorESK_SK_EERKSK_lbbbEUlllE0_EEPmJS9_EEE10hipError_tPvRmT3_T4_T5_T6_T7_T9_mT8_P12ihipStream_tbDpT10_ENKUlT_T0_E_clISt17integral_constantIbLb1EES1A_EEDaS15_S16_EUlS15_E_NS1_11comp_targetILNS1_3genE5ELNS1_11target_archE942ELNS1_3gpuE9ELNS1_3repE0EEENS1_30default_config_static_selectorELNS0_4arch9wavefront6targetE1EEEvT1_, .Lfunc_end360-_ZN7rocprim17ROCPRIM_400000_NS6detail17trampoline_kernelINS0_14default_configENS1_25partition_config_selectorILNS1_17partition_subalgoE9EllbEEZZNS1_14partition_implILS5_9ELb0ES3_jPlS8_PNS0_10empty_typeENS0_5tupleIJS8_S9_EEENSB_IJS8_SA_EEENS0_18inequality_wrapperIZN2at6native12_GLOBAL__N_124unique_dim_cuda_templateIaEESt5tupleIJNSF_6TensorESK_SK_EERKSK_lbbbEUlllE0_EEPmJS9_EEE10hipError_tPvRmT3_T4_T5_T6_T7_T9_mT8_P12ihipStream_tbDpT10_ENKUlT_T0_E_clISt17integral_constantIbLb1EES1A_EEDaS15_S16_EUlS15_E_NS1_11comp_targetILNS1_3genE5ELNS1_11target_archE942ELNS1_3gpuE9ELNS1_3repE0EEENS1_30default_config_static_selectorELNS0_4arch9wavefront6targetE1EEEvT1_
                                        ; -- End function
	.section	.AMDGPU.csdata,"",@progbits
; Kernel info:
; codeLenInByte = 0
; NumSgprs: 4
; NumVgprs: 0
; NumAgprs: 0
; TotalNumVgprs: 0
; ScratchSize: 0
; MemoryBound: 0
; FloatMode: 240
; IeeeMode: 1
; LDSByteSize: 0 bytes/workgroup (compile time only)
; SGPRBlocks: 0
; VGPRBlocks: 0
; NumSGPRsForWavesPerEU: 4
; NumVGPRsForWavesPerEU: 1
; AccumOffset: 4
; Occupancy: 8
; WaveLimiterHint : 0
; COMPUTE_PGM_RSRC2:SCRATCH_EN: 0
; COMPUTE_PGM_RSRC2:USER_SGPR: 6
; COMPUTE_PGM_RSRC2:TRAP_HANDLER: 0
; COMPUTE_PGM_RSRC2:TGID_X_EN: 1
; COMPUTE_PGM_RSRC2:TGID_Y_EN: 0
; COMPUTE_PGM_RSRC2:TGID_Z_EN: 0
; COMPUTE_PGM_RSRC2:TIDIG_COMP_CNT: 0
; COMPUTE_PGM_RSRC3_GFX90A:ACCUM_OFFSET: 0
; COMPUTE_PGM_RSRC3_GFX90A:TG_SPLIT: 0
	.section	.text._ZN7rocprim17ROCPRIM_400000_NS6detail17trampoline_kernelINS0_14default_configENS1_25partition_config_selectorILNS1_17partition_subalgoE9EllbEEZZNS1_14partition_implILS5_9ELb0ES3_jPlS8_PNS0_10empty_typeENS0_5tupleIJS8_S9_EEENSB_IJS8_SA_EEENS0_18inequality_wrapperIZN2at6native12_GLOBAL__N_124unique_dim_cuda_templateIaEESt5tupleIJNSF_6TensorESK_SK_EERKSK_lbbbEUlllE0_EEPmJS9_EEE10hipError_tPvRmT3_T4_T5_T6_T7_T9_mT8_P12ihipStream_tbDpT10_ENKUlT_T0_E_clISt17integral_constantIbLb1EES1A_EEDaS15_S16_EUlS15_E_NS1_11comp_targetILNS1_3genE4ELNS1_11target_archE910ELNS1_3gpuE8ELNS1_3repE0EEENS1_30default_config_static_selectorELNS0_4arch9wavefront6targetE1EEEvT1_,"axG",@progbits,_ZN7rocprim17ROCPRIM_400000_NS6detail17trampoline_kernelINS0_14default_configENS1_25partition_config_selectorILNS1_17partition_subalgoE9EllbEEZZNS1_14partition_implILS5_9ELb0ES3_jPlS8_PNS0_10empty_typeENS0_5tupleIJS8_S9_EEENSB_IJS8_SA_EEENS0_18inequality_wrapperIZN2at6native12_GLOBAL__N_124unique_dim_cuda_templateIaEESt5tupleIJNSF_6TensorESK_SK_EERKSK_lbbbEUlllE0_EEPmJS9_EEE10hipError_tPvRmT3_T4_T5_T6_T7_T9_mT8_P12ihipStream_tbDpT10_ENKUlT_T0_E_clISt17integral_constantIbLb1EES1A_EEDaS15_S16_EUlS15_E_NS1_11comp_targetILNS1_3genE4ELNS1_11target_archE910ELNS1_3gpuE8ELNS1_3repE0EEENS1_30default_config_static_selectorELNS0_4arch9wavefront6targetE1EEEvT1_,comdat
	.globl	_ZN7rocprim17ROCPRIM_400000_NS6detail17trampoline_kernelINS0_14default_configENS1_25partition_config_selectorILNS1_17partition_subalgoE9EllbEEZZNS1_14partition_implILS5_9ELb0ES3_jPlS8_PNS0_10empty_typeENS0_5tupleIJS8_S9_EEENSB_IJS8_SA_EEENS0_18inequality_wrapperIZN2at6native12_GLOBAL__N_124unique_dim_cuda_templateIaEESt5tupleIJNSF_6TensorESK_SK_EERKSK_lbbbEUlllE0_EEPmJS9_EEE10hipError_tPvRmT3_T4_T5_T6_T7_T9_mT8_P12ihipStream_tbDpT10_ENKUlT_T0_E_clISt17integral_constantIbLb1EES1A_EEDaS15_S16_EUlS15_E_NS1_11comp_targetILNS1_3genE4ELNS1_11target_archE910ELNS1_3gpuE8ELNS1_3repE0EEENS1_30default_config_static_selectorELNS0_4arch9wavefront6targetE1EEEvT1_ ; -- Begin function _ZN7rocprim17ROCPRIM_400000_NS6detail17trampoline_kernelINS0_14default_configENS1_25partition_config_selectorILNS1_17partition_subalgoE9EllbEEZZNS1_14partition_implILS5_9ELb0ES3_jPlS8_PNS0_10empty_typeENS0_5tupleIJS8_S9_EEENSB_IJS8_SA_EEENS0_18inequality_wrapperIZN2at6native12_GLOBAL__N_124unique_dim_cuda_templateIaEESt5tupleIJNSF_6TensorESK_SK_EERKSK_lbbbEUlllE0_EEPmJS9_EEE10hipError_tPvRmT3_T4_T5_T6_T7_T9_mT8_P12ihipStream_tbDpT10_ENKUlT_T0_E_clISt17integral_constantIbLb1EES1A_EEDaS15_S16_EUlS15_E_NS1_11comp_targetILNS1_3genE4ELNS1_11target_archE910ELNS1_3gpuE8ELNS1_3repE0EEENS1_30default_config_static_selectorELNS0_4arch9wavefront6targetE1EEEvT1_
	.p2align	8
	.type	_ZN7rocprim17ROCPRIM_400000_NS6detail17trampoline_kernelINS0_14default_configENS1_25partition_config_selectorILNS1_17partition_subalgoE9EllbEEZZNS1_14partition_implILS5_9ELb0ES3_jPlS8_PNS0_10empty_typeENS0_5tupleIJS8_S9_EEENSB_IJS8_SA_EEENS0_18inequality_wrapperIZN2at6native12_GLOBAL__N_124unique_dim_cuda_templateIaEESt5tupleIJNSF_6TensorESK_SK_EERKSK_lbbbEUlllE0_EEPmJS9_EEE10hipError_tPvRmT3_T4_T5_T6_T7_T9_mT8_P12ihipStream_tbDpT10_ENKUlT_T0_E_clISt17integral_constantIbLb1EES1A_EEDaS15_S16_EUlS15_E_NS1_11comp_targetILNS1_3genE4ELNS1_11target_archE910ELNS1_3gpuE8ELNS1_3repE0EEENS1_30default_config_static_selectorELNS0_4arch9wavefront6targetE1EEEvT1_,@function
_ZN7rocprim17ROCPRIM_400000_NS6detail17trampoline_kernelINS0_14default_configENS1_25partition_config_selectorILNS1_17partition_subalgoE9EllbEEZZNS1_14partition_implILS5_9ELb0ES3_jPlS8_PNS0_10empty_typeENS0_5tupleIJS8_S9_EEENSB_IJS8_SA_EEENS0_18inequality_wrapperIZN2at6native12_GLOBAL__N_124unique_dim_cuda_templateIaEESt5tupleIJNSF_6TensorESK_SK_EERKSK_lbbbEUlllE0_EEPmJS9_EEE10hipError_tPvRmT3_T4_T5_T6_T7_T9_mT8_P12ihipStream_tbDpT10_ENKUlT_T0_E_clISt17integral_constantIbLb1EES1A_EEDaS15_S16_EUlS15_E_NS1_11comp_targetILNS1_3genE4ELNS1_11target_archE910ELNS1_3gpuE8ELNS1_3repE0EEENS1_30default_config_static_selectorELNS0_4arch9wavefront6targetE1EEEvT1_: ; @_ZN7rocprim17ROCPRIM_400000_NS6detail17trampoline_kernelINS0_14default_configENS1_25partition_config_selectorILNS1_17partition_subalgoE9EllbEEZZNS1_14partition_implILS5_9ELb0ES3_jPlS8_PNS0_10empty_typeENS0_5tupleIJS8_S9_EEENSB_IJS8_SA_EEENS0_18inequality_wrapperIZN2at6native12_GLOBAL__N_124unique_dim_cuda_templateIaEESt5tupleIJNSF_6TensorESK_SK_EERKSK_lbbbEUlllE0_EEPmJS9_EEE10hipError_tPvRmT3_T4_T5_T6_T7_T9_mT8_P12ihipStream_tbDpT10_ENKUlT_T0_E_clISt17integral_constantIbLb1EES1A_EEDaS15_S16_EUlS15_E_NS1_11comp_targetILNS1_3genE4ELNS1_11target_archE910ELNS1_3gpuE8ELNS1_3repE0EEENS1_30default_config_static_selectorELNS0_4arch9wavefront6targetE1EEEvT1_
; %bb.0:
	s_load_dwordx4 s[8:11], s[4:5], 0x8
	s_load_dwordx2 s[14:15], s[4:5], 0x18
	s_load_dwordx8 s[20:27], s[4:5], 0x40
	s_load_dwordx4 s[16:19], s[4:5], 0x60
	v_cmp_ne_u32_e64 s[2:3], 0, v0
	v_cmp_eq_u32_e64 s[0:1], 0, v0
	s_and_saveexec_b64 s[6:7], s[0:1]
	s_cbranch_execz .LBB361_4
; %bb.1:
	s_mov_b64 s[28:29], exec
	v_mbcnt_lo_u32_b32 v1, s28, 0
	v_mbcnt_hi_u32_b32 v1, s29, v1
	v_cmp_eq_u32_e32 vcc, 0, v1
                                        ; implicit-def: $vgpr2
	s_and_saveexec_b64 s[12:13], vcc
	s_cbranch_execz .LBB361_3
; %bb.2:
	s_load_dwordx2 s[30:31], s[4:5], 0x78
	s_bcnt1_i32_b64 s28, s[28:29]
	v_mov_b32_e32 v2, 0
	v_mov_b32_e32 v3, s28
	s_waitcnt lgkmcnt(0)
	global_atomic_add v2, v2, v3, s[30:31] glc
.LBB361_3:
	s_or_b64 exec, exec, s[12:13]
	s_waitcnt vmcnt(0)
	v_readfirstlane_b32 s12, v2
	v_add_u32_e32 v1, s12, v1
	v_mov_b32_e32 v2, 0
	ds_write_b32 v2, v1
.LBB361_4:
	s_or_b64 exec, exec, s[6:7]
	v_mov_b32_e32 v1, 0
	s_load_dwordx4 s[28:31], s[4:5], 0x28
	s_load_dword s6, s[4:5], 0x70
	s_waitcnt lgkmcnt(0)
	s_barrier
	ds_read_b32 v6, v1
	s_waitcnt lgkmcnt(0)
	s_barrier
	global_load_dwordx2 v[2:3], v1, s[22:23]
	s_lshl_b64 s[36:37], s[10:11], 3
	s_add_u32 s12, s8, s36
	s_addc_u32 s13, s9, s37
	s_add_i32 s22, s6, -1
	s_lshl_b32 s8, s6, 9
	s_lshl_b32 s6, s22, 9
	s_add_i32 s6, s10, s6
	v_readfirstlane_b32 s33, v6
	s_sub_i32 s48, s24, s6
	s_lshl_b32 s6, s33, 9
	s_add_u32 s8, s10, s8
	s_addc_u32 s9, s11, 0
	v_mov_b32_e32 v4, s24
	v_mov_b32_e32 v5, s25
	s_cmp_eq_u32 s33, s22
	s_mov_b32 s7, 0
	v_cmp_ge_u64_e32 vcc, s[8:9], v[4:5]
	s_cselect_b64 s[24:25], -1, 0
	s_lshl_b64 s[8:9], s[6:7], 3
	s_and_b64 s[6:7], vcc, s[24:25]
	s_xor_b64 s[34:35], s[6:7], -1
	s_add_u32 s12, s12, s8
	s_mov_b64 s[4:5], -1
	v_lshrrev_b32_e32 v18, 2, v0
	s_addc_u32 s13, s13, s9
	s_and_b64 vcc, exec, s[34:35]
	s_waitcnt vmcnt(0)
	v_readfirstlane_b32 s22, v2
	v_readfirstlane_b32 s23, v3
	s_cbranch_vccz .LBB361_6
; %bb.5:
	v_lshlrev_b32_e32 v1, 3, v0
	global_load_dwordx2 v[2:3], v1, s[12:13]
	global_load_dwordx2 v[4:5], v1, s[12:13] offset:1024
	global_load_dwordx2 v[6:7], v1, s[12:13] offset:2048
	global_load_dwordx2 v[8:9], v1, s[12:13] offset:3072
	v_or_b32_e32 v11, 0x80, v0
	v_or_b32_e32 v12, 0x100, v0
	;; [unrolled: 1-line block ×3, first 2 shown]
	v_and_b32_e32 v10, 24, v18
	v_lshrrev_b32_e32 v11, 2, v11
	v_lshrrev_b32_e32 v12, 2, v12
	;; [unrolled: 1-line block ×3, first 2 shown]
	v_add_u32_e32 v10, v10, v1
	v_and_b32_e32 v11, 56, v11
	v_and_b32_e32 v12, 0x58, v12
	;; [unrolled: 1-line block ×3, first 2 shown]
	v_add_u32_e32 v11, v11, v1
	v_add_u32_e32 v12, v12, v1
	;; [unrolled: 1-line block ×3, first 2 shown]
	s_mov_b64 s[4:5], 0
	s_waitcnt vmcnt(3)
	ds_write_b64 v10, v[2:3]
	s_waitcnt vmcnt(2)
	ds_write_b64 v11, v[4:5] offset:1024
	s_waitcnt vmcnt(1)
	ds_write_b64 v12, v[6:7] offset:2048
	s_waitcnt vmcnt(0)
	ds_write_b64 v1, v[8:9] offset:3072
	s_waitcnt lgkmcnt(0)
	s_barrier
.LBB361_6:
	s_andn2_b64 vcc, exec, s[4:5]
	v_cmp_gt_u32_e64 s[4:5], s48, v0
	s_cbranch_vccnz .LBB361_16
; %bb.7:
                                        ; implicit-def: $vgpr2_vgpr3_vgpr4_vgpr5_vgpr6_vgpr7_vgpr8_vgpr9
	s_and_saveexec_b64 s[38:39], s[4:5]
	s_cbranch_execz .LBB361_9
; %bb.8:
	v_lshlrev_b32_e32 v1, 3, v0
	global_load_dwordx2 v[2:3], v1, s[12:13]
.LBB361_9:
	s_or_b64 exec, exec, s[38:39]
	v_or_b32_e32 v1, 0x80, v0
	v_cmp_gt_u32_e32 vcc, s48, v1
	s_and_saveexec_b64 s[4:5], vcc
	s_cbranch_execz .LBB361_11
; %bb.10:
	v_lshlrev_b32_e32 v4, 3, v0
	global_load_dwordx2 v[4:5], v4, s[12:13] offset:1024
.LBB361_11:
	s_or_b64 exec, exec, s[4:5]
	v_or_b32_e32 v10, 0x100, v0
	v_cmp_gt_u32_e32 vcc, s48, v10
	s_and_saveexec_b64 s[4:5], vcc
	s_cbranch_execz .LBB361_13
; %bb.12:
	v_lshlrev_b32_e32 v6, 3, v0
	global_load_dwordx2 v[6:7], v6, s[12:13] offset:2048
.LBB361_13:
	;; [unrolled: 9-line block ×3, first 2 shown]
	s_or_b64 exec, exec, s[4:5]
	v_lshrrev_b32_e32 v1, 2, v1
	v_lshlrev_b32_e32 v13, 3, v0
	v_and_b32_e32 v1, 56, v1
	v_add_u32_e32 v1, v1, v13
	s_waitcnt vmcnt(0)
	ds_write_b64 v1, v[4:5] offset:1024
	v_lshrrev_b32_e32 v1, 2, v10
	v_and_b32_e32 v1, 0x78, v1
	v_add_u32_e32 v1, v1, v13
	ds_write_b64 v1, v[6:7] offset:2048
	v_lshrrev_b32_e32 v1, 2, v11
	v_and_b32_e32 v12, 24, v18
	v_and_b32_e32 v1, 0x78, v1
	v_add_u32_e32 v12, v12, v13
	v_add_u32_e32 v1, v1, v13
	ds_write_b64 v12, v[2:3]
	ds_write_b64 v1, v[8:9] offset:3072
	s_waitcnt lgkmcnt(0)
	s_barrier
.LBB361_16:
	v_lshlrev_b32_e32 v1, 2, v0
	v_lshrrev_b32_e32 v2, 3, v0
	v_add_lshl_u32 v19, v2, v1, 3
	ds_read2_b64 v[14:17], v19 offset1:1
	ds_read2_b64 v[10:13], v19 offset0:2 offset1:3
	s_add_u32 s4, s14, s36
	s_addc_u32 s5, s15, s37
	s_add_u32 s4, s4, s8
	s_addc_u32 s5, s5, s9
	s_mov_b64 s[8:9], -1
	s_and_b64 vcc, exec, s[34:35]
	s_waitcnt lgkmcnt(0)
	s_barrier
	s_cbranch_vccz .LBB361_18
; %bb.17:
	v_lshlrev_b32_e32 v20, 3, v0
	global_load_dwordx2 v[2:3], v20, s[4:5]
	global_load_dwordx2 v[4:5], v20, s[4:5] offset:1024
	global_load_dwordx2 v[6:7], v20, s[4:5] offset:2048
	global_load_dwordx2 v[8:9], v20, s[4:5] offset:3072
	v_or_b32_e32 v22, 0x80, v0
	v_or_b32_e32 v23, 0x100, v0
	v_or_b32_e32 v24, 0x180, v0
	v_and_b32_e32 v21, 24, v18
	v_lshrrev_b32_e32 v22, 2, v22
	v_lshrrev_b32_e32 v23, 2, v23
	;; [unrolled: 1-line block ×3, first 2 shown]
	v_add_u32_e32 v21, v21, v20
	v_and_b32_e32 v22, 56, v22
	v_and_b32_e32 v23, 0x58, v23
	;; [unrolled: 1-line block ×3, first 2 shown]
	v_add_u32_e32 v22, v22, v20
	v_add_u32_e32 v23, v23, v20
	;; [unrolled: 1-line block ×3, first 2 shown]
	s_mov_b64 s[8:9], 0
	s_waitcnt vmcnt(3)
	ds_write_b64 v21, v[2:3]
	s_waitcnt vmcnt(2)
	ds_write_b64 v22, v[4:5] offset:1024
	s_waitcnt vmcnt(1)
	ds_write_b64 v23, v[6:7] offset:2048
	;; [unrolled: 2-line block ×3, first 2 shown]
	s_waitcnt lgkmcnt(0)
	s_barrier
.LBB361_18:
	s_andn2_b64 vcc, exec, s[8:9]
	s_cbranch_vccnz .LBB361_28
; %bb.19:
	v_cmp_gt_u32_e32 vcc, s48, v0
                                        ; implicit-def: $vgpr2_vgpr3
	s_and_saveexec_b64 s[8:9], vcc
	s_cbranch_execz .LBB361_21
; %bb.20:
	v_lshlrev_b32_e32 v2, 3, v0
	global_load_dwordx2 v[2:3], v2, s[4:5]
.LBB361_21:
	s_or_b64 exec, exec, s[8:9]
	v_or_b32_e32 v20, 0x80, v0
	v_cmp_gt_u32_e32 vcc, s48, v20
                                        ; implicit-def: $vgpr4_vgpr5
	s_and_saveexec_b64 s[8:9], vcc
	s_cbranch_execz .LBB361_23
; %bb.22:
	v_lshlrev_b32_e32 v4, 3, v0
	global_load_dwordx2 v[4:5], v4, s[4:5] offset:1024
.LBB361_23:
	s_or_b64 exec, exec, s[8:9]
	v_or_b32_e32 v21, 0x100, v0
	v_cmp_gt_u32_e32 vcc, s48, v21
                                        ; implicit-def: $vgpr6_vgpr7
	s_and_saveexec_b64 s[8:9], vcc
	s_cbranch_execz .LBB361_25
; %bb.24:
	v_lshlrev_b32_e32 v6, 3, v0
	global_load_dwordx2 v[6:7], v6, s[4:5] offset:2048
.LBB361_25:
	s_or_b64 exec, exec, s[8:9]
	v_or_b32_e32 v22, 0x180, v0
	v_cmp_gt_u32_e32 vcc, s48, v22
                                        ; implicit-def: $vgpr8_vgpr9
	s_and_saveexec_b64 s[8:9], vcc
	s_cbranch_execz .LBB361_27
; %bb.26:
	v_lshlrev_b32_e32 v8, 3, v0
	global_load_dwordx2 v[8:9], v8, s[4:5] offset:3072
.LBB361_27:
	s_or_b64 exec, exec, s[8:9]
	v_and_b32_e32 v18, 24, v18
	v_lshlrev_b32_e32 v23, 3, v0
	v_add_u32_e32 v18, v18, v23
	s_waitcnt vmcnt(0)
	ds_write_b64 v18, v[2:3]
	v_lshrrev_b32_e32 v2, 2, v20
	v_and_b32_e32 v2, 56, v2
	v_add_u32_e32 v2, v2, v23
	ds_write_b64 v2, v[4:5] offset:1024
	v_lshrrev_b32_e32 v2, 2, v21
	v_and_b32_e32 v2, 0x78, v2
	v_add_u32_e32 v2, v2, v23
	ds_write_b64 v2, v[6:7] offset:2048
	v_lshrrev_b32_e32 v2, 2, v22
	v_and_b32_e32 v2, 0x78, v2
	v_add_u32_e32 v2, v2, v23
	ds_write_b64 v2, v[8:9] offset:3072
	s_waitcnt lgkmcnt(0)
	s_barrier
.LBB361_28:
	ds_read2_b64 v[6:9], v19 offset1:1
	ds_read2_b64 v[2:5], v19 offset0:2 offset1:3
	s_cmp_lg_u32 s33, 0
	s_cselect_b64 s[36:37], -1, 0
	s_cmp_lg_u64 s[10:11], 0
	s_cselect_b64 s[4:5], -1, 0
	s_or_b64 s[4:5], s[4:5], s[36:37]
	s_mov_b64 s[8:9], 0
	s_and_b64 vcc, exec, s[4:5]
	v_cmp_gt_i64_e64 s[4:5], s[26:27], 0
	s_waitcnt lgkmcnt(0)
	s_barrier
	s_cbranch_vccz .LBB361_37
; %bb.29:
	v_mov_b32_e32 v18, 0
	global_load_dwordx2 v[18:19], v18, s[12:13] offset:-8
	v_cndmask_b32_e64 v20, 0, 1, s[4:5]
	v_lshlrev_b32_e32 v29, 3, v0
	s_and_b64 vcc, exec, s[34:35]
	v_cmp_ne_u32_e64 s[4:5], 1, v20
	ds_write_b64 v29, v[12:13]
	s_cbranch_vccz .LBB361_38
; %bb.30:
	v_mul_lo_u32 v22, v11, s26
	v_mul_lo_u32 v23, v10, s27
	v_mad_u64_u32 v[20:21], s[10:11], v10, s26, 0
	s_and_b64 vcc, exec, s[4:5]
	v_add3_u32 v21, v21, v23, v22
	s_cbranch_vccnz .LBB361_41
; %bb.31:
	v_mov_b32_e32 v23, s17
	v_add_co_u32_e32 v22, vcc, s16, v20
	v_pk_mov_b32 v[24:25], s[16:17], s[16:17] op_sel:[0,1]
	v_addc_co_u32_e32 v23, vcc, v23, v21, vcc
	v_mad_u64_u32 v[24:25], s[8:9], v12, s26, v[24:25]
	v_mul_lo_u32 v26, v12, s27
	v_mul_lo_u32 v27, v13, s26
	v_add3_u32 v25, v27, v25, v26
	global_load_ubyte v26, v[22:23], off
	global_load_ubyte v27, v[24:25], off
	s_mov_b64 s[8:9], -1
	s_waitcnt vmcnt(0)
	v_cmp_eq_u16_e32 vcc, v26, v27
	s_and_saveexec_b64 s[10:11], vcc
	s_cbranch_execz .LBB361_40
; %bb.32:
	s_mov_b64 s[14:15], 1
	s_mov_b64 s[8:9], 0
                                        ; implicit-def: $sgpr12_sgpr13
	s_branch .LBB361_35
.LBB361_33:                             ;   in Loop: Header=BB361_35 Depth=1
	v_mov_b32_e32 v28, s15
	v_add_co_u32_e32 v26, vcc, s14, v22
	v_addc_co_u32_e32 v27, vcc, v23, v28, vcc
	v_add_co_u32_e32 v30, vcc, s14, v24
	v_addc_co_u32_e32 v31, vcc, v25, v28, vcc
	global_load_ubyte v28, v[26:27], off
	global_load_ubyte v32, v[30:31], off
	s_add_u32 s38, s14, 1
	s_addc_u32 s39, s15, 0
	s_andn2_b64 s[12:13], s[12:13], exec
	s_waitcnt vmcnt(0)
	v_cmp_ne_u16_e32 vcc, v28, v32
	s_and_b64 s[40:41], vcc, exec
	s_or_b64 s[12:13], s[12:13], s[40:41]
.LBB361_34:                             ;   in Loop: Header=BB361_35 Depth=1
	s_and_b64 s[40:41], exec, s[12:13]
	s_or_b64 s[8:9], s[40:41], s[8:9]
	v_pk_mov_b32 v[26:27], s[14:15], s[14:15] op_sel:[0,1]
	s_mov_b64 s[14:15], s[38:39]
	s_andn2_b64 exec, exec, s[8:9]
	s_cbranch_execz .LBB361_39
.LBB361_35:                             ; =>This Inner Loop Header: Depth=1
	s_or_b64 s[12:13], s[12:13], exec
	s_cmp_eq_u64 s[26:27], s[14:15]
	s_cbranch_scc0 .LBB361_33
; %bb.36:                               ;   in Loop: Header=BB361_35 Depth=1
                                        ; implicit-def: $sgpr38_sgpr39
	s_mov_b64 s[14:15], s[26:27]
	s_branch .LBB361_34
.LBB361_37:
                                        ; implicit-def: $sgpr12_sgpr13
                                        ; implicit-def: $vgpr28
	s_branch .LBB361_119
.LBB361_38:
                                        ; implicit-def: $sgpr12_sgpr13
                                        ; implicit-def: $vgpr28
	s_cbranch_execnz .LBB361_71
	s_branch .LBB361_118
.LBB361_39:
	s_or_b64 exec, exec, s[8:9]
	v_cmp_gt_i64_e32 vcc, s[26:27], v[26:27]
	s_orn2_b64 s[8:9], vcc, exec
.LBB361_40:
	s_or_b64 exec, exec, s[10:11]
.LBB361_41:
	v_mul_lo_u32 v24, v17, s26
	v_mul_lo_u32 v25, v16, s27
	v_mad_u64_u32 v[22:23], s[10:11], v16, s26, 0
	v_add3_u32 v23, v23, v25, v24
	s_mov_b64 s[10:11], 0
	s_and_b64 vcc, exec, s[4:5]
	s_mov_b64 s[12:13], 0
	s_cbranch_vccnz .LBB361_50
; %bb.42:
	v_mov_b32_e32 v25, s17
	v_add_co_u32_e32 v24, vcc, s16, v22
	v_addc_co_u32_e32 v25, vcc, v25, v23, vcc
	v_mov_b32_e32 v26, s17
	v_add_co_u32_e32 v20, vcc, s16, v20
	v_addc_co_u32_e32 v21, vcc, v26, v21, vcc
	global_load_ubyte v26, v[24:25], off
	global_load_ubyte v27, v[20:21], off
	s_mov_b64 s[12:13], -1
	s_waitcnt vmcnt(0)
	v_cmp_eq_u16_e32 vcc, v26, v27
	s_and_saveexec_b64 s[14:15], vcc
	s_cbranch_execz .LBB361_49
; %bb.43:
	s_mov_b64 s[40:41], 1
	s_mov_b64 s[12:13], 0
                                        ; implicit-def: $sgpr38_sgpr39
	s_branch .LBB361_46
.LBB361_44:                             ;   in Loop: Header=BB361_46 Depth=1
	v_mov_b32_e32 v28, s41
	v_add_co_u32_e32 v26, vcc, s40, v24
	v_addc_co_u32_e32 v27, vcc, v25, v28, vcc
	v_add_co_u32_e32 v30, vcc, s40, v20
	v_addc_co_u32_e32 v31, vcc, v21, v28, vcc
	global_load_ubyte v28, v[26:27], off
	global_load_ubyte v32, v[30:31], off
	s_add_u32 s42, s40, 1
	s_addc_u32 s43, s41, 0
	s_andn2_b64 s[38:39], s[38:39], exec
	s_waitcnt vmcnt(0)
	v_cmp_ne_u16_e32 vcc, v28, v32
	s_and_b64 s[44:45], vcc, exec
	s_or_b64 s[38:39], s[38:39], s[44:45]
.LBB361_45:                             ;   in Loop: Header=BB361_46 Depth=1
	s_and_b64 s[44:45], exec, s[38:39]
	s_or_b64 s[12:13], s[44:45], s[12:13]
	v_pk_mov_b32 v[26:27], s[40:41], s[40:41] op_sel:[0,1]
	s_mov_b64 s[40:41], s[42:43]
	s_andn2_b64 exec, exec, s[12:13]
	s_cbranch_execz .LBB361_48
.LBB361_46:                             ; =>This Inner Loop Header: Depth=1
	s_or_b64 s[38:39], s[38:39], exec
	s_cmp_eq_u64 s[26:27], s[40:41]
	s_cbranch_scc0 .LBB361_44
; %bb.47:                               ;   in Loop: Header=BB361_46 Depth=1
                                        ; implicit-def: $sgpr42_sgpr43
	s_mov_b64 s[40:41], s[26:27]
	s_branch .LBB361_45
.LBB361_48:
	s_or_b64 exec, exec, s[12:13]
	v_cmp_gt_i64_e32 vcc, s[26:27], v[26:27]
	s_orn2_b64 s[12:13], vcc, exec
.LBB361_49:
	s_or_b64 exec, exec, s[14:15]
.LBB361_50:
	v_mul_lo_u32 v24, v15, s26
	v_mul_lo_u32 v25, v14, s27
	v_mad_u64_u32 v[20:21], s[14:15], v14, s26, 0
	s_and_b64 vcc, exec, s[4:5]
	v_add3_u32 v21, v21, v25, v24
	s_cbranch_vccnz .LBB361_59
; %bb.51:
	v_mov_b32_e32 v25, s17
	v_add_co_u32_e32 v24, vcc, s16, v20
	v_addc_co_u32_e32 v25, vcc, v25, v21, vcc
	v_mov_b32_e32 v26, s17
	v_add_co_u32_e32 v22, vcc, s16, v22
	v_addc_co_u32_e32 v23, vcc, v26, v23, vcc
	global_load_ubyte v26, v[24:25], off
	global_load_ubyte v27, v[22:23], off
	s_mov_b64 s[10:11], -1
	s_waitcnt vmcnt(0)
	v_cmp_eq_u16_e32 vcc, v26, v27
	s_and_saveexec_b64 s[14:15], vcc
	s_cbranch_execz .LBB361_58
; %bb.52:
	s_mov_b64 s[40:41], 1
	s_mov_b64 s[10:11], 0
                                        ; implicit-def: $sgpr38_sgpr39
	s_branch .LBB361_55
.LBB361_53:                             ;   in Loop: Header=BB361_55 Depth=1
	v_mov_b32_e32 v28, s41
	v_add_co_u32_e32 v26, vcc, s40, v24
	v_addc_co_u32_e32 v27, vcc, v25, v28, vcc
	v_add_co_u32_e32 v30, vcc, s40, v22
	v_addc_co_u32_e32 v31, vcc, v23, v28, vcc
	global_load_ubyte v28, v[26:27], off
	global_load_ubyte v32, v[30:31], off
	s_add_u32 s42, s40, 1
	s_addc_u32 s43, s41, 0
	s_andn2_b64 s[38:39], s[38:39], exec
	s_waitcnt vmcnt(0)
	v_cmp_ne_u16_e32 vcc, v28, v32
	s_and_b64 s[44:45], vcc, exec
	s_or_b64 s[38:39], s[38:39], s[44:45]
.LBB361_54:                             ;   in Loop: Header=BB361_55 Depth=1
	s_and_b64 s[44:45], exec, s[38:39]
	s_or_b64 s[10:11], s[44:45], s[10:11]
	v_pk_mov_b32 v[26:27], s[40:41], s[40:41] op_sel:[0,1]
	s_mov_b64 s[40:41], s[42:43]
	s_andn2_b64 exec, exec, s[10:11]
	s_cbranch_execz .LBB361_57
.LBB361_55:                             ; =>This Inner Loop Header: Depth=1
	s_or_b64 s[38:39], s[38:39], exec
	s_cmp_eq_u64 s[26:27], s[40:41]
	s_cbranch_scc0 .LBB361_53
; %bb.56:                               ;   in Loop: Header=BB361_55 Depth=1
                                        ; implicit-def: $sgpr42_sgpr43
	s_mov_b64 s[40:41], s[26:27]
	s_branch .LBB361_54
.LBB361_57:
	s_or_b64 exec, exec, s[10:11]
	v_cmp_gt_i64_e32 vcc, s[26:27], v[26:27]
	s_orn2_b64 s[10:11], vcc, exec
.LBB361_58:
	s_or_b64 exec, exec, s[14:15]
.LBB361_59:
	s_waitcnt vmcnt(0)
	v_pk_mov_b32 v[24:25], v[18:19], v[18:19] op_sel:[0,1]
	s_waitcnt lgkmcnt(0)
	s_barrier
	s_and_saveexec_b64 s[14:15], s[2:3]
	s_cbranch_execz .LBB361_61
; %bb.60:
	v_add_u32_e32 v22, -8, v29
	ds_read_b64 v[24:25], v22
.LBB361_61:
	s_or_b64 exec, exec, s[14:15]
	v_cndmask_b32_e64 v23, 0, 1, s[8:9]
	v_cndmask_b32_e64 v22, 0, 1, s[12:13]
	;; [unrolled: 1-line block ×3, first 2 shown]
	v_lshlrev_b16_e32 v23, 8, v23
	v_lshlrev_b16_e32 v26, 8, v26
	v_or_b32_sdwa v27, v22, v23 dst_sel:WORD_1 dst_unused:UNUSED_PAD src0_sel:DWORD src1_sel:DWORD
	s_mov_b64 s[8:9], 0
	s_and_b64 vcc, exec, s[4:5]
	s_mov_b64 s[12:13], 0
	s_cbranch_vccnz .LBB361_70
; %bb.62:
	v_pk_mov_b32 v[22:23], s[16:17], s[16:17] op_sel:[0,1]
	s_waitcnt lgkmcnt(0)
	v_mad_u64_u32 v[22:23], s[10:11], v24, s26, v[22:23]
	v_mul_lo_u32 v24, v24, s27
	v_mul_lo_u32 v25, v25, s26
	v_add3_u32 v23, v25, v23, v24
	v_mov_b32_e32 v24, s17
	v_add_co_u32_e32 v20, vcc, s16, v20
	v_addc_co_u32_e32 v21, vcc, v24, v21, vcc
	global_load_ubyte v24, v[22:23], off
	global_load_ubyte v25, v[20:21], off
	s_mov_b64 s[12:13], -1
	s_waitcnt vmcnt(0)
	v_cmp_eq_u16_e32 vcc, v24, v25
	s_and_saveexec_b64 s[10:11], vcc
	s_cbranch_execz .LBB361_69
; %bb.63:
	s_mov_b64 s[38:39], 1
	s_mov_b64 s[12:13], 0
                                        ; implicit-def: $sgpr14_sgpr15
	s_branch .LBB361_66
.LBB361_64:                             ;   in Loop: Header=BB361_66 Depth=1
	v_mov_b32_e32 v28, s39
	v_add_co_u32_e32 v24, vcc, s38, v22
	v_addc_co_u32_e32 v25, vcc, v23, v28, vcc
	v_add_co_u32_e32 v30, vcc, s38, v20
	v_addc_co_u32_e32 v31, vcc, v21, v28, vcc
	global_load_ubyte v28, v[24:25], off
	global_load_ubyte v32, v[30:31], off
	s_add_u32 s40, s38, 1
	s_addc_u32 s41, s39, 0
	s_andn2_b64 s[14:15], s[14:15], exec
	s_waitcnt vmcnt(0)
	v_cmp_ne_u16_e32 vcc, v28, v32
	s_and_b64 s[42:43], vcc, exec
	s_or_b64 s[14:15], s[14:15], s[42:43]
.LBB361_65:                             ;   in Loop: Header=BB361_66 Depth=1
	s_and_b64 s[42:43], exec, s[14:15]
	s_or_b64 s[12:13], s[42:43], s[12:13]
	v_pk_mov_b32 v[24:25], s[38:39], s[38:39] op_sel:[0,1]
	s_mov_b64 s[38:39], s[40:41]
	s_andn2_b64 exec, exec, s[12:13]
	s_cbranch_execz .LBB361_68
.LBB361_66:                             ; =>This Inner Loop Header: Depth=1
	s_or_b64 s[14:15], s[14:15], exec
	s_cmp_eq_u64 s[26:27], s[38:39]
	s_cbranch_scc0 .LBB361_64
; %bb.67:                               ;   in Loop: Header=BB361_66 Depth=1
                                        ; implicit-def: $sgpr40_sgpr41
	s_mov_b64 s[38:39], s[26:27]
	s_branch .LBB361_65
.LBB361_68:
	s_or_b64 exec, exec, s[12:13]
	v_cmp_gt_i64_e32 vcc, s[26:27], v[24:25]
	s_orn2_b64 s[12:13], vcc, exec
.LBB361_69:
	s_or_b64 exec, exec, s[10:11]
.LBB361_70:
	v_or_b32_e32 v28, v26, v27
	s_and_b64 vcc, exec, s[8:9]
	s_cbranch_vccz .LBB361_118
.LBB361_71:
	v_or_b32_e32 v20, 3, v1
	v_cmp_gt_u32_e32 vcc, s48, v20
	s_mov_b64 s[10:11], 0
	s_mov_b64 s[8:9], 0
	s_and_saveexec_b64 s[12:13], vcc
	s_cbranch_execz .LBB361_82
; %bb.72:
	s_and_b64 vcc, exec, s[4:5]
	s_mov_b64 s[14:15], 0
	s_cbranch_vccnz .LBB361_81
; %bb.73:
	v_pk_mov_b32 v[22:23], s[16:17], s[16:17] op_sel:[0,1]
	v_mad_u64_u32 v[20:21], s[8:9], v10, s26, v[22:23]
	s_waitcnt lgkmcnt(0)
	v_mul_lo_u32 v24, v10, s27
	v_mul_lo_u32 v25, v11, s26
	v_add3_u32 v21, v25, v21, v24
	v_mad_u64_u32 v[22:23], s[8:9], v12, s26, v[22:23]
	v_mul_lo_u32 v24, v12, s27
	v_mul_lo_u32 v25, v13, s26
	v_add3_u32 v23, v25, v23, v24
	global_load_ubyte v24, v[20:21], off
	global_load_ubyte v25, v[22:23], off
	s_mov_b64 s[14:15], -1
	s_waitcnt vmcnt(0)
	v_cmp_eq_u16_e32 vcc, v24, v25
	s_and_saveexec_b64 s[8:9], vcc
	s_cbranch_execz .LBB361_80
; %bb.74:
	s_mov_b64 s[40:41], 1
	s_mov_b64 s[14:15], 0
                                        ; implicit-def: $sgpr38_sgpr39
	s_branch .LBB361_77
.LBB361_75:                             ;   in Loop: Header=BB361_77 Depth=1
	v_mov_b32_e32 v27, s41
	v_add_co_u32_e32 v24, vcc, s40, v20
	v_addc_co_u32_e32 v25, vcc, v21, v27, vcc
	v_add_co_u32_e32 v26, vcc, s40, v22
	v_addc_co_u32_e32 v27, vcc, v23, v27, vcc
	global_load_ubyte v28, v[24:25], off
	global_load_ubyte v30, v[26:27], off
	s_add_u32 s42, s40, 1
	s_addc_u32 s43, s41, 0
	s_andn2_b64 s[38:39], s[38:39], exec
	s_waitcnt vmcnt(0)
	v_cmp_ne_u16_e32 vcc, v28, v30
	s_and_b64 s[44:45], vcc, exec
	s_or_b64 s[38:39], s[38:39], s[44:45]
.LBB361_76:                             ;   in Loop: Header=BB361_77 Depth=1
	s_and_b64 s[44:45], exec, s[38:39]
	s_or_b64 s[14:15], s[44:45], s[14:15]
	v_pk_mov_b32 v[24:25], s[40:41], s[40:41] op_sel:[0,1]
	s_mov_b64 s[40:41], s[42:43]
	s_andn2_b64 exec, exec, s[14:15]
	s_cbranch_execz .LBB361_79
.LBB361_77:                             ; =>This Inner Loop Header: Depth=1
	s_or_b64 s[38:39], s[38:39], exec
	s_cmp_eq_u64 s[26:27], s[40:41]
	s_cbranch_scc0 .LBB361_75
; %bb.78:                               ;   in Loop: Header=BB361_77 Depth=1
                                        ; implicit-def: $sgpr42_sgpr43
	s_mov_b64 s[40:41], s[26:27]
	s_branch .LBB361_76
.LBB361_79:
	s_or_b64 exec, exec, s[14:15]
	v_cmp_gt_i64_e32 vcc, s[26:27], v[24:25]
	s_orn2_b64 s[14:15], vcc, exec
.LBB361_80:
	s_or_b64 exec, exec, s[8:9]
.LBB361_81:
	s_and_b64 s[8:9], s[14:15], exec
.LBB361_82:
	s_or_b64 exec, exec, s[12:13]
	v_or_b32_e32 v20, 2, v1
	v_cmp_gt_u32_e32 vcc, s48, v20
	s_and_saveexec_b64 s[12:13], vcc
	s_cbranch_execz .LBB361_93
; %bb.83:
	s_and_b64 vcc, exec, s[4:5]
	s_mov_b64 s[14:15], 0
	s_cbranch_vccnz .LBB361_92
; %bb.84:
	v_pk_mov_b32 v[22:23], s[16:17], s[16:17] op_sel:[0,1]
	v_mad_u64_u32 v[20:21], s[10:11], v16, s26, v[22:23]
	s_waitcnt lgkmcnt(0)
	v_mul_lo_u32 v24, v16, s27
	v_mul_lo_u32 v25, v17, s26
	v_add3_u32 v21, v25, v21, v24
	v_mad_u64_u32 v[22:23], s[10:11], v10, s26, v[22:23]
	v_mul_lo_u32 v24, v10, s27
	v_mul_lo_u32 v25, v11, s26
	v_add3_u32 v23, v25, v23, v24
	global_load_ubyte v24, v[20:21], off
	global_load_ubyte v25, v[22:23], off
	s_mov_b64 s[14:15], -1
	s_waitcnt vmcnt(0)
	v_cmp_eq_u16_e32 vcc, v24, v25
	s_and_saveexec_b64 s[10:11], vcc
	s_cbranch_execz .LBB361_91
; %bb.85:
	s_mov_b64 s[40:41], 1
	s_mov_b64 s[14:15], 0
                                        ; implicit-def: $sgpr38_sgpr39
	s_branch .LBB361_88
.LBB361_86:                             ;   in Loop: Header=BB361_88 Depth=1
	v_mov_b32_e32 v27, s41
	v_add_co_u32_e32 v24, vcc, s40, v20
	v_addc_co_u32_e32 v25, vcc, v21, v27, vcc
	v_add_co_u32_e32 v26, vcc, s40, v22
	v_addc_co_u32_e32 v27, vcc, v23, v27, vcc
	global_load_ubyte v28, v[24:25], off
	global_load_ubyte v30, v[26:27], off
	s_add_u32 s42, s40, 1
	s_addc_u32 s43, s41, 0
	s_andn2_b64 s[38:39], s[38:39], exec
	s_waitcnt vmcnt(0)
	v_cmp_ne_u16_e32 vcc, v28, v30
	s_and_b64 s[44:45], vcc, exec
	s_or_b64 s[38:39], s[38:39], s[44:45]
.LBB361_87:                             ;   in Loop: Header=BB361_88 Depth=1
	s_and_b64 s[44:45], exec, s[38:39]
	s_or_b64 s[14:15], s[44:45], s[14:15]
	v_pk_mov_b32 v[24:25], s[40:41], s[40:41] op_sel:[0,1]
	s_mov_b64 s[40:41], s[42:43]
	s_andn2_b64 exec, exec, s[14:15]
	s_cbranch_execz .LBB361_90
.LBB361_88:                             ; =>This Inner Loop Header: Depth=1
	s_or_b64 s[38:39], s[38:39], exec
	s_cmp_eq_u64 s[26:27], s[40:41]
	s_cbranch_scc0 .LBB361_86
; %bb.89:                               ;   in Loop: Header=BB361_88 Depth=1
                                        ; implicit-def: $sgpr42_sgpr43
	s_mov_b64 s[40:41], s[26:27]
	s_branch .LBB361_87
.LBB361_90:
	s_or_b64 exec, exec, s[14:15]
	v_cmp_gt_i64_e32 vcc, s[26:27], v[24:25]
	s_orn2_b64 s[14:15], vcc, exec
.LBB361_91:
	s_or_b64 exec, exec, s[10:11]
.LBB361_92:
	s_and_b64 s[10:11], s[14:15], exec
.LBB361_93:
	s_or_b64 exec, exec, s[12:13]
	v_or_b32_e32 v20, 1, v1
	v_cmp_gt_u32_e32 vcc, s48, v20
	s_mov_b64 s[14:15], 0
	s_and_saveexec_b64 s[12:13], vcc
	s_cbranch_execz .LBB361_104
; %bb.94:
	s_and_b64 vcc, exec, s[4:5]
	s_mov_b64 s[38:39], 0
	s_cbranch_vccnz .LBB361_103
; %bb.95:
	v_pk_mov_b32 v[22:23], s[16:17], s[16:17] op_sel:[0,1]
	v_mad_u64_u32 v[20:21], s[14:15], v14, s26, v[22:23]
	s_waitcnt lgkmcnt(0)
	v_mul_lo_u32 v24, v14, s27
	v_mul_lo_u32 v25, v15, s26
	v_add3_u32 v21, v25, v21, v24
	v_mad_u64_u32 v[22:23], s[14:15], v16, s26, v[22:23]
	v_mul_lo_u32 v24, v16, s27
	v_mul_lo_u32 v25, v17, s26
	v_add3_u32 v23, v25, v23, v24
	global_load_ubyte v24, v[20:21], off
	global_load_ubyte v25, v[22:23], off
	s_mov_b64 s[38:39], -1
	s_waitcnt vmcnt(0)
	v_cmp_eq_u16_e32 vcc, v24, v25
	s_and_saveexec_b64 s[14:15], vcc
	s_cbranch_execz .LBB361_102
; %bb.96:
	s_mov_b64 s[42:43], 1
	s_mov_b64 s[38:39], 0
                                        ; implicit-def: $sgpr40_sgpr41
	s_branch .LBB361_99
.LBB361_97:                             ;   in Loop: Header=BB361_99 Depth=1
	v_mov_b32_e32 v27, s43
	v_add_co_u32_e32 v24, vcc, s42, v20
	v_addc_co_u32_e32 v25, vcc, v21, v27, vcc
	v_add_co_u32_e32 v26, vcc, s42, v22
	v_addc_co_u32_e32 v27, vcc, v23, v27, vcc
	global_load_ubyte v28, v[24:25], off
	global_load_ubyte v30, v[26:27], off
	s_add_u32 s44, s42, 1
	s_addc_u32 s45, s43, 0
	s_andn2_b64 s[40:41], s[40:41], exec
	s_waitcnt vmcnt(0)
	v_cmp_ne_u16_e32 vcc, v28, v30
	s_and_b64 s[46:47], vcc, exec
	s_or_b64 s[40:41], s[40:41], s[46:47]
.LBB361_98:                             ;   in Loop: Header=BB361_99 Depth=1
	s_and_b64 s[46:47], exec, s[40:41]
	s_or_b64 s[38:39], s[46:47], s[38:39]
	v_pk_mov_b32 v[24:25], s[42:43], s[42:43] op_sel:[0,1]
	s_mov_b64 s[42:43], s[44:45]
	s_andn2_b64 exec, exec, s[38:39]
	s_cbranch_execz .LBB361_101
.LBB361_99:                             ; =>This Inner Loop Header: Depth=1
	s_or_b64 s[40:41], s[40:41], exec
	s_cmp_eq_u64 s[26:27], s[42:43]
	s_cbranch_scc0 .LBB361_97
; %bb.100:                              ;   in Loop: Header=BB361_99 Depth=1
                                        ; implicit-def: $sgpr44_sgpr45
	s_mov_b64 s[42:43], s[26:27]
	s_branch .LBB361_98
.LBB361_101:
	s_or_b64 exec, exec, s[38:39]
	v_cmp_gt_i64_e32 vcc, s[26:27], v[24:25]
	s_orn2_b64 s[38:39], vcc, exec
.LBB361_102:
	s_or_b64 exec, exec, s[14:15]
.LBB361_103:
	s_and_b64 s[14:15], s[38:39], exec
.LBB361_104:
	s_or_b64 exec, exec, s[12:13]
	s_waitcnt lgkmcnt(0)
	s_barrier
	s_and_saveexec_b64 s[12:13], s[2:3]
	s_cbranch_execz .LBB361_106
; %bb.105:
	s_waitcnt vmcnt(0)
	v_add_u32_e32 v18, -8, v29
	ds_read_b64 v[18:19], v18
.LBB361_106:
	s_or_b64 exec, exec, s[12:13]
	v_cndmask_b32_e64 v21, 0, 1, s[8:9]
	v_cndmask_b32_e64 v20, 0, 1, s[10:11]
	;; [unrolled: 1-line block ×3, first 2 shown]
	v_lshlrev_b16_e32 v21, 8, v21
	v_lshlrev_b16_e32 v24, 8, v22
	v_or_b32_sdwa v25, v20, v21 dst_sel:WORD_1 dst_unused:UNUSED_PAD src0_sel:DWORD src1_sel:DWORD
	v_cmp_gt_u32_e32 vcc, s48, v1
	s_mov_b64 s[12:13], 0
	s_and_saveexec_b64 s[8:9], vcc
	s_cbranch_execz .LBB361_117
; %bb.107:
	s_and_b64 vcc, exec, s[4:5]
	s_mov_b64 s[10:11], 0
	s_cbranch_vccnz .LBB361_116
; %bb.108:
	v_pk_mov_b32 v[22:23], s[16:17], s[16:17] op_sel:[0,1]
	s_waitcnt vmcnt(0) lgkmcnt(0)
	v_mad_u64_u32 v[20:21], s[4:5], v18, s26, v[22:23]
	v_mul_lo_u32 v18, v18, s27
	v_mul_lo_u32 v19, v19, s26
	v_add3_u32 v21, v19, v21, v18
	v_mad_u64_u32 v[18:19], s[4:5], v14, s26, v[22:23]
	v_mul_lo_u32 v22, v14, s27
	v_mul_lo_u32 v23, v15, s26
	v_add3_u32 v19, v23, v19, v22
	global_load_ubyte v22, v[20:21], off
	global_load_ubyte v23, v[18:19], off
	s_mov_b64 s[10:11], -1
	s_waitcnt vmcnt(0)
	v_cmp_eq_u16_e32 vcc, v22, v23
	s_and_saveexec_b64 s[4:5], vcc
	s_cbranch_execz .LBB361_115
; %bb.109:
	s_mov_b64 s[14:15], 1
	s_mov_b64 s[10:11], 0
                                        ; implicit-def: $sgpr12_sgpr13
	s_branch .LBB361_112
.LBB361_110:                            ;   in Loop: Header=BB361_112 Depth=1
	v_mov_b32_e32 v27, s15
	v_add_co_u32_e32 v22, vcc, s14, v20
	v_addc_co_u32_e32 v23, vcc, v21, v27, vcc
	v_add_co_u32_e32 v26, vcc, s14, v18
	v_addc_co_u32_e32 v27, vcc, v19, v27, vcc
	global_load_ubyte v28, v[22:23], off
	global_load_ubyte v29, v[26:27], off
	s_add_u32 s38, s14, 1
	s_addc_u32 s39, s15, 0
	s_andn2_b64 s[12:13], s[12:13], exec
	s_waitcnt vmcnt(0)
	v_cmp_ne_u16_e32 vcc, v28, v29
	s_and_b64 s[40:41], vcc, exec
	s_or_b64 s[12:13], s[12:13], s[40:41]
.LBB361_111:                            ;   in Loop: Header=BB361_112 Depth=1
	s_and_b64 s[40:41], exec, s[12:13]
	s_or_b64 s[10:11], s[40:41], s[10:11]
	v_pk_mov_b32 v[22:23], s[14:15], s[14:15] op_sel:[0,1]
	s_mov_b64 s[14:15], s[38:39]
	s_andn2_b64 exec, exec, s[10:11]
	s_cbranch_execz .LBB361_114
.LBB361_112:                            ; =>This Inner Loop Header: Depth=1
	s_or_b64 s[12:13], s[12:13], exec
	s_cmp_eq_u64 s[26:27], s[14:15]
	s_cbranch_scc0 .LBB361_110
; %bb.113:                              ;   in Loop: Header=BB361_112 Depth=1
                                        ; implicit-def: $sgpr38_sgpr39
	s_mov_b64 s[14:15], s[26:27]
	s_branch .LBB361_111
.LBB361_114:
	s_or_b64 exec, exec, s[10:11]
	v_cmp_gt_i64_e32 vcc, s[26:27], v[22:23]
	s_orn2_b64 s[10:11], vcc, exec
.LBB361_115:
	s_or_b64 exec, exec, s[4:5]
.LBB361_116:
	s_and_b64 s[12:13], s[10:11], exec
.LBB361_117:
	s_or_b64 exec, exec, s[8:9]
	v_or_b32_e32 v28, v24, v25
.LBB361_118:
	s_mov_b64 s[8:9], -1
	s_cbranch_execnz .LBB361_207
.LBB361_119:
	v_lshlrev_b32_e32 v26, 3, v0
	s_mov_b64 s[12:13], 0
	v_cmp_gt_i64_e64 s[10:11], s[26:27], 0
	s_and_b64 vcc, exec, s[34:35]
	ds_write_b64 v26, v[12:13]
	s_cbranch_vccz .LBB361_127
; %bb.120:
	v_mul_lo_u32 v20, v11, s26
	v_mul_lo_u32 v21, v10, s27
	s_waitcnt vmcnt(0) lgkmcnt(1)
	v_mad_u64_u32 v[18:19], s[4:5], v10, s26, 0
	v_cndmask_b32_e64 v22, 0, 1, s[10:11]
	v_cmp_ne_u32_e64 s[4:5], 1, v22
	s_andn2_b64 vcc, exec, s[10:11]
	v_add3_u32 v19, v19, v21, v20
	s_cbranch_vccnz .LBB361_130
; %bb.121:
	v_mov_b32_e32 v21, s17
	v_add_co_u32_e32 v20, vcc, s16, v18
	v_pk_mov_b32 v[22:23], s[16:17], s[16:17] op_sel:[0,1]
	v_addc_co_u32_e32 v21, vcc, v21, v19, vcc
	v_mad_u64_u32 v[22:23], s[12:13], v12, s26, v[22:23]
	v_mul_lo_u32 v24, v12, s27
	v_mul_lo_u32 v25, v13, s26
	v_add3_u32 v23, v25, v23, v24
	global_load_ubyte v24, v[20:21], off
	global_load_ubyte v25, v[22:23], off
	s_mov_b64 s[12:13], -1
	s_waitcnt vmcnt(0)
	v_cmp_eq_u16_e32 vcc, v24, v25
	s_and_saveexec_b64 s[14:15], vcc
	s_cbranch_execz .LBB361_129
; %bb.122:
	s_mov_b64 s[40:41], 1
	s_mov_b64 s[12:13], 0
                                        ; implicit-def: $sgpr38_sgpr39
	s_branch .LBB361_125
.LBB361_123:                            ;   in Loop: Header=BB361_125 Depth=1
	v_mov_b32_e32 v27, s41
	v_add_co_u32_e32 v24, vcc, s40, v20
	v_addc_co_u32_e32 v25, vcc, v21, v27, vcc
	v_add_co_u32_e32 v28, vcc, s40, v22
	v_addc_co_u32_e32 v29, vcc, v23, v27, vcc
	global_load_ubyte v27, v[24:25], off
	global_load_ubyte v30, v[28:29], off
	s_add_u32 s42, s40, 1
	s_addc_u32 s43, s41, 0
	s_andn2_b64 s[38:39], s[38:39], exec
	s_waitcnt vmcnt(0)
	v_cmp_ne_u16_e32 vcc, v27, v30
	s_and_b64 s[44:45], vcc, exec
	s_or_b64 s[38:39], s[38:39], s[44:45]
.LBB361_124:                            ;   in Loop: Header=BB361_125 Depth=1
	s_and_b64 s[44:45], exec, s[38:39]
	s_or_b64 s[12:13], s[44:45], s[12:13]
	v_pk_mov_b32 v[24:25], s[40:41], s[40:41] op_sel:[0,1]
	s_mov_b64 s[40:41], s[42:43]
	s_andn2_b64 exec, exec, s[12:13]
	s_cbranch_execz .LBB361_128
.LBB361_125:                            ; =>This Inner Loop Header: Depth=1
	s_or_b64 s[38:39], s[38:39], exec
	s_cmp_eq_u64 s[26:27], s[40:41]
	s_cbranch_scc0 .LBB361_123
; %bb.126:                              ;   in Loop: Header=BB361_125 Depth=1
                                        ; implicit-def: $sgpr42_sgpr43
	s_mov_b64 s[40:41], s[26:27]
	s_branch .LBB361_124
.LBB361_127:
                                        ; implicit-def: $sgpr12_sgpr13
                                        ; implicit-def: $vgpr28
	s_cbranch_execnz .LBB361_160
	s_branch .LBB361_207
.LBB361_128:
	s_or_b64 exec, exec, s[12:13]
	v_cmp_gt_i64_e32 vcc, s[26:27], v[24:25]
	s_orn2_b64 s[12:13], vcc, exec
.LBB361_129:
	s_or_b64 exec, exec, s[14:15]
.LBB361_130:
	v_mul_lo_u32 v22, v17, s26
	v_mul_lo_u32 v23, v16, s27
	v_mad_u64_u32 v[20:21], s[14:15], v16, s26, 0
	v_add3_u32 v21, v21, v23, v22
	s_mov_b64 s[14:15], 0
	s_and_b64 vcc, exec, s[4:5]
	s_mov_b64 s[38:39], 0
	s_cbranch_vccnz .LBB361_139
; %bb.131:
	v_mov_b32_e32 v23, s17
	v_add_co_u32_e32 v22, vcc, s16, v20
	v_addc_co_u32_e32 v23, vcc, v23, v21, vcc
	v_mov_b32_e32 v24, s17
	v_add_co_u32_e32 v18, vcc, s16, v18
	v_addc_co_u32_e32 v19, vcc, v24, v19, vcc
	global_load_ubyte v24, v[22:23], off
	global_load_ubyte v25, v[18:19], off
	s_mov_b64 s[38:39], -1
	s_waitcnt vmcnt(0)
	v_cmp_eq_u16_e32 vcc, v24, v25
	s_and_saveexec_b64 s[40:41], vcc
	s_cbranch_execz .LBB361_138
; %bb.132:
	s_mov_b64 s[44:45], 1
	s_mov_b64 s[38:39], 0
                                        ; implicit-def: $sgpr42_sgpr43
	s_branch .LBB361_135
.LBB361_133:                            ;   in Loop: Header=BB361_135 Depth=1
	v_mov_b32_e32 v27, s45
	v_add_co_u32_e32 v24, vcc, s44, v22
	v_addc_co_u32_e32 v25, vcc, v23, v27, vcc
	v_add_co_u32_e32 v28, vcc, s44, v18
	v_addc_co_u32_e32 v29, vcc, v19, v27, vcc
	global_load_ubyte v27, v[24:25], off
	global_load_ubyte v30, v[28:29], off
	s_add_u32 s46, s44, 1
	s_addc_u32 s47, s45, 0
	s_andn2_b64 s[42:43], s[42:43], exec
	s_waitcnt vmcnt(0)
	v_cmp_ne_u16_e32 vcc, v27, v30
	s_and_b64 s[50:51], vcc, exec
	s_or_b64 s[42:43], s[42:43], s[50:51]
.LBB361_134:                            ;   in Loop: Header=BB361_135 Depth=1
	s_and_b64 s[50:51], exec, s[42:43]
	s_or_b64 s[38:39], s[50:51], s[38:39]
	v_pk_mov_b32 v[24:25], s[44:45], s[44:45] op_sel:[0,1]
	s_mov_b64 s[44:45], s[46:47]
	s_andn2_b64 exec, exec, s[38:39]
	s_cbranch_execz .LBB361_137
.LBB361_135:                            ; =>This Inner Loop Header: Depth=1
	s_or_b64 s[42:43], s[42:43], exec
	s_cmp_eq_u64 s[26:27], s[44:45]
	s_cbranch_scc0 .LBB361_133
; %bb.136:                              ;   in Loop: Header=BB361_135 Depth=1
                                        ; implicit-def: $sgpr46_sgpr47
	s_mov_b64 s[44:45], s[26:27]
	s_branch .LBB361_134
.LBB361_137:
	s_or_b64 exec, exec, s[38:39]
	v_cmp_gt_i64_e32 vcc, s[26:27], v[24:25]
	s_orn2_b64 s[38:39], vcc, exec
.LBB361_138:
	s_or_b64 exec, exec, s[40:41]
.LBB361_139:
	v_mul_lo_u32 v22, v15, s26
	v_mul_lo_u32 v23, v14, s27
	v_mad_u64_u32 v[18:19], s[40:41], v14, s26, 0
	s_and_b64 vcc, exec, s[4:5]
	v_add3_u32 v19, v19, v23, v22
	s_cbranch_vccnz .LBB361_148
; %bb.140:
	v_mov_b32_e32 v23, s17
	v_add_co_u32_e32 v22, vcc, s16, v18
	v_addc_co_u32_e32 v23, vcc, v23, v19, vcc
	v_mov_b32_e32 v24, s17
	v_add_co_u32_e32 v20, vcc, s16, v20
	v_addc_co_u32_e32 v21, vcc, v24, v21, vcc
	global_load_ubyte v24, v[22:23], off
	global_load_ubyte v25, v[20:21], off
	s_mov_b64 s[14:15], -1
	s_waitcnt vmcnt(0)
	v_cmp_eq_u16_e32 vcc, v24, v25
	s_and_saveexec_b64 s[40:41], vcc
	s_cbranch_execz .LBB361_147
; %bb.141:
	s_mov_b64 s[44:45], 1
	s_mov_b64 s[14:15], 0
                                        ; implicit-def: $sgpr42_sgpr43
	s_branch .LBB361_144
.LBB361_142:                            ;   in Loop: Header=BB361_144 Depth=1
	v_mov_b32_e32 v27, s45
	v_add_co_u32_e32 v24, vcc, s44, v22
	v_addc_co_u32_e32 v25, vcc, v23, v27, vcc
	v_add_co_u32_e32 v28, vcc, s44, v20
	v_addc_co_u32_e32 v29, vcc, v21, v27, vcc
	global_load_ubyte v27, v[24:25], off
	global_load_ubyte v30, v[28:29], off
	s_add_u32 s46, s44, 1
	s_addc_u32 s47, s45, 0
	s_andn2_b64 s[42:43], s[42:43], exec
	s_waitcnt vmcnt(0)
	v_cmp_ne_u16_e32 vcc, v27, v30
	s_and_b64 s[50:51], vcc, exec
	s_or_b64 s[42:43], s[42:43], s[50:51]
.LBB361_143:                            ;   in Loop: Header=BB361_144 Depth=1
	s_and_b64 s[50:51], exec, s[42:43]
	s_or_b64 s[14:15], s[50:51], s[14:15]
	v_pk_mov_b32 v[24:25], s[44:45], s[44:45] op_sel:[0,1]
	s_mov_b64 s[44:45], s[46:47]
	s_andn2_b64 exec, exec, s[14:15]
	s_cbranch_execz .LBB361_146
.LBB361_144:                            ; =>This Inner Loop Header: Depth=1
	s_or_b64 s[42:43], s[42:43], exec
	s_cmp_eq_u64 s[26:27], s[44:45]
	s_cbranch_scc0 .LBB361_142
; %bb.145:                              ;   in Loop: Header=BB361_144 Depth=1
                                        ; implicit-def: $sgpr46_sgpr47
	s_mov_b64 s[44:45], s[26:27]
	s_branch .LBB361_143
.LBB361_146:
	s_or_b64 exec, exec, s[14:15]
	v_cmp_gt_i64_e32 vcc, s[26:27], v[24:25]
	s_orn2_b64 s[14:15], vcc, exec
.LBB361_147:
	s_or_b64 exec, exec, s[40:41]
.LBB361_148:
	v_cndmask_b32_e64 v21, 0, 1, s[12:13]
	v_cndmask_b32_e64 v22, 0, 1, s[14:15]
	;; [unrolled: 1-line block ×3, first 2 shown]
	v_lshlrev_b16_e32 v22, 8, v22
	v_lshlrev_b16_e32 v21, 8, v21
	v_or_b32_e32 v22, 1, v22
	v_or_b32_sdwa v20, v20, v21 dst_sel:WORD_1 dst_unused:UNUSED_PAD src0_sel:DWORD src1_sel:DWORD
	v_or_b32_sdwa v28, v22, v20 dst_sel:DWORD dst_unused:UNUSED_PAD src0_sel:WORD_0 src1_sel:DWORD
	s_waitcnt lgkmcnt(0)
	s_barrier
	s_waitcnt lgkmcnt(0)
                                        ; implicit-def: $sgpr12_sgpr13
	s_and_saveexec_b64 s[14:15], s[2:3]
	s_xor_b64 s[14:15], exec, s[14:15]
	s_cbranch_execz .LBB361_159
; %bb.149:
	s_and_b64 vcc, exec, s[4:5]
	s_mov_b64 s[12:13], 0
	s_cbranch_vccnz .LBB361_158
; %bb.150:
	v_add_u32_e32 v20, -8, v26
	ds_read_b64 v[20:21], v20
	v_pk_mov_b32 v[22:23], s[16:17], s[16:17] op_sel:[0,1]
	v_add_co_u32_e32 v18, vcc, s16, v18
	s_mov_b64 s[12:13], -1
	s_waitcnt lgkmcnt(0)
	v_mul_lo_u32 v24, v20, s27
	v_mul_lo_u32 v25, v21, s26
	v_mad_u64_u32 v[20:21], s[4:5], v20, s26, v[22:23]
	v_mov_b32_e32 v22, s17
	v_addc_co_u32_e32 v19, vcc, v22, v19, vcc
	v_add3_u32 v21, v25, v21, v24
	global_load_ubyte v22, v[18:19], off
	global_load_ubyte v23, v[20:21], off
	s_waitcnt vmcnt(0)
	v_cmp_eq_u16_e32 vcc, v23, v22
	s_and_saveexec_b64 s[4:5], vcc
	s_cbranch_execz .LBB361_157
; %bb.151:
	s_mov_b64 s[40:41], 1
	s_mov_b64 s[12:13], 0
                                        ; implicit-def: $sgpr38_sgpr39
	s_branch .LBB361_154
.LBB361_152:                            ;   in Loop: Header=BB361_154 Depth=1
	v_mov_b32_e32 v25, s41
	v_add_co_u32_e32 v22, vcc, s40, v20
	v_addc_co_u32_e32 v23, vcc, v21, v25, vcc
	v_add_co_u32_e32 v24, vcc, s40, v18
	v_addc_co_u32_e32 v25, vcc, v19, v25, vcc
	global_load_ubyte v27, v[22:23], off
	global_load_ubyte v29, v[24:25], off
	s_add_u32 s42, s40, 1
	s_addc_u32 s43, s41, 0
	s_andn2_b64 s[38:39], s[38:39], exec
	s_waitcnt vmcnt(0)
	v_cmp_ne_u16_e32 vcc, v27, v29
	s_and_b64 s[44:45], vcc, exec
	s_or_b64 s[38:39], s[38:39], s[44:45]
.LBB361_153:                            ;   in Loop: Header=BB361_154 Depth=1
	s_and_b64 s[44:45], exec, s[38:39]
	s_or_b64 s[12:13], s[44:45], s[12:13]
	v_pk_mov_b32 v[22:23], s[40:41], s[40:41] op_sel:[0,1]
	s_mov_b64 s[40:41], s[42:43]
	s_andn2_b64 exec, exec, s[12:13]
	s_cbranch_execz .LBB361_156
.LBB361_154:                            ; =>This Inner Loop Header: Depth=1
	s_or_b64 s[38:39], s[38:39], exec
	s_cmp_eq_u64 s[26:27], s[40:41]
	s_cbranch_scc0 .LBB361_152
; %bb.155:                              ;   in Loop: Header=BB361_154 Depth=1
                                        ; implicit-def: $sgpr42_sgpr43
	s_mov_b64 s[40:41], s[26:27]
	s_branch .LBB361_153
.LBB361_156:
	s_or_b64 exec, exec, s[12:13]
	v_cmp_gt_i64_e32 vcc, s[26:27], v[22:23]
	s_orn2_b64 s[12:13], vcc, exec
.LBB361_157:
	s_or_b64 exec, exec, s[4:5]
.LBB361_158:
	s_and_b64 s[12:13], s[12:13], exec
	s_or_b64 s[8:9], s[8:9], exec
.LBB361_159:
	s_or_b64 exec, exec, s[14:15]
	s_branch .LBB361_207
.LBB361_160:
	s_waitcnt vmcnt(0) lgkmcnt(1)
	v_or_b32_e32 v18, 3, v1
	v_cmp_gt_u32_e32 vcc, s48, v18
	s_mov_b64 s[12:13], 0
	s_mov_b64 s[4:5], 0
	s_and_saveexec_b64 s[14:15], vcc
	s_cbranch_execz .LBB361_171
; %bb.161:
	s_andn2_b64 vcc, exec, s[10:11]
	s_mov_b64 s[38:39], 0
	s_cbranch_vccnz .LBB361_170
; %bb.162:
	v_pk_mov_b32 v[20:21], s[16:17], s[16:17] op_sel:[0,1]
	v_mad_u64_u32 v[18:19], s[4:5], v10, s26, v[20:21]
	v_mul_lo_u32 v22, v10, s27
	v_mul_lo_u32 v23, v11, s26
	v_add3_u32 v19, v23, v19, v22
	v_mad_u64_u32 v[20:21], s[4:5], v12, s26, v[20:21]
	v_mul_lo_u32 v22, v12, s27
	v_mul_lo_u32 v23, v13, s26
	v_add3_u32 v21, v23, v21, v22
	global_load_ubyte v22, v[18:19], off
	global_load_ubyte v23, v[20:21], off
	s_mov_b64 s[38:39], -1
	s_waitcnt vmcnt(0)
	v_cmp_eq_u16_e32 vcc, v22, v23
	s_and_saveexec_b64 s[4:5], vcc
	s_cbranch_execz .LBB361_169
; %bb.163:
	s_mov_b64 s[42:43], 1
	s_mov_b64 s[38:39], 0
                                        ; implicit-def: $sgpr40_sgpr41
	s_branch .LBB361_166
.LBB361_164:                            ;   in Loop: Header=BB361_166 Depth=1
	v_mov_b32_e32 v25, s43
	v_add_co_u32_e32 v22, vcc, s42, v18
	v_addc_co_u32_e32 v23, vcc, v19, v25, vcc
	v_add_co_u32_e32 v24, vcc, s42, v20
	v_addc_co_u32_e32 v25, vcc, v21, v25, vcc
	global_load_ubyte v27, v[22:23], off
	global_load_ubyte v28, v[24:25], off
	s_add_u32 s44, s42, 1
	s_addc_u32 s45, s43, 0
	s_andn2_b64 s[40:41], s[40:41], exec
	s_waitcnt vmcnt(0)
	v_cmp_ne_u16_e32 vcc, v27, v28
	s_and_b64 s[46:47], vcc, exec
	s_or_b64 s[40:41], s[40:41], s[46:47]
.LBB361_165:                            ;   in Loop: Header=BB361_166 Depth=1
	s_and_b64 s[46:47], exec, s[40:41]
	s_or_b64 s[38:39], s[46:47], s[38:39]
	v_pk_mov_b32 v[22:23], s[42:43], s[42:43] op_sel:[0,1]
	s_mov_b64 s[42:43], s[44:45]
	s_andn2_b64 exec, exec, s[38:39]
	s_cbranch_execz .LBB361_168
.LBB361_166:                            ; =>This Inner Loop Header: Depth=1
	s_or_b64 s[40:41], s[40:41], exec
	s_cmp_eq_u64 s[26:27], s[42:43]
	s_cbranch_scc0 .LBB361_164
; %bb.167:                              ;   in Loop: Header=BB361_166 Depth=1
                                        ; implicit-def: $sgpr44_sgpr45
	s_mov_b64 s[42:43], s[26:27]
	s_branch .LBB361_165
.LBB361_168:
	s_or_b64 exec, exec, s[38:39]
	v_cmp_gt_i64_e32 vcc, s[26:27], v[22:23]
	s_orn2_b64 s[38:39], vcc, exec
.LBB361_169:
	s_or_b64 exec, exec, s[4:5]
.LBB361_170:
	s_and_b64 s[4:5], s[38:39], exec
.LBB361_171:
	s_or_b64 exec, exec, s[14:15]
	v_or_b32_e32 v18, 2, v1
	v_cmp_gt_u32_e32 vcc, s48, v18
	s_and_saveexec_b64 s[14:15], vcc
	s_cbranch_execz .LBB361_182
; %bb.172:
	s_andn2_b64 vcc, exec, s[10:11]
	s_mov_b64 s[38:39], 0
	s_cbranch_vccnz .LBB361_181
; %bb.173:
	v_pk_mov_b32 v[20:21], s[16:17], s[16:17] op_sel:[0,1]
	v_mad_u64_u32 v[18:19], s[12:13], v16, s26, v[20:21]
	v_mul_lo_u32 v22, v16, s27
	v_mul_lo_u32 v23, v17, s26
	v_add3_u32 v19, v23, v19, v22
	v_mad_u64_u32 v[20:21], s[12:13], v10, s26, v[20:21]
	v_mul_lo_u32 v22, v10, s27
	v_mul_lo_u32 v23, v11, s26
	v_add3_u32 v21, v23, v21, v22
	global_load_ubyte v22, v[18:19], off
	global_load_ubyte v23, v[20:21], off
	s_mov_b64 s[38:39], -1
	s_waitcnt vmcnt(0)
	v_cmp_eq_u16_e32 vcc, v22, v23
	s_and_saveexec_b64 s[12:13], vcc
	s_cbranch_execz .LBB361_180
; %bb.174:
	s_mov_b64 s[42:43], 1
	s_mov_b64 s[38:39], 0
                                        ; implicit-def: $sgpr40_sgpr41
	s_branch .LBB361_177
.LBB361_175:                            ;   in Loop: Header=BB361_177 Depth=1
	v_mov_b32_e32 v25, s43
	v_add_co_u32_e32 v22, vcc, s42, v18
	v_addc_co_u32_e32 v23, vcc, v19, v25, vcc
	v_add_co_u32_e32 v24, vcc, s42, v20
	v_addc_co_u32_e32 v25, vcc, v21, v25, vcc
	global_load_ubyte v27, v[22:23], off
	global_load_ubyte v28, v[24:25], off
	s_add_u32 s44, s42, 1
	s_addc_u32 s45, s43, 0
	s_andn2_b64 s[40:41], s[40:41], exec
	s_waitcnt vmcnt(0)
	v_cmp_ne_u16_e32 vcc, v27, v28
	s_and_b64 s[46:47], vcc, exec
	s_or_b64 s[40:41], s[40:41], s[46:47]
.LBB361_176:                            ;   in Loop: Header=BB361_177 Depth=1
	s_and_b64 s[46:47], exec, s[40:41]
	s_or_b64 s[38:39], s[46:47], s[38:39]
	v_pk_mov_b32 v[22:23], s[42:43], s[42:43] op_sel:[0,1]
	s_mov_b64 s[42:43], s[44:45]
	s_andn2_b64 exec, exec, s[38:39]
	s_cbranch_execz .LBB361_179
.LBB361_177:                            ; =>This Inner Loop Header: Depth=1
	s_or_b64 s[40:41], s[40:41], exec
	s_cmp_eq_u64 s[26:27], s[42:43]
	s_cbranch_scc0 .LBB361_175
; %bb.178:                              ;   in Loop: Header=BB361_177 Depth=1
                                        ; implicit-def: $sgpr44_sgpr45
	s_mov_b64 s[42:43], s[26:27]
	s_branch .LBB361_176
.LBB361_179:
	s_or_b64 exec, exec, s[38:39]
	v_cmp_gt_i64_e32 vcc, s[26:27], v[22:23]
	s_orn2_b64 s[38:39], vcc, exec
.LBB361_180:
	s_or_b64 exec, exec, s[12:13]
.LBB361_181:
	s_and_b64 s[12:13], s[38:39], exec
.LBB361_182:
	s_or_b64 exec, exec, s[14:15]
	v_or_b32_e32 v18, 1, v1
	v_cmp_gt_u32_e32 vcc, s48, v18
	s_mov_b64 s[38:39], 0
	s_and_saveexec_b64 s[14:15], vcc
	s_cbranch_execz .LBB361_193
; %bb.183:
	s_andn2_b64 vcc, exec, s[10:11]
	s_mov_b64 s[40:41], 0
	s_cbranch_vccnz .LBB361_192
; %bb.184:
	v_pk_mov_b32 v[20:21], s[16:17], s[16:17] op_sel:[0,1]
	v_mad_u64_u32 v[18:19], s[38:39], v14, s26, v[20:21]
	v_mul_lo_u32 v22, v14, s27
	v_mul_lo_u32 v23, v15, s26
	v_add3_u32 v19, v23, v19, v22
	v_mad_u64_u32 v[20:21], s[38:39], v16, s26, v[20:21]
	v_mul_lo_u32 v22, v16, s27
	v_mul_lo_u32 v23, v17, s26
	v_add3_u32 v21, v23, v21, v22
	global_load_ubyte v22, v[18:19], off
	global_load_ubyte v23, v[20:21], off
	s_mov_b64 s[40:41], -1
	s_waitcnt vmcnt(0)
	v_cmp_eq_u16_e32 vcc, v22, v23
	s_and_saveexec_b64 s[38:39], vcc
	s_cbranch_execz .LBB361_191
; %bb.185:
	s_mov_b64 s[44:45], 1
	s_mov_b64 s[40:41], 0
                                        ; implicit-def: $sgpr42_sgpr43
	s_branch .LBB361_188
.LBB361_186:                            ;   in Loop: Header=BB361_188 Depth=1
	v_mov_b32_e32 v25, s45
	v_add_co_u32_e32 v22, vcc, s44, v18
	v_addc_co_u32_e32 v23, vcc, v19, v25, vcc
	v_add_co_u32_e32 v24, vcc, s44, v20
	v_addc_co_u32_e32 v25, vcc, v21, v25, vcc
	global_load_ubyte v27, v[22:23], off
	global_load_ubyte v28, v[24:25], off
	s_add_u32 s46, s44, 1
	s_addc_u32 s47, s45, 0
	s_andn2_b64 s[42:43], s[42:43], exec
	s_waitcnt vmcnt(0)
	v_cmp_ne_u16_e32 vcc, v27, v28
	s_and_b64 s[50:51], vcc, exec
	s_or_b64 s[42:43], s[42:43], s[50:51]
.LBB361_187:                            ;   in Loop: Header=BB361_188 Depth=1
	s_and_b64 s[50:51], exec, s[42:43]
	s_or_b64 s[40:41], s[50:51], s[40:41]
	v_pk_mov_b32 v[22:23], s[44:45], s[44:45] op_sel:[0,1]
	s_mov_b64 s[44:45], s[46:47]
	s_andn2_b64 exec, exec, s[40:41]
	s_cbranch_execz .LBB361_190
.LBB361_188:                            ; =>This Inner Loop Header: Depth=1
	s_or_b64 s[42:43], s[42:43], exec
	s_cmp_eq_u64 s[26:27], s[44:45]
	s_cbranch_scc0 .LBB361_186
; %bb.189:                              ;   in Loop: Header=BB361_188 Depth=1
                                        ; implicit-def: $sgpr46_sgpr47
	s_mov_b64 s[44:45], s[26:27]
	s_branch .LBB361_187
.LBB361_190:
	s_or_b64 exec, exec, s[40:41]
	v_cmp_gt_i64_e32 vcc, s[26:27], v[22:23]
	s_orn2_b64 s[40:41], vcc, exec
.LBB361_191:
	s_or_b64 exec, exec, s[38:39]
.LBB361_192:
	s_and_b64 s[38:39], s[40:41], exec
.LBB361_193:
	s_or_b64 exec, exec, s[14:15]
	v_cndmask_b32_e64 v19, 0, 1, s[4:5]
	v_cndmask_b32_e64 v20, 0, 1, s[38:39]
	;; [unrolled: 1-line block ×3, first 2 shown]
	v_lshlrev_b16_e32 v20, 8, v20
	v_lshlrev_b16_e32 v19, 8, v19
	v_or_b32_e32 v20, 1, v20
	v_or_b32_sdwa v18, v18, v19 dst_sel:WORD_1 dst_unused:UNUSED_PAD src0_sel:DWORD src1_sel:DWORD
	v_or_b32_sdwa v28, v20, v18 dst_sel:DWORD dst_unused:UNUSED_PAD src0_sel:WORD_0 src1_sel:DWORD
	s_waitcnt lgkmcnt(0)
	s_barrier
	s_waitcnt lgkmcnt(0)
                                        ; implicit-def: $sgpr12_sgpr13
	s_and_saveexec_b64 s[4:5], s[2:3]
	s_cbranch_execz .LBB361_206
; %bb.194:
	v_cmp_gt_u32_e32 vcc, s48, v1
	s_mov_b64 s[12:13], 0
	s_and_saveexec_b64 s[2:3], vcc
	s_cbranch_execz .LBB361_205
; %bb.195:
	s_andn2_b64 vcc, exec, s[10:11]
	s_cbranch_vccnz .LBB361_204
; %bb.196:
	v_add_u32_e32 v18, -8, v26
	ds_read_b64 v[18:19], v18
	v_pk_mov_b32 v[20:21], s[16:17], s[16:17] op_sel:[0,1]
	s_mov_b64 s[12:13], -1
	s_waitcnt lgkmcnt(0)
	v_mul_lo_u32 v22, v18, s27
	v_mul_lo_u32 v23, v19, s26
	v_mad_u64_u32 v[18:19], s[10:11], v18, s26, v[20:21]
	v_add3_u32 v19, v23, v19, v22
	v_mad_u64_u32 v[20:21], s[10:11], v14, s26, v[20:21]
	v_mul_lo_u32 v22, v14, s27
	v_mul_lo_u32 v23, v15, s26
	v_add3_u32 v21, v23, v21, v22
	global_load_ubyte v22, v[18:19], off
	global_load_ubyte v23, v[20:21], off
	s_waitcnt vmcnt(0)
	v_cmp_eq_u16_e32 vcc, v22, v23
	s_and_saveexec_b64 s[10:11], vcc
	s_cbranch_execz .LBB361_203
; %bb.197:
	s_mov_b64 s[16:17], 1
	s_mov_b64 s[12:13], 0
                                        ; implicit-def: $sgpr14_sgpr15
	s_branch .LBB361_200
.LBB361_198:                            ;   in Loop: Header=BB361_200 Depth=1
	v_mov_b32_e32 v25, s17
	v_add_co_u32_e32 v22, vcc, s16, v18
	v_addc_co_u32_e32 v23, vcc, v19, v25, vcc
	v_add_co_u32_e32 v24, vcc, s16, v20
	v_addc_co_u32_e32 v25, vcc, v21, v25, vcc
	global_load_ubyte v26, v[22:23], off
	global_load_ubyte v27, v[24:25], off
	s_add_u32 s38, s16, 1
	s_addc_u32 s39, s17, 0
	s_andn2_b64 s[14:15], s[14:15], exec
	s_waitcnt vmcnt(0)
	v_cmp_ne_u16_e32 vcc, v26, v27
	s_and_b64 s[40:41], vcc, exec
	s_or_b64 s[14:15], s[14:15], s[40:41]
.LBB361_199:                            ;   in Loop: Header=BB361_200 Depth=1
	s_and_b64 s[40:41], exec, s[14:15]
	s_or_b64 s[12:13], s[40:41], s[12:13]
	v_pk_mov_b32 v[22:23], s[16:17], s[16:17] op_sel:[0,1]
	s_mov_b64 s[16:17], s[38:39]
	s_andn2_b64 exec, exec, s[12:13]
	s_cbranch_execz .LBB361_202
.LBB361_200:                            ; =>This Inner Loop Header: Depth=1
	s_or_b64 s[14:15], s[14:15], exec
	s_cmp_eq_u64 s[26:27], s[16:17]
	s_cbranch_scc0 .LBB361_198
; %bb.201:                              ;   in Loop: Header=BB361_200 Depth=1
                                        ; implicit-def: $sgpr38_sgpr39
	s_mov_b64 s[16:17], s[26:27]
	s_branch .LBB361_199
.LBB361_202:
	s_or_b64 exec, exec, s[12:13]
	v_cmp_gt_i64_e32 vcc, s[26:27], v[22:23]
	s_orn2_b64 s[12:13], vcc, exec
.LBB361_203:
	s_or_b64 exec, exec, s[10:11]
.LBB361_204:
	s_and_b64 s[12:13], s[12:13], exec
.LBB361_205:
	s_or_b64 exec, exec, s[2:3]
	s_and_b64 s[12:13], s[12:13], exec
	s_or_b64 s[8:9], s[8:9], exec
.LBB361_206:
	s_or_b64 exec, exec, s[4:5]
.LBB361_207:
	s_and_saveexec_b64 s[2:3], s[8:9]
	s_cbranch_execz .LBB361_209
; %bb.208:
	s_waitcnt vmcnt(0) lgkmcnt(0)
	v_and_b32_e32 v18, 0xffffff00, v28
	v_cndmask_b32_e64 v19, 0, 1, s[12:13]
	v_or_b32_e32 v18, v19, v18
	v_and_b32_e32 v18, 0xffff, v18
	s_mov_b32 s4, 0xffff0000
	v_and_or_b32 v28, v28, s4, v18
.LBB361_209:
	s_or_b64 exec, exec, s[2:3]
	s_andn2_b64 vcc, exec, s[6:7]
	s_cbranch_vccnz .LBB361_211
; %bb.210:
	v_cmp_gt_u32_e32 vcc, s48, v1
	s_waitcnt vmcnt(0) lgkmcnt(0)
	v_cndmask_b32_e32 v18, 0, v28, vcc
	v_or_b32_e32 v19, 1, v1
	v_and_b32_e32 v18, 0xff, v18
	v_cmp_gt_u32_e32 vcc, s48, v19
	v_cndmask_b32_e32 v18, v18, v28, vcc
	v_or_b32_e32 v19, 2, v1
	v_and_b32_e32 v18, 0xffff, v18
	v_cmp_gt_u32_e32 vcc, s48, v19
	v_cndmask_b32_e32 v18, v18, v28, vcc
	v_or_b32_e32 v19, 3, v1
	v_and_b32_e32 v18, 0xffffff, v18
	v_cmp_gt_u32_e32 vcc, s48, v19
	v_cndmask_b32_e32 v28, v18, v28, vcc
.LBB361_211:
	v_bfe_u32 v30, v28, 16, 8
	v_lshrrev_b32_e32 v29, 24, v28
	s_waitcnt vmcnt(0) lgkmcnt(0)
	v_add_u32_sdwa v18, v28, v28 dst_sel:DWORD dst_unused:UNUSED_PAD src0_sel:BYTE_1 src1_sel:BYTE_0
	v_add3_u32 v33, v18, v30, v29
	v_mbcnt_lo_u32_b32 v18, -1, 0
	v_mbcnt_hi_u32_b32 v31, -1, v18
	v_and_b32_e32 v18, 15, v31
	v_cmp_eq_u32_e64 s[14:15], 0, v18
	v_cmp_lt_u32_e64 s[12:13], 1, v18
	v_cmp_lt_u32_e64 s[10:11], 3, v18
	;; [unrolled: 1-line block ×3, first 2 shown]
	v_and_b32_e32 v18, 16, v31
	v_cmp_eq_u32_e64 s[6:7], 0, v18
	v_or_b32_e32 v18, 63, v0
	v_cmp_lt_u32_e64 s[2:3], 31, v31
	v_lshrrev_b32_e32 v32, 6, v0
	v_cmp_eq_u32_e64 s[4:5], v18, v0
	s_and_b64 vcc, exec, s[36:37]
	s_barrier
	s_cbranch_vccz .LBB361_242
; %bb.212:
	v_mov_b32_dpp v18, v33 row_shr:1 row_mask:0xf bank_mask:0xf
	v_cndmask_b32_e64 v18, v18, 0, s[14:15]
	v_add_u32_e32 v18, v18, v33
	s_nop 1
	v_mov_b32_dpp v19, v18 row_shr:2 row_mask:0xf bank_mask:0xf
	v_cndmask_b32_e64 v19, 0, v19, s[12:13]
	v_add_u32_e32 v18, v18, v19
	s_nop 1
	;; [unrolled: 4-line block ×4, first 2 shown]
	v_mov_b32_dpp v19, v18 row_bcast:15 row_mask:0xf bank_mask:0xf
	v_cndmask_b32_e64 v19, v19, 0, s[6:7]
	v_add_u32_e32 v18, v18, v19
	s_nop 1
	v_mov_b32_dpp v19, v18 row_bcast:31 row_mask:0xf bank_mask:0xf
	v_cndmask_b32_e64 v19, 0, v19, s[2:3]
	v_add_u32_e32 v18, v18, v19
	s_and_saveexec_b64 s[16:17], s[4:5]
	s_cbranch_execz .LBB361_214
; %bb.213:
	v_lshlrev_b32_e32 v19, 2, v32
	ds_write_b32 v19, v18
.LBB361_214:
	s_or_b64 exec, exec, s[16:17]
	v_cmp_gt_u32_e32 vcc, 2, v0
	s_waitcnt lgkmcnt(0)
	s_barrier
	s_and_saveexec_b64 s[16:17], vcc
	s_cbranch_execz .LBB361_216
; %bb.215:
	ds_read_b32 v19, v1
	v_bfe_i32 v20, v31, 0, 1
	s_waitcnt lgkmcnt(0)
	v_mov_b32_dpp v21, v19 row_shr:1 row_mask:0xf bank_mask:0xf
	v_and_b32_e32 v20, v20, v21
	v_add_u32_e32 v19, v20, v19
	ds_write_b32 v1, v19
.LBB361_216:
	s_or_b64 exec, exec, s[16:17]
	v_cmp_gt_u32_e32 vcc, 64, v0
	v_cmp_lt_u32_e64 s[16:17], 63, v0
	s_waitcnt lgkmcnt(0)
	s_barrier
	s_waitcnt lgkmcnt(0)
                                        ; implicit-def: $vgpr34
	s_and_saveexec_b64 s[26:27], s[16:17]
	s_cbranch_execz .LBB361_218
; %bb.217:
	v_lshl_add_u32 v19, v32, 2, -4
	ds_read_b32 v34, v19
	s_waitcnt lgkmcnt(0)
	v_add_u32_e32 v18, v34, v18
.LBB361_218:
	s_or_b64 exec, exec, s[26:27]
	v_add_u32_e32 v19, -1, v31
	v_and_b32_e32 v20, 64, v31
	v_cmp_lt_i32_e64 s[16:17], v19, v20
	v_cndmask_b32_e64 v19, v19, v31, s[16:17]
	v_lshlrev_b32_e32 v19, 2, v19
	ds_bpermute_b32 v35, v19, v18
	v_cmp_eq_u32_e64 s[16:17], 0, v31
	s_and_saveexec_b64 s[26:27], vcc
	s_cbranch_execz .LBB361_241
; %bb.219:
	v_mov_b32_e32 v27, 0
	ds_read_b32 v18, v27 offset:4
	s_and_saveexec_b64 s[36:37], s[16:17]
	s_cbranch_execz .LBB361_221
; %bb.220:
	s_add_i32 s38, s33, 64
	s_mov_b32 s39, 0
	s_lshl_b64 s[38:39], s[38:39], 3
	s_add_u32 s38, s18, s38
	v_mov_b32_e32 v19, 1
	s_addc_u32 s39, s19, s39
	s_waitcnt lgkmcnt(0)
	global_store_dwordx2 v27, v[18:19], s[38:39]
.LBB361_221:
	s_or_b64 exec, exec, s[36:37]
	v_xad_u32 v20, v31, -1, s33
	v_add_u32_e32 v26, 64, v20
	v_lshlrev_b64 v[22:23], 3, v[26:27]
	v_mov_b32_e32 v19, s19
	v_add_co_u32_e32 v22, vcc, s18, v22
	v_addc_co_u32_e32 v23, vcc, v19, v23, vcc
	global_load_dwordx2 v[24:25], v[22:23], off glc
	s_waitcnt vmcnt(0)
	v_cmp_eq_u16_sdwa s[38:39], v25, v27 src0_sel:BYTE_0 src1_sel:DWORD
	s_and_saveexec_b64 s[36:37], s[38:39]
	s_cbranch_execz .LBB361_227
; %bb.222:
	s_mov_b32 s40, 1
	s_mov_b64 s[38:39], 0
	v_mov_b32_e32 v19, 0
.LBB361_223:                            ; =>This Loop Header: Depth=1
                                        ;     Child Loop BB361_224 Depth 2
	s_max_u32 s41, s40, 1
.LBB361_224:                            ;   Parent Loop BB361_223 Depth=1
                                        ; =>  This Inner Loop Header: Depth=2
	s_add_i32 s41, s41, -1
	s_cmp_eq_u32 s41, 0
	s_sleep 1
	s_cbranch_scc0 .LBB361_224
; %bb.225:                              ;   in Loop: Header=BB361_223 Depth=1
	global_load_dwordx2 v[24:25], v[22:23], off glc
	s_cmp_lt_u32 s40, 32
	s_cselect_b64 s[42:43], -1, 0
	s_cmp_lg_u64 s[42:43], 0
	s_addc_u32 s40, s40, 0
	s_waitcnt vmcnt(0)
	v_cmp_ne_u16_sdwa s[42:43], v25, v19 src0_sel:BYTE_0 src1_sel:DWORD
	s_or_b64 s[38:39], s[42:43], s[38:39]
	s_andn2_b64 exec, exec, s[38:39]
	s_cbranch_execnz .LBB361_223
; %bb.226:
	s_or_b64 exec, exec, s[38:39]
.LBB361_227:
	s_or_b64 exec, exec, s[36:37]
	v_and_b32_e32 v36, 63, v31
	v_mov_b32_e32 v19, 2
	v_cmp_ne_u32_e32 vcc, 63, v36
	v_cmp_eq_u16_sdwa s[36:37], v25, v19 src0_sel:BYTE_0 src1_sel:DWORD
	v_lshlrev_b64 v[22:23], v31, -1
	v_addc_co_u32_e32 v27, vcc, 0, v31, vcc
	v_and_b32_e32 v21, s37, v23
	v_lshlrev_b32_e32 v37, 2, v27
	v_or_b32_e32 v21, 0x80000000, v21
	ds_bpermute_b32 v27, v37, v24
	v_and_b32_e32 v26, s36, v22
	v_ffbl_b32_e32 v21, v21
	v_add_u32_e32 v21, 32, v21
	v_ffbl_b32_e32 v26, v26
	v_min_u32_e32 v21, v26, v21
	v_cmp_lt_u32_e32 vcc, v36, v21
	s_waitcnt lgkmcnt(0)
	v_cndmask_b32_e32 v26, 0, v27, vcc
	v_cmp_gt_u32_e32 vcc, 62, v36
	v_add_u32_e32 v24, v26, v24
	v_cndmask_b32_e64 v26, 0, 1, vcc
	v_lshlrev_b32_e32 v26, 1, v26
	v_add_lshl_u32 v38, v26, v31, 2
	ds_bpermute_b32 v26, v38, v24
	v_add_u32_e32 v39, 2, v36
	v_cmp_le_u32_e32 vcc, v39, v21
	v_add_u32_e32 v41, 4, v36
	v_add_u32_e32 v43, 8, v36
	s_waitcnt lgkmcnt(0)
	v_cndmask_b32_e32 v26, 0, v26, vcc
	v_cmp_gt_u32_e32 vcc, 60, v36
	v_add_u32_e32 v24, v24, v26
	v_cndmask_b32_e64 v26, 0, 1, vcc
	v_lshlrev_b32_e32 v26, 2, v26
	v_add_lshl_u32 v40, v26, v31, 2
	ds_bpermute_b32 v26, v40, v24
	v_cmp_le_u32_e32 vcc, v41, v21
	v_add_u32_e32 v46, 16, v36
	v_add_u32_e32 v48, 32, v36
	s_waitcnt lgkmcnt(0)
	v_cndmask_b32_e32 v26, 0, v26, vcc
	v_cmp_gt_u32_e32 vcc, 56, v36
	v_add_u32_e32 v24, v24, v26
	v_cndmask_b32_e64 v26, 0, 1, vcc
	v_lshlrev_b32_e32 v26, 3, v26
	v_add_lshl_u32 v42, v26, v31, 2
	ds_bpermute_b32 v26, v42, v24
	v_cmp_le_u32_e32 vcc, v43, v21
	s_waitcnt lgkmcnt(0)
	v_cndmask_b32_e32 v26, 0, v26, vcc
	v_cmp_gt_u32_e32 vcc, 48, v36
	v_add_u32_e32 v24, v24, v26
	v_cndmask_b32_e64 v26, 0, 1, vcc
	v_lshlrev_b32_e32 v26, 4, v26
	v_add_lshl_u32 v45, v26, v31, 2
	ds_bpermute_b32 v26, v45, v24
	v_cmp_le_u32_e32 vcc, v46, v21
	;; [unrolled: 9-line block ×3, first 2 shown]
	s_waitcnt lgkmcnt(0)
	v_cndmask_b32_e32 v21, 0, v26, vcc
	v_add_u32_e32 v24, v24, v21
	v_mov_b32_e32 v21, 0
	s_branch .LBB361_229
.LBB361_228:                            ;   in Loop: Header=BB361_229 Depth=1
	s_or_b64 exec, exec, s[36:37]
	v_cmp_eq_u16_sdwa s[36:37], v25, v19 src0_sel:BYTE_0 src1_sel:DWORD
	v_and_b32_e32 v26, s37, v23
	v_or_b32_e32 v26, 0x80000000, v26
	ds_bpermute_b32 v49, v37, v24
	v_and_b32_e32 v27, s36, v22
	v_ffbl_b32_e32 v26, v26
	v_add_u32_e32 v26, 32, v26
	v_ffbl_b32_e32 v27, v27
	v_min_u32_e32 v26, v27, v26
	v_cmp_lt_u32_e32 vcc, v36, v26
	s_waitcnt lgkmcnt(0)
	v_cndmask_b32_e32 v27, 0, v49, vcc
	v_add_u32_e32 v24, v27, v24
	ds_bpermute_b32 v27, v38, v24
	v_cmp_le_u32_e32 vcc, v39, v26
	v_subrev_u32_e32 v20, 64, v20
	s_waitcnt lgkmcnt(0)
	v_cndmask_b32_e32 v27, 0, v27, vcc
	v_add_u32_e32 v24, v24, v27
	ds_bpermute_b32 v27, v40, v24
	v_cmp_le_u32_e32 vcc, v41, v26
	s_waitcnt lgkmcnt(0)
	v_cndmask_b32_e32 v27, 0, v27, vcc
	v_add_u32_e32 v24, v24, v27
	ds_bpermute_b32 v27, v42, v24
	v_cmp_le_u32_e32 vcc, v43, v26
	s_waitcnt lgkmcnt(0)
	v_cndmask_b32_e32 v27, 0, v27, vcc
	v_add_u32_e32 v24, v24, v27
	ds_bpermute_b32 v27, v45, v24
	v_cmp_le_u32_e32 vcc, v46, v26
	s_waitcnt lgkmcnt(0)
	v_cndmask_b32_e32 v27, 0, v27, vcc
	v_add_u32_e32 v24, v24, v27
	ds_bpermute_b32 v27, v47, v24
	v_cmp_le_u32_e32 vcc, v48, v26
	s_waitcnt lgkmcnt(0)
	v_cndmask_b32_e32 v26, 0, v27, vcc
	v_add3_u32 v24, v26, v44, v24
.LBB361_229:                            ; =>This Loop Header: Depth=1
                                        ;     Child Loop BB361_232 Depth 2
                                        ;       Child Loop BB361_233 Depth 3
	v_cmp_ne_u16_sdwa s[36:37], v25, v19 src0_sel:BYTE_0 src1_sel:DWORD
	v_cndmask_b32_e64 v25, 0, 1, s[36:37]
	;;#ASMSTART
	;;#ASMEND
	v_cmp_ne_u32_e32 vcc, 0, v25
	s_cmp_lg_u64 vcc, exec
	v_mov_b32_e32 v44, v24
	s_cbranch_scc1 .LBB361_236
; %bb.230:                              ;   in Loop: Header=BB361_229 Depth=1
	v_lshlrev_b64 v[24:25], 3, v[20:21]
	v_mov_b32_e32 v27, s19
	v_add_co_u32_e32 v26, vcc, s18, v24
	v_addc_co_u32_e32 v27, vcc, v27, v25, vcc
	global_load_dwordx2 v[24:25], v[26:27], off glc
	s_waitcnt vmcnt(0)
	v_cmp_eq_u16_sdwa s[38:39], v25, v21 src0_sel:BYTE_0 src1_sel:DWORD
	s_and_saveexec_b64 s[36:37], s[38:39]
	s_cbranch_execz .LBB361_228
; %bb.231:                              ;   in Loop: Header=BB361_229 Depth=1
	s_mov_b32 s40, 1
	s_mov_b64 s[38:39], 0
.LBB361_232:                            ;   Parent Loop BB361_229 Depth=1
                                        ; =>  This Loop Header: Depth=2
                                        ;       Child Loop BB361_233 Depth 3
	s_max_u32 s41, s40, 1
.LBB361_233:                            ;   Parent Loop BB361_229 Depth=1
                                        ;     Parent Loop BB361_232 Depth=2
                                        ; =>    This Inner Loop Header: Depth=3
	s_add_i32 s41, s41, -1
	s_cmp_eq_u32 s41, 0
	s_sleep 1
	s_cbranch_scc0 .LBB361_233
; %bb.234:                              ;   in Loop: Header=BB361_232 Depth=2
	global_load_dwordx2 v[24:25], v[26:27], off glc
	s_cmp_lt_u32 s40, 32
	s_cselect_b64 s[42:43], -1, 0
	s_cmp_lg_u64 s[42:43], 0
	s_addc_u32 s40, s40, 0
	s_waitcnt vmcnt(0)
	v_cmp_ne_u16_sdwa s[42:43], v25, v21 src0_sel:BYTE_0 src1_sel:DWORD
	s_or_b64 s[38:39], s[42:43], s[38:39]
	s_andn2_b64 exec, exec, s[38:39]
	s_cbranch_execnz .LBB361_232
; %bb.235:                              ;   in Loop: Header=BB361_229 Depth=1
	s_or_b64 exec, exec, s[38:39]
	s_branch .LBB361_228
.LBB361_236:                            ;   in Loop: Header=BB361_229 Depth=1
                                        ; implicit-def: $vgpr24
                                        ; implicit-def: $vgpr25
	s_cbranch_execz .LBB361_229
; %bb.237:
	s_and_saveexec_b64 s[36:37], s[16:17]
	s_cbranch_execz .LBB361_239
; %bb.238:
	s_add_i32 s38, s33, 64
	s_mov_b32 s39, 0
	s_lshl_b64 s[38:39], s[38:39], 3
	s_add_u32 s38, s18, s38
	v_add_u32_e32 v20, v44, v18
	v_mov_b32_e32 v21, 2
	s_addc_u32 s39, s19, s39
	v_mov_b32_e32 v19, 0
	s_movk_i32 s33, 0x1000
	global_store_dwordx2 v19, v[20:21], s[38:39]
	v_add_u32_e64 v19, s33, 0
	ds_write2_b32 v19, v18, v44 offset0:32 offset1:34
.LBB361_239:
	s_or_b64 exec, exec, s[36:37]
	s_and_b64 exec, exec, s[0:1]
	s_cbranch_execz .LBB361_241
; %bb.240:
	v_mov_b32_e32 v18, 0
	ds_write_b32 v18, v44 offset:4
.LBB361_241:
	s_or_b64 exec, exec, s[26:27]
	v_mov_b32_e32 v19, 0
	s_waitcnt lgkmcnt(0)
	s_barrier
	ds_read_b32 v19, v19 offset:4
	v_cndmask_b32_e64 v18, v35, v34, s[16:17]
	s_movk_i32 s16, 0x1000
	v_add_u32_e64 v20, s16, 0
	s_waitcnt lgkmcnt(0)
	s_barrier
	ds_read2_b32 v[26:27], v20 offset0:32 offset1:34
	v_cndmask_b32_e64 v18, v18, 0, s[0:1]
	v_add_u32_e32 v24, v19, v18
	v_add_u32_sdwa v22, v24, v28 dst_sel:DWORD dst_unused:UNUSED_PAD src0_sel:DWORD src1_sel:BYTE_0
	v_add_u32_sdwa v20, v22, v28 dst_sel:DWORD dst_unused:UNUSED_PAD src0_sel:DWORD src1_sel:BYTE_1
	v_add_u32_e32 v18, v20, v30
	s_waitcnt lgkmcnt(0)
	v_readfirstlane_b32 s33, v26
	v_readfirstlane_b32 s16, v27
	s_branch .LBB361_252
.LBB361_242:
                                        ; implicit-def: $vgpr18
                                        ; implicit-def: $vgpr20
                                        ; implicit-def: $vgpr22
                                        ; implicit-def: $vgpr24
                                        ; implicit-def: $sgpr16
                                        ; implicit-def: $sgpr33
	s_cbranch_execz .LBB361_252
; %bb.243:
	s_nop 0
	v_mov_b32_dpp v18, v33 row_shr:1 row_mask:0xf bank_mask:0xf
	v_cndmask_b32_e64 v18, v18, 0, s[14:15]
	v_add_u32_e32 v18, v18, v33
	s_nop 1
	v_mov_b32_dpp v19, v18 row_shr:2 row_mask:0xf bank_mask:0xf
	v_cndmask_b32_e64 v19, 0, v19, s[12:13]
	v_add_u32_e32 v18, v18, v19
	;; [unrolled: 4-line block ×4, first 2 shown]
	s_nop 1
	v_mov_b32_dpp v19, v18 row_bcast:15 row_mask:0xf bank_mask:0xf
	v_cndmask_b32_e64 v19, v19, 0, s[6:7]
	v_add_u32_e32 v18, v18, v19
	s_nop 1
	v_mov_b32_dpp v19, v18 row_bcast:31 row_mask:0xf bank_mask:0xf
	v_cndmask_b32_e64 v19, 0, v19, s[2:3]
	v_add_u32_e32 v18, v18, v19
	s_and_saveexec_b64 s[2:3], s[4:5]
	s_cbranch_execz .LBB361_245
; %bb.244:
	v_lshlrev_b32_e32 v19, 2, v32
	ds_write_b32 v19, v18
.LBB361_245:
	s_or_b64 exec, exec, s[2:3]
	v_cmp_gt_u32_e32 vcc, 2, v0
	s_waitcnt lgkmcnt(0)
	s_barrier
	s_and_saveexec_b64 s[2:3], vcc
	s_cbranch_execz .LBB361_247
; %bb.246:
	ds_read_b32 v19, v1
	v_bfe_i32 v20, v31, 0, 1
	s_waitcnt lgkmcnt(0)
	v_mov_b32_dpp v21, v19 row_shr:1 row_mask:0xf bank_mask:0xf
	v_and_b32_e32 v20, v20, v21
	v_add_u32_e32 v19, v20, v19
	ds_write_b32 v1, v19
.LBB361_247:
	s_or_b64 exec, exec, s[2:3]
	v_cmp_lt_u32_e32 vcc, 63, v0
	v_mov_b32_e32 v19, 0
	v_mov_b32_e32 v1, 0
	s_waitcnt lgkmcnt(0)
	s_barrier
	s_and_saveexec_b64 s[2:3], vcc
	s_cbranch_execz .LBB361_249
; %bb.248:
	v_lshl_add_u32 v1, v32, 2, -4
	ds_read_b32 v1, v1
.LBB361_249:
	s_or_b64 exec, exec, s[2:3]
	v_add_u32_e32 v20, -1, v31
	v_and_b32_e32 v21, 64, v31
	v_cmp_lt_i32_e32 vcc, v20, v21
	v_cndmask_b32_e32 v20, v20, v31, vcc
	s_waitcnt lgkmcnt(0)
	v_add_u32_e32 v18, v1, v18
	v_lshlrev_b32_e32 v20, 2, v20
	ds_read_b32 v19, v19 offset:4
	ds_bpermute_b32 v18, v20, v18
	s_waitcnt lgkmcnt(1)
	v_readfirstlane_b32 s33, v19
	s_and_saveexec_b64 s[2:3], s[0:1]
	s_cbranch_execz .LBB361_251
; %bb.250:
	v_mov_b32_e32 v19, 0
	v_mov_b32_e32 v20, s33
	;; [unrolled: 1-line block ×3, first 2 shown]
	global_store_dwordx2 v19, v[20:21], s[18:19] offset:512
.LBB361_251:
	s_or_b64 exec, exec, s[2:3]
	v_cmp_eq_u32_e32 vcc, 0, v31
	s_waitcnt lgkmcnt(0)
	v_cndmask_b32_e32 v1, v18, v1, vcc
	v_cndmask_b32_e64 v24, v1, 0, s[0:1]
	v_add_u32_sdwa v22, v24, v28 dst_sel:DWORD dst_unused:UNUSED_PAD src0_sel:DWORD src1_sel:BYTE_0
	v_add_u32_sdwa v20, v22, v28 dst_sel:DWORD dst_unused:UNUSED_PAD src0_sel:DWORD src1_sel:BYTE_1
	s_mov_b32 s16, 0
	v_add_u32_e32 v18, v20, v30
	s_barrier
.LBB361_252:
	s_cmpk_lt_u32 s33, 0x81
	s_cselect_b64 s[4:5], -1, 0
	v_lshrrev_b32_e32 v1, 8, v28
	s_mov_b64 s[2:3], -1
	s_and_b64 vcc, exec, s[4:5]
	s_cbranch_vccz .LBB361_266
; %bb.253:
	s_add_i32 s6, s16, s33
	v_cmp_gt_u32_e32 vcc, s6, v24
	s_or_b64 s[8:9], s[34:35], vcc
	s_and_saveexec_b64 s[2:3], s[8:9]
	s_cbranch_execz .LBB361_256
; %bb.254:
	v_and_b32_e32 v19, 1, v28
	v_cmp_eq_u32_e32 vcc, 1, v19
	s_and_b64 exec, exec, vcc
	s_cbranch_execz .LBB361_256
; %bb.255:
	s_lshl_b64 s[8:9], s[22:23], 3
	s_add_u32 s7, s28, s8
	v_mov_b32_e32 v25, 0
	s_addc_u32 s8, s29, s9
	v_lshlrev_b64 v[26:27], 3, v[24:25]
	v_mov_b32_e32 v19, s8
	v_add_co_u32_e32 v26, vcc, s7, v26
	v_addc_co_u32_e32 v27, vcc, v19, v27, vcc
	global_store_dwordx2 v[26:27], v[14:15], off
.LBB361_256:
	s_or_b64 exec, exec, s[2:3]
	v_cmp_gt_u32_e32 vcc, s6, v22
	s_or_b64 s[8:9], s[34:35], vcc
	s_and_saveexec_b64 s[2:3], s[8:9]
	s_cbranch_execz .LBB361_259
; %bb.257:
	v_and_b32_e32 v19, 1, v1
	v_cmp_eq_u32_e32 vcc, 1, v19
	s_and_b64 exec, exec, vcc
	s_cbranch_execz .LBB361_259
; %bb.258:
	s_lshl_b64 s[8:9], s[22:23], 3
	s_add_u32 s7, s28, s8
	v_mov_b32_e32 v23, 0
	s_addc_u32 s8, s29, s9
	v_lshlrev_b64 v[26:27], 3, v[22:23]
	v_mov_b32_e32 v19, s8
	v_add_co_u32_e32 v26, vcc, s7, v26
	v_addc_co_u32_e32 v27, vcc, v19, v27, vcc
	global_store_dwordx2 v[26:27], v[16:17], off
.LBB361_259:
	s_or_b64 exec, exec, s[2:3]
	v_cmp_gt_u32_e32 vcc, s6, v20
	s_or_b64 s[8:9], s[34:35], vcc
	s_and_saveexec_b64 s[2:3], s[8:9]
	s_cbranch_execz .LBB361_262
; %bb.260:
	v_mov_b32_e32 v19, 1
	v_and_b32_sdwa v19, v19, v28 dst_sel:DWORD dst_unused:UNUSED_PAD src0_sel:DWORD src1_sel:WORD_1
	v_cmp_eq_u32_e32 vcc, 1, v19
	s_and_b64 exec, exec, vcc
	s_cbranch_execz .LBB361_262
; %bb.261:
	s_lshl_b64 s[8:9], s[22:23], 3
	s_add_u32 s7, s28, s8
	v_mov_b32_e32 v21, 0
	s_addc_u32 s8, s29, s9
	v_lshlrev_b64 v[26:27], 3, v[20:21]
	v_mov_b32_e32 v19, s8
	v_add_co_u32_e32 v26, vcc, s7, v26
	v_addc_co_u32_e32 v27, vcc, v19, v27, vcc
	global_store_dwordx2 v[26:27], v[10:11], off
.LBB361_262:
	s_or_b64 exec, exec, s[2:3]
	v_cmp_gt_u32_e32 vcc, s6, v18
	s_or_b64 s[6:7], s[34:35], vcc
	s_and_saveexec_b64 s[2:3], s[6:7]
	s_cbranch_execz .LBB361_265
; %bb.263:
	v_and_b32_e32 v19, 1, v29
	v_cmp_eq_u32_e32 vcc, 1, v19
	s_and_b64 exec, exec, vcc
	s_cbranch_execz .LBB361_265
; %bb.264:
	s_lshl_b64 s[6:7], s[22:23], 3
	s_add_u32 s6, s28, s6
	v_mov_b32_e32 v19, 0
	s_addc_u32 s7, s29, s7
	v_lshlrev_b64 v[26:27], 3, v[18:19]
	v_mov_b32_e32 v19, s7
	v_add_co_u32_e32 v26, vcc, s6, v26
	v_addc_co_u32_e32 v27, vcc, v19, v27, vcc
	global_store_dwordx2 v[26:27], v[12:13], off
.LBB361_265:
	s_or_b64 exec, exec, s[2:3]
	s_mov_b64 s[2:3], 0
.LBB361_266:
	v_and_b32_e32 v26, 1, v28
	s_and_b64 vcc, exec, s[2:3]
	v_cmp_eq_u32_e64 s[2:3], 1, v26
	s_cbranch_vccz .LBB361_279
; %bb.267:
	s_and_saveexec_b64 s[6:7], s[2:3]
	s_cbranch_execz .LBB361_269
; %bb.268:
	v_subrev_u32_e32 v19, s16, v24
	v_lshlrev_b32_e32 v19, 3, v19
	ds_write_b64 v19, v[14:15]
.LBB361_269:
	s_or_b64 exec, exec, s[6:7]
	v_and_b32_e32 v14, 1, v1
	v_cmp_eq_u32_e32 vcc, 1, v14
	s_and_saveexec_b64 s[2:3], vcc
	s_cbranch_execz .LBB361_271
; %bb.270:
	v_subrev_u32_e32 v14, s16, v22
	v_lshlrev_b32_e32 v14, 3, v14
	ds_write_b64 v14, v[16:17]
.LBB361_271:
	s_or_b64 exec, exec, s[2:3]
	v_mov_b32_e32 v14, 1
	v_and_b32_sdwa v14, v14, v28 dst_sel:DWORD dst_unused:UNUSED_PAD src0_sel:DWORD src1_sel:WORD_1
	v_cmp_eq_u32_e32 vcc, 1, v14
	s_and_saveexec_b64 s[2:3], vcc
	s_cbranch_execz .LBB361_273
; %bb.272:
	v_subrev_u32_e32 v14, s16, v20
	v_lshlrev_b32_e32 v14, 3, v14
	ds_write_b64 v14, v[10:11]
.LBB361_273:
	s_or_b64 exec, exec, s[2:3]
	v_and_b32_e32 v10, 1, v29
	v_cmp_eq_u32_e32 vcc, 1, v10
	s_and_saveexec_b64 s[2:3], vcc
	s_cbranch_execz .LBB361_275
; %bb.274:
	v_subrev_u32_e32 v10, s16, v18
	v_lshlrev_b32_e32 v10, 3, v10
	ds_write_b64 v10, v[12:13]
.LBB361_275:
	s_or_b64 exec, exec, s[2:3]
	v_cmp_gt_u32_e32 vcc, s33, v0
	s_waitcnt lgkmcnt(0)
	s_barrier
	s_and_saveexec_b64 s[2:3], vcc
	s_cbranch_execz .LBB361_278
; %bb.276:
	s_mov_b32 s17, 0
	s_lshl_b64 s[6:7], s[16:17], 3
	s_add_u32 s8, s28, s6
	s_addc_u32 s9, s29, s7
	s_lshl_b64 s[6:7], s[22:23], 3
	s_add_u32 s8, s8, s6
	s_addc_u32 s9, s9, s7
	v_lshlrev_b32_e32 v12, 3, v0
	s_mov_b64 s[6:7], 0
	v_mov_b32_e32 v11, 0
	v_mov_b32_e32 v13, s9
	;; [unrolled: 1-line block ×3, first 2 shown]
.LBB361_277:                            ; =>This Inner Loop Header: Depth=1
	ds_read_b64 v[14:15], v12
	v_lshlrev_b64 v[16:17], 3, v[10:11]
	v_add_co_u32_e32 v16, vcc, s8, v16
	v_add_u32_e32 v10, 0x80, v10
	v_addc_co_u32_e32 v17, vcc, v13, v17, vcc
	v_cmp_le_u32_e32 vcc, s33, v10
	v_add_u32_e32 v12, 0x400, v12
	s_or_b64 s[6:7], vcc, s[6:7]
	s_waitcnt lgkmcnt(0)
	global_store_dwordx2 v[16:17], v[14:15], off
	s_andn2_b64 exec, exec, s[6:7]
	s_cbranch_execnz .LBB361_277
.LBB361_278:
	s_or_b64 exec, exec, s[2:3]
.LBB361_279:
	s_mov_b64 s[2:3], -1
	s_and_b64 vcc, exec, s[4:5]
	s_barrier
	s_cbranch_vccnz .LBB361_283
; %bb.280:
	s_and_b64 vcc, exec, s[2:3]
	s_cbranch_vccnz .LBB361_296
.LBB361_281:
	s_and_b64 s[0:1], s[0:1], s[24:25]
	s_and_saveexec_b64 s[2:3], s[0:1]
	s_cbranch_execnz .LBB361_308
.LBB361_282:
	s_endpgm
.LBB361_283:
	s_add_i32 s4, s16, s33
	v_cmp_gt_u32_e32 vcc, s4, v24
	s_or_b64 s[6:7], s[34:35], vcc
	s_and_saveexec_b64 s[2:3], s[6:7]
	s_cbranch_execz .LBB361_286
; %bb.284:
	v_cmp_eq_u32_e32 vcc, 1, v26
	s_and_b64 exec, exec, vcc
	s_cbranch_execz .LBB361_286
; %bb.285:
	s_lshl_b64 s[6:7], s[22:23], 3
	s_add_u32 s5, s30, s6
	v_mov_b32_e32 v25, 0
	s_addc_u32 s6, s31, s7
	v_lshlrev_b64 v[10:11], 3, v[24:25]
	v_mov_b32_e32 v12, s6
	v_add_co_u32_e32 v10, vcc, s5, v10
	v_addc_co_u32_e32 v11, vcc, v12, v11, vcc
	global_store_dwordx2 v[10:11], v[6:7], off
.LBB361_286:
	s_or_b64 exec, exec, s[2:3]
	v_cmp_gt_u32_e32 vcc, s4, v22
	s_or_b64 s[6:7], s[34:35], vcc
	s_and_saveexec_b64 s[2:3], s[6:7]
	s_cbranch_execz .LBB361_289
; %bb.287:
	v_and_b32_e32 v10, 1, v1
	v_cmp_eq_u32_e32 vcc, 1, v10
	s_and_b64 exec, exec, vcc
	s_cbranch_execz .LBB361_289
; %bb.288:
	s_lshl_b64 s[6:7], s[22:23], 3
	s_add_u32 s5, s30, s6
	v_mov_b32_e32 v23, 0
	s_addc_u32 s6, s31, s7
	v_lshlrev_b64 v[10:11], 3, v[22:23]
	v_mov_b32_e32 v12, s6
	v_add_co_u32_e32 v10, vcc, s5, v10
	v_addc_co_u32_e32 v11, vcc, v12, v11, vcc
	global_store_dwordx2 v[10:11], v[8:9], off
.LBB361_289:
	s_or_b64 exec, exec, s[2:3]
	v_cmp_gt_u32_e32 vcc, s4, v20
	s_or_b64 s[6:7], s[34:35], vcc
	s_and_saveexec_b64 s[2:3], s[6:7]
	s_cbranch_execz .LBB361_292
; %bb.290:
	v_mov_b32_e32 v10, 1
	v_and_b32_sdwa v10, v10, v28 dst_sel:DWORD dst_unused:UNUSED_PAD src0_sel:DWORD src1_sel:WORD_1
	v_cmp_eq_u32_e32 vcc, 1, v10
	s_and_b64 exec, exec, vcc
	s_cbranch_execz .LBB361_292
; %bb.291:
	s_lshl_b64 s[6:7], s[22:23], 3
	s_add_u32 s5, s30, s6
	v_mov_b32_e32 v21, 0
	s_addc_u32 s6, s31, s7
	v_lshlrev_b64 v[10:11], 3, v[20:21]
	v_mov_b32_e32 v12, s6
	v_add_co_u32_e32 v10, vcc, s5, v10
	v_addc_co_u32_e32 v11, vcc, v12, v11, vcc
	global_store_dwordx2 v[10:11], v[2:3], off
.LBB361_292:
	s_or_b64 exec, exec, s[2:3]
	v_cmp_gt_u32_e32 vcc, s4, v18
	s_or_b64 s[4:5], s[34:35], vcc
	s_and_saveexec_b64 s[2:3], s[4:5]
	s_cbranch_execz .LBB361_295
; %bb.293:
	v_and_b32_e32 v10, 1, v29
	v_cmp_eq_u32_e32 vcc, 1, v10
	s_and_b64 exec, exec, vcc
	s_cbranch_execz .LBB361_295
; %bb.294:
	s_lshl_b64 s[4:5], s[22:23], 3
	s_add_u32 s4, s30, s4
	v_mov_b32_e32 v19, 0
	s_addc_u32 s5, s31, s5
	v_lshlrev_b64 v[10:11], 3, v[18:19]
	v_mov_b32_e32 v12, s5
	v_add_co_u32_e32 v10, vcc, s4, v10
	v_addc_co_u32_e32 v11, vcc, v12, v11, vcc
	global_store_dwordx2 v[10:11], v[4:5], off
.LBB361_295:
	s_or_b64 exec, exec, s[2:3]
	s_branch .LBB361_281
.LBB361_296:
	v_cmp_eq_u32_e32 vcc, 1, v26
	s_and_saveexec_b64 s[2:3], vcc
	s_cbranch_execz .LBB361_298
; %bb.297:
	v_subrev_u32_e32 v10, s16, v24
	v_lshlrev_b32_e32 v10, 3, v10
	ds_write_b64 v10, v[6:7]
.LBB361_298:
	s_or_b64 exec, exec, s[2:3]
	v_and_b32_e32 v1, 1, v1
	v_cmp_eq_u32_e32 vcc, 1, v1
	s_and_saveexec_b64 s[2:3], vcc
	s_cbranch_execz .LBB361_300
; %bb.299:
	v_subrev_u32_e32 v1, s16, v22
	v_lshlrev_b32_e32 v1, 3, v1
	ds_write_b64 v1, v[8:9]
.LBB361_300:
	s_or_b64 exec, exec, s[2:3]
	v_mov_b32_e32 v1, 1
	v_and_b32_sdwa v1, v1, v28 dst_sel:DWORD dst_unused:UNUSED_PAD src0_sel:DWORD src1_sel:WORD_1
	v_cmp_eq_u32_e32 vcc, 1, v1
	s_and_saveexec_b64 s[2:3], vcc
	s_cbranch_execz .LBB361_302
; %bb.301:
	v_subrev_u32_e32 v1, s16, v20
	v_lshlrev_b32_e32 v1, 3, v1
	ds_write_b64 v1, v[2:3]
.LBB361_302:
	s_or_b64 exec, exec, s[2:3]
	v_and_b32_e32 v1, 1, v29
	v_cmp_eq_u32_e32 vcc, 1, v1
	s_and_saveexec_b64 s[2:3], vcc
	s_cbranch_execz .LBB361_304
; %bb.303:
	v_subrev_u32_e32 v1, s16, v18
	v_lshlrev_b32_e32 v1, 3, v1
	ds_write_b64 v1, v[4:5]
.LBB361_304:
	s_or_b64 exec, exec, s[2:3]
	v_cmp_gt_u32_e32 vcc, s33, v0
	s_waitcnt lgkmcnt(0)
	s_barrier
	s_and_saveexec_b64 s[2:3], vcc
	s_cbranch_execz .LBB361_307
; %bb.305:
	s_mov_b32 s17, 0
	s_lshl_b64 s[4:5], s[16:17], 3
	s_add_u32 s6, s30, s4
	s_addc_u32 s7, s31, s5
	s_lshl_b64 s[4:5], s[22:23], 3
	s_add_u32 s6, s6, s4
	s_addc_u32 s7, s7, s5
	v_lshlrev_b32_e32 v2, 3, v0
	s_mov_b64 s[4:5], 0
	v_mov_b32_e32 v1, 0
	v_mov_b32_e32 v3, s7
.LBB361_306:                            ; =>This Inner Loop Header: Depth=1
	ds_read_b64 v[4:5], v2
	v_lshlrev_b64 v[6:7], 3, v[0:1]
	v_add_co_u32_e32 v6, vcc, s6, v6
	v_add_u32_e32 v0, 0x80, v0
	v_addc_co_u32_e32 v7, vcc, v3, v7, vcc
	v_cmp_le_u32_e32 vcc, s33, v0
	v_add_u32_e32 v2, 0x400, v2
	s_or_b64 s[4:5], vcc, s[4:5]
	s_waitcnt lgkmcnt(0)
	global_store_dwordx2 v[6:7], v[4:5], off
	s_andn2_b64 exec, exec, s[4:5]
	s_cbranch_execnz .LBB361_306
.LBB361_307:
	s_or_b64 exec, exec, s[2:3]
	s_and_b64 s[0:1], s[0:1], s[24:25]
	s_and_saveexec_b64 s[2:3], s[0:1]
	s_cbranch_execz .LBB361_282
.LBB361_308:
	s_add_u32 s0, s22, s33
	s_addc_u32 s1, s23, 0
	s_add_u32 s0, s0, s16
	s_addc_u32 s1, s1, 0
	v_mov_b32_e32 v2, 0
	v_pk_mov_b32 v[0:1], s[0:1], s[0:1] op_sel:[0,1]
	global_store_dwordx2 v2, v[0:1], s[20:21]
	s_endpgm
	.section	.rodata,"a",@progbits
	.p2align	6, 0x0
	.amdhsa_kernel _ZN7rocprim17ROCPRIM_400000_NS6detail17trampoline_kernelINS0_14default_configENS1_25partition_config_selectorILNS1_17partition_subalgoE9EllbEEZZNS1_14partition_implILS5_9ELb0ES3_jPlS8_PNS0_10empty_typeENS0_5tupleIJS8_S9_EEENSB_IJS8_SA_EEENS0_18inequality_wrapperIZN2at6native12_GLOBAL__N_124unique_dim_cuda_templateIaEESt5tupleIJNSF_6TensorESK_SK_EERKSK_lbbbEUlllE0_EEPmJS9_EEE10hipError_tPvRmT3_T4_T5_T6_T7_T9_mT8_P12ihipStream_tbDpT10_ENKUlT_T0_E_clISt17integral_constantIbLb1EES1A_EEDaS15_S16_EUlS15_E_NS1_11comp_targetILNS1_3genE4ELNS1_11target_archE910ELNS1_3gpuE8ELNS1_3repE0EEENS1_30default_config_static_selectorELNS0_4arch9wavefront6targetE1EEEvT1_
		.amdhsa_group_segment_fixed_size 4236
		.amdhsa_private_segment_fixed_size 0
		.amdhsa_kernarg_size 136
		.amdhsa_user_sgpr_count 6
		.amdhsa_user_sgpr_private_segment_buffer 1
		.amdhsa_user_sgpr_dispatch_ptr 0
		.amdhsa_user_sgpr_queue_ptr 0
		.amdhsa_user_sgpr_kernarg_segment_ptr 1
		.amdhsa_user_sgpr_dispatch_id 0
		.amdhsa_user_sgpr_flat_scratch_init 0
		.amdhsa_user_sgpr_kernarg_preload_length 0
		.amdhsa_user_sgpr_kernarg_preload_offset 0
		.amdhsa_user_sgpr_private_segment_size 0
		.amdhsa_uses_dynamic_stack 0
		.amdhsa_system_sgpr_private_segment_wavefront_offset 0
		.amdhsa_system_sgpr_workgroup_id_x 1
		.amdhsa_system_sgpr_workgroup_id_y 0
		.amdhsa_system_sgpr_workgroup_id_z 0
		.amdhsa_system_sgpr_workgroup_info 0
		.amdhsa_system_vgpr_workitem_id 0
		.amdhsa_next_free_vgpr 50
		.amdhsa_next_free_sgpr 52
		.amdhsa_accum_offset 52
		.amdhsa_reserve_vcc 1
		.amdhsa_reserve_flat_scratch 0
		.amdhsa_float_round_mode_32 0
		.amdhsa_float_round_mode_16_64 0
		.amdhsa_float_denorm_mode_32 3
		.amdhsa_float_denorm_mode_16_64 3
		.amdhsa_dx10_clamp 1
		.amdhsa_ieee_mode 1
		.amdhsa_fp16_overflow 0
		.amdhsa_tg_split 0
		.amdhsa_exception_fp_ieee_invalid_op 0
		.amdhsa_exception_fp_denorm_src 0
		.amdhsa_exception_fp_ieee_div_zero 0
		.amdhsa_exception_fp_ieee_overflow 0
		.amdhsa_exception_fp_ieee_underflow 0
		.amdhsa_exception_fp_ieee_inexact 0
		.amdhsa_exception_int_div_zero 0
	.end_amdhsa_kernel
	.section	.text._ZN7rocprim17ROCPRIM_400000_NS6detail17trampoline_kernelINS0_14default_configENS1_25partition_config_selectorILNS1_17partition_subalgoE9EllbEEZZNS1_14partition_implILS5_9ELb0ES3_jPlS8_PNS0_10empty_typeENS0_5tupleIJS8_S9_EEENSB_IJS8_SA_EEENS0_18inequality_wrapperIZN2at6native12_GLOBAL__N_124unique_dim_cuda_templateIaEESt5tupleIJNSF_6TensorESK_SK_EERKSK_lbbbEUlllE0_EEPmJS9_EEE10hipError_tPvRmT3_T4_T5_T6_T7_T9_mT8_P12ihipStream_tbDpT10_ENKUlT_T0_E_clISt17integral_constantIbLb1EES1A_EEDaS15_S16_EUlS15_E_NS1_11comp_targetILNS1_3genE4ELNS1_11target_archE910ELNS1_3gpuE8ELNS1_3repE0EEENS1_30default_config_static_selectorELNS0_4arch9wavefront6targetE1EEEvT1_,"axG",@progbits,_ZN7rocprim17ROCPRIM_400000_NS6detail17trampoline_kernelINS0_14default_configENS1_25partition_config_selectorILNS1_17partition_subalgoE9EllbEEZZNS1_14partition_implILS5_9ELb0ES3_jPlS8_PNS0_10empty_typeENS0_5tupleIJS8_S9_EEENSB_IJS8_SA_EEENS0_18inequality_wrapperIZN2at6native12_GLOBAL__N_124unique_dim_cuda_templateIaEESt5tupleIJNSF_6TensorESK_SK_EERKSK_lbbbEUlllE0_EEPmJS9_EEE10hipError_tPvRmT3_T4_T5_T6_T7_T9_mT8_P12ihipStream_tbDpT10_ENKUlT_T0_E_clISt17integral_constantIbLb1EES1A_EEDaS15_S16_EUlS15_E_NS1_11comp_targetILNS1_3genE4ELNS1_11target_archE910ELNS1_3gpuE8ELNS1_3repE0EEENS1_30default_config_static_selectorELNS0_4arch9wavefront6targetE1EEEvT1_,comdat
.Lfunc_end361:
	.size	_ZN7rocprim17ROCPRIM_400000_NS6detail17trampoline_kernelINS0_14default_configENS1_25partition_config_selectorILNS1_17partition_subalgoE9EllbEEZZNS1_14partition_implILS5_9ELb0ES3_jPlS8_PNS0_10empty_typeENS0_5tupleIJS8_S9_EEENSB_IJS8_SA_EEENS0_18inequality_wrapperIZN2at6native12_GLOBAL__N_124unique_dim_cuda_templateIaEESt5tupleIJNSF_6TensorESK_SK_EERKSK_lbbbEUlllE0_EEPmJS9_EEE10hipError_tPvRmT3_T4_T5_T6_T7_T9_mT8_P12ihipStream_tbDpT10_ENKUlT_T0_E_clISt17integral_constantIbLb1EES1A_EEDaS15_S16_EUlS15_E_NS1_11comp_targetILNS1_3genE4ELNS1_11target_archE910ELNS1_3gpuE8ELNS1_3repE0EEENS1_30default_config_static_selectorELNS0_4arch9wavefront6targetE1EEEvT1_, .Lfunc_end361-_ZN7rocprim17ROCPRIM_400000_NS6detail17trampoline_kernelINS0_14default_configENS1_25partition_config_selectorILNS1_17partition_subalgoE9EllbEEZZNS1_14partition_implILS5_9ELb0ES3_jPlS8_PNS0_10empty_typeENS0_5tupleIJS8_S9_EEENSB_IJS8_SA_EEENS0_18inequality_wrapperIZN2at6native12_GLOBAL__N_124unique_dim_cuda_templateIaEESt5tupleIJNSF_6TensorESK_SK_EERKSK_lbbbEUlllE0_EEPmJS9_EEE10hipError_tPvRmT3_T4_T5_T6_T7_T9_mT8_P12ihipStream_tbDpT10_ENKUlT_T0_E_clISt17integral_constantIbLb1EES1A_EEDaS15_S16_EUlS15_E_NS1_11comp_targetILNS1_3genE4ELNS1_11target_archE910ELNS1_3gpuE8ELNS1_3repE0EEENS1_30default_config_static_selectorELNS0_4arch9wavefront6targetE1EEEvT1_
                                        ; -- End function
	.section	.AMDGPU.csdata,"",@progbits
; Kernel info:
; codeLenInByte = 9656
; NumSgprs: 56
; NumVgprs: 50
; NumAgprs: 0
; TotalNumVgprs: 50
; ScratchSize: 0
; MemoryBound: 0
; FloatMode: 240
; IeeeMode: 1
; LDSByteSize: 4236 bytes/workgroup (compile time only)
; SGPRBlocks: 6
; VGPRBlocks: 6
; NumSGPRsForWavesPerEU: 56
; NumVGPRsForWavesPerEU: 50
; AccumOffset: 52
; Occupancy: 8
; WaveLimiterHint : 1
; COMPUTE_PGM_RSRC2:SCRATCH_EN: 0
; COMPUTE_PGM_RSRC2:USER_SGPR: 6
; COMPUTE_PGM_RSRC2:TRAP_HANDLER: 0
; COMPUTE_PGM_RSRC2:TGID_X_EN: 1
; COMPUTE_PGM_RSRC2:TGID_Y_EN: 0
; COMPUTE_PGM_RSRC2:TGID_Z_EN: 0
; COMPUTE_PGM_RSRC2:TIDIG_COMP_CNT: 0
; COMPUTE_PGM_RSRC3_GFX90A:ACCUM_OFFSET: 12
; COMPUTE_PGM_RSRC3_GFX90A:TG_SPLIT: 0
	.section	.text._ZN7rocprim17ROCPRIM_400000_NS6detail17trampoline_kernelINS0_14default_configENS1_25partition_config_selectorILNS1_17partition_subalgoE9EllbEEZZNS1_14partition_implILS5_9ELb0ES3_jPlS8_PNS0_10empty_typeENS0_5tupleIJS8_S9_EEENSB_IJS8_SA_EEENS0_18inequality_wrapperIZN2at6native12_GLOBAL__N_124unique_dim_cuda_templateIaEESt5tupleIJNSF_6TensorESK_SK_EERKSK_lbbbEUlllE0_EEPmJS9_EEE10hipError_tPvRmT3_T4_T5_T6_T7_T9_mT8_P12ihipStream_tbDpT10_ENKUlT_T0_E_clISt17integral_constantIbLb1EES1A_EEDaS15_S16_EUlS15_E_NS1_11comp_targetILNS1_3genE3ELNS1_11target_archE908ELNS1_3gpuE7ELNS1_3repE0EEENS1_30default_config_static_selectorELNS0_4arch9wavefront6targetE1EEEvT1_,"axG",@progbits,_ZN7rocprim17ROCPRIM_400000_NS6detail17trampoline_kernelINS0_14default_configENS1_25partition_config_selectorILNS1_17partition_subalgoE9EllbEEZZNS1_14partition_implILS5_9ELb0ES3_jPlS8_PNS0_10empty_typeENS0_5tupleIJS8_S9_EEENSB_IJS8_SA_EEENS0_18inequality_wrapperIZN2at6native12_GLOBAL__N_124unique_dim_cuda_templateIaEESt5tupleIJNSF_6TensorESK_SK_EERKSK_lbbbEUlllE0_EEPmJS9_EEE10hipError_tPvRmT3_T4_T5_T6_T7_T9_mT8_P12ihipStream_tbDpT10_ENKUlT_T0_E_clISt17integral_constantIbLb1EES1A_EEDaS15_S16_EUlS15_E_NS1_11comp_targetILNS1_3genE3ELNS1_11target_archE908ELNS1_3gpuE7ELNS1_3repE0EEENS1_30default_config_static_selectorELNS0_4arch9wavefront6targetE1EEEvT1_,comdat
	.globl	_ZN7rocprim17ROCPRIM_400000_NS6detail17trampoline_kernelINS0_14default_configENS1_25partition_config_selectorILNS1_17partition_subalgoE9EllbEEZZNS1_14partition_implILS5_9ELb0ES3_jPlS8_PNS0_10empty_typeENS0_5tupleIJS8_S9_EEENSB_IJS8_SA_EEENS0_18inequality_wrapperIZN2at6native12_GLOBAL__N_124unique_dim_cuda_templateIaEESt5tupleIJNSF_6TensorESK_SK_EERKSK_lbbbEUlllE0_EEPmJS9_EEE10hipError_tPvRmT3_T4_T5_T6_T7_T9_mT8_P12ihipStream_tbDpT10_ENKUlT_T0_E_clISt17integral_constantIbLb1EES1A_EEDaS15_S16_EUlS15_E_NS1_11comp_targetILNS1_3genE3ELNS1_11target_archE908ELNS1_3gpuE7ELNS1_3repE0EEENS1_30default_config_static_selectorELNS0_4arch9wavefront6targetE1EEEvT1_ ; -- Begin function _ZN7rocprim17ROCPRIM_400000_NS6detail17trampoline_kernelINS0_14default_configENS1_25partition_config_selectorILNS1_17partition_subalgoE9EllbEEZZNS1_14partition_implILS5_9ELb0ES3_jPlS8_PNS0_10empty_typeENS0_5tupleIJS8_S9_EEENSB_IJS8_SA_EEENS0_18inequality_wrapperIZN2at6native12_GLOBAL__N_124unique_dim_cuda_templateIaEESt5tupleIJNSF_6TensorESK_SK_EERKSK_lbbbEUlllE0_EEPmJS9_EEE10hipError_tPvRmT3_T4_T5_T6_T7_T9_mT8_P12ihipStream_tbDpT10_ENKUlT_T0_E_clISt17integral_constantIbLb1EES1A_EEDaS15_S16_EUlS15_E_NS1_11comp_targetILNS1_3genE3ELNS1_11target_archE908ELNS1_3gpuE7ELNS1_3repE0EEENS1_30default_config_static_selectorELNS0_4arch9wavefront6targetE1EEEvT1_
	.p2align	8
	.type	_ZN7rocprim17ROCPRIM_400000_NS6detail17trampoline_kernelINS0_14default_configENS1_25partition_config_selectorILNS1_17partition_subalgoE9EllbEEZZNS1_14partition_implILS5_9ELb0ES3_jPlS8_PNS0_10empty_typeENS0_5tupleIJS8_S9_EEENSB_IJS8_SA_EEENS0_18inequality_wrapperIZN2at6native12_GLOBAL__N_124unique_dim_cuda_templateIaEESt5tupleIJNSF_6TensorESK_SK_EERKSK_lbbbEUlllE0_EEPmJS9_EEE10hipError_tPvRmT3_T4_T5_T6_T7_T9_mT8_P12ihipStream_tbDpT10_ENKUlT_T0_E_clISt17integral_constantIbLb1EES1A_EEDaS15_S16_EUlS15_E_NS1_11comp_targetILNS1_3genE3ELNS1_11target_archE908ELNS1_3gpuE7ELNS1_3repE0EEENS1_30default_config_static_selectorELNS0_4arch9wavefront6targetE1EEEvT1_,@function
_ZN7rocprim17ROCPRIM_400000_NS6detail17trampoline_kernelINS0_14default_configENS1_25partition_config_selectorILNS1_17partition_subalgoE9EllbEEZZNS1_14partition_implILS5_9ELb0ES3_jPlS8_PNS0_10empty_typeENS0_5tupleIJS8_S9_EEENSB_IJS8_SA_EEENS0_18inequality_wrapperIZN2at6native12_GLOBAL__N_124unique_dim_cuda_templateIaEESt5tupleIJNSF_6TensorESK_SK_EERKSK_lbbbEUlllE0_EEPmJS9_EEE10hipError_tPvRmT3_T4_T5_T6_T7_T9_mT8_P12ihipStream_tbDpT10_ENKUlT_T0_E_clISt17integral_constantIbLb1EES1A_EEDaS15_S16_EUlS15_E_NS1_11comp_targetILNS1_3genE3ELNS1_11target_archE908ELNS1_3gpuE7ELNS1_3repE0EEENS1_30default_config_static_selectorELNS0_4arch9wavefront6targetE1EEEvT1_: ; @_ZN7rocprim17ROCPRIM_400000_NS6detail17trampoline_kernelINS0_14default_configENS1_25partition_config_selectorILNS1_17partition_subalgoE9EllbEEZZNS1_14partition_implILS5_9ELb0ES3_jPlS8_PNS0_10empty_typeENS0_5tupleIJS8_S9_EEENSB_IJS8_SA_EEENS0_18inequality_wrapperIZN2at6native12_GLOBAL__N_124unique_dim_cuda_templateIaEESt5tupleIJNSF_6TensorESK_SK_EERKSK_lbbbEUlllE0_EEPmJS9_EEE10hipError_tPvRmT3_T4_T5_T6_T7_T9_mT8_P12ihipStream_tbDpT10_ENKUlT_T0_E_clISt17integral_constantIbLb1EES1A_EEDaS15_S16_EUlS15_E_NS1_11comp_targetILNS1_3genE3ELNS1_11target_archE908ELNS1_3gpuE7ELNS1_3repE0EEENS1_30default_config_static_selectorELNS0_4arch9wavefront6targetE1EEEvT1_
; %bb.0:
	.section	.rodata,"a",@progbits
	.p2align	6, 0x0
	.amdhsa_kernel _ZN7rocprim17ROCPRIM_400000_NS6detail17trampoline_kernelINS0_14default_configENS1_25partition_config_selectorILNS1_17partition_subalgoE9EllbEEZZNS1_14partition_implILS5_9ELb0ES3_jPlS8_PNS0_10empty_typeENS0_5tupleIJS8_S9_EEENSB_IJS8_SA_EEENS0_18inequality_wrapperIZN2at6native12_GLOBAL__N_124unique_dim_cuda_templateIaEESt5tupleIJNSF_6TensorESK_SK_EERKSK_lbbbEUlllE0_EEPmJS9_EEE10hipError_tPvRmT3_T4_T5_T6_T7_T9_mT8_P12ihipStream_tbDpT10_ENKUlT_T0_E_clISt17integral_constantIbLb1EES1A_EEDaS15_S16_EUlS15_E_NS1_11comp_targetILNS1_3genE3ELNS1_11target_archE908ELNS1_3gpuE7ELNS1_3repE0EEENS1_30default_config_static_selectorELNS0_4arch9wavefront6targetE1EEEvT1_
		.amdhsa_group_segment_fixed_size 0
		.amdhsa_private_segment_fixed_size 0
		.amdhsa_kernarg_size 136
		.amdhsa_user_sgpr_count 6
		.amdhsa_user_sgpr_private_segment_buffer 1
		.amdhsa_user_sgpr_dispatch_ptr 0
		.amdhsa_user_sgpr_queue_ptr 0
		.amdhsa_user_sgpr_kernarg_segment_ptr 1
		.amdhsa_user_sgpr_dispatch_id 0
		.amdhsa_user_sgpr_flat_scratch_init 0
		.amdhsa_user_sgpr_kernarg_preload_length 0
		.amdhsa_user_sgpr_kernarg_preload_offset 0
		.amdhsa_user_sgpr_private_segment_size 0
		.amdhsa_uses_dynamic_stack 0
		.amdhsa_system_sgpr_private_segment_wavefront_offset 0
		.amdhsa_system_sgpr_workgroup_id_x 1
		.amdhsa_system_sgpr_workgroup_id_y 0
		.amdhsa_system_sgpr_workgroup_id_z 0
		.amdhsa_system_sgpr_workgroup_info 0
		.amdhsa_system_vgpr_workitem_id 0
		.amdhsa_next_free_vgpr 1
		.amdhsa_next_free_sgpr 0
		.amdhsa_accum_offset 4
		.amdhsa_reserve_vcc 0
		.amdhsa_reserve_flat_scratch 0
		.amdhsa_float_round_mode_32 0
		.amdhsa_float_round_mode_16_64 0
		.amdhsa_float_denorm_mode_32 3
		.amdhsa_float_denorm_mode_16_64 3
		.amdhsa_dx10_clamp 1
		.amdhsa_ieee_mode 1
		.amdhsa_fp16_overflow 0
		.amdhsa_tg_split 0
		.amdhsa_exception_fp_ieee_invalid_op 0
		.amdhsa_exception_fp_denorm_src 0
		.amdhsa_exception_fp_ieee_div_zero 0
		.amdhsa_exception_fp_ieee_overflow 0
		.amdhsa_exception_fp_ieee_underflow 0
		.amdhsa_exception_fp_ieee_inexact 0
		.amdhsa_exception_int_div_zero 0
	.end_amdhsa_kernel
	.section	.text._ZN7rocprim17ROCPRIM_400000_NS6detail17trampoline_kernelINS0_14default_configENS1_25partition_config_selectorILNS1_17partition_subalgoE9EllbEEZZNS1_14partition_implILS5_9ELb0ES3_jPlS8_PNS0_10empty_typeENS0_5tupleIJS8_S9_EEENSB_IJS8_SA_EEENS0_18inequality_wrapperIZN2at6native12_GLOBAL__N_124unique_dim_cuda_templateIaEESt5tupleIJNSF_6TensorESK_SK_EERKSK_lbbbEUlllE0_EEPmJS9_EEE10hipError_tPvRmT3_T4_T5_T6_T7_T9_mT8_P12ihipStream_tbDpT10_ENKUlT_T0_E_clISt17integral_constantIbLb1EES1A_EEDaS15_S16_EUlS15_E_NS1_11comp_targetILNS1_3genE3ELNS1_11target_archE908ELNS1_3gpuE7ELNS1_3repE0EEENS1_30default_config_static_selectorELNS0_4arch9wavefront6targetE1EEEvT1_,"axG",@progbits,_ZN7rocprim17ROCPRIM_400000_NS6detail17trampoline_kernelINS0_14default_configENS1_25partition_config_selectorILNS1_17partition_subalgoE9EllbEEZZNS1_14partition_implILS5_9ELb0ES3_jPlS8_PNS0_10empty_typeENS0_5tupleIJS8_S9_EEENSB_IJS8_SA_EEENS0_18inequality_wrapperIZN2at6native12_GLOBAL__N_124unique_dim_cuda_templateIaEESt5tupleIJNSF_6TensorESK_SK_EERKSK_lbbbEUlllE0_EEPmJS9_EEE10hipError_tPvRmT3_T4_T5_T6_T7_T9_mT8_P12ihipStream_tbDpT10_ENKUlT_T0_E_clISt17integral_constantIbLb1EES1A_EEDaS15_S16_EUlS15_E_NS1_11comp_targetILNS1_3genE3ELNS1_11target_archE908ELNS1_3gpuE7ELNS1_3repE0EEENS1_30default_config_static_selectorELNS0_4arch9wavefront6targetE1EEEvT1_,comdat
.Lfunc_end362:
	.size	_ZN7rocprim17ROCPRIM_400000_NS6detail17trampoline_kernelINS0_14default_configENS1_25partition_config_selectorILNS1_17partition_subalgoE9EllbEEZZNS1_14partition_implILS5_9ELb0ES3_jPlS8_PNS0_10empty_typeENS0_5tupleIJS8_S9_EEENSB_IJS8_SA_EEENS0_18inequality_wrapperIZN2at6native12_GLOBAL__N_124unique_dim_cuda_templateIaEESt5tupleIJNSF_6TensorESK_SK_EERKSK_lbbbEUlllE0_EEPmJS9_EEE10hipError_tPvRmT3_T4_T5_T6_T7_T9_mT8_P12ihipStream_tbDpT10_ENKUlT_T0_E_clISt17integral_constantIbLb1EES1A_EEDaS15_S16_EUlS15_E_NS1_11comp_targetILNS1_3genE3ELNS1_11target_archE908ELNS1_3gpuE7ELNS1_3repE0EEENS1_30default_config_static_selectorELNS0_4arch9wavefront6targetE1EEEvT1_, .Lfunc_end362-_ZN7rocprim17ROCPRIM_400000_NS6detail17trampoline_kernelINS0_14default_configENS1_25partition_config_selectorILNS1_17partition_subalgoE9EllbEEZZNS1_14partition_implILS5_9ELb0ES3_jPlS8_PNS0_10empty_typeENS0_5tupleIJS8_S9_EEENSB_IJS8_SA_EEENS0_18inequality_wrapperIZN2at6native12_GLOBAL__N_124unique_dim_cuda_templateIaEESt5tupleIJNSF_6TensorESK_SK_EERKSK_lbbbEUlllE0_EEPmJS9_EEE10hipError_tPvRmT3_T4_T5_T6_T7_T9_mT8_P12ihipStream_tbDpT10_ENKUlT_T0_E_clISt17integral_constantIbLb1EES1A_EEDaS15_S16_EUlS15_E_NS1_11comp_targetILNS1_3genE3ELNS1_11target_archE908ELNS1_3gpuE7ELNS1_3repE0EEENS1_30default_config_static_selectorELNS0_4arch9wavefront6targetE1EEEvT1_
                                        ; -- End function
	.section	.AMDGPU.csdata,"",@progbits
; Kernel info:
; codeLenInByte = 0
; NumSgprs: 4
; NumVgprs: 0
; NumAgprs: 0
; TotalNumVgprs: 0
; ScratchSize: 0
; MemoryBound: 0
; FloatMode: 240
; IeeeMode: 1
; LDSByteSize: 0 bytes/workgroup (compile time only)
; SGPRBlocks: 0
; VGPRBlocks: 0
; NumSGPRsForWavesPerEU: 4
; NumVGPRsForWavesPerEU: 1
; AccumOffset: 4
; Occupancy: 8
; WaveLimiterHint : 0
; COMPUTE_PGM_RSRC2:SCRATCH_EN: 0
; COMPUTE_PGM_RSRC2:USER_SGPR: 6
; COMPUTE_PGM_RSRC2:TRAP_HANDLER: 0
; COMPUTE_PGM_RSRC2:TGID_X_EN: 1
; COMPUTE_PGM_RSRC2:TGID_Y_EN: 0
; COMPUTE_PGM_RSRC2:TGID_Z_EN: 0
; COMPUTE_PGM_RSRC2:TIDIG_COMP_CNT: 0
; COMPUTE_PGM_RSRC3_GFX90A:ACCUM_OFFSET: 0
; COMPUTE_PGM_RSRC3_GFX90A:TG_SPLIT: 0
	.section	.text._ZN7rocprim17ROCPRIM_400000_NS6detail17trampoline_kernelINS0_14default_configENS1_25partition_config_selectorILNS1_17partition_subalgoE9EllbEEZZNS1_14partition_implILS5_9ELb0ES3_jPlS8_PNS0_10empty_typeENS0_5tupleIJS8_S9_EEENSB_IJS8_SA_EEENS0_18inequality_wrapperIZN2at6native12_GLOBAL__N_124unique_dim_cuda_templateIaEESt5tupleIJNSF_6TensorESK_SK_EERKSK_lbbbEUlllE0_EEPmJS9_EEE10hipError_tPvRmT3_T4_T5_T6_T7_T9_mT8_P12ihipStream_tbDpT10_ENKUlT_T0_E_clISt17integral_constantIbLb1EES1A_EEDaS15_S16_EUlS15_E_NS1_11comp_targetILNS1_3genE2ELNS1_11target_archE906ELNS1_3gpuE6ELNS1_3repE0EEENS1_30default_config_static_selectorELNS0_4arch9wavefront6targetE1EEEvT1_,"axG",@progbits,_ZN7rocprim17ROCPRIM_400000_NS6detail17trampoline_kernelINS0_14default_configENS1_25partition_config_selectorILNS1_17partition_subalgoE9EllbEEZZNS1_14partition_implILS5_9ELb0ES3_jPlS8_PNS0_10empty_typeENS0_5tupleIJS8_S9_EEENSB_IJS8_SA_EEENS0_18inequality_wrapperIZN2at6native12_GLOBAL__N_124unique_dim_cuda_templateIaEESt5tupleIJNSF_6TensorESK_SK_EERKSK_lbbbEUlllE0_EEPmJS9_EEE10hipError_tPvRmT3_T4_T5_T6_T7_T9_mT8_P12ihipStream_tbDpT10_ENKUlT_T0_E_clISt17integral_constantIbLb1EES1A_EEDaS15_S16_EUlS15_E_NS1_11comp_targetILNS1_3genE2ELNS1_11target_archE906ELNS1_3gpuE6ELNS1_3repE0EEENS1_30default_config_static_selectorELNS0_4arch9wavefront6targetE1EEEvT1_,comdat
	.globl	_ZN7rocprim17ROCPRIM_400000_NS6detail17trampoline_kernelINS0_14default_configENS1_25partition_config_selectorILNS1_17partition_subalgoE9EllbEEZZNS1_14partition_implILS5_9ELb0ES3_jPlS8_PNS0_10empty_typeENS0_5tupleIJS8_S9_EEENSB_IJS8_SA_EEENS0_18inequality_wrapperIZN2at6native12_GLOBAL__N_124unique_dim_cuda_templateIaEESt5tupleIJNSF_6TensorESK_SK_EERKSK_lbbbEUlllE0_EEPmJS9_EEE10hipError_tPvRmT3_T4_T5_T6_T7_T9_mT8_P12ihipStream_tbDpT10_ENKUlT_T0_E_clISt17integral_constantIbLb1EES1A_EEDaS15_S16_EUlS15_E_NS1_11comp_targetILNS1_3genE2ELNS1_11target_archE906ELNS1_3gpuE6ELNS1_3repE0EEENS1_30default_config_static_selectorELNS0_4arch9wavefront6targetE1EEEvT1_ ; -- Begin function _ZN7rocprim17ROCPRIM_400000_NS6detail17trampoline_kernelINS0_14default_configENS1_25partition_config_selectorILNS1_17partition_subalgoE9EllbEEZZNS1_14partition_implILS5_9ELb0ES3_jPlS8_PNS0_10empty_typeENS0_5tupleIJS8_S9_EEENSB_IJS8_SA_EEENS0_18inequality_wrapperIZN2at6native12_GLOBAL__N_124unique_dim_cuda_templateIaEESt5tupleIJNSF_6TensorESK_SK_EERKSK_lbbbEUlllE0_EEPmJS9_EEE10hipError_tPvRmT3_T4_T5_T6_T7_T9_mT8_P12ihipStream_tbDpT10_ENKUlT_T0_E_clISt17integral_constantIbLb1EES1A_EEDaS15_S16_EUlS15_E_NS1_11comp_targetILNS1_3genE2ELNS1_11target_archE906ELNS1_3gpuE6ELNS1_3repE0EEENS1_30default_config_static_selectorELNS0_4arch9wavefront6targetE1EEEvT1_
	.p2align	8
	.type	_ZN7rocprim17ROCPRIM_400000_NS6detail17trampoline_kernelINS0_14default_configENS1_25partition_config_selectorILNS1_17partition_subalgoE9EllbEEZZNS1_14partition_implILS5_9ELb0ES3_jPlS8_PNS0_10empty_typeENS0_5tupleIJS8_S9_EEENSB_IJS8_SA_EEENS0_18inequality_wrapperIZN2at6native12_GLOBAL__N_124unique_dim_cuda_templateIaEESt5tupleIJNSF_6TensorESK_SK_EERKSK_lbbbEUlllE0_EEPmJS9_EEE10hipError_tPvRmT3_T4_T5_T6_T7_T9_mT8_P12ihipStream_tbDpT10_ENKUlT_T0_E_clISt17integral_constantIbLb1EES1A_EEDaS15_S16_EUlS15_E_NS1_11comp_targetILNS1_3genE2ELNS1_11target_archE906ELNS1_3gpuE6ELNS1_3repE0EEENS1_30default_config_static_selectorELNS0_4arch9wavefront6targetE1EEEvT1_,@function
_ZN7rocprim17ROCPRIM_400000_NS6detail17trampoline_kernelINS0_14default_configENS1_25partition_config_selectorILNS1_17partition_subalgoE9EllbEEZZNS1_14partition_implILS5_9ELb0ES3_jPlS8_PNS0_10empty_typeENS0_5tupleIJS8_S9_EEENSB_IJS8_SA_EEENS0_18inequality_wrapperIZN2at6native12_GLOBAL__N_124unique_dim_cuda_templateIaEESt5tupleIJNSF_6TensorESK_SK_EERKSK_lbbbEUlllE0_EEPmJS9_EEE10hipError_tPvRmT3_T4_T5_T6_T7_T9_mT8_P12ihipStream_tbDpT10_ENKUlT_T0_E_clISt17integral_constantIbLb1EES1A_EEDaS15_S16_EUlS15_E_NS1_11comp_targetILNS1_3genE2ELNS1_11target_archE906ELNS1_3gpuE6ELNS1_3repE0EEENS1_30default_config_static_selectorELNS0_4arch9wavefront6targetE1EEEvT1_: ; @_ZN7rocprim17ROCPRIM_400000_NS6detail17trampoline_kernelINS0_14default_configENS1_25partition_config_selectorILNS1_17partition_subalgoE9EllbEEZZNS1_14partition_implILS5_9ELb0ES3_jPlS8_PNS0_10empty_typeENS0_5tupleIJS8_S9_EEENSB_IJS8_SA_EEENS0_18inequality_wrapperIZN2at6native12_GLOBAL__N_124unique_dim_cuda_templateIaEESt5tupleIJNSF_6TensorESK_SK_EERKSK_lbbbEUlllE0_EEPmJS9_EEE10hipError_tPvRmT3_T4_T5_T6_T7_T9_mT8_P12ihipStream_tbDpT10_ENKUlT_T0_E_clISt17integral_constantIbLb1EES1A_EEDaS15_S16_EUlS15_E_NS1_11comp_targetILNS1_3genE2ELNS1_11target_archE906ELNS1_3gpuE6ELNS1_3repE0EEENS1_30default_config_static_selectorELNS0_4arch9wavefront6targetE1EEEvT1_
; %bb.0:
	.section	.rodata,"a",@progbits
	.p2align	6, 0x0
	.amdhsa_kernel _ZN7rocprim17ROCPRIM_400000_NS6detail17trampoline_kernelINS0_14default_configENS1_25partition_config_selectorILNS1_17partition_subalgoE9EllbEEZZNS1_14partition_implILS5_9ELb0ES3_jPlS8_PNS0_10empty_typeENS0_5tupleIJS8_S9_EEENSB_IJS8_SA_EEENS0_18inequality_wrapperIZN2at6native12_GLOBAL__N_124unique_dim_cuda_templateIaEESt5tupleIJNSF_6TensorESK_SK_EERKSK_lbbbEUlllE0_EEPmJS9_EEE10hipError_tPvRmT3_T4_T5_T6_T7_T9_mT8_P12ihipStream_tbDpT10_ENKUlT_T0_E_clISt17integral_constantIbLb1EES1A_EEDaS15_S16_EUlS15_E_NS1_11comp_targetILNS1_3genE2ELNS1_11target_archE906ELNS1_3gpuE6ELNS1_3repE0EEENS1_30default_config_static_selectorELNS0_4arch9wavefront6targetE1EEEvT1_
		.amdhsa_group_segment_fixed_size 0
		.amdhsa_private_segment_fixed_size 0
		.amdhsa_kernarg_size 136
		.amdhsa_user_sgpr_count 6
		.amdhsa_user_sgpr_private_segment_buffer 1
		.amdhsa_user_sgpr_dispatch_ptr 0
		.amdhsa_user_sgpr_queue_ptr 0
		.amdhsa_user_sgpr_kernarg_segment_ptr 1
		.amdhsa_user_sgpr_dispatch_id 0
		.amdhsa_user_sgpr_flat_scratch_init 0
		.amdhsa_user_sgpr_kernarg_preload_length 0
		.amdhsa_user_sgpr_kernarg_preload_offset 0
		.amdhsa_user_sgpr_private_segment_size 0
		.amdhsa_uses_dynamic_stack 0
		.amdhsa_system_sgpr_private_segment_wavefront_offset 0
		.amdhsa_system_sgpr_workgroup_id_x 1
		.amdhsa_system_sgpr_workgroup_id_y 0
		.amdhsa_system_sgpr_workgroup_id_z 0
		.amdhsa_system_sgpr_workgroup_info 0
		.amdhsa_system_vgpr_workitem_id 0
		.amdhsa_next_free_vgpr 1
		.amdhsa_next_free_sgpr 0
		.amdhsa_accum_offset 4
		.amdhsa_reserve_vcc 0
		.amdhsa_reserve_flat_scratch 0
		.amdhsa_float_round_mode_32 0
		.amdhsa_float_round_mode_16_64 0
		.amdhsa_float_denorm_mode_32 3
		.amdhsa_float_denorm_mode_16_64 3
		.amdhsa_dx10_clamp 1
		.amdhsa_ieee_mode 1
		.amdhsa_fp16_overflow 0
		.amdhsa_tg_split 0
		.amdhsa_exception_fp_ieee_invalid_op 0
		.amdhsa_exception_fp_denorm_src 0
		.amdhsa_exception_fp_ieee_div_zero 0
		.amdhsa_exception_fp_ieee_overflow 0
		.amdhsa_exception_fp_ieee_underflow 0
		.amdhsa_exception_fp_ieee_inexact 0
		.amdhsa_exception_int_div_zero 0
	.end_amdhsa_kernel
	.section	.text._ZN7rocprim17ROCPRIM_400000_NS6detail17trampoline_kernelINS0_14default_configENS1_25partition_config_selectorILNS1_17partition_subalgoE9EllbEEZZNS1_14partition_implILS5_9ELb0ES3_jPlS8_PNS0_10empty_typeENS0_5tupleIJS8_S9_EEENSB_IJS8_SA_EEENS0_18inequality_wrapperIZN2at6native12_GLOBAL__N_124unique_dim_cuda_templateIaEESt5tupleIJNSF_6TensorESK_SK_EERKSK_lbbbEUlllE0_EEPmJS9_EEE10hipError_tPvRmT3_T4_T5_T6_T7_T9_mT8_P12ihipStream_tbDpT10_ENKUlT_T0_E_clISt17integral_constantIbLb1EES1A_EEDaS15_S16_EUlS15_E_NS1_11comp_targetILNS1_3genE2ELNS1_11target_archE906ELNS1_3gpuE6ELNS1_3repE0EEENS1_30default_config_static_selectorELNS0_4arch9wavefront6targetE1EEEvT1_,"axG",@progbits,_ZN7rocprim17ROCPRIM_400000_NS6detail17trampoline_kernelINS0_14default_configENS1_25partition_config_selectorILNS1_17partition_subalgoE9EllbEEZZNS1_14partition_implILS5_9ELb0ES3_jPlS8_PNS0_10empty_typeENS0_5tupleIJS8_S9_EEENSB_IJS8_SA_EEENS0_18inequality_wrapperIZN2at6native12_GLOBAL__N_124unique_dim_cuda_templateIaEESt5tupleIJNSF_6TensorESK_SK_EERKSK_lbbbEUlllE0_EEPmJS9_EEE10hipError_tPvRmT3_T4_T5_T6_T7_T9_mT8_P12ihipStream_tbDpT10_ENKUlT_T0_E_clISt17integral_constantIbLb1EES1A_EEDaS15_S16_EUlS15_E_NS1_11comp_targetILNS1_3genE2ELNS1_11target_archE906ELNS1_3gpuE6ELNS1_3repE0EEENS1_30default_config_static_selectorELNS0_4arch9wavefront6targetE1EEEvT1_,comdat
.Lfunc_end363:
	.size	_ZN7rocprim17ROCPRIM_400000_NS6detail17trampoline_kernelINS0_14default_configENS1_25partition_config_selectorILNS1_17partition_subalgoE9EllbEEZZNS1_14partition_implILS5_9ELb0ES3_jPlS8_PNS0_10empty_typeENS0_5tupleIJS8_S9_EEENSB_IJS8_SA_EEENS0_18inequality_wrapperIZN2at6native12_GLOBAL__N_124unique_dim_cuda_templateIaEESt5tupleIJNSF_6TensorESK_SK_EERKSK_lbbbEUlllE0_EEPmJS9_EEE10hipError_tPvRmT3_T4_T5_T6_T7_T9_mT8_P12ihipStream_tbDpT10_ENKUlT_T0_E_clISt17integral_constantIbLb1EES1A_EEDaS15_S16_EUlS15_E_NS1_11comp_targetILNS1_3genE2ELNS1_11target_archE906ELNS1_3gpuE6ELNS1_3repE0EEENS1_30default_config_static_selectorELNS0_4arch9wavefront6targetE1EEEvT1_, .Lfunc_end363-_ZN7rocprim17ROCPRIM_400000_NS6detail17trampoline_kernelINS0_14default_configENS1_25partition_config_selectorILNS1_17partition_subalgoE9EllbEEZZNS1_14partition_implILS5_9ELb0ES3_jPlS8_PNS0_10empty_typeENS0_5tupleIJS8_S9_EEENSB_IJS8_SA_EEENS0_18inequality_wrapperIZN2at6native12_GLOBAL__N_124unique_dim_cuda_templateIaEESt5tupleIJNSF_6TensorESK_SK_EERKSK_lbbbEUlllE0_EEPmJS9_EEE10hipError_tPvRmT3_T4_T5_T6_T7_T9_mT8_P12ihipStream_tbDpT10_ENKUlT_T0_E_clISt17integral_constantIbLb1EES1A_EEDaS15_S16_EUlS15_E_NS1_11comp_targetILNS1_3genE2ELNS1_11target_archE906ELNS1_3gpuE6ELNS1_3repE0EEENS1_30default_config_static_selectorELNS0_4arch9wavefront6targetE1EEEvT1_
                                        ; -- End function
	.section	.AMDGPU.csdata,"",@progbits
; Kernel info:
; codeLenInByte = 0
; NumSgprs: 4
; NumVgprs: 0
; NumAgprs: 0
; TotalNumVgprs: 0
; ScratchSize: 0
; MemoryBound: 0
; FloatMode: 240
; IeeeMode: 1
; LDSByteSize: 0 bytes/workgroup (compile time only)
; SGPRBlocks: 0
; VGPRBlocks: 0
; NumSGPRsForWavesPerEU: 4
; NumVGPRsForWavesPerEU: 1
; AccumOffset: 4
; Occupancy: 8
; WaveLimiterHint : 0
; COMPUTE_PGM_RSRC2:SCRATCH_EN: 0
; COMPUTE_PGM_RSRC2:USER_SGPR: 6
; COMPUTE_PGM_RSRC2:TRAP_HANDLER: 0
; COMPUTE_PGM_RSRC2:TGID_X_EN: 1
; COMPUTE_PGM_RSRC2:TGID_Y_EN: 0
; COMPUTE_PGM_RSRC2:TGID_Z_EN: 0
; COMPUTE_PGM_RSRC2:TIDIG_COMP_CNT: 0
; COMPUTE_PGM_RSRC3_GFX90A:ACCUM_OFFSET: 0
; COMPUTE_PGM_RSRC3_GFX90A:TG_SPLIT: 0
	.section	.text._ZN7rocprim17ROCPRIM_400000_NS6detail17trampoline_kernelINS0_14default_configENS1_25partition_config_selectorILNS1_17partition_subalgoE9EllbEEZZNS1_14partition_implILS5_9ELb0ES3_jPlS8_PNS0_10empty_typeENS0_5tupleIJS8_S9_EEENSB_IJS8_SA_EEENS0_18inequality_wrapperIZN2at6native12_GLOBAL__N_124unique_dim_cuda_templateIaEESt5tupleIJNSF_6TensorESK_SK_EERKSK_lbbbEUlllE0_EEPmJS9_EEE10hipError_tPvRmT3_T4_T5_T6_T7_T9_mT8_P12ihipStream_tbDpT10_ENKUlT_T0_E_clISt17integral_constantIbLb1EES1A_EEDaS15_S16_EUlS15_E_NS1_11comp_targetILNS1_3genE10ELNS1_11target_archE1200ELNS1_3gpuE4ELNS1_3repE0EEENS1_30default_config_static_selectorELNS0_4arch9wavefront6targetE1EEEvT1_,"axG",@progbits,_ZN7rocprim17ROCPRIM_400000_NS6detail17trampoline_kernelINS0_14default_configENS1_25partition_config_selectorILNS1_17partition_subalgoE9EllbEEZZNS1_14partition_implILS5_9ELb0ES3_jPlS8_PNS0_10empty_typeENS0_5tupleIJS8_S9_EEENSB_IJS8_SA_EEENS0_18inequality_wrapperIZN2at6native12_GLOBAL__N_124unique_dim_cuda_templateIaEESt5tupleIJNSF_6TensorESK_SK_EERKSK_lbbbEUlllE0_EEPmJS9_EEE10hipError_tPvRmT3_T4_T5_T6_T7_T9_mT8_P12ihipStream_tbDpT10_ENKUlT_T0_E_clISt17integral_constantIbLb1EES1A_EEDaS15_S16_EUlS15_E_NS1_11comp_targetILNS1_3genE10ELNS1_11target_archE1200ELNS1_3gpuE4ELNS1_3repE0EEENS1_30default_config_static_selectorELNS0_4arch9wavefront6targetE1EEEvT1_,comdat
	.globl	_ZN7rocprim17ROCPRIM_400000_NS6detail17trampoline_kernelINS0_14default_configENS1_25partition_config_selectorILNS1_17partition_subalgoE9EllbEEZZNS1_14partition_implILS5_9ELb0ES3_jPlS8_PNS0_10empty_typeENS0_5tupleIJS8_S9_EEENSB_IJS8_SA_EEENS0_18inequality_wrapperIZN2at6native12_GLOBAL__N_124unique_dim_cuda_templateIaEESt5tupleIJNSF_6TensorESK_SK_EERKSK_lbbbEUlllE0_EEPmJS9_EEE10hipError_tPvRmT3_T4_T5_T6_T7_T9_mT8_P12ihipStream_tbDpT10_ENKUlT_T0_E_clISt17integral_constantIbLb1EES1A_EEDaS15_S16_EUlS15_E_NS1_11comp_targetILNS1_3genE10ELNS1_11target_archE1200ELNS1_3gpuE4ELNS1_3repE0EEENS1_30default_config_static_selectorELNS0_4arch9wavefront6targetE1EEEvT1_ ; -- Begin function _ZN7rocprim17ROCPRIM_400000_NS6detail17trampoline_kernelINS0_14default_configENS1_25partition_config_selectorILNS1_17partition_subalgoE9EllbEEZZNS1_14partition_implILS5_9ELb0ES3_jPlS8_PNS0_10empty_typeENS0_5tupleIJS8_S9_EEENSB_IJS8_SA_EEENS0_18inequality_wrapperIZN2at6native12_GLOBAL__N_124unique_dim_cuda_templateIaEESt5tupleIJNSF_6TensorESK_SK_EERKSK_lbbbEUlllE0_EEPmJS9_EEE10hipError_tPvRmT3_T4_T5_T6_T7_T9_mT8_P12ihipStream_tbDpT10_ENKUlT_T0_E_clISt17integral_constantIbLb1EES1A_EEDaS15_S16_EUlS15_E_NS1_11comp_targetILNS1_3genE10ELNS1_11target_archE1200ELNS1_3gpuE4ELNS1_3repE0EEENS1_30default_config_static_selectorELNS0_4arch9wavefront6targetE1EEEvT1_
	.p2align	8
	.type	_ZN7rocprim17ROCPRIM_400000_NS6detail17trampoline_kernelINS0_14default_configENS1_25partition_config_selectorILNS1_17partition_subalgoE9EllbEEZZNS1_14partition_implILS5_9ELb0ES3_jPlS8_PNS0_10empty_typeENS0_5tupleIJS8_S9_EEENSB_IJS8_SA_EEENS0_18inequality_wrapperIZN2at6native12_GLOBAL__N_124unique_dim_cuda_templateIaEESt5tupleIJNSF_6TensorESK_SK_EERKSK_lbbbEUlllE0_EEPmJS9_EEE10hipError_tPvRmT3_T4_T5_T6_T7_T9_mT8_P12ihipStream_tbDpT10_ENKUlT_T0_E_clISt17integral_constantIbLb1EES1A_EEDaS15_S16_EUlS15_E_NS1_11comp_targetILNS1_3genE10ELNS1_11target_archE1200ELNS1_3gpuE4ELNS1_3repE0EEENS1_30default_config_static_selectorELNS0_4arch9wavefront6targetE1EEEvT1_,@function
_ZN7rocprim17ROCPRIM_400000_NS6detail17trampoline_kernelINS0_14default_configENS1_25partition_config_selectorILNS1_17partition_subalgoE9EllbEEZZNS1_14partition_implILS5_9ELb0ES3_jPlS8_PNS0_10empty_typeENS0_5tupleIJS8_S9_EEENSB_IJS8_SA_EEENS0_18inequality_wrapperIZN2at6native12_GLOBAL__N_124unique_dim_cuda_templateIaEESt5tupleIJNSF_6TensorESK_SK_EERKSK_lbbbEUlllE0_EEPmJS9_EEE10hipError_tPvRmT3_T4_T5_T6_T7_T9_mT8_P12ihipStream_tbDpT10_ENKUlT_T0_E_clISt17integral_constantIbLb1EES1A_EEDaS15_S16_EUlS15_E_NS1_11comp_targetILNS1_3genE10ELNS1_11target_archE1200ELNS1_3gpuE4ELNS1_3repE0EEENS1_30default_config_static_selectorELNS0_4arch9wavefront6targetE1EEEvT1_: ; @_ZN7rocprim17ROCPRIM_400000_NS6detail17trampoline_kernelINS0_14default_configENS1_25partition_config_selectorILNS1_17partition_subalgoE9EllbEEZZNS1_14partition_implILS5_9ELb0ES3_jPlS8_PNS0_10empty_typeENS0_5tupleIJS8_S9_EEENSB_IJS8_SA_EEENS0_18inequality_wrapperIZN2at6native12_GLOBAL__N_124unique_dim_cuda_templateIaEESt5tupleIJNSF_6TensorESK_SK_EERKSK_lbbbEUlllE0_EEPmJS9_EEE10hipError_tPvRmT3_T4_T5_T6_T7_T9_mT8_P12ihipStream_tbDpT10_ENKUlT_T0_E_clISt17integral_constantIbLb1EES1A_EEDaS15_S16_EUlS15_E_NS1_11comp_targetILNS1_3genE10ELNS1_11target_archE1200ELNS1_3gpuE4ELNS1_3repE0EEENS1_30default_config_static_selectorELNS0_4arch9wavefront6targetE1EEEvT1_
; %bb.0:
	.section	.rodata,"a",@progbits
	.p2align	6, 0x0
	.amdhsa_kernel _ZN7rocprim17ROCPRIM_400000_NS6detail17trampoline_kernelINS0_14default_configENS1_25partition_config_selectorILNS1_17partition_subalgoE9EllbEEZZNS1_14partition_implILS5_9ELb0ES3_jPlS8_PNS0_10empty_typeENS0_5tupleIJS8_S9_EEENSB_IJS8_SA_EEENS0_18inequality_wrapperIZN2at6native12_GLOBAL__N_124unique_dim_cuda_templateIaEESt5tupleIJNSF_6TensorESK_SK_EERKSK_lbbbEUlllE0_EEPmJS9_EEE10hipError_tPvRmT3_T4_T5_T6_T7_T9_mT8_P12ihipStream_tbDpT10_ENKUlT_T0_E_clISt17integral_constantIbLb1EES1A_EEDaS15_S16_EUlS15_E_NS1_11comp_targetILNS1_3genE10ELNS1_11target_archE1200ELNS1_3gpuE4ELNS1_3repE0EEENS1_30default_config_static_selectorELNS0_4arch9wavefront6targetE1EEEvT1_
		.amdhsa_group_segment_fixed_size 0
		.amdhsa_private_segment_fixed_size 0
		.amdhsa_kernarg_size 136
		.amdhsa_user_sgpr_count 6
		.amdhsa_user_sgpr_private_segment_buffer 1
		.amdhsa_user_sgpr_dispatch_ptr 0
		.amdhsa_user_sgpr_queue_ptr 0
		.amdhsa_user_sgpr_kernarg_segment_ptr 1
		.amdhsa_user_sgpr_dispatch_id 0
		.amdhsa_user_sgpr_flat_scratch_init 0
		.amdhsa_user_sgpr_kernarg_preload_length 0
		.amdhsa_user_sgpr_kernarg_preload_offset 0
		.amdhsa_user_sgpr_private_segment_size 0
		.amdhsa_uses_dynamic_stack 0
		.amdhsa_system_sgpr_private_segment_wavefront_offset 0
		.amdhsa_system_sgpr_workgroup_id_x 1
		.amdhsa_system_sgpr_workgroup_id_y 0
		.amdhsa_system_sgpr_workgroup_id_z 0
		.amdhsa_system_sgpr_workgroup_info 0
		.amdhsa_system_vgpr_workitem_id 0
		.amdhsa_next_free_vgpr 1
		.amdhsa_next_free_sgpr 0
		.amdhsa_accum_offset 4
		.amdhsa_reserve_vcc 0
		.amdhsa_reserve_flat_scratch 0
		.amdhsa_float_round_mode_32 0
		.amdhsa_float_round_mode_16_64 0
		.amdhsa_float_denorm_mode_32 3
		.amdhsa_float_denorm_mode_16_64 3
		.amdhsa_dx10_clamp 1
		.amdhsa_ieee_mode 1
		.amdhsa_fp16_overflow 0
		.amdhsa_tg_split 0
		.amdhsa_exception_fp_ieee_invalid_op 0
		.amdhsa_exception_fp_denorm_src 0
		.amdhsa_exception_fp_ieee_div_zero 0
		.amdhsa_exception_fp_ieee_overflow 0
		.amdhsa_exception_fp_ieee_underflow 0
		.amdhsa_exception_fp_ieee_inexact 0
		.amdhsa_exception_int_div_zero 0
	.end_amdhsa_kernel
	.section	.text._ZN7rocprim17ROCPRIM_400000_NS6detail17trampoline_kernelINS0_14default_configENS1_25partition_config_selectorILNS1_17partition_subalgoE9EllbEEZZNS1_14partition_implILS5_9ELb0ES3_jPlS8_PNS0_10empty_typeENS0_5tupleIJS8_S9_EEENSB_IJS8_SA_EEENS0_18inequality_wrapperIZN2at6native12_GLOBAL__N_124unique_dim_cuda_templateIaEESt5tupleIJNSF_6TensorESK_SK_EERKSK_lbbbEUlllE0_EEPmJS9_EEE10hipError_tPvRmT3_T4_T5_T6_T7_T9_mT8_P12ihipStream_tbDpT10_ENKUlT_T0_E_clISt17integral_constantIbLb1EES1A_EEDaS15_S16_EUlS15_E_NS1_11comp_targetILNS1_3genE10ELNS1_11target_archE1200ELNS1_3gpuE4ELNS1_3repE0EEENS1_30default_config_static_selectorELNS0_4arch9wavefront6targetE1EEEvT1_,"axG",@progbits,_ZN7rocprim17ROCPRIM_400000_NS6detail17trampoline_kernelINS0_14default_configENS1_25partition_config_selectorILNS1_17partition_subalgoE9EllbEEZZNS1_14partition_implILS5_9ELb0ES3_jPlS8_PNS0_10empty_typeENS0_5tupleIJS8_S9_EEENSB_IJS8_SA_EEENS0_18inequality_wrapperIZN2at6native12_GLOBAL__N_124unique_dim_cuda_templateIaEESt5tupleIJNSF_6TensorESK_SK_EERKSK_lbbbEUlllE0_EEPmJS9_EEE10hipError_tPvRmT3_T4_T5_T6_T7_T9_mT8_P12ihipStream_tbDpT10_ENKUlT_T0_E_clISt17integral_constantIbLb1EES1A_EEDaS15_S16_EUlS15_E_NS1_11comp_targetILNS1_3genE10ELNS1_11target_archE1200ELNS1_3gpuE4ELNS1_3repE0EEENS1_30default_config_static_selectorELNS0_4arch9wavefront6targetE1EEEvT1_,comdat
.Lfunc_end364:
	.size	_ZN7rocprim17ROCPRIM_400000_NS6detail17trampoline_kernelINS0_14default_configENS1_25partition_config_selectorILNS1_17partition_subalgoE9EllbEEZZNS1_14partition_implILS5_9ELb0ES3_jPlS8_PNS0_10empty_typeENS0_5tupleIJS8_S9_EEENSB_IJS8_SA_EEENS0_18inequality_wrapperIZN2at6native12_GLOBAL__N_124unique_dim_cuda_templateIaEESt5tupleIJNSF_6TensorESK_SK_EERKSK_lbbbEUlllE0_EEPmJS9_EEE10hipError_tPvRmT3_T4_T5_T6_T7_T9_mT8_P12ihipStream_tbDpT10_ENKUlT_T0_E_clISt17integral_constantIbLb1EES1A_EEDaS15_S16_EUlS15_E_NS1_11comp_targetILNS1_3genE10ELNS1_11target_archE1200ELNS1_3gpuE4ELNS1_3repE0EEENS1_30default_config_static_selectorELNS0_4arch9wavefront6targetE1EEEvT1_, .Lfunc_end364-_ZN7rocprim17ROCPRIM_400000_NS6detail17trampoline_kernelINS0_14default_configENS1_25partition_config_selectorILNS1_17partition_subalgoE9EllbEEZZNS1_14partition_implILS5_9ELb0ES3_jPlS8_PNS0_10empty_typeENS0_5tupleIJS8_S9_EEENSB_IJS8_SA_EEENS0_18inequality_wrapperIZN2at6native12_GLOBAL__N_124unique_dim_cuda_templateIaEESt5tupleIJNSF_6TensorESK_SK_EERKSK_lbbbEUlllE0_EEPmJS9_EEE10hipError_tPvRmT3_T4_T5_T6_T7_T9_mT8_P12ihipStream_tbDpT10_ENKUlT_T0_E_clISt17integral_constantIbLb1EES1A_EEDaS15_S16_EUlS15_E_NS1_11comp_targetILNS1_3genE10ELNS1_11target_archE1200ELNS1_3gpuE4ELNS1_3repE0EEENS1_30default_config_static_selectorELNS0_4arch9wavefront6targetE1EEEvT1_
                                        ; -- End function
	.section	.AMDGPU.csdata,"",@progbits
; Kernel info:
; codeLenInByte = 0
; NumSgprs: 4
; NumVgprs: 0
; NumAgprs: 0
; TotalNumVgprs: 0
; ScratchSize: 0
; MemoryBound: 0
; FloatMode: 240
; IeeeMode: 1
; LDSByteSize: 0 bytes/workgroup (compile time only)
; SGPRBlocks: 0
; VGPRBlocks: 0
; NumSGPRsForWavesPerEU: 4
; NumVGPRsForWavesPerEU: 1
; AccumOffset: 4
; Occupancy: 8
; WaveLimiterHint : 0
; COMPUTE_PGM_RSRC2:SCRATCH_EN: 0
; COMPUTE_PGM_RSRC2:USER_SGPR: 6
; COMPUTE_PGM_RSRC2:TRAP_HANDLER: 0
; COMPUTE_PGM_RSRC2:TGID_X_EN: 1
; COMPUTE_PGM_RSRC2:TGID_Y_EN: 0
; COMPUTE_PGM_RSRC2:TGID_Z_EN: 0
; COMPUTE_PGM_RSRC2:TIDIG_COMP_CNT: 0
; COMPUTE_PGM_RSRC3_GFX90A:ACCUM_OFFSET: 0
; COMPUTE_PGM_RSRC3_GFX90A:TG_SPLIT: 0
	.section	.text._ZN7rocprim17ROCPRIM_400000_NS6detail17trampoline_kernelINS0_14default_configENS1_25partition_config_selectorILNS1_17partition_subalgoE9EllbEEZZNS1_14partition_implILS5_9ELb0ES3_jPlS8_PNS0_10empty_typeENS0_5tupleIJS8_S9_EEENSB_IJS8_SA_EEENS0_18inequality_wrapperIZN2at6native12_GLOBAL__N_124unique_dim_cuda_templateIaEESt5tupleIJNSF_6TensorESK_SK_EERKSK_lbbbEUlllE0_EEPmJS9_EEE10hipError_tPvRmT3_T4_T5_T6_T7_T9_mT8_P12ihipStream_tbDpT10_ENKUlT_T0_E_clISt17integral_constantIbLb1EES1A_EEDaS15_S16_EUlS15_E_NS1_11comp_targetILNS1_3genE9ELNS1_11target_archE1100ELNS1_3gpuE3ELNS1_3repE0EEENS1_30default_config_static_selectorELNS0_4arch9wavefront6targetE1EEEvT1_,"axG",@progbits,_ZN7rocprim17ROCPRIM_400000_NS6detail17trampoline_kernelINS0_14default_configENS1_25partition_config_selectorILNS1_17partition_subalgoE9EllbEEZZNS1_14partition_implILS5_9ELb0ES3_jPlS8_PNS0_10empty_typeENS0_5tupleIJS8_S9_EEENSB_IJS8_SA_EEENS0_18inequality_wrapperIZN2at6native12_GLOBAL__N_124unique_dim_cuda_templateIaEESt5tupleIJNSF_6TensorESK_SK_EERKSK_lbbbEUlllE0_EEPmJS9_EEE10hipError_tPvRmT3_T4_T5_T6_T7_T9_mT8_P12ihipStream_tbDpT10_ENKUlT_T0_E_clISt17integral_constantIbLb1EES1A_EEDaS15_S16_EUlS15_E_NS1_11comp_targetILNS1_3genE9ELNS1_11target_archE1100ELNS1_3gpuE3ELNS1_3repE0EEENS1_30default_config_static_selectorELNS0_4arch9wavefront6targetE1EEEvT1_,comdat
	.globl	_ZN7rocprim17ROCPRIM_400000_NS6detail17trampoline_kernelINS0_14default_configENS1_25partition_config_selectorILNS1_17partition_subalgoE9EllbEEZZNS1_14partition_implILS5_9ELb0ES3_jPlS8_PNS0_10empty_typeENS0_5tupleIJS8_S9_EEENSB_IJS8_SA_EEENS0_18inequality_wrapperIZN2at6native12_GLOBAL__N_124unique_dim_cuda_templateIaEESt5tupleIJNSF_6TensorESK_SK_EERKSK_lbbbEUlllE0_EEPmJS9_EEE10hipError_tPvRmT3_T4_T5_T6_T7_T9_mT8_P12ihipStream_tbDpT10_ENKUlT_T0_E_clISt17integral_constantIbLb1EES1A_EEDaS15_S16_EUlS15_E_NS1_11comp_targetILNS1_3genE9ELNS1_11target_archE1100ELNS1_3gpuE3ELNS1_3repE0EEENS1_30default_config_static_selectorELNS0_4arch9wavefront6targetE1EEEvT1_ ; -- Begin function _ZN7rocprim17ROCPRIM_400000_NS6detail17trampoline_kernelINS0_14default_configENS1_25partition_config_selectorILNS1_17partition_subalgoE9EllbEEZZNS1_14partition_implILS5_9ELb0ES3_jPlS8_PNS0_10empty_typeENS0_5tupleIJS8_S9_EEENSB_IJS8_SA_EEENS0_18inequality_wrapperIZN2at6native12_GLOBAL__N_124unique_dim_cuda_templateIaEESt5tupleIJNSF_6TensorESK_SK_EERKSK_lbbbEUlllE0_EEPmJS9_EEE10hipError_tPvRmT3_T4_T5_T6_T7_T9_mT8_P12ihipStream_tbDpT10_ENKUlT_T0_E_clISt17integral_constantIbLb1EES1A_EEDaS15_S16_EUlS15_E_NS1_11comp_targetILNS1_3genE9ELNS1_11target_archE1100ELNS1_3gpuE3ELNS1_3repE0EEENS1_30default_config_static_selectorELNS0_4arch9wavefront6targetE1EEEvT1_
	.p2align	8
	.type	_ZN7rocprim17ROCPRIM_400000_NS6detail17trampoline_kernelINS0_14default_configENS1_25partition_config_selectorILNS1_17partition_subalgoE9EllbEEZZNS1_14partition_implILS5_9ELb0ES3_jPlS8_PNS0_10empty_typeENS0_5tupleIJS8_S9_EEENSB_IJS8_SA_EEENS0_18inequality_wrapperIZN2at6native12_GLOBAL__N_124unique_dim_cuda_templateIaEESt5tupleIJNSF_6TensorESK_SK_EERKSK_lbbbEUlllE0_EEPmJS9_EEE10hipError_tPvRmT3_T4_T5_T6_T7_T9_mT8_P12ihipStream_tbDpT10_ENKUlT_T0_E_clISt17integral_constantIbLb1EES1A_EEDaS15_S16_EUlS15_E_NS1_11comp_targetILNS1_3genE9ELNS1_11target_archE1100ELNS1_3gpuE3ELNS1_3repE0EEENS1_30default_config_static_selectorELNS0_4arch9wavefront6targetE1EEEvT1_,@function
_ZN7rocprim17ROCPRIM_400000_NS6detail17trampoline_kernelINS0_14default_configENS1_25partition_config_selectorILNS1_17partition_subalgoE9EllbEEZZNS1_14partition_implILS5_9ELb0ES3_jPlS8_PNS0_10empty_typeENS0_5tupleIJS8_S9_EEENSB_IJS8_SA_EEENS0_18inequality_wrapperIZN2at6native12_GLOBAL__N_124unique_dim_cuda_templateIaEESt5tupleIJNSF_6TensorESK_SK_EERKSK_lbbbEUlllE0_EEPmJS9_EEE10hipError_tPvRmT3_T4_T5_T6_T7_T9_mT8_P12ihipStream_tbDpT10_ENKUlT_T0_E_clISt17integral_constantIbLb1EES1A_EEDaS15_S16_EUlS15_E_NS1_11comp_targetILNS1_3genE9ELNS1_11target_archE1100ELNS1_3gpuE3ELNS1_3repE0EEENS1_30default_config_static_selectorELNS0_4arch9wavefront6targetE1EEEvT1_: ; @_ZN7rocprim17ROCPRIM_400000_NS6detail17trampoline_kernelINS0_14default_configENS1_25partition_config_selectorILNS1_17partition_subalgoE9EllbEEZZNS1_14partition_implILS5_9ELb0ES3_jPlS8_PNS0_10empty_typeENS0_5tupleIJS8_S9_EEENSB_IJS8_SA_EEENS0_18inequality_wrapperIZN2at6native12_GLOBAL__N_124unique_dim_cuda_templateIaEESt5tupleIJNSF_6TensorESK_SK_EERKSK_lbbbEUlllE0_EEPmJS9_EEE10hipError_tPvRmT3_T4_T5_T6_T7_T9_mT8_P12ihipStream_tbDpT10_ENKUlT_T0_E_clISt17integral_constantIbLb1EES1A_EEDaS15_S16_EUlS15_E_NS1_11comp_targetILNS1_3genE9ELNS1_11target_archE1100ELNS1_3gpuE3ELNS1_3repE0EEENS1_30default_config_static_selectorELNS0_4arch9wavefront6targetE1EEEvT1_
; %bb.0:
	.section	.rodata,"a",@progbits
	.p2align	6, 0x0
	.amdhsa_kernel _ZN7rocprim17ROCPRIM_400000_NS6detail17trampoline_kernelINS0_14default_configENS1_25partition_config_selectorILNS1_17partition_subalgoE9EllbEEZZNS1_14partition_implILS5_9ELb0ES3_jPlS8_PNS0_10empty_typeENS0_5tupleIJS8_S9_EEENSB_IJS8_SA_EEENS0_18inequality_wrapperIZN2at6native12_GLOBAL__N_124unique_dim_cuda_templateIaEESt5tupleIJNSF_6TensorESK_SK_EERKSK_lbbbEUlllE0_EEPmJS9_EEE10hipError_tPvRmT3_T4_T5_T6_T7_T9_mT8_P12ihipStream_tbDpT10_ENKUlT_T0_E_clISt17integral_constantIbLb1EES1A_EEDaS15_S16_EUlS15_E_NS1_11comp_targetILNS1_3genE9ELNS1_11target_archE1100ELNS1_3gpuE3ELNS1_3repE0EEENS1_30default_config_static_selectorELNS0_4arch9wavefront6targetE1EEEvT1_
		.amdhsa_group_segment_fixed_size 0
		.amdhsa_private_segment_fixed_size 0
		.amdhsa_kernarg_size 136
		.amdhsa_user_sgpr_count 6
		.amdhsa_user_sgpr_private_segment_buffer 1
		.amdhsa_user_sgpr_dispatch_ptr 0
		.amdhsa_user_sgpr_queue_ptr 0
		.amdhsa_user_sgpr_kernarg_segment_ptr 1
		.amdhsa_user_sgpr_dispatch_id 0
		.amdhsa_user_sgpr_flat_scratch_init 0
		.amdhsa_user_sgpr_kernarg_preload_length 0
		.amdhsa_user_sgpr_kernarg_preload_offset 0
		.amdhsa_user_sgpr_private_segment_size 0
		.amdhsa_uses_dynamic_stack 0
		.amdhsa_system_sgpr_private_segment_wavefront_offset 0
		.amdhsa_system_sgpr_workgroup_id_x 1
		.amdhsa_system_sgpr_workgroup_id_y 0
		.amdhsa_system_sgpr_workgroup_id_z 0
		.amdhsa_system_sgpr_workgroup_info 0
		.amdhsa_system_vgpr_workitem_id 0
		.amdhsa_next_free_vgpr 1
		.amdhsa_next_free_sgpr 0
		.amdhsa_accum_offset 4
		.amdhsa_reserve_vcc 0
		.amdhsa_reserve_flat_scratch 0
		.amdhsa_float_round_mode_32 0
		.amdhsa_float_round_mode_16_64 0
		.amdhsa_float_denorm_mode_32 3
		.amdhsa_float_denorm_mode_16_64 3
		.amdhsa_dx10_clamp 1
		.amdhsa_ieee_mode 1
		.amdhsa_fp16_overflow 0
		.amdhsa_tg_split 0
		.amdhsa_exception_fp_ieee_invalid_op 0
		.amdhsa_exception_fp_denorm_src 0
		.amdhsa_exception_fp_ieee_div_zero 0
		.amdhsa_exception_fp_ieee_overflow 0
		.amdhsa_exception_fp_ieee_underflow 0
		.amdhsa_exception_fp_ieee_inexact 0
		.amdhsa_exception_int_div_zero 0
	.end_amdhsa_kernel
	.section	.text._ZN7rocprim17ROCPRIM_400000_NS6detail17trampoline_kernelINS0_14default_configENS1_25partition_config_selectorILNS1_17partition_subalgoE9EllbEEZZNS1_14partition_implILS5_9ELb0ES3_jPlS8_PNS0_10empty_typeENS0_5tupleIJS8_S9_EEENSB_IJS8_SA_EEENS0_18inequality_wrapperIZN2at6native12_GLOBAL__N_124unique_dim_cuda_templateIaEESt5tupleIJNSF_6TensorESK_SK_EERKSK_lbbbEUlllE0_EEPmJS9_EEE10hipError_tPvRmT3_T4_T5_T6_T7_T9_mT8_P12ihipStream_tbDpT10_ENKUlT_T0_E_clISt17integral_constantIbLb1EES1A_EEDaS15_S16_EUlS15_E_NS1_11comp_targetILNS1_3genE9ELNS1_11target_archE1100ELNS1_3gpuE3ELNS1_3repE0EEENS1_30default_config_static_selectorELNS0_4arch9wavefront6targetE1EEEvT1_,"axG",@progbits,_ZN7rocprim17ROCPRIM_400000_NS6detail17trampoline_kernelINS0_14default_configENS1_25partition_config_selectorILNS1_17partition_subalgoE9EllbEEZZNS1_14partition_implILS5_9ELb0ES3_jPlS8_PNS0_10empty_typeENS0_5tupleIJS8_S9_EEENSB_IJS8_SA_EEENS0_18inequality_wrapperIZN2at6native12_GLOBAL__N_124unique_dim_cuda_templateIaEESt5tupleIJNSF_6TensorESK_SK_EERKSK_lbbbEUlllE0_EEPmJS9_EEE10hipError_tPvRmT3_T4_T5_T6_T7_T9_mT8_P12ihipStream_tbDpT10_ENKUlT_T0_E_clISt17integral_constantIbLb1EES1A_EEDaS15_S16_EUlS15_E_NS1_11comp_targetILNS1_3genE9ELNS1_11target_archE1100ELNS1_3gpuE3ELNS1_3repE0EEENS1_30default_config_static_selectorELNS0_4arch9wavefront6targetE1EEEvT1_,comdat
.Lfunc_end365:
	.size	_ZN7rocprim17ROCPRIM_400000_NS6detail17trampoline_kernelINS0_14default_configENS1_25partition_config_selectorILNS1_17partition_subalgoE9EllbEEZZNS1_14partition_implILS5_9ELb0ES3_jPlS8_PNS0_10empty_typeENS0_5tupleIJS8_S9_EEENSB_IJS8_SA_EEENS0_18inequality_wrapperIZN2at6native12_GLOBAL__N_124unique_dim_cuda_templateIaEESt5tupleIJNSF_6TensorESK_SK_EERKSK_lbbbEUlllE0_EEPmJS9_EEE10hipError_tPvRmT3_T4_T5_T6_T7_T9_mT8_P12ihipStream_tbDpT10_ENKUlT_T0_E_clISt17integral_constantIbLb1EES1A_EEDaS15_S16_EUlS15_E_NS1_11comp_targetILNS1_3genE9ELNS1_11target_archE1100ELNS1_3gpuE3ELNS1_3repE0EEENS1_30default_config_static_selectorELNS0_4arch9wavefront6targetE1EEEvT1_, .Lfunc_end365-_ZN7rocprim17ROCPRIM_400000_NS6detail17trampoline_kernelINS0_14default_configENS1_25partition_config_selectorILNS1_17partition_subalgoE9EllbEEZZNS1_14partition_implILS5_9ELb0ES3_jPlS8_PNS0_10empty_typeENS0_5tupleIJS8_S9_EEENSB_IJS8_SA_EEENS0_18inequality_wrapperIZN2at6native12_GLOBAL__N_124unique_dim_cuda_templateIaEESt5tupleIJNSF_6TensorESK_SK_EERKSK_lbbbEUlllE0_EEPmJS9_EEE10hipError_tPvRmT3_T4_T5_T6_T7_T9_mT8_P12ihipStream_tbDpT10_ENKUlT_T0_E_clISt17integral_constantIbLb1EES1A_EEDaS15_S16_EUlS15_E_NS1_11comp_targetILNS1_3genE9ELNS1_11target_archE1100ELNS1_3gpuE3ELNS1_3repE0EEENS1_30default_config_static_selectorELNS0_4arch9wavefront6targetE1EEEvT1_
                                        ; -- End function
	.section	.AMDGPU.csdata,"",@progbits
; Kernel info:
; codeLenInByte = 0
; NumSgprs: 4
; NumVgprs: 0
; NumAgprs: 0
; TotalNumVgprs: 0
; ScratchSize: 0
; MemoryBound: 0
; FloatMode: 240
; IeeeMode: 1
; LDSByteSize: 0 bytes/workgroup (compile time only)
; SGPRBlocks: 0
; VGPRBlocks: 0
; NumSGPRsForWavesPerEU: 4
; NumVGPRsForWavesPerEU: 1
; AccumOffset: 4
; Occupancy: 8
; WaveLimiterHint : 0
; COMPUTE_PGM_RSRC2:SCRATCH_EN: 0
; COMPUTE_PGM_RSRC2:USER_SGPR: 6
; COMPUTE_PGM_RSRC2:TRAP_HANDLER: 0
; COMPUTE_PGM_RSRC2:TGID_X_EN: 1
; COMPUTE_PGM_RSRC2:TGID_Y_EN: 0
; COMPUTE_PGM_RSRC2:TGID_Z_EN: 0
; COMPUTE_PGM_RSRC2:TIDIG_COMP_CNT: 0
; COMPUTE_PGM_RSRC3_GFX90A:ACCUM_OFFSET: 0
; COMPUTE_PGM_RSRC3_GFX90A:TG_SPLIT: 0
	.section	.text._ZN7rocprim17ROCPRIM_400000_NS6detail17trampoline_kernelINS0_14default_configENS1_25partition_config_selectorILNS1_17partition_subalgoE9EllbEEZZNS1_14partition_implILS5_9ELb0ES3_jPlS8_PNS0_10empty_typeENS0_5tupleIJS8_S9_EEENSB_IJS8_SA_EEENS0_18inequality_wrapperIZN2at6native12_GLOBAL__N_124unique_dim_cuda_templateIaEESt5tupleIJNSF_6TensorESK_SK_EERKSK_lbbbEUlllE0_EEPmJS9_EEE10hipError_tPvRmT3_T4_T5_T6_T7_T9_mT8_P12ihipStream_tbDpT10_ENKUlT_T0_E_clISt17integral_constantIbLb1EES1A_EEDaS15_S16_EUlS15_E_NS1_11comp_targetILNS1_3genE8ELNS1_11target_archE1030ELNS1_3gpuE2ELNS1_3repE0EEENS1_30default_config_static_selectorELNS0_4arch9wavefront6targetE1EEEvT1_,"axG",@progbits,_ZN7rocprim17ROCPRIM_400000_NS6detail17trampoline_kernelINS0_14default_configENS1_25partition_config_selectorILNS1_17partition_subalgoE9EllbEEZZNS1_14partition_implILS5_9ELb0ES3_jPlS8_PNS0_10empty_typeENS0_5tupleIJS8_S9_EEENSB_IJS8_SA_EEENS0_18inequality_wrapperIZN2at6native12_GLOBAL__N_124unique_dim_cuda_templateIaEESt5tupleIJNSF_6TensorESK_SK_EERKSK_lbbbEUlllE0_EEPmJS9_EEE10hipError_tPvRmT3_T4_T5_T6_T7_T9_mT8_P12ihipStream_tbDpT10_ENKUlT_T0_E_clISt17integral_constantIbLb1EES1A_EEDaS15_S16_EUlS15_E_NS1_11comp_targetILNS1_3genE8ELNS1_11target_archE1030ELNS1_3gpuE2ELNS1_3repE0EEENS1_30default_config_static_selectorELNS0_4arch9wavefront6targetE1EEEvT1_,comdat
	.globl	_ZN7rocprim17ROCPRIM_400000_NS6detail17trampoline_kernelINS0_14default_configENS1_25partition_config_selectorILNS1_17partition_subalgoE9EllbEEZZNS1_14partition_implILS5_9ELb0ES3_jPlS8_PNS0_10empty_typeENS0_5tupleIJS8_S9_EEENSB_IJS8_SA_EEENS0_18inequality_wrapperIZN2at6native12_GLOBAL__N_124unique_dim_cuda_templateIaEESt5tupleIJNSF_6TensorESK_SK_EERKSK_lbbbEUlllE0_EEPmJS9_EEE10hipError_tPvRmT3_T4_T5_T6_T7_T9_mT8_P12ihipStream_tbDpT10_ENKUlT_T0_E_clISt17integral_constantIbLb1EES1A_EEDaS15_S16_EUlS15_E_NS1_11comp_targetILNS1_3genE8ELNS1_11target_archE1030ELNS1_3gpuE2ELNS1_3repE0EEENS1_30default_config_static_selectorELNS0_4arch9wavefront6targetE1EEEvT1_ ; -- Begin function _ZN7rocprim17ROCPRIM_400000_NS6detail17trampoline_kernelINS0_14default_configENS1_25partition_config_selectorILNS1_17partition_subalgoE9EllbEEZZNS1_14partition_implILS5_9ELb0ES3_jPlS8_PNS0_10empty_typeENS0_5tupleIJS8_S9_EEENSB_IJS8_SA_EEENS0_18inequality_wrapperIZN2at6native12_GLOBAL__N_124unique_dim_cuda_templateIaEESt5tupleIJNSF_6TensorESK_SK_EERKSK_lbbbEUlllE0_EEPmJS9_EEE10hipError_tPvRmT3_T4_T5_T6_T7_T9_mT8_P12ihipStream_tbDpT10_ENKUlT_T0_E_clISt17integral_constantIbLb1EES1A_EEDaS15_S16_EUlS15_E_NS1_11comp_targetILNS1_3genE8ELNS1_11target_archE1030ELNS1_3gpuE2ELNS1_3repE0EEENS1_30default_config_static_selectorELNS0_4arch9wavefront6targetE1EEEvT1_
	.p2align	8
	.type	_ZN7rocprim17ROCPRIM_400000_NS6detail17trampoline_kernelINS0_14default_configENS1_25partition_config_selectorILNS1_17partition_subalgoE9EllbEEZZNS1_14partition_implILS5_9ELb0ES3_jPlS8_PNS0_10empty_typeENS0_5tupleIJS8_S9_EEENSB_IJS8_SA_EEENS0_18inequality_wrapperIZN2at6native12_GLOBAL__N_124unique_dim_cuda_templateIaEESt5tupleIJNSF_6TensorESK_SK_EERKSK_lbbbEUlllE0_EEPmJS9_EEE10hipError_tPvRmT3_T4_T5_T6_T7_T9_mT8_P12ihipStream_tbDpT10_ENKUlT_T0_E_clISt17integral_constantIbLb1EES1A_EEDaS15_S16_EUlS15_E_NS1_11comp_targetILNS1_3genE8ELNS1_11target_archE1030ELNS1_3gpuE2ELNS1_3repE0EEENS1_30default_config_static_selectorELNS0_4arch9wavefront6targetE1EEEvT1_,@function
_ZN7rocprim17ROCPRIM_400000_NS6detail17trampoline_kernelINS0_14default_configENS1_25partition_config_selectorILNS1_17partition_subalgoE9EllbEEZZNS1_14partition_implILS5_9ELb0ES3_jPlS8_PNS0_10empty_typeENS0_5tupleIJS8_S9_EEENSB_IJS8_SA_EEENS0_18inequality_wrapperIZN2at6native12_GLOBAL__N_124unique_dim_cuda_templateIaEESt5tupleIJNSF_6TensorESK_SK_EERKSK_lbbbEUlllE0_EEPmJS9_EEE10hipError_tPvRmT3_T4_T5_T6_T7_T9_mT8_P12ihipStream_tbDpT10_ENKUlT_T0_E_clISt17integral_constantIbLb1EES1A_EEDaS15_S16_EUlS15_E_NS1_11comp_targetILNS1_3genE8ELNS1_11target_archE1030ELNS1_3gpuE2ELNS1_3repE0EEENS1_30default_config_static_selectorELNS0_4arch9wavefront6targetE1EEEvT1_: ; @_ZN7rocprim17ROCPRIM_400000_NS6detail17trampoline_kernelINS0_14default_configENS1_25partition_config_selectorILNS1_17partition_subalgoE9EllbEEZZNS1_14partition_implILS5_9ELb0ES3_jPlS8_PNS0_10empty_typeENS0_5tupleIJS8_S9_EEENSB_IJS8_SA_EEENS0_18inequality_wrapperIZN2at6native12_GLOBAL__N_124unique_dim_cuda_templateIaEESt5tupleIJNSF_6TensorESK_SK_EERKSK_lbbbEUlllE0_EEPmJS9_EEE10hipError_tPvRmT3_T4_T5_T6_T7_T9_mT8_P12ihipStream_tbDpT10_ENKUlT_T0_E_clISt17integral_constantIbLb1EES1A_EEDaS15_S16_EUlS15_E_NS1_11comp_targetILNS1_3genE8ELNS1_11target_archE1030ELNS1_3gpuE2ELNS1_3repE0EEENS1_30default_config_static_selectorELNS0_4arch9wavefront6targetE1EEEvT1_
; %bb.0:
	.section	.rodata,"a",@progbits
	.p2align	6, 0x0
	.amdhsa_kernel _ZN7rocprim17ROCPRIM_400000_NS6detail17trampoline_kernelINS0_14default_configENS1_25partition_config_selectorILNS1_17partition_subalgoE9EllbEEZZNS1_14partition_implILS5_9ELb0ES3_jPlS8_PNS0_10empty_typeENS0_5tupleIJS8_S9_EEENSB_IJS8_SA_EEENS0_18inequality_wrapperIZN2at6native12_GLOBAL__N_124unique_dim_cuda_templateIaEESt5tupleIJNSF_6TensorESK_SK_EERKSK_lbbbEUlllE0_EEPmJS9_EEE10hipError_tPvRmT3_T4_T5_T6_T7_T9_mT8_P12ihipStream_tbDpT10_ENKUlT_T0_E_clISt17integral_constantIbLb1EES1A_EEDaS15_S16_EUlS15_E_NS1_11comp_targetILNS1_3genE8ELNS1_11target_archE1030ELNS1_3gpuE2ELNS1_3repE0EEENS1_30default_config_static_selectorELNS0_4arch9wavefront6targetE1EEEvT1_
		.amdhsa_group_segment_fixed_size 0
		.amdhsa_private_segment_fixed_size 0
		.amdhsa_kernarg_size 136
		.amdhsa_user_sgpr_count 6
		.amdhsa_user_sgpr_private_segment_buffer 1
		.amdhsa_user_sgpr_dispatch_ptr 0
		.amdhsa_user_sgpr_queue_ptr 0
		.amdhsa_user_sgpr_kernarg_segment_ptr 1
		.amdhsa_user_sgpr_dispatch_id 0
		.amdhsa_user_sgpr_flat_scratch_init 0
		.amdhsa_user_sgpr_kernarg_preload_length 0
		.amdhsa_user_sgpr_kernarg_preload_offset 0
		.amdhsa_user_sgpr_private_segment_size 0
		.amdhsa_uses_dynamic_stack 0
		.amdhsa_system_sgpr_private_segment_wavefront_offset 0
		.amdhsa_system_sgpr_workgroup_id_x 1
		.amdhsa_system_sgpr_workgroup_id_y 0
		.amdhsa_system_sgpr_workgroup_id_z 0
		.amdhsa_system_sgpr_workgroup_info 0
		.amdhsa_system_vgpr_workitem_id 0
		.amdhsa_next_free_vgpr 1
		.amdhsa_next_free_sgpr 0
		.amdhsa_accum_offset 4
		.amdhsa_reserve_vcc 0
		.amdhsa_reserve_flat_scratch 0
		.amdhsa_float_round_mode_32 0
		.amdhsa_float_round_mode_16_64 0
		.amdhsa_float_denorm_mode_32 3
		.amdhsa_float_denorm_mode_16_64 3
		.amdhsa_dx10_clamp 1
		.amdhsa_ieee_mode 1
		.amdhsa_fp16_overflow 0
		.amdhsa_tg_split 0
		.amdhsa_exception_fp_ieee_invalid_op 0
		.amdhsa_exception_fp_denorm_src 0
		.amdhsa_exception_fp_ieee_div_zero 0
		.amdhsa_exception_fp_ieee_overflow 0
		.amdhsa_exception_fp_ieee_underflow 0
		.amdhsa_exception_fp_ieee_inexact 0
		.amdhsa_exception_int_div_zero 0
	.end_amdhsa_kernel
	.section	.text._ZN7rocprim17ROCPRIM_400000_NS6detail17trampoline_kernelINS0_14default_configENS1_25partition_config_selectorILNS1_17partition_subalgoE9EllbEEZZNS1_14partition_implILS5_9ELb0ES3_jPlS8_PNS0_10empty_typeENS0_5tupleIJS8_S9_EEENSB_IJS8_SA_EEENS0_18inequality_wrapperIZN2at6native12_GLOBAL__N_124unique_dim_cuda_templateIaEESt5tupleIJNSF_6TensorESK_SK_EERKSK_lbbbEUlllE0_EEPmJS9_EEE10hipError_tPvRmT3_T4_T5_T6_T7_T9_mT8_P12ihipStream_tbDpT10_ENKUlT_T0_E_clISt17integral_constantIbLb1EES1A_EEDaS15_S16_EUlS15_E_NS1_11comp_targetILNS1_3genE8ELNS1_11target_archE1030ELNS1_3gpuE2ELNS1_3repE0EEENS1_30default_config_static_selectorELNS0_4arch9wavefront6targetE1EEEvT1_,"axG",@progbits,_ZN7rocprim17ROCPRIM_400000_NS6detail17trampoline_kernelINS0_14default_configENS1_25partition_config_selectorILNS1_17partition_subalgoE9EllbEEZZNS1_14partition_implILS5_9ELb0ES3_jPlS8_PNS0_10empty_typeENS0_5tupleIJS8_S9_EEENSB_IJS8_SA_EEENS0_18inequality_wrapperIZN2at6native12_GLOBAL__N_124unique_dim_cuda_templateIaEESt5tupleIJNSF_6TensorESK_SK_EERKSK_lbbbEUlllE0_EEPmJS9_EEE10hipError_tPvRmT3_T4_T5_T6_T7_T9_mT8_P12ihipStream_tbDpT10_ENKUlT_T0_E_clISt17integral_constantIbLb1EES1A_EEDaS15_S16_EUlS15_E_NS1_11comp_targetILNS1_3genE8ELNS1_11target_archE1030ELNS1_3gpuE2ELNS1_3repE0EEENS1_30default_config_static_selectorELNS0_4arch9wavefront6targetE1EEEvT1_,comdat
.Lfunc_end366:
	.size	_ZN7rocprim17ROCPRIM_400000_NS6detail17trampoline_kernelINS0_14default_configENS1_25partition_config_selectorILNS1_17partition_subalgoE9EllbEEZZNS1_14partition_implILS5_9ELb0ES3_jPlS8_PNS0_10empty_typeENS0_5tupleIJS8_S9_EEENSB_IJS8_SA_EEENS0_18inequality_wrapperIZN2at6native12_GLOBAL__N_124unique_dim_cuda_templateIaEESt5tupleIJNSF_6TensorESK_SK_EERKSK_lbbbEUlllE0_EEPmJS9_EEE10hipError_tPvRmT3_T4_T5_T6_T7_T9_mT8_P12ihipStream_tbDpT10_ENKUlT_T0_E_clISt17integral_constantIbLb1EES1A_EEDaS15_S16_EUlS15_E_NS1_11comp_targetILNS1_3genE8ELNS1_11target_archE1030ELNS1_3gpuE2ELNS1_3repE0EEENS1_30default_config_static_selectorELNS0_4arch9wavefront6targetE1EEEvT1_, .Lfunc_end366-_ZN7rocprim17ROCPRIM_400000_NS6detail17trampoline_kernelINS0_14default_configENS1_25partition_config_selectorILNS1_17partition_subalgoE9EllbEEZZNS1_14partition_implILS5_9ELb0ES3_jPlS8_PNS0_10empty_typeENS0_5tupleIJS8_S9_EEENSB_IJS8_SA_EEENS0_18inequality_wrapperIZN2at6native12_GLOBAL__N_124unique_dim_cuda_templateIaEESt5tupleIJNSF_6TensorESK_SK_EERKSK_lbbbEUlllE0_EEPmJS9_EEE10hipError_tPvRmT3_T4_T5_T6_T7_T9_mT8_P12ihipStream_tbDpT10_ENKUlT_T0_E_clISt17integral_constantIbLb1EES1A_EEDaS15_S16_EUlS15_E_NS1_11comp_targetILNS1_3genE8ELNS1_11target_archE1030ELNS1_3gpuE2ELNS1_3repE0EEENS1_30default_config_static_selectorELNS0_4arch9wavefront6targetE1EEEvT1_
                                        ; -- End function
	.section	.AMDGPU.csdata,"",@progbits
; Kernel info:
; codeLenInByte = 0
; NumSgprs: 4
; NumVgprs: 0
; NumAgprs: 0
; TotalNumVgprs: 0
; ScratchSize: 0
; MemoryBound: 0
; FloatMode: 240
; IeeeMode: 1
; LDSByteSize: 0 bytes/workgroup (compile time only)
; SGPRBlocks: 0
; VGPRBlocks: 0
; NumSGPRsForWavesPerEU: 4
; NumVGPRsForWavesPerEU: 1
; AccumOffset: 4
; Occupancy: 8
; WaveLimiterHint : 0
; COMPUTE_PGM_RSRC2:SCRATCH_EN: 0
; COMPUTE_PGM_RSRC2:USER_SGPR: 6
; COMPUTE_PGM_RSRC2:TRAP_HANDLER: 0
; COMPUTE_PGM_RSRC2:TGID_X_EN: 1
; COMPUTE_PGM_RSRC2:TGID_Y_EN: 0
; COMPUTE_PGM_RSRC2:TGID_Z_EN: 0
; COMPUTE_PGM_RSRC2:TIDIG_COMP_CNT: 0
; COMPUTE_PGM_RSRC3_GFX90A:ACCUM_OFFSET: 0
; COMPUTE_PGM_RSRC3_GFX90A:TG_SPLIT: 0
	.section	.text._ZN7rocprim17ROCPRIM_400000_NS6detail17trampoline_kernelINS0_14default_configENS1_25partition_config_selectorILNS1_17partition_subalgoE9EllbEEZZNS1_14partition_implILS5_9ELb0ES3_jPlS8_PNS0_10empty_typeENS0_5tupleIJS8_S9_EEENSB_IJS8_SA_EEENS0_18inequality_wrapperIZN2at6native12_GLOBAL__N_124unique_dim_cuda_templateIaEESt5tupleIJNSF_6TensorESK_SK_EERKSK_lbbbEUlllE0_EEPmJS9_EEE10hipError_tPvRmT3_T4_T5_T6_T7_T9_mT8_P12ihipStream_tbDpT10_ENKUlT_T0_E_clISt17integral_constantIbLb1EES19_IbLb0EEEEDaS15_S16_EUlS15_E_NS1_11comp_targetILNS1_3genE0ELNS1_11target_archE4294967295ELNS1_3gpuE0ELNS1_3repE0EEENS1_30default_config_static_selectorELNS0_4arch9wavefront6targetE1EEEvT1_,"axG",@progbits,_ZN7rocprim17ROCPRIM_400000_NS6detail17trampoline_kernelINS0_14default_configENS1_25partition_config_selectorILNS1_17partition_subalgoE9EllbEEZZNS1_14partition_implILS5_9ELb0ES3_jPlS8_PNS0_10empty_typeENS0_5tupleIJS8_S9_EEENSB_IJS8_SA_EEENS0_18inequality_wrapperIZN2at6native12_GLOBAL__N_124unique_dim_cuda_templateIaEESt5tupleIJNSF_6TensorESK_SK_EERKSK_lbbbEUlllE0_EEPmJS9_EEE10hipError_tPvRmT3_T4_T5_T6_T7_T9_mT8_P12ihipStream_tbDpT10_ENKUlT_T0_E_clISt17integral_constantIbLb1EES19_IbLb0EEEEDaS15_S16_EUlS15_E_NS1_11comp_targetILNS1_3genE0ELNS1_11target_archE4294967295ELNS1_3gpuE0ELNS1_3repE0EEENS1_30default_config_static_selectorELNS0_4arch9wavefront6targetE1EEEvT1_,comdat
	.globl	_ZN7rocprim17ROCPRIM_400000_NS6detail17trampoline_kernelINS0_14default_configENS1_25partition_config_selectorILNS1_17partition_subalgoE9EllbEEZZNS1_14partition_implILS5_9ELb0ES3_jPlS8_PNS0_10empty_typeENS0_5tupleIJS8_S9_EEENSB_IJS8_SA_EEENS0_18inequality_wrapperIZN2at6native12_GLOBAL__N_124unique_dim_cuda_templateIaEESt5tupleIJNSF_6TensorESK_SK_EERKSK_lbbbEUlllE0_EEPmJS9_EEE10hipError_tPvRmT3_T4_T5_T6_T7_T9_mT8_P12ihipStream_tbDpT10_ENKUlT_T0_E_clISt17integral_constantIbLb1EES19_IbLb0EEEEDaS15_S16_EUlS15_E_NS1_11comp_targetILNS1_3genE0ELNS1_11target_archE4294967295ELNS1_3gpuE0ELNS1_3repE0EEENS1_30default_config_static_selectorELNS0_4arch9wavefront6targetE1EEEvT1_ ; -- Begin function _ZN7rocprim17ROCPRIM_400000_NS6detail17trampoline_kernelINS0_14default_configENS1_25partition_config_selectorILNS1_17partition_subalgoE9EllbEEZZNS1_14partition_implILS5_9ELb0ES3_jPlS8_PNS0_10empty_typeENS0_5tupleIJS8_S9_EEENSB_IJS8_SA_EEENS0_18inequality_wrapperIZN2at6native12_GLOBAL__N_124unique_dim_cuda_templateIaEESt5tupleIJNSF_6TensorESK_SK_EERKSK_lbbbEUlllE0_EEPmJS9_EEE10hipError_tPvRmT3_T4_T5_T6_T7_T9_mT8_P12ihipStream_tbDpT10_ENKUlT_T0_E_clISt17integral_constantIbLb1EES19_IbLb0EEEEDaS15_S16_EUlS15_E_NS1_11comp_targetILNS1_3genE0ELNS1_11target_archE4294967295ELNS1_3gpuE0ELNS1_3repE0EEENS1_30default_config_static_selectorELNS0_4arch9wavefront6targetE1EEEvT1_
	.p2align	8
	.type	_ZN7rocprim17ROCPRIM_400000_NS6detail17trampoline_kernelINS0_14default_configENS1_25partition_config_selectorILNS1_17partition_subalgoE9EllbEEZZNS1_14partition_implILS5_9ELb0ES3_jPlS8_PNS0_10empty_typeENS0_5tupleIJS8_S9_EEENSB_IJS8_SA_EEENS0_18inequality_wrapperIZN2at6native12_GLOBAL__N_124unique_dim_cuda_templateIaEESt5tupleIJNSF_6TensorESK_SK_EERKSK_lbbbEUlllE0_EEPmJS9_EEE10hipError_tPvRmT3_T4_T5_T6_T7_T9_mT8_P12ihipStream_tbDpT10_ENKUlT_T0_E_clISt17integral_constantIbLb1EES19_IbLb0EEEEDaS15_S16_EUlS15_E_NS1_11comp_targetILNS1_3genE0ELNS1_11target_archE4294967295ELNS1_3gpuE0ELNS1_3repE0EEENS1_30default_config_static_selectorELNS0_4arch9wavefront6targetE1EEEvT1_,@function
_ZN7rocprim17ROCPRIM_400000_NS6detail17trampoline_kernelINS0_14default_configENS1_25partition_config_selectorILNS1_17partition_subalgoE9EllbEEZZNS1_14partition_implILS5_9ELb0ES3_jPlS8_PNS0_10empty_typeENS0_5tupleIJS8_S9_EEENSB_IJS8_SA_EEENS0_18inequality_wrapperIZN2at6native12_GLOBAL__N_124unique_dim_cuda_templateIaEESt5tupleIJNSF_6TensorESK_SK_EERKSK_lbbbEUlllE0_EEPmJS9_EEE10hipError_tPvRmT3_T4_T5_T6_T7_T9_mT8_P12ihipStream_tbDpT10_ENKUlT_T0_E_clISt17integral_constantIbLb1EES19_IbLb0EEEEDaS15_S16_EUlS15_E_NS1_11comp_targetILNS1_3genE0ELNS1_11target_archE4294967295ELNS1_3gpuE0ELNS1_3repE0EEENS1_30default_config_static_selectorELNS0_4arch9wavefront6targetE1EEEvT1_: ; @_ZN7rocprim17ROCPRIM_400000_NS6detail17trampoline_kernelINS0_14default_configENS1_25partition_config_selectorILNS1_17partition_subalgoE9EllbEEZZNS1_14partition_implILS5_9ELb0ES3_jPlS8_PNS0_10empty_typeENS0_5tupleIJS8_S9_EEENSB_IJS8_SA_EEENS0_18inequality_wrapperIZN2at6native12_GLOBAL__N_124unique_dim_cuda_templateIaEESt5tupleIJNSF_6TensorESK_SK_EERKSK_lbbbEUlllE0_EEPmJS9_EEE10hipError_tPvRmT3_T4_T5_T6_T7_T9_mT8_P12ihipStream_tbDpT10_ENKUlT_T0_E_clISt17integral_constantIbLb1EES19_IbLb0EEEEDaS15_S16_EUlS15_E_NS1_11comp_targetILNS1_3genE0ELNS1_11target_archE4294967295ELNS1_3gpuE0ELNS1_3repE0EEENS1_30default_config_static_selectorELNS0_4arch9wavefront6targetE1EEEvT1_
; %bb.0:
	.section	.rodata,"a",@progbits
	.p2align	6, 0x0
	.amdhsa_kernel _ZN7rocprim17ROCPRIM_400000_NS6detail17trampoline_kernelINS0_14default_configENS1_25partition_config_selectorILNS1_17partition_subalgoE9EllbEEZZNS1_14partition_implILS5_9ELb0ES3_jPlS8_PNS0_10empty_typeENS0_5tupleIJS8_S9_EEENSB_IJS8_SA_EEENS0_18inequality_wrapperIZN2at6native12_GLOBAL__N_124unique_dim_cuda_templateIaEESt5tupleIJNSF_6TensorESK_SK_EERKSK_lbbbEUlllE0_EEPmJS9_EEE10hipError_tPvRmT3_T4_T5_T6_T7_T9_mT8_P12ihipStream_tbDpT10_ENKUlT_T0_E_clISt17integral_constantIbLb1EES19_IbLb0EEEEDaS15_S16_EUlS15_E_NS1_11comp_targetILNS1_3genE0ELNS1_11target_archE4294967295ELNS1_3gpuE0ELNS1_3repE0EEENS1_30default_config_static_selectorELNS0_4arch9wavefront6targetE1EEEvT1_
		.amdhsa_group_segment_fixed_size 0
		.amdhsa_private_segment_fixed_size 0
		.amdhsa_kernarg_size 120
		.amdhsa_user_sgpr_count 6
		.amdhsa_user_sgpr_private_segment_buffer 1
		.amdhsa_user_sgpr_dispatch_ptr 0
		.amdhsa_user_sgpr_queue_ptr 0
		.amdhsa_user_sgpr_kernarg_segment_ptr 1
		.amdhsa_user_sgpr_dispatch_id 0
		.amdhsa_user_sgpr_flat_scratch_init 0
		.amdhsa_user_sgpr_kernarg_preload_length 0
		.amdhsa_user_sgpr_kernarg_preload_offset 0
		.amdhsa_user_sgpr_private_segment_size 0
		.amdhsa_uses_dynamic_stack 0
		.amdhsa_system_sgpr_private_segment_wavefront_offset 0
		.amdhsa_system_sgpr_workgroup_id_x 1
		.amdhsa_system_sgpr_workgroup_id_y 0
		.amdhsa_system_sgpr_workgroup_id_z 0
		.amdhsa_system_sgpr_workgroup_info 0
		.amdhsa_system_vgpr_workitem_id 0
		.amdhsa_next_free_vgpr 1
		.amdhsa_next_free_sgpr 0
		.amdhsa_accum_offset 4
		.amdhsa_reserve_vcc 0
		.amdhsa_reserve_flat_scratch 0
		.amdhsa_float_round_mode_32 0
		.amdhsa_float_round_mode_16_64 0
		.amdhsa_float_denorm_mode_32 3
		.amdhsa_float_denorm_mode_16_64 3
		.amdhsa_dx10_clamp 1
		.amdhsa_ieee_mode 1
		.amdhsa_fp16_overflow 0
		.amdhsa_tg_split 0
		.amdhsa_exception_fp_ieee_invalid_op 0
		.amdhsa_exception_fp_denorm_src 0
		.amdhsa_exception_fp_ieee_div_zero 0
		.amdhsa_exception_fp_ieee_overflow 0
		.amdhsa_exception_fp_ieee_underflow 0
		.amdhsa_exception_fp_ieee_inexact 0
		.amdhsa_exception_int_div_zero 0
	.end_amdhsa_kernel
	.section	.text._ZN7rocprim17ROCPRIM_400000_NS6detail17trampoline_kernelINS0_14default_configENS1_25partition_config_selectorILNS1_17partition_subalgoE9EllbEEZZNS1_14partition_implILS5_9ELb0ES3_jPlS8_PNS0_10empty_typeENS0_5tupleIJS8_S9_EEENSB_IJS8_SA_EEENS0_18inequality_wrapperIZN2at6native12_GLOBAL__N_124unique_dim_cuda_templateIaEESt5tupleIJNSF_6TensorESK_SK_EERKSK_lbbbEUlllE0_EEPmJS9_EEE10hipError_tPvRmT3_T4_T5_T6_T7_T9_mT8_P12ihipStream_tbDpT10_ENKUlT_T0_E_clISt17integral_constantIbLb1EES19_IbLb0EEEEDaS15_S16_EUlS15_E_NS1_11comp_targetILNS1_3genE0ELNS1_11target_archE4294967295ELNS1_3gpuE0ELNS1_3repE0EEENS1_30default_config_static_selectorELNS0_4arch9wavefront6targetE1EEEvT1_,"axG",@progbits,_ZN7rocprim17ROCPRIM_400000_NS6detail17trampoline_kernelINS0_14default_configENS1_25partition_config_selectorILNS1_17partition_subalgoE9EllbEEZZNS1_14partition_implILS5_9ELb0ES3_jPlS8_PNS0_10empty_typeENS0_5tupleIJS8_S9_EEENSB_IJS8_SA_EEENS0_18inequality_wrapperIZN2at6native12_GLOBAL__N_124unique_dim_cuda_templateIaEESt5tupleIJNSF_6TensorESK_SK_EERKSK_lbbbEUlllE0_EEPmJS9_EEE10hipError_tPvRmT3_T4_T5_T6_T7_T9_mT8_P12ihipStream_tbDpT10_ENKUlT_T0_E_clISt17integral_constantIbLb1EES19_IbLb0EEEEDaS15_S16_EUlS15_E_NS1_11comp_targetILNS1_3genE0ELNS1_11target_archE4294967295ELNS1_3gpuE0ELNS1_3repE0EEENS1_30default_config_static_selectorELNS0_4arch9wavefront6targetE1EEEvT1_,comdat
.Lfunc_end367:
	.size	_ZN7rocprim17ROCPRIM_400000_NS6detail17trampoline_kernelINS0_14default_configENS1_25partition_config_selectorILNS1_17partition_subalgoE9EllbEEZZNS1_14partition_implILS5_9ELb0ES3_jPlS8_PNS0_10empty_typeENS0_5tupleIJS8_S9_EEENSB_IJS8_SA_EEENS0_18inequality_wrapperIZN2at6native12_GLOBAL__N_124unique_dim_cuda_templateIaEESt5tupleIJNSF_6TensorESK_SK_EERKSK_lbbbEUlllE0_EEPmJS9_EEE10hipError_tPvRmT3_T4_T5_T6_T7_T9_mT8_P12ihipStream_tbDpT10_ENKUlT_T0_E_clISt17integral_constantIbLb1EES19_IbLb0EEEEDaS15_S16_EUlS15_E_NS1_11comp_targetILNS1_3genE0ELNS1_11target_archE4294967295ELNS1_3gpuE0ELNS1_3repE0EEENS1_30default_config_static_selectorELNS0_4arch9wavefront6targetE1EEEvT1_, .Lfunc_end367-_ZN7rocprim17ROCPRIM_400000_NS6detail17trampoline_kernelINS0_14default_configENS1_25partition_config_selectorILNS1_17partition_subalgoE9EllbEEZZNS1_14partition_implILS5_9ELb0ES3_jPlS8_PNS0_10empty_typeENS0_5tupleIJS8_S9_EEENSB_IJS8_SA_EEENS0_18inequality_wrapperIZN2at6native12_GLOBAL__N_124unique_dim_cuda_templateIaEESt5tupleIJNSF_6TensorESK_SK_EERKSK_lbbbEUlllE0_EEPmJS9_EEE10hipError_tPvRmT3_T4_T5_T6_T7_T9_mT8_P12ihipStream_tbDpT10_ENKUlT_T0_E_clISt17integral_constantIbLb1EES19_IbLb0EEEEDaS15_S16_EUlS15_E_NS1_11comp_targetILNS1_3genE0ELNS1_11target_archE4294967295ELNS1_3gpuE0ELNS1_3repE0EEENS1_30default_config_static_selectorELNS0_4arch9wavefront6targetE1EEEvT1_
                                        ; -- End function
	.section	.AMDGPU.csdata,"",@progbits
; Kernel info:
; codeLenInByte = 0
; NumSgprs: 4
; NumVgprs: 0
; NumAgprs: 0
; TotalNumVgprs: 0
; ScratchSize: 0
; MemoryBound: 0
; FloatMode: 240
; IeeeMode: 1
; LDSByteSize: 0 bytes/workgroup (compile time only)
; SGPRBlocks: 0
; VGPRBlocks: 0
; NumSGPRsForWavesPerEU: 4
; NumVGPRsForWavesPerEU: 1
; AccumOffset: 4
; Occupancy: 8
; WaveLimiterHint : 0
; COMPUTE_PGM_RSRC2:SCRATCH_EN: 0
; COMPUTE_PGM_RSRC2:USER_SGPR: 6
; COMPUTE_PGM_RSRC2:TRAP_HANDLER: 0
; COMPUTE_PGM_RSRC2:TGID_X_EN: 1
; COMPUTE_PGM_RSRC2:TGID_Y_EN: 0
; COMPUTE_PGM_RSRC2:TGID_Z_EN: 0
; COMPUTE_PGM_RSRC2:TIDIG_COMP_CNT: 0
; COMPUTE_PGM_RSRC3_GFX90A:ACCUM_OFFSET: 0
; COMPUTE_PGM_RSRC3_GFX90A:TG_SPLIT: 0
	.section	.text._ZN7rocprim17ROCPRIM_400000_NS6detail17trampoline_kernelINS0_14default_configENS1_25partition_config_selectorILNS1_17partition_subalgoE9EllbEEZZNS1_14partition_implILS5_9ELb0ES3_jPlS8_PNS0_10empty_typeENS0_5tupleIJS8_S9_EEENSB_IJS8_SA_EEENS0_18inequality_wrapperIZN2at6native12_GLOBAL__N_124unique_dim_cuda_templateIaEESt5tupleIJNSF_6TensorESK_SK_EERKSK_lbbbEUlllE0_EEPmJS9_EEE10hipError_tPvRmT3_T4_T5_T6_T7_T9_mT8_P12ihipStream_tbDpT10_ENKUlT_T0_E_clISt17integral_constantIbLb1EES19_IbLb0EEEEDaS15_S16_EUlS15_E_NS1_11comp_targetILNS1_3genE5ELNS1_11target_archE942ELNS1_3gpuE9ELNS1_3repE0EEENS1_30default_config_static_selectorELNS0_4arch9wavefront6targetE1EEEvT1_,"axG",@progbits,_ZN7rocprim17ROCPRIM_400000_NS6detail17trampoline_kernelINS0_14default_configENS1_25partition_config_selectorILNS1_17partition_subalgoE9EllbEEZZNS1_14partition_implILS5_9ELb0ES3_jPlS8_PNS0_10empty_typeENS0_5tupleIJS8_S9_EEENSB_IJS8_SA_EEENS0_18inequality_wrapperIZN2at6native12_GLOBAL__N_124unique_dim_cuda_templateIaEESt5tupleIJNSF_6TensorESK_SK_EERKSK_lbbbEUlllE0_EEPmJS9_EEE10hipError_tPvRmT3_T4_T5_T6_T7_T9_mT8_P12ihipStream_tbDpT10_ENKUlT_T0_E_clISt17integral_constantIbLb1EES19_IbLb0EEEEDaS15_S16_EUlS15_E_NS1_11comp_targetILNS1_3genE5ELNS1_11target_archE942ELNS1_3gpuE9ELNS1_3repE0EEENS1_30default_config_static_selectorELNS0_4arch9wavefront6targetE1EEEvT1_,comdat
	.globl	_ZN7rocprim17ROCPRIM_400000_NS6detail17trampoline_kernelINS0_14default_configENS1_25partition_config_selectorILNS1_17partition_subalgoE9EllbEEZZNS1_14partition_implILS5_9ELb0ES3_jPlS8_PNS0_10empty_typeENS0_5tupleIJS8_S9_EEENSB_IJS8_SA_EEENS0_18inequality_wrapperIZN2at6native12_GLOBAL__N_124unique_dim_cuda_templateIaEESt5tupleIJNSF_6TensorESK_SK_EERKSK_lbbbEUlllE0_EEPmJS9_EEE10hipError_tPvRmT3_T4_T5_T6_T7_T9_mT8_P12ihipStream_tbDpT10_ENKUlT_T0_E_clISt17integral_constantIbLb1EES19_IbLb0EEEEDaS15_S16_EUlS15_E_NS1_11comp_targetILNS1_3genE5ELNS1_11target_archE942ELNS1_3gpuE9ELNS1_3repE0EEENS1_30default_config_static_selectorELNS0_4arch9wavefront6targetE1EEEvT1_ ; -- Begin function _ZN7rocprim17ROCPRIM_400000_NS6detail17trampoline_kernelINS0_14default_configENS1_25partition_config_selectorILNS1_17partition_subalgoE9EllbEEZZNS1_14partition_implILS5_9ELb0ES3_jPlS8_PNS0_10empty_typeENS0_5tupleIJS8_S9_EEENSB_IJS8_SA_EEENS0_18inequality_wrapperIZN2at6native12_GLOBAL__N_124unique_dim_cuda_templateIaEESt5tupleIJNSF_6TensorESK_SK_EERKSK_lbbbEUlllE0_EEPmJS9_EEE10hipError_tPvRmT3_T4_T5_T6_T7_T9_mT8_P12ihipStream_tbDpT10_ENKUlT_T0_E_clISt17integral_constantIbLb1EES19_IbLb0EEEEDaS15_S16_EUlS15_E_NS1_11comp_targetILNS1_3genE5ELNS1_11target_archE942ELNS1_3gpuE9ELNS1_3repE0EEENS1_30default_config_static_selectorELNS0_4arch9wavefront6targetE1EEEvT1_
	.p2align	8
	.type	_ZN7rocprim17ROCPRIM_400000_NS6detail17trampoline_kernelINS0_14default_configENS1_25partition_config_selectorILNS1_17partition_subalgoE9EllbEEZZNS1_14partition_implILS5_9ELb0ES3_jPlS8_PNS0_10empty_typeENS0_5tupleIJS8_S9_EEENSB_IJS8_SA_EEENS0_18inequality_wrapperIZN2at6native12_GLOBAL__N_124unique_dim_cuda_templateIaEESt5tupleIJNSF_6TensorESK_SK_EERKSK_lbbbEUlllE0_EEPmJS9_EEE10hipError_tPvRmT3_T4_T5_T6_T7_T9_mT8_P12ihipStream_tbDpT10_ENKUlT_T0_E_clISt17integral_constantIbLb1EES19_IbLb0EEEEDaS15_S16_EUlS15_E_NS1_11comp_targetILNS1_3genE5ELNS1_11target_archE942ELNS1_3gpuE9ELNS1_3repE0EEENS1_30default_config_static_selectorELNS0_4arch9wavefront6targetE1EEEvT1_,@function
_ZN7rocprim17ROCPRIM_400000_NS6detail17trampoline_kernelINS0_14default_configENS1_25partition_config_selectorILNS1_17partition_subalgoE9EllbEEZZNS1_14partition_implILS5_9ELb0ES3_jPlS8_PNS0_10empty_typeENS0_5tupleIJS8_S9_EEENSB_IJS8_SA_EEENS0_18inequality_wrapperIZN2at6native12_GLOBAL__N_124unique_dim_cuda_templateIaEESt5tupleIJNSF_6TensorESK_SK_EERKSK_lbbbEUlllE0_EEPmJS9_EEE10hipError_tPvRmT3_T4_T5_T6_T7_T9_mT8_P12ihipStream_tbDpT10_ENKUlT_T0_E_clISt17integral_constantIbLb1EES19_IbLb0EEEEDaS15_S16_EUlS15_E_NS1_11comp_targetILNS1_3genE5ELNS1_11target_archE942ELNS1_3gpuE9ELNS1_3repE0EEENS1_30default_config_static_selectorELNS0_4arch9wavefront6targetE1EEEvT1_: ; @_ZN7rocprim17ROCPRIM_400000_NS6detail17trampoline_kernelINS0_14default_configENS1_25partition_config_selectorILNS1_17partition_subalgoE9EllbEEZZNS1_14partition_implILS5_9ELb0ES3_jPlS8_PNS0_10empty_typeENS0_5tupleIJS8_S9_EEENSB_IJS8_SA_EEENS0_18inequality_wrapperIZN2at6native12_GLOBAL__N_124unique_dim_cuda_templateIaEESt5tupleIJNSF_6TensorESK_SK_EERKSK_lbbbEUlllE0_EEPmJS9_EEE10hipError_tPvRmT3_T4_T5_T6_T7_T9_mT8_P12ihipStream_tbDpT10_ENKUlT_T0_E_clISt17integral_constantIbLb1EES19_IbLb0EEEEDaS15_S16_EUlS15_E_NS1_11comp_targetILNS1_3genE5ELNS1_11target_archE942ELNS1_3gpuE9ELNS1_3repE0EEENS1_30default_config_static_selectorELNS0_4arch9wavefront6targetE1EEEvT1_
; %bb.0:
	.section	.rodata,"a",@progbits
	.p2align	6, 0x0
	.amdhsa_kernel _ZN7rocprim17ROCPRIM_400000_NS6detail17trampoline_kernelINS0_14default_configENS1_25partition_config_selectorILNS1_17partition_subalgoE9EllbEEZZNS1_14partition_implILS5_9ELb0ES3_jPlS8_PNS0_10empty_typeENS0_5tupleIJS8_S9_EEENSB_IJS8_SA_EEENS0_18inequality_wrapperIZN2at6native12_GLOBAL__N_124unique_dim_cuda_templateIaEESt5tupleIJNSF_6TensorESK_SK_EERKSK_lbbbEUlllE0_EEPmJS9_EEE10hipError_tPvRmT3_T4_T5_T6_T7_T9_mT8_P12ihipStream_tbDpT10_ENKUlT_T0_E_clISt17integral_constantIbLb1EES19_IbLb0EEEEDaS15_S16_EUlS15_E_NS1_11comp_targetILNS1_3genE5ELNS1_11target_archE942ELNS1_3gpuE9ELNS1_3repE0EEENS1_30default_config_static_selectorELNS0_4arch9wavefront6targetE1EEEvT1_
		.amdhsa_group_segment_fixed_size 0
		.amdhsa_private_segment_fixed_size 0
		.amdhsa_kernarg_size 120
		.amdhsa_user_sgpr_count 6
		.amdhsa_user_sgpr_private_segment_buffer 1
		.amdhsa_user_sgpr_dispatch_ptr 0
		.amdhsa_user_sgpr_queue_ptr 0
		.amdhsa_user_sgpr_kernarg_segment_ptr 1
		.amdhsa_user_sgpr_dispatch_id 0
		.amdhsa_user_sgpr_flat_scratch_init 0
		.amdhsa_user_sgpr_kernarg_preload_length 0
		.amdhsa_user_sgpr_kernarg_preload_offset 0
		.amdhsa_user_sgpr_private_segment_size 0
		.amdhsa_uses_dynamic_stack 0
		.amdhsa_system_sgpr_private_segment_wavefront_offset 0
		.amdhsa_system_sgpr_workgroup_id_x 1
		.amdhsa_system_sgpr_workgroup_id_y 0
		.amdhsa_system_sgpr_workgroup_id_z 0
		.amdhsa_system_sgpr_workgroup_info 0
		.amdhsa_system_vgpr_workitem_id 0
		.amdhsa_next_free_vgpr 1
		.amdhsa_next_free_sgpr 0
		.amdhsa_accum_offset 4
		.amdhsa_reserve_vcc 0
		.amdhsa_reserve_flat_scratch 0
		.amdhsa_float_round_mode_32 0
		.amdhsa_float_round_mode_16_64 0
		.amdhsa_float_denorm_mode_32 3
		.amdhsa_float_denorm_mode_16_64 3
		.amdhsa_dx10_clamp 1
		.amdhsa_ieee_mode 1
		.amdhsa_fp16_overflow 0
		.amdhsa_tg_split 0
		.amdhsa_exception_fp_ieee_invalid_op 0
		.amdhsa_exception_fp_denorm_src 0
		.amdhsa_exception_fp_ieee_div_zero 0
		.amdhsa_exception_fp_ieee_overflow 0
		.amdhsa_exception_fp_ieee_underflow 0
		.amdhsa_exception_fp_ieee_inexact 0
		.amdhsa_exception_int_div_zero 0
	.end_amdhsa_kernel
	.section	.text._ZN7rocprim17ROCPRIM_400000_NS6detail17trampoline_kernelINS0_14default_configENS1_25partition_config_selectorILNS1_17partition_subalgoE9EllbEEZZNS1_14partition_implILS5_9ELb0ES3_jPlS8_PNS0_10empty_typeENS0_5tupleIJS8_S9_EEENSB_IJS8_SA_EEENS0_18inequality_wrapperIZN2at6native12_GLOBAL__N_124unique_dim_cuda_templateIaEESt5tupleIJNSF_6TensorESK_SK_EERKSK_lbbbEUlllE0_EEPmJS9_EEE10hipError_tPvRmT3_T4_T5_T6_T7_T9_mT8_P12ihipStream_tbDpT10_ENKUlT_T0_E_clISt17integral_constantIbLb1EES19_IbLb0EEEEDaS15_S16_EUlS15_E_NS1_11comp_targetILNS1_3genE5ELNS1_11target_archE942ELNS1_3gpuE9ELNS1_3repE0EEENS1_30default_config_static_selectorELNS0_4arch9wavefront6targetE1EEEvT1_,"axG",@progbits,_ZN7rocprim17ROCPRIM_400000_NS6detail17trampoline_kernelINS0_14default_configENS1_25partition_config_selectorILNS1_17partition_subalgoE9EllbEEZZNS1_14partition_implILS5_9ELb0ES3_jPlS8_PNS0_10empty_typeENS0_5tupleIJS8_S9_EEENSB_IJS8_SA_EEENS0_18inequality_wrapperIZN2at6native12_GLOBAL__N_124unique_dim_cuda_templateIaEESt5tupleIJNSF_6TensorESK_SK_EERKSK_lbbbEUlllE0_EEPmJS9_EEE10hipError_tPvRmT3_T4_T5_T6_T7_T9_mT8_P12ihipStream_tbDpT10_ENKUlT_T0_E_clISt17integral_constantIbLb1EES19_IbLb0EEEEDaS15_S16_EUlS15_E_NS1_11comp_targetILNS1_3genE5ELNS1_11target_archE942ELNS1_3gpuE9ELNS1_3repE0EEENS1_30default_config_static_selectorELNS0_4arch9wavefront6targetE1EEEvT1_,comdat
.Lfunc_end368:
	.size	_ZN7rocprim17ROCPRIM_400000_NS6detail17trampoline_kernelINS0_14default_configENS1_25partition_config_selectorILNS1_17partition_subalgoE9EllbEEZZNS1_14partition_implILS5_9ELb0ES3_jPlS8_PNS0_10empty_typeENS0_5tupleIJS8_S9_EEENSB_IJS8_SA_EEENS0_18inequality_wrapperIZN2at6native12_GLOBAL__N_124unique_dim_cuda_templateIaEESt5tupleIJNSF_6TensorESK_SK_EERKSK_lbbbEUlllE0_EEPmJS9_EEE10hipError_tPvRmT3_T4_T5_T6_T7_T9_mT8_P12ihipStream_tbDpT10_ENKUlT_T0_E_clISt17integral_constantIbLb1EES19_IbLb0EEEEDaS15_S16_EUlS15_E_NS1_11comp_targetILNS1_3genE5ELNS1_11target_archE942ELNS1_3gpuE9ELNS1_3repE0EEENS1_30default_config_static_selectorELNS0_4arch9wavefront6targetE1EEEvT1_, .Lfunc_end368-_ZN7rocprim17ROCPRIM_400000_NS6detail17trampoline_kernelINS0_14default_configENS1_25partition_config_selectorILNS1_17partition_subalgoE9EllbEEZZNS1_14partition_implILS5_9ELb0ES3_jPlS8_PNS0_10empty_typeENS0_5tupleIJS8_S9_EEENSB_IJS8_SA_EEENS0_18inequality_wrapperIZN2at6native12_GLOBAL__N_124unique_dim_cuda_templateIaEESt5tupleIJNSF_6TensorESK_SK_EERKSK_lbbbEUlllE0_EEPmJS9_EEE10hipError_tPvRmT3_T4_T5_T6_T7_T9_mT8_P12ihipStream_tbDpT10_ENKUlT_T0_E_clISt17integral_constantIbLb1EES19_IbLb0EEEEDaS15_S16_EUlS15_E_NS1_11comp_targetILNS1_3genE5ELNS1_11target_archE942ELNS1_3gpuE9ELNS1_3repE0EEENS1_30default_config_static_selectorELNS0_4arch9wavefront6targetE1EEEvT1_
                                        ; -- End function
	.section	.AMDGPU.csdata,"",@progbits
; Kernel info:
; codeLenInByte = 0
; NumSgprs: 4
; NumVgprs: 0
; NumAgprs: 0
; TotalNumVgprs: 0
; ScratchSize: 0
; MemoryBound: 0
; FloatMode: 240
; IeeeMode: 1
; LDSByteSize: 0 bytes/workgroup (compile time only)
; SGPRBlocks: 0
; VGPRBlocks: 0
; NumSGPRsForWavesPerEU: 4
; NumVGPRsForWavesPerEU: 1
; AccumOffset: 4
; Occupancy: 8
; WaveLimiterHint : 0
; COMPUTE_PGM_RSRC2:SCRATCH_EN: 0
; COMPUTE_PGM_RSRC2:USER_SGPR: 6
; COMPUTE_PGM_RSRC2:TRAP_HANDLER: 0
; COMPUTE_PGM_RSRC2:TGID_X_EN: 1
; COMPUTE_PGM_RSRC2:TGID_Y_EN: 0
; COMPUTE_PGM_RSRC2:TGID_Z_EN: 0
; COMPUTE_PGM_RSRC2:TIDIG_COMP_CNT: 0
; COMPUTE_PGM_RSRC3_GFX90A:ACCUM_OFFSET: 0
; COMPUTE_PGM_RSRC3_GFX90A:TG_SPLIT: 0
	.section	.text._ZN7rocprim17ROCPRIM_400000_NS6detail17trampoline_kernelINS0_14default_configENS1_25partition_config_selectorILNS1_17partition_subalgoE9EllbEEZZNS1_14partition_implILS5_9ELb0ES3_jPlS8_PNS0_10empty_typeENS0_5tupleIJS8_S9_EEENSB_IJS8_SA_EEENS0_18inequality_wrapperIZN2at6native12_GLOBAL__N_124unique_dim_cuda_templateIaEESt5tupleIJNSF_6TensorESK_SK_EERKSK_lbbbEUlllE0_EEPmJS9_EEE10hipError_tPvRmT3_T4_T5_T6_T7_T9_mT8_P12ihipStream_tbDpT10_ENKUlT_T0_E_clISt17integral_constantIbLb1EES19_IbLb0EEEEDaS15_S16_EUlS15_E_NS1_11comp_targetILNS1_3genE4ELNS1_11target_archE910ELNS1_3gpuE8ELNS1_3repE0EEENS1_30default_config_static_selectorELNS0_4arch9wavefront6targetE1EEEvT1_,"axG",@progbits,_ZN7rocprim17ROCPRIM_400000_NS6detail17trampoline_kernelINS0_14default_configENS1_25partition_config_selectorILNS1_17partition_subalgoE9EllbEEZZNS1_14partition_implILS5_9ELb0ES3_jPlS8_PNS0_10empty_typeENS0_5tupleIJS8_S9_EEENSB_IJS8_SA_EEENS0_18inequality_wrapperIZN2at6native12_GLOBAL__N_124unique_dim_cuda_templateIaEESt5tupleIJNSF_6TensorESK_SK_EERKSK_lbbbEUlllE0_EEPmJS9_EEE10hipError_tPvRmT3_T4_T5_T6_T7_T9_mT8_P12ihipStream_tbDpT10_ENKUlT_T0_E_clISt17integral_constantIbLb1EES19_IbLb0EEEEDaS15_S16_EUlS15_E_NS1_11comp_targetILNS1_3genE4ELNS1_11target_archE910ELNS1_3gpuE8ELNS1_3repE0EEENS1_30default_config_static_selectorELNS0_4arch9wavefront6targetE1EEEvT1_,comdat
	.globl	_ZN7rocprim17ROCPRIM_400000_NS6detail17trampoline_kernelINS0_14default_configENS1_25partition_config_selectorILNS1_17partition_subalgoE9EllbEEZZNS1_14partition_implILS5_9ELb0ES3_jPlS8_PNS0_10empty_typeENS0_5tupleIJS8_S9_EEENSB_IJS8_SA_EEENS0_18inequality_wrapperIZN2at6native12_GLOBAL__N_124unique_dim_cuda_templateIaEESt5tupleIJNSF_6TensorESK_SK_EERKSK_lbbbEUlllE0_EEPmJS9_EEE10hipError_tPvRmT3_T4_T5_T6_T7_T9_mT8_P12ihipStream_tbDpT10_ENKUlT_T0_E_clISt17integral_constantIbLb1EES19_IbLb0EEEEDaS15_S16_EUlS15_E_NS1_11comp_targetILNS1_3genE4ELNS1_11target_archE910ELNS1_3gpuE8ELNS1_3repE0EEENS1_30default_config_static_selectorELNS0_4arch9wavefront6targetE1EEEvT1_ ; -- Begin function _ZN7rocprim17ROCPRIM_400000_NS6detail17trampoline_kernelINS0_14default_configENS1_25partition_config_selectorILNS1_17partition_subalgoE9EllbEEZZNS1_14partition_implILS5_9ELb0ES3_jPlS8_PNS0_10empty_typeENS0_5tupleIJS8_S9_EEENSB_IJS8_SA_EEENS0_18inequality_wrapperIZN2at6native12_GLOBAL__N_124unique_dim_cuda_templateIaEESt5tupleIJNSF_6TensorESK_SK_EERKSK_lbbbEUlllE0_EEPmJS9_EEE10hipError_tPvRmT3_T4_T5_T6_T7_T9_mT8_P12ihipStream_tbDpT10_ENKUlT_T0_E_clISt17integral_constantIbLb1EES19_IbLb0EEEEDaS15_S16_EUlS15_E_NS1_11comp_targetILNS1_3genE4ELNS1_11target_archE910ELNS1_3gpuE8ELNS1_3repE0EEENS1_30default_config_static_selectorELNS0_4arch9wavefront6targetE1EEEvT1_
	.p2align	8
	.type	_ZN7rocprim17ROCPRIM_400000_NS6detail17trampoline_kernelINS0_14default_configENS1_25partition_config_selectorILNS1_17partition_subalgoE9EllbEEZZNS1_14partition_implILS5_9ELb0ES3_jPlS8_PNS0_10empty_typeENS0_5tupleIJS8_S9_EEENSB_IJS8_SA_EEENS0_18inequality_wrapperIZN2at6native12_GLOBAL__N_124unique_dim_cuda_templateIaEESt5tupleIJNSF_6TensorESK_SK_EERKSK_lbbbEUlllE0_EEPmJS9_EEE10hipError_tPvRmT3_T4_T5_T6_T7_T9_mT8_P12ihipStream_tbDpT10_ENKUlT_T0_E_clISt17integral_constantIbLb1EES19_IbLb0EEEEDaS15_S16_EUlS15_E_NS1_11comp_targetILNS1_3genE4ELNS1_11target_archE910ELNS1_3gpuE8ELNS1_3repE0EEENS1_30default_config_static_selectorELNS0_4arch9wavefront6targetE1EEEvT1_,@function
_ZN7rocprim17ROCPRIM_400000_NS6detail17trampoline_kernelINS0_14default_configENS1_25partition_config_selectorILNS1_17partition_subalgoE9EllbEEZZNS1_14partition_implILS5_9ELb0ES3_jPlS8_PNS0_10empty_typeENS0_5tupleIJS8_S9_EEENSB_IJS8_SA_EEENS0_18inequality_wrapperIZN2at6native12_GLOBAL__N_124unique_dim_cuda_templateIaEESt5tupleIJNSF_6TensorESK_SK_EERKSK_lbbbEUlllE0_EEPmJS9_EEE10hipError_tPvRmT3_T4_T5_T6_T7_T9_mT8_P12ihipStream_tbDpT10_ENKUlT_T0_E_clISt17integral_constantIbLb1EES19_IbLb0EEEEDaS15_S16_EUlS15_E_NS1_11comp_targetILNS1_3genE4ELNS1_11target_archE910ELNS1_3gpuE8ELNS1_3repE0EEENS1_30default_config_static_selectorELNS0_4arch9wavefront6targetE1EEEvT1_: ; @_ZN7rocprim17ROCPRIM_400000_NS6detail17trampoline_kernelINS0_14default_configENS1_25partition_config_selectorILNS1_17partition_subalgoE9EllbEEZZNS1_14partition_implILS5_9ELb0ES3_jPlS8_PNS0_10empty_typeENS0_5tupleIJS8_S9_EEENSB_IJS8_SA_EEENS0_18inequality_wrapperIZN2at6native12_GLOBAL__N_124unique_dim_cuda_templateIaEESt5tupleIJNSF_6TensorESK_SK_EERKSK_lbbbEUlllE0_EEPmJS9_EEE10hipError_tPvRmT3_T4_T5_T6_T7_T9_mT8_P12ihipStream_tbDpT10_ENKUlT_T0_E_clISt17integral_constantIbLb1EES19_IbLb0EEEEDaS15_S16_EUlS15_E_NS1_11comp_targetILNS1_3genE4ELNS1_11target_archE910ELNS1_3gpuE8ELNS1_3repE0EEENS1_30default_config_static_selectorELNS0_4arch9wavefront6targetE1EEEvT1_
; %bb.0:
	s_load_dwordx8 s[20:27], s[4:5], 0x40
	s_load_dwordx4 s[0:3], s[4:5], 0x8
	s_load_dwordx2 s[10:11], s[4:5], 0x18
	s_load_dword s8, s[4:5], 0x70
	s_mov_b32 s13, 0
	s_waitcnt lgkmcnt(0)
	v_mov_b32_e32 v2, s24
	s_lshl_b64 s[14:15], s[2:3], 3
	s_add_u32 s18, s0, s14
	s_addc_u32 s19, s1, s15
	s_add_i32 s9, s8, -1
	s_lshl_b32 s0, s9, 9
	s_add_i32 s0, s2, s0
	s_lshl_b32 s12, s6, 9
	s_sub_i32 s7, s24, s0
	s_lshl_b32 s0, s8, 9
	s_add_u32 s0, s2, s0
	s_addc_u32 s1, s3, 0
	v_mov_b32_e32 v3, s25
	s_cmp_eq_u32 s6, s9
	s_load_dwordx2 s[22:23], s[22:23], 0x0
	v_cmp_ge_u64_e32 vcc, s[0:1], v[2:3]
	s_cselect_b64 s[24:25], -1, 0
	s_and_b64 s[8:9], s[24:25], vcc
	s_xor_b64 s[34:35], s[8:9], -1
	s_lshl_b64 s[16:17], s[12:13], 3
	s_add_u32 s12, s18, s16
	s_mov_b64 s[0:1], -1
	s_addc_u32 s13, s19, s17
	s_and_b64 vcc, exec, s[34:35]
	v_lshrrev_b32_e32 v18, 2, v0
	s_cbranch_vccz .LBB369_2
; %bb.1:
	v_lshlrev_b32_e32 v1, 3, v0
	global_load_dwordx2 v[2:3], v1, s[12:13]
	global_load_dwordx2 v[4:5], v1, s[12:13] offset:1024
	global_load_dwordx2 v[6:7], v1, s[12:13] offset:2048
	global_load_dwordx2 v[8:9], v1, s[12:13] offset:3072
	v_or_b32_e32 v11, 0x80, v0
	v_or_b32_e32 v12, 0x100, v0
	;; [unrolled: 1-line block ×3, first 2 shown]
	v_and_b32_e32 v10, 24, v18
	v_lshrrev_b32_e32 v11, 2, v11
	v_lshrrev_b32_e32 v12, 2, v12
	;; [unrolled: 1-line block ×3, first 2 shown]
	v_add_u32_e32 v10, v10, v1
	v_and_b32_e32 v11, 56, v11
	v_and_b32_e32 v12, 0x58, v12
	;; [unrolled: 1-line block ×3, first 2 shown]
	v_add_u32_e32 v11, v11, v1
	v_add_u32_e32 v12, v12, v1
	;; [unrolled: 1-line block ×3, first 2 shown]
	s_mov_b64 s[0:1], 0
	s_waitcnt vmcnt(3)
	ds_write_b64 v10, v[2:3]
	s_waitcnt vmcnt(2)
	ds_write_b64 v11, v[4:5] offset:1024
	s_waitcnt vmcnt(1)
	ds_write_b64 v12, v[6:7] offset:2048
	;; [unrolled: 2-line block ×3, first 2 shown]
	s_waitcnt lgkmcnt(0)
	s_barrier
.LBB369_2:
	s_load_dwordx4 s[28:31], s[4:5], 0x60
	s_andn2_b64 vcc, exec, s[0:1]
	v_cmp_gt_u32_e64 s[0:1], s7, v0
	s_cbranch_vccnz .LBB369_12
; %bb.3:
                                        ; implicit-def: $vgpr2_vgpr3_vgpr4_vgpr5_vgpr6_vgpr7_vgpr8_vgpr9
	s_and_saveexec_b64 s[18:19], s[0:1]
	s_cbranch_execz .LBB369_5
; %bb.4:
	v_lshlrev_b32_e32 v1, 3, v0
	global_load_dwordx2 v[2:3], v1, s[12:13]
.LBB369_5:
	s_or_b64 exec, exec, s[18:19]
	v_or_b32_e32 v1, 0x80, v0
	v_cmp_gt_u32_e32 vcc, s7, v1
	s_and_saveexec_b64 s[0:1], vcc
	s_cbranch_execz .LBB369_7
; %bb.6:
	v_lshlrev_b32_e32 v4, 3, v0
	global_load_dwordx2 v[4:5], v4, s[12:13] offset:1024
.LBB369_7:
	s_or_b64 exec, exec, s[0:1]
	v_or_b32_e32 v10, 0x100, v0
	v_cmp_gt_u32_e32 vcc, s7, v10
	s_and_saveexec_b64 s[0:1], vcc
	s_cbranch_execz .LBB369_9
; %bb.8:
	v_lshlrev_b32_e32 v6, 3, v0
	global_load_dwordx2 v[6:7], v6, s[12:13] offset:2048
.LBB369_9:
	;; [unrolled: 9-line block ×3, first 2 shown]
	s_or_b64 exec, exec, s[0:1]
	v_lshrrev_b32_e32 v1, 2, v1
	v_lshlrev_b32_e32 v13, 3, v0
	v_and_b32_e32 v1, 56, v1
	v_add_u32_e32 v1, v1, v13
	s_waitcnt vmcnt(0)
	ds_write_b64 v1, v[4:5] offset:1024
	v_lshrrev_b32_e32 v1, 2, v10
	v_and_b32_e32 v1, 0x78, v1
	v_add_u32_e32 v1, v1, v13
	ds_write_b64 v1, v[6:7] offset:2048
	v_lshrrev_b32_e32 v1, 2, v11
	v_and_b32_e32 v12, 24, v18
	v_and_b32_e32 v1, 0x78, v1
	v_add_u32_e32 v12, v12, v13
	v_add_u32_e32 v1, v1, v13
	ds_write_b64 v12, v[2:3]
	ds_write_b64 v1, v[8:9] offset:3072
	s_waitcnt lgkmcnt(0)
	s_barrier
.LBB369_12:
	v_lshlrev_b32_e32 v1, 2, v0
	v_lshrrev_b32_e32 v2, 3, v0
	v_add_lshl_u32 v19, v2, v1, 3
	s_waitcnt lgkmcnt(0)
	ds_read2_b64 v[14:17], v19 offset1:1
	ds_read2_b64 v[10:13], v19 offset0:2 offset1:3
	s_add_u32 s0, s10, s14
	s_addc_u32 s1, s11, s15
	s_add_u32 s0, s0, s16
	s_addc_u32 s1, s1, s17
	s_mov_b64 s[10:11], -1
	s_and_b64 vcc, exec, s[34:35]
	s_waitcnt lgkmcnt(0)
	s_barrier
	s_cbranch_vccz .LBB369_14
; %bb.13:
	v_lshlrev_b32_e32 v20, 3, v0
	global_load_dwordx2 v[2:3], v20, s[0:1]
	global_load_dwordx2 v[4:5], v20, s[0:1] offset:1024
	global_load_dwordx2 v[6:7], v20, s[0:1] offset:2048
	;; [unrolled: 1-line block ×3, first 2 shown]
	v_or_b32_e32 v22, 0x80, v0
	v_or_b32_e32 v23, 0x100, v0
	;; [unrolled: 1-line block ×3, first 2 shown]
	v_and_b32_e32 v21, 24, v18
	v_lshrrev_b32_e32 v22, 2, v22
	v_lshrrev_b32_e32 v23, 2, v23
	;; [unrolled: 1-line block ×3, first 2 shown]
	v_add_u32_e32 v21, v21, v20
	v_and_b32_e32 v22, 56, v22
	v_and_b32_e32 v23, 0x58, v23
	;; [unrolled: 1-line block ×3, first 2 shown]
	v_add_u32_e32 v22, v22, v20
	v_add_u32_e32 v23, v23, v20
	;; [unrolled: 1-line block ×3, first 2 shown]
	s_mov_b64 s[10:11], 0
	s_waitcnt vmcnt(3)
	ds_write_b64 v21, v[2:3]
	s_waitcnt vmcnt(2)
	ds_write_b64 v22, v[4:5] offset:1024
	s_waitcnt vmcnt(1)
	ds_write_b64 v23, v[6:7] offset:2048
	s_waitcnt vmcnt(0)
	ds_write_b64 v20, v[8:9] offset:3072
	s_waitcnt lgkmcnt(0)
	s_barrier
.LBB369_14:
	s_andn2_b64 vcc, exec, s[10:11]
	s_cbranch_vccnz .LBB369_24
; %bb.15:
	v_cmp_gt_u32_e32 vcc, s7, v0
                                        ; implicit-def: $vgpr2_vgpr3
	s_and_saveexec_b64 s[10:11], vcc
	s_cbranch_execz .LBB369_17
; %bb.16:
	v_lshlrev_b32_e32 v2, 3, v0
	global_load_dwordx2 v[2:3], v2, s[0:1]
.LBB369_17:
	s_or_b64 exec, exec, s[10:11]
	v_or_b32_e32 v20, 0x80, v0
	v_cmp_gt_u32_e32 vcc, s7, v20
                                        ; implicit-def: $vgpr4_vgpr5
	s_and_saveexec_b64 s[10:11], vcc
	s_cbranch_execz .LBB369_19
; %bb.18:
	v_lshlrev_b32_e32 v4, 3, v0
	global_load_dwordx2 v[4:5], v4, s[0:1] offset:1024
.LBB369_19:
	s_or_b64 exec, exec, s[10:11]
	v_or_b32_e32 v21, 0x100, v0
	v_cmp_gt_u32_e32 vcc, s7, v21
                                        ; implicit-def: $vgpr6_vgpr7
	s_and_saveexec_b64 s[10:11], vcc
	s_cbranch_execz .LBB369_21
; %bb.20:
	v_lshlrev_b32_e32 v6, 3, v0
	global_load_dwordx2 v[6:7], v6, s[0:1] offset:2048
.LBB369_21:
	s_or_b64 exec, exec, s[10:11]
	v_or_b32_e32 v22, 0x180, v0
	v_cmp_gt_u32_e32 vcc, s7, v22
                                        ; implicit-def: $vgpr8_vgpr9
	s_and_saveexec_b64 s[10:11], vcc
	s_cbranch_execz .LBB369_23
; %bb.22:
	v_lshlrev_b32_e32 v8, 3, v0
	global_load_dwordx2 v[8:9], v8, s[0:1] offset:3072
.LBB369_23:
	s_or_b64 exec, exec, s[10:11]
	v_and_b32_e32 v18, 24, v18
	v_lshlrev_b32_e32 v23, 3, v0
	v_add_u32_e32 v18, v18, v23
	s_waitcnt vmcnt(0)
	ds_write_b64 v18, v[2:3]
	v_lshrrev_b32_e32 v2, 2, v20
	v_and_b32_e32 v2, 56, v2
	v_add_u32_e32 v2, v2, v23
	ds_write_b64 v2, v[4:5] offset:1024
	v_lshrrev_b32_e32 v2, 2, v21
	v_and_b32_e32 v2, 0x78, v2
	v_add_u32_e32 v2, v2, v23
	ds_write_b64 v2, v[6:7] offset:2048
	v_lshrrev_b32_e32 v2, 2, v22
	v_and_b32_e32 v2, 0x78, v2
	v_add_u32_e32 v2, v2, v23
	ds_write_b64 v2, v[8:9] offset:3072
	s_waitcnt lgkmcnt(0)
	s_barrier
.LBB369_24:
	ds_read2_b64 v[6:9], v19 offset1:1
	ds_read2_b64 v[2:5], v19 offset0:2 offset1:3
	s_cmp_lg_u32 s6, 0
	s_cselect_b64 s[16:17], -1, 0
	s_cmp_lg_u64 s[2:3], 0
	s_cselect_b64 s[0:1], -1, 0
	s_or_b64 s[0:1], s[16:17], s[0:1]
	s_mov_b64 s[10:11], 0
	s_and_b64 vcc, exec, s[0:1]
	v_cmp_gt_i64_e64 s[0:1], s[26:27], 0
	s_waitcnt lgkmcnt(0)
	s_barrier
	s_cbranch_vccz .LBB369_33
; %bb.25:
	s_add_u32 s2, s12, -8
	s_addc_u32 s3, s13, -1
	s_load_dwordx2 s[2:3], s[2:3], 0x0
	v_cndmask_b32_e64 v18, 0, 1, s[0:1]
	v_lshlrev_b32_e32 v26, 3, v0
	s_and_b64 vcc, exec, s[34:35]
	v_cmp_ne_u32_e64 s[0:1], 1, v18
	ds_write_b64 v26, v[12:13]
	s_cbranch_vccz .LBB369_34
; %bb.26:
	v_mul_lo_u32 v20, v11, s26
	v_mul_lo_u32 v21, v10, s27
	v_mad_u64_u32 v[18:19], s[12:13], v10, s26, 0
	s_and_b64 vcc, exec, s[0:1]
	v_add3_u32 v19, v19, v21, v20
	s_cbranch_vccnz .LBB369_37
; %bb.27:
	v_mov_b32_e32 v21, s29
	v_add_co_u32_e32 v20, vcc, s28, v18
	v_pk_mov_b32 v[22:23], s[28:29], s[28:29] op_sel:[0,1]
	v_addc_co_u32_e32 v21, vcc, v21, v19, vcc
	v_mad_u64_u32 v[22:23], s[10:11], v12, s26, v[22:23]
	v_mul_lo_u32 v24, v12, s27
	v_mul_lo_u32 v25, v13, s26
	v_add3_u32 v23, v25, v23, v24
	global_load_ubyte v24, v[20:21], off
	global_load_ubyte v25, v[22:23], off
	s_mov_b64 s[10:11], -1
	s_waitcnt vmcnt(0)
	v_cmp_eq_u16_e32 vcc, v24, v25
	s_and_saveexec_b64 s[12:13], vcc
	s_cbranch_execz .LBB369_36
; %bb.28:
	s_mov_b64 s[18:19], 1
	s_mov_b64 s[10:11], 0
                                        ; implicit-def: $sgpr14_sgpr15
	s_branch .LBB369_31
.LBB369_29:                             ;   in Loop: Header=BB369_31 Depth=1
	v_mov_b32_e32 v27, s19
	v_add_co_u32_e32 v24, vcc, s18, v20
	v_addc_co_u32_e32 v25, vcc, v21, v27, vcc
	v_add_co_u32_e32 v28, vcc, s18, v22
	v_addc_co_u32_e32 v29, vcc, v23, v27, vcc
	global_load_ubyte v27, v[24:25], off
	global_load_ubyte v30, v[28:29], off
	s_add_u32 s36, s18, 1
	s_addc_u32 s37, s19, 0
	s_andn2_b64 s[14:15], s[14:15], exec
	s_waitcnt vmcnt(0)
	v_cmp_ne_u16_e32 vcc, v27, v30
	s_and_b64 s[38:39], vcc, exec
	s_or_b64 s[14:15], s[14:15], s[38:39]
.LBB369_30:                             ;   in Loop: Header=BB369_31 Depth=1
	s_and_b64 s[38:39], exec, s[14:15]
	s_or_b64 s[10:11], s[38:39], s[10:11]
	v_pk_mov_b32 v[24:25], s[18:19], s[18:19] op_sel:[0,1]
	s_mov_b64 s[18:19], s[36:37]
	s_andn2_b64 exec, exec, s[10:11]
	s_cbranch_execz .LBB369_35
.LBB369_31:                             ; =>This Inner Loop Header: Depth=1
	s_or_b64 s[14:15], s[14:15], exec
	s_cmp_eq_u64 s[26:27], s[18:19]
	s_cbranch_scc0 .LBB369_29
; %bb.32:                               ;   in Loop: Header=BB369_31 Depth=1
                                        ; implicit-def: $sgpr36_sgpr37
	s_mov_b64 s[18:19], s[26:27]
	s_branch .LBB369_30
.LBB369_33:
                                        ; implicit-def: $sgpr12_sgpr13
                                        ; implicit-def: $vgpr28
	s_branch .LBB369_115
.LBB369_34:
                                        ; implicit-def: $sgpr12_sgpr13
                                        ; implicit-def: $vgpr28
	s_cbranch_execnz .LBB369_67
	s_branch .LBB369_114
.LBB369_35:
	s_or_b64 exec, exec, s[10:11]
	v_cmp_gt_i64_e32 vcc, s[26:27], v[24:25]
	s_orn2_b64 s[10:11], vcc, exec
.LBB369_36:
	s_or_b64 exec, exec, s[12:13]
.LBB369_37:
	v_mul_lo_u32 v22, v17, s26
	v_mul_lo_u32 v23, v16, s27
	v_mad_u64_u32 v[20:21], s[12:13], v16, s26, 0
	v_add3_u32 v21, v21, v23, v22
	s_mov_b64 s[12:13], 0
	s_and_b64 vcc, exec, s[0:1]
	s_mov_b64 s[14:15], 0
	s_cbranch_vccnz .LBB369_46
; %bb.38:
	v_mov_b32_e32 v23, s29
	v_add_co_u32_e32 v22, vcc, s28, v20
	v_addc_co_u32_e32 v23, vcc, v23, v21, vcc
	v_mov_b32_e32 v24, s29
	v_add_co_u32_e32 v18, vcc, s28, v18
	v_addc_co_u32_e32 v19, vcc, v24, v19, vcc
	global_load_ubyte v24, v[22:23], off
	global_load_ubyte v25, v[18:19], off
	s_mov_b64 s[14:15], -1
	s_waitcnt vmcnt(0)
	v_cmp_eq_u16_e32 vcc, v24, v25
	s_and_saveexec_b64 s[18:19], vcc
	s_cbranch_execz .LBB369_45
; %bb.39:
	s_mov_b64 s[38:39], 1
	s_mov_b64 s[14:15], 0
                                        ; implicit-def: $sgpr36_sgpr37
	s_branch .LBB369_42
.LBB369_40:                             ;   in Loop: Header=BB369_42 Depth=1
	v_mov_b32_e32 v27, s39
	v_add_co_u32_e32 v24, vcc, s38, v22
	v_addc_co_u32_e32 v25, vcc, v23, v27, vcc
	v_add_co_u32_e32 v28, vcc, s38, v18
	v_addc_co_u32_e32 v29, vcc, v19, v27, vcc
	global_load_ubyte v27, v[24:25], off
	global_load_ubyte v30, v[28:29], off
	s_add_u32 s40, s38, 1
	s_addc_u32 s41, s39, 0
	s_andn2_b64 s[36:37], s[36:37], exec
	s_waitcnt vmcnt(0)
	v_cmp_ne_u16_e32 vcc, v27, v30
	s_and_b64 s[42:43], vcc, exec
	s_or_b64 s[36:37], s[36:37], s[42:43]
.LBB369_41:                             ;   in Loop: Header=BB369_42 Depth=1
	s_and_b64 s[42:43], exec, s[36:37]
	s_or_b64 s[14:15], s[42:43], s[14:15]
	v_pk_mov_b32 v[24:25], s[38:39], s[38:39] op_sel:[0,1]
	s_mov_b64 s[38:39], s[40:41]
	s_andn2_b64 exec, exec, s[14:15]
	s_cbranch_execz .LBB369_44
.LBB369_42:                             ; =>This Inner Loop Header: Depth=1
	s_or_b64 s[36:37], s[36:37], exec
	s_cmp_eq_u64 s[26:27], s[38:39]
	s_cbranch_scc0 .LBB369_40
; %bb.43:                               ;   in Loop: Header=BB369_42 Depth=1
                                        ; implicit-def: $sgpr40_sgpr41
	s_mov_b64 s[38:39], s[26:27]
	s_branch .LBB369_41
.LBB369_44:
	s_or_b64 exec, exec, s[14:15]
	v_cmp_gt_i64_e32 vcc, s[26:27], v[24:25]
	s_orn2_b64 s[14:15], vcc, exec
.LBB369_45:
	s_or_b64 exec, exec, s[18:19]
.LBB369_46:
	v_mul_lo_u32 v22, v15, s26
	v_mul_lo_u32 v23, v14, s27
	v_mad_u64_u32 v[18:19], s[18:19], v14, s26, 0
	s_and_b64 vcc, exec, s[0:1]
	v_add3_u32 v19, v19, v23, v22
	s_cbranch_vccnz .LBB369_55
; %bb.47:
	v_mov_b32_e32 v23, s29
	v_add_co_u32_e32 v22, vcc, s28, v18
	v_addc_co_u32_e32 v23, vcc, v23, v19, vcc
	v_mov_b32_e32 v24, s29
	v_add_co_u32_e32 v20, vcc, s28, v20
	v_addc_co_u32_e32 v21, vcc, v24, v21, vcc
	global_load_ubyte v24, v[22:23], off
	global_load_ubyte v25, v[20:21], off
	s_mov_b64 s[12:13], -1
	s_waitcnt vmcnt(0)
	v_cmp_eq_u16_e32 vcc, v24, v25
	s_and_saveexec_b64 s[18:19], vcc
	s_cbranch_execz .LBB369_54
; %bb.48:
	s_mov_b64 s[38:39], 1
	s_mov_b64 s[12:13], 0
                                        ; implicit-def: $sgpr36_sgpr37
	s_branch .LBB369_51
.LBB369_49:                             ;   in Loop: Header=BB369_51 Depth=1
	v_mov_b32_e32 v27, s39
	v_add_co_u32_e32 v24, vcc, s38, v22
	v_addc_co_u32_e32 v25, vcc, v23, v27, vcc
	v_add_co_u32_e32 v28, vcc, s38, v20
	v_addc_co_u32_e32 v29, vcc, v21, v27, vcc
	global_load_ubyte v27, v[24:25], off
	global_load_ubyte v30, v[28:29], off
	s_add_u32 s40, s38, 1
	s_addc_u32 s41, s39, 0
	s_andn2_b64 s[36:37], s[36:37], exec
	s_waitcnt vmcnt(0)
	v_cmp_ne_u16_e32 vcc, v27, v30
	s_and_b64 s[42:43], vcc, exec
	s_or_b64 s[36:37], s[36:37], s[42:43]
.LBB369_50:                             ;   in Loop: Header=BB369_51 Depth=1
	s_and_b64 s[42:43], exec, s[36:37]
	s_or_b64 s[12:13], s[42:43], s[12:13]
	v_pk_mov_b32 v[24:25], s[38:39], s[38:39] op_sel:[0,1]
	s_mov_b64 s[38:39], s[40:41]
	s_andn2_b64 exec, exec, s[12:13]
	s_cbranch_execz .LBB369_53
.LBB369_51:                             ; =>This Inner Loop Header: Depth=1
	s_or_b64 s[36:37], s[36:37], exec
	s_cmp_eq_u64 s[26:27], s[38:39]
	s_cbranch_scc0 .LBB369_49
; %bb.52:                               ;   in Loop: Header=BB369_51 Depth=1
                                        ; implicit-def: $sgpr40_sgpr41
	s_mov_b64 s[38:39], s[26:27]
	s_branch .LBB369_50
.LBB369_53:
	s_or_b64 exec, exec, s[12:13]
	v_cmp_gt_i64_e32 vcc, s[26:27], v[24:25]
	s_orn2_b64 s[12:13], vcc, exec
.LBB369_54:
	s_or_b64 exec, exec, s[18:19]
.LBB369_55:
	v_cmp_ne_u32_e32 vcc, 0, v0
	s_waitcnt lgkmcnt(0)
	v_pk_mov_b32 v[22:23], s[2:3], s[2:3] op_sel:[0,1]
	s_barrier
	s_and_saveexec_b64 s[18:19], vcc
	s_cbranch_execz .LBB369_57
; %bb.56:
	v_add_u32_e32 v20, -8, v26
	ds_read_b64 v[22:23], v20
.LBB369_57:
	s_or_b64 exec, exec, s[18:19]
	v_cndmask_b32_e64 v21, 0, 1, s[10:11]
	v_cndmask_b32_e64 v20, 0, 1, s[14:15]
	;; [unrolled: 1-line block ×3, first 2 shown]
	v_lshlrev_b16_e32 v21, 8, v21
	v_lshlrev_b16_e32 v24, 8, v24
	v_or_b32_sdwa v25, v20, v21 dst_sel:WORD_1 dst_unused:UNUSED_PAD src0_sel:DWORD src1_sel:DWORD
	s_mov_b64 s[10:11], 0
	s_and_b64 vcc, exec, s[0:1]
	s_mov_b64 s[12:13], 0
	s_cbranch_vccnz .LBB369_66
; %bb.58:
	v_pk_mov_b32 v[20:21], s[28:29], s[28:29] op_sel:[0,1]
	s_waitcnt lgkmcnt(0)
	v_mad_u64_u32 v[20:21], s[12:13], v22, s26, v[20:21]
	v_mul_lo_u32 v22, v22, s27
	v_mul_lo_u32 v23, v23, s26
	v_add3_u32 v21, v23, v21, v22
	v_mov_b32_e32 v22, s29
	v_add_co_u32_e32 v18, vcc, s28, v18
	v_addc_co_u32_e32 v19, vcc, v22, v19, vcc
	global_load_ubyte v22, v[20:21], off
	global_load_ubyte v23, v[18:19], off
	s_mov_b64 s[12:13], -1
	s_waitcnt vmcnt(0)
	v_cmp_eq_u16_e32 vcc, v22, v23
	s_and_saveexec_b64 s[14:15], vcc
	s_cbranch_execz .LBB369_65
; %bb.59:
	s_mov_b64 s[36:37], 1
	s_mov_b64 s[12:13], 0
                                        ; implicit-def: $sgpr18_sgpr19
	s_branch .LBB369_62
.LBB369_60:                             ;   in Loop: Header=BB369_62 Depth=1
	v_mov_b32_e32 v27, s37
	v_add_co_u32_e32 v22, vcc, s36, v20
	v_addc_co_u32_e32 v23, vcc, v21, v27, vcc
	v_add_co_u32_e32 v28, vcc, s36, v18
	v_addc_co_u32_e32 v29, vcc, v19, v27, vcc
	global_load_ubyte v27, v[22:23], off
	global_load_ubyte v30, v[28:29], off
	s_add_u32 s38, s36, 1
	s_addc_u32 s39, s37, 0
	s_andn2_b64 s[18:19], s[18:19], exec
	s_waitcnt vmcnt(0)
	v_cmp_ne_u16_e32 vcc, v27, v30
	s_and_b64 s[40:41], vcc, exec
	s_or_b64 s[18:19], s[18:19], s[40:41]
.LBB369_61:                             ;   in Loop: Header=BB369_62 Depth=1
	s_and_b64 s[40:41], exec, s[18:19]
	s_or_b64 s[12:13], s[40:41], s[12:13]
	v_pk_mov_b32 v[22:23], s[36:37], s[36:37] op_sel:[0,1]
	s_mov_b64 s[36:37], s[38:39]
	s_andn2_b64 exec, exec, s[12:13]
	s_cbranch_execz .LBB369_64
.LBB369_62:                             ; =>This Inner Loop Header: Depth=1
	s_or_b64 s[18:19], s[18:19], exec
	s_cmp_eq_u64 s[26:27], s[36:37]
	s_cbranch_scc0 .LBB369_60
; %bb.63:                               ;   in Loop: Header=BB369_62 Depth=1
                                        ; implicit-def: $sgpr38_sgpr39
	s_mov_b64 s[36:37], s[26:27]
	s_branch .LBB369_61
.LBB369_64:
	s_or_b64 exec, exec, s[12:13]
	v_cmp_gt_i64_e32 vcc, s[26:27], v[22:23]
	s_orn2_b64 s[12:13], vcc, exec
.LBB369_65:
	s_or_b64 exec, exec, s[14:15]
.LBB369_66:
	v_or_b32_e32 v28, v24, v25
	s_and_b64 vcc, exec, s[10:11]
	s_cbranch_vccz .LBB369_114
.LBB369_67:
	v_or_b32_e32 v18, 3, v1
	v_cmp_gt_u32_e32 vcc, s7, v18
	s_mov_b64 s[12:13], 0
	s_mov_b64 s[10:11], 0
	s_and_saveexec_b64 s[14:15], vcc
	s_cbranch_execz .LBB369_78
; %bb.68:
	s_and_b64 vcc, exec, s[0:1]
	s_mov_b64 s[18:19], 0
	s_cbranch_vccnz .LBB369_77
; %bb.69:
	v_pk_mov_b32 v[20:21], s[28:29], s[28:29] op_sel:[0,1]
	v_mad_u64_u32 v[18:19], s[10:11], v10, s26, v[20:21]
	s_waitcnt lgkmcnt(0)
	v_mul_lo_u32 v22, v10, s27
	v_mul_lo_u32 v23, v11, s26
	v_add3_u32 v19, v23, v19, v22
	v_mad_u64_u32 v[20:21], s[10:11], v12, s26, v[20:21]
	v_mul_lo_u32 v22, v12, s27
	v_mul_lo_u32 v23, v13, s26
	v_add3_u32 v21, v23, v21, v22
	global_load_ubyte v22, v[18:19], off
	global_load_ubyte v23, v[20:21], off
	s_mov_b64 s[18:19], -1
	s_waitcnt vmcnt(0)
	v_cmp_eq_u16_e32 vcc, v22, v23
	s_and_saveexec_b64 s[10:11], vcc
	s_cbranch_execz .LBB369_76
; %bb.70:
	s_mov_b64 s[38:39], 1
	s_mov_b64 s[18:19], 0
                                        ; implicit-def: $sgpr36_sgpr37
	s_branch .LBB369_73
.LBB369_71:                             ;   in Loop: Header=BB369_73 Depth=1
	v_mov_b32_e32 v25, s39
	v_add_co_u32_e32 v22, vcc, s38, v18
	v_addc_co_u32_e32 v23, vcc, v19, v25, vcc
	v_add_co_u32_e32 v24, vcc, s38, v20
	v_addc_co_u32_e32 v25, vcc, v21, v25, vcc
	global_load_ubyte v27, v[22:23], off
	global_load_ubyte v28, v[24:25], off
	s_add_u32 s40, s38, 1
	s_addc_u32 s41, s39, 0
	s_andn2_b64 s[36:37], s[36:37], exec
	s_waitcnt vmcnt(0)
	v_cmp_ne_u16_e32 vcc, v27, v28
	s_and_b64 s[42:43], vcc, exec
	s_or_b64 s[36:37], s[36:37], s[42:43]
.LBB369_72:                             ;   in Loop: Header=BB369_73 Depth=1
	s_and_b64 s[42:43], exec, s[36:37]
	s_or_b64 s[18:19], s[42:43], s[18:19]
	v_pk_mov_b32 v[22:23], s[38:39], s[38:39] op_sel:[0,1]
	s_mov_b64 s[38:39], s[40:41]
	s_andn2_b64 exec, exec, s[18:19]
	s_cbranch_execz .LBB369_75
.LBB369_73:                             ; =>This Inner Loop Header: Depth=1
	s_or_b64 s[36:37], s[36:37], exec
	s_cmp_eq_u64 s[26:27], s[38:39]
	s_cbranch_scc0 .LBB369_71
; %bb.74:                               ;   in Loop: Header=BB369_73 Depth=1
                                        ; implicit-def: $sgpr40_sgpr41
	s_mov_b64 s[38:39], s[26:27]
	s_branch .LBB369_72
.LBB369_75:
	s_or_b64 exec, exec, s[18:19]
	v_cmp_gt_i64_e32 vcc, s[26:27], v[22:23]
	s_orn2_b64 s[18:19], vcc, exec
.LBB369_76:
	s_or_b64 exec, exec, s[10:11]
.LBB369_77:
	s_and_b64 s[10:11], s[18:19], exec
.LBB369_78:
	s_or_b64 exec, exec, s[14:15]
	v_or_b32_e32 v18, 2, v1
	v_cmp_gt_u32_e32 vcc, s7, v18
	s_and_saveexec_b64 s[14:15], vcc
	s_cbranch_execz .LBB369_89
; %bb.79:
	s_and_b64 vcc, exec, s[0:1]
	s_mov_b64 s[18:19], 0
	s_cbranch_vccnz .LBB369_88
; %bb.80:
	v_pk_mov_b32 v[20:21], s[28:29], s[28:29] op_sel:[0,1]
	v_mad_u64_u32 v[18:19], s[12:13], v16, s26, v[20:21]
	s_waitcnt lgkmcnt(0)
	v_mul_lo_u32 v22, v16, s27
	v_mul_lo_u32 v23, v17, s26
	v_add3_u32 v19, v23, v19, v22
	v_mad_u64_u32 v[20:21], s[12:13], v10, s26, v[20:21]
	v_mul_lo_u32 v22, v10, s27
	v_mul_lo_u32 v23, v11, s26
	v_add3_u32 v21, v23, v21, v22
	global_load_ubyte v22, v[18:19], off
	global_load_ubyte v23, v[20:21], off
	s_mov_b64 s[18:19], -1
	s_waitcnt vmcnt(0)
	v_cmp_eq_u16_e32 vcc, v22, v23
	s_and_saveexec_b64 s[12:13], vcc
	s_cbranch_execz .LBB369_87
; %bb.81:
	s_mov_b64 s[38:39], 1
	s_mov_b64 s[18:19], 0
                                        ; implicit-def: $sgpr36_sgpr37
	s_branch .LBB369_84
.LBB369_82:                             ;   in Loop: Header=BB369_84 Depth=1
	v_mov_b32_e32 v25, s39
	v_add_co_u32_e32 v22, vcc, s38, v18
	v_addc_co_u32_e32 v23, vcc, v19, v25, vcc
	v_add_co_u32_e32 v24, vcc, s38, v20
	v_addc_co_u32_e32 v25, vcc, v21, v25, vcc
	global_load_ubyte v27, v[22:23], off
	global_load_ubyte v28, v[24:25], off
	s_add_u32 s40, s38, 1
	s_addc_u32 s41, s39, 0
	s_andn2_b64 s[36:37], s[36:37], exec
	s_waitcnt vmcnt(0)
	v_cmp_ne_u16_e32 vcc, v27, v28
	s_and_b64 s[42:43], vcc, exec
	s_or_b64 s[36:37], s[36:37], s[42:43]
.LBB369_83:                             ;   in Loop: Header=BB369_84 Depth=1
	s_and_b64 s[42:43], exec, s[36:37]
	s_or_b64 s[18:19], s[42:43], s[18:19]
	v_pk_mov_b32 v[22:23], s[38:39], s[38:39] op_sel:[0,1]
	s_mov_b64 s[38:39], s[40:41]
	s_andn2_b64 exec, exec, s[18:19]
	s_cbranch_execz .LBB369_86
.LBB369_84:                             ; =>This Inner Loop Header: Depth=1
	s_or_b64 s[36:37], s[36:37], exec
	s_cmp_eq_u64 s[26:27], s[38:39]
	s_cbranch_scc0 .LBB369_82
; %bb.85:                               ;   in Loop: Header=BB369_84 Depth=1
                                        ; implicit-def: $sgpr40_sgpr41
	s_mov_b64 s[38:39], s[26:27]
	s_branch .LBB369_83
.LBB369_86:
	s_or_b64 exec, exec, s[18:19]
	v_cmp_gt_i64_e32 vcc, s[26:27], v[22:23]
	s_orn2_b64 s[18:19], vcc, exec
.LBB369_87:
	s_or_b64 exec, exec, s[12:13]
.LBB369_88:
	s_and_b64 s[12:13], s[18:19], exec
.LBB369_89:
	s_or_b64 exec, exec, s[14:15]
	v_or_b32_e32 v18, 1, v1
	v_cmp_gt_u32_e32 vcc, s7, v18
	s_mov_b64 s[18:19], 0
	s_and_saveexec_b64 s[14:15], vcc
	s_cbranch_execz .LBB369_100
; %bb.90:
	s_and_b64 vcc, exec, s[0:1]
	s_mov_b64 s[36:37], 0
	s_cbranch_vccnz .LBB369_99
; %bb.91:
	v_pk_mov_b32 v[20:21], s[28:29], s[28:29] op_sel:[0,1]
	v_mad_u64_u32 v[18:19], s[18:19], v14, s26, v[20:21]
	s_waitcnt lgkmcnt(0)
	v_mul_lo_u32 v22, v14, s27
	v_mul_lo_u32 v23, v15, s26
	v_add3_u32 v19, v23, v19, v22
	v_mad_u64_u32 v[20:21], s[18:19], v16, s26, v[20:21]
	v_mul_lo_u32 v22, v16, s27
	v_mul_lo_u32 v23, v17, s26
	v_add3_u32 v21, v23, v21, v22
	global_load_ubyte v22, v[18:19], off
	global_load_ubyte v23, v[20:21], off
	s_mov_b64 s[36:37], -1
	s_waitcnt vmcnt(0)
	v_cmp_eq_u16_e32 vcc, v22, v23
	s_and_saveexec_b64 s[18:19], vcc
	s_cbranch_execz .LBB369_98
; %bb.92:
	s_mov_b64 s[40:41], 1
	s_mov_b64 s[36:37], 0
                                        ; implicit-def: $sgpr38_sgpr39
	s_branch .LBB369_95
.LBB369_93:                             ;   in Loop: Header=BB369_95 Depth=1
	v_mov_b32_e32 v25, s41
	v_add_co_u32_e32 v22, vcc, s40, v18
	v_addc_co_u32_e32 v23, vcc, v19, v25, vcc
	v_add_co_u32_e32 v24, vcc, s40, v20
	v_addc_co_u32_e32 v25, vcc, v21, v25, vcc
	global_load_ubyte v27, v[22:23], off
	global_load_ubyte v28, v[24:25], off
	s_add_u32 s42, s40, 1
	s_addc_u32 s43, s41, 0
	s_andn2_b64 s[38:39], s[38:39], exec
	s_waitcnt vmcnt(0)
	v_cmp_ne_u16_e32 vcc, v27, v28
	s_and_b64 s[44:45], vcc, exec
	s_or_b64 s[38:39], s[38:39], s[44:45]
.LBB369_94:                             ;   in Loop: Header=BB369_95 Depth=1
	s_and_b64 s[44:45], exec, s[38:39]
	s_or_b64 s[36:37], s[44:45], s[36:37]
	v_pk_mov_b32 v[22:23], s[40:41], s[40:41] op_sel:[0,1]
	s_mov_b64 s[40:41], s[42:43]
	s_andn2_b64 exec, exec, s[36:37]
	s_cbranch_execz .LBB369_97
.LBB369_95:                             ; =>This Inner Loop Header: Depth=1
	s_or_b64 s[38:39], s[38:39], exec
	s_cmp_eq_u64 s[26:27], s[40:41]
	s_cbranch_scc0 .LBB369_93
; %bb.96:                               ;   in Loop: Header=BB369_95 Depth=1
                                        ; implicit-def: $sgpr42_sgpr43
	s_mov_b64 s[40:41], s[26:27]
	s_branch .LBB369_94
.LBB369_97:
	s_or_b64 exec, exec, s[36:37]
	v_cmp_gt_i64_e32 vcc, s[26:27], v[22:23]
	s_orn2_b64 s[36:37], vcc, exec
.LBB369_98:
	s_or_b64 exec, exec, s[18:19]
.LBB369_99:
	s_and_b64 s[18:19], s[36:37], exec
.LBB369_100:
	s_or_b64 exec, exec, s[14:15]
	v_cmp_ne_u32_e32 vcc, 0, v0
	s_waitcnt lgkmcnt(0)
	v_pk_mov_b32 v[20:21], s[2:3], s[2:3] op_sel:[0,1]
	s_barrier
	s_and_saveexec_b64 s[2:3], vcc
	s_cbranch_execz .LBB369_102
; %bb.101:
	v_add_u32_e32 v18, -8, v26
	ds_read_b64 v[20:21], v18
.LBB369_102:
	s_or_b64 exec, exec, s[2:3]
	v_cndmask_b32_e64 v19, 0, 1, s[10:11]
	v_cndmask_b32_e64 v18, 0, 1, s[12:13]
	;; [unrolled: 1-line block ×3, first 2 shown]
	v_lshlrev_b16_e32 v19, 8, v19
	v_lshlrev_b16_e32 v24, 8, v22
	v_or_b32_sdwa v25, v18, v19 dst_sel:WORD_1 dst_unused:UNUSED_PAD src0_sel:DWORD src1_sel:DWORD
	v_cmp_gt_u32_e32 vcc, s7, v1
	s_mov_b64 s[12:13], 0
	s_and_saveexec_b64 s[2:3], vcc
	s_cbranch_execz .LBB369_113
; %bb.103:
	s_and_b64 vcc, exec, s[0:1]
	s_mov_b64 s[10:11], 0
	s_cbranch_vccnz .LBB369_112
; %bb.104:
	v_pk_mov_b32 v[22:23], s[28:29], s[28:29] op_sel:[0,1]
	s_waitcnt lgkmcnt(0)
	v_mad_u64_u32 v[18:19], s[0:1], v20, s26, v[22:23]
	v_mul_lo_u32 v20, v20, s27
	v_mul_lo_u32 v21, v21, s26
	v_add3_u32 v19, v21, v19, v20
	v_mad_u64_u32 v[20:21], s[0:1], v14, s26, v[22:23]
	v_mul_lo_u32 v22, v14, s27
	v_mul_lo_u32 v23, v15, s26
	v_add3_u32 v21, v23, v21, v22
	global_load_ubyte v22, v[18:19], off
	global_load_ubyte v23, v[20:21], off
	s_mov_b64 s[10:11], -1
	s_waitcnt vmcnt(0)
	v_cmp_eq_u16_e32 vcc, v22, v23
	s_and_saveexec_b64 s[0:1], vcc
	s_cbranch_execz .LBB369_111
; %bb.105:
	s_mov_b64 s[14:15], 1
	s_mov_b64 s[10:11], 0
                                        ; implicit-def: $sgpr12_sgpr13
	s_branch .LBB369_108
.LBB369_106:                            ;   in Loop: Header=BB369_108 Depth=1
	v_mov_b32_e32 v27, s15
	v_add_co_u32_e32 v22, vcc, s14, v18
	v_addc_co_u32_e32 v23, vcc, v19, v27, vcc
	v_add_co_u32_e32 v26, vcc, s14, v20
	v_addc_co_u32_e32 v27, vcc, v21, v27, vcc
	global_load_ubyte v28, v[22:23], off
	global_load_ubyte v29, v[26:27], off
	s_add_u32 s18, s14, 1
	s_addc_u32 s19, s15, 0
	s_andn2_b64 s[12:13], s[12:13], exec
	s_waitcnt vmcnt(0)
	v_cmp_ne_u16_e32 vcc, v28, v29
	s_and_b64 s[36:37], vcc, exec
	s_or_b64 s[12:13], s[12:13], s[36:37]
.LBB369_107:                            ;   in Loop: Header=BB369_108 Depth=1
	s_and_b64 s[36:37], exec, s[12:13]
	s_or_b64 s[10:11], s[36:37], s[10:11]
	v_pk_mov_b32 v[22:23], s[14:15], s[14:15] op_sel:[0,1]
	s_mov_b64 s[14:15], s[18:19]
	s_andn2_b64 exec, exec, s[10:11]
	s_cbranch_execz .LBB369_110
.LBB369_108:                            ; =>This Inner Loop Header: Depth=1
	s_or_b64 s[12:13], s[12:13], exec
	s_cmp_eq_u64 s[26:27], s[14:15]
	s_cbranch_scc0 .LBB369_106
; %bb.109:                              ;   in Loop: Header=BB369_108 Depth=1
                                        ; implicit-def: $sgpr18_sgpr19
	s_mov_b64 s[14:15], s[26:27]
	s_branch .LBB369_107
.LBB369_110:
	s_or_b64 exec, exec, s[10:11]
	v_cmp_gt_i64_e32 vcc, s[26:27], v[22:23]
	s_orn2_b64 s[10:11], vcc, exec
.LBB369_111:
	s_or_b64 exec, exec, s[0:1]
.LBB369_112:
	s_and_b64 s[12:13], s[10:11], exec
.LBB369_113:
	s_or_b64 exec, exec, s[2:3]
	v_or_b32_e32 v28, v24, v25
.LBB369_114:
	s_mov_b64 s[10:11], -1
	s_cbranch_execnz .LBB369_203
.LBB369_115:
	v_lshlrev_b32_e32 v26, 3, v0
	s_mov_b64 s[12:13], 0
	s_waitcnt lgkmcnt(0)
	v_cmp_gt_i64_e64 s[2:3], s[26:27], 0
	s_and_b64 vcc, exec, s[34:35]
	ds_write_b64 v26, v[12:13]
	s_cbranch_vccz .LBB369_123
; %bb.116:
	v_mul_lo_u32 v20, v11, s26
	v_mul_lo_u32 v21, v10, s27
	v_mad_u64_u32 v[18:19], s[0:1], v10, s26, 0
	v_cndmask_b32_e64 v22, 0, 1, s[2:3]
	v_cmp_ne_u32_e64 s[0:1], 1, v22
	s_andn2_b64 vcc, exec, s[2:3]
	v_add3_u32 v19, v19, v21, v20
	s_cbranch_vccnz .LBB369_126
; %bb.117:
	v_mov_b32_e32 v21, s29
	v_add_co_u32_e32 v20, vcc, s28, v18
	v_pk_mov_b32 v[22:23], s[28:29], s[28:29] op_sel:[0,1]
	v_addc_co_u32_e32 v21, vcc, v21, v19, vcc
	v_mad_u64_u32 v[22:23], s[12:13], v12, s26, v[22:23]
	v_mul_lo_u32 v24, v12, s27
	v_mul_lo_u32 v25, v13, s26
	v_add3_u32 v23, v25, v23, v24
	global_load_ubyte v24, v[20:21], off
	global_load_ubyte v25, v[22:23], off
	s_mov_b64 s[12:13], -1
	s_waitcnt vmcnt(0)
	v_cmp_eq_u16_e32 vcc, v24, v25
	s_and_saveexec_b64 s[14:15], vcc
	s_cbranch_execz .LBB369_125
; %bb.118:
	s_mov_b64 s[36:37], 1
	s_mov_b64 s[12:13], 0
                                        ; implicit-def: $sgpr18_sgpr19
	s_branch .LBB369_121
.LBB369_119:                            ;   in Loop: Header=BB369_121 Depth=1
	v_mov_b32_e32 v27, s37
	v_add_co_u32_e32 v24, vcc, s36, v20
	v_addc_co_u32_e32 v25, vcc, v21, v27, vcc
	v_add_co_u32_e32 v28, vcc, s36, v22
	v_addc_co_u32_e32 v29, vcc, v23, v27, vcc
	global_load_ubyte v27, v[24:25], off
	global_load_ubyte v30, v[28:29], off
	s_add_u32 s38, s36, 1
	s_addc_u32 s39, s37, 0
	s_andn2_b64 s[18:19], s[18:19], exec
	s_waitcnt vmcnt(0)
	v_cmp_ne_u16_e32 vcc, v27, v30
	s_and_b64 s[40:41], vcc, exec
	s_or_b64 s[18:19], s[18:19], s[40:41]
.LBB369_120:                            ;   in Loop: Header=BB369_121 Depth=1
	s_and_b64 s[40:41], exec, s[18:19]
	s_or_b64 s[12:13], s[40:41], s[12:13]
	v_pk_mov_b32 v[24:25], s[36:37], s[36:37] op_sel:[0,1]
	s_mov_b64 s[36:37], s[38:39]
	s_andn2_b64 exec, exec, s[12:13]
	s_cbranch_execz .LBB369_124
.LBB369_121:                            ; =>This Inner Loop Header: Depth=1
	s_or_b64 s[18:19], s[18:19], exec
	s_cmp_eq_u64 s[26:27], s[36:37]
	s_cbranch_scc0 .LBB369_119
; %bb.122:                              ;   in Loop: Header=BB369_121 Depth=1
                                        ; implicit-def: $sgpr38_sgpr39
	s_mov_b64 s[36:37], s[26:27]
	s_branch .LBB369_120
.LBB369_123:
                                        ; implicit-def: $sgpr12_sgpr13
                                        ; implicit-def: $vgpr28
	s_cbranch_execnz .LBB369_156
	s_branch .LBB369_203
.LBB369_124:
	s_or_b64 exec, exec, s[12:13]
	v_cmp_gt_i64_e32 vcc, s[26:27], v[24:25]
	s_orn2_b64 s[12:13], vcc, exec
.LBB369_125:
	s_or_b64 exec, exec, s[14:15]
.LBB369_126:
	v_mul_lo_u32 v22, v17, s26
	v_mul_lo_u32 v23, v16, s27
	v_mad_u64_u32 v[20:21], s[14:15], v16, s26, 0
	v_add3_u32 v21, v21, v23, v22
	s_mov_b64 s[14:15], 0
	s_and_b64 vcc, exec, s[0:1]
	s_mov_b64 s[18:19], 0
	s_cbranch_vccnz .LBB369_135
; %bb.127:
	v_mov_b32_e32 v23, s29
	v_add_co_u32_e32 v22, vcc, s28, v20
	v_addc_co_u32_e32 v23, vcc, v23, v21, vcc
	v_mov_b32_e32 v24, s29
	v_add_co_u32_e32 v18, vcc, s28, v18
	v_addc_co_u32_e32 v19, vcc, v24, v19, vcc
	global_load_ubyte v24, v[22:23], off
	global_load_ubyte v25, v[18:19], off
	s_mov_b64 s[18:19], -1
	s_waitcnt vmcnt(0)
	v_cmp_eq_u16_e32 vcc, v24, v25
	s_and_saveexec_b64 s[36:37], vcc
	s_cbranch_execz .LBB369_134
; %bb.128:
	s_mov_b64 s[40:41], 1
	s_mov_b64 s[18:19], 0
                                        ; implicit-def: $sgpr38_sgpr39
	s_branch .LBB369_131
.LBB369_129:                            ;   in Loop: Header=BB369_131 Depth=1
	v_mov_b32_e32 v27, s41
	v_add_co_u32_e32 v24, vcc, s40, v22
	v_addc_co_u32_e32 v25, vcc, v23, v27, vcc
	v_add_co_u32_e32 v28, vcc, s40, v18
	v_addc_co_u32_e32 v29, vcc, v19, v27, vcc
	global_load_ubyte v27, v[24:25], off
	global_load_ubyte v30, v[28:29], off
	s_add_u32 s42, s40, 1
	s_addc_u32 s43, s41, 0
	s_andn2_b64 s[38:39], s[38:39], exec
	s_waitcnt vmcnt(0)
	v_cmp_ne_u16_e32 vcc, v27, v30
	s_and_b64 s[44:45], vcc, exec
	s_or_b64 s[38:39], s[38:39], s[44:45]
.LBB369_130:                            ;   in Loop: Header=BB369_131 Depth=1
	s_and_b64 s[44:45], exec, s[38:39]
	s_or_b64 s[18:19], s[44:45], s[18:19]
	v_pk_mov_b32 v[24:25], s[40:41], s[40:41] op_sel:[0,1]
	s_mov_b64 s[40:41], s[42:43]
	s_andn2_b64 exec, exec, s[18:19]
	s_cbranch_execz .LBB369_133
.LBB369_131:                            ; =>This Inner Loop Header: Depth=1
	s_or_b64 s[38:39], s[38:39], exec
	s_cmp_eq_u64 s[26:27], s[40:41]
	s_cbranch_scc0 .LBB369_129
; %bb.132:                              ;   in Loop: Header=BB369_131 Depth=1
                                        ; implicit-def: $sgpr42_sgpr43
	s_mov_b64 s[40:41], s[26:27]
	s_branch .LBB369_130
.LBB369_133:
	s_or_b64 exec, exec, s[18:19]
	v_cmp_gt_i64_e32 vcc, s[26:27], v[24:25]
	s_orn2_b64 s[18:19], vcc, exec
.LBB369_134:
	s_or_b64 exec, exec, s[36:37]
.LBB369_135:
	v_mul_lo_u32 v22, v15, s26
	v_mul_lo_u32 v23, v14, s27
	v_mad_u64_u32 v[18:19], s[36:37], v14, s26, 0
	s_and_b64 vcc, exec, s[0:1]
	v_add3_u32 v19, v19, v23, v22
	s_cbranch_vccnz .LBB369_144
; %bb.136:
	v_mov_b32_e32 v23, s29
	v_add_co_u32_e32 v22, vcc, s28, v18
	v_addc_co_u32_e32 v23, vcc, v23, v19, vcc
	v_mov_b32_e32 v24, s29
	v_add_co_u32_e32 v20, vcc, s28, v20
	v_addc_co_u32_e32 v21, vcc, v24, v21, vcc
	global_load_ubyte v24, v[22:23], off
	global_load_ubyte v25, v[20:21], off
	s_mov_b64 s[14:15], -1
	s_waitcnt vmcnt(0)
	v_cmp_eq_u16_e32 vcc, v24, v25
	s_and_saveexec_b64 s[36:37], vcc
	s_cbranch_execz .LBB369_143
; %bb.137:
	s_mov_b64 s[40:41], 1
	s_mov_b64 s[14:15], 0
                                        ; implicit-def: $sgpr38_sgpr39
	s_branch .LBB369_140
.LBB369_138:                            ;   in Loop: Header=BB369_140 Depth=1
	v_mov_b32_e32 v27, s41
	v_add_co_u32_e32 v24, vcc, s40, v22
	v_addc_co_u32_e32 v25, vcc, v23, v27, vcc
	v_add_co_u32_e32 v28, vcc, s40, v20
	v_addc_co_u32_e32 v29, vcc, v21, v27, vcc
	global_load_ubyte v27, v[24:25], off
	global_load_ubyte v30, v[28:29], off
	s_add_u32 s42, s40, 1
	s_addc_u32 s43, s41, 0
	s_andn2_b64 s[38:39], s[38:39], exec
	s_waitcnt vmcnt(0)
	v_cmp_ne_u16_e32 vcc, v27, v30
	s_and_b64 s[44:45], vcc, exec
	s_or_b64 s[38:39], s[38:39], s[44:45]
.LBB369_139:                            ;   in Loop: Header=BB369_140 Depth=1
	s_and_b64 s[44:45], exec, s[38:39]
	s_or_b64 s[14:15], s[44:45], s[14:15]
	v_pk_mov_b32 v[24:25], s[40:41], s[40:41] op_sel:[0,1]
	s_mov_b64 s[40:41], s[42:43]
	s_andn2_b64 exec, exec, s[14:15]
	s_cbranch_execz .LBB369_142
.LBB369_140:                            ; =>This Inner Loop Header: Depth=1
	s_or_b64 s[38:39], s[38:39], exec
	s_cmp_eq_u64 s[26:27], s[40:41]
	s_cbranch_scc0 .LBB369_138
; %bb.141:                              ;   in Loop: Header=BB369_140 Depth=1
                                        ; implicit-def: $sgpr42_sgpr43
	s_mov_b64 s[40:41], s[26:27]
	s_branch .LBB369_139
.LBB369_142:
	s_or_b64 exec, exec, s[14:15]
	v_cmp_gt_i64_e32 vcc, s[26:27], v[24:25]
	s_orn2_b64 s[14:15], vcc, exec
.LBB369_143:
	s_or_b64 exec, exec, s[36:37]
.LBB369_144:
	v_cndmask_b32_e64 v21, 0, 1, s[12:13]
	v_cndmask_b32_e64 v22, 0, 1, s[14:15]
	v_cndmask_b32_e64 v20, 0, 1, s[18:19]
	v_lshlrev_b16_e32 v22, 8, v22
	v_lshlrev_b16_e32 v21, 8, v21
	v_or_b32_e32 v22, 1, v22
	v_or_b32_sdwa v20, v20, v21 dst_sel:WORD_1 dst_unused:UNUSED_PAD src0_sel:DWORD src1_sel:DWORD
	v_or_b32_sdwa v28, v22, v20 dst_sel:DWORD dst_unused:UNUSED_PAD src0_sel:WORD_0 src1_sel:DWORD
	v_cmp_ne_u32_e32 vcc, 0, v0
	s_waitcnt lgkmcnt(0)
	s_barrier
	s_waitcnt lgkmcnt(0)
                                        ; implicit-def: $sgpr12_sgpr13
	s_and_saveexec_b64 s[14:15], vcc
	s_xor_b64 s[14:15], exec, s[14:15]
	s_cbranch_execz .LBB369_155
; %bb.145:
	s_and_b64 vcc, exec, s[0:1]
	s_mov_b64 s[12:13], 0
	s_cbranch_vccnz .LBB369_154
; %bb.146:
	v_add_u32_e32 v20, -8, v26
	ds_read_b64 v[20:21], v20
	v_pk_mov_b32 v[22:23], s[28:29], s[28:29] op_sel:[0,1]
	v_add_co_u32_e32 v18, vcc, s28, v18
	s_mov_b64 s[12:13], -1
	s_waitcnt lgkmcnt(0)
	v_mul_lo_u32 v24, v20, s27
	v_mul_lo_u32 v25, v21, s26
	v_mad_u64_u32 v[20:21], s[0:1], v20, s26, v[22:23]
	v_mov_b32_e32 v22, s29
	v_addc_co_u32_e32 v19, vcc, v22, v19, vcc
	v_add3_u32 v21, v25, v21, v24
	global_load_ubyte v22, v[18:19], off
	global_load_ubyte v23, v[20:21], off
	s_waitcnt vmcnt(0)
	v_cmp_eq_u16_e32 vcc, v23, v22
	s_and_saveexec_b64 s[0:1], vcc
	s_cbranch_execz .LBB369_153
; %bb.147:
	s_mov_b64 s[36:37], 1
	s_mov_b64 s[12:13], 0
                                        ; implicit-def: $sgpr18_sgpr19
	s_branch .LBB369_150
.LBB369_148:                            ;   in Loop: Header=BB369_150 Depth=1
	v_mov_b32_e32 v25, s37
	v_add_co_u32_e32 v22, vcc, s36, v20
	v_addc_co_u32_e32 v23, vcc, v21, v25, vcc
	v_add_co_u32_e32 v24, vcc, s36, v18
	v_addc_co_u32_e32 v25, vcc, v19, v25, vcc
	global_load_ubyte v27, v[22:23], off
	global_load_ubyte v29, v[24:25], off
	s_add_u32 s38, s36, 1
	s_addc_u32 s39, s37, 0
	s_andn2_b64 s[18:19], s[18:19], exec
	s_waitcnt vmcnt(0)
	v_cmp_ne_u16_e32 vcc, v27, v29
	s_and_b64 s[40:41], vcc, exec
	s_or_b64 s[18:19], s[18:19], s[40:41]
.LBB369_149:                            ;   in Loop: Header=BB369_150 Depth=1
	s_and_b64 s[40:41], exec, s[18:19]
	s_or_b64 s[12:13], s[40:41], s[12:13]
	v_pk_mov_b32 v[22:23], s[36:37], s[36:37] op_sel:[0,1]
	s_mov_b64 s[36:37], s[38:39]
	s_andn2_b64 exec, exec, s[12:13]
	s_cbranch_execz .LBB369_152
.LBB369_150:                            ; =>This Inner Loop Header: Depth=1
	s_or_b64 s[18:19], s[18:19], exec
	s_cmp_eq_u64 s[26:27], s[36:37]
	s_cbranch_scc0 .LBB369_148
; %bb.151:                              ;   in Loop: Header=BB369_150 Depth=1
                                        ; implicit-def: $sgpr38_sgpr39
	s_mov_b64 s[36:37], s[26:27]
	s_branch .LBB369_149
.LBB369_152:
	s_or_b64 exec, exec, s[12:13]
	v_cmp_gt_i64_e32 vcc, s[26:27], v[22:23]
	s_orn2_b64 s[12:13], vcc, exec
.LBB369_153:
	s_or_b64 exec, exec, s[0:1]
.LBB369_154:
	s_and_b64 s[12:13], s[12:13], exec
	s_or_b64 s[10:11], s[10:11], exec
.LBB369_155:
	s_or_b64 exec, exec, s[14:15]
	s_branch .LBB369_203
.LBB369_156:
	v_or_b32_e32 v18, 3, v1
	v_cmp_gt_u32_e32 vcc, s7, v18
	s_mov_b64 s[12:13], 0
	s_mov_b64 s[0:1], 0
	s_and_saveexec_b64 s[14:15], vcc
	s_cbranch_execz .LBB369_167
; %bb.157:
	s_andn2_b64 vcc, exec, s[2:3]
	s_mov_b64 s[18:19], 0
	s_cbranch_vccnz .LBB369_166
; %bb.158:
	v_pk_mov_b32 v[20:21], s[28:29], s[28:29] op_sel:[0,1]
	v_mad_u64_u32 v[18:19], s[0:1], v10, s26, v[20:21]
	v_mul_lo_u32 v22, v10, s27
	v_mul_lo_u32 v23, v11, s26
	v_add3_u32 v19, v23, v19, v22
	v_mad_u64_u32 v[20:21], s[0:1], v12, s26, v[20:21]
	v_mul_lo_u32 v22, v12, s27
	v_mul_lo_u32 v23, v13, s26
	v_add3_u32 v21, v23, v21, v22
	global_load_ubyte v22, v[18:19], off
	global_load_ubyte v23, v[20:21], off
	s_mov_b64 s[18:19], -1
	s_waitcnt vmcnt(0)
	v_cmp_eq_u16_e32 vcc, v22, v23
	s_and_saveexec_b64 s[0:1], vcc
	s_cbranch_execz .LBB369_165
; %bb.159:
	s_mov_b64 s[38:39], 1
	s_mov_b64 s[18:19], 0
                                        ; implicit-def: $sgpr36_sgpr37
	s_branch .LBB369_162
.LBB369_160:                            ;   in Loop: Header=BB369_162 Depth=1
	v_mov_b32_e32 v25, s39
	v_add_co_u32_e32 v22, vcc, s38, v18
	v_addc_co_u32_e32 v23, vcc, v19, v25, vcc
	v_add_co_u32_e32 v24, vcc, s38, v20
	v_addc_co_u32_e32 v25, vcc, v21, v25, vcc
	global_load_ubyte v27, v[22:23], off
	global_load_ubyte v28, v[24:25], off
	s_add_u32 s40, s38, 1
	s_addc_u32 s41, s39, 0
	s_andn2_b64 s[36:37], s[36:37], exec
	s_waitcnt vmcnt(0)
	v_cmp_ne_u16_e32 vcc, v27, v28
	s_and_b64 s[42:43], vcc, exec
	s_or_b64 s[36:37], s[36:37], s[42:43]
.LBB369_161:                            ;   in Loop: Header=BB369_162 Depth=1
	s_and_b64 s[42:43], exec, s[36:37]
	s_or_b64 s[18:19], s[42:43], s[18:19]
	v_pk_mov_b32 v[22:23], s[38:39], s[38:39] op_sel:[0,1]
	s_mov_b64 s[38:39], s[40:41]
	s_andn2_b64 exec, exec, s[18:19]
	s_cbranch_execz .LBB369_164
.LBB369_162:                            ; =>This Inner Loop Header: Depth=1
	s_or_b64 s[36:37], s[36:37], exec
	s_cmp_eq_u64 s[26:27], s[38:39]
	s_cbranch_scc0 .LBB369_160
; %bb.163:                              ;   in Loop: Header=BB369_162 Depth=1
                                        ; implicit-def: $sgpr40_sgpr41
	s_mov_b64 s[38:39], s[26:27]
	s_branch .LBB369_161
.LBB369_164:
	s_or_b64 exec, exec, s[18:19]
	v_cmp_gt_i64_e32 vcc, s[26:27], v[22:23]
	s_orn2_b64 s[18:19], vcc, exec
.LBB369_165:
	s_or_b64 exec, exec, s[0:1]
.LBB369_166:
	s_and_b64 s[0:1], s[18:19], exec
.LBB369_167:
	s_or_b64 exec, exec, s[14:15]
	v_or_b32_e32 v18, 2, v1
	v_cmp_gt_u32_e32 vcc, s7, v18
	s_and_saveexec_b64 s[14:15], vcc
	s_cbranch_execz .LBB369_178
; %bb.168:
	s_andn2_b64 vcc, exec, s[2:3]
	s_mov_b64 s[18:19], 0
	s_cbranch_vccnz .LBB369_177
; %bb.169:
	v_pk_mov_b32 v[20:21], s[28:29], s[28:29] op_sel:[0,1]
	v_mad_u64_u32 v[18:19], s[12:13], v16, s26, v[20:21]
	v_mul_lo_u32 v22, v16, s27
	v_mul_lo_u32 v23, v17, s26
	v_add3_u32 v19, v23, v19, v22
	v_mad_u64_u32 v[20:21], s[12:13], v10, s26, v[20:21]
	v_mul_lo_u32 v22, v10, s27
	v_mul_lo_u32 v23, v11, s26
	v_add3_u32 v21, v23, v21, v22
	global_load_ubyte v22, v[18:19], off
	global_load_ubyte v23, v[20:21], off
	s_mov_b64 s[18:19], -1
	s_waitcnt vmcnt(0)
	v_cmp_eq_u16_e32 vcc, v22, v23
	s_and_saveexec_b64 s[12:13], vcc
	s_cbranch_execz .LBB369_176
; %bb.170:
	s_mov_b64 s[38:39], 1
	s_mov_b64 s[18:19], 0
                                        ; implicit-def: $sgpr36_sgpr37
	s_branch .LBB369_173
.LBB369_171:                            ;   in Loop: Header=BB369_173 Depth=1
	v_mov_b32_e32 v25, s39
	v_add_co_u32_e32 v22, vcc, s38, v18
	v_addc_co_u32_e32 v23, vcc, v19, v25, vcc
	v_add_co_u32_e32 v24, vcc, s38, v20
	v_addc_co_u32_e32 v25, vcc, v21, v25, vcc
	global_load_ubyte v27, v[22:23], off
	global_load_ubyte v28, v[24:25], off
	s_add_u32 s40, s38, 1
	s_addc_u32 s41, s39, 0
	s_andn2_b64 s[36:37], s[36:37], exec
	s_waitcnt vmcnt(0)
	v_cmp_ne_u16_e32 vcc, v27, v28
	s_and_b64 s[42:43], vcc, exec
	s_or_b64 s[36:37], s[36:37], s[42:43]
.LBB369_172:                            ;   in Loop: Header=BB369_173 Depth=1
	s_and_b64 s[42:43], exec, s[36:37]
	s_or_b64 s[18:19], s[42:43], s[18:19]
	v_pk_mov_b32 v[22:23], s[38:39], s[38:39] op_sel:[0,1]
	s_mov_b64 s[38:39], s[40:41]
	s_andn2_b64 exec, exec, s[18:19]
	s_cbranch_execz .LBB369_175
.LBB369_173:                            ; =>This Inner Loop Header: Depth=1
	s_or_b64 s[36:37], s[36:37], exec
	s_cmp_eq_u64 s[26:27], s[38:39]
	s_cbranch_scc0 .LBB369_171
; %bb.174:                              ;   in Loop: Header=BB369_173 Depth=1
                                        ; implicit-def: $sgpr40_sgpr41
	s_mov_b64 s[38:39], s[26:27]
	s_branch .LBB369_172
.LBB369_175:
	s_or_b64 exec, exec, s[18:19]
	v_cmp_gt_i64_e32 vcc, s[26:27], v[22:23]
	s_orn2_b64 s[18:19], vcc, exec
.LBB369_176:
	s_or_b64 exec, exec, s[12:13]
.LBB369_177:
	s_and_b64 s[12:13], s[18:19], exec
.LBB369_178:
	s_or_b64 exec, exec, s[14:15]
	v_or_b32_e32 v18, 1, v1
	v_cmp_gt_u32_e32 vcc, s7, v18
	s_mov_b64 s[18:19], 0
	s_and_saveexec_b64 s[14:15], vcc
	s_cbranch_execz .LBB369_189
; %bb.179:
	s_andn2_b64 vcc, exec, s[2:3]
	s_mov_b64 s[36:37], 0
	s_cbranch_vccnz .LBB369_188
; %bb.180:
	v_pk_mov_b32 v[20:21], s[28:29], s[28:29] op_sel:[0,1]
	v_mad_u64_u32 v[18:19], s[18:19], v14, s26, v[20:21]
	v_mul_lo_u32 v22, v14, s27
	v_mul_lo_u32 v23, v15, s26
	v_add3_u32 v19, v23, v19, v22
	v_mad_u64_u32 v[20:21], s[18:19], v16, s26, v[20:21]
	v_mul_lo_u32 v22, v16, s27
	v_mul_lo_u32 v23, v17, s26
	v_add3_u32 v21, v23, v21, v22
	global_load_ubyte v22, v[18:19], off
	global_load_ubyte v23, v[20:21], off
	s_mov_b64 s[36:37], -1
	s_waitcnt vmcnt(0)
	v_cmp_eq_u16_e32 vcc, v22, v23
	s_and_saveexec_b64 s[18:19], vcc
	s_cbranch_execz .LBB369_187
; %bb.181:
	s_mov_b64 s[40:41], 1
	s_mov_b64 s[36:37], 0
                                        ; implicit-def: $sgpr38_sgpr39
	s_branch .LBB369_184
.LBB369_182:                            ;   in Loop: Header=BB369_184 Depth=1
	v_mov_b32_e32 v25, s41
	v_add_co_u32_e32 v22, vcc, s40, v18
	v_addc_co_u32_e32 v23, vcc, v19, v25, vcc
	v_add_co_u32_e32 v24, vcc, s40, v20
	v_addc_co_u32_e32 v25, vcc, v21, v25, vcc
	global_load_ubyte v27, v[22:23], off
	global_load_ubyte v28, v[24:25], off
	s_add_u32 s42, s40, 1
	s_addc_u32 s43, s41, 0
	s_andn2_b64 s[38:39], s[38:39], exec
	s_waitcnt vmcnt(0)
	v_cmp_ne_u16_e32 vcc, v27, v28
	s_and_b64 s[44:45], vcc, exec
	s_or_b64 s[38:39], s[38:39], s[44:45]
.LBB369_183:                            ;   in Loop: Header=BB369_184 Depth=1
	s_and_b64 s[44:45], exec, s[38:39]
	s_or_b64 s[36:37], s[44:45], s[36:37]
	v_pk_mov_b32 v[22:23], s[40:41], s[40:41] op_sel:[0,1]
	s_mov_b64 s[40:41], s[42:43]
	s_andn2_b64 exec, exec, s[36:37]
	s_cbranch_execz .LBB369_186
.LBB369_184:                            ; =>This Inner Loop Header: Depth=1
	s_or_b64 s[38:39], s[38:39], exec
	s_cmp_eq_u64 s[26:27], s[40:41]
	s_cbranch_scc0 .LBB369_182
; %bb.185:                              ;   in Loop: Header=BB369_184 Depth=1
                                        ; implicit-def: $sgpr42_sgpr43
	s_mov_b64 s[40:41], s[26:27]
	s_branch .LBB369_183
.LBB369_186:
	s_or_b64 exec, exec, s[36:37]
	v_cmp_gt_i64_e32 vcc, s[26:27], v[22:23]
	s_orn2_b64 s[36:37], vcc, exec
.LBB369_187:
	s_or_b64 exec, exec, s[18:19]
.LBB369_188:
	s_and_b64 s[18:19], s[36:37], exec
.LBB369_189:
	s_or_b64 exec, exec, s[14:15]
	v_cndmask_b32_e64 v19, 0, 1, s[0:1]
	v_cndmask_b32_e64 v20, 0, 1, s[18:19]
	;; [unrolled: 1-line block ×3, first 2 shown]
	v_lshlrev_b16_e32 v20, 8, v20
	v_lshlrev_b16_e32 v19, 8, v19
	v_or_b32_e32 v20, 1, v20
	v_or_b32_sdwa v18, v18, v19 dst_sel:WORD_1 dst_unused:UNUSED_PAD src0_sel:DWORD src1_sel:DWORD
	v_or_b32_sdwa v28, v20, v18 dst_sel:DWORD dst_unused:UNUSED_PAD src0_sel:WORD_0 src1_sel:DWORD
	v_cmp_ne_u32_e32 vcc, 0, v0
	s_waitcnt lgkmcnt(0)
	s_barrier
	s_waitcnt lgkmcnt(0)
                                        ; implicit-def: $sgpr12_sgpr13
	s_and_saveexec_b64 s[0:1], vcc
	s_cbranch_execz .LBB369_202
; %bb.190:
	v_cmp_gt_u32_e32 vcc, s7, v1
	s_mov_b64 s[14:15], 0
	s_and_saveexec_b64 s[12:13], vcc
	s_cbranch_execz .LBB369_201
; %bb.191:
	s_andn2_b64 vcc, exec, s[2:3]
	s_cbranch_vccnz .LBB369_200
; %bb.192:
	v_add_u32_e32 v18, -8, v26
	ds_read_b64 v[18:19], v18
	v_pk_mov_b32 v[20:21], s[28:29], s[28:29] op_sel:[0,1]
	s_mov_b64 s[14:15], -1
	s_waitcnt lgkmcnt(0)
	v_mul_lo_u32 v22, v18, s27
	v_mul_lo_u32 v23, v19, s26
	v_mad_u64_u32 v[18:19], s[2:3], v18, s26, v[20:21]
	v_add3_u32 v19, v23, v19, v22
	v_mad_u64_u32 v[20:21], s[2:3], v14, s26, v[20:21]
	v_mul_lo_u32 v22, v14, s27
	v_mul_lo_u32 v23, v15, s26
	v_add3_u32 v21, v23, v21, v22
	global_load_ubyte v22, v[18:19], off
	global_load_ubyte v23, v[20:21], off
	s_waitcnt vmcnt(0)
	v_cmp_eq_u16_e32 vcc, v22, v23
	s_and_saveexec_b64 s[2:3], vcc
	s_cbranch_execz .LBB369_199
; %bb.193:
	s_mov_b64 s[28:29], 1
	s_mov_b64 s[14:15], 0
                                        ; implicit-def: $sgpr18_sgpr19
	s_branch .LBB369_196
.LBB369_194:                            ;   in Loop: Header=BB369_196 Depth=1
	v_mov_b32_e32 v25, s29
	v_add_co_u32_e32 v22, vcc, s28, v18
	v_addc_co_u32_e32 v23, vcc, v19, v25, vcc
	v_add_co_u32_e32 v24, vcc, s28, v20
	v_addc_co_u32_e32 v25, vcc, v21, v25, vcc
	global_load_ubyte v26, v[22:23], off
	global_load_ubyte v27, v[24:25], off
	s_add_u32 s36, s28, 1
	s_addc_u32 s37, s29, 0
	s_andn2_b64 s[18:19], s[18:19], exec
	s_waitcnt vmcnt(0)
	v_cmp_ne_u16_e32 vcc, v26, v27
	s_and_b64 s[38:39], vcc, exec
	s_or_b64 s[18:19], s[18:19], s[38:39]
.LBB369_195:                            ;   in Loop: Header=BB369_196 Depth=1
	s_and_b64 s[38:39], exec, s[18:19]
	s_or_b64 s[14:15], s[38:39], s[14:15]
	v_pk_mov_b32 v[22:23], s[28:29], s[28:29] op_sel:[0,1]
	s_mov_b64 s[28:29], s[36:37]
	s_andn2_b64 exec, exec, s[14:15]
	s_cbranch_execz .LBB369_198
.LBB369_196:                            ; =>This Inner Loop Header: Depth=1
	s_or_b64 s[18:19], s[18:19], exec
	s_cmp_eq_u64 s[26:27], s[28:29]
	s_cbranch_scc0 .LBB369_194
; %bb.197:                              ;   in Loop: Header=BB369_196 Depth=1
                                        ; implicit-def: $sgpr36_sgpr37
	s_mov_b64 s[28:29], s[26:27]
	s_branch .LBB369_195
.LBB369_198:
	s_or_b64 exec, exec, s[14:15]
	v_cmp_gt_i64_e32 vcc, s[26:27], v[22:23]
	s_orn2_b64 s[14:15], vcc, exec
.LBB369_199:
	s_or_b64 exec, exec, s[2:3]
.LBB369_200:
	s_and_b64 s[14:15], s[14:15], exec
.LBB369_201:
	s_or_b64 exec, exec, s[12:13]
	s_and_b64 s[12:13], s[14:15], exec
	s_or_b64 s[10:11], s[10:11], exec
.LBB369_202:
	s_or_b64 exec, exec, s[0:1]
.LBB369_203:
	s_and_saveexec_b64 s[0:1], s[10:11]
	s_cbranch_execz .LBB369_205
; %bb.204:
	v_and_b32_e32 v18, 0xffffff00, v28
	v_cndmask_b32_e64 v19, 0, 1, s[12:13]
	v_or_b32_e32 v18, v19, v18
	v_and_b32_e32 v18, 0xffff, v18
	s_waitcnt lgkmcnt(0)
	s_mov_b32 s2, 0xffff0000
	v_and_or_b32 v28, v28, s2, v18
.LBB369_205:
	s_or_b64 exec, exec, s[0:1]
	s_andn2_b64 vcc, exec, s[8:9]
	s_cbranch_vccnz .LBB369_207
; %bb.206:
	v_cmp_gt_u32_e32 vcc, s7, v1
	v_cndmask_b32_e32 v18, 0, v28, vcc
	v_or_b32_e32 v19, 1, v1
	v_and_b32_e32 v18, 0xff, v18
	v_cmp_gt_u32_e32 vcc, s7, v19
	v_cndmask_b32_e32 v18, v18, v28, vcc
	v_or_b32_e32 v19, 2, v1
	v_and_b32_e32 v18, 0xffff, v18
	;; [unrolled: 4-line block ×3, first 2 shown]
	v_cmp_gt_u32_e32 vcc, s7, v19
	v_cndmask_b32_e32 v28, v18, v28, vcc
.LBB369_207:
	v_bfe_u32 v30, v28, 16, 8
	v_lshrrev_b32_e32 v29, 24, v28
	v_add_u32_sdwa v18, v28, v28 dst_sel:DWORD dst_unused:UNUSED_PAD src0_sel:BYTE_1 src1_sel:BYTE_0
	v_add3_u32 v33, v18, v30, v29
	v_mbcnt_lo_u32_b32 v18, -1, 0
	v_mbcnt_hi_u32_b32 v31, -1, v18
	v_and_b32_e32 v18, 15, v31
	v_cmp_eq_u32_e64 s[14:15], 0, v18
	v_cmp_lt_u32_e64 s[12:13], 1, v18
	v_cmp_lt_u32_e64 s[10:11], 3, v18
	;; [unrolled: 1-line block ×3, first 2 shown]
	v_and_b32_e32 v18, 16, v31
	v_cmp_eq_u32_e64 s[18:19], 0, v18
	v_or_b32_e32 v18, 63, v0
	v_cmp_lt_u32_e64 s[0:1], 31, v31
	v_lshrrev_b32_e32 v32, 6, v0
	s_waitcnt lgkmcnt(0)
	v_cmp_eq_u32_e64 s[2:3], v18, v0
	s_and_b64 vcc, exec, s[16:17]
	s_barrier
	s_cbranch_vccz .LBB369_238
; %bb.208:
	v_mov_b32_dpp v18, v33 row_shr:1 row_mask:0xf bank_mask:0xf
	v_cndmask_b32_e64 v18, v18, 0, s[14:15]
	v_add_u32_e32 v18, v18, v33
	s_nop 1
	v_mov_b32_dpp v19, v18 row_shr:2 row_mask:0xf bank_mask:0xf
	v_cndmask_b32_e64 v19, 0, v19, s[12:13]
	v_add_u32_e32 v18, v18, v19
	s_nop 1
	v_mov_b32_dpp v19, v18 row_shr:4 row_mask:0xf bank_mask:0xf
	v_cndmask_b32_e64 v19, 0, v19, s[10:11]
	v_add_u32_e32 v18, v18, v19
	s_nop 1
	v_mov_b32_dpp v19, v18 row_shr:8 row_mask:0xf bank_mask:0xf
	v_cndmask_b32_e64 v19, 0, v19, s[8:9]
	v_add_u32_e32 v18, v18, v19
	s_nop 1
	v_mov_b32_dpp v19, v18 row_bcast:15 row_mask:0xf bank_mask:0xf
	v_cndmask_b32_e64 v19, v19, 0, s[18:19]
	v_add_u32_e32 v18, v18, v19
	s_nop 1
	v_mov_b32_dpp v19, v18 row_bcast:31 row_mask:0xf bank_mask:0xf
	v_cndmask_b32_e64 v19, 0, v19, s[0:1]
	v_add_u32_e32 v18, v18, v19
	s_and_saveexec_b64 s[16:17], s[2:3]
	s_cbranch_execz .LBB369_210
; %bb.209:
	v_lshlrev_b32_e32 v19, 2, v32
	ds_write_b32 v19, v18
.LBB369_210:
	s_or_b64 exec, exec, s[16:17]
	v_cmp_gt_u32_e32 vcc, 2, v0
	s_waitcnt lgkmcnt(0)
	s_barrier
	s_and_saveexec_b64 s[16:17], vcc
	s_cbranch_execz .LBB369_212
; %bb.211:
	ds_read_b32 v19, v1
	v_bfe_i32 v20, v31, 0, 1
	s_waitcnt lgkmcnt(0)
	v_mov_b32_dpp v21, v19 row_shr:1 row_mask:0xf bank_mask:0xf
	v_and_b32_e32 v20, v20, v21
	v_add_u32_e32 v19, v20, v19
	ds_write_b32 v1, v19
.LBB369_212:
	s_or_b64 exec, exec, s[16:17]
	v_cmp_gt_u32_e32 vcc, 64, v0
	v_cmp_lt_u32_e64 s[16:17], 63, v0
	s_waitcnt lgkmcnt(0)
	s_barrier
	s_waitcnt lgkmcnt(0)
                                        ; implicit-def: $vgpr34
	s_and_saveexec_b64 s[26:27], s[16:17]
	s_cbranch_execz .LBB369_214
; %bb.213:
	v_lshl_add_u32 v19, v32, 2, -4
	ds_read_b32 v34, v19
	s_waitcnt lgkmcnt(0)
	v_add_u32_e32 v18, v34, v18
.LBB369_214:
	s_or_b64 exec, exec, s[26:27]
	v_add_u32_e32 v19, -1, v31
	v_and_b32_e32 v20, 64, v31
	v_cmp_lt_i32_e64 s[16:17], v19, v20
	v_cndmask_b32_e64 v19, v19, v31, s[16:17]
	v_lshlrev_b32_e32 v19, 2, v19
	ds_bpermute_b32 v35, v19, v18
	v_cmp_eq_u32_e64 s[16:17], 0, v31
	s_and_saveexec_b64 s[26:27], vcc
	s_cbranch_execz .LBB369_237
; %bb.215:
	v_mov_b32_e32 v27, 0
	ds_read_b32 v18, v27 offset:4
	s_and_saveexec_b64 s[28:29], s[16:17]
	s_cbranch_execz .LBB369_217
; %bb.216:
	s_add_i32 s36, s6, 64
	s_mov_b32 s37, 0
	s_lshl_b64 s[36:37], s[36:37], 3
	s_add_u32 s36, s30, s36
	v_mov_b32_e32 v19, 1
	s_addc_u32 s37, s31, s37
	s_waitcnt lgkmcnt(0)
	global_store_dwordx2 v27, v[18:19], s[36:37]
.LBB369_217:
	s_or_b64 exec, exec, s[28:29]
	v_xad_u32 v20, v31, -1, s6
	v_add_u32_e32 v26, 64, v20
	v_lshlrev_b64 v[22:23], 3, v[26:27]
	v_mov_b32_e32 v19, s31
	v_add_co_u32_e32 v22, vcc, s30, v22
	v_addc_co_u32_e32 v23, vcc, v19, v23, vcc
	global_load_dwordx2 v[24:25], v[22:23], off glc
	s_waitcnt vmcnt(0)
	v_cmp_eq_u16_sdwa s[36:37], v25, v27 src0_sel:BYTE_0 src1_sel:DWORD
	s_and_saveexec_b64 s[28:29], s[36:37]
	s_cbranch_execz .LBB369_223
; %bb.218:
	s_mov_b32 s7, 1
	s_mov_b64 s[36:37], 0
	v_mov_b32_e32 v19, 0
.LBB369_219:                            ; =>This Loop Header: Depth=1
                                        ;     Child Loop BB369_220 Depth 2
	s_max_u32 s33, s7, 1
.LBB369_220:                            ;   Parent Loop BB369_219 Depth=1
                                        ; =>  This Inner Loop Header: Depth=2
	s_add_i32 s33, s33, -1
	s_cmp_eq_u32 s33, 0
	s_sleep 1
	s_cbranch_scc0 .LBB369_220
; %bb.221:                              ;   in Loop: Header=BB369_219 Depth=1
	global_load_dwordx2 v[24:25], v[22:23], off glc
	s_cmp_lt_u32 s7, 32
	s_cselect_b64 s[38:39], -1, 0
	s_cmp_lg_u64 s[38:39], 0
	s_addc_u32 s7, s7, 0
	s_waitcnt vmcnt(0)
	v_cmp_ne_u16_sdwa s[38:39], v25, v19 src0_sel:BYTE_0 src1_sel:DWORD
	s_or_b64 s[36:37], s[38:39], s[36:37]
	s_andn2_b64 exec, exec, s[36:37]
	s_cbranch_execnz .LBB369_219
; %bb.222:
	s_or_b64 exec, exec, s[36:37]
.LBB369_223:
	s_or_b64 exec, exec, s[28:29]
	v_and_b32_e32 v36, 63, v31
	v_mov_b32_e32 v19, 2
	v_cmp_ne_u32_e32 vcc, 63, v36
	v_cmp_eq_u16_sdwa s[28:29], v25, v19 src0_sel:BYTE_0 src1_sel:DWORD
	v_lshlrev_b64 v[22:23], v31, -1
	v_addc_co_u32_e32 v27, vcc, 0, v31, vcc
	v_and_b32_e32 v21, s29, v23
	v_lshlrev_b32_e32 v37, 2, v27
	v_or_b32_e32 v21, 0x80000000, v21
	ds_bpermute_b32 v27, v37, v24
	v_and_b32_e32 v26, s28, v22
	v_ffbl_b32_e32 v21, v21
	v_add_u32_e32 v21, 32, v21
	v_ffbl_b32_e32 v26, v26
	v_min_u32_e32 v21, v26, v21
	v_cmp_lt_u32_e32 vcc, v36, v21
	s_waitcnt lgkmcnt(0)
	v_cndmask_b32_e32 v26, 0, v27, vcc
	v_cmp_gt_u32_e32 vcc, 62, v36
	v_add_u32_e32 v24, v26, v24
	v_cndmask_b32_e64 v26, 0, 1, vcc
	v_lshlrev_b32_e32 v26, 1, v26
	v_add_lshl_u32 v38, v26, v31, 2
	ds_bpermute_b32 v26, v38, v24
	v_add_u32_e32 v39, 2, v36
	v_cmp_le_u32_e32 vcc, v39, v21
	v_add_u32_e32 v41, 4, v36
	v_add_u32_e32 v43, 8, v36
	s_waitcnt lgkmcnt(0)
	v_cndmask_b32_e32 v26, 0, v26, vcc
	v_cmp_gt_u32_e32 vcc, 60, v36
	v_add_u32_e32 v24, v24, v26
	v_cndmask_b32_e64 v26, 0, 1, vcc
	v_lshlrev_b32_e32 v26, 2, v26
	v_add_lshl_u32 v40, v26, v31, 2
	ds_bpermute_b32 v26, v40, v24
	v_cmp_le_u32_e32 vcc, v41, v21
	v_add_u32_e32 v46, 16, v36
	v_add_u32_e32 v48, 32, v36
	s_waitcnt lgkmcnt(0)
	v_cndmask_b32_e32 v26, 0, v26, vcc
	v_cmp_gt_u32_e32 vcc, 56, v36
	v_add_u32_e32 v24, v24, v26
	v_cndmask_b32_e64 v26, 0, 1, vcc
	v_lshlrev_b32_e32 v26, 3, v26
	v_add_lshl_u32 v42, v26, v31, 2
	ds_bpermute_b32 v26, v42, v24
	v_cmp_le_u32_e32 vcc, v43, v21
	s_waitcnt lgkmcnt(0)
	v_cndmask_b32_e32 v26, 0, v26, vcc
	v_cmp_gt_u32_e32 vcc, 48, v36
	v_add_u32_e32 v24, v24, v26
	v_cndmask_b32_e64 v26, 0, 1, vcc
	v_lshlrev_b32_e32 v26, 4, v26
	v_add_lshl_u32 v45, v26, v31, 2
	ds_bpermute_b32 v26, v45, v24
	v_cmp_le_u32_e32 vcc, v46, v21
	;; [unrolled: 9-line block ×3, first 2 shown]
	s_waitcnt lgkmcnt(0)
	v_cndmask_b32_e32 v21, 0, v26, vcc
	v_add_u32_e32 v24, v24, v21
	v_mov_b32_e32 v21, 0
	s_branch .LBB369_225
.LBB369_224:                            ;   in Loop: Header=BB369_225 Depth=1
	s_or_b64 exec, exec, s[28:29]
	v_cmp_eq_u16_sdwa s[28:29], v25, v19 src0_sel:BYTE_0 src1_sel:DWORD
	v_and_b32_e32 v26, s29, v23
	v_or_b32_e32 v26, 0x80000000, v26
	ds_bpermute_b32 v49, v37, v24
	v_and_b32_e32 v27, s28, v22
	v_ffbl_b32_e32 v26, v26
	v_add_u32_e32 v26, 32, v26
	v_ffbl_b32_e32 v27, v27
	v_min_u32_e32 v26, v27, v26
	v_cmp_lt_u32_e32 vcc, v36, v26
	s_waitcnt lgkmcnt(0)
	v_cndmask_b32_e32 v27, 0, v49, vcc
	v_add_u32_e32 v24, v27, v24
	ds_bpermute_b32 v27, v38, v24
	v_cmp_le_u32_e32 vcc, v39, v26
	v_subrev_u32_e32 v20, 64, v20
	s_waitcnt lgkmcnt(0)
	v_cndmask_b32_e32 v27, 0, v27, vcc
	v_add_u32_e32 v24, v24, v27
	ds_bpermute_b32 v27, v40, v24
	v_cmp_le_u32_e32 vcc, v41, v26
	s_waitcnt lgkmcnt(0)
	v_cndmask_b32_e32 v27, 0, v27, vcc
	v_add_u32_e32 v24, v24, v27
	ds_bpermute_b32 v27, v42, v24
	v_cmp_le_u32_e32 vcc, v43, v26
	;; [unrolled: 5-line block ×4, first 2 shown]
	s_waitcnt lgkmcnt(0)
	v_cndmask_b32_e32 v26, 0, v27, vcc
	v_add3_u32 v24, v26, v44, v24
.LBB369_225:                            ; =>This Loop Header: Depth=1
                                        ;     Child Loop BB369_228 Depth 2
                                        ;       Child Loop BB369_229 Depth 3
	v_cmp_ne_u16_sdwa s[28:29], v25, v19 src0_sel:BYTE_0 src1_sel:DWORD
	v_cndmask_b32_e64 v25, 0, 1, s[28:29]
	;;#ASMSTART
	;;#ASMEND
	v_cmp_ne_u32_e32 vcc, 0, v25
	s_cmp_lg_u64 vcc, exec
	v_mov_b32_e32 v44, v24
	s_cbranch_scc1 .LBB369_232
; %bb.226:                              ;   in Loop: Header=BB369_225 Depth=1
	v_lshlrev_b64 v[24:25], 3, v[20:21]
	v_mov_b32_e32 v27, s31
	v_add_co_u32_e32 v26, vcc, s30, v24
	v_addc_co_u32_e32 v27, vcc, v27, v25, vcc
	global_load_dwordx2 v[24:25], v[26:27], off glc
	s_waitcnt vmcnt(0)
	v_cmp_eq_u16_sdwa s[36:37], v25, v21 src0_sel:BYTE_0 src1_sel:DWORD
	s_and_saveexec_b64 s[28:29], s[36:37]
	s_cbranch_execz .LBB369_224
; %bb.227:                              ;   in Loop: Header=BB369_225 Depth=1
	s_mov_b32 s7, 1
	s_mov_b64 s[36:37], 0
.LBB369_228:                            ;   Parent Loop BB369_225 Depth=1
                                        ; =>  This Loop Header: Depth=2
                                        ;       Child Loop BB369_229 Depth 3
	s_max_u32 s33, s7, 1
.LBB369_229:                            ;   Parent Loop BB369_225 Depth=1
                                        ;     Parent Loop BB369_228 Depth=2
                                        ; =>    This Inner Loop Header: Depth=3
	s_add_i32 s33, s33, -1
	s_cmp_eq_u32 s33, 0
	s_sleep 1
	s_cbranch_scc0 .LBB369_229
; %bb.230:                              ;   in Loop: Header=BB369_228 Depth=2
	global_load_dwordx2 v[24:25], v[26:27], off glc
	s_cmp_lt_u32 s7, 32
	s_cselect_b64 s[38:39], -1, 0
	s_cmp_lg_u64 s[38:39], 0
	s_addc_u32 s7, s7, 0
	s_waitcnt vmcnt(0)
	v_cmp_ne_u16_sdwa s[38:39], v25, v21 src0_sel:BYTE_0 src1_sel:DWORD
	s_or_b64 s[36:37], s[38:39], s[36:37]
	s_andn2_b64 exec, exec, s[36:37]
	s_cbranch_execnz .LBB369_228
; %bb.231:                              ;   in Loop: Header=BB369_225 Depth=1
	s_or_b64 exec, exec, s[36:37]
	s_branch .LBB369_224
.LBB369_232:                            ;   in Loop: Header=BB369_225 Depth=1
                                        ; implicit-def: $vgpr24
                                        ; implicit-def: $vgpr25
	s_cbranch_execz .LBB369_225
; %bb.233:
	s_and_saveexec_b64 s[28:29], s[16:17]
	s_cbranch_execz .LBB369_235
; %bb.234:
	s_add_i32 s6, s6, 64
	s_mov_b32 s7, 0
	s_lshl_b64 s[6:7], s[6:7], 3
	s_add_u32 s6, s30, s6
	v_add_u32_e32 v20, v44, v18
	v_mov_b32_e32 v21, 2
	s_addc_u32 s7, s31, s7
	v_mov_b32_e32 v19, 0
	global_store_dwordx2 v19, v[20:21], s[6:7]
	s_movk_i32 s6, 0x1000
	v_add_u32_e64 v19, s6, 0
	ds_write2_b32 v19, v18, v44 offset0:32 offset1:34
.LBB369_235:
	s_or_b64 exec, exec, s[28:29]
	v_cmp_eq_u32_e32 vcc, 0, v0
	s_and_b64 exec, exec, vcc
	s_cbranch_execz .LBB369_237
; %bb.236:
	v_mov_b32_e32 v18, 0
	ds_write_b32 v18, v44 offset:4
.LBB369_237:
	s_or_b64 exec, exec, s[26:27]
	v_mov_b32_e32 v19, 0
	s_waitcnt lgkmcnt(0)
	s_barrier
	ds_read_b32 v19, v19 offset:4
	s_movk_i32 s6, 0x1000
	v_add_u32_e64 v20, s6, 0
	v_cndmask_b32_e64 v18, v35, v34, s[16:17]
	v_cmp_ne_u32_e32 vcc, 0, v0
	s_waitcnt lgkmcnt(0)
	s_barrier
	ds_read2_b32 v[26:27], v20 offset0:32 offset1:34
	v_cndmask_b32_e32 v18, 0, v18, vcc
	v_add_u32_e32 v24, v19, v18
	v_add_u32_sdwa v22, v24, v28 dst_sel:DWORD dst_unused:UNUSED_PAD src0_sel:DWORD src1_sel:BYTE_0
	v_add_u32_sdwa v20, v22, v28 dst_sel:DWORD dst_unused:UNUSED_PAD src0_sel:DWORD src1_sel:BYTE_1
	v_add_u32_e32 v18, v20, v30
	s_waitcnt lgkmcnt(0)
	v_readfirstlane_b32 s26, v26
	v_readfirstlane_b32 s16, v27
	s_branch .LBB369_248
.LBB369_238:
                                        ; implicit-def: $vgpr18
                                        ; implicit-def: $vgpr20
                                        ; implicit-def: $vgpr22
                                        ; implicit-def: $vgpr24
                                        ; implicit-def: $sgpr16
                                        ; implicit-def: $sgpr26
	s_cbranch_execz .LBB369_248
; %bb.239:
	s_nop 0
	v_mov_b32_dpp v18, v33 row_shr:1 row_mask:0xf bank_mask:0xf
	v_cndmask_b32_e64 v18, v18, 0, s[14:15]
	v_add_u32_e32 v18, v18, v33
	s_nop 1
	v_mov_b32_dpp v19, v18 row_shr:2 row_mask:0xf bank_mask:0xf
	v_cndmask_b32_e64 v19, 0, v19, s[12:13]
	v_add_u32_e32 v18, v18, v19
	;; [unrolled: 4-line block ×4, first 2 shown]
	s_nop 1
	v_mov_b32_dpp v19, v18 row_bcast:15 row_mask:0xf bank_mask:0xf
	v_cndmask_b32_e64 v19, v19, 0, s[18:19]
	v_add_u32_e32 v18, v18, v19
	s_nop 1
	v_mov_b32_dpp v19, v18 row_bcast:31 row_mask:0xf bank_mask:0xf
	v_cndmask_b32_e64 v19, 0, v19, s[0:1]
	v_add_u32_e32 v18, v18, v19
	s_and_saveexec_b64 s[0:1], s[2:3]
	s_cbranch_execz .LBB369_241
; %bb.240:
	v_lshlrev_b32_e32 v19, 2, v32
	ds_write_b32 v19, v18
.LBB369_241:
	s_or_b64 exec, exec, s[0:1]
	v_cmp_gt_u32_e32 vcc, 2, v0
	s_waitcnt lgkmcnt(0)
	s_barrier
	s_and_saveexec_b64 s[0:1], vcc
	s_cbranch_execz .LBB369_243
; %bb.242:
	ds_read_b32 v19, v1
	v_bfe_i32 v20, v31, 0, 1
	s_waitcnt lgkmcnt(0)
	v_mov_b32_dpp v21, v19 row_shr:1 row_mask:0xf bank_mask:0xf
	v_and_b32_e32 v20, v20, v21
	v_add_u32_e32 v19, v20, v19
	ds_write_b32 v1, v19
.LBB369_243:
	s_or_b64 exec, exec, s[0:1]
	v_cmp_lt_u32_e32 vcc, 63, v0
	v_mov_b32_e32 v19, 0
	v_mov_b32_e32 v1, 0
	s_waitcnt lgkmcnt(0)
	s_barrier
	s_and_saveexec_b64 s[0:1], vcc
	s_cbranch_execz .LBB369_245
; %bb.244:
	v_lshl_add_u32 v1, v32, 2, -4
	ds_read_b32 v1, v1
.LBB369_245:
	s_or_b64 exec, exec, s[0:1]
	v_add_u32_e32 v20, -1, v31
	v_and_b32_e32 v21, 64, v31
	v_cmp_lt_i32_e32 vcc, v20, v21
	v_cndmask_b32_e32 v20, v20, v31, vcc
	s_waitcnt lgkmcnt(0)
	v_add_u32_e32 v18, v1, v18
	v_lshlrev_b32_e32 v20, 2, v20
	ds_read_b32 v19, v19 offset:4
	ds_bpermute_b32 v18, v20, v18
	s_mov_b32 s16, 0
	v_cmp_eq_u32_e32 vcc, 0, v0
	s_waitcnt lgkmcnt(1)
	v_readfirstlane_b32 s26, v19
	s_and_saveexec_b64 s[0:1], vcc
	s_cbranch_execz .LBB369_247
; %bb.246:
	v_mov_b32_e32 v19, 0
	v_mov_b32_e32 v20, s26
	;; [unrolled: 1-line block ×3, first 2 shown]
	global_store_dwordx2 v19, v[20:21], s[30:31] offset:512
.LBB369_247:
	s_or_b64 exec, exec, s[0:1]
	v_cmp_eq_u32_e64 s[0:1], 0, v31
	s_waitcnt lgkmcnt(0)
	v_cndmask_b32_e64 v1, v18, v1, s[0:1]
	v_cndmask_b32_e64 v24, v1, 0, vcc
	v_add_u32_sdwa v22, v24, v28 dst_sel:DWORD dst_unused:UNUSED_PAD src0_sel:DWORD src1_sel:BYTE_0
	v_add_u32_sdwa v20, v22, v28 dst_sel:DWORD dst_unused:UNUSED_PAD src0_sel:DWORD src1_sel:BYTE_1
	v_add_u32_e32 v18, v20, v30
	s_barrier
.LBB369_248:
	s_load_dwordx4 s[4:7], s[4:5], 0x28
	s_cmpk_lt_u32 s26, 0x81
	s_cselect_b64 s[2:3], -1, 0
	v_lshrrev_b32_e32 v1, 8, v28
	s_mov_b64 s[0:1], -1
	s_and_b64 vcc, exec, s[2:3]
	s_cbranch_vccz .LBB369_262
; %bb.249:
	s_add_i32 s8, s16, s26
	v_cmp_gt_u32_e32 vcc, s8, v24
	s_or_b64 s[10:11], s[34:35], vcc
	s_and_saveexec_b64 s[0:1], s[10:11]
	s_cbranch_execz .LBB369_252
; %bb.250:
	v_and_b32_e32 v19, 1, v28
	v_cmp_eq_u32_e32 vcc, 1, v19
	s_and_b64 exec, exec, vcc
	s_cbranch_execz .LBB369_252
; %bb.251:
	s_lshl_b64 s[10:11], s[22:23], 3
	s_waitcnt lgkmcnt(0)
	s_add_u32 s9, s4, s10
	v_mov_b32_e32 v25, 0
	s_addc_u32 s10, s5, s11
	v_lshlrev_b64 v[26:27], 3, v[24:25]
	v_mov_b32_e32 v19, s10
	v_add_co_u32_e32 v26, vcc, s9, v26
	v_addc_co_u32_e32 v27, vcc, v19, v27, vcc
	global_store_dwordx2 v[26:27], v[14:15], off
.LBB369_252:
	s_or_b64 exec, exec, s[0:1]
	v_cmp_gt_u32_e32 vcc, s8, v22
	s_or_b64 s[10:11], s[34:35], vcc
	s_and_saveexec_b64 s[0:1], s[10:11]
	s_cbranch_execz .LBB369_255
; %bb.253:
	v_and_b32_e32 v19, 1, v1
	v_cmp_eq_u32_e32 vcc, 1, v19
	s_and_b64 exec, exec, vcc
	s_cbranch_execz .LBB369_255
; %bb.254:
	s_lshl_b64 s[10:11], s[22:23], 3
	s_waitcnt lgkmcnt(0)
	s_add_u32 s9, s4, s10
	v_mov_b32_e32 v23, 0
	s_addc_u32 s10, s5, s11
	v_lshlrev_b64 v[26:27], 3, v[22:23]
	v_mov_b32_e32 v19, s10
	v_add_co_u32_e32 v26, vcc, s9, v26
	v_addc_co_u32_e32 v27, vcc, v19, v27, vcc
	global_store_dwordx2 v[26:27], v[16:17], off
.LBB369_255:
	s_or_b64 exec, exec, s[0:1]
	v_cmp_gt_u32_e32 vcc, s8, v20
	s_or_b64 s[10:11], s[34:35], vcc
	s_and_saveexec_b64 s[0:1], s[10:11]
	s_cbranch_execz .LBB369_258
; %bb.256:
	v_mov_b32_e32 v19, 1
	v_and_b32_sdwa v19, v19, v28 dst_sel:DWORD dst_unused:UNUSED_PAD src0_sel:DWORD src1_sel:WORD_1
	v_cmp_eq_u32_e32 vcc, 1, v19
	s_and_b64 exec, exec, vcc
	s_cbranch_execz .LBB369_258
; %bb.257:
	s_lshl_b64 s[10:11], s[22:23], 3
	s_waitcnt lgkmcnt(0)
	s_add_u32 s9, s4, s10
	v_mov_b32_e32 v21, 0
	s_addc_u32 s10, s5, s11
	v_lshlrev_b64 v[26:27], 3, v[20:21]
	v_mov_b32_e32 v19, s10
	v_add_co_u32_e32 v26, vcc, s9, v26
	v_addc_co_u32_e32 v27, vcc, v19, v27, vcc
	global_store_dwordx2 v[26:27], v[10:11], off
.LBB369_258:
	s_or_b64 exec, exec, s[0:1]
	v_cmp_gt_u32_e32 vcc, s8, v18
	s_or_b64 s[8:9], s[34:35], vcc
	s_and_saveexec_b64 s[0:1], s[8:9]
	s_cbranch_execz .LBB369_261
; %bb.259:
	v_and_b32_e32 v19, 1, v29
	v_cmp_eq_u32_e32 vcc, 1, v19
	s_and_b64 exec, exec, vcc
	s_cbranch_execz .LBB369_261
; %bb.260:
	s_lshl_b64 s[8:9], s[22:23], 3
	s_waitcnt lgkmcnt(0)
	s_add_u32 s8, s4, s8
	v_mov_b32_e32 v19, 0
	s_addc_u32 s9, s5, s9
	v_lshlrev_b64 v[26:27], 3, v[18:19]
	v_mov_b32_e32 v19, s9
	v_add_co_u32_e32 v26, vcc, s8, v26
	v_addc_co_u32_e32 v27, vcc, v19, v27, vcc
	global_store_dwordx2 v[26:27], v[12:13], off
.LBB369_261:
	s_or_b64 exec, exec, s[0:1]
	s_mov_b64 s[0:1], 0
.LBB369_262:
	v_and_b32_e32 v26, 1, v28
	s_and_b64 vcc, exec, s[0:1]
	v_cmp_eq_u32_e64 s[0:1], 1, v26
	s_cbranch_vccz .LBB369_275
; %bb.263:
	s_and_saveexec_b64 s[8:9], s[0:1]
	s_cbranch_execz .LBB369_265
; %bb.264:
	v_subrev_u32_e32 v19, s16, v24
	v_lshlrev_b32_e32 v19, 3, v19
	ds_write_b64 v19, v[14:15]
.LBB369_265:
	s_or_b64 exec, exec, s[8:9]
	v_and_b32_e32 v14, 1, v1
	v_cmp_eq_u32_e32 vcc, 1, v14
	s_and_saveexec_b64 s[0:1], vcc
	s_cbranch_execz .LBB369_267
; %bb.266:
	v_subrev_u32_e32 v14, s16, v22
	v_lshlrev_b32_e32 v14, 3, v14
	ds_write_b64 v14, v[16:17]
.LBB369_267:
	s_or_b64 exec, exec, s[0:1]
	v_mov_b32_e32 v14, 1
	v_and_b32_sdwa v14, v14, v28 dst_sel:DWORD dst_unused:UNUSED_PAD src0_sel:DWORD src1_sel:WORD_1
	v_cmp_eq_u32_e32 vcc, 1, v14
	s_and_saveexec_b64 s[0:1], vcc
	s_cbranch_execz .LBB369_269
; %bb.268:
	v_subrev_u32_e32 v14, s16, v20
	v_lshlrev_b32_e32 v14, 3, v14
	ds_write_b64 v14, v[10:11]
.LBB369_269:
	s_or_b64 exec, exec, s[0:1]
	v_and_b32_e32 v10, 1, v29
	v_cmp_eq_u32_e32 vcc, 1, v10
	s_and_saveexec_b64 s[0:1], vcc
	s_cbranch_execz .LBB369_271
; %bb.270:
	v_subrev_u32_e32 v10, s16, v18
	v_lshlrev_b32_e32 v10, 3, v10
	ds_write_b64 v10, v[12:13]
.LBB369_271:
	s_or_b64 exec, exec, s[0:1]
	v_cmp_gt_u32_e32 vcc, s26, v0
	s_waitcnt lgkmcnt(0)
	s_barrier
	s_and_saveexec_b64 s[0:1], vcc
	s_cbranch_execz .LBB369_274
; %bb.272:
	s_mov_b32 s17, 0
	s_lshl_b64 s[8:9], s[16:17], 3
	s_add_u32 s8, s4, s8
	s_addc_u32 s9, s5, s9
	s_lshl_b64 s[4:5], s[22:23], 3
	s_add_u32 s8, s8, s4
	s_addc_u32 s9, s9, s5
	v_lshlrev_b32_e32 v12, 3, v0
	s_mov_b64 s[4:5], 0
	v_mov_b32_e32 v11, 0
	v_mov_b32_e32 v13, s9
	;; [unrolled: 1-line block ×3, first 2 shown]
.LBB369_273:                            ; =>This Inner Loop Header: Depth=1
	ds_read_b64 v[14:15], v12
	v_lshlrev_b64 v[16:17], 3, v[10:11]
	v_add_co_u32_e32 v16, vcc, s8, v16
	v_add_u32_e32 v10, 0x80, v10
	v_addc_co_u32_e32 v17, vcc, v13, v17, vcc
	v_cmp_le_u32_e32 vcc, s26, v10
	v_add_u32_e32 v12, 0x400, v12
	s_or_b64 s[4:5], vcc, s[4:5]
	s_waitcnt lgkmcnt(0)
	global_store_dwordx2 v[16:17], v[14:15], off
	s_andn2_b64 exec, exec, s[4:5]
	s_cbranch_execnz .LBB369_273
.LBB369_274:
	s_or_b64 exec, exec, s[0:1]
.LBB369_275:
	s_mov_b64 s[0:1], -1
	s_and_b64 vcc, exec, s[2:3]
	s_waitcnt lgkmcnt(0)
	s_barrier
	s_cbranch_vccnz .LBB369_279
; %bb.276:
	s_and_b64 vcc, exec, s[0:1]
	s_cbranch_vccnz .LBB369_292
.LBB369_277:
	v_cmp_eq_u32_e32 vcc, 0, v0
	s_and_b64 s[0:1], vcc, s[24:25]
	s_and_saveexec_b64 s[2:3], s[0:1]
	s_cbranch_execnz .LBB369_304
.LBB369_278:
	s_endpgm
.LBB369_279:
	s_add_i32 s2, s16, s26
	v_cmp_gt_u32_e32 vcc, s2, v24
	s_or_b64 s[4:5], s[34:35], vcc
	s_and_saveexec_b64 s[0:1], s[4:5]
	s_cbranch_execz .LBB369_282
; %bb.280:
	v_cmp_eq_u32_e32 vcc, 1, v26
	s_and_b64 exec, exec, vcc
	s_cbranch_execz .LBB369_282
; %bb.281:
	s_lshl_b64 s[4:5], s[22:23], 3
	s_add_u32 s3, s6, s4
	v_mov_b32_e32 v25, 0
	s_addc_u32 s4, s7, s5
	v_lshlrev_b64 v[10:11], 3, v[24:25]
	v_mov_b32_e32 v12, s4
	v_add_co_u32_e32 v10, vcc, s3, v10
	v_addc_co_u32_e32 v11, vcc, v12, v11, vcc
	global_store_dwordx2 v[10:11], v[6:7], off
.LBB369_282:
	s_or_b64 exec, exec, s[0:1]
	v_cmp_gt_u32_e32 vcc, s2, v22
	s_or_b64 s[4:5], s[34:35], vcc
	s_and_saveexec_b64 s[0:1], s[4:5]
	s_cbranch_execz .LBB369_285
; %bb.283:
	v_and_b32_e32 v10, 1, v1
	v_cmp_eq_u32_e32 vcc, 1, v10
	s_and_b64 exec, exec, vcc
	s_cbranch_execz .LBB369_285
; %bb.284:
	s_lshl_b64 s[4:5], s[22:23], 3
	s_add_u32 s3, s6, s4
	v_mov_b32_e32 v23, 0
	s_addc_u32 s4, s7, s5
	v_lshlrev_b64 v[10:11], 3, v[22:23]
	v_mov_b32_e32 v12, s4
	v_add_co_u32_e32 v10, vcc, s3, v10
	v_addc_co_u32_e32 v11, vcc, v12, v11, vcc
	global_store_dwordx2 v[10:11], v[8:9], off
.LBB369_285:
	s_or_b64 exec, exec, s[0:1]
	v_cmp_gt_u32_e32 vcc, s2, v20
	s_or_b64 s[4:5], s[34:35], vcc
	s_and_saveexec_b64 s[0:1], s[4:5]
	s_cbranch_execz .LBB369_288
; %bb.286:
	v_mov_b32_e32 v10, 1
	v_and_b32_sdwa v10, v10, v28 dst_sel:DWORD dst_unused:UNUSED_PAD src0_sel:DWORD src1_sel:WORD_1
	v_cmp_eq_u32_e32 vcc, 1, v10
	s_and_b64 exec, exec, vcc
	s_cbranch_execz .LBB369_288
; %bb.287:
	s_lshl_b64 s[4:5], s[22:23], 3
	s_add_u32 s3, s6, s4
	v_mov_b32_e32 v21, 0
	s_addc_u32 s4, s7, s5
	v_lshlrev_b64 v[10:11], 3, v[20:21]
	v_mov_b32_e32 v12, s4
	v_add_co_u32_e32 v10, vcc, s3, v10
	v_addc_co_u32_e32 v11, vcc, v12, v11, vcc
	global_store_dwordx2 v[10:11], v[2:3], off
.LBB369_288:
	s_or_b64 exec, exec, s[0:1]
	v_cmp_gt_u32_e32 vcc, s2, v18
	s_or_b64 s[2:3], s[34:35], vcc
	s_and_saveexec_b64 s[0:1], s[2:3]
	s_cbranch_execz .LBB369_291
; %bb.289:
	v_and_b32_e32 v10, 1, v29
	v_cmp_eq_u32_e32 vcc, 1, v10
	s_and_b64 exec, exec, vcc
	s_cbranch_execz .LBB369_291
; %bb.290:
	s_lshl_b64 s[2:3], s[22:23], 3
	s_add_u32 s2, s6, s2
	v_mov_b32_e32 v19, 0
	s_addc_u32 s3, s7, s3
	v_lshlrev_b64 v[10:11], 3, v[18:19]
	v_mov_b32_e32 v12, s3
	v_add_co_u32_e32 v10, vcc, s2, v10
	v_addc_co_u32_e32 v11, vcc, v12, v11, vcc
	global_store_dwordx2 v[10:11], v[4:5], off
.LBB369_291:
	s_or_b64 exec, exec, s[0:1]
	s_branch .LBB369_277
.LBB369_292:
	v_cmp_eq_u32_e32 vcc, 1, v26
	s_and_saveexec_b64 s[0:1], vcc
	s_cbranch_execz .LBB369_294
; %bb.293:
	v_subrev_u32_e32 v10, s16, v24
	v_lshlrev_b32_e32 v10, 3, v10
	ds_write_b64 v10, v[6:7]
.LBB369_294:
	s_or_b64 exec, exec, s[0:1]
	v_and_b32_e32 v1, 1, v1
	v_cmp_eq_u32_e32 vcc, 1, v1
	s_and_saveexec_b64 s[0:1], vcc
	s_cbranch_execz .LBB369_296
; %bb.295:
	v_subrev_u32_e32 v1, s16, v22
	v_lshlrev_b32_e32 v1, 3, v1
	ds_write_b64 v1, v[8:9]
.LBB369_296:
	s_or_b64 exec, exec, s[0:1]
	v_mov_b32_e32 v1, 1
	v_and_b32_sdwa v1, v1, v28 dst_sel:DWORD dst_unused:UNUSED_PAD src0_sel:DWORD src1_sel:WORD_1
	v_cmp_eq_u32_e32 vcc, 1, v1
	s_and_saveexec_b64 s[0:1], vcc
	s_cbranch_execz .LBB369_298
; %bb.297:
	v_subrev_u32_e32 v1, s16, v20
	v_lshlrev_b32_e32 v1, 3, v1
	ds_write_b64 v1, v[2:3]
.LBB369_298:
	s_or_b64 exec, exec, s[0:1]
	v_and_b32_e32 v1, 1, v29
	v_cmp_eq_u32_e32 vcc, 1, v1
	s_and_saveexec_b64 s[0:1], vcc
	s_cbranch_execz .LBB369_300
; %bb.299:
	v_subrev_u32_e32 v1, s16, v18
	v_lshlrev_b32_e32 v1, 3, v1
	ds_write_b64 v1, v[4:5]
.LBB369_300:
	s_or_b64 exec, exec, s[0:1]
	v_cmp_gt_u32_e32 vcc, s26, v0
	s_waitcnt lgkmcnt(0)
	s_barrier
	s_and_saveexec_b64 s[0:1], vcc
	s_cbranch_execz .LBB369_303
; %bb.301:
	s_mov_b32 s17, 0
	s_lshl_b64 s[2:3], s[16:17], 3
	s_add_u32 s4, s6, s2
	s_addc_u32 s5, s7, s3
	s_lshl_b64 s[2:3], s[22:23], 3
	s_add_u32 s4, s4, s2
	s_addc_u32 s5, s5, s3
	v_lshlrev_b32_e32 v1, 3, v0
	s_mov_b64 s[2:3], 0
	v_mov_b32_e32 v3, 0
	v_mov_b32_e32 v4, s5
	;; [unrolled: 1-line block ×3, first 2 shown]
.LBB369_302:                            ; =>This Inner Loop Header: Depth=1
	ds_read_b64 v[6:7], v1
	v_lshlrev_b64 v[8:9], 3, v[2:3]
	v_add_co_u32_e32 v8, vcc, s4, v8
	v_add_u32_e32 v2, 0x80, v2
	v_addc_co_u32_e32 v9, vcc, v4, v9, vcc
	v_cmp_le_u32_e32 vcc, s26, v2
	v_add_u32_e32 v1, 0x400, v1
	s_or_b64 s[2:3], vcc, s[2:3]
	s_waitcnt lgkmcnt(0)
	global_store_dwordx2 v[8:9], v[6:7], off
	s_andn2_b64 exec, exec, s[2:3]
	s_cbranch_execnz .LBB369_302
.LBB369_303:
	s_or_b64 exec, exec, s[0:1]
	v_cmp_eq_u32_e32 vcc, 0, v0
	s_and_b64 s[0:1], vcc, s[24:25]
	s_and_saveexec_b64 s[2:3], s[0:1]
	s_cbranch_execz .LBB369_278
.LBB369_304:
	s_add_u32 s0, s22, s26
	s_addc_u32 s1, s23, 0
	s_add_u32 s0, s0, s16
	s_addc_u32 s1, s1, 0
	v_mov_b32_e32 v2, 0
	v_pk_mov_b32 v[0:1], s[0:1], s[0:1] op_sel:[0,1]
	global_store_dwordx2 v2, v[0:1], s[20:21]
	s_endpgm
	.section	.rodata,"a",@progbits
	.p2align	6, 0x0
	.amdhsa_kernel _ZN7rocprim17ROCPRIM_400000_NS6detail17trampoline_kernelINS0_14default_configENS1_25partition_config_selectorILNS1_17partition_subalgoE9EllbEEZZNS1_14partition_implILS5_9ELb0ES3_jPlS8_PNS0_10empty_typeENS0_5tupleIJS8_S9_EEENSB_IJS8_SA_EEENS0_18inequality_wrapperIZN2at6native12_GLOBAL__N_124unique_dim_cuda_templateIaEESt5tupleIJNSF_6TensorESK_SK_EERKSK_lbbbEUlllE0_EEPmJS9_EEE10hipError_tPvRmT3_T4_T5_T6_T7_T9_mT8_P12ihipStream_tbDpT10_ENKUlT_T0_E_clISt17integral_constantIbLb1EES19_IbLb0EEEEDaS15_S16_EUlS15_E_NS1_11comp_targetILNS1_3genE4ELNS1_11target_archE910ELNS1_3gpuE8ELNS1_3repE0EEENS1_30default_config_static_selectorELNS0_4arch9wavefront6targetE1EEEvT1_
		.amdhsa_group_segment_fixed_size 4236
		.amdhsa_private_segment_fixed_size 0
		.amdhsa_kernarg_size 120
		.amdhsa_user_sgpr_count 6
		.amdhsa_user_sgpr_private_segment_buffer 1
		.amdhsa_user_sgpr_dispatch_ptr 0
		.amdhsa_user_sgpr_queue_ptr 0
		.amdhsa_user_sgpr_kernarg_segment_ptr 1
		.amdhsa_user_sgpr_dispatch_id 0
		.amdhsa_user_sgpr_flat_scratch_init 0
		.amdhsa_user_sgpr_kernarg_preload_length 0
		.amdhsa_user_sgpr_kernarg_preload_offset 0
		.amdhsa_user_sgpr_private_segment_size 0
		.amdhsa_uses_dynamic_stack 0
		.amdhsa_system_sgpr_private_segment_wavefront_offset 0
		.amdhsa_system_sgpr_workgroup_id_x 1
		.amdhsa_system_sgpr_workgroup_id_y 0
		.amdhsa_system_sgpr_workgroup_id_z 0
		.amdhsa_system_sgpr_workgroup_info 0
		.amdhsa_system_vgpr_workitem_id 0
		.amdhsa_next_free_vgpr 50
		.amdhsa_next_free_sgpr 46
		.amdhsa_accum_offset 52
		.amdhsa_reserve_vcc 1
		.amdhsa_reserve_flat_scratch 0
		.amdhsa_float_round_mode_32 0
		.amdhsa_float_round_mode_16_64 0
		.amdhsa_float_denorm_mode_32 3
		.amdhsa_float_denorm_mode_16_64 3
		.amdhsa_dx10_clamp 1
		.amdhsa_ieee_mode 1
		.amdhsa_fp16_overflow 0
		.amdhsa_tg_split 0
		.amdhsa_exception_fp_ieee_invalid_op 0
		.amdhsa_exception_fp_denorm_src 0
		.amdhsa_exception_fp_ieee_div_zero 0
		.amdhsa_exception_fp_ieee_overflow 0
		.amdhsa_exception_fp_ieee_underflow 0
		.amdhsa_exception_fp_ieee_inexact 0
		.amdhsa_exception_int_div_zero 0
	.end_amdhsa_kernel
	.section	.text._ZN7rocprim17ROCPRIM_400000_NS6detail17trampoline_kernelINS0_14default_configENS1_25partition_config_selectorILNS1_17partition_subalgoE9EllbEEZZNS1_14partition_implILS5_9ELb0ES3_jPlS8_PNS0_10empty_typeENS0_5tupleIJS8_S9_EEENSB_IJS8_SA_EEENS0_18inequality_wrapperIZN2at6native12_GLOBAL__N_124unique_dim_cuda_templateIaEESt5tupleIJNSF_6TensorESK_SK_EERKSK_lbbbEUlllE0_EEPmJS9_EEE10hipError_tPvRmT3_T4_T5_T6_T7_T9_mT8_P12ihipStream_tbDpT10_ENKUlT_T0_E_clISt17integral_constantIbLb1EES19_IbLb0EEEEDaS15_S16_EUlS15_E_NS1_11comp_targetILNS1_3genE4ELNS1_11target_archE910ELNS1_3gpuE8ELNS1_3repE0EEENS1_30default_config_static_selectorELNS0_4arch9wavefront6targetE1EEEvT1_,"axG",@progbits,_ZN7rocprim17ROCPRIM_400000_NS6detail17trampoline_kernelINS0_14default_configENS1_25partition_config_selectorILNS1_17partition_subalgoE9EllbEEZZNS1_14partition_implILS5_9ELb0ES3_jPlS8_PNS0_10empty_typeENS0_5tupleIJS8_S9_EEENSB_IJS8_SA_EEENS0_18inequality_wrapperIZN2at6native12_GLOBAL__N_124unique_dim_cuda_templateIaEESt5tupleIJNSF_6TensorESK_SK_EERKSK_lbbbEUlllE0_EEPmJS9_EEE10hipError_tPvRmT3_T4_T5_T6_T7_T9_mT8_P12ihipStream_tbDpT10_ENKUlT_T0_E_clISt17integral_constantIbLb1EES19_IbLb0EEEEDaS15_S16_EUlS15_E_NS1_11comp_targetILNS1_3genE4ELNS1_11target_archE910ELNS1_3gpuE8ELNS1_3repE0EEENS1_30default_config_static_selectorELNS0_4arch9wavefront6targetE1EEEvT1_,comdat
.Lfunc_end369:
	.size	_ZN7rocprim17ROCPRIM_400000_NS6detail17trampoline_kernelINS0_14default_configENS1_25partition_config_selectorILNS1_17partition_subalgoE9EllbEEZZNS1_14partition_implILS5_9ELb0ES3_jPlS8_PNS0_10empty_typeENS0_5tupleIJS8_S9_EEENSB_IJS8_SA_EEENS0_18inequality_wrapperIZN2at6native12_GLOBAL__N_124unique_dim_cuda_templateIaEESt5tupleIJNSF_6TensorESK_SK_EERKSK_lbbbEUlllE0_EEPmJS9_EEE10hipError_tPvRmT3_T4_T5_T6_T7_T9_mT8_P12ihipStream_tbDpT10_ENKUlT_T0_E_clISt17integral_constantIbLb1EES19_IbLb0EEEEDaS15_S16_EUlS15_E_NS1_11comp_targetILNS1_3genE4ELNS1_11target_archE910ELNS1_3gpuE8ELNS1_3repE0EEENS1_30default_config_static_selectorELNS0_4arch9wavefront6targetE1EEEvT1_, .Lfunc_end369-_ZN7rocprim17ROCPRIM_400000_NS6detail17trampoline_kernelINS0_14default_configENS1_25partition_config_selectorILNS1_17partition_subalgoE9EllbEEZZNS1_14partition_implILS5_9ELb0ES3_jPlS8_PNS0_10empty_typeENS0_5tupleIJS8_S9_EEENSB_IJS8_SA_EEENS0_18inequality_wrapperIZN2at6native12_GLOBAL__N_124unique_dim_cuda_templateIaEESt5tupleIJNSF_6TensorESK_SK_EERKSK_lbbbEUlllE0_EEPmJS9_EEE10hipError_tPvRmT3_T4_T5_T6_T7_T9_mT8_P12ihipStream_tbDpT10_ENKUlT_T0_E_clISt17integral_constantIbLb1EES19_IbLb0EEEEDaS15_S16_EUlS15_E_NS1_11comp_targetILNS1_3genE4ELNS1_11target_archE910ELNS1_3gpuE8ELNS1_3repE0EEENS1_30default_config_static_selectorELNS0_4arch9wavefront6targetE1EEEvT1_
                                        ; -- End function
	.section	.AMDGPU.csdata,"",@progbits
; Kernel info:
; codeLenInByte = 9560
; NumSgprs: 50
; NumVgprs: 50
; NumAgprs: 0
; TotalNumVgprs: 50
; ScratchSize: 0
; MemoryBound: 0
; FloatMode: 240
; IeeeMode: 1
; LDSByteSize: 4236 bytes/workgroup (compile time only)
; SGPRBlocks: 6
; VGPRBlocks: 6
; NumSGPRsForWavesPerEU: 50
; NumVGPRsForWavesPerEU: 50
; AccumOffset: 52
; Occupancy: 8
; WaveLimiterHint : 1
; COMPUTE_PGM_RSRC2:SCRATCH_EN: 0
; COMPUTE_PGM_RSRC2:USER_SGPR: 6
; COMPUTE_PGM_RSRC2:TRAP_HANDLER: 0
; COMPUTE_PGM_RSRC2:TGID_X_EN: 1
; COMPUTE_PGM_RSRC2:TGID_Y_EN: 0
; COMPUTE_PGM_RSRC2:TGID_Z_EN: 0
; COMPUTE_PGM_RSRC2:TIDIG_COMP_CNT: 0
; COMPUTE_PGM_RSRC3_GFX90A:ACCUM_OFFSET: 12
; COMPUTE_PGM_RSRC3_GFX90A:TG_SPLIT: 0
	.section	.text._ZN7rocprim17ROCPRIM_400000_NS6detail17trampoline_kernelINS0_14default_configENS1_25partition_config_selectorILNS1_17partition_subalgoE9EllbEEZZNS1_14partition_implILS5_9ELb0ES3_jPlS8_PNS0_10empty_typeENS0_5tupleIJS8_S9_EEENSB_IJS8_SA_EEENS0_18inequality_wrapperIZN2at6native12_GLOBAL__N_124unique_dim_cuda_templateIaEESt5tupleIJNSF_6TensorESK_SK_EERKSK_lbbbEUlllE0_EEPmJS9_EEE10hipError_tPvRmT3_T4_T5_T6_T7_T9_mT8_P12ihipStream_tbDpT10_ENKUlT_T0_E_clISt17integral_constantIbLb1EES19_IbLb0EEEEDaS15_S16_EUlS15_E_NS1_11comp_targetILNS1_3genE3ELNS1_11target_archE908ELNS1_3gpuE7ELNS1_3repE0EEENS1_30default_config_static_selectorELNS0_4arch9wavefront6targetE1EEEvT1_,"axG",@progbits,_ZN7rocprim17ROCPRIM_400000_NS6detail17trampoline_kernelINS0_14default_configENS1_25partition_config_selectorILNS1_17partition_subalgoE9EllbEEZZNS1_14partition_implILS5_9ELb0ES3_jPlS8_PNS0_10empty_typeENS0_5tupleIJS8_S9_EEENSB_IJS8_SA_EEENS0_18inequality_wrapperIZN2at6native12_GLOBAL__N_124unique_dim_cuda_templateIaEESt5tupleIJNSF_6TensorESK_SK_EERKSK_lbbbEUlllE0_EEPmJS9_EEE10hipError_tPvRmT3_T4_T5_T6_T7_T9_mT8_P12ihipStream_tbDpT10_ENKUlT_T0_E_clISt17integral_constantIbLb1EES19_IbLb0EEEEDaS15_S16_EUlS15_E_NS1_11comp_targetILNS1_3genE3ELNS1_11target_archE908ELNS1_3gpuE7ELNS1_3repE0EEENS1_30default_config_static_selectorELNS0_4arch9wavefront6targetE1EEEvT1_,comdat
	.globl	_ZN7rocprim17ROCPRIM_400000_NS6detail17trampoline_kernelINS0_14default_configENS1_25partition_config_selectorILNS1_17partition_subalgoE9EllbEEZZNS1_14partition_implILS5_9ELb0ES3_jPlS8_PNS0_10empty_typeENS0_5tupleIJS8_S9_EEENSB_IJS8_SA_EEENS0_18inequality_wrapperIZN2at6native12_GLOBAL__N_124unique_dim_cuda_templateIaEESt5tupleIJNSF_6TensorESK_SK_EERKSK_lbbbEUlllE0_EEPmJS9_EEE10hipError_tPvRmT3_T4_T5_T6_T7_T9_mT8_P12ihipStream_tbDpT10_ENKUlT_T0_E_clISt17integral_constantIbLb1EES19_IbLb0EEEEDaS15_S16_EUlS15_E_NS1_11comp_targetILNS1_3genE3ELNS1_11target_archE908ELNS1_3gpuE7ELNS1_3repE0EEENS1_30default_config_static_selectorELNS0_4arch9wavefront6targetE1EEEvT1_ ; -- Begin function _ZN7rocprim17ROCPRIM_400000_NS6detail17trampoline_kernelINS0_14default_configENS1_25partition_config_selectorILNS1_17partition_subalgoE9EllbEEZZNS1_14partition_implILS5_9ELb0ES3_jPlS8_PNS0_10empty_typeENS0_5tupleIJS8_S9_EEENSB_IJS8_SA_EEENS0_18inequality_wrapperIZN2at6native12_GLOBAL__N_124unique_dim_cuda_templateIaEESt5tupleIJNSF_6TensorESK_SK_EERKSK_lbbbEUlllE0_EEPmJS9_EEE10hipError_tPvRmT3_T4_T5_T6_T7_T9_mT8_P12ihipStream_tbDpT10_ENKUlT_T0_E_clISt17integral_constantIbLb1EES19_IbLb0EEEEDaS15_S16_EUlS15_E_NS1_11comp_targetILNS1_3genE3ELNS1_11target_archE908ELNS1_3gpuE7ELNS1_3repE0EEENS1_30default_config_static_selectorELNS0_4arch9wavefront6targetE1EEEvT1_
	.p2align	8
	.type	_ZN7rocprim17ROCPRIM_400000_NS6detail17trampoline_kernelINS0_14default_configENS1_25partition_config_selectorILNS1_17partition_subalgoE9EllbEEZZNS1_14partition_implILS5_9ELb0ES3_jPlS8_PNS0_10empty_typeENS0_5tupleIJS8_S9_EEENSB_IJS8_SA_EEENS0_18inequality_wrapperIZN2at6native12_GLOBAL__N_124unique_dim_cuda_templateIaEESt5tupleIJNSF_6TensorESK_SK_EERKSK_lbbbEUlllE0_EEPmJS9_EEE10hipError_tPvRmT3_T4_T5_T6_T7_T9_mT8_P12ihipStream_tbDpT10_ENKUlT_T0_E_clISt17integral_constantIbLb1EES19_IbLb0EEEEDaS15_S16_EUlS15_E_NS1_11comp_targetILNS1_3genE3ELNS1_11target_archE908ELNS1_3gpuE7ELNS1_3repE0EEENS1_30default_config_static_selectorELNS0_4arch9wavefront6targetE1EEEvT1_,@function
_ZN7rocprim17ROCPRIM_400000_NS6detail17trampoline_kernelINS0_14default_configENS1_25partition_config_selectorILNS1_17partition_subalgoE9EllbEEZZNS1_14partition_implILS5_9ELb0ES3_jPlS8_PNS0_10empty_typeENS0_5tupleIJS8_S9_EEENSB_IJS8_SA_EEENS0_18inequality_wrapperIZN2at6native12_GLOBAL__N_124unique_dim_cuda_templateIaEESt5tupleIJNSF_6TensorESK_SK_EERKSK_lbbbEUlllE0_EEPmJS9_EEE10hipError_tPvRmT3_T4_T5_T6_T7_T9_mT8_P12ihipStream_tbDpT10_ENKUlT_T0_E_clISt17integral_constantIbLb1EES19_IbLb0EEEEDaS15_S16_EUlS15_E_NS1_11comp_targetILNS1_3genE3ELNS1_11target_archE908ELNS1_3gpuE7ELNS1_3repE0EEENS1_30default_config_static_selectorELNS0_4arch9wavefront6targetE1EEEvT1_: ; @_ZN7rocprim17ROCPRIM_400000_NS6detail17trampoline_kernelINS0_14default_configENS1_25partition_config_selectorILNS1_17partition_subalgoE9EllbEEZZNS1_14partition_implILS5_9ELb0ES3_jPlS8_PNS0_10empty_typeENS0_5tupleIJS8_S9_EEENSB_IJS8_SA_EEENS0_18inequality_wrapperIZN2at6native12_GLOBAL__N_124unique_dim_cuda_templateIaEESt5tupleIJNSF_6TensorESK_SK_EERKSK_lbbbEUlllE0_EEPmJS9_EEE10hipError_tPvRmT3_T4_T5_T6_T7_T9_mT8_P12ihipStream_tbDpT10_ENKUlT_T0_E_clISt17integral_constantIbLb1EES19_IbLb0EEEEDaS15_S16_EUlS15_E_NS1_11comp_targetILNS1_3genE3ELNS1_11target_archE908ELNS1_3gpuE7ELNS1_3repE0EEENS1_30default_config_static_selectorELNS0_4arch9wavefront6targetE1EEEvT1_
; %bb.0:
	.section	.rodata,"a",@progbits
	.p2align	6, 0x0
	.amdhsa_kernel _ZN7rocprim17ROCPRIM_400000_NS6detail17trampoline_kernelINS0_14default_configENS1_25partition_config_selectorILNS1_17partition_subalgoE9EllbEEZZNS1_14partition_implILS5_9ELb0ES3_jPlS8_PNS0_10empty_typeENS0_5tupleIJS8_S9_EEENSB_IJS8_SA_EEENS0_18inequality_wrapperIZN2at6native12_GLOBAL__N_124unique_dim_cuda_templateIaEESt5tupleIJNSF_6TensorESK_SK_EERKSK_lbbbEUlllE0_EEPmJS9_EEE10hipError_tPvRmT3_T4_T5_T6_T7_T9_mT8_P12ihipStream_tbDpT10_ENKUlT_T0_E_clISt17integral_constantIbLb1EES19_IbLb0EEEEDaS15_S16_EUlS15_E_NS1_11comp_targetILNS1_3genE3ELNS1_11target_archE908ELNS1_3gpuE7ELNS1_3repE0EEENS1_30default_config_static_selectorELNS0_4arch9wavefront6targetE1EEEvT1_
		.amdhsa_group_segment_fixed_size 0
		.amdhsa_private_segment_fixed_size 0
		.amdhsa_kernarg_size 120
		.amdhsa_user_sgpr_count 6
		.amdhsa_user_sgpr_private_segment_buffer 1
		.amdhsa_user_sgpr_dispatch_ptr 0
		.amdhsa_user_sgpr_queue_ptr 0
		.amdhsa_user_sgpr_kernarg_segment_ptr 1
		.amdhsa_user_sgpr_dispatch_id 0
		.amdhsa_user_sgpr_flat_scratch_init 0
		.amdhsa_user_sgpr_kernarg_preload_length 0
		.amdhsa_user_sgpr_kernarg_preload_offset 0
		.amdhsa_user_sgpr_private_segment_size 0
		.amdhsa_uses_dynamic_stack 0
		.amdhsa_system_sgpr_private_segment_wavefront_offset 0
		.amdhsa_system_sgpr_workgroup_id_x 1
		.amdhsa_system_sgpr_workgroup_id_y 0
		.amdhsa_system_sgpr_workgroup_id_z 0
		.amdhsa_system_sgpr_workgroup_info 0
		.amdhsa_system_vgpr_workitem_id 0
		.amdhsa_next_free_vgpr 1
		.amdhsa_next_free_sgpr 0
		.amdhsa_accum_offset 4
		.amdhsa_reserve_vcc 0
		.amdhsa_reserve_flat_scratch 0
		.amdhsa_float_round_mode_32 0
		.amdhsa_float_round_mode_16_64 0
		.amdhsa_float_denorm_mode_32 3
		.amdhsa_float_denorm_mode_16_64 3
		.amdhsa_dx10_clamp 1
		.amdhsa_ieee_mode 1
		.amdhsa_fp16_overflow 0
		.amdhsa_tg_split 0
		.amdhsa_exception_fp_ieee_invalid_op 0
		.amdhsa_exception_fp_denorm_src 0
		.amdhsa_exception_fp_ieee_div_zero 0
		.amdhsa_exception_fp_ieee_overflow 0
		.amdhsa_exception_fp_ieee_underflow 0
		.amdhsa_exception_fp_ieee_inexact 0
		.amdhsa_exception_int_div_zero 0
	.end_amdhsa_kernel
	.section	.text._ZN7rocprim17ROCPRIM_400000_NS6detail17trampoline_kernelINS0_14default_configENS1_25partition_config_selectorILNS1_17partition_subalgoE9EllbEEZZNS1_14partition_implILS5_9ELb0ES3_jPlS8_PNS0_10empty_typeENS0_5tupleIJS8_S9_EEENSB_IJS8_SA_EEENS0_18inequality_wrapperIZN2at6native12_GLOBAL__N_124unique_dim_cuda_templateIaEESt5tupleIJNSF_6TensorESK_SK_EERKSK_lbbbEUlllE0_EEPmJS9_EEE10hipError_tPvRmT3_T4_T5_T6_T7_T9_mT8_P12ihipStream_tbDpT10_ENKUlT_T0_E_clISt17integral_constantIbLb1EES19_IbLb0EEEEDaS15_S16_EUlS15_E_NS1_11comp_targetILNS1_3genE3ELNS1_11target_archE908ELNS1_3gpuE7ELNS1_3repE0EEENS1_30default_config_static_selectorELNS0_4arch9wavefront6targetE1EEEvT1_,"axG",@progbits,_ZN7rocprim17ROCPRIM_400000_NS6detail17trampoline_kernelINS0_14default_configENS1_25partition_config_selectorILNS1_17partition_subalgoE9EllbEEZZNS1_14partition_implILS5_9ELb0ES3_jPlS8_PNS0_10empty_typeENS0_5tupleIJS8_S9_EEENSB_IJS8_SA_EEENS0_18inequality_wrapperIZN2at6native12_GLOBAL__N_124unique_dim_cuda_templateIaEESt5tupleIJNSF_6TensorESK_SK_EERKSK_lbbbEUlllE0_EEPmJS9_EEE10hipError_tPvRmT3_T4_T5_T6_T7_T9_mT8_P12ihipStream_tbDpT10_ENKUlT_T0_E_clISt17integral_constantIbLb1EES19_IbLb0EEEEDaS15_S16_EUlS15_E_NS1_11comp_targetILNS1_3genE3ELNS1_11target_archE908ELNS1_3gpuE7ELNS1_3repE0EEENS1_30default_config_static_selectorELNS0_4arch9wavefront6targetE1EEEvT1_,comdat
.Lfunc_end370:
	.size	_ZN7rocprim17ROCPRIM_400000_NS6detail17trampoline_kernelINS0_14default_configENS1_25partition_config_selectorILNS1_17partition_subalgoE9EllbEEZZNS1_14partition_implILS5_9ELb0ES3_jPlS8_PNS0_10empty_typeENS0_5tupleIJS8_S9_EEENSB_IJS8_SA_EEENS0_18inequality_wrapperIZN2at6native12_GLOBAL__N_124unique_dim_cuda_templateIaEESt5tupleIJNSF_6TensorESK_SK_EERKSK_lbbbEUlllE0_EEPmJS9_EEE10hipError_tPvRmT3_T4_T5_T6_T7_T9_mT8_P12ihipStream_tbDpT10_ENKUlT_T0_E_clISt17integral_constantIbLb1EES19_IbLb0EEEEDaS15_S16_EUlS15_E_NS1_11comp_targetILNS1_3genE3ELNS1_11target_archE908ELNS1_3gpuE7ELNS1_3repE0EEENS1_30default_config_static_selectorELNS0_4arch9wavefront6targetE1EEEvT1_, .Lfunc_end370-_ZN7rocprim17ROCPRIM_400000_NS6detail17trampoline_kernelINS0_14default_configENS1_25partition_config_selectorILNS1_17partition_subalgoE9EllbEEZZNS1_14partition_implILS5_9ELb0ES3_jPlS8_PNS0_10empty_typeENS0_5tupleIJS8_S9_EEENSB_IJS8_SA_EEENS0_18inequality_wrapperIZN2at6native12_GLOBAL__N_124unique_dim_cuda_templateIaEESt5tupleIJNSF_6TensorESK_SK_EERKSK_lbbbEUlllE0_EEPmJS9_EEE10hipError_tPvRmT3_T4_T5_T6_T7_T9_mT8_P12ihipStream_tbDpT10_ENKUlT_T0_E_clISt17integral_constantIbLb1EES19_IbLb0EEEEDaS15_S16_EUlS15_E_NS1_11comp_targetILNS1_3genE3ELNS1_11target_archE908ELNS1_3gpuE7ELNS1_3repE0EEENS1_30default_config_static_selectorELNS0_4arch9wavefront6targetE1EEEvT1_
                                        ; -- End function
	.section	.AMDGPU.csdata,"",@progbits
; Kernel info:
; codeLenInByte = 0
; NumSgprs: 4
; NumVgprs: 0
; NumAgprs: 0
; TotalNumVgprs: 0
; ScratchSize: 0
; MemoryBound: 0
; FloatMode: 240
; IeeeMode: 1
; LDSByteSize: 0 bytes/workgroup (compile time only)
; SGPRBlocks: 0
; VGPRBlocks: 0
; NumSGPRsForWavesPerEU: 4
; NumVGPRsForWavesPerEU: 1
; AccumOffset: 4
; Occupancy: 8
; WaveLimiterHint : 0
; COMPUTE_PGM_RSRC2:SCRATCH_EN: 0
; COMPUTE_PGM_RSRC2:USER_SGPR: 6
; COMPUTE_PGM_RSRC2:TRAP_HANDLER: 0
; COMPUTE_PGM_RSRC2:TGID_X_EN: 1
; COMPUTE_PGM_RSRC2:TGID_Y_EN: 0
; COMPUTE_PGM_RSRC2:TGID_Z_EN: 0
; COMPUTE_PGM_RSRC2:TIDIG_COMP_CNT: 0
; COMPUTE_PGM_RSRC3_GFX90A:ACCUM_OFFSET: 0
; COMPUTE_PGM_RSRC3_GFX90A:TG_SPLIT: 0
	.section	.text._ZN7rocprim17ROCPRIM_400000_NS6detail17trampoline_kernelINS0_14default_configENS1_25partition_config_selectorILNS1_17partition_subalgoE9EllbEEZZNS1_14partition_implILS5_9ELb0ES3_jPlS8_PNS0_10empty_typeENS0_5tupleIJS8_S9_EEENSB_IJS8_SA_EEENS0_18inequality_wrapperIZN2at6native12_GLOBAL__N_124unique_dim_cuda_templateIaEESt5tupleIJNSF_6TensorESK_SK_EERKSK_lbbbEUlllE0_EEPmJS9_EEE10hipError_tPvRmT3_T4_T5_T6_T7_T9_mT8_P12ihipStream_tbDpT10_ENKUlT_T0_E_clISt17integral_constantIbLb1EES19_IbLb0EEEEDaS15_S16_EUlS15_E_NS1_11comp_targetILNS1_3genE2ELNS1_11target_archE906ELNS1_3gpuE6ELNS1_3repE0EEENS1_30default_config_static_selectorELNS0_4arch9wavefront6targetE1EEEvT1_,"axG",@progbits,_ZN7rocprim17ROCPRIM_400000_NS6detail17trampoline_kernelINS0_14default_configENS1_25partition_config_selectorILNS1_17partition_subalgoE9EllbEEZZNS1_14partition_implILS5_9ELb0ES3_jPlS8_PNS0_10empty_typeENS0_5tupleIJS8_S9_EEENSB_IJS8_SA_EEENS0_18inequality_wrapperIZN2at6native12_GLOBAL__N_124unique_dim_cuda_templateIaEESt5tupleIJNSF_6TensorESK_SK_EERKSK_lbbbEUlllE0_EEPmJS9_EEE10hipError_tPvRmT3_T4_T5_T6_T7_T9_mT8_P12ihipStream_tbDpT10_ENKUlT_T0_E_clISt17integral_constantIbLb1EES19_IbLb0EEEEDaS15_S16_EUlS15_E_NS1_11comp_targetILNS1_3genE2ELNS1_11target_archE906ELNS1_3gpuE6ELNS1_3repE0EEENS1_30default_config_static_selectorELNS0_4arch9wavefront6targetE1EEEvT1_,comdat
	.globl	_ZN7rocprim17ROCPRIM_400000_NS6detail17trampoline_kernelINS0_14default_configENS1_25partition_config_selectorILNS1_17partition_subalgoE9EllbEEZZNS1_14partition_implILS5_9ELb0ES3_jPlS8_PNS0_10empty_typeENS0_5tupleIJS8_S9_EEENSB_IJS8_SA_EEENS0_18inequality_wrapperIZN2at6native12_GLOBAL__N_124unique_dim_cuda_templateIaEESt5tupleIJNSF_6TensorESK_SK_EERKSK_lbbbEUlllE0_EEPmJS9_EEE10hipError_tPvRmT3_T4_T5_T6_T7_T9_mT8_P12ihipStream_tbDpT10_ENKUlT_T0_E_clISt17integral_constantIbLb1EES19_IbLb0EEEEDaS15_S16_EUlS15_E_NS1_11comp_targetILNS1_3genE2ELNS1_11target_archE906ELNS1_3gpuE6ELNS1_3repE0EEENS1_30default_config_static_selectorELNS0_4arch9wavefront6targetE1EEEvT1_ ; -- Begin function _ZN7rocprim17ROCPRIM_400000_NS6detail17trampoline_kernelINS0_14default_configENS1_25partition_config_selectorILNS1_17partition_subalgoE9EllbEEZZNS1_14partition_implILS5_9ELb0ES3_jPlS8_PNS0_10empty_typeENS0_5tupleIJS8_S9_EEENSB_IJS8_SA_EEENS0_18inequality_wrapperIZN2at6native12_GLOBAL__N_124unique_dim_cuda_templateIaEESt5tupleIJNSF_6TensorESK_SK_EERKSK_lbbbEUlllE0_EEPmJS9_EEE10hipError_tPvRmT3_T4_T5_T6_T7_T9_mT8_P12ihipStream_tbDpT10_ENKUlT_T0_E_clISt17integral_constantIbLb1EES19_IbLb0EEEEDaS15_S16_EUlS15_E_NS1_11comp_targetILNS1_3genE2ELNS1_11target_archE906ELNS1_3gpuE6ELNS1_3repE0EEENS1_30default_config_static_selectorELNS0_4arch9wavefront6targetE1EEEvT1_
	.p2align	8
	.type	_ZN7rocprim17ROCPRIM_400000_NS6detail17trampoline_kernelINS0_14default_configENS1_25partition_config_selectorILNS1_17partition_subalgoE9EllbEEZZNS1_14partition_implILS5_9ELb0ES3_jPlS8_PNS0_10empty_typeENS0_5tupleIJS8_S9_EEENSB_IJS8_SA_EEENS0_18inequality_wrapperIZN2at6native12_GLOBAL__N_124unique_dim_cuda_templateIaEESt5tupleIJNSF_6TensorESK_SK_EERKSK_lbbbEUlllE0_EEPmJS9_EEE10hipError_tPvRmT3_T4_T5_T6_T7_T9_mT8_P12ihipStream_tbDpT10_ENKUlT_T0_E_clISt17integral_constantIbLb1EES19_IbLb0EEEEDaS15_S16_EUlS15_E_NS1_11comp_targetILNS1_3genE2ELNS1_11target_archE906ELNS1_3gpuE6ELNS1_3repE0EEENS1_30default_config_static_selectorELNS0_4arch9wavefront6targetE1EEEvT1_,@function
_ZN7rocprim17ROCPRIM_400000_NS6detail17trampoline_kernelINS0_14default_configENS1_25partition_config_selectorILNS1_17partition_subalgoE9EllbEEZZNS1_14partition_implILS5_9ELb0ES3_jPlS8_PNS0_10empty_typeENS0_5tupleIJS8_S9_EEENSB_IJS8_SA_EEENS0_18inequality_wrapperIZN2at6native12_GLOBAL__N_124unique_dim_cuda_templateIaEESt5tupleIJNSF_6TensorESK_SK_EERKSK_lbbbEUlllE0_EEPmJS9_EEE10hipError_tPvRmT3_T4_T5_T6_T7_T9_mT8_P12ihipStream_tbDpT10_ENKUlT_T0_E_clISt17integral_constantIbLb1EES19_IbLb0EEEEDaS15_S16_EUlS15_E_NS1_11comp_targetILNS1_3genE2ELNS1_11target_archE906ELNS1_3gpuE6ELNS1_3repE0EEENS1_30default_config_static_selectorELNS0_4arch9wavefront6targetE1EEEvT1_: ; @_ZN7rocprim17ROCPRIM_400000_NS6detail17trampoline_kernelINS0_14default_configENS1_25partition_config_selectorILNS1_17partition_subalgoE9EllbEEZZNS1_14partition_implILS5_9ELb0ES3_jPlS8_PNS0_10empty_typeENS0_5tupleIJS8_S9_EEENSB_IJS8_SA_EEENS0_18inequality_wrapperIZN2at6native12_GLOBAL__N_124unique_dim_cuda_templateIaEESt5tupleIJNSF_6TensorESK_SK_EERKSK_lbbbEUlllE0_EEPmJS9_EEE10hipError_tPvRmT3_T4_T5_T6_T7_T9_mT8_P12ihipStream_tbDpT10_ENKUlT_T0_E_clISt17integral_constantIbLb1EES19_IbLb0EEEEDaS15_S16_EUlS15_E_NS1_11comp_targetILNS1_3genE2ELNS1_11target_archE906ELNS1_3gpuE6ELNS1_3repE0EEENS1_30default_config_static_selectorELNS0_4arch9wavefront6targetE1EEEvT1_
; %bb.0:
	.section	.rodata,"a",@progbits
	.p2align	6, 0x0
	.amdhsa_kernel _ZN7rocprim17ROCPRIM_400000_NS6detail17trampoline_kernelINS0_14default_configENS1_25partition_config_selectorILNS1_17partition_subalgoE9EllbEEZZNS1_14partition_implILS5_9ELb0ES3_jPlS8_PNS0_10empty_typeENS0_5tupleIJS8_S9_EEENSB_IJS8_SA_EEENS0_18inequality_wrapperIZN2at6native12_GLOBAL__N_124unique_dim_cuda_templateIaEESt5tupleIJNSF_6TensorESK_SK_EERKSK_lbbbEUlllE0_EEPmJS9_EEE10hipError_tPvRmT3_T4_T5_T6_T7_T9_mT8_P12ihipStream_tbDpT10_ENKUlT_T0_E_clISt17integral_constantIbLb1EES19_IbLb0EEEEDaS15_S16_EUlS15_E_NS1_11comp_targetILNS1_3genE2ELNS1_11target_archE906ELNS1_3gpuE6ELNS1_3repE0EEENS1_30default_config_static_selectorELNS0_4arch9wavefront6targetE1EEEvT1_
		.amdhsa_group_segment_fixed_size 0
		.amdhsa_private_segment_fixed_size 0
		.amdhsa_kernarg_size 120
		.amdhsa_user_sgpr_count 6
		.amdhsa_user_sgpr_private_segment_buffer 1
		.amdhsa_user_sgpr_dispatch_ptr 0
		.amdhsa_user_sgpr_queue_ptr 0
		.amdhsa_user_sgpr_kernarg_segment_ptr 1
		.amdhsa_user_sgpr_dispatch_id 0
		.amdhsa_user_sgpr_flat_scratch_init 0
		.amdhsa_user_sgpr_kernarg_preload_length 0
		.amdhsa_user_sgpr_kernarg_preload_offset 0
		.amdhsa_user_sgpr_private_segment_size 0
		.amdhsa_uses_dynamic_stack 0
		.amdhsa_system_sgpr_private_segment_wavefront_offset 0
		.amdhsa_system_sgpr_workgroup_id_x 1
		.amdhsa_system_sgpr_workgroup_id_y 0
		.amdhsa_system_sgpr_workgroup_id_z 0
		.amdhsa_system_sgpr_workgroup_info 0
		.amdhsa_system_vgpr_workitem_id 0
		.amdhsa_next_free_vgpr 1
		.amdhsa_next_free_sgpr 0
		.amdhsa_accum_offset 4
		.amdhsa_reserve_vcc 0
		.amdhsa_reserve_flat_scratch 0
		.amdhsa_float_round_mode_32 0
		.amdhsa_float_round_mode_16_64 0
		.amdhsa_float_denorm_mode_32 3
		.amdhsa_float_denorm_mode_16_64 3
		.amdhsa_dx10_clamp 1
		.amdhsa_ieee_mode 1
		.amdhsa_fp16_overflow 0
		.amdhsa_tg_split 0
		.amdhsa_exception_fp_ieee_invalid_op 0
		.amdhsa_exception_fp_denorm_src 0
		.amdhsa_exception_fp_ieee_div_zero 0
		.amdhsa_exception_fp_ieee_overflow 0
		.amdhsa_exception_fp_ieee_underflow 0
		.amdhsa_exception_fp_ieee_inexact 0
		.amdhsa_exception_int_div_zero 0
	.end_amdhsa_kernel
	.section	.text._ZN7rocprim17ROCPRIM_400000_NS6detail17trampoline_kernelINS0_14default_configENS1_25partition_config_selectorILNS1_17partition_subalgoE9EllbEEZZNS1_14partition_implILS5_9ELb0ES3_jPlS8_PNS0_10empty_typeENS0_5tupleIJS8_S9_EEENSB_IJS8_SA_EEENS0_18inequality_wrapperIZN2at6native12_GLOBAL__N_124unique_dim_cuda_templateIaEESt5tupleIJNSF_6TensorESK_SK_EERKSK_lbbbEUlllE0_EEPmJS9_EEE10hipError_tPvRmT3_T4_T5_T6_T7_T9_mT8_P12ihipStream_tbDpT10_ENKUlT_T0_E_clISt17integral_constantIbLb1EES19_IbLb0EEEEDaS15_S16_EUlS15_E_NS1_11comp_targetILNS1_3genE2ELNS1_11target_archE906ELNS1_3gpuE6ELNS1_3repE0EEENS1_30default_config_static_selectorELNS0_4arch9wavefront6targetE1EEEvT1_,"axG",@progbits,_ZN7rocprim17ROCPRIM_400000_NS6detail17trampoline_kernelINS0_14default_configENS1_25partition_config_selectorILNS1_17partition_subalgoE9EllbEEZZNS1_14partition_implILS5_9ELb0ES3_jPlS8_PNS0_10empty_typeENS0_5tupleIJS8_S9_EEENSB_IJS8_SA_EEENS0_18inequality_wrapperIZN2at6native12_GLOBAL__N_124unique_dim_cuda_templateIaEESt5tupleIJNSF_6TensorESK_SK_EERKSK_lbbbEUlllE0_EEPmJS9_EEE10hipError_tPvRmT3_T4_T5_T6_T7_T9_mT8_P12ihipStream_tbDpT10_ENKUlT_T0_E_clISt17integral_constantIbLb1EES19_IbLb0EEEEDaS15_S16_EUlS15_E_NS1_11comp_targetILNS1_3genE2ELNS1_11target_archE906ELNS1_3gpuE6ELNS1_3repE0EEENS1_30default_config_static_selectorELNS0_4arch9wavefront6targetE1EEEvT1_,comdat
.Lfunc_end371:
	.size	_ZN7rocprim17ROCPRIM_400000_NS6detail17trampoline_kernelINS0_14default_configENS1_25partition_config_selectorILNS1_17partition_subalgoE9EllbEEZZNS1_14partition_implILS5_9ELb0ES3_jPlS8_PNS0_10empty_typeENS0_5tupleIJS8_S9_EEENSB_IJS8_SA_EEENS0_18inequality_wrapperIZN2at6native12_GLOBAL__N_124unique_dim_cuda_templateIaEESt5tupleIJNSF_6TensorESK_SK_EERKSK_lbbbEUlllE0_EEPmJS9_EEE10hipError_tPvRmT3_T4_T5_T6_T7_T9_mT8_P12ihipStream_tbDpT10_ENKUlT_T0_E_clISt17integral_constantIbLb1EES19_IbLb0EEEEDaS15_S16_EUlS15_E_NS1_11comp_targetILNS1_3genE2ELNS1_11target_archE906ELNS1_3gpuE6ELNS1_3repE0EEENS1_30default_config_static_selectorELNS0_4arch9wavefront6targetE1EEEvT1_, .Lfunc_end371-_ZN7rocprim17ROCPRIM_400000_NS6detail17trampoline_kernelINS0_14default_configENS1_25partition_config_selectorILNS1_17partition_subalgoE9EllbEEZZNS1_14partition_implILS5_9ELb0ES3_jPlS8_PNS0_10empty_typeENS0_5tupleIJS8_S9_EEENSB_IJS8_SA_EEENS0_18inequality_wrapperIZN2at6native12_GLOBAL__N_124unique_dim_cuda_templateIaEESt5tupleIJNSF_6TensorESK_SK_EERKSK_lbbbEUlllE0_EEPmJS9_EEE10hipError_tPvRmT3_T4_T5_T6_T7_T9_mT8_P12ihipStream_tbDpT10_ENKUlT_T0_E_clISt17integral_constantIbLb1EES19_IbLb0EEEEDaS15_S16_EUlS15_E_NS1_11comp_targetILNS1_3genE2ELNS1_11target_archE906ELNS1_3gpuE6ELNS1_3repE0EEENS1_30default_config_static_selectorELNS0_4arch9wavefront6targetE1EEEvT1_
                                        ; -- End function
	.section	.AMDGPU.csdata,"",@progbits
; Kernel info:
; codeLenInByte = 0
; NumSgprs: 4
; NumVgprs: 0
; NumAgprs: 0
; TotalNumVgprs: 0
; ScratchSize: 0
; MemoryBound: 0
; FloatMode: 240
; IeeeMode: 1
; LDSByteSize: 0 bytes/workgroup (compile time only)
; SGPRBlocks: 0
; VGPRBlocks: 0
; NumSGPRsForWavesPerEU: 4
; NumVGPRsForWavesPerEU: 1
; AccumOffset: 4
; Occupancy: 8
; WaveLimiterHint : 0
; COMPUTE_PGM_RSRC2:SCRATCH_EN: 0
; COMPUTE_PGM_RSRC2:USER_SGPR: 6
; COMPUTE_PGM_RSRC2:TRAP_HANDLER: 0
; COMPUTE_PGM_RSRC2:TGID_X_EN: 1
; COMPUTE_PGM_RSRC2:TGID_Y_EN: 0
; COMPUTE_PGM_RSRC2:TGID_Z_EN: 0
; COMPUTE_PGM_RSRC2:TIDIG_COMP_CNT: 0
; COMPUTE_PGM_RSRC3_GFX90A:ACCUM_OFFSET: 0
; COMPUTE_PGM_RSRC3_GFX90A:TG_SPLIT: 0
	.section	.text._ZN7rocprim17ROCPRIM_400000_NS6detail17trampoline_kernelINS0_14default_configENS1_25partition_config_selectorILNS1_17partition_subalgoE9EllbEEZZNS1_14partition_implILS5_9ELb0ES3_jPlS8_PNS0_10empty_typeENS0_5tupleIJS8_S9_EEENSB_IJS8_SA_EEENS0_18inequality_wrapperIZN2at6native12_GLOBAL__N_124unique_dim_cuda_templateIaEESt5tupleIJNSF_6TensorESK_SK_EERKSK_lbbbEUlllE0_EEPmJS9_EEE10hipError_tPvRmT3_T4_T5_T6_T7_T9_mT8_P12ihipStream_tbDpT10_ENKUlT_T0_E_clISt17integral_constantIbLb1EES19_IbLb0EEEEDaS15_S16_EUlS15_E_NS1_11comp_targetILNS1_3genE10ELNS1_11target_archE1200ELNS1_3gpuE4ELNS1_3repE0EEENS1_30default_config_static_selectorELNS0_4arch9wavefront6targetE1EEEvT1_,"axG",@progbits,_ZN7rocprim17ROCPRIM_400000_NS6detail17trampoline_kernelINS0_14default_configENS1_25partition_config_selectorILNS1_17partition_subalgoE9EllbEEZZNS1_14partition_implILS5_9ELb0ES3_jPlS8_PNS0_10empty_typeENS0_5tupleIJS8_S9_EEENSB_IJS8_SA_EEENS0_18inequality_wrapperIZN2at6native12_GLOBAL__N_124unique_dim_cuda_templateIaEESt5tupleIJNSF_6TensorESK_SK_EERKSK_lbbbEUlllE0_EEPmJS9_EEE10hipError_tPvRmT3_T4_T5_T6_T7_T9_mT8_P12ihipStream_tbDpT10_ENKUlT_T0_E_clISt17integral_constantIbLb1EES19_IbLb0EEEEDaS15_S16_EUlS15_E_NS1_11comp_targetILNS1_3genE10ELNS1_11target_archE1200ELNS1_3gpuE4ELNS1_3repE0EEENS1_30default_config_static_selectorELNS0_4arch9wavefront6targetE1EEEvT1_,comdat
	.globl	_ZN7rocprim17ROCPRIM_400000_NS6detail17trampoline_kernelINS0_14default_configENS1_25partition_config_selectorILNS1_17partition_subalgoE9EllbEEZZNS1_14partition_implILS5_9ELb0ES3_jPlS8_PNS0_10empty_typeENS0_5tupleIJS8_S9_EEENSB_IJS8_SA_EEENS0_18inequality_wrapperIZN2at6native12_GLOBAL__N_124unique_dim_cuda_templateIaEESt5tupleIJNSF_6TensorESK_SK_EERKSK_lbbbEUlllE0_EEPmJS9_EEE10hipError_tPvRmT3_T4_T5_T6_T7_T9_mT8_P12ihipStream_tbDpT10_ENKUlT_T0_E_clISt17integral_constantIbLb1EES19_IbLb0EEEEDaS15_S16_EUlS15_E_NS1_11comp_targetILNS1_3genE10ELNS1_11target_archE1200ELNS1_3gpuE4ELNS1_3repE0EEENS1_30default_config_static_selectorELNS0_4arch9wavefront6targetE1EEEvT1_ ; -- Begin function _ZN7rocprim17ROCPRIM_400000_NS6detail17trampoline_kernelINS0_14default_configENS1_25partition_config_selectorILNS1_17partition_subalgoE9EllbEEZZNS1_14partition_implILS5_9ELb0ES3_jPlS8_PNS0_10empty_typeENS0_5tupleIJS8_S9_EEENSB_IJS8_SA_EEENS0_18inequality_wrapperIZN2at6native12_GLOBAL__N_124unique_dim_cuda_templateIaEESt5tupleIJNSF_6TensorESK_SK_EERKSK_lbbbEUlllE0_EEPmJS9_EEE10hipError_tPvRmT3_T4_T5_T6_T7_T9_mT8_P12ihipStream_tbDpT10_ENKUlT_T0_E_clISt17integral_constantIbLb1EES19_IbLb0EEEEDaS15_S16_EUlS15_E_NS1_11comp_targetILNS1_3genE10ELNS1_11target_archE1200ELNS1_3gpuE4ELNS1_3repE0EEENS1_30default_config_static_selectorELNS0_4arch9wavefront6targetE1EEEvT1_
	.p2align	8
	.type	_ZN7rocprim17ROCPRIM_400000_NS6detail17trampoline_kernelINS0_14default_configENS1_25partition_config_selectorILNS1_17partition_subalgoE9EllbEEZZNS1_14partition_implILS5_9ELb0ES3_jPlS8_PNS0_10empty_typeENS0_5tupleIJS8_S9_EEENSB_IJS8_SA_EEENS0_18inequality_wrapperIZN2at6native12_GLOBAL__N_124unique_dim_cuda_templateIaEESt5tupleIJNSF_6TensorESK_SK_EERKSK_lbbbEUlllE0_EEPmJS9_EEE10hipError_tPvRmT3_T4_T5_T6_T7_T9_mT8_P12ihipStream_tbDpT10_ENKUlT_T0_E_clISt17integral_constantIbLb1EES19_IbLb0EEEEDaS15_S16_EUlS15_E_NS1_11comp_targetILNS1_3genE10ELNS1_11target_archE1200ELNS1_3gpuE4ELNS1_3repE0EEENS1_30default_config_static_selectorELNS0_4arch9wavefront6targetE1EEEvT1_,@function
_ZN7rocprim17ROCPRIM_400000_NS6detail17trampoline_kernelINS0_14default_configENS1_25partition_config_selectorILNS1_17partition_subalgoE9EllbEEZZNS1_14partition_implILS5_9ELb0ES3_jPlS8_PNS0_10empty_typeENS0_5tupleIJS8_S9_EEENSB_IJS8_SA_EEENS0_18inequality_wrapperIZN2at6native12_GLOBAL__N_124unique_dim_cuda_templateIaEESt5tupleIJNSF_6TensorESK_SK_EERKSK_lbbbEUlllE0_EEPmJS9_EEE10hipError_tPvRmT3_T4_T5_T6_T7_T9_mT8_P12ihipStream_tbDpT10_ENKUlT_T0_E_clISt17integral_constantIbLb1EES19_IbLb0EEEEDaS15_S16_EUlS15_E_NS1_11comp_targetILNS1_3genE10ELNS1_11target_archE1200ELNS1_3gpuE4ELNS1_3repE0EEENS1_30default_config_static_selectorELNS0_4arch9wavefront6targetE1EEEvT1_: ; @_ZN7rocprim17ROCPRIM_400000_NS6detail17trampoline_kernelINS0_14default_configENS1_25partition_config_selectorILNS1_17partition_subalgoE9EllbEEZZNS1_14partition_implILS5_9ELb0ES3_jPlS8_PNS0_10empty_typeENS0_5tupleIJS8_S9_EEENSB_IJS8_SA_EEENS0_18inequality_wrapperIZN2at6native12_GLOBAL__N_124unique_dim_cuda_templateIaEESt5tupleIJNSF_6TensorESK_SK_EERKSK_lbbbEUlllE0_EEPmJS9_EEE10hipError_tPvRmT3_T4_T5_T6_T7_T9_mT8_P12ihipStream_tbDpT10_ENKUlT_T0_E_clISt17integral_constantIbLb1EES19_IbLb0EEEEDaS15_S16_EUlS15_E_NS1_11comp_targetILNS1_3genE10ELNS1_11target_archE1200ELNS1_3gpuE4ELNS1_3repE0EEENS1_30default_config_static_selectorELNS0_4arch9wavefront6targetE1EEEvT1_
; %bb.0:
	.section	.rodata,"a",@progbits
	.p2align	6, 0x0
	.amdhsa_kernel _ZN7rocprim17ROCPRIM_400000_NS6detail17trampoline_kernelINS0_14default_configENS1_25partition_config_selectorILNS1_17partition_subalgoE9EllbEEZZNS1_14partition_implILS5_9ELb0ES3_jPlS8_PNS0_10empty_typeENS0_5tupleIJS8_S9_EEENSB_IJS8_SA_EEENS0_18inequality_wrapperIZN2at6native12_GLOBAL__N_124unique_dim_cuda_templateIaEESt5tupleIJNSF_6TensorESK_SK_EERKSK_lbbbEUlllE0_EEPmJS9_EEE10hipError_tPvRmT3_T4_T5_T6_T7_T9_mT8_P12ihipStream_tbDpT10_ENKUlT_T0_E_clISt17integral_constantIbLb1EES19_IbLb0EEEEDaS15_S16_EUlS15_E_NS1_11comp_targetILNS1_3genE10ELNS1_11target_archE1200ELNS1_3gpuE4ELNS1_3repE0EEENS1_30default_config_static_selectorELNS0_4arch9wavefront6targetE1EEEvT1_
		.amdhsa_group_segment_fixed_size 0
		.amdhsa_private_segment_fixed_size 0
		.amdhsa_kernarg_size 120
		.amdhsa_user_sgpr_count 6
		.amdhsa_user_sgpr_private_segment_buffer 1
		.amdhsa_user_sgpr_dispatch_ptr 0
		.amdhsa_user_sgpr_queue_ptr 0
		.amdhsa_user_sgpr_kernarg_segment_ptr 1
		.amdhsa_user_sgpr_dispatch_id 0
		.amdhsa_user_sgpr_flat_scratch_init 0
		.amdhsa_user_sgpr_kernarg_preload_length 0
		.amdhsa_user_sgpr_kernarg_preload_offset 0
		.amdhsa_user_sgpr_private_segment_size 0
		.amdhsa_uses_dynamic_stack 0
		.amdhsa_system_sgpr_private_segment_wavefront_offset 0
		.amdhsa_system_sgpr_workgroup_id_x 1
		.amdhsa_system_sgpr_workgroup_id_y 0
		.amdhsa_system_sgpr_workgroup_id_z 0
		.amdhsa_system_sgpr_workgroup_info 0
		.amdhsa_system_vgpr_workitem_id 0
		.amdhsa_next_free_vgpr 1
		.amdhsa_next_free_sgpr 0
		.amdhsa_accum_offset 4
		.amdhsa_reserve_vcc 0
		.amdhsa_reserve_flat_scratch 0
		.amdhsa_float_round_mode_32 0
		.amdhsa_float_round_mode_16_64 0
		.amdhsa_float_denorm_mode_32 3
		.amdhsa_float_denorm_mode_16_64 3
		.amdhsa_dx10_clamp 1
		.amdhsa_ieee_mode 1
		.amdhsa_fp16_overflow 0
		.amdhsa_tg_split 0
		.amdhsa_exception_fp_ieee_invalid_op 0
		.amdhsa_exception_fp_denorm_src 0
		.amdhsa_exception_fp_ieee_div_zero 0
		.amdhsa_exception_fp_ieee_overflow 0
		.amdhsa_exception_fp_ieee_underflow 0
		.amdhsa_exception_fp_ieee_inexact 0
		.amdhsa_exception_int_div_zero 0
	.end_amdhsa_kernel
	.section	.text._ZN7rocprim17ROCPRIM_400000_NS6detail17trampoline_kernelINS0_14default_configENS1_25partition_config_selectorILNS1_17partition_subalgoE9EllbEEZZNS1_14partition_implILS5_9ELb0ES3_jPlS8_PNS0_10empty_typeENS0_5tupleIJS8_S9_EEENSB_IJS8_SA_EEENS0_18inequality_wrapperIZN2at6native12_GLOBAL__N_124unique_dim_cuda_templateIaEESt5tupleIJNSF_6TensorESK_SK_EERKSK_lbbbEUlllE0_EEPmJS9_EEE10hipError_tPvRmT3_T4_T5_T6_T7_T9_mT8_P12ihipStream_tbDpT10_ENKUlT_T0_E_clISt17integral_constantIbLb1EES19_IbLb0EEEEDaS15_S16_EUlS15_E_NS1_11comp_targetILNS1_3genE10ELNS1_11target_archE1200ELNS1_3gpuE4ELNS1_3repE0EEENS1_30default_config_static_selectorELNS0_4arch9wavefront6targetE1EEEvT1_,"axG",@progbits,_ZN7rocprim17ROCPRIM_400000_NS6detail17trampoline_kernelINS0_14default_configENS1_25partition_config_selectorILNS1_17partition_subalgoE9EllbEEZZNS1_14partition_implILS5_9ELb0ES3_jPlS8_PNS0_10empty_typeENS0_5tupleIJS8_S9_EEENSB_IJS8_SA_EEENS0_18inequality_wrapperIZN2at6native12_GLOBAL__N_124unique_dim_cuda_templateIaEESt5tupleIJNSF_6TensorESK_SK_EERKSK_lbbbEUlllE0_EEPmJS9_EEE10hipError_tPvRmT3_T4_T5_T6_T7_T9_mT8_P12ihipStream_tbDpT10_ENKUlT_T0_E_clISt17integral_constantIbLb1EES19_IbLb0EEEEDaS15_S16_EUlS15_E_NS1_11comp_targetILNS1_3genE10ELNS1_11target_archE1200ELNS1_3gpuE4ELNS1_3repE0EEENS1_30default_config_static_selectorELNS0_4arch9wavefront6targetE1EEEvT1_,comdat
.Lfunc_end372:
	.size	_ZN7rocprim17ROCPRIM_400000_NS6detail17trampoline_kernelINS0_14default_configENS1_25partition_config_selectorILNS1_17partition_subalgoE9EllbEEZZNS1_14partition_implILS5_9ELb0ES3_jPlS8_PNS0_10empty_typeENS0_5tupleIJS8_S9_EEENSB_IJS8_SA_EEENS0_18inequality_wrapperIZN2at6native12_GLOBAL__N_124unique_dim_cuda_templateIaEESt5tupleIJNSF_6TensorESK_SK_EERKSK_lbbbEUlllE0_EEPmJS9_EEE10hipError_tPvRmT3_T4_T5_T6_T7_T9_mT8_P12ihipStream_tbDpT10_ENKUlT_T0_E_clISt17integral_constantIbLb1EES19_IbLb0EEEEDaS15_S16_EUlS15_E_NS1_11comp_targetILNS1_3genE10ELNS1_11target_archE1200ELNS1_3gpuE4ELNS1_3repE0EEENS1_30default_config_static_selectorELNS0_4arch9wavefront6targetE1EEEvT1_, .Lfunc_end372-_ZN7rocprim17ROCPRIM_400000_NS6detail17trampoline_kernelINS0_14default_configENS1_25partition_config_selectorILNS1_17partition_subalgoE9EllbEEZZNS1_14partition_implILS5_9ELb0ES3_jPlS8_PNS0_10empty_typeENS0_5tupleIJS8_S9_EEENSB_IJS8_SA_EEENS0_18inequality_wrapperIZN2at6native12_GLOBAL__N_124unique_dim_cuda_templateIaEESt5tupleIJNSF_6TensorESK_SK_EERKSK_lbbbEUlllE0_EEPmJS9_EEE10hipError_tPvRmT3_T4_T5_T6_T7_T9_mT8_P12ihipStream_tbDpT10_ENKUlT_T0_E_clISt17integral_constantIbLb1EES19_IbLb0EEEEDaS15_S16_EUlS15_E_NS1_11comp_targetILNS1_3genE10ELNS1_11target_archE1200ELNS1_3gpuE4ELNS1_3repE0EEENS1_30default_config_static_selectorELNS0_4arch9wavefront6targetE1EEEvT1_
                                        ; -- End function
	.section	.AMDGPU.csdata,"",@progbits
; Kernel info:
; codeLenInByte = 0
; NumSgprs: 4
; NumVgprs: 0
; NumAgprs: 0
; TotalNumVgprs: 0
; ScratchSize: 0
; MemoryBound: 0
; FloatMode: 240
; IeeeMode: 1
; LDSByteSize: 0 bytes/workgroup (compile time only)
; SGPRBlocks: 0
; VGPRBlocks: 0
; NumSGPRsForWavesPerEU: 4
; NumVGPRsForWavesPerEU: 1
; AccumOffset: 4
; Occupancy: 8
; WaveLimiterHint : 0
; COMPUTE_PGM_RSRC2:SCRATCH_EN: 0
; COMPUTE_PGM_RSRC2:USER_SGPR: 6
; COMPUTE_PGM_RSRC2:TRAP_HANDLER: 0
; COMPUTE_PGM_RSRC2:TGID_X_EN: 1
; COMPUTE_PGM_RSRC2:TGID_Y_EN: 0
; COMPUTE_PGM_RSRC2:TGID_Z_EN: 0
; COMPUTE_PGM_RSRC2:TIDIG_COMP_CNT: 0
; COMPUTE_PGM_RSRC3_GFX90A:ACCUM_OFFSET: 0
; COMPUTE_PGM_RSRC3_GFX90A:TG_SPLIT: 0
	.section	.text._ZN7rocprim17ROCPRIM_400000_NS6detail17trampoline_kernelINS0_14default_configENS1_25partition_config_selectorILNS1_17partition_subalgoE9EllbEEZZNS1_14partition_implILS5_9ELb0ES3_jPlS8_PNS0_10empty_typeENS0_5tupleIJS8_S9_EEENSB_IJS8_SA_EEENS0_18inequality_wrapperIZN2at6native12_GLOBAL__N_124unique_dim_cuda_templateIaEESt5tupleIJNSF_6TensorESK_SK_EERKSK_lbbbEUlllE0_EEPmJS9_EEE10hipError_tPvRmT3_T4_T5_T6_T7_T9_mT8_P12ihipStream_tbDpT10_ENKUlT_T0_E_clISt17integral_constantIbLb1EES19_IbLb0EEEEDaS15_S16_EUlS15_E_NS1_11comp_targetILNS1_3genE9ELNS1_11target_archE1100ELNS1_3gpuE3ELNS1_3repE0EEENS1_30default_config_static_selectorELNS0_4arch9wavefront6targetE1EEEvT1_,"axG",@progbits,_ZN7rocprim17ROCPRIM_400000_NS6detail17trampoline_kernelINS0_14default_configENS1_25partition_config_selectorILNS1_17partition_subalgoE9EllbEEZZNS1_14partition_implILS5_9ELb0ES3_jPlS8_PNS0_10empty_typeENS0_5tupleIJS8_S9_EEENSB_IJS8_SA_EEENS0_18inequality_wrapperIZN2at6native12_GLOBAL__N_124unique_dim_cuda_templateIaEESt5tupleIJNSF_6TensorESK_SK_EERKSK_lbbbEUlllE0_EEPmJS9_EEE10hipError_tPvRmT3_T4_T5_T6_T7_T9_mT8_P12ihipStream_tbDpT10_ENKUlT_T0_E_clISt17integral_constantIbLb1EES19_IbLb0EEEEDaS15_S16_EUlS15_E_NS1_11comp_targetILNS1_3genE9ELNS1_11target_archE1100ELNS1_3gpuE3ELNS1_3repE0EEENS1_30default_config_static_selectorELNS0_4arch9wavefront6targetE1EEEvT1_,comdat
	.globl	_ZN7rocprim17ROCPRIM_400000_NS6detail17trampoline_kernelINS0_14default_configENS1_25partition_config_selectorILNS1_17partition_subalgoE9EllbEEZZNS1_14partition_implILS5_9ELb0ES3_jPlS8_PNS0_10empty_typeENS0_5tupleIJS8_S9_EEENSB_IJS8_SA_EEENS0_18inequality_wrapperIZN2at6native12_GLOBAL__N_124unique_dim_cuda_templateIaEESt5tupleIJNSF_6TensorESK_SK_EERKSK_lbbbEUlllE0_EEPmJS9_EEE10hipError_tPvRmT3_T4_T5_T6_T7_T9_mT8_P12ihipStream_tbDpT10_ENKUlT_T0_E_clISt17integral_constantIbLb1EES19_IbLb0EEEEDaS15_S16_EUlS15_E_NS1_11comp_targetILNS1_3genE9ELNS1_11target_archE1100ELNS1_3gpuE3ELNS1_3repE0EEENS1_30default_config_static_selectorELNS0_4arch9wavefront6targetE1EEEvT1_ ; -- Begin function _ZN7rocprim17ROCPRIM_400000_NS6detail17trampoline_kernelINS0_14default_configENS1_25partition_config_selectorILNS1_17partition_subalgoE9EllbEEZZNS1_14partition_implILS5_9ELb0ES3_jPlS8_PNS0_10empty_typeENS0_5tupleIJS8_S9_EEENSB_IJS8_SA_EEENS0_18inequality_wrapperIZN2at6native12_GLOBAL__N_124unique_dim_cuda_templateIaEESt5tupleIJNSF_6TensorESK_SK_EERKSK_lbbbEUlllE0_EEPmJS9_EEE10hipError_tPvRmT3_T4_T5_T6_T7_T9_mT8_P12ihipStream_tbDpT10_ENKUlT_T0_E_clISt17integral_constantIbLb1EES19_IbLb0EEEEDaS15_S16_EUlS15_E_NS1_11comp_targetILNS1_3genE9ELNS1_11target_archE1100ELNS1_3gpuE3ELNS1_3repE0EEENS1_30default_config_static_selectorELNS0_4arch9wavefront6targetE1EEEvT1_
	.p2align	8
	.type	_ZN7rocprim17ROCPRIM_400000_NS6detail17trampoline_kernelINS0_14default_configENS1_25partition_config_selectorILNS1_17partition_subalgoE9EllbEEZZNS1_14partition_implILS5_9ELb0ES3_jPlS8_PNS0_10empty_typeENS0_5tupleIJS8_S9_EEENSB_IJS8_SA_EEENS0_18inequality_wrapperIZN2at6native12_GLOBAL__N_124unique_dim_cuda_templateIaEESt5tupleIJNSF_6TensorESK_SK_EERKSK_lbbbEUlllE0_EEPmJS9_EEE10hipError_tPvRmT3_T4_T5_T6_T7_T9_mT8_P12ihipStream_tbDpT10_ENKUlT_T0_E_clISt17integral_constantIbLb1EES19_IbLb0EEEEDaS15_S16_EUlS15_E_NS1_11comp_targetILNS1_3genE9ELNS1_11target_archE1100ELNS1_3gpuE3ELNS1_3repE0EEENS1_30default_config_static_selectorELNS0_4arch9wavefront6targetE1EEEvT1_,@function
_ZN7rocprim17ROCPRIM_400000_NS6detail17trampoline_kernelINS0_14default_configENS1_25partition_config_selectorILNS1_17partition_subalgoE9EllbEEZZNS1_14partition_implILS5_9ELb0ES3_jPlS8_PNS0_10empty_typeENS0_5tupleIJS8_S9_EEENSB_IJS8_SA_EEENS0_18inequality_wrapperIZN2at6native12_GLOBAL__N_124unique_dim_cuda_templateIaEESt5tupleIJNSF_6TensorESK_SK_EERKSK_lbbbEUlllE0_EEPmJS9_EEE10hipError_tPvRmT3_T4_T5_T6_T7_T9_mT8_P12ihipStream_tbDpT10_ENKUlT_T0_E_clISt17integral_constantIbLb1EES19_IbLb0EEEEDaS15_S16_EUlS15_E_NS1_11comp_targetILNS1_3genE9ELNS1_11target_archE1100ELNS1_3gpuE3ELNS1_3repE0EEENS1_30default_config_static_selectorELNS0_4arch9wavefront6targetE1EEEvT1_: ; @_ZN7rocprim17ROCPRIM_400000_NS6detail17trampoline_kernelINS0_14default_configENS1_25partition_config_selectorILNS1_17partition_subalgoE9EllbEEZZNS1_14partition_implILS5_9ELb0ES3_jPlS8_PNS0_10empty_typeENS0_5tupleIJS8_S9_EEENSB_IJS8_SA_EEENS0_18inequality_wrapperIZN2at6native12_GLOBAL__N_124unique_dim_cuda_templateIaEESt5tupleIJNSF_6TensorESK_SK_EERKSK_lbbbEUlllE0_EEPmJS9_EEE10hipError_tPvRmT3_T4_T5_T6_T7_T9_mT8_P12ihipStream_tbDpT10_ENKUlT_T0_E_clISt17integral_constantIbLb1EES19_IbLb0EEEEDaS15_S16_EUlS15_E_NS1_11comp_targetILNS1_3genE9ELNS1_11target_archE1100ELNS1_3gpuE3ELNS1_3repE0EEENS1_30default_config_static_selectorELNS0_4arch9wavefront6targetE1EEEvT1_
; %bb.0:
	.section	.rodata,"a",@progbits
	.p2align	6, 0x0
	.amdhsa_kernel _ZN7rocprim17ROCPRIM_400000_NS6detail17trampoline_kernelINS0_14default_configENS1_25partition_config_selectorILNS1_17partition_subalgoE9EllbEEZZNS1_14partition_implILS5_9ELb0ES3_jPlS8_PNS0_10empty_typeENS0_5tupleIJS8_S9_EEENSB_IJS8_SA_EEENS0_18inequality_wrapperIZN2at6native12_GLOBAL__N_124unique_dim_cuda_templateIaEESt5tupleIJNSF_6TensorESK_SK_EERKSK_lbbbEUlllE0_EEPmJS9_EEE10hipError_tPvRmT3_T4_T5_T6_T7_T9_mT8_P12ihipStream_tbDpT10_ENKUlT_T0_E_clISt17integral_constantIbLb1EES19_IbLb0EEEEDaS15_S16_EUlS15_E_NS1_11comp_targetILNS1_3genE9ELNS1_11target_archE1100ELNS1_3gpuE3ELNS1_3repE0EEENS1_30default_config_static_selectorELNS0_4arch9wavefront6targetE1EEEvT1_
		.amdhsa_group_segment_fixed_size 0
		.amdhsa_private_segment_fixed_size 0
		.amdhsa_kernarg_size 120
		.amdhsa_user_sgpr_count 6
		.amdhsa_user_sgpr_private_segment_buffer 1
		.amdhsa_user_sgpr_dispatch_ptr 0
		.amdhsa_user_sgpr_queue_ptr 0
		.amdhsa_user_sgpr_kernarg_segment_ptr 1
		.amdhsa_user_sgpr_dispatch_id 0
		.amdhsa_user_sgpr_flat_scratch_init 0
		.amdhsa_user_sgpr_kernarg_preload_length 0
		.amdhsa_user_sgpr_kernarg_preload_offset 0
		.amdhsa_user_sgpr_private_segment_size 0
		.amdhsa_uses_dynamic_stack 0
		.amdhsa_system_sgpr_private_segment_wavefront_offset 0
		.amdhsa_system_sgpr_workgroup_id_x 1
		.amdhsa_system_sgpr_workgroup_id_y 0
		.amdhsa_system_sgpr_workgroup_id_z 0
		.amdhsa_system_sgpr_workgroup_info 0
		.amdhsa_system_vgpr_workitem_id 0
		.amdhsa_next_free_vgpr 1
		.amdhsa_next_free_sgpr 0
		.amdhsa_accum_offset 4
		.amdhsa_reserve_vcc 0
		.amdhsa_reserve_flat_scratch 0
		.amdhsa_float_round_mode_32 0
		.amdhsa_float_round_mode_16_64 0
		.amdhsa_float_denorm_mode_32 3
		.amdhsa_float_denorm_mode_16_64 3
		.amdhsa_dx10_clamp 1
		.amdhsa_ieee_mode 1
		.amdhsa_fp16_overflow 0
		.amdhsa_tg_split 0
		.amdhsa_exception_fp_ieee_invalid_op 0
		.amdhsa_exception_fp_denorm_src 0
		.amdhsa_exception_fp_ieee_div_zero 0
		.amdhsa_exception_fp_ieee_overflow 0
		.amdhsa_exception_fp_ieee_underflow 0
		.amdhsa_exception_fp_ieee_inexact 0
		.amdhsa_exception_int_div_zero 0
	.end_amdhsa_kernel
	.section	.text._ZN7rocprim17ROCPRIM_400000_NS6detail17trampoline_kernelINS0_14default_configENS1_25partition_config_selectorILNS1_17partition_subalgoE9EllbEEZZNS1_14partition_implILS5_9ELb0ES3_jPlS8_PNS0_10empty_typeENS0_5tupleIJS8_S9_EEENSB_IJS8_SA_EEENS0_18inequality_wrapperIZN2at6native12_GLOBAL__N_124unique_dim_cuda_templateIaEESt5tupleIJNSF_6TensorESK_SK_EERKSK_lbbbEUlllE0_EEPmJS9_EEE10hipError_tPvRmT3_T4_T5_T6_T7_T9_mT8_P12ihipStream_tbDpT10_ENKUlT_T0_E_clISt17integral_constantIbLb1EES19_IbLb0EEEEDaS15_S16_EUlS15_E_NS1_11comp_targetILNS1_3genE9ELNS1_11target_archE1100ELNS1_3gpuE3ELNS1_3repE0EEENS1_30default_config_static_selectorELNS0_4arch9wavefront6targetE1EEEvT1_,"axG",@progbits,_ZN7rocprim17ROCPRIM_400000_NS6detail17trampoline_kernelINS0_14default_configENS1_25partition_config_selectorILNS1_17partition_subalgoE9EllbEEZZNS1_14partition_implILS5_9ELb0ES3_jPlS8_PNS0_10empty_typeENS0_5tupleIJS8_S9_EEENSB_IJS8_SA_EEENS0_18inequality_wrapperIZN2at6native12_GLOBAL__N_124unique_dim_cuda_templateIaEESt5tupleIJNSF_6TensorESK_SK_EERKSK_lbbbEUlllE0_EEPmJS9_EEE10hipError_tPvRmT3_T4_T5_T6_T7_T9_mT8_P12ihipStream_tbDpT10_ENKUlT_T0_E_clISt17integral_constantIbLb1EES19_IbLb0EEEEDaS15_S16_EUlS15_E_NS1_11comp_targetILNS1_3genE9ELNS1_11target_archE1100ELNS1_3gpuE3ELNS1_3repE0EEENS1_30default_config_static_selectorELNS0_4arch9wavefront6targetE1EEEvT1_,comdat
.Lfunc_end373:
	.size	_ZN7rocprim17ROCPRIM_400000_NS6detail17trampoline_kernelINS0_14default_configENS1_25partition_config_selectorILNS1_17partition_subalgoE9EllbEEZZNS1_14partition_implILS5_9ELb0ES3_jPlS8_PNS0_10empty_typeENS0_5tupleIJS8_S9_EEENSB_IJS8_SA_EEENS0_18inequality_wrapperIZN2at6native12_GLOBAL__N_124unique_dim_cuda_templateIaEESt5tupleIJNSF_6TensorESK_SK_EERKSK_lbbbEUlllE0_EEPmJS9_EEE10hipError_tPvRmT3_T4_T5_T6_T7_T9_mT8_P12ihipStream_tbDpT10_ENKUlT_T0_E_clISt17integral_constantIbLb1EES19_IbLb0EEEEDaS15_S16_EUlS15_E_NS1_11comp_targetILNS1_3genE9ELNS1_11target_archE1100ELNS1_3gpuE3ELNS1_3repE0EEENS1_30default_config_static_selectorELNS0_4arch9wavefront6targetE1EEEvT1_, .Lfunc_end373-_ZN7rocprim17ROCPRIM_400000_NS6detail17trampoline_kernelINS0_14default_configENS1_25partition_config_selectorILNS1_17partition_subalgoE9EllbEEZZNS1_14partition_implILS5_9ELb0ES3_jPlS8_PNS0_10empty_typeENS0_5tupleIJS8_S9_EEENSB_IJS8_SA_EEENS0_18inequality_wrapperIZN2at6native12_GLOBAL__N_124unique_dim_cuda_templateIaEESt5tupleIJNSF_6TensorESK_SK_EERKSK_lbbbEUlllE0_EEPmJS9_EEE10hipError_tPvRmT3_T4_T5_T6_T7_T9_mT8_P12ihipStream_tbDpT10_ENKUlT_T0_E_clISt17integral_constantIbLb1EES19_IbLb0EEEEDaS15_S16_EUlS15_E_NS1_11comp_targetILNS1_3genE9ELNS1_11target_archE1100ELNS1_3gpuE3ELNS1_3repE0EEENS1_30default_config_static_selectorELNS0_4arch9wavefront6targetE1EEEvT1_
                                        ; -- End function
	.section	.AMDGPU.csdata,"",@progbits
; Kernel info:
; codeLenInByte = 0
; NumSgprs: 4
; NumVgprs: 0
; NumAgprs: 0
; TotalNumVgprs: 0
; ScratchSize: 0
; MemoryBound: 0
; FloatMode: 240
; IeeeMode: 1
; LDSByteSize: 0 bytes/workgroup (compile time only)
; SGPRBlocks: 0
; VGPRBlocks: 0
; NumSGPRsForWavesPerEU: 4
; NumVGPRsForWavesPerEU: 1
; AccumOffset: 4
; Occupancy: 8
; WaveLimiterHint : 0
; COMPUTE_PGM_RSRC2:SCRATCH_EN: 0
; COMPUTE_PGM_RSRC2:USER_SGPR: 6
; COMPUTE_PGM_RSRC2:TRAP_HANDLER: 0
; COMPUTE_PGM_RSRC2:TGID_X_EN: 1
; COMPUTE_PGM_RSRC2:TGID_Y_EN: 0
; COMPUTE_PGM_RSRC2:TGID_Z_EN: 0
; COMPUTE_PGM_RSRC2:TIDIG_COMP_CNT: 0
; COMPUTE_PGM_RSRC3_GFX90A:ACCUM_OFFSET: 0
; COMPUTE_PGM_RSRC3_GFX90A:TG_SPLIT: 0
	.section	.text._ZN7rocprim17ROCPRIM_400000_NS6detail17trampoline_kernelINS0_14default_configENS1_25partition_config_selectorILNS1_17partition_subalgoE9EllbEEZZNS1_14partition_implILS5_9ELb0ES3_jPlS8_PNS0_10empty_typeENS0_5tupleIJS8_S9_EEENSB_IJS8_SA_EEENS0_18inequality_wrapperIZN2at6native12_GLOBAL__N_124unique_dim_cuda_templateIaEESt5tupleIJNSF_6TensorESK_SK_EERKSK_lbbbEUlllE0_EEPmJS9_EEE10hipError_tPvRmT3_T4_T5_T6_T7_T9_mT8_P12ihipStream_tbDpT10_ENKUlT_T0_E_clISt17integral_constantIbLb1EES19_IbLb0EEEEDaS15_S16_EUlS15_E_NS1_11comp_targetILNS1_3genE8ELNS1_11target_archE1030ELNS1_3gpuE2ELNS1_3repE0EEENS1_30default_config_static_selectorELNS0_4arch9wavefront6targetE1EEEvT1_,"axG",@progbits,_ZN7rocprim17ROCPRIM_400000_NS6detail17trampoline_kernelINS0_14default_configENS1_25partition_config_selectorILNS1_17partition_subalgoE9EllbEEZZNS1_14partition_implILS5_9ELb0ES3_jPlS8_PNS0_10empty_typeENS0_5tupleIJS8_S9_EEENSB_IJS8_SA_EEENS0_18inequality_wrapperIZN2at6native12_GLOBAL__N_124unique_dim_cuda_templateIaEESt5tupleIJNSF_6TensorESK_SK_EERKSK_lbbbEUlllE0_EEPmJS9_EEE10hipError_tPvRmT3_T4_T5_T6_T7_T9_mT8_P12ihipStream_tbDpT10_ENKUlT_T0_E_clISt17integral_constantIbLb1EES19_IbLb0EEEEDaS15_S16_EUlS15_E_NS1_11comp_targetILNS1_3genE8ELNS1_11target_archE1030ELNS1_3gpuE2ELNS1_3repE0EEENS1_30default_config_static_selectorELNS0_4arch9wavefront6targetE1EEEvT1_,comdat
	.globl	_ZN7rocprim17ROCPRIM_400000_NS6detail17trampoline_kernelINS0_14default_configENS1_25partition_config_selectorILNS1_17partition_subalgoE9EllbEEZZNS1_14partition_implILS5_9ELb0ES3_jPlS8_PNS0_10empty_typeENS0_5tupleIJS8_S9_EEENSB_IJS8_SA_EEENS0_18inequality_wrapperIZN2at6native12_GLOBAL__N_124unique_dim_cuda_templateIaEESt5tupleIJNSF_6TensorESK_SK_EERKSK_lbbbEUlllE0_EEPmJS9_EEE10hipError_tPvRmT3_T4_T5_T6_T7_T9_mT8_P12ihipStream_tbDpT10_ENKUlT_T0_E_clISt17integral_constantIbLb1EES19_IbLb0EEEEDaS15_S16_EUlS15_E_NS1_11comp_targetILNS1_3genE8ELNS1_11target_archE1030ELNS1_3gpuE2ELNS1_3repE0EEENS1_30default_config_static_selectorELNS0_4arch9wavefront6targetE1EEEvT1_ ; -- Begin function _ZN7rocprim17ROCPRIM_400000_NS6detail17trampoline_kernelINS0_14default_configENS1_25partition_config_selectorILNS1_17partition_subalgoE9EllbEEZZNS1_14partition_implILS5_9ELb0ES3_jPlS8_PNS0_10empty_typeENS0_5tupleIJS8_S9_EEENSB_IJS8_SA_EEENS0_18inequality_wrapperIZN2at6native12_GLOBAL__N_124unique_dim_cuda_templateIaEESt5tupleIJNSF_6TensorESK_SK_EERKSK_lbbbEUlllE0_EEPmJS9_EEE10hipError_tPvRmT3_T4_T5_T6_T7_T9_mT8_P12ihipStream_tbDpT10_ENKUlT_T0_E_clISt17integral_constantIbLb1EES19_IbLb0EEEEDaS15_S16_EUlS15_E_NS1_11comp_targetILNS1_3genE8ELNS1_11target_archE1030ELNS1_3gpuE2ELNS1_3repE0EEENS1_30default_config_static_selectorELNS0_4arch9wavefront6targetE1EEEvT1_
	.p2align	8
	.type	_ZN7rocprim17ROCPRIM_400000_NS6detail17trampoline_kernelINS0_14default_configENS1_25partition_config_selectorILNS1_17partition_subalgoE9EllbEEZZNS1_14partition_implILS5_9ELb0ES3_jPlS8_PNS0_10empty_typeENS0_5tupleIJS8_S9_EEENSB_IJS8_SA_EEENS0_18inequality_wrapperIZN2at6native12_GLOBAL__N_124unique_dim_cuda_templateIaEESt5tupleIJNSF_6TensorESK_SK_EERKSK_lbbbEUlllE0_EEPmJS9_EEE10hipError_tPvRmT3_T4_T5_T6_T7_T9_mT8_P12ihipStream_tbDpT10_ENKUlT_T0_E_clISt17integral_constantIbLb1EES19_IbLb0EEEEDaS15_S16_EUlS15_E_NS1_11comp_targetILNS1_3genE8ELNS1_11target_archE1030ELNS1_3gpuE2ELNS1_3repE0EEENS1_30default_config_static_selectorELNS0_4arch9wavefront6targetE1EEEvT1_,@function
_ZN7rocprim17ROCPRIM_400000_NS6detail17trampoline_kernelINS0_14default_configENS1_25partition_config_selectorILNS1_17partition_subalgoE9EllbEEZZNS1_14partition_implILS5_9ELb0ES3_jPlS8_PNS0_10empty_typeENS0_5tupleIJS8_S9_EEENSB_IJS8_SA_EEENS0_18inequality_wrapperIZN2at6native12_GLOBAL__N_124unique_dim_cuda_templateIaEESt5tupleIJNSF_6TensorESK_SK_EERKSK_lbbbEUlllE0_EEPmJS9_EEE10hipError_tPvRmT3_T4_T5_T6_T7_T9_mT8_P12ihipStream_tbDpT10_ENKUlT_T0_E_clISt17integral_constantIbLb1EES19_IbLb0EEEEDaS15_S16_EUlS15_E_NS1_11comp_targetILNS1_3genE8ELNS1_11target_archE1030ELNS1_3gpuE2ELNS1_3repE0EEENS1_30default_config_static_selectorELNS0_4arch9wavefront6targetE1EEEvT1_: ; @_ZN7rocprim17ROCPRIM_400000_NS6detail17trampoline_kernelINS0_14default_configENS1_25partition_config_selectorILNS1_17partition_subalgoE9EllbEEZZNS1_14partition_implILS5_9ELb0ES3_jPlS8_PNS0_10empty_typeENS0_5tupleIJS8_S9_EEENSB_IJS8_SA_EEENS0_18inequality_wrapperIZN2at6native12_GLOBAL__N_124unique_dim_cuda_templateIaEESt5tupleIJNSF_6TensorESK_SK_EERKSK_lbbbEUlllE0_EEPmJS9_EEE10hipError_tPvRmT3_T4_T5_T6_T7_T9_mT8_P12ihipStream_tbDpT10_ENKUlT_T0_E_clISt17integral_constantIbLb1EES19_IbLb0EEEEDaS15_S16_EUlS15_E_NS1_11comp_targetILNS1_3genE8ELNS1_11target_archE1030ELNS1_3gpuE2ELNS1_3repE0EEENS1_30default_config_static_selectorELNS0_4arch9wavefront6targetE1EEEvT1_
; %bb.0:
	.section	.rodata,"a",@progbits
	.p2align	6, 0x0
	.amdhsa_kernel _ZN7rocprim17ROCPRIM_400000_NS6detail17trampoline_kernelINS0_14default_configENS1_25partition_config_selectorILNS1_17partition_subalgoE9EllbEEZZNS1_14partition_implILS5_9ELb0ES3_jPlS8_PNS0_10empty_typeENS0_5tupleIJS8_S9_EEENSB_IJS8_SA_EEENS0_18inequality_wrapperIZN2at6native12_GLOBAL__N_124unique_dim_cuda_templateIaEESt5tupleIJNSF_6TensorESK_SK_EERKSK_lbbbEUlllE0_EEPmJS9_EEE10hipError_tPvRmT3_T4_T5_T6_T7_T9_mT8_P12ihipStream_tbDpT10_ENKUlT_T0_E_clISt17integral_constantIbLb1EES19_IbLb0EEEEDaS15_S16_EUlS15_E_NS1_11comp_targetILNS1_3genE8ELNS1_11target_archE1030ELNS1_3gpuE2ELNS1_3repE0EEENS1_30default_config_static_selectorELNS0_4arch9wavefront6targetE1EEEvT1_
		.amdhsa_group_segment_fixed_size 0
		.amdhsa_private_segment_fixed_size 0
		.amdhsa_kernarg_size 120
		.amdhsa_user_sgpr_count 6
		.amdhsa_user_sgpr_private_segment_buffer 1
		.amdhsa_user_sgpr_dispatch_ptr 0
		.amdhsa_user_sgpr_queue_ptr 0
		.amdhsa_user_sgpr_kernarg_segment_ptr 1
		.amdhsa_user_sgpr_dispatch_id 0
		.amdhsa_user_sgpr_flat_scratch_init 0
		.amdhsa_user_sgpr_kernarg_preload_length 0
		.amdhsa_user_sgpr_kernarg_preload_offset 0
		.amdhsa_user_sgpr_private_segment_size 0
		.amdhsa_uses_dynamic_stack 0
		.amdhsa_system_sgpr_private_segment_wavefront_offset 0
		.amdhsa_system_sgpr_workgroup_id_x 1
		.amdhsa_system_sgpr_workgroup_id_y 0
		.amdhsa_system_sgpr_workgroup_id_z 0
		.amdhsa_system_sgpr_workgroup_info 0
		.amdhsa_system_vgpr_workitem_id 0
		.amdhsa_next_free_vgpr 1
		.amdhsa_next_free_sgpr 0
		.amdhsa_accum_offset 4
		.amdhsa_reserve_vcc 0
		.amdhsa_reserve_flat_scratch 0
		.amdhsa_float_round_mode_32 0
		.amdhsa_float_round_mode_16_64 0
		.amdhsa_float_denorm_mode_32 3
		.amdhsa_float_denorm_mode_16_64 3
		.amdhsa_dx10_clamp 1
		.amdhsa_ieee_mode 1
		.amdhsa_fp16_overflow 0
		.amdhsa_tg_split 0
		.amdhsa_exception_fp_ieee_invalid_op 0
		.amdhsa_exception_fp_denorm_src 0
		.amdhsa_exception_fp_ieee_div_zero 0
		.amdhsa_exception_fp_ieee_overflow 0
		.amdhsa_exception_fp_ieee_underflow 0
		.amdhsa_exception_fp_ieee_inexact 0
		.amdhsa_exception_int_div_zero 0
	.end_amdhsa_kernel
	.section	.text._ZN7rocprim17ROCPRIM_400000_NS6detail17trampoline_kernelINS0_14default_configENS1_25partition_config_selectorILNS1_17partition_subalgoE9EllbEEZZNS1_14partition_implILS5_9ELb0ES3_jPlS8_PNS0_10empty_typeENS0_5tupleIJS8_S9_EEENSB_IJS8_SA_EEENS0_18inequality_wrapperIZN2at6native12_GLOBAL__N_124unique_dim_cuda_templateIaEESt5tupleIJNSF_6TensorESK_SK_EERKSK_lbbbEUlllE0_EEPmJS9_EEE10hipError_tPvRmT3_T4_T5_T6_T7_T9_mT8_P12ihipStream_tbDpT10_ENKUlT_T0_E_clISt17integral_constantIbLb1EES19_IbLb0EEEEDaS15_S16_EUlS15_E_NS1_11comp_targetILNS1_3genE8ELNS1_11target_archE1030ELNS1_3gpuE2ELNS1_3repE0EEENS1_30default_config_static_selectorELNS0_4arch9wavefront6targetE1EEEvT1_,"axG",@progbits,_ZN7rocprim17ROCPRIM_400000_NS6detail17trampoline_kernelINS0_14default_configENS1_25partition_config_selectorILNS1_17partition_subalgoE9EllbEEZZNS1_14partition_implILS5_9ELb0ES3_jPlS8_PNS0_10empty_typeENS0_5tupleIJS8_S9_EEENSB_IJS8_SA_EEENS0_18inequality_wrapperIZN2at6native12_GLOBAL__N_124unique_dim_cuda_templateIaEESt5tupleIJNSF_6TensorESK_SK_EERKSK_lbbbEUlllE0_EEPmJS9_EEE10hipError_tPvRmT3_T4_T5_T6_T7_T9_mT8_P12ihipStream_tbDpT10_ENKUlT_T0_E_clISt17integral_constantIbLb1EES19_IbLb0EEEEDaS15_S16_EUlS15_E_NS1_11comp_targetILNS1_3genE8ELNS1_11target_archE1030ELNS1_3gpuE2ELNS1_3repE0EEENS1_30default_config_static_selectorELNS0_4arch9wavefront6targetE1EEEvT1_,comdat
.Lfunc_end374:
	.size	_ZN7rocprim17ROCPRIM_400000_NS6detail17trampoline_kernelINS0_14default_configENS1_25partition_config_selectorILNS1_17partition_subalgoE9EllbEEZZNS1_14partition_implILS5_9ELb0ES3_jPlS8_PNS0_10empty_typeENS0_5tupleIJS8_S9_EEENSB_IJS8_SA_EEENS0_18inequality_wrapperIZN2at6native12_GLOBAL__N_124unique_dim_cuda_templateIaEESt5tupleIJNSF_6TensorESK_SK_EERKSK_lbbbEUlllE0_EEPmJS9_EEE10hipError_tPvRmT3_T4_T5_T6_T7_T9_mT8_P12ihipStream_tbDpT10_ENKUlT_T0_E_clISt17integral_constantIbLb1EES19_IbLb0EEEEDaS15_S16_EUlS15_E_NS1_11comp_targetILNS1_3genE8ELNS1_11target_archE1030ELNS1_3gpuE2ELNS1_3repE0EEENS1_30default_config_static_selectorELNS0_4arch9wavefront6targetE1EEEvT1_, .Lfunc_end374-_ZN7rocprim17ROCPRIM_400000_NS6detail17trampoline_kernelINS0_14default_configENS1_25partition_config_selectorILNS1_17partition_subalgoE9EllbEEZZNS1_14partition_implILS5_9ELb0ES3_jPlS8_PNS0_10empty_typeENS0_5tupleIJS8_S9_EEENSB_IJS8_SA_EEENS0_18inequality_wrapperIZN2at6native12_GLOBAL__N_124unique_dim_cuda_templateIaEESt5tupleIJNSF_6TensorESK_SK_EERKSK_lbbbEUlllE0_EEPmJS9_EEE10hipError_tPvRmT3_T4_T5_T6_T7_T9_mT8_P12ihipStream_tbDpT10_ENKUlT_T0_E_clISt17integral_constantIbLb1EES19_IbLb0EEEEDaS15_S16_EUlS15_E_NS1_11comp_targetILNS1_3genE8ELNS1_11target_archE1030ELNS1_3gpuE2ELNS1_3repE0EEENS1_30default_config_static_selectorELNS0_4arch9wavefront6targetE1EEEvT1_
                                        ; -- End function
	.section	.AMDGPU.csdata,"",@progbits
; Kernel info:
; codeLenInByte = 0
; NumSgprs: 4
; NumVgprs: 0
; NumAgprs: 0
; TotalNumVgprs: 0
; ScratchSize: 0
; MemoryBound: 0
; FloatMode: 240
; IeeeMode: 1
; LDSByteSize: 0 bytes/workgroup (compile time only)
; SGPRBlocks: 0
; VGPRBlocks: 0
; NumSGPRsForWavesPerEU: 4
; NumVGPRsForWavesPerEU: 1
; AccumOffset: 4
; Occupancy: 8
; WaveLimiterHint : 0
; COMPUTE_PGM_RSRC2:SCRATCH_EN: 0
; COMPUTE_PGM_RSRC2:USER_SGPR: 6
; COMPUTE_PGM_RSRC2:TRAP_HANDLER: 0
; COMPUTE_PGM_RSRC2:TGID_X_EN: 1
; COMPUTE_PGM_RSRC2:TGID_Y_EN: 0
; COMPUTE_PGM_RSRC2:TGID_Z_EN: 0
; COMPUTE_PGM_RSRC2:TIDIG_COMP_CNT: 0
; COMPUTE_PGM_RSRC3_GFX90A:ACCUM_OFFSET: 0
; COMPUTE_PGM_RSRC3_GFX90A:TG_SPLIT: 0
	.section	.text._ZN7rocprim17ROCPRIM_400000_NS6detail17trampoline_kernelINS0_14default_configENS1_25partition_config_selectorILNS1_17partition_subalgoE9EllbEEZZNS1_14partition_implILS5_9ELb0ES3_jPlS8_PNS0_10empty_typeENS0_5tupleIJS8_S9_EEENSB_IJS8_SA_EEENS0_18inequality_wrapperIZN2at6native12_GLOBAL__N_124unique_dim_cuda_templateIaEESt5tupleIJNSF_6TensorESK_SK_EERKSK_lbbbEUlllE0_EEPmJS9_EEE10hipError_tPvRmT3_T4_T5_T6_T7_T9_mT8_P12ihipStream_tbDpT10_ENKUlT_T0_E_clISt17integral_constantIbLb0EES19_IbLb1EEEEDaS15_S16_EUlS15_E_NS1_11comp_targetILNS1_3genE0ELNS1_11target_archE4294967295ELNS1_3gpuE0ELNS1_3repE0EEENS1_30default_config_static_selectorELNS0_4arch9wavefront6targetE1EEEvT1_,"axG",@progbits,_ZN7rocprim17ROCPRIM_400000_NS6detail17trampoline_kernelINS0_14default_configENS1_25partition_config_selectorILNS1_17partition_subalgoE9EllbEEZZNS1_14partition_implILS5_9ELb0ES3_jPlS8_PNS0_10empty_typeENS0_5tupleIJS8_S9_EEENSB_IJS8_SA_EEENS0_18inequality_wrapperIZN2at6native12_GLOBAL__N_124unique_dim_cuda_templateIaEESt5tupleIJNSF_6TensorESK_SK_EERKSK_lbbbEUlllE0_EEPmJS9_EEE10hipError_tPvRmT3_T4_T5_T6_T7_T9_mT8_P12ihipStream_tbDpT10_ENKUlT_T0_E_clISt17integral_constantIbLb0EES19_IbLb1EEEEDaS15_S16_EUlS15_E_NS1_11comp_targetILNS1_3genE0ELNS1_11target_archE4294967295ELNS1_3gpuE0ELNS1_3repE0EEENS1_30default_config_static_selectorELNS0_4arch9wavefront6targetE1EEEvT1_,comdat
	.globl	_ZN7rocprim17ROCPRIM_400000_NS6detail17trampoline_kernelINS0_14default_configENS1_25partition_config_selectorILNS1_17partition_subalgoE9EllbEEZZNS1_14partition_implILS5_9ELb0ES3_jPlS8_PNS0_10empty_typeENS0_5tupleIJS8_S9_EEENSB_IJS8_SA_EEENS0_18inequality_wrapperIZN2at6native12_GLOBAL__N_124unique_dim_cuda_templateIaEESt5tupleIJNSF_6TensorESK_SK_EERKSK_lbbbEUlllE0_EEPmJS9_EEE10hipError_tPvRmT3_T4_T5_T6_T7_T9_mT8_P12ihipStream_tbDpT10_ENKUlT_T0_E_clISt17integral_constantIbLb0EES19_IbLb1EEEEDaS15_S16_EUlS15_E_NS1_11comp_targetILNS1_3genE0ELNS1_11target_archE4294967295ELNS1_3gpuE0ELNS1_3repE0EEENS1_30default_config_static_selectorELNS0_4arch9wavefront6targetE1EEEvT1_ ; -- Begin function _ZN7rocprim17ROCPRIM_400000_NS6detail17trampoline_kernelINS0_14default_configENS1_25partition_config_selectorILNS1_17partition_subalgoE9EllbEEZZNS1_14partition_implILS5_9ELb0ES3_jPlS8_PNS0_10empty_typeENS0_5tupleIJS8_S9_EEENSB_IJS8_SA_EEENS0_18inequality_wrapperIZN2at6native12_GLOBAL__N_124unique_dim_cuda_templateIaEESt5tupleIJNSF_6TensorESK_SK_EERKSK_lbbbEUlllE0_EEPmJS9_EEE10hipError_tPvRmT3_T4_T5_T6_T7_T9_mT8_P12ihipStream_tbDpT10_ENKUlT_T0_E_clISt17integral_constantIbLb0EES19_IbLb1EEEEDaS15_S16_EUlS15_E_NS1_11comp_targetILNS1_3genE0ELNS1_11target_archE4294967295ELNS1_3gpuE0ELNS1_3repE0EEENS1_30default_config_static_selectorELNS0_4arch9wavefront6targetE1EEEvT1_
	.p2align	8
	.type	_ZN7rocprim17ROCPRIM_400000_NS6detail17trampoline_kernelINS0_14default_configENS1_25partition_config_selectorILNS1_17partition_subalgoE9EllbEEZZNS1_14partition_implILS5_9ELb0ES3_jPlS8_PNS0_10empty_typeENS0_5tupleIJS8_S9_EEENSB_IJS8_SA_EEENS0_18inequality_wrapperIZN2at6native12_GLOBAL__N_124unique_dim_cuda_templateIaEESt5tupleIJNSF_6TensorESK_SK_EERKSK_lbbbEUlllE0_EEPmJS9_EEE10hipError_tPvRmT3_T4_T5_T6_T7_T9_mT8_P12ihipStream_tbDpT10_ENKUlT_T0_E_clISt17integral_constantIbLb0EES19_IbLb1EEEEDaS15_S16_EUlS15_E_NS1_11comp_targetILNS1_3genE0ELNS1_11target_archE4294967295ELNS1_3gpuE0ELNS1_3repE0EEENS1_30default_config_static_selectorELNS0_4arch9wavefront6targetE1EEEvT1_,@function
_ZN7rocprim17ROCPRIM_400000_NS6detail17trampoline_kernelINS0_14default_configENS1_25partition_config_selectorILNS1_17partition_subalgoE9EllbEEZZNS1_14partition_implILS5_9ELb0ES3_jPlS8_PNS0_10empty_typeENS0_5tupleIJS8_S9_EEENSB_IJS8_SA_EEENS0_18inequality_wrapperIZN2at6native12_GLOBAL__N_124unique_dim_cuda_templateIaEESt5tupleIJNSF_6TensorESK_SK_EERKSK_lbbbEUlllE0_EEPmJS9_EEE10hipError_tPvRmT3_T4_T5_T6_T7_T9_mT8_P12ihipStream_tbDpT10_ENKUlT_T0_E_clISt17integral_constantIbLb0EES19_IbLb1EEEEDaS15_S16_EUlS15_E_NS1_11comp_targetILNS1_3genE0ELNS1_11target_archE4294967295ELNS1_3gpuE0ELNS1_3repE0EEENS1_30default_config_static_selectorELNS0_4arch9wavefront6targetE1EEEvT1_: ; @_ZN7rocprim17ROCPRIM_400000_NS6detail17trampoline_kernelINS0_14default_configENS1_25partition_config_selectorILNS1_17partition_subalgoE9EllbEEZZNS1_14partition_implILS5_9ELb0ES3_jPlS8_PNS0_10empty_typeENS0_5tupleIJS8_S9_EEENSB_IJS8_SA_EEENS0_18inequality_wrapperIZN2at6native12_GLOBAL__N_124unique_dim_cuda_templateIaEESt5tupleIJNSF_6TensorESK_SK_EERKSK_lbbbEUlllE0_EEPmJS9_EEE10hipError_tPvRmT3_T4_T5_T6_T7_T9_mT8_P12ihipStream_tbDpT10_ENKUlT_T0_E_clISt17integral_constantIbLb0EES19_IbLb1EEEEDaS15_S16_EUlS15_E_NS1_11comp_targetILNS1_3genE0ELNS1_11target_archE4294967295ELNS1_3gpuE0ELNS1_3repE0EEENS1_30default_config_static_selectorELNS0_4arch9wavefront6targetE1EEEvT1_
; %bb.0:
	.section	.rodata,"a",@progbits
	.p2align	6, 0x0
	.amdhsa_kernel _ZN7rocprim17ROCPRIM_400000_NS6detail17trampoline_kernelINS0_14default_configENS1_25partition_config_selectorILNS1_17partition_subalgoE9EllbEEZZNS1_14partition_implILS5_9ELb0ES3_jPlS8_PNS0_10empty_typeENS0_5tupleIJS8_S9_EEENSB_IJS8_SA_EEENS0_18inequality_wrapperIZN2at6native12_GLOBAL__N_124unique_dim_cuda_templateIaEESt5tupleIJNSF_6TensorESK_SK_EERKSK_lbbbEUlllE0_EEPmJS9_EEE10hipError_tPvRmT3_T4_T5_T6_T7_T9_mT8_P12ihipStream_tbDpT10_ENKUlT_T0_E_clISt17integral_constantIbLb0EES19_IbLb1EEEEDaS15_S16_EUlS15_E_NS1_11comp_targetILNS1_3genE0ELNS1_11target_archE4294967295ELNS1_3gpuE0ELNS1_3repE0EEENS1_30default_config_static_selectorELNS0_4arch9wavefront6targetE1EEEvT1_
		.amdhsa_group_segment_fixed_size 0
		.amdhsa_private_segment_fixed_size 0
		.amdhsa_kernarg_size 136
		.amdhsa_user_sgpr_count 6
		.amdhsa_user_sgpr_private_segment_buffer 1
		.amdhsa_user_sgpr_dispatch_ptr 0
		.amdhsa_user_sgpr_queue_ptr 0
		.amdhsa_user_sgpr_kernarg_segment_ptr 1
		.amdhsa_user_sgpr_dispatch_id 0
		.amdhsa_user_sgpr_flat_scratch_init 0
		.amdhsa_user_sgpr_kernarg_preload_length 0
		.amdhsa_user_sgpr_kernarg_preload_offset 0
		.amdhsa_user_sgpr_private_segment_size 0
		.amdhsa_uses_dynamic_stack 0
		.amdhsa_system_sgpr_private_segment_wavefront_offset 0
		.amdhsa_system_sgpr_workgroup_id_x 1
		.amdhsa_system_sgpr_workgroup_id_y 0
		.amdhsa_system_sgpr_workgroup_id_z 0
		.amdhsa_system_sgpr_workgroup_info 0
		.amdhsa_system_vgpr_workitem_id 0
		.amdhsa_next_free_vgpr 1
		.amdhsa_next_free_sgpr 0
		.amdhsa_accum_offset 4
		.amdhsa_reserve_vcc 0
		.amdhsa_reserve_flat_scratch 0
		.amdhsa_float_round_mode_32 0
		.amdhsa_float_round_mode_16_64 0
		.amdhsa_float_denorm_mode_32 3
		.amdhsa_float_denorm_mode_16_64 3
		.amdhsa_dx10_clamp 1
		.amdhsa_ieee_mode 1
		.amdhsa_fp16_overflow 0
		.amdhsa_tg_split 0
		.amdhsa_exception_fp_ieee_invalid_op 0
		.amdhsa_exception_fp_denorm_src 0
		.amdhsa_exception_fp_ieee_div_zero 0
		.amdhsa_exception_fp_ieee_overflow 0
		.amdhsa_exception_fp_ieee_underflow 0
		.amdhsa_exception_fp_ieee_inexact 0
		.amdhsa_exception_int_div_zero 0
	.end_amdhsa_kernel
	.section	.text._ZN7rocprim17ROCPRIM_400000_NS6detail17trampoline_kernelINS0_14default_configENS1_25partition_config_selectorILNS1_17partition_subalgoE9EllbEEZZNS1_14partition_implILS5_9ELb0ES3_jPlS8_PNS0_10empty_typeENS0_5tupleIJS8_S9_EEENSB_IJS8_SA_EEENS0_18inequality_wrapperIZN2at6native12_GLOBAL__N_124unique_dim_cuda_templateIaEESt5tupleIJNSF_6TensorESK_SK_EERKSK_lbbbEUlllE0_EEPmJS9_EEE10hipError_tPvRmT3_T4_T5_T6_T7_T9_mT8_P12ihipStream_tbDpT10_ENKUlT_T0_E_clISt17integral_constantIbLb0EES19_IbLb1EEEEDaS15_S16_EUlS15_E_NS1_11comp_targetILNS1_3genE0ELNS1_11target_archE4294967295ELNS1_3gpuE0ELNS1_3repE0EEENS1_30default_config_static_selectorELNS0_4arch9wavefront6targetE1EEEvT1_,"axG",@progbits,_ZN7rocprim17ROCPRIM_400000_NS6detail17trampoline_kernelINS0_14default_configENS1_25partition_config_selectorILNS1_17partition_subalgoE9EllbEEZZNS1_14partition_implILS5_9ELb0ES3_jPlS8_PNS0_10empty_typeENS0_5tupleIJS8_S9_EEENSB_IJS8_SA_EEENS0_18inequality_wrapperIZN2at6native12_GLOBAL__N_124unique_dim_cuda_templateIaEESt5tupleIJNSF_6TensorESK_SK_EERKSK_lbbbEUlllE0_EEPmJS9_EEE10hipError_tPvRmT3_T4_T5_T6_T7_T9_mT8_P12ihipStream_tbDpT10_ENKUlT_T0_E_clISt17integral_constantIbLb0EES19_IbLb1EEEEDaS15_S16_EUlS15_E_NS1_11comp_targetILNS1_3genE0ELNS1_11target_archE4294967295ELNS1_3gpuE0ELNS1_3repE0EEENS1_30default_config_static_selectorELNS0_4arch9wavefront6targetE1EEEvT1_,comdat
.Lfunc_end375:
	.size	_ZN7rocprim17ROCPRIM_400000_NS6detail17trampoline_kernelINS0_14default_configENS1_25partition_config_selectorILNS1_17partition_subalgoE9EllbEEZZNS1_14partition_implILS5_9ELb0ES3_jPlS8_PNS0_10empty_typeENS0_5tupleIJS8_S9_EEENSB_IJS8_SA_EEENS0_18inequality_wrapperIZN2at6native12_GLOBAL__N_124unique_dim_cuda_templateIaEESt5tupleIJNSF_6TensorESK_SK_EERKSK_lbbbEUlllE0_EEPmJS9_EEE10hipError_tPvRmT3_T4_T5_T6_T7_T9_mT8_P12ihipStream_tbDpT10_ENKUlT_T0_E_clISt17integral_constantIbLb0EES19_IbLb1EEEEDaS15_S16_EUlS15_E_NS1_11comp_targetILNS1_3genE0ELNS1_11target_archE4294967295ELNS1_3gpuE0ELNS1_3repE0EEENS1_30default_config_static_selectorELNS0_4arch9wavefront6targetE1EEEvT1_, .Lfunc_end375-_ZN7rocprim17ROCPRIM_400000_NS6detail17trampoline_kernelINS0_14default_configENS1_25partition_config_selectorILNS1_17partition_subalgoE9EllbEEZZNS1_14partition_implILS5_9ELb0ES3_jPlS8_PNS0_10empty_typeENS0_5tupleIJS8_S9_EEENSB_IJS8_SA_EEENS0_18inequality_wrapperIZN2at6native12_GLOBAL__N_124unique_dim_cuda_templateIaEESt5tupleIJNSF_6TensorESK_SK_EERKSK_lbbbEUlllE0_EEPmJS9_EEE10hipError_tPvRmT3_T4_T5_T6_T7_T9_mT8_P12ihipStream_tbDpT10_ENKUlT_T0_E_clISt17integral_constantIbLb0EES19_IbLb1EEEEDaS15_S16_EUlS15_E_NS1_11comp_targetILNS1_3genE0ELNS1_11target_archE4294967295ELNS1_3gpuE0ELNS1_3repE0EEENS1_30default_config_static_selectorELNS0_4arch9wavefront6targetE1EEEvT1_
                                        ; -- End function
	.section	.AMDGPU.csdata,"",@progbits
; Kernel info:
; codeLenInByte = 0
; NumSgprs: 4
; NumVgprs: 0
; NumAgprs: 0
; TotalNumVgprs: 0
; ScratchSize: 0
; MemoryBound: 0
; FloatMode: 240
; IeeeMode: 1
; LDSByteSize: 0 bytes/workgroup (compile time only)
; SGPRBlocks: 0
; VGPRBlocks: 0
; NumSGPRsForWavesPerEU: 4
; NumVGPRsForWavesPerEU: 1
; AccumOffset: 4
; Occupancy: 8
; WaveLimiterHint : 0
; COMPUTE_PGM_RSRC2:SCRATCH_EN: 0
; COMPUTE_PGM_RSRC2:USER_SGPR: 6
; COMPUTE_PGM_RSRC2:TRAP_HANDLER: 0
; COMPUTE_PGM_RSRC2:TGID_X_EN: 1
; COMPUTE_PGM_RSRC2:TGID_Y_EN: 0
; COMPUTE_PGM_RSRC2:TGID_Z_EN: 0
; COMPUTE_PGM_RSRC2:TIDIG_COMP_CNT: 0
; COMPUTE_PGM_RSRC3_GFX90A:ACCUM_OFFSET: 0
; COMPUTE_PGM_RSRC3_GFX90A:TG_SPLIT: 0
	.section	.text._ZN7rocprim17ROCPRIM_400000_NS6detail17trampoline_kernelINS0_14default_configENS1_25partition_config_selectorILNS1_17partition_subalgoE9EllbEEZZNS1_14partition_implILS5_9ELb0ES3_jPlS8_PNS0_10empty_typeENS0_5tupleIJS8_S9_EEENSB_IJS8_SA_EEENS0_18inequality_wrapperIZN2at6native12_GLOBAL__N_124unique_dim_cuda_templateIaEESt5tupleIJNSF_6TensorESK_SK_EERKSK_lbbbEUlllE0_EEPmJS9_EEE10hipError_tPvRmT3_T4_T5_T6_T7_T9_mT8_P12ihipStream_tbDpT10_ENKUlT_T0_E_clISt17integral_constantIbLb0EES19_IbLb1EEEEDaS15_S16_EUlS15_E_NS1_11comp_targetILNS1_3genE5ELNS1_11target_archE942ELNS1_3gpuE9ELNS1_3repE0EEENS1_30default_config_static_selectorELNS0_4arch9wavefront6targetE1EEEvT1_,"axG",@progbits,_ZN7rocprim17ROCPRIM_400000_NS6detail17trampoline_kernelINS0_14default_configENS1_25partition_config_selectorILNS1_17partition_subalgoE9EllbEEZZNS1_14partition_implILS5_9ELb0ES3_jPlS8_PNS0_10empty_typeENS0_5tupleIJS8_S9_EEENSB_IJS8_SA_EEENS0_18inequality_wrapperIZN2at6native12_GLOBAL__N_124unique_dim_cuda_templateIaEESt5tupleIJNSF_6TensorESK_SK_EERKSK_lbbbEUlllE0_EEPmJS9_EEE10hipError_tPvRmT3_T4_T5_T6_T7_T9_mT8_P12ihipStream_tbDpT10_ENKUlT_T0_E_clISt17integral_constantIbLb0EES19_IbLb1EEEEDaS15_S16_EUlS15_E_NS1_11comp_targetILNS1_3genE5ELNS1_11target_archE942ELNS1_3gpuE9ELNS1_3repE0EEENS1_30default_config_static_selectorELNS0_4arch9wavefront6targetE1EEEvT1_,comdat
	.globl	_ZN7rocprim17ROCPRIM_400000_NS6detail17trampoline_kernelINS0_14default_configENS1_25partition_config_selectorILNS1_17partition_subalgoE9EllbEEZZNS1_14partition_implILS5_9ELb0ES3_jPlS8_PNS0_10empty_typeENS0_5tupleIJS8_S9_EEENSB_IJS8_SA_EEENS0_18inequality_wrapperIZN2at6native12_GLOBAL__N_124unique_dim_cuda_templateIaEESt5tupleIJNSF_6TensorESK_SK_EERKSK_lbbbEUlllE0_EEPmJS9_EEE10hipError_tPvRmT3_T4_T5_T6_T7_T9_mT8_P12ihipStream_tbDpT10_ENKUlT_T0_E_clISt17integral_constantIbLb0EES19_IbLb1EEEEDaS15_S16_EUlS15_E_NS1_11comp_targetILNS1_3genE5ELNS1_11target_archE942ELNS1_3gpuE9ELNS1_3repE0EEENS1_30default_config_static_selectorELNS0_4arch9wavefront6targetE1EEEvT1_ ; -- Begin function _ZN7rocprim17ROCPRIM_400000_NS6detail17trampoline_kernelINS0_14default_configENS1_25partition_config_selectorILNS1_17partition_subalgoE9EllbEEZZNS1_14partition_implILS5_9ELb0ES3_jPlS8_PNS0_10empty_typeENS0_5tupleIJS8_S9_EEENSB_IJS8_SA_EEENS0_18inequality_wrapperIZN2at6native12_GLOBAL__N_124unique_dim_cuda_templateIaEESt5tupleIJNSF_6TensorESK_SK_EERKSK_lbbbEUlllE0_EEPmJS9_EEE10hipError_tPvRmT3_T4_T5_T6_T7_T9_mT8_P12ihipStream_tbDpT10_ENKUlT_T0_E_clISt17integral_constantIbLb0EES19_IbLb1EEEEDaS15_S16_EUlS15_E_NS1_11comp_targetILNS1_3genE5ELNS1_11target_archE942ELNS1_3gpuE9ELNS1_3repE0EEENS1_30default_config_static_selectorELNS0_4arch9wavefront6targetE1EEEvT1_
	.p2align	8
	.type	_ZN7rocprim17ROCPRIM_400000_NS6detail17trampoline_kernelINS0_14default_configENS1_25partition_config_selectorILNS1_17partition_subalgoE9EllbEEZZNS1_14partition_implILS5_9ELb0ES3_jPlS8_PNS0_10empty_typeENS0_5tupleIJS8_S9_EEENSB_IJS8_SA_EEENS0_18inequality_wrapperIZN2at6native12_GLOBAL__N_124unique_dim_cuda_templateIaEESt5tupleIJNSF_6TensorESK_SK_EERKSK_lbbbEUlllE0_EEPmJS9_EEE10hipError_tPvRmT3_T4_T5_T6_T7_T9_mT8_P12ihipStream_tbDpT10_ENKUlT_T0_E_clISt17integral_constantIbLb0EES19_IbLb1EEEEDaS15_S16_EUlS15_E_NS1_11comp_targetILNS1_3genE5ELNS1_11target_archE942ELNS1_3gpuE9ELNS1_3repE0EEENS1_30default_config_static_selectorELNS0_4arch9wavefront6targetE1EEEvT1_,@function
_ZN7rocprim17ROCPRIM_400000_NS6detail17trampoline_kernelINS0_14default_configENS1_25partition_config_selectorILNS1_17partition_subalgoE9EllbEEZZNS1_14partition_implILS5_9ELb0ES3_jPlS8_PNS0_10empty_typeENS0_5tupleIJS8_S9_EEENSB_IJS8_SA_EEENS0_18inequality_wrapperIZN2at6native12_GLOBAL__N_124unique_dim_cuda_templateIaEESt5tupleIJNSF_6TensorESK_SK_EERKSK_lbbbEUlllE0_EEPmJS9_EEE10hipError_tPvRmT3_T4_T5_T6_T7_T9_mT8_P12ihipStream_tbDpT10_ENKUlT_T0_E_clISt17integral_constantIbLb0EES19_IbLb1EEEEDaS15_S16_EUlS15_E_NS1_11comp_targetILNS1_3genE5ELNS1_11target_archE942ELNS1_3gpuE9ELNS1_3repE0EEENS1_30default_config_static_selectorELNS0_4arch9wavefront6targetE1EEEvT1_: ; @_ZN7rocprim17ROCPRIM_400000_NS6detail17trampoline_kernelINS0_14default_configENS1_25partition_config_selectorILNS1_17partition_subalgoE9EllbEEZZNS1_14partition_implILS5_9ELb0ES3_jPlS8_PNS0_10empty_typeENS0_5tupleIJS8_S9_EEENSB_IJS8_SA_EEENS0_18inequality_wrapperIZN2at6native12_GLOBAL__N_124unique_dim_cuda_templateIaEESt5tupleIJNSF_6TensorESK_SK_EERKSK_lbbbEUlllE0_EEPmJS9_EEE10hipError_tPvRmT3_T4_T5_T6_T7_T9_mT8_P12ihipStream_tbDpT10_ENKUlT_T0_E_clISt17integral_constantIbLb0EES19_IbLb1EEEEDaS15_S16_EUlS15_E_NS1_11comp_targetILNS1_3genE5ELNS1_11target_archE942ELNS1_3gpuE9ELNS1_3repE0EEENS1_30default_config_static_selectorELNS0_4arch9wavefront6targetE1EEEvT1_
; %bb.0:
	.section	.rodata,"a",@progbits
	.p2align	6, 0x0
	.amdhsa_kernel _ZN7rocprim17ROCPRIM_400000_NS6detail17trampoline_kernelINS0_14default_configENS1_25partition_config_selectorILNS1_17partition_subalgoE9EllbEEZZNS1_14partition_implILS5_9ELb0ES3_jPlS8_PNS0_10empty_typeENS0_5tupleIJS8_S9_EEENSB_IJS8_SA_EEENS0_18inequality_wrapperIZN2at6native12_GLOBAL__N_124unique_dim_cuda_templateIaEESt5tupleIJNSF_6TensorESK_SK_EERKSK_lbbbEUlllE0_EEPmJS9_EEE10hipError_tPvRmT3_T4_T5_T6_T7_T9_mT8_P12ihipStream_tbDpT10_ENKUlT_T0_E_clISt17integral_constantIbLb0EES19_IbLb1EEEEDaS15_S16_EUlS15_E_NS1_11comp_targetILNS1_3genE5ELNS1_11target_archE942ELNS1_3gpuE9ELNS1_3repE0EEENS1_30default_config_static_selectorELNS0_4arch9wavefront6targetE1EEEvT1_
		.amdhsa_group_segment_fixed_size 0
		.amdhsa_private_segment_fixed_size 0
		.amdhsa_kernarg_size 136
		.amdhsa_user_sgpr_count 6
		.amdhsa_user_sgpr_private_segment_buffer 1
		.amdhsa_user_sgpr_dispatch_ptr 0
		.amdhsa_user_sgpr_queue_ptr 0
		.amdhsa_user_sgpr_kernarg_segment_ptr 1
		.amdhsa_user_sgpr_dispatch_id 0
		.amdhsa_user_sgpr_flat_scratch_init 0
		.amdhsa_user_sgpr_kernarg_preload_length 0
		.amdhsa_user_sgpr_kernarg_preload_offset 0
		.amdhsa_user_sgpr_private_segment_size 0
		.amdhsa_uses_dynamic_stack 0
		.amdhsa_system_sgpr_private_segment_wavefront_offset 0
		.amdhsa_system_sgpr_workgroup_id_x 1
		.amdhsa_system_sgpr_workgroup_id_y 0
		.amdhsa_system_sgpr_workgroup_id_z 0
		.amdhsa_system_sgpr_workgroup_info 0
		.amdhsa_system_vgpr_workitem_id 0
		.amdhsa_next_free_vgpr 1
		.amdhsa_next_free_sgpr 0
		.amdhsa_accum_offset 4
		.amdhsa_reserve_vcc 0
		.amdhsa_reserve_flat_scratch 0
		.amdhsa_float_round_mode_32 0
		.amdhsa_float_round_mode_16_64 0
		.amdhsa_float_denorm_mode_32 3
		.amdhsa_float_denorm_mode_16_64 3
		.amdhsa_dx10_clamp 1
		.amdhsa_ieee_mode 1
		.amdhsa_fp16_overflow 0
		.amdhsa_tg_split 0
		.amdhsa_exception_fp_ieee_invalid_op 0
		.amdhsa_exception_fp_denorm_src 0
		.amdhsa_exception_fp_ieee_div_zero 0
		.amdhsa_exception_fp_ieee_overflow 0
		.amdhsa_exception_fp_ieee_underflow 0
		.amdhsa_exception_fp_ieee_inexact 0
		.amdhsa_exception_int_div_zero 0
	.end_amdhsa_kernel
	.section	.text._ZN7rocprim17ROCPRIM_400000_NS6detail17trampoline_kernelINS0_14default_configENS1_25partition_config_selectorILNS1_17partition_subalgoE9EllbEEZZNS1_14partition_implILS5_9ELb0ES3_jPlS8_PNS0_10empty_typeENS0_5tupleIJS8_S9_EEENSB_IJS8_SA_EEENS0_18inequality_wrapperIZN2at6native12_GLOBAL__N_124unique_dim_cuda_templateIaEESt5tupleIJNSF_6TensorESK_SK_EERKSK_lbbbEUlllE0_EEPmJS9_EEE10hipError_tPvRmT3_T4_T5_T6_T7_T9_mT8_P12ihipStream_tbDpT10_ENKUlT_T0_E_clISt17integral_constantIbLb0EES19_IbLb1EEEEDaS15_S16_EUlS15_E_NS1_11comp_targetILNS1_3genE5ELNS1_11target_archE942ELNS1_3gpuE9ELNS1_3repE0EEENS1_30default_config_static_selectorELNS0_4arch9wavefront6targetE1EEEvT1_,"axG",@progbits,_ZN7rocprim17ROCPRIM_400000_NS6detail17trampoline_kernelINS0_14default_configENS1_25partition_config_selectorILNS1_17partition_subalgoE9EllbEEZZNS1_14partition_implILS5_9ELb0ES3_jPlS8_PNS0_10empty_typeENS0_5tupleIJS8_S9_EEENSB_IJS8_SA_EEENS0_18inequality_wrapperIZN2at6native12_GLOBAL__N_124unique_dim_cuda_templateIaEESt5tupleIJNSF_6TensorESK_SK_EERKSK_lbbbEUlllE0_EEPmJS9_EEE10hipError_tPvRmT3_T4_T5_T6_T7_T9_mT8_P12ihipStream_tbDpT10_ENKUlT_T0_E_clISt17integral_constantIbLb0EES19_IbLb1EEEEDaS15_S16_EUlS15_E_NS1_11comp_targetILNS1_3genE5ELNS1_11target_archE942ELNS1_3gpuE9ELNS1_3repE0EEENS1_30default_config_static_selectorELNS0_4arch9wavefront6targetE1EEEvT1_,comdat
.Lfunc_end376:
	.size	_ZN7rocprim17ROCPRIM_400000_NS6detail17trampoline_kernelINS0_14default_configENS1_25partition_config_selectorILNS1_17partition_subalgoE9EllbEEZZNS1_14partition_implILS5_9ELb0ES3_jPlS8_PNS0_10empty_typeENS0_5tupleIJS8_S9_EEENSB_IJS8_SA_EEENS0_18inequality_wrapperIZN2at6native12_GLOBAL__N_124unique_dim_cuda_templateIaEESt5tupleIJNSF_6TensorESK_SK_EERKSK_lbbbEUlllE0_EEPmJS9_EEE10hipError_tPvRmT3_T4_T5_T6_T7_T9_mT8_P12ihipStream_tbDpT10_ENKUlT_T0_E_clISt17integral_constantIbLb0EES19_IbLb1EEEEDaS15_S16_EUlS15_E_NS1_11comp_targetILNS1_3genE5ELNS1_11target_archE942ELNS1_3gpuE9ELNS1_3repE0EEENS1_30default_config_static_selectorELNS0_4arch9wavefront6targetE1EEEvT1_, .Lfunc_end376-_ZN7rocprim17ROCPRIM_400000_NS6detail17trampoline_kernelINS0_14default_configENS1_25partition_config_selectorILNS1_17partition_subalgoE9EllbEEZZNS1_14partition_implILS5_9ELb0ES3_jPlS8_PNS0_10empty_typeENS0_5tupleIJS8_S9_EEENSB_IJS8_SA_EEENS0_18inequality_wrapperIZN2at6native12_GLOBAL__N_124unique_dim_cuda_templateIaEESt5tupleIJNSF_6TensorESK_SK_EERKSK_lbbbEUlllE0_EEPmJS9_EEE10hipError_tPvRmT3_T4_T5_T6_T7_T9_mT8_P12ihipStream_tbDpT10_ENKUlT_T0_E_clISt17integral_constantIbLb0EES19_IbLb1EEEEDaS15_S16_EUlS15_E_NS1_11comp_targetILNS1_3genE5ELNS1_11target_archE942ELNS1_3gpuE9ELNS1_3repE0EEENS1_30default_config_static_selectorELNS0_4arch9wavefront6targetE1EEEvT1_
                                        ; -- End function
	.section	.AMDGPU.csdata,"",@progbits
; Kernel info:
; codeLenInByte = 0
; NumSgprs: 4
; NumVgprs: 0
; NumAgprs: 0
; TotalNumVgprs: 0
; ScratchSize: 0
; MemoryBound: 0
; FloatMode: 240
; IeeeMode: 1
; LDSByteSize: 0 bytes/workgroup (compile time only)
; SGPRBlocks: 0
; VGPRBlocks: 0
; NumSGPRsForWavesPerEU: 4
; NumVGPRsForWavesPerEU: 1
; AccumOffset: 4
; Occupancy: 8
; WaveLimiterHint : 0
; COMPUTE_PGM_RSRC2:SCRATCH_EN: 0
; COMPUTE_PGM_RSRC2:USER_SGPR: 6
; COMPUTE_PGM_RSRC2:TRAP_HANDLER: 0
; COMPUTE_PGM_RSRC2:TGID_X_EN: 1
; COMPUTE_PGM_RSRC2:TGID_Y_EN: 0
; COMPUTE_PGM_RSRC2:TGID_Z_EN: 0
; COMPUTE_PGM_RSRC2:TIDIG_COMP_CNT: 0
; COMPUTE_PGM_RSRC3_GFX90A:ACCUM_OFFSET: 0
; COMPUTE_PGM_RSRC3_GFX90A:TG_SPLIT: 0
	.section	.text._ZN7rocprim17ROCPRIM_400000_NS6detail17trampoline_kernelINS0_14default_configENS1_25partition_config_selectorILNS1_17partition_subalgoE9EllbEEZZNS1_14partition_implILS5_9ELb0ES3_jPlS8_PNS0_10empty_typeENS0_5tupleIJS8_S9_EEENSB_IJS8_SA_EEENS0_18inequality_wrapperIZN2at6native12_GLOBAL__N_124unique_dim_cuda_templateIaEESt5tupleIJNSF_6TensorESK_SK_EERKSK_lbbbEUlllE0_EEPmJS9_EEE10hipError_tPvRmT3_T4_T5_T6_T7_T9_mT8_P12ihipStream_tbDpT10_ENKUlT_T0_E_clISt17integral_constantIbLb0EES19_IbLb1EEEEDaS15_S16_EUlS15_E_NS1_11comp_targetILNS1_3genE4ELNS1_11target_archE910ELNS1_3gpuE8ELNS1_3repE0EEENS1_30default_config_static_selectorELNS0_4arch9wavefront6targetE1EEEvT1_,"axG",@progbits,_ZN7rocprim17ROCPRIM_400000_NS6detail17trampoline_kernelINS0_14default_configENS1_25partition_config_selectorILNS1_17partition_subalgoE9EllbEEZZNS1_14partition_implILS5_9ELb0ES3_jPlS8_PNS0_10empty_typeENS0_5tupleIJS8_S9_EEENSB_IJS8_SA_EEENS0_18inequality_wrapperIZN2at6native12_GLOBAL__N_124unique_dim_cuda_templateIaEESt5tupleIJNSF_6TensorESK_SK_EERKSK_lbbbEUlllE0_EEPmJS9_EEE10hipError_tPvRmT3_T4_T5_T6_T7_T9_mT8_P12ihipStream_tbDpT10_ENKUlT_T0_E_clISt17integral_constantIbLb0EES19_IbLb1EEEEDaS15_S16_EUlS15_E_NS1_11comp_targetILNS1_3genE4ELNS1_11target_archE910ELNS1_3gpuE8ELNS1_3repE0EEENS1_30default_config_static_selectorELNS0_4arch9wavefront6targetE1EEEvT1_,comdat
	.globl	_ZN7rocprim17ROCPRIM_400000_NS6detail17trampoline_kernelINS0_14default_configENS1_25partition_config_selectorILNS1_17partition_subalgoE9EllbEEZZNS1_14partition_implILS5_9ELb0ES3_jPlS8_PNS0_10empty_typeENS0_5tupleIJS8_S9_EEENSB_IJS8_SA_EEENS0_18inequality_wrapperIZN2at6native12_GLOBAL__N_124unique_dim_cuda_templateIaEESt5tupleIJNSF_6TensorESK_SK_EERKSK_lbbbEUlllE0_EEPmJS9_EEE10hipError_tPvRmT3_T4_T5_T6_T7_T9_mT8_P12ihipStream_tbDpT10_ENKUlT_T0_E_clISt17integral_constantIbLb0EES19_IbLb1EEEEDaS15_S16_EUlS15_E_NS1_11comp_targetILNS1_3genE4ELNS1_11target_archE910ELNS1_3gpuE8ELNS1_3repE0EEENS1_30default_config_static_selectorELNS0_4arch9wavefront6targetE1EEEvT1_ ; -- Begin function _ZN7rocprim17ROCPRIM_400000_NS6detail17trampoline_kernelINS0_14default_configENS1_25partition_config_selectorILNS1_17partition_subalgoE9EllbEEZZNS1_14partition_implILS5_9ELb0ES3_jPlS8_PNS0_10empty_typeENS0_5tupleIJS8_S9_EEENSB_IJS8_SA_EEENS0_18inequality_wrapperIZN2at6native12_GLOBAL__N_124unique_dim_cuda_templateIaEESt5tupleIJNSF_6TensorESK_SK_EERKSK_lbbbEUlllE0_EEPmJS9_EEE10hipError_tPvRmT3_T4_T5_T6_T7_T9_mT8_P12ihipStream_tbDpT10_ENKUlT_T0_E_clISt17integral_constantIbLb0EES19_IbLb1EEEEDaS15_S16_EUlS15_E_NS1_11comp_targetILNS1_3genE4ELNS1_11target_archE910ELNS1_3gpuE8ELNS1_3repE0EEENS1_30default_config_static_selectorELNS0_4arch9wavefront6targetE1EEEvT1_
	.p2align	8
	.type	_ZN7rocprim17ROCPRIM_400000_NS6detail17trampoline_kernelINS0_14default_configENS1_25partition_config_selectorILNS1_17partition_subalgoE9EllbEEZZNS1_14partition_implILS5_9ELb0ES3_jPlS8_PNS0_10empty_typeENS0_5tupleIJS8_S9_EEENSB_IJS8_SA_EEENS0_18inequality_wrapperIZN2at6native12_GLOBAL__N_124unique_dim_cuda_templateIaEESt5tupleIJNSF_6TensorESK_SK_EERKSK_lbbbEUlllE0_EEPmJS9_EEE10hipError_tPvRmT3_T4_T5_T6_T7_T9_mT8_P12ihipStream_tbDpT10_ENKUlT_T0_E_clISt17integral_constantIbLb0EES19_IbLb1EEEEDaS15_S16_EUlS15_E_NS1_11comp_targetILNS1_3genE4ELNS1_11target_archE910ELNS1_3gpuE8ELNS1_3repE0EEENS1_30default_config_static_selectorELNS0_4arch9wavefront6targetE1EEEvT1_,@function
_ZN7rocprim17ROCPRIM_400000_NS6detail17trampoline_kernelINS0_14default_configENS1_25partition_config_selectorILNS1_17partition_subalgoE9EllbEEZZNS1_14partition_implILS5_9ELb0ES3_jPlS8_PNS0_10empty_typeENS0_5tupleIJS8_S9_EEENSB_IJS8_SA_EEENS0_18inequality_wrapperIZN2at6native12_GLOBAL__N_124unique_dim_cuda_templateIaEESt5tupleIJNSF_6TensorESK_SK_EERKSK_lbbbEUlllE0_EEPmJS9_EEE10hipError_tPvRmT3_T4_T5_T6_T7_T9_mT8_P12ihipStream_tbDpT10_ENKUlT_T0_E_clISt17integral_constantIbLb0EES19_IbLb1EEEEDaS15_S16_EUlS15_E_NS1_11comp_targetILNS1_3genE4ELNS1_11target_archE910ELNS1_3gpuE8ELNS1_3repE0EEENS1_30default_config_static_selectorELNS0_4arch9wavefront6targetE1EEEvT1_: ; @_ZN7rocprim17ROCPRIM_400000_NS6detail17trampoline_kernelINS0_14default_configENS1_25partition_config_selectorILNS1_17partition_subalgoE9EllbEEZZNS1_14partition_implILS5_9ELb0ES3_jPlS8_PNS0_10empty_typeENS0_5tupleIJS8_S9_EEENSB_IJS8_SA_EEENS0_18inequality_wrapperIZN2at6native12_GLOBAL__N_124unique_dim_cuda_templateIaEESt5tupleIJNSF_6TensorESK_SK_EERKSK_lbbbEUlllE0_EEPmJS9_EEE10hipError_tPvRmT3_T4_T5_T6_T7_T9_mT8_P12ihipStream_tbDpT10_ENKUlT_T0_E_clISt17integral_constantIbLb0EES19_IbLb1EEEEDaS15_S16_EUlS15_E_NS1_11comp_targetILNS1_3genE4ELNS1_11target_archE910ELNS1_3gpuE8ELNS1_3repE0EEENS1_30default_config_static_selectorELNS0_4arch9wavefront6targetE1EEEvT1_
; %bb.0:
	s_load_dwordx4 s[8:11], s[4:5], 0x8
	s_load_dwordx2 s[14:15], s[4:5], 0x18
	s_load_dwordx8 s[20:27], s[4:5], 0x40
	s_load_dwordx4 s[16:19], s[4:5], 0x60
	v_cmp_ne_u32_e64 s[2:3], 0, v0
	v_cmp_eq_u32_e64 s[0:1], 0, v0
	s_and_saveexec_b64 s[6:7], s[0:1]
	s_cbranch_execz .LBB377_4
; %bb.1:
	s_mov_b64 s[28:29], exec
	v_mbcnt_lo_u32_b32 v1, s28, 0
	v_mbcnt_hi_u32_b32 v1, s29, v1
	v_cmp_eq_u32_e32 vcc, 0, v1
                                        ; implicit-def: $vgpr2
	s_and_saveexec_b64 s[12:13], vcc
	s_cbranch_execz .LBB377_3
; %bb.2:
	s_load_dwordx2 s[30:31], s[4:5], 0x78
	s_bcnt1_i32_b64 s28, s[28:29]
	v_mov_b32_e32 v2, 0
	v_mov_b32_e32 v3, s28
	s_waitcnt lgkmcnt(0)
	global_atomic_add v2, v2, v3, s[30:31] glc
.LBB377_3:
	s_or_b64 exec, exec, s[12:13]
	s_waitcnt vmcnt(0)
	v_readfirstlane_b32 s12, v2
	v_add_u32_e32 v1, s12, v1
	v_mov_b32_e32 v2, 0
	ds_write_b32 v2, v1
.LBB377_4:
	s_or_b64 exec, exec, s[6:7]
	v_mov_b32_e32 v1, 0
	s_load_dwordx4 s[28:31], s[4:5], 0x28
	s_load_dword s6, s[4:5], 0x70
	s_waitcnt lgkmcnt(0)
	s_barrier
	ds_read_b32 v6, v1
	s_waitcnt lgkmcnt(0)
	s_barrier
	global_load_dwordx2 v[2:3], v1, s[22:23]
	s_lshl_b64 s[36:37], s[10:11], 3
	s_add_u32 s12, s8, s36
	s_addc_u32 s13, s9, s37
	s_add_i32 s22, s6, -1
	s_lshl_b32 s8, s6, 9
	s_lshl_b32 s6, s22, 9
	s_add_i32 s6, s10, s6
	v_readfirstlane_b32 s33, v6
	s_sub_i32 s48, s24, s6
	s_lshl_b32 s6, s33, 9
	s_add_u32 s8, s10, s8
	s_addc_u32 s9, s11, 0
	v_mov_b32_e32 v4, s24
	v_mov_b32_e32 v5, s25
	s_cmp_eq_u32 s33, s22
	s_mov_b32 s7, 0
	v_cmp_ge_u64_e32 vcc, s[8:9], v[4:5]
	s_cselect_b64 s[24:25], -1, 0
	s_lshl_b64 s[8:9], s[6:7], 3
	s_and_b64 s[6:7], vcc, s[24:25]
	s_xor_b64 s[34:35], s[6:7], -1
	s_add_u32 s12, s12, s8
	s_mov_b64 s[4:5], -1
	v_lshrrev_b32_e32 v18, 2, v0
	s_addc_u32 s13, s13, s9
	s_and_b64 vcc, exec, s[34:35]
	s_waitcnt vmcnt(0)
	v_readfirstlane_b32 s22, v2
	v_readfirstlane_b32 s23, v3
	s_cbranch_vccz .LBB377_6
; %bb.5:
	v_lshlrev_b32_e32 v1, 3, v0
	global_load_dwordx2 v[2:3], v1, s[12:13]
	global_load_dwordx2 v[4:5], v1, s[12:13] offset:1024
	global_load_dwordx2 v[6:7], v1, s[12:13] offset:2048
	;; [unrolled: 1-line block ×3, first 2 shown]
	v_or_b32_e32 v11, 0x80, v0
	v_or_b32_e32 v12, 0x100, v0
	;; [unrolled: 1-line block ×3, first 2 shown]
	v_and_b32_e32 v10, 24, v18
	v_lshrrev_b32_e32 v11, 2, v11
	v_lshrrev_b32_e32 v12, 2, v12
	;; [unrolled: 1-line block ×3, first 2 shown]
	v_add_u32_e32 v10, v10, v1
	v_and_b32_e32 v11, 56, v11
	v_and_b32_e32 v12, 0x58, v12
	;; [unrolled: 1-line block ×3, first 2 shown]
	v_add_u32_e32 v11, v11, v1
	v_add_u32_e32 v12, v12, v1
	;; [unrolled: 1-line block ×3, first 2 shown]
	s_mov_b64 s[4:5], 0
	s_waitcnt vmcnt(3)
	ds_write_b64 v10, v[2:3]
	s_waitcnt vmcnt(2)
	ds_write_b64 v11, v[4:5] offset:1024
	s_waitcnt vmcnt(1)
	ds_write_b64 v12, v[6:7] offset:2048
	;; [unrolled: 2-line block ×3, first 2 shown]
	s_waitcnt lgkmcnt(0)
	s_barrier
.LBB377_6:
	s_andn2_b64 vcc, exec, s[4:5]
	v_cmp_gt_u32_e64 s[4:5], s48, v0
	s_cbranch_vccnz .LBB377_16
; %bb.7:
                                        ; implicit-def: $vgpr2_vgpr3_vgpr4_vgpr5_vgpr6_vgpr7_vgpr8_vgpr9
	s_and_saveexec_b64 s[38:39], s[4:5]
	s_cbranch_execz .LBB377_9
; %bb.8:
	v_lshlrev_b32_e32 v1, 3, v0
	global_load_dwordx2 v[2:3], v1, s[12:13]
.LBB377_9:
	s_or_b64 exec, exec, s[38:39]
	v_or_b32_e32 v1, 0x80, v0
	v_cmp_gt_u32_e32 vcc, s48, v1
	s_and_saveexec_b64 s[4:5], vcc
	s_cbranch_execz .LBB377_11
; %bb.10:
	v_lshlrev_b32_e32 v4, 3, v0
	global_load_dwordx2 v[4:5], v4, s[12:13] offset:1024
.LBB377_11:
	s_or_b64 exec, exec, s[4:5]
	v_or_b32_e32 v10, 0x100, v0
	v_cmp_gt_u32_e32 vcc, s48, v10
	s_and_saveexec_b64 s[4:5], vcc
	s_cbranch_execz .LBB377_13
; %bb.12:
	v_lshlrev_b32_e32 v6, 3, v0
	global_load_dwordx2 v[6:7], v6, s[12:13] offset:2048
.LBB377_13:
	;; [unrolled: 9-line block ×3, first 2 shown]
	s_or_b64 exec, exec, s[4:5]
	v_lshrrev_b32_e32 v1, 2, v1
	v_lshlrev_b32_e32 v13, 3, v0
	v_and_b32_e32 v1, 56, v1
	v_add_u32_e32 v1, v1, v13
	s_waitcnt vmcnt(0)
	ds_write_b64 v1, v[4:5] offset:1024
	v_lshrrev_b32_e32 v1, 2, v10
	v_and_b32_e32 v1, 0x78, v1
	v_add_u32_e32 v1, v1, v13
	ds_write_b64 v1, v[6:7] offset:2048
	v_lshrrev_b32_e32 v1, 2, v11
	v_and_b32_e32 v12, 24, v18
	v_and_b32_e32 v1, 0x78, v1
	v_add_u32_e32 v12, v12, v13
	v_add_u32_e32 v1, v1, v13
	ds_write_b64 v12, v[2:3]
	ds_write_b64 v1, v[8:9] offset:3072
	s_waitcnt lgkmcnt(0)
	s_barrier
.LBB377_16:
	v_lshlrev_b32_e32 v1, 2, v0
	v_lshrrev_b32_e32 v2, 3, v0
	v_add_lshl_u32 v19, v2, v1, 3
	ds_read2_b64 v[14:17], v19 offset1:1
	ds_read2_b64 v[10:13], v19 offset0:2 offset1:3
	s_add_u32 s4, s14, s36
	s_addc_u32 s5, s15, s37
	s_add_u32 s4, s4, s8
	s_addc_u32 s5, s5, s9
	s_mov_b64 s[8:9], -1
	s_and_b64 vcc, exec, s[34:35]
	s_waitcnt lgkmcnt(0)
	s_barrier
	s_cbranch_vccz .LBB377_18
; %bb.17:
	v_lshlrev_b32_e32 v20, 3, v0
	global_load_dwordx2 v[2:3], v20, s[4:5]
	global_load_dwordx2 v[4:5], v20, s[4:5] offset:1024
	global_load_dwordx2 v[6:7], v20, s[4:5] offset:2048
	;; [unrolled: 1-line block ×3, first 2 shown]
	v_or_b32_e32 v22, 0x80, v0
	v_or_b32_e32 v23, 0x100, v0
	;; [unrolled: 1-line block ×3, first 2 shown]
	v_and_b32_e32 v21, 24, v18
	v_lshrrev_b32_e32 v22, 2, v22
	v_lshrrev_b32_e32 v23, 2, v23
	;; [unrolled: 1-line block ×3, first 2 shown]
	v_add_u32_e32 v21, v21, v20
	v_and_b32_e32 v22, 56, v22
	v_and_b32_e32 v23, 0x58, v23
	;; [unrolled: 1-line block ×3, first 2 shown]
	v_add_u32_e32 v22, v22, v20
	v_add_u32_e32 v23, v23, v20
	;; [unrolled: 1-line block ×3, first 2 shown]
	s_mov_b64 s[8:9], 0
	s_waitcnt vmcnt(3)
	ds_write_b64 v21, v[2:3]
	s_waitcnt vmcnt(2)
	ds_write_b64 v22, v[4:5] offset:1024
	s_waitcnt vmcnt(1)
	ds_write_b64 v23, v[6:7] offset:2048
	;; [unrolled: 2-line block ×3, first 2 shown]
	s_waitcnt lgkmcnt(0)
	s_barrier
.LBB377_18:
	s_andn2_b64 vcc, exec, s[8:9]
	s_cbranch_vccnz .LBB377_28
; %bb.19:
	v_cmp_gt_u32_e32 vcc, s48, v0
                                        ; implicit-def: $vgpr2_vgpr3
	s_and_saveexec_b64 s[8:9], vcc
	s_cbranch_execz .LBB377_21
; %bb.20:
	v_lshlrev_b32_e32 v2, 3, v0
	global_load_dwordx2 v[2:3], v2, s[4:5]
.LBB377_21:
	s_or_b64 exec, exec, s[8:9]
	v_or_b32_e32 v20, 0x80, v0
	v_cmp_gt_u32_e32 vcc, s48, v20
                                        ; implicit-def: $vgpr4_vgpr5
	s_and_saveexec_b64 s[8:9], vcc
	s_cbranch_execz .LBB377_23
; %bb.22:
	v_lshlrev_b32_e32 v4, 3, v0
	global_load_dwordx2 v[4:5], v4, s[4:5] offset:1024
.LBB377_23:
	s_or_b64 exec, exec, s[8:9]
	v_or_b32_e32 v21, 0x100, v0
	v_cmp_gt_u32_e32 vcc, s48, v21
                                        ; implicit-def: $vgpr6_vgpr7
	s_and_saveexec_b64 s[8:9], vcc
	s_cbranch_execz .LBB377_25
; %bb.24:
	v_lshlrev_b32_e32 v6, 3, v0
	global_load_dwordx2 v[6:7], v6, s[4:5] offset:2048
.LBB377_25:
	s_or_b64 exec, exec, s[8:9]
	v_or_b32_e32 v22, 0x180, v0
	v_cmp_gt_u32_e32 vcc, s48, v22
                                        ; implicit-def: $vgpr8_vgpr9
	s_and_saveexec_b64 s[8:9], vcc
	s_cbranch_execz .LBB377_27
; %bb.26:
	v_lshlrev_b32_e32 v8, 3, v0
	global_load_dwordx2 v[8:9], v8, s[4:5] offset:3072
.LBB377_27:
	s_or_b64 exec, exec, s[8:9]
	v_and_b32_e32 v18, 24, v18
	v_lshlrev_b32_e32 v23, 3, v0
	v_add_u32_e32 v18, v18, v23
	s_waitcnt vmcnt(0)
	ds_write_b64 v18, v[2:3]
	v_lshrrev_b32_e32 v2, 2, v20
	v_and_b32_e32 v2, 56, v2
	v_add_u32_e32 v2, v2, v23
	ds_write_b64 v2, v[4:5] offset:1024
	v_lshrrev_b32_e32 v2, 2, v21
	v_and_b32_e32 v2, 0x78, v2
	v_add_u32_e32 v2, v2, v23
	ds_write_b64 v2, v[6:7] offset:2048
	;; [unrolled: 4-line block ×3, first 2 shown]
	s_waitcnt lgkmcnt(0)
	s_barrier
.LBB377_28:
	ds_read2_b64 v[6:9], v19 offset1:1
	ds_read2_b64 v[2:5], v19 offset0:2 offset1:3
	s_cmp_lg_u32 s33, 0
	s_cselect_b64 s[36:37], -1, 0
	s_cmp_lg_u64 s[10:11], 0
	s_cselect_b64 s[4:5], -1, 0
	s_or_b64 s[4:5], s[4:5], s[36:37]
	s_mov_b64 s[8:9], 0
	s_and_b64 vcc, exec, s[4:5]
	v_cmp_gt_i64_e64 s[4:5], s[26:27], 0
	s_waitcnt lgkmcnt(0)
	s_barrier
	s_cbranch_vccz .LBB377_37
; %bb.29:
	v_mov_b32_e32 v18, 0
	global_load_dwordx2 v[18:19], v18, s[12:13] offset:-8
	v_cndmask_b32_e64 v20, 0, 1, s[4:5]
	v_lshlrev_b32_e32 v29, 3, v0
	s_and_b64 vcc, exec, s[34:35]
	v_cmp_ne_u32_e64 s[4:5], 1, v20
	ds_write_b64 v29, v[12:13]
	s_cbranch_vccz .LBB377_38
; %bb.30:
	v_mul_lo_u32 v22, v11, s26
	v_mul_lo_u32 v23, v10, s27
	v_mad_u64_u32 v[20:21], s[10:11], v10, s26, 0
	s_and_b64 vcc, exec, s[4:5]
	v_add3_u32 v21, v21, v23, v22
	s_cbranch_vccnz .LBB377_41
; %bb.31:
	v_mov_b32_e32 v23, s17
	v_add_co_u32_e32 v22, vcc, s16, v20
	v_pk_mov_b32 v[24:25], s[16:17], s[16:17] op_sel:[0,1]
	v_addc_co_u32_e32 v23, vcc, v23, v21, vcc
	v_mad_u64_u32 v[24:25], s[8:9], v12, s26, v[24:25]
	v_mul_lo_u32 v26, v12, s27
	v_mul_lo_u32 v27, v13, s26
	v_add3_u32 v25, v27, v25, v26
	global_load_ubyte v26, v[22:23], off
	global_load_ubyte v27, v[24:25], off
	s_mov_b64 s[8:9], -1
	s_waitcnt vmcnt(0)
	v_cmp_eq_u16_e32 vcc, v26, v27
	s_and_saveexec_b64 s[10:11], vcc
	s_cbranch_execz .LBB377_40
; %bb.32:
	s_mov_b64 s[14:15], 1
	s_mov_b64 s[8:9], 0
                                        ; implicit-def: $sgpr12_sgpr13
	s_branch .LBB377_35
.LBB377_33:                             ;   in Loop: Header=BB377_35 Depth=1
	v_mov_b32_e32 v28, s15
	v_add_co_u32_e32 v26, vcc, s14, v22
	v_addc_co_u32_e32 v27, vcc, v23, v28, vcc
	v_add_co_u32_e32 v30, vcc, s14, v24
	v_addc_co_u32_e32 v31, vcc, v25, v28, vcc
	global_load_ubyte v28, v[26:27], off
	global_load_ubyte v32, v[30:31], off
	s_add_u32 s38, s14, 1
	s_addc_u32 s39, s15, 0
	s_andn2_b64 s[12:13], s[12:13], exec
	s_waitcnt vmcnt(0)
	v_cmp_ne_u16_e32 vcc, v28, v32
	s_and_b64 s[40:41], vcc, exec
	s_or_b64 s[12:13], s[12:13], s[40:41]
.LBB377_34:                             ;   in Loop: Header=BB377_35 Depth=1
	s_and_b64 s[40:41], exec, s[12:13]
	s_or_b64 s[8:9], s[40:41], s[8:9]
	v_pk_mov_b32 v[26:27], s[14:15], s[14:15] op_sel:[0,1]
	s_mov_b64 s[14:15], s[38:39]
	s_andn2_b64 exec, exec, s[8:9]
	s_cbranch_execz .LBB377_39
.LBB377_35:                             ; =>This Inner Loop Header: Depth=1
	s_or_b64 s[12:13], s[12:13], exec
	s_cmp_eq_u64 s[26:27], s[14:15]
	s_cbranch_scc0 .LBB377_33
; %bb.36:                               ;   in Loop: Header=BB377_35 Depth=1
                                        ; implicit-def: $sgpr38_sgpr39
	s_mov_b64 s[14:15], s[26:27]
	s_branch .LBB377_34
.LBB377_37:
                                        ; implicit-def: $sgpr12_sgpr13
                                        ; implicit-def: $vgpr28
	s_branch .LBB377_119
.LBB377_38:
                                        ; implicit-def: $sgpr12_sgpr13
                                        ; implicit-def: $vgpr28
	s_cbranch_execnz .LBB377_71
	s_branch .LBB377_118
.LBB377_39:
	s_or_b64 exec, exec, s[8:9]
	v_cmp_gt_i64_e32 vcc, s[26:27], v[26:27]
	s_orn2_b64 s[8:9], vcc, exec
.LBB377_40:
	s_or_b64 exec, exec, s[10:11]
.LBB377_41:
	v_mul_lo_u32 v24, v17, s26
	v_mul_lo_u32 v25, v16, s27
	v_mad_u64_u32 v[22:23], s[10:11], v16, s26, 0
	v_add3_u32 v23, v23, v25, v24
	s_mov_b64 s[10:11], 0
	s_and_b64 vcc, exec, s[4:5]
	s_mov_b64 s[12:13], 0
	s_cbranch_vccnz .LBB377_50
; %bb.42:
	v_mov_b32_e32 v25, s17
	v_add_co_u32_e32 v24, vcc, s16, v22
	v_addc_co_u32_e32 v25, vcc, v25, v23, vcc
	v_mov_b32_e32 v26, s17
	v_add_co_u32_e32 v20, vcc, s16, v20
	v_addc_co_u32_e32 v21, vcc, v26, v21, vcc
	global_load_ubyte v26, v[24:25], off
	global_load_ubyte v27, v[20:21], off
	s_mov_b64 s[12:13], -1
	s_waitcnt vmcnt(0)
	v_cmp_eq_u16_e32 vcc, v26, v27
	s_and_saveexec_b64 s[14:15], vcc
	s_cbranch_execz .LBB377_49
; %bb.43:
	s_mov_b64 s[40:41], 1
	s_mov_b64 s[12:13], 0
                                        ; implicit-def: $sgpr38_sgpr39
	s_branch .LBB377_46
.LBB377_44:                             ;   in Loop: Header=BB377_46 Depth=1
	v_mov_b32_e32 v28, s41
	v_add_co_u32_e32 v26, vcc, s40, v24
	v_addc_co_u32_e32 v27, vcc, v25, v28, vcc
	v_add_co_u32_e32 v30, vcc, s40, v20
	v_addc_co_u32_e32 v31, vcc, v21, v28, vcc
	global_load_ubyte v28, v[26:27], off
	global_load_ubyte v32, v[30:31], off
	s_add_u32 s42, s40, 1
	s_addc_u32 s43, s41, 0
	s_andn2_b64 s[38:39], s[38:39], exec
	s_waitcnt vmcnt(0)
	v_cmp_ne_u16_e32 vcc, v28, v32
	s_and_b64 s[44:45], vcc, exec
	s_or_b64 s[38:39], s[38:39], s[44:45]
.LBB377_45:                             ;   in Loop: Header=BB377_46 Depth=1
	s_and_b64 s[44:45], exec, s[38:39]
	s_or_b64 s[12:13], s[44:45], s[12:13]
	v_pk_mov_b32 v[26:27], s[40:41], s[40:41] op_sel:[0,1]
	s_mov_b64 s[40:41], s[42:43]
	s_andn2_b64 exec, exec, s[12:13]
	s_cbranch_execz .LBB377_48
.LBB377_46:                             ; =>This Inner Loop Header: Depth=1
	s_or_b64 s[38:39], s[38:39], exec
	s_cmp_eq_u64 s[26:27], s[40:41]
	s_cbranch_scc0 .LBB377_44
; %bb.47:                               ;   in Loop: Header=BB377_46 Depth=1
                                        ; implicit-def: $sgpr42_sgpr43
	s_mov_b64 s[40:41], s[26:27]
	s_branch .LBB377_45
.LBB377_48:
	s_or_b64 exec, exec, s[12:13]
	v_cmp_gt_i64_e32 vcc, s[26:27], v[26:27]
	s_orn2_b64 s[12:13], vcc, exec
.LBB377_49:
	s_or_b64 exec, exec, s[14:15]
.LBB377_50:
	v_mul_lo_u32 v24, v15, s26
	v_mul_lo_u32 v25, v14, s27
	v_mad_u64_u32 v[20:21], s[14:15], v14, s26, 0
	s_and_b64 vcc, exec, s[4:5]
	v_add3_u32 v21, v21, v25, v24
	s_cbranch_vccnz .LBB377_59
; %bb.51:
	v_mov_b32_e32 v25, s17
	v_add_co_u32_e32 v24, vcc, s16, v20
	v_addc_co_u32_e32 v25, vcc, v25, v21, vcc
	v_mov_b32_e32 v26, s17
	v_add_co_u32_e32 v22, vcc, s16, v22
	v_addc_co_u32_e32 v23, vcc, v26, v23, vcc
	global_load_ubyte v26, v[24:25], off
	global_load_ubyte v27, v[22:23], off
	s_mov_b64 s[10:11], -1
	s_waitcnt vmcnt(0)
	v_cmp_eq_u16_e32 vcc, v26, v27
	s_and_saveexec_b64 s[14:15], vcc
	s_cbranch_execz .LBB377_58
; %bb.52:
	s_mov_b64 s[40:41], 1
	s_mov_b64 s[10:11], 0
                                        ; implicit-def: $sgpr38_sgpr39
	s_branch .LBB377_55
.LBB377_53:                             ;   in Loop: Header=BB377_55 Depth=1
	v_mov_b32_e32 v28, s41
	v_add_co_u32_e32 v26, vcc, s40, v24
	v_addc_co_u32_e32 v27, vcc, v25, v28, vcc
	v_add_co_u32_e32 v30, vcc, s40, v22
	v_addc_co_u32_e32 v31, vcc, v23, v28, vcc
	global_load_ubyte v28, v[26:27], off
	global_load_ubyte v32, v[30:31], off
	s_add_u32 s42, s40, 1
	s_addc_u32 s43, s41, 0
	s_andn2_b64 s[38:39], s[38:39], exec
	s_waitcnt vmcnt(0)
	v_cmp_ne_u16_e32 vcc, v28, v32
	s_and_b64 s[44:45], vcc, exec
	s_or_b64 s[38:39], s[38:39], s[44:45]
.LBB377_54:                             ;   in Loop: Header=BB377_55 Depth=1
	s_and_b64 s[44:45], exec, s[38:39]
	s_or_b64 s[10:11], s[44:45], s[10:11]
	v_pk_mov_b32 v[26:27], s[40:41], s[40:41] op_sel:[0,1]
	s_mov_b64 s[40:41], s[42:43]
	s_andn2_b64 exec, exec, s[10:11]
	s_cbranch_execz .LBB377_57
.LBB377_55:                             ; =>This Inner Loop Header: Depth=1
	s_or_b64 s[38:39], s[38:39], exec
	s_cmp_eq_u64 s[26:27], s[40:41]
	s_cbranch_scc0 .LBB377_53
; %bb.56:                               ;   in Loop: Header=BB377_55 Depth=1
                                        ; implicit-def: $sgpr42_sgpr43
	s_mov_b64 s[40:41], s[26:27]
	s_branch .LBB377_54
.LBB377_57:
	s_or_b64 exec, exec, s[10:11]
	v_cmp_gt_i64_e32 vcc, s[26:27], v[26:27]
	s_orn2_b64 s[10:11], vcc, exec
.LBB377_58:
	s_or_b64 exec, exec, s[14:15]
.LBB377_59:
	s_waitcnt vmcnt(0)
	v_pk_mov_b32 v[24:25], v[18:19], v[18:19] op_sel:[0,1]
	s_waitcnt lgkmcnt(0)
	s_barrier
	s_and_saveexec_b64 s[14:15], s[2:3]
	s_cbranch_execz .LBB377_61
; %bb.60:
	v_add_u32_e32 v22, -8, v29
	ds_read_b64 v[24:25], v22
.LBB377_61:
	s_or_b64 exec, exec, s[14:15]
	v_cndmask_b32_e64 v23, 0, 1, s[8:9]
	v_cndmask_b32_e64 v22, 0, 1, s[12:13]
	;; [unrolled: 1-line block ×3, first 2 shown]
	v_lshlrev_b16_e32 v23, 8, v23
	v_lshlrev_b16_e32 v26, 8, v26
	v_or_b32_sdwa v27, v22, v23 dst_sel:WORD_1 dst_unused:UNUSED_PAD src0_sel:DWORD src1_sel:DWORD
	s_mov_b64 s[8:9], 0
	s_and_b64 vcc, exec, s[4:5]
	s_mov_b64 s[12:13], 0
	s_cbranch_vccnz .LBB377_70
; %bb.62:
	v_pk_mov_b32 v[22:23], s[16:17], s[16:17] op_sel:[0,1]
	s_waitcnt lgkmcnt(0)
	v_mad_u64_u32 v[22:23], s[10:11], v24, s26, v[22:23]
	v_mul_lo_u32 v24, v24, s27
	v_mul_lo_u32 v25, v25, s26
	v_add3_u32 v23, v25, v23, v24
	v_mov_b32_e32 v24, s17
	v_add_co_u32_e32 v20, vcc, s16, v20
	v_addc_co_u32_e32 v21, vcc, v24, v21, vcc
	global_load_ubyte v24, v[22:23], off
	global_load_ubyte v25, v[20:21], off
	s_mov_b64 s[12:13], -1
	s_waitcnt vmcnt(0)
	v_cmp_eq_u16_e32 vcc, v24, v25
	s_and_saveexec_b64 s[10:11], vcc
	s_cbranch_execz .LBB377_69
; %bb.63:
	s_mov_b64 s[38:39], 1
	s_mov_b64 s[12:13], 0
                                        ; implicit-def: $sgpr14_sgpr15
	s_branch .LBB377_66
.LBB377_64:                             ;   in Loop: Header=BB377_66 Depth=1
	v_mov_b32_e32 v28, s39
	v_add_co_u32_e32 v24, vcc, s38, v22
	v_addc_co_u32_e32 v25, vcc, v23, v28, vcc
	v_add_co_u32_e32 v30, vcc, s38, v20
	v_addc_co_u32_e32 v31, vcc, v21, v28, vcc
	global_load_ubyte v28, v[24:25], off
	global_load_ubyte v32, v[30:31], off
	s_add_u32 s40, s38, 1
	s_addc_u32 s41, s39, 0
	s_andn2_b64 s[14:15], s[14:15], exec
	s_waitcnt vmcnt(0)
	v_cmp_ne_u16_e32 vcc, v28, v32
	s_and_b64 s[42:43], vcc, exec
	s_or_b64 s[14:15], s[14:15], s[42:43]
.LBB377_65:                             ;   in Loop: Header=BB377_66 Depth=1
	s_and_b64 s[42:43], exec, s[14:15]
	s_or_b64 s[12:13], s[42:43], s[12:13]
	v_pk_mov_b32 v[24:25], s[38:39], s[38:39] op_sel:[0,1]
	s_mov_b64 s[38:39], s[40:41]
	s_andn2_b64 exec, exec, s[12:13]
	s_cbranch_execz .LBB377_68
.LBB377_66:                             ; =>This Inner Loop Header: Depth=1
	s_or_b64 s[14:15], s[14:15], exec
	s_cmp_eq_u64 s[26:27], s[38:39]
	s_cbranch_scc0 .LBB377_64
; %bb.67:                               ;   in Loop: Header=BB377_66 Depth=1
                                        ; implicit-def: $sgpr40_sgpr41
	s_mov_b64 s[38:39], s[26:27]
	s_branch .LBB377_65
.LBB377_68:
	s_or_b64 exec, exec, s[12:13]
	v_cmp_gt_i64_e32 vcc, s[26:27], v[24:25]
	s_orn2_b64 s[12:13], vcc, exec
.LBB377_69:
	s_or_b64 exec, exec, s[10:11]
.LBB377_70:
	v_or_b32_e32 v28, v26, v27
	s_and_b64 vcc, exec, s[8:9]
	s_cbranch_vccz .LBB377_118
.LBB377_71:
	v_or_b32_e32 v20, 3, v1
	v_cmp_gt_u32_e32 vcc, s48, v20
	s_mov_b64 s[10:11], 0
	s_mov_b64 s[8:9], 0
	s_and_saveexec_b64 s[12:13], vcc
	s_cbranch_execz .LBB377_82
; %bb.72:
	s_and_b64 vcc, exec, s[4:5]
	s_mov_b64 s[14:15], 0
	s_cbranch_vccnz .LBB377_81
; %bb.73:
	v_pk_mov_b32 v[22:23], s[16:17], s[16:17] op_sel:[0,1]
	v_mad_u64_u32 v[20:21], s[8:9], v10, s26, v[22:23]
	s_waitcnt lgkmcnt(0)
	v_mul_lo_u32 v24, v10, s27
	v_mul_lo_u32 v25, v11, s26
	v_add3_u32 v21, v25, v21, v24
	v_mad_u64_u32 v[22:23], s[8:9], v12, s26, v[22:23]
	v_mul_lo_u32 v24, v12, s27
	v_mul_lo_u32 v25, v13, s26
	v_add3_u32 v23, v25, v23, v24
	global_load_ubyte v24, v[20:21], off
	global_load_ubyte v25, v[22:23], off
	s_mov_b64 s[14:15], -1
	s_waitcnt vmcnt(0)
	v_cmp_eq_u16_e32 vcc, v24, v25
	s_and_saveexec_b64 s[8:9], vcc
	s_cbranch_execz .LBB377_80
; %bb.74:
	s_mov_b64 s[40:41], 1
	s_mov_b64 s[14:15], 0
                                        ; implicit-def: $sgpr38_sgpr39
	s_branch .LBB377_77
.LBB377_75:                             ;   in Loop: Header=BB377_77 Depth=1
	v_mov_b32_e32 v27, s41
	v_add_co_u32_e32 v24, vcc, s40, v20
	v_addc_co_u32_e32 v25, vcc, v21, v27, vcc
	v_add_co_u32_e32 v26, vcc, s40, v22
	v_addc_co_u32_e32 v27, vcc, v23, v27, vcc
	global_load_ubyte v28, v[24:25], off
	global_load_ubyte v30, v[26:27], off
	s_add_u32 s42, s40, 1
	s_addc_u32 s43, s41, 0
	s_andn2_b64 s[38:39], s[38:39], exec
	s_waitcnt vmcnt(0)
	v_cmp_ne_u16_e32 vcc, v28, v30
	s_and_b64 s[44:45], vcc, exec
	s_or_b64 s[38:39], s[38:39], s[44:45]
.LBB377_76:                             ;   in Loop: Header=BB377_77 Depth=1
	s_and_b64 s[44:45], exec, s[38:39]
	s_or_b64 s[14:15], s[44:45], s[14:15]
	v_pk_mov_b32 v[24:25], s[40:41], s[40:41] op_sel:[0,1]
	s_mov_b64 s[40:41], s[42:43]
	s_andn2_b64 exec, exec, s[14:15]
	s_cbranch_execz .LBB377_79
.LBB377_77:                             ; =>This Inner Loop Header: Depth=1
	s_or_b64 s[38:39], s[38:39], exec
	s_cmp_eq_u64 s[26:27], s[40:41]
	s_cbranch_scc0 .LBB377_75
; %bb.78:                               ;   in Loop: Header=BB377_77 Depth=1
                                        ; implicit-def: $sgpr42_sgpr43
	s_mov_b64 s[40:41], s[26:27]
	s_branch .LBB377_76
.LBB377_79:
	s_or_b64 exec, exec, s[14:15]
	v_cmp_gt_i64_e32 vcc, s[26:27], v[24:25]
	s_orn2_b64 s[14:15], vcc, exec
.LBB377_80:
	s_or_b64 exec, exec, s[8:9]
.LBB377_81:
	s_and_b64 s[8:9], s[14:15], exec
.LBB377_82:
	s_or_b64 exec, exec, s[12:13]
	v_or_b32_e32 v20, 2, v1
	v_cmp_gt_u32_e32 vcc, s48, v20
	s_and_saveexec_b64 s[12:13], vcc
	s_cbranch_execz .LBB377_93
; %bb.83:
	s_and_b64 vcc, exec, s[4:5]
	s_mov_b64 s[14:15], 0
	s_cbranch_vccnz .LBB377_92
; %bb.84:
	v_pk_mov_b32 v[22:23], s[16:17], s[16:17] op_sel:[0,1]
	v_mad_u64_u32 v[20:21], s[10:11], v16, s26, v[22:23]
	s_waitcnt lgkmcnt(0)
	v_mul_lo_u32 v24, v16, s27
	v_mul_lo_u32 v25, v17, s26
	v_add3_u32 v21, v25, v21, v24
	v_mad_u64_u32 v[22:23], s[10:11], v10, s26, v[22:23]
	v_mul_lo_u32 v24, v10, s27
	v_mul_lo_u32 v25, v11, s26
	v_add3_u32 v23, v25, v23, v24
	global_load_ubyte v24, v[20:21], off
	global_load_ubyte v25, v[22:23], off
	s_mov_b64 s[14:15], -1
	s_waitcnt vmcnt(0)
	v_cmp_eq_u16_e32 vcc, v24, v25
	s_and_saveexec_b64 s[10:11], vcc
	s_cbranch_execz .LBB377_91
; %bb.85:
	s_mov_b64 s[40:41], 1
	s_mov_b64 s[14:15], 0
                                        ; implicit-def: $sgpr38_sgpr39
	s_branch .LBB377_88
.LBB377_86:                             ;   in Loop: Header=BB377_88 Depth=1
	v_mov_b32_e32 v27, s41
	v_add_co_u32_e32 v24, vcc, s40, v20
	v_addc_co_u32_e32 v25, vcc, v21, v27, vcc
	v_add_co_u32_e32 v26, vcc, s40, v22
	v_addc_co_u32_e32 v27, vcc, v23, v27, vcc
	global_load_ubyte v28, v[24:25], off
	global_load_ubyte v30, v[26:27], off
	s_add_u32 s42, s40, 1
	s_addc_u32 s43, s41, 0
	s_andn2_b64 s[38:39], s[38:39], exec
	s_waitcnt vmcnt(0)
	v_cmp_ne_u16_e32 vcc, v28, v30
	s_and_b64 s[44:45], vcc, exec
	s_or_b64 s[38:39], s[38:39], s[44:45]
.LBB377_87:                             ;   in Loop: Header=BB377_88 Depth=1
	s_and_b64 s[44:45], exec, s[38:39]
	s_or_b64 s[14:15], s[44:45], s[14:15]
	v_pk_mov_b32 v[24:25], s[40:41], s[40:41] op_sel:[0,1]
	s_mov_b64 s[40:41], s[42:43]
	s_andn2_b64 exec, exec, s[14:15]
	s_cbranch_execz .LBB377_90
.LBB377_88:                             ; =>This Inner Loop Header: Depth=1
	s_or_b64 s[38:39], s[38:39], exec
	s_cmp_eq_u64 s[26:27], s[40:41]
	s_cbranch_scc0 .LBB377_86
; %bb.89:                               ;   in Loop: Header=BB377_88 Depth=1
                                        ; implicit-def: $sgpr42_sgpr43
	s_mov_b64 s[40:41], s[26:27]
	s_branch .LBB377_87
.LBB377_90:
	s_or_b64 exec, exec, s[14:15]
	v_cmp_gt_i64_e32 vcc, s[26:27], v[24:25]
	s_orn2_b64 s[14:15], vcc, exec
.LBB377_91:
	s_or_b64 exec, exec, s[10:11]
.LBB377_92:
	s_and_b64 s[10:11], s[14:15], exec
.LBB377_93:
	s_or_b64 exec, exec, s[12:13]
	v_or_b32_e32 v20, 1, v1
	v_cmp_gt_u32_e32 vcc, s48, v20
	s_mov_b64 s[14:15], 0
	s_and_saveexec_b64 s[12:13], vcc
	s_cbranch_execz .LBB377_104
; %bb.94:
	s_and_b64 vcc, exec, s[4:5]
	s_mov_b64 s[38:39], 0
	s_cbranch_vccnz .LBB377_103
; %bb.95:
	v_pk_mov_b32 v[22:23], s[16:17], s[16:17] op_sel:[0,1]
	v_mad_u64_u32 v[20:21], s[14:15], v14, s26, v[22:23]
	s_waitcnt lgkmcnt(0)
	v_mul_lo_u32 v24, v14, s27
	v_mul_lo_u32 v25, v15, s26
	v_add3_u32 v21, v25, v21, v24
	v_mad_u64_u32 v[22:23], s[14:15], v16, s26, v[22:23]
	v_mul_lo_u32 v24, v16, s27
	v_mul_lo_u32 v25, v17, s26
	v_add3_u32 v23, v25, v23, v24
	global_load_ubyte v24, v[20:21], off
	global_load_ubyte v25, v[22:23], off
	s_mov_b64 s[38:39], -1
	s_waitcnt vmcnt(0)
	v_cmp_eq_u16_e32 vcc, v24, v25
	s_and_saveexec_b64 s[14:15], vcc
	s_cbranch_execz .LBB377_102
; %bb.96:
	s_mov_b64 s[42:43], 1
	s_mov_b64 s[38:39], 0
                                        ; implicit-def: $sgpr40_sgpr41
	s_branch .LBB377_99
.LBB377_97:                             ;   in Loop: Header=BB377_99 Depth=1
	v_mov_b32_e32 v27, s43
	v_add_co_u32_e32 v24, vcc, s42, v20
	v_addc_co_u32_e32 v25, vcc, v21, v27, vcc
	v_add_co_u32_e32 v26, vcc, s42, v22
	v_addc_co_u32_e32 v27, vcc, v23, v27, vcc
	global_load_ubyte v28, v[24:25], off
	global_load_ubyte v30, v[26:27], off
	s_add_u32 s44, s42, 1
	s_addc_u32 s45, s43, 0
	s_andn2_b64 s[40:41], s[40:41], exec
	s_waitcnt vmcnt(0)
	v_cmp_ne_u16_e32 vcc, v28, v30
	s_and_b64 s[46:47], vcc, exec
	s_or_b64 s[40:41], s[40:41], s[46:47]
.LBB377_98:                             ;   in Loop: Header=BB377_99 Depth=1
	s_and_b64 s[46:47], exec, s[40:41]
	s_or_b64 s[38:39], s[46:47], s[38:39]
	v_pk_mov_b32 v[24:25], s[42:43], s[42:43] op_sel:[0,1]
	s_mov_b64 s[42:43], s[44:45]
	s_andn2_b64 exec, exec, s[38:39]
	s_cbranch_execz .LBB377_101
.LBB377_99:                             ; =>This Inner Loop Header: Depth=1
	s_or_b64 s[40:41], s[40:41], exec
	s_cmp_eq_u64 s[26:27], s[42:43]
	s_cbranch_scc0 .LBB377_97
; %bb.100:                              ;   in Loop: Header=BB377_99 Depth=1
                                        ; implicit-def: $sgpr44_sgpr45
	s_mov_b64 s[42:43], s[26:27]
	s_branch .LBB377_98
.LBB377_101:
	s_or_b64 exec, exec, s[38:39]
	v_cmp_gt_i64_e32 vcc, s[26:27], v[24:25]
	s_orn2_b64 s[38:39], vcc, exec
.LBB377_102:
	s_or_b64 exec, exec, s[14:15]
.LBB377_103:
	s_and_b64 s[14:15], s[38:39], exec
.LBB377_104:
	s_or_b64 exec, exec, s[12:13]
	s_waitcnt lgkmcnt(0)
	s_barrier
	s_and_saveexec_b64 s[12:13], s[2:3]
	s_cbranch_execz .LBB377_106
; %bb.105:
	s_waitcnt vmcnt(0)
	v_add_u32_e32 v18, -8, v29
	ds_read_b64 v[18:19], v18
.LBB377_106:
	s_or_b64 exec, exec, s[12:13]
	v_cndmask_b32_e64 v21, 0, 1, s[8:9]
	v_cndmask_b32_e64 v20, 0, 1, s[10:11]
	;; [unrolled: 1-line block ×3, first 2 shown]
	v_lshlrev_b16_e32 v21, 8, v21
	v_lshlrev_b16_e32 v24, 8, v22
	v_or_b32_sdwa v25, v20, v21 dst_sel:WORD_1 dst_unused:UNUSED_PAD src0_sel:DWORD src1_sel:DWORD
	v_cmp_gt_u32_e32 vcc, s48, v1
	s_mov_b64 s[12:13], 0
	s_and_saveexec_b64 s[8:9], vcc
	s_cbranch_execz .LBB377_117
; %bb.107:
	s_and_b64 vcc, exec, s[4:5]
	s_mov_b64 s[10:11], 0
	s_cbranch_vccnz .LBB377_116
; %bb.108:
	v_pk_mov_b32 v[22:23], s[16:17], s[16:17] op_sel:[0,1]
	s_waitcnt vmcnt(0) lgkmcnt(0)
	v_mad_u64_u32 v[20:21], s[4:5], v18, s26, v[22:23]
	v_mul_lo_u32 v18, v18, s27
	v_mul_lo_u32 v19, v19, s26
	v_add3_u32 v21, v19, v21, v18
	v_mad_u64_u32 v[18:19], s[4:5], v14, s26, v[22:23]
	v_mul_lo_u32 v22, v14, s27
	v_mul_lo_u32 v23, v15, s26
	v_add3_u32 v19, v23, v19, v22
	global_load_ubyte v22, v[20:21], off
	global_load_ubyte v23, v[18:19], off
	s_mov_b64 s[10:11], -1
	s_waitcnt vmcnt(0)
	v_cmp_eq_u16_e32 vcc, v22, v23
	s_and_saveexec_b64 s[4:5], vcc
	s_cbranch_execz .LBB377_115
; %bb.109:
	s_mov_b64 s[14:15], 1
	s_mov_b64 s[10:11], 0
                                        ; implicit-def: $sgpr12_sgpr13
	s_branch .LBB377_112
.LBB377_110:                            ;   in Loop: Header=BB377_112 Depth=1
	v_mov_b32_e32 v27, s15
	v_add_co_u32_e32 v22, vcc, s14, v20
	v_addc_co_u32_e32 v23, vcc, v21, v27, vcc
	v_add_co_u32_e32 v26, vcc, s14, v18
	v_addc_co_u32_e32 v27, vcc, v19, v27, vcc
	global_load_ubyte v28, v[22:23], off
	global_load_ubyte v29, v[26:27], off
	s_add_u32 s38, s14, 1
	s_addc_u32 s39, s15, 0
	s_andn2_b64 s[12:13], s[12:13], exec
	s_waitcnt vmcnt(0)
	v_cmp_ne_u16_e32 vcc, v28, v29
	s_and_b64 s[40:41], vcc, exec
	s_or_b64 s[12:13], s[12:13], s[40:41]
.LBB377_111:                            ;   in Loop: Header=BB377_112 Depth=1
	s_and_b64 s[40:41], exec, s[12:13]
	s_or_b64 s[10:11], s[40:41], s[10:11]
	v_pk_mov_b32 v[22:23], s[14:15], s[14:15] op_sel:[0,1]
	s_mov_b64 s[14:15], s[38:39]
	s_andn2_b64 exec, exec, s[10:11]
	s_cbranch_execz .LBB377_114
.LBB377_112:                            ; =>This Inner Loop Header: Depth=1
	s_or_b64 s[12:13], s[12:13], exec
	s_cmp_eq_u64 s[26:27], s[14:15]
	s_cbranch_scc0 .LBB377_110
; %bb.113:                              ;   in Loop: Header=BB377_112 Depth=1
                                        ; implicit-def: $sgpr38_sgpr39
	s_mov_b64 s[14:15], s[26:27]
	s_branch .LBB377_111
.LBB377_114:
	s_or_b64 exec, exec, s[10:11]
	v_cmp_gt_i64_e32 vcc, s[26:27], v[22:23]
	s_orn2_b64 s[10:11], vcc, exec
.LBB377_115:
	s_or_b64 exec, exec, s[4:5]
.LBB377_116:
	s_and_b64 s[12:13], s[10:11], exec
.LBB377_117:
	s_or_b64 exec, exec, s[8:9]
	v_or_b32_e32 v28, v24, v25
.LBB377_118:
	s_mov_b64 s[8:9], -1
	s_cbranch_execnz .LBB377_207
.LBB377_119:
	v_lshlrev_b32_e32 v26, 3, v0
	s_mov_b64 s[12:13], 0
	v_cmp_gt_i64_e64 s[10:11], s[26:27], 0
	s_and_b64 vcc, exec, s[34:35]
	ds_write_b64 v26, v[12:13]
	s_cbranch_vccz .LBB377_127
; %bb.120:
	v_mul_lo_u32 v20, v11, s26
	v_mul_lo_u32 v21, v10, s27
	s_waitcnt vmcnt(0) lgkmcnt(1)
	v_mad_u64_u32 v[18:19], s[4:5], v10, s26, 0
	v_cndmask_b32_e64 v22, 0, 1, s[10:11]
	v_cmp_ne_u32_e64 s[4:5], 1, v22
	s_andn2_b64 vcc, exec, s[10:11]
	v_add3_u32 v19, v19, v21, v20
	s_cbranch_vccnz .LBB377_130
; %bb.121:
	v_mov_b32_e32 v21, s17
	v_add_co_u32_e32 v20, vcc, s16, v18
	v_pk_mov_b32 v[22:23], s[16:17], s[16:17] op_sel:[0,1]
	v_addc_co_u32_e32 v21, vcc, v21, v19, vcc
	v_mad_u64_u32 v[22:23], s[12:13], v12, s26, v[22:23]
	v_mul_lo_u32 v24, v12, s27
	v_mul_lo_u32 v25, v13, s26
	v_add3_u32 v23, v25, v23, v24
	global_load_ubyte v24, v[20:21], off
	global_load_ubyte v25, v[22:23], off
	s_mov_b64 s[12:13], -1
	s_waitcnt vmcnt(0)
	v_cmp_eq_u16_e32 vcc, v24, v25
	s_and_saveexec_b64 s[14:15], vcc
	s_cbranch_execz .LBB377_129
; %bb.122:
	s_mov_b64 s[40:41], 1
	s_mov_b64 s[12:13], 0
                                        ; implicit-def: $sgpr38_sgpr39
	s_branch .LBB377_125
.LBB377_123:                            ;   in Loop: Header=BB377_125 Depth=1
	v_mov_b32_e32 v27, s41
	v_add_co_u32_e32 v24, vcc, s40, v20
	v_addc_co_u32_e32 v25, vcc, v21, v27, vcc
	v_add_co_u32_e32 v28, vcc, s40, v22
	v_addc_co_u32_e32 v29, vcc, v23, v27, vcc
	global_load_ubyte v27, v[24:25], off
	global_load_ubyte v30, v[28:29], off
	s_add_u32 s42, s40, 1
	s_addc_u32 s43, s41, 0
	s_andn2_b64 s[38:39], s[38:39], exec
	s_waitcnt vmcnt(0)
	v_cmp_ne_u16_e32 vcc, v27, v30
	s_and_b64 s[44:45], vcc, exec
	s_or_b64 s[38:39], s[38:39], s[44:45]
.LBB377_124:                            ;   in Loop: Header=BB377_125 Depth=1
	s_and_b64 s[44:45], exec, s[38:39]
	s_or_b64 s[12:13], s[44:45], s[12:13]
	v_pk_mov_b32 v[24:25], s[40:41], s[40:41] op_sel:[0,1]
	s_mov_b64 s[40:41], s[42:43]
	s_andn2_b64 exec, exec, s[12:13]
	s_cbranch_execz .LBB377_128
.LBB377_125:                            ; =>This Inner Loop Header: Depth=1
	s_or_b64 s[38:39], s[38:39], exec
	s_cmp_eq_u64 s[26:27], s[40:41]
	s_cbranch_scc0 .LBB377_123
; %bb.126:                              ;   in Loop: Header=BB377_125 Depth=1
                                        ; implicit-def: $sgpr42_sgpr43
	s_mov_b64 s[40:41], s[26:27]
	s_branch .LBB377_124
.LBB377_127:
                                        ; implicit-def: $sgpr12_sgpr13
                                        ; implicit-def: $vgpr28
	s_cbranch_execnz .LBB377_160
	s_branch .LBB377_207
.LBB377_128:
	s_or_b64 exec, exec, s[12:13]
	v_cmp_gt_i64_e32 vcc, s[26:27], v[24:25]
	s_orn2_b64 s[12:13], vcc, exec
.LBB377_129:
	s_or_b64 exec, exec, s[14:15]
.LBB377_130:
	v_mul_lo_u32 v22, v17, s26
	v_mul_lo_u32 v23, v16, s27
	v_mad_u64_u32 v[20:21], s[14:15], v16, s26, 0
	v_add3_u32 v21, v21, v23, v22
	s_mov_b64 s[14:15], 0
	s_and_b64 vcc, exec, s[4:5]
	s_mov_b64 s[38:39], 0
	s_cbranch_vccnz .LBB377_139
; %bb.131:
	v_mov_b32_e32 v23, s17
	v_add_co_u32_e32 v22, vcc, s16, v20
	v_addc_co_u32_e32 v23, vcc, v23, v21, vcc
	v_mov_b32_e32 v24, s17
	v_add_co_u32_e32 v18, vcc, s16, v18
	v_addc_co_u32_e32 v19, vcc, v24, v19, vcc
	global_load_ubyte v24, v[22:23], off
	global_load_ubyte v25, v[18:19], off
	s_mov_b64 s[38:39], -1
	s_waitcnt vmcnt(0)
	v_cmp_eq_u16_e32 vcc, v24, v25
	s_and_saveexec_b64 s[40:41], vcc
	s_cbranch_execz .LBB377_138
; %bb.132:
	s_mov_b64 s[44:45], 1
	s_mov_b64 s[38:39], 0
                                        ; implicit-def: $sgpr42_sgpr43
	s_branch .LBB377_135
.LBB377_133:                            ;   in Loop: Header=BB377_135 Depth=1
	v_mov_b32_e32 v27, s45
	v_add_co_u32_e32 v24, vcc, s44, v22
	v_addc_co_u32_e32 v25, vcc, v23, v27, vcc
	v_add_co_u32_e32 v28, vcc, s44, v18
	v_addc_co_u32_e32 v29, vcc, v19, v27, vcc
	global_load_ubyte v27, v[24:25], off
	global_load_ubyte v30, v[28:29], off
	s_add_u32 s46, s44, 1
	s_addc_u32 s47, s45, 0
	s_andn2_b64 s[42:43], s[42:43], exec
	s_waitcnt vmcnt(0)
	v_cmp_ne_u16_e32 vcc, v27, v30
	s_and_b64 s[50:51], vcc, exec
	s_or_b64 s[42:43], s[42:43], s[50:51]
.LBB377_134:                            ;   in Loop: Header=BB377_135 Depth=1
	s_and_b64 s[50:51], exec, s[42:43]
	s_or_b64 s[38:39], s[50:51], s[38:39]
	v_pk_mov_b32 v[24:25], s[44:45], s[44:45] op_sel:[0,1]
	s_mov_b64 s[44:45], s[46:47]
	s_andn2_b64 exec, exec, s[38:39]
	s_cbranch_execz .LBB377_137
.LBB377_135:                            ; =>This Inner Loop Header: Depth=1
	s_or_b64 s[42:43], s[42:43], exec
	s_cmp_eq_u64 s[26:27], s[44:45]
	s_cbranch_scc0 .LBB377_133
; %bb.136:                              ;   in Loop: Header=BB377_135 Depth=1
                                        ; implicit-def: $sgpr46_sgpr47
	s_mov_b64 s[44:45], s[26:27]
	s_branch .LBB377_134
.LBB377_137:
	s_or_b64 exec, exec, s[38:39]
	v_cmp_gt_i64_e32 vcc, s[26:27], v[24:25]
	s_orn2_b64 s[38:39], vcc, exec
.LBB377_138:
	s_or_b64 exec, exec, s[40:41]
.LBB377_139:
	v_mul_lo_u32 v22, v15, s26
	v_mul_lo_u32 v23, v14, s27
	v_mad_u64_u32 v[18:19], s[40:41], v14, s26, 0
	s_and_b64 vcc, exec, s[4:5]
	v_add3_u32 v19, v19, v23, v22
	s_cbranch_vccnz .LBB377_148
; %bb.140:
	v_mov_b32_e32 v23, s17
	v_add_co_u32_e32 v22, vcc, s16, v18
	v_addc_co_u32_e32 v23, vcc, v23, v19, vcc
	v_mov_b32_e32 v24, s17
	v_add_co_u32_e32 v20, vcc, s16, v20
	v_addc_co_u32_e32 v21, vcc, v24, v21, vcc
	global_load_ubyte v24, v[22:23], off
	global_load_ubyte v25, v[20:21], off
	s_mov_b64 s[14:15], -1
	s_waitcnt vmcnt(0)
	v_cmp_eq_u16_e32 vcc, v24, v25
	s_and_saveexec_b64 s[40:41], vcc
	s_cbranch_execz .LBB377_147
; %bb.141:
	s_mov_b64 s[44:45], 1
	s_mov_b64 s[14:15], 0
                                        ; implicit-def: $sgpr42_sgpr43
	s_branch .LBB377_144
.LBB377_142:                            ;   in Loop: Header=BB377_144 Depth=1
	v_mov_b32_e32 v27, s45
	v_add_co_u32_e32 v24, vcc, s44, v22
	v_addc_co_u32_e32 v25, vcc, v23, v27, vcc
	v_add_co_u32_e32 v28, vcc, s44, v20
	v_addc_co_u32_e32 v29, vcc, v21, v27, vcc
	global_load_ubyte v27, v[24:25], off
	global_load_ubyte v30, v[28:29], off
	s_add_u32 s46, s44, 1
	s_addc_u32 s47, s45, 0
	s_andn2_b64 s[42:43], s[42:43], exec
	s_waitcnt vmcnt(0)
	v_cmp_ne_u16_e32 vcc, v27, v30
	s_and_b64 s[50:51], vcc, exec
	s_or_b64 s[42:43], s[42:43], s[50:51]
.LBB377_143:                            ;   in Loop: Header=BB377_144 Depth=1
	s_and_b64 s[50:51], exec, s[42:43]
	s_or_b64 s[14:15], s[50:51], s[14:15]
	v_pk_mov_b32 v[24:25], s[44:45], s[44:45] op_sel:[0,1]
	s_mov_b64 s[44:45], s[46:47]
	s_andn2_b64 exec, exec, s[14:15]
	s_cbranch_execz .LBB377_146
.LBB377_144:                            ; =>This Inner Loop Header: Depth=1
	s_or_b64 s[42:43], s[42:43], exec
	s_cmp_eq_u64 s[26:27], s[44:45]
	s_cbranch_scc0 .LBB377_142
; %bb.145:                              ;   in Loop: Header=BB377_144 Depth=1
                                        ; implicit-def: $sgpr46_sgpr47
	s_mov_b64 s[44:45], s[26:27]
	s_branch .LBB377_143
.LBB377_146:
	s_or_b64 exec, exec, s[14:15]
	v_cmp_gt_i64_e32 vcc, s[26:27], v[24:25]
	s_orn2_b64 s[14:15], vcc, exec
.LBB377_147:
	s_or_b64 exec, exec, s[40:41]
.LBB377_148:
	v_cndmask_b32_e64 v21, 0, 1, s[12:13]
	v_cndmask_b32_e64 v22, 0, 1, s[14:15]
	;; [unrolled: 1-line block ×3, first 2 shown]
	v_lshlrev_b16_e32 v22, 8, v22
	v_lshlrev_b16_e32 v21, 8, v21
	v_or_b32_e32 v22, 1, v22
	v_or_b32_sdwa v20, v20, v21 dst_sel:WORD_1 dst_unused:UNUSED_PAD src0_sel:DWORD src1_sel:DWORD
	v_or_b32_sdwa v28, v22, v20 dst_sel:DWORD dst_unused:UNUSED_PAD src0_sel:WORD_0 src1_sel:DWORD
	s_waitcnt lgkmcnt(0)
	s_barrier
	s_waitcnt lgkmcnt(0)
                                        ; implicit-def: $sgpr12_sgpr13
	s_and_saveexec_b64 s[14:15], s[2:3]
	s_xor_b64 s[14:15], exec, s[14:15]
	s_cbranch_execz .LBB377_159
; %bb.149:
	s_and_b64 vcc, exec, s[4:5]
	s_mov_b64 s[12:13], 0
	s_cbranch_vccnz .LBB377_158
; %bb.150:
	v_add_u32_e32 v20, -8, v26
	ds_read_b64 v[20:21], v20
	v_pk_mov_b32 v[22:23], s[16:17], s[16:17] op_sel:[0,1]
	v_add_co_u32_e32 v18, vcc, s16, v18
	s_mov_b64 s[12:13], -1
	s_waitcnt lgkmcnt(0)
	v_mul_lo_u32 v24, v20, s27
	v_mul_lo_u32 v25, v21, s26
	v_mad_u64_u32 v[20:21], s[4:5], v20, s26, v[22:23]
	v_mov_b32_e32 v22, s17
	v_addc_co_u32_e32 v19, vcc, v22, v19, vcc
	v_add3_u32 v21, v25, v21, v24
	global_load_ubyte v22, v[18:19], off
	global_load_ubyte v23, v[20:21], off
	s_waitcnt vmcnt(0)
	v_cmp_eq_u16_e32 vcc, v23, v22
	s_and_saveexec_b64 s[4:5], vcc
	s_cbranch_execz .LBB377_157
; %bb.151:
	s_mov_b64 s[40:41], 1
	s_mov_b64 s[12:13], 0
                                        ; implicit-def: $sgpr38_sgpr39
	s_branch .LBB377_154
.LBB377_152:                            ;   in Loop: Header=BB377_154 Depth=1
	v_mov_b32_e32 v25, s41
	v_add_co_u32_e32 v22, vcc, s40, v20
	v_addc_co_u32_e32 v23, vcc, v21, v25, vcc
	v_add_co_u32_e32 v24, vcc, s40, v18
	v_addc_co_u32_e32 v25, vcc, v19, v25, vcc
	global_load_ubyte v27, v[22:23], off
	global_load_ubyte v29, v[24:25], off
	s_add_u32 s42, s40, 1
	s_addc_u32 s43, s41, 0
	s_andn2_b64 s[38:39], s[38:39], exec
	s_waitcnt vmcnt(0)
	v_cmp_ne_u16_e32 vcc, v27, v29
	s_and_b64 s[44:45], vcc, exec
	s_or_b64 s[38:39], s[38:39], s[44:45]
.LBB377_153:                            ;   in Loop: Header=BB377_154 Depth=1
	s_and_b64 s[44:45], exec, s[38:39]
	s_or_b64 s[12:13], s[44:45], s[12:13]
	v_pk_mov_b32 v[22:23], s[40:41], s[40:41] op_sel:[0,1]
	s_mov_b64 s[40:41], s[42:43]
	s_andn2_b64 exec, exec, s[12:13]
	s_cbranch_execz .LBB377_156
.LBB377_154:                            ; =>This Inner Loop Header: Depth=1
	s_or_b64 s[38:39], s[38:39], exec
	s_cmp_eq_u64 s[26:27], s[40:41]
	s_cbranch_scc0 .LBB377_152
; %bb.155:                              ;   in Loop: Header=BB377_154 Depth=1
                                        ; implicit-def: $sgpr42_sgpr43
	s_mov_b64 s[40:41], s[26:27]
	s_branch .LBB377_153
.LBB377_156:
	s_or_b64 exec, exec, s[12:13]
	v_cmp_gt_i64_e32 vcc, s[26:27], v[22:23]
	s_orn2_b64 s[12:13], vcc, exec
.LBB377_157:
	s_or_b64 exec, exec, s[4:5]
.LBB377_158:
	s_and_b64 s[12:13], s[12:13], exec
	s_or_b64 s[8:9], s[8:9], exec
.LBB377_159:
	s_or_b64 exec, exec, s[14:15]
	s_branch .LBB377_207
.LBB377_160:
	s_waitcnt vmcnt(0) lgkmcnt(1)
	v_or_b32_e32 v18, 3, v1
	v_cmp_gt_u32_e32 vcc, s48, v18
	s_mov_b64 s[12:13], 0
	s_mov_b64 s[4:5], 0
	s_and_saveexec_b64 s[14:15], vcc
	s_cbranch_execz .LBB377_171
; %bb.161:
	s_andn2_b64 vcc, exec, s[10:11]
	s_mov_b64 s[38:39], 0
	s_cbranch_vccnz .LBB377_170
; %bb.162:
	v_pk_mov_b32 v[20:21], s[16:17], s[16:17] op_sel:[0,1]
	v_mad_u64_u32 v[18:19], s[4:5], v10, s26, v[20:21]
	v_mul_lo_u32 v22, v10, s27
	v_mul_lo_u32 v23, v11, s26
	v_add3_u32 v19, v23, v19, v22
	v_mad_u64_u32 v[20:21], s[4:5], v12, s26, v[20:21]
	v_mul_lo_u32 v22, v12, s27
	v_mul_lo_u32 v23, v13, s26
	v_add3_u32 v21, v23, v21, v22
	global_load_ubyte v22, v[18:19], off
	global_load_ubyte v23, v[20:21], off
	s_mov_b64 s[38:39], -1
	s_waitcnt vmcnt(0)
	v_cmp_eq_u16_e32 vcc, v22, v23
	s_and_saveexec_b64 s[4:5], vcc
	s_cbranch_execz .LBB377_169
; %bb.163:
	s_mov_b64 s[42:43], 1
	s_mov_b64 s[38:39], 0
                                        ; implicit-def: $sgpr40_sgpr41
	s_branch .LBB377_166
.LBB377_164:                            ;   in Loop: Header=BB377_166 Depth=1
	v_mov_b32_e32 v25, s43
	v_add_co_u32_e32 v22, vcc, s42, v18
	v_addc_co_u32_e32 v23, vcc, v19, v25, vcc
	v_add_co_u32_e32 v24, vcc, s42, v20
	v_addc_co_u32_e32 v25, vcc, v21, v25, vcc
	global_load_ubyte v27, v[22:23], off
	global_load_ubyte v28, v[24:25], off
	s_add_u32 s44, s42, 1
	s_addc_u32 s45, s43, 0
	s_andn2_b64 s[40:41], s[40:41], exec
	s_waitcnt vmcnt(0)
	v_cmp_ne_u16_e32 vcc, v27, v28
	s_and_b64 s[46:47], vcc, exec
	s_or_b64 s[40:41], s[40:41], s[46:47]
.LBB377_165:                            ;   in Loop: Header=BB377_166 Depth=1
	s_and_b64 s[46:47], exec, s[40:41]
	s_or_b64 s[38:39], s[46:47], s[38:39]
	v_pk_mov_b32 v[22:23], s[42:43], s[42:43] op_sel:[0,1]
	s_mov_b64 s[42:43], s[44:45]
	s_andn2_b64 exec, exec, s[38:39]
	s_cbranch_execz .LBB377_168
.LBB377_166:                            ; =>This Inner Loop Header: Depth=1
	s_or_b64 s[40:41], s[40:41], exec
	s_cmp_eq_u64 s[26:27], s[42:43]
	s_cbranch_scc0 .LBB377_164
; %bb.167:                              ;   in Loop: Header=BB377_166 Depth=1
                                        ; implicit-def: $sgpr44_sgpr45
	s_mov_b64 s[42:43], s[26:27]
	s_branch .LBB377_165
.LBB377_168:
	s_or_b64 exec, exec, s[38:39]
	v_cmp_gt_i64_e32 vcc, s[26:27], v[22:23]
	s_orn2_b64 s[38:39], vcc, exec
.LBB377_169:
	s_or_b64 exec, exec, s[4:5]
.LBB377_170:
	s_and_b64 s[4:5], s[38:39], exec
.LBB377_171:
	s_or_b64 exec, exec, s[14:15]
	v_or_b32_e32 v18, 2, v1
	v_cmp_gt_u32_e32 vcc, s48, v18
	s_and_saveexec_b64 s[14:15], vcc
	s_cbranch_execz .LBB377_182
; %bb.172:
	s_andn2_b64 vcc, exec, s[10:11]
	s_mov_b64 s[38:39], 0
	s_cbranch_vccnz .LBB377_181
; %bb.173:
	v_pk_mov_b32 v[20:21], s[16:17], s[16:17] op_sel:[0,1]
	v_mad_u64_u32 v[18:19], s[12:13], v16, s26, v[20:21]
	v_mul_lo_u32 v22, v16, s27
	v_mul_lo_u32 v23, v17, s26
	v_add3_u32 v19, v23, v19, v22
	v_mad_u64_u32 v[20:21], s[12:13], v10, s26, v[20:21]
	v_mul_lo_u32 v22, v10, s27
	v_mul_lo_u32 v23, v11, s26
	v_add3_u32 v21, v23, v21, v22
	global_load_ubyte v22, v[18:19], off
	global_load_ubyte v23, v[20:21], off
	s_mov_b64 s[38:39], -1
	s_waitcnt vmcnt(0)
	v_cmp_eq_u16_e32 vcc, v22, v23
	s_and_saveexec_b64 s[12:13], vcc
	s_cbranch_execz .LBB377_180
; %bb.174:
	s_mov_b64 s[42:43], 1
	s_mov_b64 s[38:39], 0
                                        ; implicit-def: $sgpr40_sgpr41
	s_branch .LBB377_177
.LBB377_175:                            ;   in Loop: Header=BB377_177 Depth=1
	v_mov_b32_e32 v25, s43
	v_add_co_u32_e32 v22, vcc, s42, v18
	v_addc_co_u32_e32 v23, vcc, v19, v25, vcc
	v_add_co_u32_e32 v24, vcc, s42, v20
	v_addc_co_u32_e32 v25, vcc, v21, v25, vcc
	global_load_ubyte v27, v[22:23], off
	global_load_ubyte v28, v[24:25], off
	s_add_u32 s44, s42, 1
	s_addc_u32 s45, s43, 0
	s_andn2_b64 s[40:41], s[40:41], exec
	s_waitcnt vmcnt(0)
	v_cmp_ne_u16_e32 vcc, v27, v28
	s_and_b64 s[46:47], vcc, exec
	s_or_b64 s[40:41], s[40:41], s[46:47]
.LBB377_176:                            ;   in Loop: Header=BB377_177 Depth=1
	s_and_b64 s[46:47], exec, s[40:41]
	s_or_b64 s[38:39], s[46:47], s[38:39]
	v_pk_mov_b32 v[22:23], s[42:43], s[42:43] op_sel:[0,1]
	s_mov_b64 s[42:43], s[44:45]
	s_andn2_b64 exec, exec, s[38:39]
	s_cbranch_execz .LBB377_179
.LBB377_177:                            ; =>This Inner Loop Header: Depth=1
	s_or_b64 s[40:41], s[40:41], exec
	s_cmp_eq_u64 s[26:27], s[42:43]
	s_cbranch_scc0 .LBB377_175
; %bb.178:                              ;   in Loop: Header=BB377_177 Depth=1
                                        ; implicit-def: $sgpr44_sgpr45
	s_mov_b64 s[42:43], s[26:27]
	s_branch .LBB377_176
.LBB377_179:
	s_or_b64 exec, exec, s[38:39]
	v_cmp_gt_i64_e32 vcc, s[26:27], v[22:23]
	s_orn2_b64 s[38:39], vcc, exec
.LBB377_180:
	s_or_b64 exec, exec, s[12:13]
.LBB377_181:
	s_and_b64 s[12:13], s[38:39], exec
.LBB377_182:
	s_or_b64 exec, exec, s[14:15]
	v_or_b32_e32 v18, 1, v1
	v_cmp_gt_u32_e32 vcc, s48, v18
	s_mov_b64 s[38:39], 0
	s_and_saveexec_b64 s[14:15], vcc
	s_cbranch_execz .LBB377_193
; %bb.183:
	s_andn2_b64 vcc, exec, s[10:11]
	s_mov_b64 s[40:41], 0
	s_cbranch_vccnz .LBB377_192
; %bb.184:
	v_pk_mov_b32 v[20:21], s[16:17], s[16:17] op_sel:[0,1]
	v_mad_u64_u32 v[18:19], s[38:39], v14, s26, v[20:21]
	v_mul_lo_u32 v22, v14, s27
	v_mul_lo_u32 v23, v15, s26
	v_add3_u32 v19, v23, v19, v22
	v_mad_u64_u32 v[20:21], s[38:39], v16, s26, v[20:21]
	v_mul_lo_u32 v22, v16, s27
	v_mul_lo_u32 v23, v17, s26
	v_add3_u32 v21, v23, v21, v22
	global_load_ubyte v22, v[18:19], off
	global_load_ubyte v23, v[20:21], off
	s_mov_b64 s[40:41], -1
	s_waitcnt vmcnt(0)
	v_cmp_eq_u16_e32 vcc, v22, v23
	s_and_saveexec_b64 s[38:39], vcc
	s_cbranch_execz .LBB377_191
; %bb.185:
	s_mov_b64 s[44:45], 1
	s_mov_b64 s[40:41], 0
                                        ; implicit-def: $sgpr42_sgpr43
	s_branch .LBB377_188
.LBB377_186:                            ;   in Loop: Header=BB377_188 Depth=1
	v_mov_b32_e32 v25, s45
	v_add_co_u32_e32 v22, vcc, s44, v18
	v_addc_co_u32_e32 v23, vcc, v19, v25, vcc
	v_add_co_u32_e32 v24, vcc, s44, v20
	v_addc_co_u32_e32 v25, vcc, v21, v25, vcc
	global_load_ubyte v27, v[22:23], off
	global_load_ubyte v28, v[24:25], off
	s_add_u32 s46, s44, 1
	s_addc_u32 s47, s45, 0
	s_andn2_b64 s[42:43], s[42:43], exec
	s_waitcnt vmcnt(0)
	v_cmp_ne_u16_e32 vcc, v27, v28
	s_and_b64 s[50:51], vcc, exec
	s_or_b64 s[42:43], s[42:43], s[50:51]
.LBB377_187:                            ;   in Loop: Header=BB377_188 Depth=1
	s_and_b64 s[50:51], exec, s[42:43]
	s_or_b64 s[40:41], s[50:51], s[40:41]
	v_pk_mov_b32 v[22:23], s[44:45], s[44:45] op_sel:[0,1]
	s_mov_b64 s[44:45], s[46:47]
	s_andn2_b64 exec, exec, s[40:41]
	s_cbranch_execz .LBB377_190
.LBB377_188:                            ; =>This Inner Loop Header: Depth=1
	s_or_b64 s[42:43], s[42:43], exec
	s_cmp_eq_u64 s[26:27], s[44:45]
	s_cbranch_scc0 .LBB377_186
; %bb.189:                              ;   in Loop: Header=BB377_188 Depth=1
                                        ; implicit-def: $sgpr46_sgpr47
	s_mov_b64 s[44:45], s[26:27]
	s_branch .LBB377_187
.LBB377_190:
	s_or_b64 exec, exec, s[40:41]
	v_cmp_gt_i64_e32 vcc, s[26:27], v[22:23]
	s_orn2_b64 s[40:41], vcc, exec
.LBB377_191:
	s_or_b64 exec, exec, s[38:39]
.LBB377_192:
	s_and_b64 s[38:39], s[40:41], exec
.LBB377_193:
	s_or_b64 exec, exec, s[14:15]
	v_cndmask_b32_e64 v19, 0, 1, s[4:5]
	v_cndmask_b32_e64 v20, 0, 1, s[38:39]
	;; [unrolled: 1-line block ×3, first 2 shown]
	v_lshlrev_b16_e32 v20, 8, v20
	v_lshlrev_b16_e32 v19, 8, v19
	v_or_b32_e32 v20, 1, v20
	v_or_b32_sdwa v18, v18, v19 dst_sel:WORD_1 dst_unused:UNUSED_PAD src0_sel:DWORD src1_sel:DWORD
	v_or_b32_sdwa v28, v20, v18 dst_sel:DWORD dst_unused:UNUSED_PAD src0_sel:WORD_0 src1_sel:DWORD
	s_waitcnt lgkmcnt(0)
	s_barrier
	s_waitcnt lgkmcnt(0)
                                        ; implicit-def: $sgpr12_sgpr13
	s_and_saveexec_b64 s[4:5], s[2:3]
	s_cbranch_execz .LBB377_206
; %bb.194:
	v_cmp_gt_u32_e32 vcc, s48, v1
	s_mov_b64 s[12:13], 0
	s_and_saveexec_b64 s[2:3], vcc
	s_cbranch_execz .LBB377_205
; %bb.195:
	s_andn2_b64 vcc, exec, s[10:11]
	s_cbranch_vccnz .LBB377_204
; %bb.196:
	v_add_u32_e32 v18, -8, v26
	ds_read_b64 v[18:19], v18
	v_pk_mov_b32 v[20:21], s[16:17], s[16:17] op_sel:[0,1]
	s_mov_b64 s[12:13], -1
	s_waitcnt lgkmcnt(0)
	v_mul_lo_u32 v22, v18, s27
	v_mul_lo_u32 v23, v19, s26
	v_mad_u64_u32 v[18:19], s[10:11], v18, s26, v[20:21]
	v_add3_u32 v19, v23, v19, v22
	v_mad_u64_u32 v[20:21], s[10:11], v14, s26, v[20:21]
	v_mul_lo_u32 v22, v14, s27
	v_mul_lo_u32 v23, v15, s26
	v_add3_u32 v21, v23, v21, v22
	global_load_ubyte v22, v[18:19], off
	global_load_ubyte v23, v[20:21], off
	s_waitcnt vmcnt(0)
	v_cmp_eq_u16_e32 vcc, v22, v23
	s_and_saveexec_b64 s[10:11], vcc
	s_cbranch_execz .LBB377_203
; %bb.197:
	s_mov_b64 s[16:17], 1
	s_mov_b64 s[12:13], 0
                                        ; implicit-def: $sgpr14_sgpr15
	s_branch .LBB377_200
.LBB377_198:                            ;   in Loop: Header=BB377_200 Depth=1
	v_mov_b32_e32 v25, s17
	v_add_co_u32_e32 v22, vcc, s16, v18
	v_addc_co_u32_e32 v23, vcc, v19, v25, vcc
	v_add_co_u32_e32 v24, vcc, s16, v20
	v_addc_co_u32_e32 v25, vcc, v21, v25, vcc
	global_load_ubyte v26, v[22:23], off
	global_load_ubyte v27, v[24:25], off
	s_add_u32 s38, s16, 1
	s_addc_u32 s39, s17, 0
	s_andn2_b64 s[14:15], s[14:15], exec
	s_waitcnt vmcnt(0)
	v_cmp_ne_u16_e32 vcc, v26, v27
	s_and_b64 s[40:41], vcc, exec
	s_or_b64 s[14:15], s[14:15], s[40:41]
.LBB377_199:                            ;   in Loop: Header=BB377_200 Depth=1
	s_and_b64 s[40:41], exec, s[14:15]
	s_or_b64 s[12:13], s[40:41], s[12:13]
	v_pk_mov_b32 v[22:23], s[16:17], s[16:17] op_sel:[0,1]
	s_mov_b64 s[16:17], s[38:39]
	s_andn2_b64 exec, exec, s[12:13]
	s_cbranch_execz .LBB377_202
.LBB377_200:                            ; =>This Inner Loop Header: Depth=1
	s_or_b64 s[14:15], s[14:15], exec
	s_cmp_eq_u64 s[26:27], s[16:17]
	s_cbranch_scc0 .LBB377_198
; %bb.201:                              ;   in Loop: Header=BB377_200 Depth=1
                                        ; implicit-def: $sgpr38_sgpr39
	s_mov_b64 s[16:17], s[26:27]
	s_branch .LBB377_199
.LBB377_202:
	s_or_b64 exec, exec, s[12:13]
	v_cmp_gt_i64_e32 vcc, s[26:27], v[22:23]
	s_orn2_b64 s[12:13], vcc, exec
.LBB377_203:
	s_or_b64 exec, exec, s[10:11]
.LBB377_204:
	s_and_b64 s[12:13], s[12:13], exec
.LBB377_205:
	s_or_b64 exec, exec, s[2:3]
	s_and_b64 s[12:13], s[12:13], exec
	s_or_b64 s[8:9], s[8:9], exec
.LBB377_206:
	s_or_b64 exec, exec, s[4:5]
.LBB377_207:
	s_and_saveexec_b64 s[2:3], s[8:9]
	s_cbranch_execz .LBB377_209
; %bb.208:
	s_waitcnt vmcnt(0) lgkmcnt(0)
	v_and_b32_e32 v18, 0xffffff00, v28
	v_cndmask_b32_e64 v19, 0, 1, s[12:13]
	v_or_b32_e32 v18, v19, v18
	v_and_b32_e32 v18, 0xffff, v18
	s_mov_b32 s4, 0xffff0000
	v_and_or_b32 v28, v28, s4, v18
.LBB377_209:
	s_or_b64 exec, exec, s[2:3]
	s_andn2_b64 vcc, exec, s[6:7]
	s_cbranch_vccnz .LBB377_211
; %bb.210:
	v_cmp_gt_u32_e32 vcc, s48, v1
	s_waitcnt vmcnt(0) lgkmcnt(0)
	v_cndmask_b32_e32 v18, 0, v28, vcc
	v_or_b32_e32 v19, 1, v1
	v_and_b32_e32 v18, 0xff, v18
	v_cmp_gt_u32_e32 vcc, s48, v19
	v_cndmask_b32_e32 v18, v18, v28, vcc
	v_or_b32_e32 v19, 2, v1
	v_and_b32_e32 v18, 0xffff, v18
	v_cmp_gt_u32_e32 vcc, s48, v19
	;; [unrolled: 4-line block ×3, first 2 shown]
	v_cndmask_b32_e32 v28, v18, v28, vcc
.LBB377_211:
	v_bfe_u32 v30, v28, 16, 8
	v_lshrrev_b32_e32 v29, 24, v28
	s_waitcnt vmcnt(0) lgkmcnt(0)
	v_add_u32_sdwa v18, v28, v28 dst_sel:DWORD dst_unused:UNUSED_PAD src0_sel:BYTE_1 src1_sel:BYTE_0
	v_add3_u32 v33, v18, v30, v29
	v_mbcnt_lo_u32_b32 v18, -1, 0
	v_mbcnt_hi_u32_b32 v31, -1, v18
	v_and_b32_e32 v18, 15, v31
	v_cmp_eq_u32_e64 s[14:15], 0, v18
	v_cmp_lt_u32_e64 s[12:13], 1, v18
	v_cmp_lt_u32_e64 s[10:11], 3, v18
	;; [unrolled: 1-line block ×3, first 2 shown]
	v_and_b32_e32 v18, 16, v31
	v_cmp_eq_u32_e64 s[6:7], 0, v18
	v_or_b32_e32 v18, 63, v0
	v_cmp_lt_u32_e64 s[2:3], 31, v31
	v_lshrrev_b32_e32 v32, 6, v0
	v_cmp_eq_u32_e64 s[4:5], v18, v0
	s_and_b64 vcc, exec, s[36:37]
	s_barrier
	s_cbranch_vccz .LBB377_238
; %bb.212:
	v_mov_b32_dpp v18, v33 row_shr:1 row_mask:0xf bank_mask:0xf
	v_cndmask_b32_e64 v18, v18, 0, s[14:15]
	v_add_u32_e32 v18, v18, v33
	s_nop 1
	v_mov_b32_dpp v19, v18 row_shr:2 row_mask:0xf bank_mask:0xf
	v_cndmask_b32_e64 v19, 0, v19, s[12:13]
	v_add_u32_e32 v18, v18, v19
	s_nop 1
	;; [unrolled: 4-line block ×4, first 2 shown]
	v_mov_b32_dpp v19, v18 row_bcast:15 row_mask:0xf bank_mask:0xf
	v_cndmask_b32_e64 v19, v19, 0, s[6:7]
	v_add_u32_e32 v18, v18, v19
	s_nop 1
	v_mov_b32_dpp v19, v18 row_bcast:31 row_mask:0xf bank_mask:0xf
	v_cndmask_b32_e64 v19, 0, v19, s[2:3]
	v_add_u32_e32 v18, v18, v19
	s_and_saveexec_b64 s[16:17], s[4:5]
	s_cbranch_execz .LBB377_214
; %bb.213:
	v_lshlrev_b32_e32 v19, 2, v32
	ds_write_b32 v19, v18
.LBB377_214:
	s_or_b64 exec, exec, s[16:17]
	v_cmp_gt_u32_e32 vcc, 2, v0
	s_waitcnt lgkmcnt(0)
	s_barrier
	s_and_saveexec_b64 s[16:17], vcc
	s_cbranch_execz .LBB377_216
; %bb.215:
	ds_read_b32 v19, v1
	v_bfe_i32 v20, v31, 0, 1
	s_waitcnt lgkmcnt(0)
	v_mov_b32_dpp v21, v19 row_shr:1 row_mask:0xf bank_mask:0xf
	v_and_b32_e32 v20, v20, v21
	v_add_u32_e32 v19, v20, v19
	ds_write_b32 v1, v19
.LBB377_216:
	s_or_b64 exec, exec, s[16:17]
	v_cmp_gt_u32_e32 vcc, 64, v0
	v_cmp_lt_u32_e64 s[16:17], 63, v0
	s_waitcnt lgkmcnt(0)
	s_barrier
	s_waitcnt lgkmcnt(0)
                                        ; implicit-def: $vgpr34
	s_and_saveexec_b64 s[26:27], s[16:17]
	s_cbranch_execz .LBB377_218
; %bb.217:
	v_lshl_add_u32 v19, v32, 2, -4
	ds_read_b32 v34, v19
	s_waitcnt lgkmcnt(0)
	v_add_u32_e32 v18, v34, v18
.LBB377_218:
	s_or_b64 exec, exec, s[26:27]
	v_add_u32_e32 v19, -1, v31
	v_and_b32_e32 v20, 64, v31
	v_cmp_lt_i32_e64 s[16:17], v19, v20
	v_cndmask_b32_e64 v19, v19, v31, s[16:17]
	v_lshlrev_b32_e32 v19, 2, v19
	ds_bpermute_b32 v35, v19, v18
	v_cmp_eq_u32_e64 s[16:17], 0, v31
	s_and_saveexec_b64 s[26:27], vcc
	s_cbranch_execz .LBB377_237
; %bb.219:
	v_mov_b32_e32 v25, 0
	ds_read_b32 v18, v25 offset:4
	s_and_saveexec_b64 s[36:37], s[16:17]
	s_cbranch_execz .LBB377_221
; %bb.220:
	s_add_i32 s38, s33, 64
	s_mov_b32 s39, 0
	s_lshl_b64 s[38:39], s[38:39], 3
	s_add_u32 s38, s18, s38
	v_mov_b32_e32 v19, 1
	s_addc_u32 s39, s19, s39
	s_waitcnt lgkmcnt(0)
	global_store_dwordx2 v25, v[18:19], s[38:39]
.LBB377_221:
	s_or_b64 exec, exec, s[36:37]
	v_xad_u32 v20, v31, -1, s33
	v_add_u32_e32 v24, 64, v20
	v_lshlrev_b64 v[22:23], 3, v[24:25]
	v_mov_b32_e32 v19, s19
	v_add_co_u32_e32 v26, vcc, s18, v22
	v_addc_co_u32_e32 v27, vcc, v19, v23, vcc
	global_load_dwordx2 v[22:23], v[26:27], off glc
	s_waitcnt vmcnt(0)
	v_cmp_eq_u16_sdwa s[38:39], v23, v25 src0_sel:BYTE_0 src1_sel:DWORD
	s_and_saveexec_b64 s[36:37], s[38:39]
	s_cbranch_execz .LBB377_225
; %bb.222:
	s_mov_b64 s[38:39], 0
	v_mov_b32_e32 v19, 0
.LBB377_223:                            ; =>This Inner Loop Header: Depth=1
	global_load_dwordx2 v[22:23], v[26:27], off glc
	s_waitcnt vmcnt(0)
	v_cmp_ne_u16_sdwa s[40:41], v23, v19 src0_sel:BYTE_0 src1_sel:DWORD
	s_or_b64 s[38:39], s[40:41], s[38:39]
	s_andn2_b64 exec, exec, s[38:39]
	s_cbranch_execnz .LBB377_223
; %bb.224:
	s_or_b64 exec, exec, s[38:39]
.LBB377_225:
	s_or_b64 exec, exec, s[36:37]
	v_and_b32_e32 v36, 63, v31
	v_mov_b32_e32 v19, 2
	v_cmp_ne_u32_e32 vcc, 63, v36
	v_cmp_eq_u16_sdwa s[36:37], v23, v19 src0_sel:BYTE_0 src1_sel:DWORD
	v_lshlrev_b64 v[24:25], v31, -1
	v_addc_co_u32_e32 v27, vcc, 0, v31, vcc
	v_and_b32_e32 v21, s37, v25
	v_lshlrev_b32_e32 v37, 2, v27
	v_or_b32_e32 v21, 0x80000000, v21
	ds_bpermute_b32 v27, v37, v22
	v_and_b32_e32 v26, s36, v24
	v_ffbl_b32_e32 v21, v21
	v_add_u32_e32 v21, 32, v21
	v_ffbl_b32_e32 v26, v26
	v_min_u32_e32 v21, v26, v21
	v_cmp_lt_u32_e32 vcc, v36, v21
	s_waitcnt lgkmcnt(0)
	v_cndmask_b32_e32 v26, 0, v27, vcc
	v_cmp_gt_u32_e32 vcc, 62, v36
	v_add_u32_e32 v22, v26, v22
	v_cndmask_b32_e64 v26, 0, 1, vcc
	v_lshlrev_b32_e32 v26, 1, v26
	v_add_lshl_u32 v38, v26, v31, 2
	ds_bpermute_b32 v26, v38, v22
	v_add_u32_e32 v39, 2, v36
	v_cmp_le_u32_e32 vcc, v39, v21
	v_add_u32_e32 v41, 4, v36
	v_add_u32_e32 v43, 8, v36
	s_waitcnt lgkmcnt(0)
	v_cndmask_b32_e32 v26, 0, v26, vcc
	v_cmp_gt_u32_e32 vcc, 60, v36
	v_add_u32_e32 v22, v22, v26
	v_cndmask_b32_e64 v26, 0, 1, vcc
	v_lshlrev_b32_e32 v26, 2, v26
	v_add_lshl_u32 v40, v26, v31, 2
	ds_bpermute_b32 v26, v40, v22
	v_cmp_le_u32_e32 vcc, v41, v21
	v_add_u32_e32 v46, 16, v36
	v_add_u32_e32 v48, 32, v36
	s_waitcnt lgkmcnt(0)
	v_cndmask_b32_e32 v26, 0, v26, vcc
	v_cmp_gt_u32_e32 vcc, 56, v36
	v_add_u32_e32 v22, v22, v26
	v_cndmask_b32_e64 v26, 0, 1, vcc
	v_lshlrev_b32_e32 v26, 3, v26
	v_add_lshl_u32 v42, v26, v31, 2
	ds_bpermute_b32 v26, v42, v22
	v_cmp_le_u32_e32 vcc, v43, v21
	s_waitcnt lgkmcnt(0)
	v_cndmask_b32_e32 v26, 0, v26, vcc
	v_cmp_gt_u32_e32 vcc, 48, v36
	v_add_u32_e32 v22, v22, v26
	v_cndmask_b32_e64 v26, 0, 1, vcc
	v_lshlrev_b32_e32 v26, 4, v26
	v_add_lshl_u32 v45, v26, v31, 2
	ds_bpermute_b32 v26, v45, v22
	v_cmp_le_u32_e32 vcc, v46, v21
	;; [unrolled: 9-line block ×3, first 2 shown]
	s_waitcnt lgkmcnt(0)
	v_cndmask_b32_e32 v21, 0, v26, vcc
	v_add_u32_e32 v22, v22, v21
	v_mov_b32_e32 v21, 0
	s_branch .LBB377_227
.LBB377_226:                            ;   in Loop: Header=BB377_227 Depth=1
	s_or_b64 exec, exec, s[36:37]
	v_cmp_eq_u16_sdwa s[36:37], v23, v19 src0_sel:BYTE_0 src1_sel:DWORD
	v_and_b32_e32 v26, s37, v25
	v_or_b32_e32 v26, 0x80000000, v26
	ds_bpermute_b32 v49, v37, v22
	v_and_b32_e32 v27, s36, v24
	v_ffbl_b32_e32 v26, v26
	v_add_u32_e32 v26, 32, v26
	v_ffbl_b32_e32 v27, v27
	v_min_u32_e32 v26, v27, v26
	v_cmp_lt_u32_e32 vcc, v36, v26
	s_waitcnt lgkmcnt(0)
	v_cndmask_b32_e32 v27, 0, v49, vcc
	v_add_u32_e32 v22, v27, v22
	ds_bpermute_b32 v27, v38, v22
	v_cmp_le_u32_e32 vcc, v39, v26
	v_subrev_u32_e32 v20, 64, v20
	s_waitcnt lgkmcnt(0)
	v_cndmask_b32_e32 v27, 0, v27, vcc
	v_add_u32_e32 v22, v22, v27
	ds_bpermute_b32 v27, v40, v22
	v_cmp_le_u32_e32 vcc, v41, v26
	s_waitcnt lgkmcnt(0)
	v_cndmask_b32_e32 v27, 0, v27, vcc
	v_add_u32_e32 v22, v22, v27
	ds_bpermute_b32 v27, v42, v22
	v_cmp_le_u32_e32 vcc, v43, v26
	s_waitcnt lgkmcnt(0)
	v_cndmask_b32_e32 v27, 0, v27, vcc
	v_add_u32_e32 v22, v22, v27
	ds_bpermute_b32 v27, v45, v22
	v_cmp_le_u32_e32 vcc, v46, v26
	s_waitcnt lgkmcnt(0)
	v_cndmask_b32_e32 v27, 0, v27, vcc
	v_add_u32_e32 v22, v22, v27
	ds_bpermute_b32 v27, v47, v22
	v_cmp_le_u32_e32 vcc, v48, v26
	s_waitcnt lgkmcnt(0)
	v_cndmask_b32_e32 v26, 0, v27, vcc
	v_add3_u32 v22, v26, v44, v22
.LBB377_227:                            ; =>This Loop Header: Depth=1
                                        ;     Child Loop BB377_230 Depth 2
	v_cmp_ne_u16_sdwa s[36:37], v23, v19 src0_sel:BYTE_0 src1_sel:DWORD
	v_cndmask_b32_e64 v23, 0, 1, s[36:37]
	;;#ASMSTART
	;;#ASMEND
	v_cmp_ne_u32_e32 vcc, 0, v23
	s_cmp_lg_u64 vcc, exec
	v_mov_b32_e32 v44, v22
	s_cbranch_scc1 .LBB377_232
; %bb.228:                              ;   in Loop: Header=BB377_227 Depth=1
	v_lshlrev_b64 v[22:23], 3, v[20:21]
	v_mov_b32_e32 v27, s19
	v_add_co_u32_e32 v26, vcc, s18, v22
	v_addc_co_u32_e32 v27, vcc, v27, v23, vcc
	global_load_dwordx2 v[22:23], v[26:27], off glc
	s_waitcnt vmcnt(0)
	v_cmp_eq_u16_sdwa s[38:39], v23, v21 src0_sel:BYTE_0 src1_sel:DWORD
	s_and_saveexec_b64 s[36:37], s[38:39]
	s_cbranch_execz .LBB377_226
; %bb.229:                              ;   in Loop: Header=BB377_227 Depth=1
	s_mov_b64 s[38:39], 0
.LBB377_230:                            ;   Parent Loop BB377_227 Depth=1
                                        ; =>  This Inner Loop Header: Depth=2
	global_load_dwordx2 v[22:23], v[26:27], off glc
	s_waitcnt vmcnt(0)
	v_cmp_ne_u16_sdwa s[40:41], v23, v21 src0_sel:BYTE_0 src1_sel:DWORD
	s_or_b64 s[38:39], s[40:41], s[38:39]
	s_andn2_b64 exec, exec, s[38:39]
	s_cbranch_execnz .LBB377_230
; %bb.231:                              ;   in Loop: Header=BB377_227 Depth=1
	s_or_b64 exec, exec, s[38:39]
	s_branch .LBB377_226
.LBB377_232:                            ;   in Loop: Header=BB377_227 Depth=1
                                        ; implicit-def: $vgpr22
                                        ; implicit-def: $vgpr23
	s_cbranch_execz .LBB377_227
; %bb.233:
	s_and_saveexec_b64 s[36:37], s[16:17]
	s_cbranch_execz .LBB377_235
; %bb.234:
	s_add_i32 s38, s33, 64
	s_mov_b32 s39, 0
	s_lshl_b64 s[38:39], s[38:39], 3
	s_add_u32 s38, s18, s38
	v_add_u32_e32 v20, v44, v18
	v_mov_b32_e32 v21, 2
	s_addc_u32 s39, s19, s39
	v_mov_b32_e32 v19, 0
	s_movk_i32 s33, 0x1000
	global_store_dwordx2 v19, v[20:21], s[38:39]
	v_add_u32_e64 v19, s33, 0
	ds_write2_b32 v19, v18, v44 offset0:32 offset1:34
.LBB377_235:
	s_or_b64 exec, exec, s[36:37]
	s_and_b64 exec, exec, s[0:1]
	s_cbranch_execz .LBB377_237
; %bb.236:
	v_mov_b32_e32 v18, 0
	ds_write_b32 v18, v44 offset:4
.LBB377_237:
	s_or_b64 exec, exec, s[26:27]
	v_mov_b32_e32 v19, 0
	s_waitcnt lgkmcnt(0)
	s_barrier
	ds_read_b32 v19, v19 offset:4
	v_cndmask_b32_e64 v18, v35, v34, s[16:17]
	s_movk_i32 s16, 0x1000
	v_add_u32_e64 v20, s16, 0
	s_waitcnt lgkmcnt(0)
	s_barrier
	ds_read2_b32 v[26:27], v20 offset0:32 offset1:34
	v_cndmask_b32_e64 v18, v18, 0, s[0:1]
	v_add_u32_e32 v24, v19, v18
	v_add_u32_sdwa v22, v24, v28 dst_sel:DWORD dst_unused:UNUSED_PAD src0_sel:DWORD src1_sel:BYTE_0
	v_add_u32_sdwa v20, v22, v28 dst_sel:DWORD dst_unused:UNUSED_PAD src0_sel:DWORD src1_sel:BYTE_1
	v_add_u32_e32 v18, v20, v30
	s_waitcnt lgkmcnt(0)
	v_readfirstlane_b32 s33, v26
	v_readfirstlane_b32 s16, v27
	s_branch .LBB377_248
.LBB377_238:
                                        ; implicit-def: $vgpr18
                                        ; implicit-def: $vgpr20
                                        ; implicit-def: $vgpr22
                                        ; implicit-def: $vgpr24
                                        ; implicit-def: $sgpr16
                                        ; implicit-def: $sgpr33
	s_cbranch_execz .LBB377_248
; %bb.239:
	s_nop 0
	v_mov_b32_dpp v18, v33 row_shr:1 row_mask:0xf bank_mask:0xf
	v_cndmask_b32_e64 v18, v18, 0, s[14:15]
	v_add_u32_e32 v18, v18, v33
	s_nop 1
	v_mov_b32_dpp v19, v18 row_shr:2 row_mask:0xf bank_mask:0xf
	v_cndmask_b32_e64 v19, 0, v19, s[12:13]
	v_add_u32_e32 v18, v18, v19
	;; [unrolled: 4-line block ×4, first 2 shown]
	s_nop 1
	v_mov_b32_dpp v19, v18 row_bcast:15 row_mask:0xf bank_mask:0xf
	v_cndmask_b32_e64 v19, v19, 0, s[6:7]
	v_add_u32_e32 v18, v18, v19
	s_nop 1
	v_mov_b32_dpp v19, v18 row_bcast:31 row_mask:0xf bank_mask:0xf
	v_cndmask_b32_e64 v19, 0, v19, s[2:3]
	v_add_u32_e32 v18, v18, v19
	s_and_saveexec_b64 s[2:3], s[4:5]
	s_cbranch_execz .LBB377_241
; %bb.240:
	v_lshlrev_b32_e32 v19, 2, v32
	ds_write_b32 v19, v18
.LBB377_241:
	s_or_b64 exec, exec, s[2:3]
	v_cmp_gt_u32_e32 vcc, 2, v0
	s_waitcnt lgkmcnt(0)
	s_barrier
	s_and_saveexec_b64 s[2:3], vcc
	s_cbranch_execz .LBB377_243
; %bb.242:
	ds_read_b32 v19, v1
	v_bfe_i32 v20, v31, 0, 1
	s_waitcnt lgkmcnt(0)
	v_mov_b32_dpp v21, v19 row_shr:1 row_mask:0xf bank_mask:0xf
	v_and_b32_e32 v20, v20, v21
	v_add_u32_e32 v19, v20, v19
	ds_write_b32 v1, v19
.LBB377_243:
	s_or_b64 exec, exec, s[2:3]
	v_cmp_lt_u32_e32 vcc, 63, v0
	v_mov_b32_e32 v19, 0
	v_mov_b32_e32 v1, 0
	s_waitcnt lgkmcnt(0)
	s_barrier
	s_and_saveexec_b64 s[2:3], vcc
	s_cbranch_execz .LBB377_245
; %bb.244:
	v_lshl_add_u32 v1, v32, 2, -4
	ds_read_b32 v1, v1
.LBB377_245:
	s_or_b64 exec, exec, s[2:3]
	v_add_u32_e32 v20, -1, v31
	v_and_b32_e32 v21, 64, v31
	v_cmp_lt_i32_e32 vcc, v20, v21
	v_cndmask_b32_e32 v20, v20, v31, vcc
	s_waitcnt lgkmcnt(0)
	v_add_u32_e32 v18, v1, v18
	v_lshlrev_b32_e32 v20, 2, v20
	ds_read_b32 v19, v19 offset:4
	ds_bpermute_b32 v18, v20, v18
	s_waitcnt lgkmcnt(1)
	v_readfirstlane_b32 s33, v19
	s_and_saveexec_b64 s[2:3], s[0:1]
	s_cbranch_execz .LBB377_247
; %bb.246:
	v_mov_b32_e32 v19, 0
	v_mov_b32_e32 v20, s33
	;; [unrolled: 1-line block ×3, first 2 shown]
	global_store_dwordx2 v19, v[20:21], s[18:19] offset:512
.LBB377_247:
	s_or_b64 exec, exec, s[2:3]
	v_cmp_eq_u32_e32 vcc, 0, v31
	s_waitcnt lgkmcnt(0)
	v_cndmask_b32_e32 v1, v18, v1, vcc
	v_cndmask_b32_e64 v24, v1, 0, s[0:1]
	v_add_u32_sdwa v22, v24, v28 dst_sel:DWORD dst_unused:UNUSED_PAD src0_sel:DWORD src1_sel:BYTE_0
	v_add_u32_sdwa v20, v22, v28 dst_sel:DWORD dst_unused:UNUSED_PAD src0_sel:DWORD src1_sel:BYTE_1
	s_mov_b32 s16, 0
	v_add_u32_e32 v18, v20, v30
	s_barrier
.LBB377_248:
	s_cmpk_lt_u32 s33, 0x81
	s_cselect_b64 s[4:5], -1, 0
	v_lshrrev_b32_e32 v1, 8, v28
	s_mov_b64 s[2:3], -1
	s_and_b64 vcc, exec, s[4:5]
	s_cbranch_vccz .LBB377_262
; %bb.249:
	s_add_i32 s6, s16, s33
	v_cmp_gt_u32_e32 vcc, s6, v24
	s_or_b64 s[8:9], s[34:35], vcc
	s_and_saveexec_b64 s[2:3], s[8:9]
	s_cbranch_execz .LBB377_252
; %bb.250:
	v_and_b32_e32 v19, 1, v28
	v_cmp_eq_u32_e32 vcc, 1, v19
	s_and_b64 exec, exec, vcc
	s_cbranch_execz .LBB377_252
; %bb.251:
	s_lshl_b64 s[8:9], s[22:23], 3
	s_add_u32 s7, s28, s8
	v_mov_b32_e32 v25, 0
	s_addc_u32 s8, s29, s9
	v_lshlrev_b64 v[26:27], 3, v[24:25]
	v_mov_b32_e32 v19, s8
	v_add_co_u32_e32 v26, vcc, s7, v26
	v_addc_co_u32_e32 v27, vcc, v19, v27, vcc
	global_store_dwordx2 v[26:27], v[14:15], off
.LBB377_252:
	s_or_b64 exec, exec, s[2:3]
	v_cmp_gt_u32_e32 vcc, s6, v22
	s_or_b64 s[8:9], s[34:35], vcc
	s_and_saveexec_b64 s[2:3], s[8:9]
	s_cbranch_execz .LBB377_255
; %bb.253:
	v_and_b32_e32 v19, 1, v1
	v_cmp_eq_u32_e32 vcc, 1, v19
	s_and_b64 exec, exec, vcc
	s_cbranch_execz .LBB377_255
; %bb.254:
	s_lshl_b64 s[8:9], s[22:23], 3
	s_add_u32 s7, s28, s8
	v_mov_b32_e32 v23, 0
	s_addc_u32 s8, s29, s9
	v_lshlrev_b64 v[26:27], 3, v[22:23]
	v_mov_b32_e32 v19, s8
	v_add_co_u32_e32 v26, vcc, s7, v26
	v_addc_co_u32_e32 v27, vcc, v19, v27, vcc
	global_store_dwordx2 v[26:27], v[16:17], off
.LBB377_255:
	s_or_b64 exec, exec, s[2:3]
	v_cmp_gt_u32_e32 vcc, s6, v20
	s_or_b64 s[8:9], s[34:35], vcc
	s_and_saveexec_b64 s[2:3], s[8:9]
	s_cbranch_execz .LBB377_258
; %bb.256:
	v_mov_b32_e32 v19, 1
	v_and_b32_sdwa v19, v19, v28 dst_sel:DWORD dst_unused:UNUSED_PAD src0_sel:DWORD src1_sel:WORD_1
	v_cmp_eq_u32_e32 vcc, 1, v19
	s_and_b64 exec, exec, vcc
	s_cbranch_execz .LBB377_258
; %bb.257:
	s_lshl_b64 s[8:9], s[22:23], 3
	s_add_u32 s7, s28, s8
	v_mov_b32_e32 v21, 0
	s_addc_u32 s8, s29, s9
	v_lshlrev_b64 v[26:27], 3, v[20:21]
	v_mov_b32_e32 v19, s8
	v_add_co_u32_e32 v26, vcc, s7, v26
	v_addc_co_u32_e32 v27, vcc, v19, v27, vcc
	global_store_dwordx2 v[26:27], v[10:11], off
.LBB377_258:
	s_or_b64 exec, exec, s[2:3]
	v_cmp_gt_u32_e32 vcc, s6, v18
	s_or_b64 s[6:7], s[34:35], vcc
	s_and_saveexec_b64 s[2:3], s[6:7]
	s_cbranch_execz .LBB377_261
; %bb.259:
	v_and_b32_e32 v19, 1, v29
	v_cmp_eq_u32_e32 vcc, 1, v19
	s_and_b64 exec, exec, vcc
	s_cbranch_execz .LBB377_261
; %bb.260:
	s_lshl_b64 s[6:7], s[22:23], 3
	s_add_u32 s6, s28, s6
	v_mov_b32_e32 v19, 0
	s_addc_u32 s7, s29, s7
	v_lshlrev_b64 v[26:27], 3, v[18:19]
	v_mov_b32_e32 v19, s7
	v_add_co_u32_e32 v26, vcc, s6, v26
	v_addc_co_u32_e32 v27, vcc, v19, v27, vcc
	global_store_dwordx2 v[26:27], v[12:13], off
.LBB377_261:
	s_or_b64 exec, exec, s[2:3]
	s_mov_b64 s[2:3], 0
.LBB377_262:
	v_and_b32_e32 v26, 1, v28
	s_and_b64 vcc, exec, s[2:3]
	v_cmp_eq_u32_e64 s[2:3], 1, v26
	s_cbranch_vccz .LBB377_275
; %bb.263:
	s_and_saveexec_b64 s[6:7], s[2:3]
	s_cbranch_execz .LBB377_265
; %bb.264:
	v_subrev_u32_e32 v19, s16, v24
	v_lshlrev_b32_e32 v19, 3, v19
	ds_write_b64 v19, v[14:15]
.LBB377_265:
	s_or_b64 exec, exec, s[6:7]
	v_and_b32_e32 v14, 1, v1
	v_cmp_eq_u32_e32 vcc, 1, v14
	s_and_saveexec_b64 s[2:3], vcc
	s_cbranch_execz .LBB377_267
; %bb.266:
	v_subrev_u32_e32 v14, s16, v22
	v_lshlrev_b32_e32 v14, 3, v14
	ds_write_b64 v14, v[16:17]
.LBB377_267:
	s_or_b64 exec, exec, s[2:3]
	v_mov_b32_e32 v14, 1
	v_and_b32_sdwa v14, v14, v28 dst_sel:DWORD dst_unused:UNUSED_PAD src0_sel:DWORD src1_sel:WORD_1
	v_cmp_eq_u32_e32 vcc, 1, v14
	s_and_saveexec_b64 s[2:3], vcc
	s_cbranch_execz .LBB377_269
; %bb.268:
	v_subrev_u32_e32 v14, s16, v20
	v_lshlrev_b32_e32 v14, 3, v14
	ds_write_b64 v14, v[10:11]
.LBB377_269:
	s_or_b64 exec, exec, s[2:3]
	v_and_b32_e32 v10, 1, v29
	v_cmp_eq_u32_e32 vcc, 1, v10
	s_and_saveexec_b64 s[2:3], vcc
	s_cbranch_execz .LBB377_271
; %bb.270:
	v_subrev_u32_e32 v10, s16, v18
	v_lshlrev_b32_e32 v10, 3, v10
	ds_write_b64 v10, v[12:13]
.LBB377_271:
	s_or_b64 exec, exec, s[2:3]
	v_cmp_gt_u32_e32 vcc, s33, v0
	s_waitcnt lgkmcnt(0)
	s_barrier
	s_and_saveexec_b64 s[2:3], vcc
	s_cbranch_execz .LBB377_274
; %bb.272:
	s_mov_b32 s17, 0
	s_lshl_b64 s[6:7], s[16:17], 3
	s_add_u32 s8, s28, s6
	s_addc_u32 s9, s29, s7
	s_lshl_b64 s[6:7], s[22:23], 3
	s_add_u32 s8, s8, s6
	s_addc_u32 s9, s9, s7
	v_lshlrev_b32_e32 v12, 3, v0
	s_mov_b64 s[6:7], 0
	v_mov_b32_e32 v11, 0
	v_mov_b32_e32 v13, s9
	;; [unrolled: 1-line block ×3, first 2 shown]
.LBB377_273:                            ; =>This Inner Loop Header: Depth=1
	ds_read_b64 v[14:15], v12
	v_lshlrev_b64 v[16:17], 3, v[10:11]
	v_add_co_u32_e32 v16, vcc, s8, v16
	v_add_u32_e32 v10, 0x80, v10
	v_addc_co_u32_e32 v17, vcc, v13, v17, vcc
	v_cmp_le_u32_e32 vcc, s33, v10
	v_add_u32_e32 v12, 0x400, v12
	s_or_b64 s[6:7], vcc, s[6:7]
	s_waitcnt lgkmcnt(0)
	global_store_dwordx2 v[16:17], v[14:15], off
	s_andn2_b64 exec, exec, s[6:7]
	s_cbranch_execnz .LBB377_273
.LBB377_274:
	s_or_b64 exec, exec, s[2:3]
.LBB377_275:
	s_mov_b64 s[2:3], -1
	s_and_b64 vcc, exec, s[4:5]
	s_barrier
	s_cbranch_vccnz .LBB377_279
; %bb.276:
	s_and_b64 vcc, exec, s[2:3]
	s_cbranch_vccnz .LBB377_292
.LBB377_277:
	s_and_b64 s[0:1], s[0:1], s[24:25]
	s_and_saveexec_b64 s[2:3], s[0:1]
	s_cbranch_execnz .LBB377_304
.LBB377_278:
	s_endpgm
.LBB377_279:
	s_add_i32 s4, s16, s33
	v_cmp_gt_u32_e32 vcc, s4, v24
	s_or_b64 s[6:7], s[34:35], vcc
	s_and_saveexec_b64 s[2:3], s[6:7]
	s_cbranch_execz .LBB377_282
; %bb.280:
	v_cmp_eq_u32_e32 vcc, 1, v26
	s_and_b64 exec, exec, vcc
	s_cbranch_execz .LBB377_282
; %bb.281:
	s_lshl_b64 s[6:7], s[22:23], 3
	s_add_u32 s5, s30, s6
	v_mov_b32_e32 v25, 0
	s_addc_u32 s6, s31, s7
	v_lshlrev_b64 v[10:11], 3, v[24:25]
	v_mov_b32_e32 v12, s6
	v_add_co_u32_e32 v10, vcc, s5, v10
	v_addc_co_u32_e32 v11, vcc, v12, v11, vcc
	global_store_dwordx2 v[10:11], v[6:7], off
.LBB377_282:
	s_or_b64 exec, exec, s[2:3]
	v_cmp_gt_u32_e32 vcc, s4, v22
	s_or_b64 s[6:7], s[34:35], vcc
	s_and_saveexec_b64 s[2:3], s[6:7]
	s_cbranch_execz .LBB377_285
; %bb.283:
	v_and_b32_e32 v10, 1, v1
	v_cmp_eq_u32_e32 vcc, 1, v10
	s_and_b64 exec, exec, vcc
	s_cbranch_execz .LBB377_285
; %bb.284:
	s_lshl_b64 s[6:7], s[22:23], 3
	s_add_u32 s5, s30, s6
	v_mov_b32_e32 v23, 0
	s_addc_u32 s6, s31, s7
	v_lshlrev_b64 v[10:11], 3, v[22:23]
	v_mov_b32_e32 v12, s6
	v_add_co_u32_e32 v10, vcc, s5, v10
	v_addc_co_u32_e32 v11, vcc, v12, v11, vcc
	global_store_dwordx2 v[10:11], v[8:9], off
.LBB377_285:
	s_or_b64 exec, exec, s[2:3]
	v_cmp_gt_u32_e32 vcc, s4, v20
	s_or_b64 s[6:7], s[34:35], vcc
	s_and_saveexec_b64 s[2:3], s[6:7]
	s_cbranch_execz .LBB377_288
; %bb.286:
	v_mov_b32_e32 v10, 1
	v_and_b32_sdwa v10, v10, v28 dst_sel:DWORD dst_unused:UNUSED_PAD src0_sel:DWORD src1_sel:WORD_1
	v_cmp_eq_u32_e32 vcc, 1, v10
	s_and_b64 exec, exec, vcc
	s_cbranch_execz .LBB377_288
; %bb.287:
	s_lshl_b64 s[6:7], s[22:23], 3
	s_add_u32 s5, s30, s6
	v_mov_b32_e32 v21, 0
	s_addc_u32 s6, s31, s7
	v_lshlrev_b64 v[10:11], 3, v[20:21]
	v_mov_b32_e32 v12, s6
	v_add_co_u32_e32 v10, vcc, s5, v10
	v_addc_co_u32_e32 v11, vcc, v12, v11, vcc
	global_store_dwordx2 v[10:11], v[2:3], off
.LBB377_288:
	s_or_b64 exec, exec, s[2:3]
	v_cmp_gt_u32_e32 vcc, s4, v18
	s_or_b64 s[4:5], s[34:35], vcc
	s_and_saveexec_b64 s[2:3], s[4:5]
	s_cbranch_execz .LBB377_291
; %bb.289:
	v_and_b32_e32 v10, 1, v29
	v_cmp_eq_u32_e32 vcc, 1, v10
	s_and_b64 exec, exec, vcc
	s_cbranch_execz .LBB377_291
; %bb.290:
	s_lshl_b64 s[4:5], s[22:23], 3
	s_add_u32 s4, s30, s4
	v_mov_b32_e32 v19, 0
	s_addc_u32 s5, s31, s5
	v_lshlrev_b64 v[10:11], 3, v[18:19]
	v_mov_b32_e32 v12, s5
	v_add_co_u32_e32 v10, vcc, s4, v10
	v_addc_co_u32_e32 v11, vcc, v12, v11, vcc
	global_store_dwordx2 v[10:11], v[4:5], off
.LBB377_291:
	s_or_b64 exec, exec, s[2:3]
	s_branch .LBB377_277
.LBB377_292:
	v_cmp_eq_u32_e32 vcc, 1, v26
	s_and_saveexec_b64 s[2:3], vcc
	s_cbranch_execz .LBB377_294
; %bb.293:
	v_subrev_u32_e32 v10, s16, v24
	v_lshlrev_b32_e32 v10, 3, v10
	ds_write_b64 v10, v[6:7]
.LBB377_294:
	s_or_b64 exec, exec, s[2:3]
	v_and_b32_e32 v1, 1, v1
	v_cmp_eq_u32_e32 vcc, 1, v1
	s_and_saveexec_b64 s[2:3], vcc
	s_cbranch_execz .LBB377_296
; %bb.295:
	v_subrev_u32_e32 v1, s16, v22
	v_lshlrev_b32_e32 v1, 3, v1
	ds_write_b64 v1, v[8:9]
.LBB377_296:
	s_or_b64 exec, exec, s[2:3]
	v_mov_b32_e32 v1, 1
	v_and_b32_sdwa v1, v1, v28 dst_sel:DWORD dst_unused:UNUSED_PAD src0_sel:DWORD src1_sel:WORD_1
	v_cmp_eq_u32_e32 vcc, 1, v1
	s_and_saveexec_b64 s[2:3], vcc
	s_cbranch_execz .LBB377_298
; %bb.297:
	v_subrev_u32_e32 v1, s16, v20
	v_lshlrev_b32_e32 v1, 3, v1
	ds_write_b64 v1, v[2:3]
.LBB377_298:
	s_or_b64 exec, exec, s[2:3]
	v_and_b32_e32 v1, 1, v29
	v_cmp_eq_u32_e32 vcc, 1, v1
	s_and_saveexec_b64 s[2:3], vcc
	s_cbranch_execz .LBB377_300
; %bb.299:
	v_subrev_u32_e32 v1, s16, v18
	v_lshlrev_b32_e32 v1, 3, v1
	ds_write_b64 v1, v[4:5]
.LBB377_300:
	s_or_b64 exec, exec, s[2:3]
	v_cmp_gt_u32_e32 vcc, s33, v0
	s_waitcnt lgkmcnt(0)
	s_barrier
	s_and_saveexec_b64 s[2:3], vcc
	s_cbranch_execz .LBB377_303
; %bb.301:
	s_mov_b32 s17, 0
	s_lshl_b64 s[4:5], s[16:17], 3
	s_add_u32 s6, s30, s4
	s_addc_u32 s7, s31, s5
	s_lshl_b64 s[4:5], s[22:23], 3
	s_add_u32 s6, s6, s4
	s_addc_u32 s7, s7, s5
	v_lshlrev_b32_e32 v2, 3, v0
	s_mov_b64 s[4:5], 0
	v_mov_b32_e32 v1, 0
	v_mov_b32_e32 v3, s7
.LBB377_302:                            ; =>This Inner Loop Header: Depth=1
	ds_read_b64 v[4:5], v2
	v_lshlrev_b64 v[6:7], 3, v[0:1]
	v_add_co_u32_e32 v6, vcc, s6, v6
	v_add_u32_e32 v0, 0x80, v0
	v_addc_co_u32_e32 v7, vcc, v3, v7, vcc
	v_cmp_le_u32_e32 vcc, s33, v0
	v_add_u32_e32 v2, 0x400, v2
	s_or_b64 s[4:5], vcc, s[4:5]
	s_waitcnt lgkmcnt(0)
	global_store_dwordx2 v[6:7], v[4:5], off
	s_andn2_b64 exec, exec, s[4:5]
	s_cbranch_execnz .LBB377_302
.LBB377_303:
	s_or_b64 exec, exec, s[2:3]
	s_and_b64 s[0:1], s[0:1], s[24:25]
	s_and_saveexec_b64 s[2:3], s[0:1]
	s_cbranch_execz .LBB377_278
.LBB377_304:
	s_add_u32 s0, s22, s33
	s_addc_u32 s1, s23, 0
	s_add_u32 s0, s0, s16
	s_addc_u32 s1, s1, 0
	v_mov_b32_e32 v2, 0
	v_pk_mov_b32 v[0:1], s[0:1], s[0:1] op_sel:[0,1]
	global_store_dwordx2 v2, v[0:1], s[20:21]
	s_endpgm
	.section	.rodata,"a",@progbits
	.p2align	6, 0x0
	.amdhsa_kernel _ZN7rocprim17ROCPRIM_400000_NS6detail17trampoline_kernelINS0_14default_configENS1_25partition_config_selectorILNS1_17partition_subalgoE9EllbEEZZNS1_14partition_implILS5_9ELb0ES3_jPlS8_PNS0_10empty_typeENS0_5tupleIJS8_S9_EEENSB_IJS8_SA_EEENS0_18inequality_wrapperIZN2at6native12_GLOBAL__N_124unique_dim_cuda_templateIaEESt5tupleIJNSF_6TensorESK_SK_EERKSK_lbbbEUlllE0_EEPmJS9_EEE10hipError_tPvRmT3_T4_T5_T6_T7_T9_mT8_P12ihipStream_tbDpT10_ENKUlT_T0_E_clISt17integral_constantIbLb0EES19_IbLb1EEEEDaS15_S16_EUlS15_E_NS1_11comp_targetILNS1_3genE4ELNS1_11target_archE910ELNS1_3gpuE8ELNS1_3repE0EEENS1_30default_config_static_selectorELNS0_4arch9wavefront6targetE1EEEvT1_
		.amdhsa_group_segment_fixed_size 4236
		.amdhsa_private_segment_fixed_size 0
		.amdhsa_kernarg_size 136
		.amdhsa_user_sgpr_count 6
		.amdhsa_user_sgpr_private_segment_buffer 1
		.amdhsa_user_sgpr_dispatch_ptr 0
		.amdhsa_user_sgpr_queue_ptr 0
		.amdhsa_user_sgpr_kernarg_segment_ptr 1
		.amdhsa_user_sgpr_dispatch_id 0
		.amdhsa_user_sgpr_flat_scratch_init 0
		.amdhsa_user_sgpr_kernarg_preload_length 0
		.amdhsa_user_sgpr_kernarg_preload_offset 0
		.amdhsa_user_sgpr_private_segment_size 0
		.amdhsa_uses_dynamic_stack 0
		.amdhsa_system_sgpr_private_segment_wavefront_offset 0
		.amdhsa_system_sgpr_workgroup_id_x 1
		.amdhsa_system_sgpr_workgroup_id_y 0
		.amdhsa_system_sgpr_workgroup_id_z 0
		.amdhsa_system_sgpr_workgroup_info 0
		.amdhsa_system_vgpr_workitem_id 0
		.amdhsa_next_free_vgpr 50
		.amdhsa_next_free_sgpr 52
		.amdhsa_accum_offset 52
		.amdhsa_reserve_vcc 1
		.amdhsa_reserve_flat_scratch 0
		.amdhsa_float_round_mode_32 0
		.amdhsa_float_round_mode_16_64 0
		.amdhsa_float_denorm_mode_32 3
		.amdhsa_float_denorm_mode_16_64 3
		.amdhsa_dx10_clamp 1
		.amdhsa_ieee_mode 1
		.amdhsa_fp16_overflow 0
		.amdhsa_tg_split 0
		.amdhsa_exception_fp_ieee_invalid_op 0
		.amdhsa_exception_fp_denorm_src 0
		.amdhsa_exception_fp_ieee_div_zero 0
		.amdhsa_exception_fp_ieee_overflow 0
		.amdhsa_exception_fp_ieee_underflow 0
		.amdhsa_exception_fp_ieee_inexact 0
		.amdhsa_exception_int_div_zero 0
	.end_amdhsa_kernel
	.section	.text._ZN7rocprim17ROCPRIM_400000_NS6detail17trampoline_kernelINS0_14default_configENS1_25partition_config_selectorILNS1_17partition_subalgoE9EllbEEZZNS1_14partition_implILS5_9ELb0ES3_jPlS8_PNS0_10empty_typeENS0_5tupleIJS8_S9_EEENSB_IJS8_SA_EEENS0_18inequality_wrapperIZN2at6native12_GLOBAL__N_124unique_dim_cuda_templateIaEESt5tupleIJNSF_6TensorESK_SK_EERKSK_lbbbEUlllE0_EEPmJS9_EEE10hipError_tPvRmT3_T4_T5_T6_T7_T9_mT8_P12ihipStream_tbDpT10_ENKUlT_T0_E_clISt17integral_constantIbLb0EES19_IbLb1EEEEDaS15_S16_EUlS15_E_NS1_11comp_targetILNS1_3genE4ELNS1_11target_archE910ELNS1_3gpuE8ELNS1_3repE0EEENS1_30default_config_static_selectorELNS0_4arch9wavefront6targetE1EEEvT1_,"axG",@progbits,_ZN7rocprim17ROCPRIM_400000_NS6detail17trampoline_kernelINS0_14default_configENS1_25partition_config_selectorILNS1_17partition_subalgoE9EllbEEZZNS1_14partition_implILS5_9ELb0ES3_jPlS8_PNS0_10empty_typeENS0_5tupleIJS8_S9_EEENSB_IJS8_SA_EEENS0_18inequality_wrapperIZN2at6native12_GLOBAL__N_124unique_dim_cuda_templateIaEESt5tupleIJNSF_6TensorESK_SK_EERKSK_lbbbEUlllE0_EEPmJS9_EEE10hipError_tPvRmT3_T4_T5_T6_T7_T9_mT8_P12ihipStream_tbDpT10_ENKUlT_T0_E_clISt17integral_constantIbLb0EES19_IbLb1EEEEDaS15_S16_EUlS15_E_NS1_11comp_targetILNS1_3genE4ELNS1_11target_archE910ELNS1_3gpuE8ELNS1_3repE0EEENS1_30default_config_static_selectorELNS0_4arch9wavefront6targetE1EEEvT1_,comdat
.Lfunc_end377:
	.size	_ZN7rocprim17ROCPRIM_400000_NS6detail17trampoline_kernelINS0_14default_configENS1_25partition_config_selectorILNS1_17partition_subalgoE9EllbEEZZNS1_14partition_implILS5_9ELb0ES3_jPlS8_PNS0_10empty_typeENS0_5tupleIJS8_S9_EEENSB_IJS8_SA_EEENS0_18inequality_wrapperIZN2at6native12_GLOBAL__N_124unique_dim_cuda_templateIaEESt5tupleIJNSF_6TensorESK_SK_EERKSK_lbbbEUlllE0_EEPmJS9_EEE10hipError_tPvRmT3_T4_T5_T6_T7_T9_mT8_P12ihipStream_tbDpT10_ENKUlT_T0_E_clISt17integral_constantIbLb0EES19_IbLb1EEEEDaS15_S16_EUlS15_E_NS1_11comp_targetILNS1_3genE4ELNS1_11target_archE910ELNS1_3gpuE8ELNS1_3repE0EEENS1_30default_config_static_selectorELNS0_4arch9wavefront6targetE1EEEvT1_, .Lfunc_end377-_ZN7rocprim17ROCPRIM_400000_NS6detail17trampoline_kernelINS0_14default_configENS1_25partition_config_selectorILNS1_17partition_subalgoE9EllbEEZZNS1_14partition_implILS5_9ELb0ES3_jPlS8_PNS0_10empty_typeENS0_5tupleIJS8_S9_EEENSB_IJS8_SA_EEENS0_18inequality_wrapperIZN2at6native12_GLOBAL__N_124unique_dim_cuda_templateIaEESt5tupleIJNSF_6TensorESK_SK_EERKSK_lbbbEUlllE0_EEPmJS9_EEE10hipError_tPvRmT3_T4_T5_T6_T7_T9_mT8_P12ihipStream_tbDpT10_ENKUlT_T0_E_clISt17integral_constantIbLb0EES19_IbLb1EEEEDaS15_S16_EUlS15_E_NS1_11comp_targetILNS1_3genE4ELNS1_11target_archE910ELNS1_3gpuE8ELNS1_3repE0EEENS1_30default_config_static_selectorELNS0_4arch9wavefront6targetE1EEEvT1_
                                        ; -- End function
	.section	.AMDGPU.csdata,"",@progbits
; Kernel info:
; codeLenInByte = 9576
; NumSgprs: 56
; NumVgprs: 50
; NumAgprs: 0
; TotalNumVgprs: 50
; ScratchSize: 0
; MemoryBound: 0
; FloatMode: 240
; IeeeMode: 1
; LDSByteSize: 4236 bytes/workgroup (compile time only)
; SGPRBlocks: 6
; VGPRBlocks: 6
; NumSGPRsForWavesPerEU: 56
; NumVGPRsForWavesPerEU: 50
; AccumOffset: 52
; Occupancy: 8
; WaveLimiterHint : 1
; COMPUTE_PGM_RSRC2:SCRATCH_EN: 0
; COMPUTE_PGM_RSRC2:USER_SGPR: 6
; COMPUTE_PGM_RSRC2:TRAP_HANDLER: 0
; COMPUTE_PGM_RSRC2:TGID_X_EN: 1
; COMPUTE_PGM_RSRC2:TGID_Y_EN: 0
; COMPUTE_PGM_RSRC2:TGID_Z_EN: 0
; COMPUTE_PGM_RSRC2:TIDIG_COMP_CNT: 0
; COMPUTE_PGM_RSRC3_GFX90A:ACCUM_OFFSET: 12
; COMPUTE_PGM_RSRC3_GFX90A:TG_SPLIT: 0
	.section	.text._ZN7rocprim17ROCPRIM_400000_NS6detail17trampoline_kernelINS0_14default_configENS1_25partition_config_selectorILNS1_17partition_subalgoE9EllbEEZZNS1_14partition_implILS5_9ELb0ES3_jPlS8_PNS0_10empty_typeENS0_5tupleIJS8_S9_EEENSB_IJS8_SA_EEENS0_18inequality_wrapperIZN2at6native12_GLOBAL__N_124unique_dim_cuda_templateIaEESt5tupleIJNSF_6TensorESK_SK_EERKSK_lbbbEUlllE0_EEPmJS9_EEE10hipError_tPvRmT3_T4_T5_T6_T7_T9_mT8_P12ihipStream_tbDpT10_ENKUlT_T0_E_clISt17integral_constantIbLb0EES19_IbLb1EEEEDaS15_S16_EUlS15_E_NS1_11comp_targetILNS1_3genE3ELNS1_11target_archE908ELNS1_3gpuE7ELNS1_3repE0EEENS1_30default_config_static_selectorELNS0_4arch9wavefront6targetE1EEEvT1_,"axG",@progbits,_ZN7rocprim17ROCPRIM_400000_NS6detail17trampoline_kernelINS0_14default_configENS1_25partition_config_selectorILNS1_17partition_subalgoE9EllbEEZZNS1_14partition_implILS5_9ELb0ES3_jPlS8_PNS0_10empty_typeENS0_5tupleIJS8_S9_EEENSB_IJS8_SA_EEENS0_18inequality_wrapperIZN2at6native12_GLOBAL__N_124unique_dim_cuda_templateIaEESt5tupleIJNSF_6TensorESK_SK_EERKSK_lbbbEUlllE0_EEPmJS9_EEE10hipError_tPvRmT3_T4_T5_T6_T7_T9_mT8_P12ihipStream_tbDpT10_ENKUlT_T0_E_clISt17integral_constantIbLb0EES19_IbLb1EEEEDaS15_S16_EUlS15_E_NS1_11comp_targetILNS1_3genE3ELNS1_11target_archE908ELNS1_3gpuE7ELNS1_3repE0EEENS1_30default_config_static_selectorELNS0_4arch9wavefront6targetE1EEEvT1_,comdat
	.globl	_ZN7rocprim17ROCPRIM_400000_NS6detail17trampoline_kernelINS0_14default_configENS1_25partition_config_selectorILNS1_17partition_subalgoE9EllbEEZZNS1_14partition_implILS5_9ELb0ES3_jPlS8_PNS0_10empty_typeENS0_5tupleIJS8_S9_EEENSB_IJS8_SA_EEENS0_18inequality_wrapperIZN2at6native12_GLOBAL__N_124unique_dim_cuda_templateIaEESt5tupleIJNSF_6TensorESK_SK_EERKSK_lbbbEUlllE0_EEPmJS9_EEE10hipError_tPvRmT3_T4_T5_T6_T7_T9_mT8_P12ihipStream_tbDpT10_ENKUlT_T0_E_clISt17integral_constantIbLb0EES19_IbLb1EEEEDaS15_S16_EUlS15_E_NS1_11comp_targetILNS1_3genE3ELNS1_11target_archE908ELNS1_3gpuE7ELNS1_3repE0EEENS1_30default_config_static_selectorELNS0_4arch9wavefront6targetE1EEEvT1_ ; -- Begin function _ZN7rocprim17ROCPRIM_400000_NS6detail17trampoline_kernelINS0_14default_configENS1_25partition_config_selectorILNS1_17partition_subalgoE9EllbEEZZNS1_14partition_implILS5_9ELb0ES3_jPlS8_PNS0_10empty_typeENS0_5tupleIJS8_S9_EEENSB_IJS8_SA_EEENS0_18inequality_wrapperIZN2at6native12_GLOBAL__N_124unique_dim_cuda_templateIaEESt5tupleIJNSF_6TensorESK_SK_EERKSK_lbbbEUlllE0_EEPmJS9_EEE10hipError_tPvRmT3_T4_T5_T6_T7_T9_mT8_P12ihipStream_tbDpT10_ENKUlT_T0_E_clISt17integral_constantIbLb0EES19_IbLb1EEEEDaS15_S16_EUlS15_E_NS1_11comp_targetILNS1_3genE3ELNS1_11target_archE908ELNS1_3gpuE7ELNS1_3repE0EEENS1_30default_config_static_selectorELNS0_4arch9wavefront6targetE1EEEvT1_
	.p2align	8
	.type	_ZN7rocprim17ROCPRIM_400000_NS6detail17trampoline_kernelINS0_14default_configENS1_25partition_config_selectorILNS1_17partition_subalgoE9EllbEEZZNS1_14partition_implILS5_9ELb0ES3_jPlS8_PNS0_10empty_typeENS0_5tupleIJS8_S9_EEENSB_IJS8_SA_EEENS0_18inequality_wrapperIZN2at6native12_GLOBAL__N_124unique_dim_cuda_templateIaEESt5tupleIJNSF_6TensorESK_SK_EERKSK_lbbbEUlllE0_EEPmJS9_EEE10hipError_tPvRmT3_T4_T5_T6_T7_T9_mT8_P12ihipStream_tbDpT10_ENKUlT_T0_E_clISt17integral_constantIbLb0EES19_IbLb1EEEEDaS15_S16_EUlS15_E_NS1_11comp_targetILNS1_3genE3ELNS1_11target_archE908ELNS1_3gpuE7ELNS1_3repE0EEENS1_30default_config_static_selectorELNS0_4arch9wavefront6targetE1EEEvT1_,@function
_ZN7rocprim17ROCPRIM_400000_NS6detail17trampoline_kernelINS0_14default_configENS1_25partition_config_selectorILNS1_17partition_subalgoE9EllbEEZZNS1_14partition_implILS5_9ELb0ES3_jPlS8_PNS0_10empty_typeENS0_5tupleIJS8_S9_EEENSB_IJS8_SA_EEENS0_18inequality_wrapperIZN2at6native12_GLOBAL__N_124unique_dim_cuda_templateIaEESt5tupleIJNSF_6TensorESK_SK_EERKSK_lbbbEUlllE0_EEPmJS9_EEE10hipError_tPvRmT3_T4_T5_T6_T7_T9_mT8_P12ihipStream_tbDpT10_ENKUlT_T0_E_clISt17integral_constantIbLb0EES19_IbLb1EEEEDaS15_S16_EUlS15_E_NS1_11comp_targetILNS1_3genE3ELNS1_11target_archE908ELNS1_3gpuE7ELNS1_3repE0EEENS1_30default_config_static_selectorELNS0_4arch9wavefront6targetE1EEEvT1_: ; @_ZN7rocprim17ROCPRIM_400000_NS6detail17trampoline_kernelINS0_14default_configENS1_25partition_config_selectorILNS1_17partition_subalgoE9EllbEEZZNS1_14partition_implILS5_9ELb0ES3_jPlS8_PNS0_10empty_typeENS0_5tupleIJS8_S9_EEENSB_IJS8_SA_EEENS0_18inequality_wrapperIZN2at6native12_GLOBAL__N_124unique_dim_cuda_templateIaEESt5tupleIJNSF_6TensorESK_SK_EERKSK_lbbbEUlllE0_EEPmJS9_EEE10hipError_tPvRmT3_T4_T5_T6_T7_T9_mT8_P12ihipStream_tbDpT10_ENKUlT_T0_E_clISt17integral_constantIbLb0EES19_IbLb1EEEEDaS15_S16_EUlS15_E_NS1_11comp_targetILNS1_3genE3ELNS1_11target_archE908ELNS1_3gpuE7ELNS1_3repE0EEENS1_30default_config_static_selectorELNS0_4arch9wavefront6targetE1EEEvT1_
; %bb.0:
	.section	.rodata,"a",@progbits
	.p2align	6, 0x0
	.amdhsa_kernel _ZN7rocprim17ROCPRIM_400000_NS6detail17trampoline_kernelINS0_14default_configENS1_25partition_config_selectorILNS1_17partition_subalgoE9EllbEEZZNS1_14partition_implILS5_9ELb0ES3_jPlS8_PNS0_10empty_typeENS0_5tupleIJS8_S9_EEENSB_IJS8_SA_EEENS0_18inequality_wrapperIZN2at6native12_GLOBAL__N_124unique_dim_cuda_templateIaEESt5tupleIJNSF_6TensorESK_SK_EERKSK_lbbbEUlllE0_EEPmJS9_EEE10hipError_tPvRmT3_T4_T5_T6_T7_T9_mT8_P12ihipStream_tbDpT10_ENKUlT_T0_E_clISt17integral_constantIbLb0EES19_IbLb1EEEEDaS15_S16_EUlS15_E_NS1_11comp_targetILNS1_3genE3ELNS1_11target_archE908ELNS1_3gpuE7ELNS1_3repE0EEENS1_30default_config_static_selectorELNS0_4arch9wavefront6targetE1EEEvT1_
		.amdhsa_group_segment_fixed_size 0
		.amdhsa_private_segment_fixed_size 0
		.amdhsa_kernarg_size 136
		.amdhsa_user_sgpr_count 6
		.amdhsa_user_sgpr_private_segment_buffer 1
		.amdhsa_user_sgpr_dispatch_ptr 0
		.amdhsa_user_sgpr_queue_ptr 0
		.amdhsa_user_sgpr_kernarg_segment_ptr 1
		.amdhsa_user_sgpr_dispatch_id 0
		.amdhsa_user_sgpr_flat_scratch_init 0
		.amdhsa_user_sgpr_kernarg_preload_length 0
		.amdhsa_user_sgpr_kernarg_preload_offset 0
		.amdhsa_user_sgpr_private_segment_size 0
		.amdhsa_uses_dynamic_stack 0
		.amdhsa_system_sgpr_private_segment_wavefront_offset 0
		.amdhsa_system_sgpr_workgroup_id_x 1
		.amdhsa_system_sgpr_workgroup_id_y 0
		.amdhsa_system_sgpr_workgroup_id_z 0
		.amdhsa_system_sgpr_workgroup_info 0
		.amdhsa_system_vgpr_workitem_id 0
		.amdhsa_next_free_vgpr 1
		.amdhsa_next_free_sgpr 0
		.amdhsa_accum_offset 4
		.amdhsa_reserve_vcc 0
		.amdhsa_reserve_flat_scratch 0
		.amdhsa_float_round_mode_32 0
		.amdhsa_float_round_mode_16_64 0
		.amdhsa_float_denorm_mode_32 3
		.amdhsa_float_denorm_mode_16_64 3
		.amdhsa_dx10_clamp 1
		.amdhsa_ieee_mode 1
		.amdhsa_fp16_overflow 0
		.amdhsa_tg_split 0
		.amdhsa_exception_fp_ieee_invalid_op 0
		.amdhsa_exception_fp_denorm_src 0
		.amdhsa_exception_fp_ieee_div_zero 0
		.amdhsa_exception_fp_ieee_overflow 0
		.amdhsa_exception_fp_ieee_underflow 0
		.amdhsa_exception_fp_ieee_inexact 0
		.amdhsa_exception_int_div_zero 0
	.end_amdhsa_kernel
	.section	.text._ZN7rocprim17ROCPRIM_400000_NS6detail17trampoline_kernelINS0_14default_configENS1_25partition_config_selectorILNS1_17partition_subalgoE9EllbEEZZNS1_14partition_implILS5_9ELb0ES3_jPlS8_PNS0_10empty_typeENS0_5tupleIJS8_S9_EEENSB_IJS8_SA_EEENS0_18inequality_wrapperIZN2at6native12_GLOBAL__N_124unique_dim_cuda_templateIaEESt5tupleIJNSF_6TensorESK_SK_EERKSK_lbbbEUlllE0_EEPmJS9_EEE10hipError_tPvRmT3_T4_T5_T6_T7_T9_mT8_P12ihipStream_tbDpT10_ENKUlT_T0_E_clISt17integral_constantIbLb0EES19_IbLb1EEEEDaS15_S16_EUlS15_E_NS1_11comp_targetILNS1_3genE3ELNS1_11target_archE908ELNS1_3gpuE7ELNS1_3repE0EEENS1_30default_config_static_selectorELNS0_4arch9wavefront6targetE1EEEvT1_,"axG",@progbits,_ZN7rocprim17ROCPRIM_400000_NS6detail17trampoline_kernelINS0_14default_configENS1_25partition_config_selectorILNS1_17partition_subalgoE9EllbEEZZNS1_14partition_implILS5_9ELb0ES3_jPlS8_PNS0_10empty_typeENS0_5tupleIJS8_S9_EEENSB_IJS8_SA_EEENS0_18inequality_wrapperIZN2at6native12_GLOBAL__N_124unique_dim_cuda_templateIaEESt5tupleIJNSF_6TensorESK_SK_EERKSK_lbbbEUlllE0_EEPmJS9_EEE10hipError_tPvRmT3_T4_T5_T6_T7_T9_mT8_P12ihipStream_tbDpT10_ENKUlT_T0_E_clISt17integral_constantIbLb0EES19_IbLb1EEEEDaS15_S16_EUlS15_E_NS1_11comp_targetILNS1_3genE3ELNS1_11target_archE908ELNS1_3gpuE7ELNS1_3repE0EEENS1_30default_config_static_selectorELNS0_4arch9wavefront6targetE1EEEvT1_,comdat
.Lfunc_end378:
	.size	_ZN7rocprim17ROCPRIM_400000_NS6detail17trampoline_kernelINS0_14default_configENS1_25partition_config_selectorILNS1_17partition_subalgoE9EllbEEZZNS1_14partition_implILS5_9ELb0ES3_jPlS8_PNS0_10empty_typeENS0_5tupleIJS8_S9_EEENSB_IJS8_SA_EEENS0_18inequality_wrapperIZN2at6native12_GLOBAL__N_124unique_dim_cuda_templateIaEESt5tupleIJNSF_6TensorESK_SK_EERKSK_lbbbEUlllE0_EEPmJS9_EEE10hipError_tPvRmT3_T4_T5_T6_T7_T9_mT8_P12ihipStream_tbDpT10_ENKUlT_T0_E_clISt17integral_constantIbLb0EES19_IbLb1EEEEDaS15_S16_EUlS15_E_NS1_11comp_targetILNS1_3genE3ELNS1_11target_archE908ELNS1_3gpuE7ELNS1_3repE0EEENS1_30default_config_static_selectorELNS0_4arch9wavefront6targetE1EEEvT1_, .Lfunc_end378-_ZN7rocprim17ROCPRIM_400000_NS6detail17trampoline_kernelINS0_14default_configENS1_25partition_config_selectorILNS1_17partition_subalgoE9EllbEEZZNS1_14partition_implILS5_9ELb0ES3_jPlS8_PNS0_10empty_typeENS0_5tupleIJS8_S9_EEENSB_IJS8_SA_EEENS0_18inequality_wrapperIZN2at6native12_GLOBAL__N_124unique_dim_cuda_templateIaEESt5tupleIJNSF_6TensorESK_SK_EERKSK_lbbbEUlllE0_EEPmJS9_EEE10hipError_tPvRmT3_T4_T5_T6_T7_T9_mT8_P12ihipStream_tbDpT10_ENKUlT_T0_E_clISt17integral_constantIbLb0EES19_IbLb1EEEEDaS15_S16_EUlS15_E_NS1_11comp_targetILNS1_3genE3ELNS1_11target_archE908ELNS1_3gpuE7ELNS1_3repE0EEENS1_30default_config_static_selectorELNS0_4arch9wavefront6targetE1EEEvT1_
                                        ; -- End function
	.section	.AMDGPU.csdata,"",@progbits
; Kernel info:
; codeLenInByte = 0
; NumSgprs: 4
; NumVgprs: 0
; NumAgprs: 0
; TotalNumVgprs: 0
; ScratchSize: 0
; MemoryBound: 0
; FloatMode: 240
; IeeeMode: 1
; LDSByteSize: 0 bytes/workgroup (compile time only)
; SGPRBlocks: 0
; VGPRBlocks: 0
; NumSGPRsForWavesPerEU: 4
; NumVGPRsForWavesPerEU: 1
; AccumOffset: 4
; Occupancy: 8
; WaveLimiterHint : 0
; COMPUTE_PGM_RSRC2:SCRATCH_EN: 0
; COMPUTE_PGM_RSRC2:USER_SGPR: 6
; COMPUTE_PGM_RSRC2:TRAP_HANDLER: 0
; COMPUTE_PGM_RSRC2:TGID_X_EN: 1
; COMPUTE_PGM_RSRC2:TGID_Y_EN: 0
; COMPUTE_PGM_RSRC2:TGID_Z_EN: 0
; COMPUTE_PGM_RSRC2:TIDIG_COMP_CNT: 0
; COMPUTE_PGM_RSRC3_GFX90A:ACCUM_OFFSET: 0
; COMPUTE_PGM_RSRC3_GFX90A:TG_SPLIT: 0
	.section	.text._ZN7rocprim17ROCPRIM_400000_NS6detail17trampoline_kernelINS0_14default_configENS1_25partition_config_selectorILNS1_17partition_subalgoE9EllbEEZZNS1_14partition_implILS5_9ELb0ES3_jPlS8_PNS0_10empty_typeENS0_5tupleIJS8_S9_EEENSB_IJS8_SA_EEENS0_18inequality_wrapperIZN2at6native12_GLOBAL__N_124unique_dim_cuda_templateIaEESt5tupleIJNSF_6TensorESK_SK_EERKSK_lbbbEUlllE0_EEPmJS9_EEE10hipError_tPvRmT3_T4_T5_T6_T7_T9_mT8_P12ihipStream_tbDpT10_ENKUlT_T0_E_clISt17integral_constantIbLb0EES19_IbLb1EEEEDaS15_S16_EUlS15_E_NS1_11comp_targetILNS1_3genE2ELNS1_11target_archE906ELNS1_3gpuE6ELNS1_3repE0EEENS1_30default_config_static_selectorELNS0_4arch9wavefront6targetE1EEEvT1_,"axG",@progbits,_ZN7rocprim17ROCPRIM_400000_NS6detail17trampoline_kernelINS0_14default_configENS1_25partition_config_selectorILNS1_17partition_subalgoE9EllbEEZZNS1_14partition_implILS5_9ELb0ES3_jPlS8_PNS0_10empty_typeENS0_5tupleIJS8_S9_EEENSB_IJS8_SA_EEENS0_18inequality_wrapperIZN2at6native12_GLOBAL__N_124unique_dim_cuda_templateIaEESt5tupleIJNSF_6TensorESK_SK_EERKSK_lbbbEUlllE0_EEPmJS9_EEE10hipError_tPvRmT3_T4_T5_T6_T7_T9_mT8_P12ihipStream_tbDpT10_ENKUlT_T0_E_clISt17integral_constantIbLb0EES19_IbLb1EEEEDaS15_S16_EUlS15_E_NS1_11comp_targetILNS1_3genE2ELNS1_11target_archE906ELNS1_3gpuE6ELNS1_3repE0EEENS1_30default_config_static_selectorELNS0_4arch9wavefront6targetE1EEEvT1_,comdat
	.globl	_ZN7rocprim17ROCPRIM_400000_NS6detail17trampoline_kernelINS0_14default_configENS1_25partition_config_selectorILNS1_17partition_subalgoE9EllbEEZZNS1_14partition_implILS5_9ELb0ES3_jPlS8_PNS0_10empty_typeENS0_5tupleIJS8_S9_EEENSB_IJS8_SA_EEENS0_18inequality_wrapperIZN2at6native12_GLOBAL__N_124unique_dim_cuda_templateIaEESt5tupleIJNSF_6TensorESK_SK_EERKSK_lbbbEUlllE0_EEPmJS9_EEE10hipError_tPvRmT3_T4_T5_T6_T7_T9_mT8_P12ihipStream_tbDpT10_ENKUlT_T0_E_clISt17integral_constantIbLb0EES19_IbLb1EEEEDaS15_S16_EUlS15_E_NS1_11comp_targetILNS1_3genE2ELNS1_11target_archE906ELNS1_3gpuE6ELNS1_3repE0EEENS1_30default_config_static_selectorELNS0_4arch9wavefront6targetE1EEEvT1_ ; -- Begin function _ZN7rocprim17ROCPRIM_400000_NS6detail17trampoline_kernelINS0_14default_configENS1_25partition_config_selectorILNS1_17partition_subalgoE9EllbEEZZNS1_14partition_implILS5_9ELb0ES3_jPlS8_PNS0_10empty_typeENS0_5tupleIJS8_S9_EEENSB_IJS8_SA_EEENS0_18inequality_wrapperIZN2at6native12_GLOBAL__N_124unique_dim_cuda_templateIaEESt5tupleIJNSF_6TensorESK_SK_EERKSK_lbbbEUlllE0_EEPmJS9_EEE10hipError_tPvRmT3_T4_T5_T6_T7_T9_mT8_P12ihipStream_tbDpT10_ENKUlT_T0_E_clISt17integral_constantIbLb0EES19_IbLb1EEEEDaS15_S16_EUlS15_E_NS1_11comp_targetILNS1_3genE2ELNS1_11target_archE906ELNS1_3gpuE6ELNS1_3repE0EEENS1_30default_config_static_selectorELNS0_4arch9wavefront6targetE1EEEvT1_
	.p2align	8
	.type	_ZN7rocprim17ROCPRIM_400000_NS6detail17trampoline_kernelINS0_14default_configENS1_25partition_config_selectorILNS1_17partition_subalgoE9EllbEEZZNS1_14partition_implILS5_9ELb0ES3_jPlS8_PNS0_10empty_typeENS0_5tupleIJS8_S9_EEENSB_IJS8_SA_EEENS0_18inequality_wrapperIZN2at6native12_GLOBAL__N_124unique_dim_cuda_templateIaEESt5tupleIJNSF_6TensorESK_SK_EERKSK_lbbbEUlllE0_EEPmJS9_EEE10hipError_tPvRmT3_T4_T5_T6_T7_T9_mT8_P12ihipStream_tbDpT10_ENKUlT_T0_E_clISt17integral_constantIbLb0EES19_IbLb1EEEEDaS15_S16_EUlS15_E_NS1_11comp_targetILNS1_3genE2ELNS1_11target_archE906ELNS1_3gpuE6ELNS1_3repE0EEENS1_30default_config_static_selectorELNS0_4arch9wavefront6targetE1EEEvT1_,@function
_ZN7rocprim17ROCPRIM_400000_NS6detail17trampoline_kernelINS0_14default_configENS1_25partition_config_selectorILNS1_17partition_subalgoE9EllbEEZZNS1_14partition_implILS5_9ELb0ES3_jPlS8_PNS0_10empty_typeENS0_5tupleIJS8_S9_EEENSB_IJS8_SA_EEENS0_18inequality_wrapperIZN2at6native12_GLOBAL__N_124unique_dim_cuda_templateIaEESt5tupleIJNSF_6TensorESK_SK_EERKSK_lbbbEUlllE0_EEPmJS9_EEE10hipError_tPvRmT3_T4_T5_T6_T7_T9_mT8_P12ihipStream_tbDpT10_ENKUlT_T0_E_clISt17integral_constantIbLb0EES19_IbLb1EEEEDaS15_S16_EUlS15_E_NS1_11comp_targetILNS1_3genE2ELNS1_11target_archE906ELNS1_3gpuE6ELNS1_3repE0EEENS1_30default_config_static_selectorELNS0_4arch9wavefront6targetE1EEEvT1_: ; @_ZN7rocprim17ROCPRIM_400000_NS6detail17trampoline_kernelINS0_14default_configENS1_25partition_config_selectorILNS1_17partition_subalgoE9EllbEEZZNS1_14partition_implILS5_9ELb0ES3_jPlS8_PNS0_10empty_typeENS0_5tupleIJS8_S9_EEENSB_IJS8_SA_EEENS0_18inequality_wrapperIZN2at6native12_GLOBAL__N_124unique_dim_cuda_templateIaEESt5tupleIJNSF_6TensorESK_SK_EERKSK_lbbbEUlllE0_EEPmJS9_EEE10hipError_tPvRmT3_T4_T5_T6_T7_T9_mT8_P12ihipStream_tbDpT10_ENKUlT_T0_E_clISt17integral_constantIbLb0EES19_IbLb1EEEEDaS15_S16_EUlS15_E_NS1_11comp_targetILNS1_3genE2ELNS1_11target_archE906ELNS1_3gpuE6ELNS1_3repE0EEENS1_30default_config_static_selectorELNS0_4arch9wavefront6targetE1EEEvT1_
; %bb.0:
	.section	.rodata,"a",@progbits
	.p2align	6, 0x0
	.amdhsa_kernel _ZN7rocprim17ROCPRIM_400000_NS6detail17trampoline_kernelINS0_14default_configENS1_25partition_config_selectorILNS1_17partition_subalgoE9EllbEEZZNS1_14partition_implILS5_9ELb0ES3_jPlS8_PNS0_10empty_typeENS0_5tupleIJS8_S9_EEENSB_IJS8_SA_EEENS0_18inequality_wrapperIZN2at6native12_GLOBAL__N_124unique_dim_cuda_templateIaEESt5tupleIJNSF_6TensorESK_SK_EERKSK_lbbbEUlllE0_EEPmJS9_EEE10hipError_tPvRmT3_T4_T5_T6_T7_T9_mT8_P12ihipStream_tbDpT10_ENKUlT_T0_E_clISt17integral_constantIbLb0EES19_IbLb1EEEEDaS15_S16_EUlS15_E_NS1_11comp_targetILNS1_3genE2ELNS1_11target_archE906ELNS1_3gpuE6ELNS1_3repE0EEENS1_30default_config_static_selectorELNS0_4arch9wavefront6targetE1EEEvT1_
		.amdhsa_group_segment_fixed_size 0
		.amdhsa_private_segment_fixed_size 0
		.amdhsa_kernarg_size 136
		.amdhsa_user_sgpr_count 6
		.amdhsa_user_sgpr_private_segment_buffer 1
		.amdhsa_user_sgpr_dispatch_ptr 0
		.amdhsa_user_sgpr_queue_ptr 0
		.amdhsa_user_sgpr_kernarg_segment_ptr 1
		.amdhsa_user_sgpr_dispatch_id 0
		.amdhsa_user_sgpr_flat_scratch_init 0
		.amdhsa_user_sgpr_kernarg_preload_length 0
		.amdhsa_user_sgpr_kernarg_preload_offset 0
		.amdhsa_user_sgpr_private_segment_size 0
		.amdhsa_uses_dynamic_stack 0
		.amdhsa_system_sgpr_private_segment_wavefront_offset 0
		.amdhsa_system_sgpr_workgroup_id_x 1
		.amdhsa_system_sgpr_workgroup_id_y 0
		.amdhsa_system_sgpr_workgroup_id_z 0
		.amdhsa_system_sgpr_workgroup_info 0
		.amdhsa_system_vgpr_workitem_id 0
		.amdhsa_next_free_vgpr 1
		.amdhsa_next_free_sgpr 0
		.amdhsa_accum_offset 4
		.amdhsa_reserve_vcc 0
		.amdhsa_reserve_flat_scratch 0
		.amdhsa_float_round_mode_32 0
		.amdhsa_float_round_mode_16_64 0
		.amdhsa_float_denorm_mode_32 3
		.amdhsa_float_denorm_mode_16_64 3
		.amdhsa_dx10_clamp 1
		.amdhsa_ieee_mode 1
		.amdhsa_fp16_overflow 0
		.amdhsa_tg_split 0
		.amdhsa_exception_fp_ieee_invalid_op 0
		.amdhsa_exception_fp_denorm_src 0
		.amdhsa_exception_fp_ieee_div_zero 0
		.amdhsa_exception_fp_ieee_overflow 0
		.amdhsa_exception_fp_ieee_underflow 0
		.amdhsa_exception_fp_ieee_inexact 0
		.amdhsa_exception_int_div_zero 0
	.end_amdhsa_kernel
	.section	.text._ZN7rocprim17ROCPRIM_400000_NS6detail17trampoline_kernelINS0_14default_configENS1_25partition_config_selectorILNS1_17partition_subalgoE9EllbEEZZNS1_14partition_implILS5_9ELb0ES3_jPlS8_PNS0_10empty_typeENS0_5tupleIJS8_S9_EEENSB_IJS8_SA_EEENS0_18inequality_wrapperIZN2at6native12_GLOBAL__N_124unique_dim_cuda_templateIaEESt5tupleIJNSF_6TensorESK_SK_EERKSK_lbbbEUlllE0_EEPmJS9_EEE10hipError_tPvRmT3_T4_T5_T6_T7_T9_mT8_P12ihipStream_tbDpT10_ENKUlT_T0_E_clISt17integral_constantIbLb0EES19_IbLb1EEEEDaS15_S16_EUlS15_E_NS1_11comp_targetILNS1_3genE2ELNS1_11target_archE906ELNS1_3gpuE6ELNS1_3repE0EEENS1_30default_config_static_selectorELNS0_4arch9wavefront6targetE1EEEvT1_,"axG",@progbits,_ZN7rocprim17ROCPRIM_400000_NS6detail17trampoline_kernelINS0_14default_configENS1_25partition_config_selectorILNS1_17partition_subalgoE9EllbEEZZNS1_14partition_implILS5_9ELb0ES3_jPlS8_PNS0_10empty_typeENS0_5tupleIJS8_S9_EEENSB_IJS8_SA_EEENS0_18inequality_wrapperIZN2at6native12_GLOBAL__N_124unique_dim_cuda_templateIaEESt5tupleIJNSF_6TensorESK_SK_EERKSK_lbbbEUlllE0_EEPmJS9_EEE10hipError_tPvRmT3_T4_T5_T6_T7_T9_mT8_P12ihipStream_tbDpT10_ENKUlT_T0_E_clISt17integral_constantIbLb0EES19_IbLb1EEEEDaS15_S16_EUlS15_E_NS1_11comp_targetILNS1_3genE2ELNS1_11target_archE906ELNS1_3gpuE6ELNS1_3repE0EEENS1_30default_config_static_selectorELNS0_4arch9wavefront6targetE1EEEvT1_,comdat
.Lfunc_end379:
	.size	_ZN7rocprim17ROCPRIM_400000_NS6detail17trampoline_kernelINS0_14default_configENS1_25partition_config_selectorILNS1_17partition_subalgoE9EllbEEZZNS1_14partition_implILS5_9ELb0ES3_jPlS8_PNS0_10empty_typeENS0_5tupleIJS8_S9_EEENSB_IJS8_SA_EEENS0_18inequality_wrapperIZN2at6native12_GLOBAL__N_124unique_dim_cuda_templateIaEESt5tupleIJNSF_6TensorESK_SK_EERKSK_lbbbEUlllE0_EEPmJS9_EEE10hipError_tPvRmT3_T4_T5_T6_T7_T9_mT8_P12ihipStream_tbDpT10_ENKUlT_T0_E_clISt17integral_constantIbLb0EES19_IbLb1EEEEDaS15_S16_EUlS15_E_NS1_11comp_targetILNS1_3genE2ELNS1_11target_archE906ELNS1_3gpuE6ELNS1_3repE0EEENS1_30default_config_static_selectorELNS0_4arch9wavefront6targetE1EEEvT1_, .Lfunc_end379-_ZN7rocprim17ROCPRIM_400000_NS6detail17trampoline_kernelINS0_14default_configENS1_25partition_config_selectorILNS1_17partition_subalgoE9EllbEEZZNS1_14partition_implILS5_9ELb0ES3_jPlS8_PNS0_10empty_typeENS0_5tupleIJS8_S9_EEENSB_IJS8_SA_EEENS0_18inequality_wrapperIZN2at6native12_GLOBAL__N_124unique_dim_cuda_templateIaEESt5tupleIJNSF_6TensorESK_SK_EERKSK_lbbbEUlllE0_EEPmJS9_EEE10hipError_tPvRmT3_T4_T5_T6_T7_T9_mT8_P12ihipStream_tbDpT10_ENKUlT_T0_E_clISt17integral_constantIbLb0EES19_IbLb1EEEEDaS15_S16_EUlS15_E_NS1_11comp_targetILNS1_3genE2ELNS1_11target_archE906ELNS1_3gpuE6ELNS1_3repE0EEENS1_30default_config_static_selectorELNS0_4arch9wavefront6targetE1EEEvT1_
                                        ; -- End function
	.section	.AMDGPU.csdata,"",@progbits
; Kernel info:
; codeLenInByte = 0
; NumSgprs: 4
; NumVgprs: 0
; NumAgprs: 0
; TotalNumVgprs: 0
; ScratchSize: 0
; MemoryBound: 0
; FloatMode: 240
; IeeeMode: 1
; LDSByteSize: 0 bytes/workgroup (compile time only)
; SGPRBlocks: 0
; VGPRBlocks: 0
; NumSGPRsForWavesPerEU: 4
; NumVGPRsForWavesPerEU: 1
; AccumOffset: 4
; Occupancy: 8
; WaveLimiterHint : 0
; COMPUTE_PGM_RSRC2:SCRATCH_EN: 0
; COMPUTE_PGM_RSRC2:USER_SGPR: 6
; COMPUTE_PGM_RSRC2:TRAP_HANDLER: 0
; COMPUTE_PGM_RSRC2:TGID_X_EN: 1
; COMPUTE_PGM_RSRC2:TGID_Y_EN: 0
; COMPUTE_PGM_RSRC2:TGID_Z_EN: 0
; COMPUTE_PGM_RSRC2:TIDIG_COMP_CNT: 0
; COMPUTE_PGM_RSRC3_GFX90A:ACCUM_OFFSET: 0
; COMPUTE_PGM_RSRC3_GFX90A:TG_SPLIT: 0
	.section	.text._ZN7rocprim17ROCPRIM_400000_NS6detail17trampoline_kernelINS0_14default_configENS1_25partition_config_selectorILNS1_17partition_subalgoE9EllbEEZZNS1_14partition_implILS5_9ELb0ES3_jPlS8_PNS0_10empty_typeENS0_5tupleIJS8_S9_EEENSB_IJS8_SA_EEENS0_18inequality_wrapperIZN2at6native12_GLOBAL__N_124unique_dim_cuda_templateIaEESt5tupleIJNSF_6TensorESK_SK_EERKSK_lbbbEUlllE0_EEPmJS9_EEE10hipError_tPvRmT3_T4_T5_T6_T7_T9_mT8_P12ihipStream_tbDpT10_ENKUlT_T0_E_clISt17integral_constantIbLb0EES19_IbLb1EEEEDaS15_S16_EUlS15_E_NS1_11comp_targetILNS1_3genE10ELNS1_11target_archE1200ELNS1_3gpuE4ELNS1_3repE0EEENS1_30default_config_static_selectorELNS0_4arch9wavefront6targetE1EEEvT1_,"axG",@progbits,_ZN7rocprim17ROCPRIM_400000_NS6detail17trampoline_kernelINS0_14default_configENS1_25partition_config_selectorILNS1_17partition_subalgoE9EllbEEZZNS1_14partition_implILS5_9ELb0ES3_jPlS8_PNS0_10empty_typeENS0_5tupleIJS8_S9_EEENSB_IJS8_SA_EEENS0_18inequality_wrapperIZN2at6native12_GLOBAL__N_124unique_dim_cuda_templateIaEESt5tupleIJNSF_6TensorESK_SK_EERKSK_lbbbEUlllE0_EEPmJS9_EEE10hipError_tPvRmT3_T4_T5_T6_T7_T9_mT8_P12ihipStream_tbDpT10_ENKUlT_T0_E_clISt17integral_constantIbLb0EES19_IbLb1EEEEDaS15_S16_EUlS15_E_NS1_11comp_targetILNS1_3genE10ELNS1_11target_archE1200ELNS1_3gpuE4ELNS1_3repE0EEENS1_30default_config_static_selectorELNS0_4arch9wavefront6targetE1EEEvT1_,comdat
	.globl	_ZN7rocprim17ROCPRIM_400000_NS6detail17trampoline_kernelINS0_14default_configENS1_25partition_config_selectorILNS1_17partition_subalgoE9EllbEEZZNS1_14partition_implILS5_9ELb0ES3_jPlS8_PNS0_10empty_typeENS0_5tupleIJS8_S9_EEENSB_IJS8_SA_EEENS0_18inequality_wrapperIZN2at6native12_GLOBAL__N_124unique_dim_cuda_templateIaEESt5tupleIJNSF_6TensorESK_SK_EERKSK_lbbbEUlllE0_EEPmJS9_EEE10hipError_tPvRmT3_T4_T5_T6_T7_T9_mT8_P12ihipStream_tbDpT10_ENKUlT_T0_E_clISt17integral_constantIbLb0EES19_IbLb1EEEEDaS15_S16_EUlS15_E_NS1_11comp_targetILNS1_3genE10ELNS1_11target_archE1200ELNS1_3gpuE4ELNS1_3repE0EEENS1_30default_config_static_selectorELNS0_4arch9wavefront6targetE1EEEvT1_ ; -- Begin function _ZN7rocprim17ROCPRIM_400000_NS6detail17trampoline_kernelINS0_14default_configENS1_25partition_config_selectorILNS1_17partition_subalgoE9EllbEEZZNS1_14partition_implILS5_9ELb0ES3_jPlS8_PNS0_10empty_typeENS0_5tupleIJS8_S9_EEENSB_IJS8_SA_EEENS0_18inequality_wrapperIZN2at6native12_GLOBAL__N_124unique_dim_cuda_templateIaEESt5tupleIJNSF_6TensorESK_SK_EERKSK_lbbbEUlllE0_EEPmJS9_EEE10hipError_tPvRmT3_T4_T5_T6_T7_T9_mT8_P12ihipStream_tbDpT10_ENKUlT_T0_E_clISt17integral_constantIbLb0EES19_IbLb1EEEEDaS15_S16_EUlS15_E_NS1_11comp_targetILNS1_3genE10ELNS1_11target_archE1200ELNS1_3gpuE4ELNS1_3repE0EEENS1_30default_config_static_selectorELNS0_4arch9wavefront6targetE1EEEvT1_
	.p2align	8
	.type	_ZN7rocprim17ROCPRIM_400000_NS6detail17trampoline_kernelINS0_14default_configENS1_25partition_config_selectorILNS1_17partition_subalgoE9EllbEEZZNS1_14partition_implILS5_9ELb0ES3_jPlS8_PNS0_10empty_typeENS0_5tupleIJS8_S9_EEENSB_IJS8_SA_EEENS0_18inequality_wrapperIZN2at6native12_GLOBAL__N_124unique_dim_cuda_templateIaEESt5tupleIJNSF_6TensorESK_SK_EERKSK_lbbbEUlllE0_EEPmJS9_EEE10hipError_tPvRmT3_T4_T5_T6_T7_T9_mT8_P12ihipStream_tbDpT10_ENKUlT_T0_E_clISt17integral_constantIbLb0EES19_IbLb1EEEEDaS15_S16_EUlS15_E_NS1_11comp_targetILNS1_3genE10ELNS1_11target_archE1200ELNS1_3gpuE4ELNS1_3repE0EEENS1_30default_config_static_selectorELNS0_4arch9wavefront6targetE1EEEvT1_,@function
_ZN7rocprim17ROCPRIM_400000_NS6detail17trampoline_kernelINS0_14default_configENS1_25partition_config_selectorILNS1_17partition_subalgoE9EllbEEZZNS1_14partition_implILS5_9ELb0ES3_jPlS8_PNS0_10empty_typeENS0_5tupleIJS8_S9_EEENSB_IJS8_SA_EEENS0_18inequality_wrapperIZN2at6native12_GLOBAL__N_124unique_dim_cuda_templateIaEESt5tupleIJNSF_6TensorESK_SK_EERKSK_lbbbEUlllE0_EEPmJS9_EEE10hipError_tPvRmT3_T4_T5_T6_T7_T9_mT8_P12ihipStream_tbDpT10_ENKUlT_T0_E_clISt17integral_constantIbLb0EES19_IbLb1EEEEDaS15_S16_EUlS15_E_NS1_11comp_targetILNS1_3genE10ELNS1_11target_archE1200ELNS1_3gpuE4ELNS1_3repE0EEENS1_30default_config_static_selectorELNS0_4arch9wavefront6targetE1EEEvT1_: ; @_ZN7rocprim17ROCPRIM_400000_NS6detail17trampoline_kernelINS0_14default_configENS1_25partition_config_selectorILNS1_17partition_subalgoE9EllbEEZZNS1_14partition_implILS5_9ELb0ES3_jPlS8_PNS0_10empty_typeENS0_5tupleIJS8_S9_EEENSB_IJS8_SA_EEENS0_18inequality_wrapperIZN2at6native12_GLOBAL__N_124unique_dim_cuda_templateIaEESt5tupleIJNSF_6TensorESK_SK_EERKSK_lbbbEUlllE0_EEPmJS9_EEE10hipError_tPvRmT3_T4_T5_T6_T7_T9_mT8_P12ihipStream_tbDpT10_ENKUlT_T0_E_clISt17integral_constantIbLb0EES19_IbLb1EEEEDaS15_S16_EUlS15_E_NS1_11comp_targetILNS1_3genE10ELNS1_11target_archE1200ELNS1_3gpuE4ELNS1_3repE0EEENS1_30default_config_static_selectorELNS0_4arch9wavefront6targetE1EEEvT1_
; %bb.0:
	.section	.rodata,"a",@progbits
	.p2align	6, 0x0
	.amdhsa_kernel _ZN7rocprim17ROCPRIM_400000_NS6detail17trampoline_kernelINS0_14default_configENS1_25partition_config_selectorILNS1_17partition_subalgoE9EllbEEZZNS1_14partition_implILS5_9ELb0ES3_jPlS8_PNS0_10empty_typeENS0_5tupleIJS8_S9_EEENSB_IJS8_SA_EEENS0_18inequality_wrapperIZN2at6native12_GLOBAL__N_124unique_dim_cuda_templateIaEESt5tupleIJNSF_6TensorESK_SK_EERKSK_lbbbEUlllE0_EEPmJS9_EEE10hipError_tPvRmT3_T4_T5_T6_T7_T9_mT8_P12ihipStream_tbDpT10_ENKUlT_T0_E_clISt17integral_constantIbLb0EES19_IbLb1EEEEDaS15_S16_EUlS15_E_NS1_11comp_targetILNS1_3genE10ELNS1_11target_archE1200ELNS1_3gpuE4ELNS1_3repE0EEENS1_30default_config_static_selectorELNS0_4arch9wavefront6targetE1EEEvT1_
		.amdhsa_group_segment_fixed_size 0
		.amdhsa_private_segment_fixed_size 0
		.amdhsa_kernarg_size 136
		.amdhsa_user_sgpr_count 6
		.amdhsa_user_sgpr_private_segment_buffer 1
		.amdhsa_user_sgpr_dispatch_ptr 0
		.amdhsa_user_sgpr_queue_ptr 0
		.amdhsa_user_sgpr_kernarg_segment_ptr 1
		.amdhsa_user_sgpr_dispatch_id 0
		.amdhsa_user_sgpr_flat_scratch_init 0
		.amdhsa_user_sgpr_kernarg_preload_length 0
		.amdhsa_user_sgpr_kernarg_preload_offset 0
		.amdhsa_user_sgpr_private_segment_size 0
		.amdhsa_uses_dynamic_stack 0
		.amdhsa_system_sgpr_private_segment_wavefront_offset 0
		.amdhsa_system_sgpr_workgroup_id_x 1
		.amdhsa_system_sgpr_workgroup_id_y 0
		.amdhsa_system_sgpr_workgroup_id_z 0
		.amdhsa_system_sgpr_workgroup_info 0
		.amdhsa_system_vgpr_workitem_id 0
		.amdhsa_next_free_vgpr 1
		.amdhsa_next_free_sgpr 0
		.amdhsa_accum_offset 4
		.amdhsa_reserve_vcc 0
		.amdhsa_reserve_flat_scratch 0
		.amdhsa_float_round_mode_32 0
		.amdhsa_float_round_mode_16_64 0
		.amdhsa_float_denorm_mode_32 3
		.amdhsa_float_denorm_mode_16_64 3
		.amdhsa_dx10_clamp 1
		.amdhsa_ieee_mode 1
		.amdhsa_fp16_overflow 0
		.amdhsa_tg_split 0
		.amdhsa_exception_fp_ieee_invalid_op 0
		.amdhsa_exception_fp_denorm_src 0
		.amdhsa_exception_fp_ieee_div_zero 0
		.amdhsa_exception_fp_ieee_overflow 0
		.amdhsa_exception_fp_ieee_underflow 0
		.amdhsa_exception_fp_ieee_inexact 0
		.amdhsa_exception_int_div_zero 0
	.end_amdhsa_kernel
	.section	.text._ZN7rocprim17ROCPRIM_400000_NS6detail17trampoline_kernelINS0_14default_configENS1_25partition_config_selectorILNS1_17partition_subalgoE9EllbEEZZNS1_14partition_implILS5_9ELb0ES3_jPlS8_PNS0_10empty_typeENS0_5tupleIJS8_S9_EEENSB_IJS8_SA_EEENS0_18inequality_wrapperIZN2at6native12_GLOBAL__N_124unique_dim_cuda_templateIaEESt5tupleIJNSF_6TensorESK_SK_EERKSK_lbbbEUlllE0_EEPmJS9_EEE10hipError_tPvRmT3_T4_T5_T6_T7_T9_mT8_P12ihipStream_tbDpT10_ENKUlT_T0_E_clISt17integral_constantIbLb0EES19_IbLb1EEEEDaS15_S16_EUlS15_E_NS1_11comp_targetILNS1_3genE10ELNS1_11target_archE1200ELNS1_3gpuE4ELNS1_3repE0EEENS1_30default_config_static_selectorELNS0_4arch9wavefront6targetE1EEEvT1_,"axG",@progbits,_ZN7rocprim17ROCPRIM_400000_NS6detail17trampoline_kernelINS0_14default_configENS1_25partition_config_selectorILNS1_17partition_subalgoE9EllbEEZZNS1_14partition_implILS5_9ELb0ES3_jPlS8_PNS0_10empty_typeENS0_5tupleIJS8_S9_EEENSB_IJS8_SA_EEENS0_18inequality_wrapperIZN2at6native12_GLOBAL__N_124unique_dim_cuda_templateIaEESt5tupleIJNSF_6TensorESK_SK_EERKSK_lbbbEUlllE0_EEPmJS9_EEE10hipError_tPvRmT3_T4_T5_T6_T7_T9_mT8_P12ihipStream_tbDpT10_ENKUlT_T0_E_clISt17integral_constantIbLb0EES19_IbLb1EEEEDaS15_S16_EUlS15_E_NS1_11comp_targetILNS1_3genE10ELNS1_11target_archE1200ELNS1_3gpuE4ELNS1_3repE0EEENS1_30default_config_static_selectorELNS0_4arch9wavefront6targetE1EEEvT1_,comdat
.Lfunc_end380:
	.size	_ZN7rocprim17ROCPRIM_400000_NS6detail17trampoline_kernelINS0_14default_configENS1_25partition_config_selectorILNS1_17partition_subalgoE9EllbEEZZNS1_14partition_implILS5_9ELb0ES3_jPlS8_PNS0_10empty_typeENS0_5tupleIJS8_S9_EEENSB_IJS8_SA_EEENS0_18inequality_wrapperIZN2at6native12_GLOBAL__N_124unique_dim_cuda_templateIaEESt5tupleIJNSF_6TensorESK_SK_EERKSK_lbbbEUlllE0_EEPmJS9_EEE10hipError_tPvRmT3_T4_T5_T6_T7_T9_mT8_P12ihipStream_tbDpT10_ENKUlT_T0_E_clISt17integral_constantIbLb0EES19_IbLb1EEEEDaS15_S16_EUlS15_E_NS1_11comp_targetILNS1_3genE10ELNS1_11target_archE1200ELNS1_3gpuE4ELNS1_3repE0EEENS1_30default_config_static_selectorELNS0_4arch9wavefront6targetE1EEEvT1_, .Lfunc_end380-_ZN7rocprim17ROCPRIM_400000_NS6detail17trampoline_kernelINS0_14default_configENS1_25partition_config_selectorILNS1_17partition_subalgoE9EllbEEZZNS1_14partition_implILS5_9ELb0ES3_jPlS8_PNS0_10empty_typeENS0_5tupleIJS8_S9_EEENSB_IJS8_SA_EEENS0_18inequality_wrapperIZN2at6native12_GLOBAL__N_124unique_dim_cuda_templateIaEESt5tupleIJNSF_6TensorESK_SK_EERKSK_lbbbEUlllE0_EEPmJS9_EEE10hipError_tPvRmT3_T4_T5_T6_T7_T9_mT8_P12ihipStream_tbDpT10_ENKUlT_T0_E_clISt17integral_constantIbLb0EES19_IbLb1EEEEDaS15_S16_EUlS15_E_NS1_11comp_targetILNS1_3genE10ELNS1_11target_archE1200ELNS1_3gpuE4ELNS1_3repE0EEENS1_30default_config_static_selectorELNS0_4arch9wavefront6targetE1EEEvT1_
                                        ; -- End function
	.section	.AMDGPU.csdata,"",@progbits
; Kernel info:
; codeLenInByte = 0
; NumSgprs: 4
; NumVgprs: 0
; NumAgprs: 0
; TotalNumVgprs: 0
; ScratchSize: 0
; MemoryBound: 0
; FloatMode: 240
; IeeeMode: 1
; LDSByteSize: 0 bytes/workgroup (compile time only)
; SGPRBlocks: 0
; VGPRBlocks: 0
; NumSGPRsForWavesPerEU: 4
; NumVGPRsForWavesPerEU: 1
; AccumOffset: 4
; Occupancy: 8
; WaveLimiterHint : 0
; COMPUTE_PGM_RSRC2:SCRATCH_EN: 0
; COMPUTE_PGM_RSRC2:USER_SGPR: 6
; COMPUTE_PGM_RSRC2:TRAP_HANDLER: 0
; COMPUTE_PGM_RSRC2:TGID_X_EN: 1
; COMPUTE_PGM_RSRC2:TGID_Y_EN: 0
; COMPUTE_PGM_RSRC2:TGID_Z_EN: 0
; COMPUTE_PGM_RSRC2:TIDIG_COMP_CNT: 0
; COMPUTE_PGM_RSRC3_GFX90A:ACCUM_OFFSET: 0
; COMPUTE_PGM_RSRC3_GFX90A:TG_SPLIT: 0
	.section	.text._ZN7rocprim17ROCPRIM_400000_NS6detail17trampoline_kernelINS0_14default_configENS1_25partition_config_selectorILNS1_17partition_subalgoE9EllbEEZZNS1_14partition_implILS5_9ELb0ES3_jPlS8_PNS0_10empty_typeENS0_5tupleIJS8_S9_EEENSB_IJS8_SA_EEENS0_18inequality_wrapperIZN2at6native12_GLOBAL__N_124unique_dim_cuda_templateIaEESt5tupleIJNSF_6TensorESK_SK_EERKSK_lbbbEUlllE0_EEPmJS9_EEE10hipError_tPvRmT3_T4_T5_T6_T7_T9_mT8_P12ihipStream_tbDpT10_ENKUlT_T0_E_clISt17integral_constantIbLb0EES19_IbLb1EEEEDaS15_S16_EUlS15_E_NS1_11comp_targetILNS1_3genE9ELNS1_11target_archE1100ELNS1_3gpuE3ELNS1_3repE0EEENS1_30default_config_static_selectorELNS0_4arch9wavefront6targetE1EEEvT1_,"axG",@progbits,_ZN7rocprim17ROCPRIM_400000_NS6detail17trampoline_kernelINS0_14default_configENS1_25partition_config_selectorILNS1_17partition_subalgoE9EllbEEZZNS1_14partition_implILS5_9ELb0ES3_jPlS8_PNS0_10empty_typeENS0_5tupleIJS8_S9_EEENSB_IJS8_SA_EEENS0_18inequality_wrapperIZN2at6native12_GLOBAL__N_124unique_dim_cuda_templateIaEESt5tupleIJNSF_6TensorESK_SK_EERKSK_lbbbEUlllE0_EEPmJS9_EEE10hipError_tPvRmT3_T4_T5_T6_T7_T9_mT8_P12ihipStream_tbDpT10_ENKUlT_T0_E_clISt17integral_constantIbLb0EES19_IbLb1EEEEDaS15_S16_EUlS15_E_NS1_11comp_targetILNS1_3genE9ELNS1_11target_archE1100ELNS1_3gpuE3ELNS1_3repE0EEENS1_30default_config_static_selectorELNS0_4arch9wavefront6targetE1EEEvT1_,comdat
	.globl	_ZN7rocprim17ROCPRIM_400000_NS6detail17trampoline_kernelINS0_14default_configENS1_25partition_config_selectorILNS1_17partition_subalgoE9EllbEEZZNS1_14partition_implILS5_9ELb0ES3_jPlS8_PNS0_10empty_typeENS0_5tupleIJS8_S9_EEENSB_IJS8_SA_EEENS0_18inequality_wrapperIZN2at6native12_GLOBAL__N_124unique_dim_cuda_templateIaEESt5tupleIJNSF_6TensorESK_SK_EERKSK_lbbbEUlllE0_EEPmJS9_EEE10hipError_tPvRmT3_T4_T5_T6_T7_T9_mT8_P12ihipStream_tbDpT10_ENKUlT_T0_E_clISt17integral_constantIbLb0EES19_IbLb1EEEEDaS15_S16_EUlS15_E_NS1_11comp_targetILNS1_3genE9ELNS1_11target_archE1100ELNS1_3gpuE3ELNS1_3repE0EEENS1_30default_config_static_selectorELNS0_4arch9wavefront6targetE1EEEvT1_ ; -- Begin function _ZN7rocprim17ROCPRIM_400000_NS6detail17trampoline_kernelINS0_14default_configENS1_25partition_config_selectorILNS1_17partition_subalgoE9EllbEEZZNS1_14partition_implILS5_9ELb0ES3_jPlS8_PNS0_10empty_typeENS0_5tupleIJS8_S9_EEENSB_IJS8_SA_EEENS0_18inequality_wrapperIZN2at6native12_GLOBAL__N_124unique_dim_cuda_templateIaEESt5tupleIJNSF_6TensorESK_SK_EERKSK_lbbbEUlllE0_EEPmJS9_EEE10hipError_tPvRmT3_T4_T5_T6_T7_T9_mT8_P12ihipStream_tbDpT10_ENKUlT_T0_E_clISt17integral_constantIbLb0EES19_IbLb1EEEEDaS15_S16_EUlS15_E_NS1_11comp_targetILNS1_3genE9ELNS1_11target_archE1100ELNS1_3gpuE3ELNS1_3repE0EEENS1_30default_config_static_selectorELNS0_4arch9wavefront6targetE1EEEvT1_
	.p2align	8
	.type	_ZN7rocprim17ROCPRIM_400000_NS6detail17trampoline_kernelINS0_14default_configENS1_25partition_config_selectorILNS1_17partition_subalgoE9EllbEEZZNS1_14partition_implILS5_9ELb0ES3_jPlS8_PNS0_10empty_typeENS0_5tupleIJS8_S9_EEENSB_IJS8_SA_EEENS0_18inequality_wrapperIZN2at6native12_GLOBAL__N_124unique_dim_cuda_templateIaEESt5tupleIJNSF_6TensorESK_SK_EERKSK_lbbbEUlllE0_EEPmJS9_EEE10hipError_tPvRmT3_T4_T5_T6_T7_T9_mT8_P12ihipStream_tbDpT10_ENKUlT_T0_E_clISt17integral_constantIbLb0EES19_IbLb1EEEEDaS15_S16_EUlS15_E_NS1_11comp_targetILNS1_3genE9ELNS1_11target_archE1100ELNS1_3gpuE3ELNS1_3repE0EEENS1_30default_config_static_selectorELNS0_4arch9wavefront6targetE1EEEvT1_,@function
_ZN7rocprim17ROCPRIM_400000_NS6detail17trampoline_kernelINS0_14default_configENS1_25partition_config_selectorILNS1_17partition_subalgoE9EllbEEZZNS1_14partition_implILS5_9ELb0ES3_jPlS8_PNS0_10empty_typeENS0_5tupleIJS8_S9_EEENSB_IJS8_SA_EEENS0_18inequality_wrapperIZN2at6native12_GLOBAL__N_124unique_dim_cuda_templateIaEESt5tupleIJNSF_6TensorESK_SK_EERKSK_lbbbEUlllE0_EEPmJS9_EEE10hipError_tPvRmT3_T4_T5_T6_T7_T9_mT8_P12ihipStream_tbDpT10_ENKUlT_T0_E_clISt17integral_constantIbLb0EES19_IbLb1EEEEDaS15_S16_EUlS15_E_NS1_11comp_targetILNS1_3genE9ELNS1_11target_archE1100ELNS1_3gpuE3ELNS1_3repE0EEENS1_30default_config_static_selectorELNS0_4arch9wavefront6targetE1EEEvT1_: ; @_ZN7rocprim17ROCPRIM_400000_NS6detail17trampoline_kernelINS0_14default_configENS1_25partition_config_selectorILNS1_17partition_subalgoE9EllbEEZZNS1_14partition_implILS5_9ELb0ES3_jPlS8_PNS0_10empty_typeENS0_5tupleIJS8_S9_EEENSB_IJS8_SA_EEENS0_18inequality_wrapperIZN2at6native12_GLOBAL__N_124unique_dim_cuda_templateIaEESt5tupleIJNSF_6TensorESK_SK_EERKSK_lbbbEUlllE0_EEPmJS9_EEE10hipError_tPvRmT3_T4_T5_T6_T7_T9_mT8_P12ihipStream_tbDpT10_ENKUlT_T0_E_clISt17integral_constantIbLb0EES19_IbLb1EEEEDaS15_S16_EUlS15_E_NS1_11comp_targetILNS1_3genE9ELNS1_11target_archE1100ELNS1_3gpuE3ELNS1_3repE0EEENS1_30default_config_static_selectorELNS0_4arch9wavefront6targetE1EEEvT1_
; %bb.0:
	.section	.rodata,"a",@progbits
	.p2align	6, 0x0
	.amdhsa_kernel _ZN7rocprim17ROCPRIM_400000_NS6detail17trampoline_kernelINS0_14default_configENS1_25partition_config_selectorILNS1_17partition_subalgoE9EllbEEZZNS1_14partition_implILS5_9ELb0ES3_jPlS8_PNS0_10empty_typeENS0_5tupleIJS8_S9_EEENSB_IJS8_SA_EEENS0_18inequality_wrapperIZN2at6native12_GLOBAL__N_124unique_dim_cuda_templateIaEESt5tupleIJNSF_6TensorESK_SK_EERKSK_lbbbEUlllE0_EEPmJS9_EEE10hipError_tPvRmT3_T4_T5_T6_T7_T9_mT8_P12ihipStream_tbDpT10_ENKUlT_T0_E_clISt17integral_constantIbLb0EES19_IbLb1EEEEDaS15_S16_EUlS15_E_NS1_11comp_targetILNS1_3genE9ELNS1_11target_archE1100ELNS1_3gpuE3ELNS1_3repE0EEENS1_30default_config_static_selectorELNS0_4arch9wavefront6targetE1EEEvT1_
		.amdhsa_group_segment_fixed_size 0
		.amdhsa_private_segment_fixed_size 0
		.amdhsa_kernarg_size 136
		.amdhsa_user_sgpr_count 6
		.amdhsa_user_sgpr_private_segment_buffer 1
		.amdhsa_user_sgpr_dispatch_ptr 0
		.amdhsa_user_sgpr_queue_ptr 0
		.amdhsa_user_sgpr_kernarg_segment_ptr 1
		.amdhsa_user_sgpr_dispatch_id 0
		.amdhsa_user_sgpr_flat_scratch_init 0
		.amdhsa_user_sgpr_kernarg_preload_length 0
		.amdhsa_user_sgpr_kernarg_preload_offset 0
		.amdhsa_user_sgpr_private_segment_size 0
		.amdhsa_uses_dynamic_stack 0
		.amdhsa_system_sgpr_private_segment_wavefront_offset 0
		.amdhsa_system_sgpr_workgroup_id_x 1
		.amdhsa_system_sgpr_workgroup_id_y 0
		.amdhsa_system_sgpr_workgroup_id_z 0
		.amdhsa_system_sgpr_workgroup_info 0
		.amdhsa_system_vgpr_workitem_id 0
		.amdhsa_next_free_vgpr 1
		.amdhsa_next_free_sgpr 0
		.amdhsa_accum_offset 4
		.amdhsa_reserve_vcc 0
		.amdhsa_reserve_flat_scratch 0
		.amdhsa_float_round_mode_32 0
		.amdhsa_float_round_mode_16_64 0
		.amdhsa_float_denorm_mode_32 3
		.amdhsa_float_denorm_mode_16_64 3
		.amdhsa_dx10_clamp 1
		.amdhsa_ieee_mode 1
		.amdhsa_fp16_overflow 0
		.amdhsa_tg_split 0
		.amdhsa_exception_fp_ieee_invalid_op 0
		.amdhsa_exception_fp_denorm_src 0
		.amdhsa_exception_fp_ieee_div_zero 0
		.amdhsa_exception_fp_ieee_overflow 0
		.amdhsa_exception_fp_ieee_underflow 0
		.amdhsa_exception_fp_ieee_inexact 0
		.amdhsa_exception_int_div_zero 0
	.end_amdhsa_kernel
	.section	.text._ZN7rocprim17ROCPRIM_400000_NS6detail17trampoline_kernelINS0_14default_configENS1_25partition_config_selectorILNS1_17partition_subalgoE9EllbEEZZNS1_14partition_implILS5_9ELb0ES3_jPlS8_PNS0_10empty_typeENS0_5tupleIJS8_S9_EEENSB_IJS8_SA_EEENS0_18inequality_wrapperIZN2at6native12_GLOBAL__N_124unique_dim_cuda_templateIaEESt5tupleIJNSF_6TensorESK_SK_EERKSK_lbbbEUlllE0_EEPmJS9_EEE10hipError_tPvRmT3_T4_T5_T6_T7_T9_mT8_P12ihipStream_tbDpT10_ENKUlT_T0_E_clISt17integral_constantIbLb0EES19_IbLb1EEEEDaS15_S16_EUlS15_E_NS1_11comp_targetILNS1_3genE9ELNS1_11target_archE1100ELNS1_3gpuE3ELNS1_3repE0EEENS1_30default_config_static_selectorELNS0_4arch9wavefront6targetE1EEEvT1_,"axG",@progbits,_ZN7rocprim17ROCPRIM_400000_NS6detail17trampoline_kernelINS0_14default_configENS1_25partition_config_selectorILNS1_17partition_subalgoE9EllbEEZZNS1_14partition_implILS5_9ELb0ES3_jPlS8_PNS0_10empty_typeENS0_5tupleIJS8_S9_EEENSB_IJS8_SA_EEENS0_18inequality_wrapperIZN2at6native12_GLOBAL__N_124unique_dim_cuda_templateIaEESt5tupleIJNSF_6TensorESK_SK_EERKSK_lbbbEUlllE0_EEPmJS9_EEE10hipError_tPvRmT3_T4_T5_T6_T7_T9_mT8_P12ihipStream_tbDpT10_ENKUlT_T0_E_clISt17integral_constantIbLb0EES19_IbLb1EEEEDaS15_S16_EUlS15_E_NS1_11comp_targetILNS1_3genE9ELNS1_11target_archE1100ELNS1_3gpuE3ELNS1_3repE0EEENS1_30default_config_static_selectorELNS0_4arch9wavefront6targetE1EEEvT1_,comdat
.Lfunc_end381:
	.size	_ZN7rocprim17ROCPRIM_400000_NS6detail17trampoline_kernelINS0_14default_configENS1_25partition_config_selectorILNS1_17partition_subalgoE9EllbEEZZNS1_14partition_implILS5_9ELb0ES3_jPlS8_PNS0_10empty_typeENS0_5tupleIJS8_S9_EEENSB_IJS8_SA_EEENS0_18inequality_wrapperIZN2at6native12_GLOBAL__N_124unique_dim_cuda_templateIaEESt5tupleIJNSF_6TensorESK_SK_EERKSK_lbbbEUlllE0_EEPmJS9_EEE10hipError_tPvRmT3_T4_T5_T6_T7_T9_mT8_P12ihipStream_tbDpT10_ENKUlT_T0_E_clISt17integral_constantIbLb0EES19_IbLb1EEEEDaS15_S16_EUlS15_E_NS1_11comp_targetILNS1_3genE9ELNS1_11target_archE1100ELNS1_3gpuE3ELNS1_3repE0EEENS1_30default_config_static_selectorELNS0_4arch9wavefront6targetE1EEEvT1_, .Lfunc_end381-_ZN7rocprim17ROCPRIM_400000_NS6detail17trampoline_kernelINS0_14default_configENS1_25partition_config_selectorILNS1_17partition_subalgoE9EllbEEZZNS1_14partition_implILS5_9ELb0ES3_jPlS8_PNS0_10empty_typeENS0_5tupleIJS8_S9_EEENSB_IJS8_SA_EEENS0_18inequality_wrapperIZN2at6native12_GLOBAL__N_124unique_dim_cuda_templateIaEESt5tupleIJNSF_6TensorESK_SK_EERKSK_lbbbEUlllE0_EEPmJS9_EEE10hipError_tPvRmT3_T4_T5_T6_T7_T9_mT8_P12ihipStream_tbDpT10_ENKUlT_T0_E_clISt17integral_constantIbLb0EES19_IbLb1EEEEDaS15_S16_EUlS15_E_NS1_11comp_targetILNS1_3genE9ELNS1_11target_archE1100ELNS1_3gpuE3ELNS1_3repE0EEENS1_30default_config_static_selectorELNS0_4arch9wavefront6targetE1EEEvT1_
                                        ; -- End function
	.section	.AMDGPU.csdata,"",@progbits
; Kernel info:
; codeLenInByte = 0
; NumSgprs: 4
; NumVgprs: 0
; NumAgprs: 0
; TotalNumVgprs: 0
; ScratchSize: 0
; MemoryBound: 0
; FloatMode: 240
; IeeeMode: 1
; LDSByteSize: 0 bytes/workgroup (compile time only)
; SGPRBlocks: 0
; VGPRBlocks: 0
; NumSGPRsForWavesPerEU: 4
; NumVGPRsForWavesPerEU: 1
; AccumOffset: 4
; Occupancy: 8
; WaveLimiterHint : 0
; COMPUTE_PGM_RSRC2:SCRATCH_EN: 0
; COMPUTE_PGM_RSRC2:USER_SGPR: 6
; COMPUTE_PGM_RSRC2:TRAP_HANDLER: 0
; COMPUTE_PGM_RSRC2:TGID_X_EN: 1
; COMPUTE_PGM_RSRC2:TGID_Y_EN: 0
; COMPUTE_PGM_RSRC2:TGID_Z_EN: 0
; COMPUTE_PGM_RSRC2:TIDIG_COMP_CNT: 0
; COMPUTE_PGM_RSRC3_GFX90A:ACCUM_OFFSET: 0
; COMPUTE_PGM_RSRC3_GFX90A:TG_SPLIT: 0
	.section	.text._ZN7rocprim17ROCPRIM_400000_NS6detail17trampoline_kernelINS0_14default_configENS1_25partition_config_selectorILNS1_17partition_subalgoE9EllbEEZZNS1_14partition_implILS5_9ELb0ES3_jPlS8_PNS0_10empty_typeENS0_5tupleIJS8_S9_EEENSB_IJS8_SA_EEENS0_18inequality_wrapperIZN2at6native12_GLOBAL__N_124unique_dim_cuda_templateIaEESt5tupleIJNSF_6TensorESK_SK_EERKSK_lbbbEUlllE0_EEPmJS9_EEE10hipError_tPvRmT3_T4_T5_T6_T7_T9_mT8_P12ihipStream_tbDpT10_ENKUlT_T0_E_clISt17integral_constantIbLb0EES19_IbLb1EEEEDaS15_S16_EUlS15_E_NS1_11comp_targetILNS1_3genE8ELNS1_11target_archE1030ELNS1_3gpuE2ELNS1_3repE0EEENS1_30default_config_static_selectorELNS0_4arch9wavefront6targetE1EEEvT1_,"axG",@progbits,_ZN7rocprim17ROCPRIM_400000_NS6detail17trampoline_kernelINS0_14default_configENS1_25partition_config_selectorILNS1_17partition_subalgoE9EllbEEZZNS1_14partition_implILS5_9ELb0ES3_jPlS8_PNS0_10empty_typeENS0_5tupleIJS8_S9_EEENSB_IJS8_SA_EEENS0_18inequality_wrapperIZN2at6native12_GLOBAL__N_124unique_dim_cuda_templateIaEESt5tupleIJNSF_6TensorESK_SK_EERKSK_lbbbEUlllE0_EEPmJS9_EEE10hipError_tPvRmT3_T4_T5_T6_T7_T9_mT8_P12ihipStream_tbDpT10_ENKUlT_T0_E_clISt17integral_constantIbLb0EES19_IbLb1EEEEDaS15_S16_EUlS15_E_NS1_11comp_targetILNS1_3genE8ELNS1_11target_archE1030ELNS1_3gpuE2ELNS1_3repE0EEENS1_30default_config_static_selectorELNS0_4arch9wavefront6targetE1EEEvT1_,comdat
	.globl	_ZN7rocprim17ROCPRIM_400000_NS6detail17trampoline_kernelINS0_14default_configENS1_25partition_config_selectorILNS1_17partition_subalgoE9EllbEEZZNS1_14partition_implILS5_9ELb0ES3_jPlS8_PNS0_10empty_typeENS0_5tupleIJS8_S9_EEENSB_IJS8_SA_EEENS0_18inequality_wrapperIZN2at6native12_GLOBAL__N_124unique_dim_cuda_templateIaEESt5tupleIJNSF_6TensorESK_SK_EERKSK_lbbbEUlllE0_EEPmJS9_EEE10hipError_tPvRmT3_T4_T5_T6_T7_T9_mT8_P12ihipStream_tbDpT10_ENKUlT_T0_E_clISt17integral_constantIbLb0EES19_IbLb1EEEEDaS15_S16_EUlS15_E_NS1_11comp_targetILNS1_3genE8ELNS1_11target_archE1030ELNS1_3gpuE2ELNS1_3repE0EEENS1_30default_config_static_selectorELNS0_4arch9wavefront6targetE1EEEvT1_ ; -- Begin function _ZN7rocprim17ROCPRIM_400000_NS6detail17trampoline_kernelINS0_14default_configENS1_25partition_config_selectorILNS1_17partition_subalgoE9EllbEEZZNS1_14partition_implILS5_9ELb0ES3_jPlS8_PNS0_10empty_typeENS0_5tupleIJS8_S9_EEENSB_IJS8_SA_EEENS0_18inequality_wrapperIZN2at6native12_GLOBAL__N_124unique_dim_cuda_templateIaEESt5tupleIJNSF_6TensorESK_SK_EERKSK_lbbbEUlllE0_EEPmJS9_EEE10hipError_tPvRmT3_T4_T5_T6_T7_T9_mT8_P12ihipStream_tbDpT10_ENKUlT_T0_E_clISt17integral_constantIbLb0EES19_IbLb1EEEEDaS15_S16_EUlS15_E_NS1_11comp_targetILNS1_3genE8ELNS1_11target_archE1030ELNS1_3gpuE2ELNS1_3repE0EEENS1_30default_config_static_selectorELNS0_4arch9wavefront6targetE1EEEvT1_
	.p2align	8
	.type	_ZN7rocprim17ROCPRIM_400000_NS6detail17trampoline_kernelINS0_14default_configENS1_25partition_config_selectorILNS1_17partition_subalgoE9EllbEEZZNS1_14partition_implILS5_9ELb0ES3_jPlS8_PNS0_10empty_typeENS0_5tupleIJS8_S9_EEENSB_IJS8_SA_EEENS0_18inequality_wrapperIZN2at6native12_GLOBAL__N_124unique_dim_cuda_templateIaEESt5tupleIJNSF_6TensorESK_SK_EERKSK_lbbbEUlllE0_EEPmJS9_EEE10hipError_tPvRmT3_T4_T5_T6_T7_T9_mT8_P12ihipStream_tbDpT10_ENKUlT_T0_E_clISt17integral_constantIbLb0EES19_IbLb1EEEEDaS15_S16_EUlS15_E_NS1_11comp_targetILNS1_3genE8ELNS1_11target_archE1030ELNS1_3gpuE2ELNS1_3repE0EEENS1_30default_config_static_selectorELNS0_4arch9wavefront6targetE1EEEvT1_,@function
_ZN7rocprim17ROCPRIM_400000_NS6detail17trampoline_kernelINS0_14default_configENS1_25partition_config_selectorILNS1_17partition_subalgoE9EllbEEZZNS1_14partition_implILS5_9ELb0ES3_jPlS8_PNS0_10empty_typeENS0_5tupleIJS8_S9_EEENSB_IJS8_SA_EEENS0_18inequality_wrapperIZN2at6native12_GLOBAL__N_124unique_dim_cuda_templateIaEESt5tupleIJNSF_6TensorESK_SK_EERKSK_lbbbEUlllE0_EEPmJS9_EEE10hipError_tPvRmT3_T4_T5_T6_T7_T9_mT8_P12ihipStream_tbDpT10_ENKUlT_T0_E_clISt17integral_constantIbLb0EES19_IbLb1EEEEDaS15_S16_EUlS15_E_NS1_11comp_targetILNS1_3genE8ELNS1_11target_archE1030ELNS1_3gpuE2ELNS1_3repE0EEENS1_30default_config_static_selectorELNS0_4arch9wavefront6targetE1EEEvT1_: ; @_ZN7rocprim17ROCPRIM_400000_NS6detail17trampoline_kernelINS0_14default_configENS1_25partition_config_selectorILNS1_17partition_subalgoE9EllbEEZZNS1_14partition_implILS5_9ELb0ES3_jPlS8_PNS0_10empty_typeENS0_5tupleIJS8_S9_EEENSB_IJS8_SA_EEENS0_18inequality_wrapperIZN2at6native12_GLOBAL__N_124unique_dim_cuda_templateIaEESt5tupleIJNSF_6TensorESK_SK_EERKSK_lbbbEUlllE0_EEPmJS9_EEE10hipError_tPvRmT3_T4_T5_T6_T7_T9_mT8_P12ihipStream_tbDpT10_ENKUlT_T0_E_clISt17integral_constantIbLb0EES19_IbLb1EEEEDaS15_S16_EUlS15_E_NS1_11comp_targetILNS1_3genE8ELNS1_11target_archE1030ELNS1_3gpuE2ELNS1_3repE0EEENS1_30default_config_static_selectorELNS0_4arch9wavefront6targetE1EEEvT1_
; %bb.0:
	.section	.rodata,"a",@progbits
	.p2align	6, 0x0
	.amdhsa_kernel _ZN7rocprim17ROCPRIM_400000_NS6detail17trampoline_kernelINS0_14default_configENS1_25partition_config_selectorILNS1_17partition_subalgoE9EllbEEZZNS1_14partition_implILS5_9ELb0ES3_jPlS8_PNS0_10empty_typeENS0_5tupleIJS8_S9_EEENSB_IJS8_SA_EEENS0_18inequality_wrapperIZN2at6native12_GLOBAL__N_124unique_dim_cuda_templateIaEESt5tupleIJNSF_6TensorESK_SK_EERKSK_lbbbEUlllE0_EEPmJS9_EEE10hipError_tPvRmT3_T4_T5_T6_T7_T9_mT8_P12ihipStream_tbDpT10_ENKUlT_T0_E_clISt17integral_constantIbLb0EES19_IbLb1EEEEDaS15_S16_EUlS15_E_NS1_11comp_targetILNS1_3genE8ELNS1_11target_archE1030ELNS1_3gpuE2ELNS1_3repE0EEENS1_30default_config_static_selectorELNS0_4arch9wavefront6targetE1EEEvT1_
		.amdhsa_group_segment_fixed_size 0
		.amdhsa_private_segment_fixed_size 0
		.amdhsa_kernarg_size 136
		.amdhsa_user_sgpr_count 6
		.amdhsa_user_sgpr_private_segment_buffer 1
		.amdhsa_user_sgpr_dispatch_ptr 0
		.amdhsa_user_sgpr_queue_ptr 0
		.amdhsa_user_sgpr_kernarg_segment_ptr 1
		.amdhsa_user_sgpr_dispatch_id 0
		.amdhsa_user_sgpr_flat_scratch_init 0
		.amdhsa_user_sgpr_kernarg_preload_length 0
		.amdhsa_user_sgpr_kernarg_preload_offset 0
		.amdhsa_user_sgpr_private_segment_size 0
		.amdhsa_uses_dynamic_stack 0
		.amdhsa_system_sgpr_private_segment_wavefront_offset 0
		.amdhsa_system_sgpr_workgroup_id_x 1
		.amdhsa_system_sgpr_workgroup_id_y 0
		.amdhsa_system_sgpr_workgroup_id_z 0
		.amdhsa_system_sgpr_workgroup_info 0
		.amdhsa_system_vgpr_workitem_id 0
		.amdhsa_next_free_vgpr 1
		.amdhsa_next_free_sgpr 0
		.amdhsa_accum_offset 4
		.amdhsa_reserve_vcc 0
		.amdhsa_reserve_flat_scratch 0
		.amdhsa_float_round_mode_32 0
		.amdhsa_float_round_mode_16_64 0
		.amdhsa_float_denorm_mode_32 3
		.amdhsa_float_denorm_mode_16_64 3
		.amdhsa_dx10_clamp 1
		.amdhsa_ieee_mode 1
		.amdhsa_fp16_overflow 0
		.amdhsa_tg_split 0
		.amdhsa_exception_fp_ieee_invalid_op 0
		.amdhsa_exception_fp_denorm_src 0
		.amdhsa_exception_fp_ieee_div_zero 0
		.amdhsa_exception_fp_ieee_overflow 0
		.amdhsa_exception_fp_ieee_underflow 0
		.amdhsa_exception_fp_ieee_inexact 0
		.amdhsa_exception_int_div_zero 0
	.end_amdhsa_kernel
	.section	.text._ZN7rocprim17ROCPRIM_400000_NS6detail17trampoline_kernelINS0_14default_configENS1_25partition_config_selectorILNS1_17partition_subalgoE9EllbEEZZNS1_14partition_implILS5_9ELb0ES3_jPlS8_PNS0_10empty_typeENS0_5tupleIJS8_S9_EEENSB_IJS8_SA_EEENS0_18inequality_wrapperIZN2at6native12_GLOBAL__N_124unique_dim_cuda_templateIaEESt5tupleIJNSF_6TensorESK_SK_EERKSK_lbbbEUlllE0_EEPmJS9_EEE10hipError_tPvRmT3_T4_T5_T6_T7_T9_mT8_P12ihipStream_tbDpT10_ENKUlT_T0_E_clISt17integral_constantIbLb0EES19_IbLb1EEEEDaS15_S16_EUlS15_E_NS1_11comp_targetILNS1_3genE8ELNS1_11target_archE1030ELNS1_3gpuE2ELNS1_3repE0EEENS1_30default_config_static_selectorELNS0_4arch9wavefront6targetE1EEEvT1_,"axG",@progbits,_ZN7rocprim17ROCPRIM_400000_NS6detail17trampoline_kernelINS0_14default_configENS1_25partition_config_selectorILNS1_17partition_subalgoE9EllbEEZZNS1_14partition_implILS5_9ELb0ES3_jPlS8_PNS0_10empty_typeENS0_5tupleIJS8_S9_EEENSB_IJS8_SA_EEENS0_18inequality_wrapperIZN2at6native12_GLOBAL__N_124unique_dim_cuda_templateIaEESt5tupleIJNSF_6TensorESK_SK_EERKSK_lbbbEUlllE0_EEPmJS9_EEE10hipError_tPvRmT3_T4_T5_T6_T7_T9_mT8_P12ihipStream_tbDpT10_ENKUlT_T0_E_clISt17integral_constantIbLb0EES19_IbLb1EEEEDaS15_S16_EUlS15_E_NS1_11comp_targetILNS1_3genE8ELNS1_11target_archE1030ELNS1_3gpuE2ELNS1_3repE0EEENS1_30default_config_static_selectorELNS0_4arch9wavefront6targetE1EEEvT1_,comdat
.Lfunc_end382:
	.size	_ZN7rocprim17ROCPRIM_400000_NS6detail17trampoline_kernelINS0_14default_configENS1_25partition_config_selectorILNS1_17partition_subalgoE9EllbEEZZNS1_14partition_implILS5_9ELb0ES3_jPlS8_PNS0_10empty_typeENS0_5tupleIJS8_S9_EEENSB_IJS8_SA_EEENS0_18inequality_wrapperIZN2at6native12_GLOBAL__N_124unique_dim_cuda_templateIaEESt5tupleIJNSF_6TensorESK_SK_EERKSK_lbbbEUlllE0_EEPmJS9_EEE10hipError_tPvRmT3_T4_T5_T6_T7_T9_mT8_P12ihipStream_tbDpT10_ENKUlT_T0_E_clISt17integral_constantIbLb0EES19_IbLb1EEEEDaS15_S16_EUlS15_E_NS1_11comp_targetILNS1_3genE8ELNS1_11target_archE1030ELNS1_3gpuE2ELNS1_3repE0EEENS1_30default_config_static_selectorELNS0_4arch9wavefront6targetE1EEEvT1_, .Lfunc_end382-_ZN7rocprim17ROCPRIM_400000_NS6detail17trampoline_kernelINS0_14default_configENS1_25partition_config_selectorILNS1_17partition_subalgoE9EllbEEZZNS1_14partition_implILS5_9ELb0ES3_jPlS8_PNS0_10empty_typeENS0_5tupleIJS8_S9_EEENSB_IJS8_SA_EEENS0_18inequality_wrapperIZN2at6native12_GLOBAL__N_124unique_dim_cuda_templateIaEESt5tupleIJNSF_6TensorESK_SK_EERKSK_lbbbEUlllE0_EEPmJS9_EEE10hipError_tPvRmT3_T4_T5_T6_T7_T9_mT8_P12ihipStream_tbDpT10_ENKUlT_T0_E_clISt17integral_constantIbLb0EES19_IbLb1EEEEDaS15_S16_EUlS15_E_NS1_11comp_targetILNS1_3genE8ELNS1_11target_archE1030ELNS1_3gpuE2ELNS1_3repE0EEENS1_30default_config_static_selectorELNS0_4arch9wavefront6targetE1EEEvT1_
                                        ; -- End function
	.section	.AMDGPU.csdata,"",@progbits
; Kernel info:
; codeLenInByte = 0
; NumSgprs: 4
; NumVgprs: 0
; NumAgprs: 0
; TotalNumVgprs: 0
; ScratchSize: 0
; MemoryBound: 0
; FloatMode: 240
; IeeeMode: 1
; LDSByteSize: 0 bytes/workgroup (compile time only)
; SGPRBlocks: 0
; VGPRBlocks: 0
; NumSGPRsForWavesPerEU: 4
; NumVGPRsForWavesPerEU: 1
; AccumOffset: 4
; Occupancy: 8
; WaveLimiterHint : 0
; COMPUTE_PGM_RSRC2:SCRATCH_EN: 0
; COMPUTE_PGM_RSRC2:USER_SGPR: 6
; COMPUTE_PGM_RSRC2:TRAP_HANDLER: 0
; COMPUTE_PGM_RSRC2:TGID_X_EN: 1
; COMPUTE_PGM_RSRC2:TGID_Y_EN: 0
; COMPUTE_PGM_RSRC2:TGID_Z_EN: 0
; COMPUTE_PGM_RSRC2:TIDIG_COMP_CNT: 0
; COMPUTE_PGM_RSRC3_GFX90A:ACCUM_OFFSET: 0
; COMPUTE_PGM_RSRC3_GFX90A:TG_SPLIT: 0
	.section	.text._ZN7rocprim17ROCPRIM_400000_NS6detail17trampoline_kernelINS0_14default_configENS1_37merge_sort_block_sort_config_selectorIlNS0_10empty_typeEEEZNS1_21merge_sort_block_sortIS3_PlS8_PS5_S9_ZN2at6native12_GLOBAL__N_124unique_dim_cuda_templateIiEESt5tupleIJNSA_6TensorESF_SF_EERKSF_lbbbEUlllE_EE10hipError_tT0_T1_T2_T3_mRjT4_P12ihipStream_tbNS1_7vsmem_tEEUlT_E_NS1_11comp_targetILNS1_3genE0ELNS1_11target_archE4294967295ELNS1_3gpuE0ELNS1_3repE0EEENS1_30default_config_static_selectorELNS0_4arch9wavefront6targetE1EEEvSM_,"axG",@progbits,_ZN7rocprim17ROCPRIM_400000_NS6detail17trampoline_kernelINS0_14default_configENS1_37merge_sort_block_sort_config_selectorIlNS0_10empty_typeEEEZNS1_21merge_sort_block_sortIS3_PlS8_PS5_S9_ZN2at6native12_GLOBAL__N_124unique_dim_cuda_templateIiEESt5tupleIJNSA_6TensorESF_SF_EERKSF_lbbbEUlllE_EE10hipError_tT0_T1_T2_T3_mRjT4_P12ihipStream_tbNS1_7vsmem_tEEUlT_E_NS1_11comp_targetILNS1_3genE0ELNS1_11target_archE4294967295ELNS1_3gpuE0ELNS1_3repE0EEENS1_30default_config_static_selectorELNS0_4arch9wavefront6targetE1EEEvSM_,comdat
	.globl	_ZN7rocprim17ROCPRIM_400000_NS6detail17trampoline_kernelINS0_14default_configENS1_37merge_sort_block_sort_config_selectorIlNS0_10empty_typeEEEZNS1_21merge_sort_block_sortIS3_PlS8_PS5_S9_ZN2at6native12_GLOBAL__N_124unique_dim_cuda_templateIiEESt5tupleIJNSA_6TensorESF_SF_EERKSF_lbbbEUlllE_EE10hipError_tT0_T1_T2_T3_mRjT4_P12ihipStream_tbNS1_7vsmem_tEEUlT_E_NS1_11comp_targetILNS1_3genE0ELNS1_11target_archE4294967295ELNS1_3gpuE0ELNS1_3repE0EEENS1_30default_config_static_selectorELNS0_4arch9wavefront6targetE1EEEvSM_ ; -- Begin function _ZN7rocprim17ROCPRIM_400000_NS6detail17trampoline_kernelINS0_14default_configENS1_37merge_sort_block_sort_config_selectorIlNS0_10empty_typeEEEZNS1_21merge_sort_block_sortIS3_PlS8_PS5_S9_ZN2at6native12_GLOBAL__N_124unique_dim_cuda_templateIiEESt5tupleIJNSA_6TensorESF_SF_EERKSF_lbbbEUlllE_EE10hipError_tT0_T1_T2_T3_mRjT4_P12ihipStream_tbNS1_7vsmem_tEEUlT_E_NS1_11comp_targetILNS1_3genE0ELNS1_11target_archE4294967295ELNS1_3gpuE0ELNS1_3repE0EEENS1_30default_config_static_selectorELNS0_4arch9wavefront6targetE1EEEvSM_
	.p2align	8
	.type	_ZN7rocprim17ROCPRIM_400000_NS6detail17trampoline_kernelINS0_14default_configENS1_37merge_sort_block_sort_config_selectorIlNS0_10empty_typeEEEZNS1_21merge_sort_block_sortIS3_PlS8_PS5_S9_ZN2at6native12_GLOBAL__N_124unique_dim_cuda_templateIiEESt5tupleIJNSA_6TensorESF_SF_EERKSF_lbbbEUlllE_EE10hipError_tT0_T1_T2_T3_mRjT4_P12ihipStream_tbNS1_7vsmem_tEEUlT_E_NS1_11comp_targetILNS1_3genE0ELNS1_11target_archE4294967295ELNS1_3gpuE0ELNS1_3repE0EEENS1_30default_config_static_selectorELNS0_4arch9wavefront6targetE1EEEvSM_,@function
_ZN7rocprim17ROCPRIM_400000_NS6detail17trampoline_kernelINS0_14default_configENS1_37merge_sort_block_sort_config_selectorIlNS0_10empty_typeEEEZNS1_21merge_sort_block_sortIS3_PlS8_PS5_S9_ZN2at6native12_GLOBAL__N_124unique_dim_cuda_templateIiEESt5tupleIJNSA_6TensorESF_SF_EERKSF_lbbbEUlllE_EE10hipError_tT0_T1_T2_T3_mRjT4_P12ihipStream_tbNS1_7vsmem_tEEUlT_E_NS1_11comp_targetILNS1_3genE0ELNS1_11target_archE4294967295ELNS1_3gpuE0ELNS1_3repE0EEENS1_30default_config_static_selectorELNS0_4arch9wavefront6targetE1EEEvSM_: ; @_ZN7rocprim17ROCPRIM_400000_NS6detail17trampoline_kernelINS0_14default_configENS1_37merge_sort_block_sort_config_selectorIlNS0_10empty_typeEEEZNS1_21merge_sort_block_sortIS3_PlS8_PS5_S9_ZN2at6native12_GLOBAL__N_124unique_dim_cuda_templateIiEESt5tupleIJNSA_6TensorESF_SF_EERKSF_lbbbEUlllE_EE10hipError_tT0_T1_T2_T3_mRjT4_P12ihipStream_tbNS1_7vsmem_tEEUlT_E_NS1_11comp_targetILNS1_3genE0ELNS1_11target_archE4294967295ELNS1_3gpuE0ELNS1_3repE0EEENS1_30default_config_static_selectorELNS0_4arch9wavefront6targetE1EEEvSM_
; %bb.0:
	.section	.rodata,"a",@progbits
	.p2align	6, 0x0
	.amdhsa_kernel _ZN7rocprim17ROCPRIM_400000_NS6detail17trampoline_kernelINS0_14default_configENS1_37merge_sort_block_sort_config_selectorIlNS0_10empty_typeEEEZNS1_21merge_sort_block_sortIS3_PlS8_PS5_S9_ZN2at6native12_GLOBAL__N_124unique_dim_cuda_templateIiEESt5tupleIJNSA_6TensorESF_SF_EERKSF_lbbbEUlllE_EE10hipError_tT0_T1_T2_T3_mRjT4_P12ihipStream_tbNS1_7vsmem_tEEUlT_E_NS1_11comp_targetILNS1_3genE0ELNS1_11target_archE4294967295ELNS1_3gpuE0ELNS1_3repE0EEENS1_30default_config_static_selectorELNS0_4arch9wavefront6targetE1EEEvSM_
		.amdhsa_group_segment_fixed_size 0
		.amdhsa_private_segment_fixed_size 0
		.amdhsa_kernarg_size 72
		.amdhsa_user_sgpr_count 6
		.amdhsa_user_sgpr_private_segment_buffer 1
		.amdhsa_user_sgpr_dispatch_ptr 0
		.amdhsa_user_sgpr_queue_ptr 0
		.amdhsa_user_sgpr_kernarg_segment_ptr 1
		.amdhsa_user_sgpr_dispatch_id 0
		.amdhsa_user_sgpr_flat_scratch_init 0
		.amdhsa_user_sgpr_kernarg_preload_length 0
		.amdhsa_user_sgpr_kernarg_preload_offset 0
		.amdhsa_user_sgpr_private_segment_size 0
		.amdhsa_uses_dynamic_stack 0
		.amdhsa_system_sgpr_private_segment_wavefront_offset 0
		.amdhsa_system_sgpr_workgroup_id_x 1
		.amdhsa_system_sgpr_workgroup_id_y 0
		.amdhsa_system_sgpr_workgroup_id_z 0
		.amdhsa_system_sgpr_workgroup_info 0
		.amdhsa_system_vgpr_workitem_id 0
		.amdhsa_next_free_vgpr 1
		.amdhsa_next_free_sgpr 0
		.amdhsa_accum_offset 4
		.amdhsa_reserve_vcc 0
		.amdhsa_reserve_flat_scratch 0
		.amdhsa_float_round_mode_32 0
		.amdhsa_float_round_mode_16_64 0
		.amdhsa_float_denorm_mode_32 3
		.amdhsa_float_denorm_mode_16_64 3
		.amdhsa_dx10_clamp 1
		.amdhsa_ieee_mode 1
		.amdhsa_fp16_overflow 0
		.amdhsa_tg_split 0
		.amdhsa_exception_fp_ieee_invalid_op 0
		.amdhsa_exception_fp_denorm_src 0
		.amdhsa_exception_fp_ieee_div_zero 0
		.amdhsa_exception_fp_ieee_overflow 0
		.amdhsa_exception_fp_ieee_underflow 0
		.amdhsa_exception_fp_ieee_inexact 0
		.amdhsa_exception_int_div_zero 0
	.end_amdhsa_kernel
	.section	.text._ZN7rocprim17ROCPRIM_400000_NS6detail17trampoline_kernelINS0_14default_configENS1_37merge_sort_block_sort_config_selectorIlNS0_10empty_typeEEEZNS1_21merge_sort_block_sortIS3_PlS8_PS5_S9_ZN2at6native12_GLOBAL__N_124unique_dim_cuda_templateIiEESt5tupleIJNSA_6TensorESF_SF_EERKSF_lbbbEUlllE_EE10hipError_tT0_T1_T2_T3_mRjT4_P12ihipStream_tbNS1_7vsmem_tEEUlT_E_NS1_11comp_targetILNS1_3genE0ELNS1_11target_archE4294967295ELNS1_3gpuE0ELNS1_3repE0EEENS1_30default_config_static_selectorELNS0_4arch9wavefront6targetE1EEEvSM_,"axG",@progbits,_ZN7rocprim17ROCPRIM_400000_NS6detail17trampoline_kernelINS0_14default_configENS1_37merge_sort_block_sort_config_selectorIlNS0_10empty_typeEEEZNS1_21merge_sort_block_sortIS3_PlS8_PS5_S9_ZN2at6native12_GLOBAL__N_124unique_dim_cuda_templateIiEESt5tupleIJNSA_6TensorESF_SF_EERKSF_lbbbEUlllE_EE10hipError_tT0_T1_T2_T3_mRjT4_P12ihipStream_tbNS1_7vsmem_tEEUlT_E_NS1_11comp_targetILNS1_3genE0ELNS1_11target_archE4294967295ELNS1_3gpuE0ELNS1_3repE0EEENS1_30default_config_static_selectorELNS0_4arch9wavefront6targetE1EEEvSM_,comdat
.Lfunc_end383:
	.size	_ZN7rocprim17ROCPRIM_400000_NS6detail17trampoline_kernelINS0_14default_configENS1_37merge_sort_block_sort_config_selectorIlNS0_10empty_typeEEEZNS1_21merge_sort_block_sortIS3_PlS8_PS5_S9_ZN2at6native12_GLOBAL__N_124unique_dim_cuda_templateIiEESt5tupleIJNSA_6TensorESF_SF_EERKSF_lbbbEUlllE_EE10hipError_tT0_T1_T2_T3_mRjT4_P12ihipStream_tbNS1_7vsmem_tEEUlT_E_NS1_11comp_targetILNS1_3genE0ELNS1_11target_archE4294967295ELNS1_3gpuE0ELNS1_3repE0EEENS1_30default_config_static_selectorELNS0_4arch9wavefront6targetE1EEEvSM_, .Lfunc_end383-_ZN7rocprim17ROCPRIM_400000_NS6detail17trampoline_kernelINS0_14default_configENS1_37merge_sort_block_sort_config_selectorIlNS0_10empty_typeEEEZNS1_21merge_sort_block_sortIS3_PlS8_PS5_S9_ZN2at6native12_GLOBAL__N_124unique_dim_cuda_templateIiEESt5tupleIJNSA_6TensorESF_SF_EERKSF_lbbbEUlllE_EE10hipError_tT0_T1_T2_T3_mRjT4_P12ihipStream_tbNS1_7vsmem_tEEUlT_E_NS1_11comp_targetILNS1_3genE0ELNS1_11target_archE4294967295ELNS1_3gpuE0ELNS1_3repE0EEENS1_30default_config_static_selectorELNS0_4arch9wavefront6targetE1EEEvSM_
                                        ; -- End function
	.section	.AMDGPU.csdata,"",@progbits
; Kernel info:
; codeLenInByte = 0
; NumSgprs: 4
; NumVgprs: 0
; NumAgprs: 0
; TotalNumVgprs: 0
; ScratchSize: 0
; MemoryBound: 0
; FloatMode: 240
; IeeeMode: 1
; LDSByteSize: 0 bytes/workgroup (compile time only)
; SGPRBlocks: 0
; VGPRBlocks: 0
; NumSGPRsForWavesPerEU: 4
; NumVGPRsForWavesPerEU: 1
; AccumOffset: 4
; Occupancy: 8
; WaveLimiterHint : 0
; COMPUTE_PGM_RSRC2:SCRATCH_EN: 0
; COMPUTE_PGM_RSRC2:USER_SGPR: 6
; COMPUTE_PGM_RSRC2:TRAP_HANDLER: 0
; COMPUTE_PGM_RSRC2:TGID_X_EN: 1
; COMPUTE_PGM_RSRC2:TGID_Y_EN: 0
; COMPUTE_PGM_RSRC2:TGID_Z_EN: 0
; COMPUTE_PGM_RSRC2:TIDIG_COMP_CNT: 0
; COMPUTE_PGM_RSRC3_GFX90A:ACCUM_OFFSET: 0
; COMPUTE_PGM_RSRC3_GFX90A:TG_SPLIT: 0
	.section	.text._ZN7rocprim17ROCPRIM_400000_NS6detail17trampoline_kernelINS0_14default_configENS1_37merge_sort_block_sort_config_selectorIlNS0_10empty_typeEEEZNS1_21merge_sort_block_sortIS3_PlS8_PS5_S9_ZN2at6native12_GLOBAL__N_124unique_dim_cuda_templateIiEESt5tupleIJNSA_6TensorESF_SF_EERKSF_lbbbEUlllE_EE10hipError_tT0_T1_T2_T3_mRjT4_P12ihipStream_tbNS1_7vsmem_tEEUlT_E_NS1_11comp_targetILNS1_3genE5ELNS1_11target_archE942ELNS1_3gpuE9ELNS1_3repE0EEENS1_30default_config_static_selectorELNS0_4arch9wavefront6targetE1EEEvSM_,"axG",@progbits,_ZN7rocprim17ROCPRIM_400000_NS6detail17trampoline_kernelINS0_14default_configENS1_37merge_sort_block_sort_config_selectorIlNS0_10empty_typeEEEZNS1_21merge_sort_block_sortIS3_PlS8_PS5_S9_ZN2at6native12_GLOBAL__N_124unique_dim_cuda_templateIiEESt5tupleIJNSA_6TensorESF_SF_EERKSF_lbbbEUlllE_EE10hipError_tT0_T1_T2_T3_mRjT4_P12ihipStream_tbNS1_7vsmem_tEEUlT_E_NS1_11comp_targetILNS1_3genE5ELNS1_11target_archE942ELNS1_3gpuE9ELNS1_3repE0EEENS1_30default_config_static_selectorELNS0_4arch9wavefront6targetE1EEEvSM_,comdat
	.globl	_ZN7rocprim17ROCPRIM_400000_NS6detail17trampoline_kernelINS0_14default_configENS1_37merge_sort_block_sort_config_selectorIlNS0_10empty_typeEEEZNS1_21merge_sort_block_sortIS3_PlS8_PS5_S9_ZN2at6native12_GLOBAL__N_124unique_dim_cuda_templateIiEESt5tupleIJNSA_6TensorESF_SF_EERKSF_lbbbEUlllE_EE10hipError_tT0_T1_T2_T3_mRjT4_P12ihipStream_tbNS1_7vsmem_tEEUlT_E_NS1_11comp_targetILNS1_3genE5ELNS1_11target_archE942ELNS1_3gpuE9ELNS1_3repE0EEENS1_30default_config_static_selectorELNS0_4arch9wavefront6targetE1EEEvSM_ ; -- Begin function _ZN7rocprim17ROCPRIM_400000_NS6detail17trampoline_kernelINS0_14default_configENS1_37merge_sort_block_sort_config_selectorIlNS0_10empty_typeEEEZNS1_21merge_sort_block_sortIS3_PlS8_PS5_S9_ZN2at6native12_GLOBAL__N_124unique_dim_cuda_templateIiEESt5tupleIJNSA_6TensorESF_SF_EERKSF_lbbbEUlllE_EE10hipError_tT0_T1_T2_T3_mRjT4_P12ihipStream_tbNS1_7vsmem_tEEUlT_E_NS1_11comp_targetILNS1_3genE5ELNS1_11target_archE942ELNS1_3gpuE9ELNS1_3repE0EEENS1_30default_config_static_selectorELNS0_4arch9wavefront6targetE1EEEvSM_
	.p2align	8
	.type	_ZN7rocprim17ROCPRIM_400000_NS6detail17trampoline_kernelINS0_14default_configENS1_37merge_sort_block_sort_config_selectorIlNS0_10empty_typeEEEZNS1_21merge_sort_block_sortIS3_PlS8_PS5_S9_ZN2at6native12_GLOBAL__N_124unique_dim_cuda_templateIiEESt5tupleIJNSA_6TensorESF_SF_EERKSF_lbbbEUlllE_EE10hipError_tT0_T1_T2_T3_mRjT4_P12ihipStream_tbNS1_7vsmem_tEEUlT_E_NS1_11comp_targetILNS1_3genE5ELNS1_11target_archE942ELNS1_3gpuE9ELNS1_3repE0EEENS1_30default_config_static_selectorELNS0_4arch9wavefront6targetE1EEEvSM_,@function
_ZN7rocprim17ROCPRIM_400000_NS6detail17trampoline_kernelINS0_14default_configENS1_37merge_sort_block_sort_config_selectorIlNS0_10empty_typeEEEZNS1_21merge_sort_block_sortIS3_PlS8_PS5_S9_ZN2at6native12_GLOBAL__N_124unique_dim_cuda_templateIiEESt5tupleIJNSA_6TensorESF_SF_EERKSF_lbbbEUlllE_EE10hipError_tT0_T1_T2_T3_mRjT4_P12ihipStream_tbNS1_7vsmem_tEEUlT_E_NS1_11comp_targetILNS1_3genE5ELNS1_11target_archE942ELNS1_3gpuE9ELNS1_3repE0EEENS1_30default_config_static_selectorELNS0_4arch9wavefront6targetE1EEEvSM_: ; @_ZN7rocprim17ROCPRIM_400000_NS6detail17trampoline_kernelINS0_14default_configENS1_37merge_sort_block_sort_config_selectorIlNS0_10empty_typeEEEZNS1_21merge_sort_block_sortIS3_PlS8_PS5_S9_ZN2at6native12_GLOBAL__N_124unique_dim_cuda_templateIiEESt5tupleIJNSA_6TensorESF_SF_EERKSF_lbbbEUlllE_EE10hipError_tT0_T1_T2_T3_mRjT4_P12ihipStream_tbNS1_7vsmem_tEEUlT_E_NS1_11comp_targetILNS1_3genE5ELNS1_11target_archE942ELNS1_3gpuE9ELNS1_3repE0EEENS1_30default_config_static_selectorELNS0_4arch9wavefront6targetE1EEEvSM_
; %bb.0:
	.section	.rodata,"a",@progbits
	.p2align	6, 0x0
	.amdhsa_kernel _ZN7rocprim17ROCPRIM_400000_NS6detail17trampoline_kernelINS0_14default_configENS1_37merge_sort_block_sort_config_selectorIlNS0_10empty_typeEEEZNS1_21merge_sort_block_sortIS3_PlS8_PS5_S9_ZN2at6native12_GLOBAL__N_124unique_dim_cuda_templateIiEESt5tupleIJNSA_6TensorESF_SF_EERKSF_lbbbEUlllE_EE10hipError_tT0_T1_T2_T3_mRjT4_P12ihipStream_tbNS1_7vsmem_tEEUlT_E_NS1_11comp_targetILNS1_3genE5ELNS1_11target_archE942ELNS1_3gpuE9ELNS1_3repE0EEENS1_30default_config_static_selectorELNS0_4arch9wavefront6targetE1EEEvSM_
		.amdhsa_group_segment_fixed_size 0
		.amdhsa_private_segment_fixed_size 0
		.amdhsa_kernarg_size 72
		.amdhsa_user_sgpr_count 6
		.amdhsa_user_sgpr_private_segment_buffer 1
		.amdhsa_user_sgpr_dispatch_ptr 0
		.amdhsa_user_sgpr_queue_ptr 0
		.amdhsa_user_sgpr_kernarg_segment_ptr 1
		.amdhsa_user_sgpr_dispatch_id 0
		.amdhsa_user_sgpr_flat_scratch_init 0
		.amdhsa_user_sgpr_kernarg_preload_length 0
		.amdhsa_user_sgpr_kernarg_preload_offset 0
		.amdhsa_user_sgpr_private_segment_size 0
		.amdhsa_uses_dynamic_stack 0
		.amdhsa_system_sgpr_private_segment_wavefront_offset 0
		.amdhsa_system_sgpr_workgroup_id_x 1
		.amdhsa_system_sgpr_workgroup_id_y 0
		.amdhsa_system_sgpr_workgroup_id_z 0
		.amdhsa_system_sgpr_workgroup_info 0
		.amdhsa_system_vgpr_workitem_id 0
		.amdhsa_next_free_vgpr 1
		.amdhsa_next_free_sgpr 0
		.amdhsa_accum_offset 4
		.amdhsa_reserve_vcc 0
		.amdhsa_reserve_flat_scratch 0
		.amdhsa_float_round_mode_32 0
		.amdhsa_float_round_mode_16_64 0
		.amdhsa_float_denorm_mode_32 3
		.amdhsa_float_denorm_mode_16_64 3
		.amdhsa_dx10_clamp 1
		.amdhsa_ieee_mode 1
		.amdhsa_fp16_overflow 0
		.amdhsa_tg_split 0
		.amdhsa_exception_fp_ieee_invalid_op 0
		.amdhsa_exception_fp_denorm_src 0
		.amdhsa_exception_fp_ieee_div_zero 0
		.amdhsa_exception_fp_ieee_overflow 0
		.amdhsa_exception_fp_ieee_underflow 0
		.amdhsa_exception_fp_ieee_inexact 0
		.amdhsa_exception_int_div_zero 0
	.end_amdhsa_kernel
	.section	.text._ZN7rocprim17ROCPRIM_400000_NS6detail17trampoline_kernelINS0_14default_configENS1_37merge_sort_block_sort_config_selectorIlNS0_10empty_typeEEEZNS1_21merge_sort_block_sortIS3_PlS8_PS5_S9_ZN2at6native12_GLOBAL__N_124unique_dim_cuda_templateIiEESt5tupleIJNSA_6TensorESF_SF_EERKSF_lbbbEUlllE_EE10hipError_tT0_T1_T2_T3_mRjT4_P12ihipStream_tbNS1_7vsmem_tEEUlT_E_NS1_11comp_targetILNS1_3genE5ELNS1_11target_archE942ELNS1_3gpuE9ELNS1_3repE0EEENS1_30default_config_static_selectorELNS0_4arch9wavefront6targetE1EEEvSM_,"axG",@progbits,_ZN7rocprim17ROCPRIM_400000_NS6detail17trampoline_kernelINS0_14default_configENS1_37merge_sort_block_sort_config_selectorIlNS0_10empty_typeEEEZNS1_21merge_sort_block_sortIS3_PlS8_PS5_S9_ZN2at6native12_GLOBAL__N_124unique_dim_cuda_templateIiEESt5tupleIJNSA_6TensorESF_SF_EERKSF_lbbbEUlllE_EE10hipError_tT0_T1_T2_T3_mRjT4_P12ihipStream_tbNS1_7vsmem_tEEUlT_E_NS1_11comp_targetILNS1_3genE5ELNS1_11target_archE942ELNS1_3gpuE9ELNS1_3repE0EEENS1_30default_config_static_selectorELNS0_4arch9wavefront6targetE1EEEvSM_,comdat
.Lfunc_end384:
	.size	_ZN7rocprim17ROCPRIM_400000_NS6detail17trampoline_kernelINS0_14default_configENS1_37merge_sort_block_sort_config_selectorIlNS0_10empty_typeEEEZNS1_21merge_sort_block_sortIS3_PlS8_PS5_S9_ZN2at6native12_GLOBAL__N_124unique_dim_cuda_templateIiEESt5tupleIJNSA_6TensorESF_SF_EERKSF_lbbbEUlllE_EE10hipError_tT0_T1_T2_T3_mRjT4_P12ihipStream_tbNS1_7vsmem_tEEUlT_E_NS1_11comp_targetILNS1_3genE5ELNS1_11target_archE942ELNS1_3gpuE9ELNS1_3repE0EEENS1_30default_config_static_selectorELNS0_4arch9wavefront6targetE1EEEvSM_, .Lfunc_end384-_ZN7rocprim17ROCPRIM_400000_NS6detail17trampoline_kernelINS0_14default_configENS1_37merge_sort_block_sort_config_selectorIlNS0_10empty_typeEEEZNS1_21merge_sort_block_sortIS3_PlS8_PS5_S9_ZN2at6native12_GLOBAL__N_124unique_dim_cuda_templateIiEESt5tupleIJNSA_6TensorESF_SF_EERKSF_lbbbEUlllE_EE10hipError_tT0_T1_T2_T3_mRjT4_P12ihipStream_tbNS1_7vsmem_tEEUlT_E_NS1_11comp_targetILNS1_3genE5ELNS1_11target_archE942ELNS1_3gpuE9ELNS1_3repE0EEENS1_30default_config_static_selectorELNS0_4arch9wavefront6targetE1EEEvSM_
                                        ; -- End function
	.section	.AMDGPU.csdata,"",@progbits
; Kernel info:
; codeLenInByte = 0
; NumSgprs: 4
; NumVgprs: 0
; NumAgprs: 0
; TotalNumVgprs: 0
; ScratchSize: 0
; MemoryBound: 0
; FloatMode: 240
; IeeeMode: 1
; LDSByteSize: 0 bytes/workgroup (compile time only)
; SGPRBlocks: 0
; VGPRBlocks: 0
; NumSGPRsForWavesPerEU: 4
; NumVGPRsForWavesPerEU: 1
; AccumOffset: 4
; Occupancy: 8
; WaveLimiterHint : 0
; COMPUTE_PGM_RSRC2:SCRATCH_EN: 0
; COMPUTE_PGM_RSRC2:USER_SGPR: 6
; COMPUTE_PGM_RSRC2:TRAP_HANDLER: 0
; COMPUTE_PGM_RSRC2:TGID_X_EN: 1
; COMPUTE_PGM_RSRC2:TGID_Y_EN: 0
; COMPUTE_PGM_RSRC2:TGID_Z_EN: 0
; COMPUTE_PGM_RSRC2:TIDIG_COMP_CNT: 0
; COMPUTE_PGM_RSRC3_GFX90A:ACCUM_OFFSET: 0
; COMPUTE_PGM_RSRC3_GFX90A:TG_SPLIT: 0
	.section	.text._ZN7rocprim17ROCPRIM_400000_NS6detail17trampoline_kernelINS0_14default_configENS1_37merge_sort_block_sort_config_selectorIlNS0_10empty_typeEEEZNS1_21merge_sort_block_sortIS3_PlS8_PS5_S9_ZN2at6native12_GLOBAL__N_124unique_dim_cuda_templateIiEESt5tupleIJNSA_6TensorESF_SF_EERKSF_lbbbEUlllE_EE10hipError_tT0_T1_T2_T3_mRjT4_P12ihipStream_tbNS1_7vsmem_tEEUlT_E_NS1_11comp_targetILNS1_3genE4ELNS1_11target_archE910ELNS1_3gpuE8ELNS1_3repE0EEENS1_30default_config_static_selectorELNS0_4arch9wavefront6targetE1EEEvSM_,"axG",@progbits,_ZN7rocprim17ROCPRIM_400000_NS6detail17trampoline_kernelINS0_14default_configENS1_37merge_sort_block_sort_config_selectorIlNS0_10empty_typeEEEZNS1_21merge_sort_block_sortIS3_PlS8_PS5_S9_ZN2at6native12_GLOBAL__N_124unique_dim_cuda_templateIiEESt5tupleIJNSA_6TensorESF_SF_EERKSF_lbbbEUlllE_EE10hipError_tT0_T1_T2_T3_mRjT4_P12ihipStream_tbNS1_7vsmem_tEEUlT_E_NS1_11comp_targetILNS1_3genE4ELNS1_11target_archE910ELNS1_3gpuE8ELNS1_3repE0EEENS1_30default_config_static_selectorELNS0_4arch9wavefront6targetE1EEEvSM_,comdat
	.globl	_ZN7rocprim17ROCPRIM_400000_NS6detail17trampoline_kernelINS0_14default_configENS1_37merge_sort_block_sort_config_selectorIlNS0_10empty_typeEEEZNS1_21merge_sort_block_sortIS3_PlS8_PS5_S9_ZN2at6native12_GLOBAL__N_124unique_dim_cuda_templateIiEESt5tupleIJNSA_6TensorESF_SF_EERKSF_lbbbEUlllE_EE10hipError_tT0_T1_T2_T3_mRjT4_P12ihipStream_tbNS1_7vsmem_tEEUlT_E_NS1_11comp_targetILNS1_3genE4ELNS1_11target_archE910ELNS1_3gpuE8ELNS1_3repE0EEENS1_30default_config_static_selectorELNS0_4arch9wavefront6targetE1EEEvSM_ ; -- Begin function _ZN7rocprim17ROCPRIM_400000_NS6detail17trampoline_kernelINS0_14default_configENS1_37merge_sort_block_sort_config_selectorIlNS0_10empty_typeEEEZNS1_21merge_sort_block_sortIS3_PlS8_PS5_S9_ZN2at6native12_GLOBAL__N_124unique_dim_cuda_templateIiEESt5tupleIJNSA_6TensorESF_SF_EERKSF_lbbbEUlllE_EE10hipError_tT0_T1_T2_T3_mRjT4_P12ihipStream_tbNS1_7vsmem_tEEUlT_E_NS1_11comp_targetILNS1_3genE4ELNS1_11target_archE910ELNS1_3gpuE8ELNS1_3repE0EEENS1_30default_config_static_selectorELNS0_4arch9wavefront6targetE1EEEvSM_
	.p2align	8
	.type	_ZN7rocprim17ROCPRIM_400000_NS6detail17trampoline_kernelINS0_14default_configENS1_37merge_sort_block_sort_config_selectorIlNS0_10empty_typeEEEZNS1_21merge_sort_block_sortIS3_PlS8_PS5_S9_ZN2at6native12_GLOBAL__N_124unique_dim_cuda_templateIiEESt5tupleIJNSA_6TensorESF_SF_EERKSF_lbbbEUlllE_EE10hipError_tT0_T1_T2_T3_mRjT4_P12ihipStream_tbNS1_7vsmem_tEEUlT_E_NS1_11comp_targetILNS1_3genE4ELNS1_11target_archE910ELNS1_3gpuE8ELNS1_3repE0EEENS1_30default_config_static_selectorELNS0_4arch9wavefront6targetE1EEEvSM_,@function
_ZN7rocprim17ROCPRIM_400000_NS6detail17trampoline_kernelINS0_14default_configENS1_37merge_sort_block_sort_config_selectorIlNS0_10empty_typeEEEZNS1_21merge_sort_block_sortIS3_PlS8_PS5_S9_ZN2at6native12_GLOBAL__N_124unique_dim_cuda_templateIiEESt5tupleIJNSA_6TensorESF_SF_EERKSF_lbbbEUlllE_EE10hipError_tT0_T1_T2_T3_mRjT4_P12ihipStream_tbNS1_7vsmem_tEEUlT_E_NS1_11comp_targetILNS1_3genE4ELNS1_11target_archE910ELNS1_3gpuE8ELNS1_3repE0EEENS1_30default_config_static_selectorELNS0_4arch9wavefront6targetE1EEEvSM_: ; @_ZN7rocprim17ROCPRIM_400000_NS6detail17trampoline_kernelINS0_14default_configENS1_37merge_sort_block_sort_config_selectorIlNS0_10empty_typeEEEZNS1_21merge_sort_block_sortIS3_PlS8_PS5_S9_ZN2at6native12_GLOBAL__N_124unique_dim_cuda_templateIiEESt5tupleIJNSA_6TensorESF_SF_EERKSF_lbbbEUlllE_EE10hipError_tT0_T1_T2_T3_mRjT4_P12ihipStream_tbNS1_7vsmem_tEEUlT_E_NS1_11comp_targetILNS1_3genE4ELNS1_11target_archE910ELNS1_3gpuE8ELNS1_3repE0EEENS1_30default_config_static_selectorELNS0_4arch9wavefront6targetE1EEEvSM_
; %bb.0:
	s_load_dwordx2 s[12:13], s[4:5], 0x48
	s_load_dword s0, s[4:5], 0x0
	s_add_u32 s10, s4, 0x48
	s_addc_u32 s11, s5, 0
	s_waitcnt lgkmcnt(0)
	s_mul_i32 s1, s13, s8
	s_add_i32 s1, s1, s7
	s_mul_i32 s1, s1, s12
	s_add_i32 s14, s1, s6
	s_cmp_ge_u32 s14, s0
	s_cbranch_scc1 .LBB385_876
; %bb.1:
	s_load_dwordx2 s[22:23], s[4:5], 0x8
	s_load_dwordx4 s[0:3], s[4:5], 0x18
	s_load_dwordx4 s[16:19], s[4:5], 0x38
	s_mov_b32 s15, 0
	s_lshl_b64 s[4:5], s[14:15], 13
	s_waitcnt lgkmcnt(0)
	s_lshr_b64 s[24:25], s[22:23], 10
	s_add_u32 s8, s0, s4
	s_addc_u32 s9, s1, s5
	s_add_u32 s20, s2, s4
	s_addc_u32 s21, s3, s5
	v_and_b32_e32 v12, 0x3ff, v0
	s_cmp_lg_u64 s[24:25], s[14:15]
	v_bfe_u32 v28, v0, 10, 10
	v_bfe_u32 v29, v0, 20, 10
	v_lshlrev_b32_e32 v26, 3, v12
	v_lshrrev_b32_e32 v31, 2, v12
	v_lshlrev_b32_e32 v27, 2, v12
	v_lshrrev_b32_e32 v30, 3, v12
	v_cmp_gt_i64_e64 s[24:25], s[16:17], 0
	s_cbranch_scc0 .LBB385_8
; %bb.2:
	v_mov_b32_e32 v0, s9
	v_add_co_u32_e32 v4, vcc, s8, v26
	v_addc_co_u32_e32 v5, vcc, 0, v0, vcc
	v_add_co_u32_e32 v4, vcc, 0x1000, v4
	v_addc_co_u32_e32 v5, vcc, 0, v5, vcc
	global_load_dwordx2 v[0:1], v26, s[8:9]
	global_load_dwordx2 v[2:3], v26, s[8:9] offset:2048
	global_load_dwordx2 v[6:7], v[4:5], off
	global_load_dwordx2 v[8:9], v[4:5], off offset:2048
	v_and_b32_e32 v4, 0xf8, v31
	v_add_u32_e32 v5, 0x100, v12
	v_add_u32_e32 v10, 0x200, v12
	;; [unrolled: 1-line block ×4, first 2 shown]
	v_lshrrev_b32_e32 v4, 2, v5
	v_lshrrev_b32_e32 v5, 2, v10
	;; [unrolled: 1-line block ×3, first 2 shown]
	v_add_lshl_u32 v33, v30, v27, 3
	v_and_b32_e32 v4, 0x1f8, v4
	v_and_b32_e32 v5, 0x1f8, v5
	;; [unrolled: 1-line block ×3, first 2 shown]
	v_add_u32_e32 v34, v4, v26
	v_add_u32_e32 v35, v5, v26
	;; [unrolled: 1-line block ×3, first 2 shown]
	v_mov_b32_e32 v13, 0
	s_waitcnt vmcnt(3)
	ds_write_b64 v32, v[0:1]
	s_waitcnt vmcnt(2)
	ds_write_b64 v34, v[2:3] offset:2048
	s_waitcnt vmcnt(1)
	ds_write_b64 v35, v[6:7] offset:4096
	;; [unrolled: 2-line block ×3, first 2 shown]
	s_waitcnt lgkmcnt(0)
	s_barrier
	ds_read2_b64 v[8:11], v33 offset1:1
	ds_read2_b64 v[4:7], v33 offset0:2 offset1:3
	s_waitcnt lgkmcnt(0)
	s_barrier
	s_load_dword s0, s[10:11], 0xc
	v_mov_b32_e32 v0, v8
	v_mov_b32_e32 v1, v9
	;; [unrolled: 1-line block ×4, first 2 shown]
	s_waitcnt lgkmcnt(0)
	s_lshr_b32 s2, s0, 16
	s_cmp_lt_u32 s6, s12
	s_cselect_b32 s0, 12, 18
	s_add_u32 s0, s10, s0
	s_addc_u32 s1, s11, 0
	global_load_ushort v14, v13, s[0:1]
	v_mad_u32_u24 v15, v29, s2, v28
	s_movk_i32 s0, 0x400
	s_waitcnt vmcnt(0)
	v_mul_lo_u32 v14, v15, v14
	v_add_lshl_u32 v37, v14, v12, 2
	v_cmp_gt_u32_e32 vcc, s0, v37
	s_and_saveexec_b64 s[26:27], vcc
	s_cbranch_execz .LBB385_62
; %bb.3:
	v_cndmask_b32_e64 v14, 0, 1, s[24:25]
	v_cmp_ne_u32_e64 s[0:1], 1, v14
	s_andn2_b64 vcc, exec, s[24:25]
	s_cbranch_vccnz .LBB385_14
; %bb.4:
	v_mul_lo_u32 v16, v11, s16
	v_mul_lo_u32 v17, v10, s17
	v_mad_u64_u32 v[14:15], s[2:3], v10, s16, 0
	v_add3_u32 v15, v15, v17, v16
	v_lshlrev_b64 v[14:15], 2, v[14:15]
	v_mov_b32_e32 v16, s19
	v_add_co_u32_e32 v14, vcc, s18, v14
	v_addc_co_u32_e32 v15, vcc, v16, v15, vcc
	v_mul_lo_u32 v18, v9, s16
	v_mul_lo_u32 v19, v8, s17
	v_mad_u64_u32 v[16:17], s[2:3], v8, s16, 0
	v_add3_u32 v17, v17, v19, v18
	v_lshlrev_b64 v[16:17], 2, v[16:17]
	v_mov_b32_e32 v18, s19
	v_add_co_u32_e32 v16, vcc, s18, v16
	v_addc_co_u32_e32 v17, vcc, v18, v17, vcc
	s_mov_b64 s[34:35], 0
	s_mov_b64 s[42:43], s[16:17]
                                        ; implicit-def: $sgpr28_sgpr29
                                        ; implicit-def: $sgpr30_sgpr31
                                        ; implicit-def: $sgpr38_sgpr39
                                        ; implicit-def: $sgpr36_sgpr37
                                        ; implicit-def: $sgpr40_sgpr41
                                        ; implicit-def: $sgpr44_sgpr45
	s_branch .LBB385_6
.LBB385_5:                              ;   in Loop: Header=BB385_6 Depth=1
	s_or_b64 exec, exec, s[46:47]
	s_and_b64 s[4:5], exec, s[38:39]
	s_or_b64 s[34:35], s[4:5], s[34:35]
	s_andn2_b64 s[4:5], s[44:45], exec
	s_and_b64 s[44:45], s[40:41], exec
	s_or_b64 s[44:45], s[4:5], s[44:45]
	s_andn2_b64 s[4:5], s[30:31], exec
	s_and_b64 s[30:31], s[36:37], exec
	;; [unrolled: 3-line block ×3, first 2 shown]
	s_or_b64 s[28:29], s[4:5], s[2:3]
	s_andn2_b64 exec, exec, s[34:35]
	s_cbranch_execz .LBB385_9
.LBB385_6:                              ; =>This Inner Loop Header: Depth=1
	global_load_dword v18, v[14:15], off
	global_load_dword v19, v[16:17], off
	s_andn2_b64 s[40:41], s[40:41], exec
	s_or_b64 s[36:37], s[36:37], exec
	s_or_b64 s[38:39], s[38:39], exec
	s_waitcnt vmcnt(0)
	v_cmp_le_i32_e64 s[2:3], v18, v19
	v_cmp_lt_i32_e32 vcc, v18, v19
	s_and_b64 s[2:3], s[2:3], s[44:45]
	v_cmp_eq_u32_e64 s[4:5], v18, v19
	s_or_b64 s[2:3], vcc, s[2:3]
	s_and_saveexec_b64 s[46:47], s[4:5]
	s_cbranch_execz .LBB385_5
; %bb.7:                                ;   in Loop: Header=BB385_6 Depth=1
	s_add_u32 s42, s42, -1
	s_addc_u32 s43, s43, -1
	v_add_co_u32_e32 v14, vcc, 4, v14
	s_cmp_eq_u64 s[42:43], 0
	v_addc_co_u32_e32 v15, vcc, 0, v15, vcc
	s_cselect_b64 s[4:5], -1, 0
	v_add_co_u32_e32 v16, vcc, 4, v16
	s_andn2_b64 s[40:41], s[40:41], exec
	s_and_b64 s[44:45], s[2:3], exec
	s_andn2_b64 s[38:39], s[38:39], exec
	s_and_b64 s[4:5], s[4:5], exec
	v_addc_co_u32_e32 v17, vcc, 0, v17, vcc
	s_or_b64 s[40:41], s[40:41], s[44:45]
	s_andn2_b64 s[36:37], s[36:37], exec
	s_or_b64 s[38:39], s[38:39], s[4:5]
                                        ; implicit-def: $sgpr44_sgpr45
	s_branch .LBB385_5
.LBB385_8:
	s_mov_b64 s[24:25], 0
                                        ; implicit-def: $vgpr0_vgpr1
	s_cbranch_execnz .LBB385_519
	s_branch .LBB385_874
.LBB385_9:
	s_or_b64 exec, exec, s[34:35]
	s_and_saveexec_b64 s[2:3], s[30:31]
	s_xor_b64 s[2:3], exec, s[2:3]
	s_cbranch_execz .LBB385_13
; %bb.10:
	v_pk_mov_b32 v[14:15], v[10:11], v[10:11] op_sel:[0,1]
	s_and_saveexec_b64 s[4:5], s[28:29]
; %bb.11:
	v_mov_b32_e32 v0, v10
	v_mov_b32_e32 v1, v11
	;; [unrolled: 1-line block ×4, first 2 shown]
	v_pk_mov_b32 v[14:15], v[8:9], v[8:9] op_sel:[0,1]
	v_pk_mov_b32 v[8:9], v[10:11], v[10:11] op_sel:[0,1]
; %bb.12:
	s_or_b64 exec, exec, s[4:5]
	v_pk_mov_b32 v[10:11], v[14:15], v[14:15] op_sel:[0,1]
.LBB385_13:
	s_or_b64 exec, exec, s[2:3]
.LBB385_14:
	v_mul_lo_u32 v20, v5, s16
	v_mul_lo_u32 v21, v4, s17
	v_mad_u64_u32 v[18:19], s[2:3], v4, s16, 0
	v_mov_b32_e32 v16, v6
	v_mov_b32_e32 v17, v7
	;; [unrolled: 1-line block ×4, first 2 shown]
	s_and_b64 vcc, exec, s[0:1]
	v_add3_u32 v19, v19, v21, v20
	s_cbranch_vccnz .LBB385_24
; %bb.15:
	v_mul_lo_u32 v22, v7, s16
	v_mul_lo_u32 v23, v6, s17
	v_mad_u64_u32 v[20:21], s[2:3], v6, s16, 0
	v_add3_u32 v21, v21, v23, v22
	v_lshlrev_b64 v[22:23], 2, v[20:21]
	v_mov_b32_e32 v24, s19
	v_add_co_u32_e32 v22, vcc, s18, v22
	v_addc_co_u32_e32 v23, vcc, v24, v23, vcc
	v_lshlrev_b64 v[24:25], 2, v[18:19]
	v_mov_b32_e32 v38, s19
	v_add_co_u32_e32 v24, vcc, s18, v24
	v_addc_co_u32_e32 v25, vcc, v38, v25, vcc
	s_mov_b64 s[34:35], 0
	s_mov_b64 s[42:43], s[16:17]
                                        ; implicit-def: $sgpr28_sgpr29
                                        ; implicit-def: $sgpr30_sgpr31
                                        ; implicit-def: $sgpr38_sgpr39
                                        ; implicit-def: $sgpr36_sgpr37
                                        ; implicit-def: $sgpr40_sgpr41
                                        ; implicit-def: $sgpr44_sgpr45
	s_branch .LBB385_17
.LBB385_16:                             ;   in Loop: Header=BB385_17 Depth=1
	s_or_b64 exec, exec, s[46:47]
	s_and_b64 s[4:5], exec, s[38:39]
	s_or_b64 s[34:35], s[4:5], s[34:35]
	s_andn2_b64 s[4:5], s[44:45], exec
	s_and_b64 s[44:45], s[40:41], exec
	s_or_b64 s[44:45], s[4:5], s[44:45]
	s_andn2_b64 s[4:5], s[30:31], exec
	s_and_b64 s[30:31], s[36:37], exec
	;; [unrolled: 3-line block ×3, first 2 shown]
	s_or_b64 s[28:29], s[4:5], s[2:3]
	s_andn2_b64 exec, exec, s[34:35]
	s_cbranch_execz .LBB385_19
.LBB385_17:                             ; =>This Inner Loop Header: Depth=1
	global_load_dword v38, v[22:23], off
	global_load_dword v39, v[24:25], off
	s_andn2_b64 s[40:41], s[40:41], exec
	s_or_b64 s[36:37], s[36:37], exec
	s_or_b64 s[38:39], s[38:39], exec
	s_waitcnt vmcnt(0)
	v_cmp_le_i32_e64 s[2:3], v38, v39
	v_cmp_lt_i32_e32 vcc, v38, v39
	s_and_b64 s[2:3], s[2:3], s[44:45]
	v_cmp_eq_u32_e64 s[4:5], v38, v39
	s_or_b64 s[2:3], vcc, s[2:3]
	s_and_saveexec_b64 s[46:47], s[4:5]
	s_cbranch_execz .LBB385_16
; %bb.18:                               ;   in Loop: Header=BB385_17 Depth=1
	s_add_u32 s42, s42, -1
	s_addc_u32 s43, s43, -1
	v_add_co_u32_e32 v22, vcc, 4, v22
	s_cmp_eq_u64 s[42:43], 0
	v_addc_co_u32_e32 v23, vcc, 0, v23, vcc
	s_cselect_b64 s[4:5], -1, 0
	v_add_co_u32_e32 v24, vcc, 4, v24
	s_andn2_b64 s[40:41], s[40:41], exec
	s_and_b64 s[44:45], s[2:3], exec
	s_andn2_b64 s[38:39], s[38:39], exec
	s_and_b64 s[4:5], s[4:5], exec
	v_addc_co_u32_e32 v25, vcc, 0, v25, vcc
	s_or_b64 s[40:41], s[40:41], s[44:45]
	s_andn2_b64 s[36:37], s[36:37], exec
	s_or_b64 s[38:39], s[38:39], s[4:5]
                                        ; implicit-def: $sgpr44_sgpr45
	s_branch .LBB385_16
.LBB385_19:
	s_or_b64 exec, exec, s[34:35]
	s_and_saveexec_b64 s[2:3], s[30:31]
	s_xor_b64 s[2:3], exec, s[2:3]
	s_cbranch_execz .LBB385_23
; %bb.20:
	s_and_saveexec_b64 s[4:5], s[28:29]
	s_cbranch_execz .LBB385_22
; %bb.21:
	v_mov_b32_e32 v38, v0
	v_mov_b32_e32 v39, v1
	;; [unrolled: 1-line block ×8, first 2 shown]
	v_pk_mov_b32 v[22:23], v[16:17], v[16:17] op_sel:[0,1]
	v_pk_mov_b32 v[0:1], v[38:39], v[38:39] op_sel:[0,1]
	;; [unrolled: 1-line block ×8, first 2 shown]
.LBB385_22:
	s_or_b64 exec, exec, s[4:5]
.LBB385_23:
	s_or_b64 exec, exec, s[2:3]
.LBB385_24:
	v_mul_lo_u32 v22, v11, s16
	v_mul_lo_u32 v23, v10, s17
	v_mad_u64_u32 v[20:21], s[2:3], v10, s16, 0
	s_and_b64 vcc, exec, s[0:1]
	v_add3_u32 v21, v21, v23, v22
	s_cbranch_vccnz .LBB385_34
; %bb.25:
	v_lshlrev_b64 v[22:23], 2, v[18:19]
	v_mov_b32_e32 v24, s19
	v_add_co_u32_e32 v22, vcc, s18, v22
	v_addc_co_u32_e32 v23, vcc, v24, v23, vcc
	v_lshlrev_b64 v[24:25], 2, v[20:21]
	v_mov_b32_e32 v38, s19
	v_add_co_u32_e32 v24, vcc, s18, v24
	v_addc_co_u32_e32 v25, vcc, v38, v25, vcc
	s_mov_b64 s[34:35], 0
	s_mov_b64 s[42:43], s[16:17]
                                        ; implicit-def: $sgpr28_sgpr29
                                        ; implicit-def: $sgpr30_sgpr31
                                        ; implicit-def: $sgpr38_sgpr39
                                        ; implicit-def: $sgpr36_sgpr37
                                        ; implicit-def: $sgpr40_sgpr41
                                        ; implicit-def: $sgpr44_sgpr45
	s_branch .LBB385_27
.LBB385_26:                             ;   in Loop: Header=BB385_27 Depth=1
	s_or_b64 exec, exec, s[46:47]
	s_and_b64 s[4:5], exec, s[38:39]
	s_or_b64 s[34:35], s[4:5], s[34:35]
	s_andn2_b64 s[4:5], s[44:45], exec
	s_and_b64 s[44:45], s[40:41], exec
	s_or_b64 s[44:45], s[4:5], s[44:45]
	s_andn2_b64 s[4:5], s[30:31], exec
	s_and_b64 s[30:31], s[36:37], exec
	;; [unrolled: 3-line block ×3, first 2 shown]
	s_or_b64 s[28:29], s[4:5], s[2:3]
	s_andn2_b64 exec, exec, s[34:35]
	s_cbranch_execz .LBB385_29
.LBB385_27:                             ; =>This Inner Loop Header: Depth=1
	global_load_dword v38, v[22:23], off
	global_load_dword v39, v[24:25], off
	s_andn2_b64 s[40:41], s[40:41], exec
	s_or_b64 s[36:37], s[36:37], exec
	s_or_b64 s[38:39], s[38:39], exec
	s_waitcnt vmcnt(0)
	v_cmp_le_i32_e64 s[2:3], v38, v39
	v_cmp_lt_i32_e32 vcc, v38, v39
	s_and_b64 s[2:3], s[2:3], s[44:45]
	v_cmp_eq_u32_e64 s[4:5], v38, v39
	s_or_b64 s[2:3], vcc, s[2:3]
	s_and_saveexec_b64 s[46:47], s[4:5]
	s_cbranch_execz .LBB385_26
; %bb.28:                               ;   in Loop: Header=BB385_27 Depth=1
	s_add_u32 s42, s42, -1
	s_addc_u32 s43, s43, -1
	v_add_co_u32_e32 v22, vcc, 4, v22
	s_cmp_eq_u64 s[42:43], 0
	v_addc_co_u32_e32 v23, vcc, 0, v23, vcc
	s_cselect_b64 s[4:5], -1, 0
	v_add_co_u32_e32 v24, vcc, 4, v24
	s_andn2_b64 s[40:41], s[40:41], exec
	s_and_b64 s[44:45], s[2:3], exec
	s_andn2_b64 s[38:39], s[38:39], exec
	s_and_b64 s[4:5], s[4:5], exec
	v_addc_co_u32_e32 v25, vcc, 0, v25, vcc
	s_or_b64 s[40:41], s[40:41], s[44:45]
	s_andn2_b64 s[36:37], s[36:37], exec
	s_or_b64 s[38:39], s[38:39], s[4:5]
                                        ; implicit-def: $sgpr44_sgpr45
	s_branch .LBB385_26
.LBB385_29:
	s_or_b64 exec, exec, s[34:35]
	s_and_saveexec_b64 s[2:3], s[30:31]
	s_xor_b64 s[2:3], exec, s[2:3]
	s_cbranch_execz .LBB385_33
; %bb.30:
	v_pk_mov_b32 v[22:23], v[10:11], v[10:11] op_sel:[0,1]
	s_and_saveexec_b64 s[4:5], s[28:29]
; %bb.31:
	v_mov_b32_e32 v2, v14
	v_mov_b32_e32 v3, v15
	;; [unrolled: 1-line block ×4, first 2 shown]
	v_pk_mov_b32 v[22:23], v[14:15], v[14:15] op_sel:[0,1]
	v_pk_mov_b32 v[14:15], v[10:11], v[10:11] op_sel:[0,1]
	;; [unrolled: 1-line block ×3, first 2 shown]
; %bb.32:
	s_or_b64 exec, exec, s[4:5]
	v_pk_mov_b32 v[10:11], v[22:23], v[22:23] op_sel:[0,1]
.LBB385_33:
	s_or_b64 exec, exec, s[2:3]
.LBB385_34:
	s_and_b64 vcc, exec, s[0:1]
	s_cbranch_vccnz .LBB385_44
; %bb.35:
	v_lshlrev_b64 v[18:19], 2, v[20:21]
	v_mov_b32_e32 v20, s19
	v_add_co_u32_e32 v18, vcc, s18, v18
	v_addc_co_u32_e32 v19, vcc, v20, v19, vcc
	v_mul_lo_u32 v22, v9, s16
	v_mul_lo_u32 v23, v8, s17
	v_mad_u64_u32 v[20:21], s[2:3], v8, s16, 0
	v_add3_u32 v21, v21, v23, v22
	v_lshlrev_b64 v[20:21], 2, v[20:21]
	v_mov_b32_e32 v22, s19
	v_add_co_u32_e32 v20, vcc, s18, v20
	v_addc_co_u32_e32 v21, vcc, v22, v21, vcc
	s_mov_b64 s[34:35], 0
	s_mov_b64 s[42:43], s[16:17]
                                        ; implicit-def: $sgpr28_sgpr29
                                        ; implicit-def: $sgpr30_sgpr31
                                        ; implicit-def: $sgpr38_sgpr39
                                        ; implicit-def: $sgpr36_sgpr37
                                        ; implicit-def: $sgpr40_sgpr41
                                        ; implicit-def: $sgpr44_sgpr45
	s_branch .LBB385_37
.LBB385_36:                             ;   in Loop: Header=BB385_37 Depth=1
	s_or_b64 exec, exec, s[46:47]
	s_and_b64 s[4:5], exec, s[38:39]
	s_or_b64 s[34:35], s[4:5], s[34:35]
	s_andn2_b64 s[4:5], s[44:45], exec
	s_and_b64 s[44:45], s[40:41], exec
	s_or_b64 s[44:45], s[4:5], s[44:45]
	s_andn2_b64 s[4:5], s[30:31], exec
	s_and_b64 s[30:31], s[36:37], exec
	;; [unrolled: 3-line block ×3, first 2 shown]
	s_or_b64 s[28:29], s[4:5], s[2:3]
	s_andn2_b64 exec, exec, s[34:35]
	s_cbranch_execz .LBB385_39
.LBB385_37:                             ; =>This Inner Loop Header: Depth=1
	global_load_dword v22, v[18:19], off
	global_load_dword v23, v[20:21], off
	s_andn2_b64 s[40:41], s[40:41], exec
	s_or_b64 s[36:37], s[36:37], exec
	s_or_b64 s[38:39], s[38:39], exec
	s_waitcnt vmcnt(0)
	v_cmp_le_i32_e64 s[2:3], v22, v23
	v_cmp_lt_i32_e32 vcc, v22, v23
	s_and_b64 s[2:3], s[2:3], s[44:45]
	v_cmp_eq_u32_e64 s[4:5], v22, v23
	s_or_b64 s[2:3], vcc, s[2:3]
	s_and_saveexec_b64 s[46:47], s[4:5]
	s_cbranch_execz .LBB385_36
; %bb.38:                               ;   in Loop: Header=BB385_37 Depth=1
	s_add_u32 s42, s42, -1
	s_addc_u32 s43, s43, -1
	v_add_co_u32_e32 v18, vcc, 4, v18
	s_cmp_eq_u64 s[42:43], 0
	v_addc_co_u32_e32 v19, vcc, 0, v19, vcc
	s_cselect_b64 s[4:5], -1, 0
	v_add_co_u32_e32 v20, vcc, 4, v20
	s_andn2_b64 s[40:41], s[40:41], exec
	s_and_b64 s[44:45], s[2:3], exec
	s_andn2_b64 s[38:39], s[38:39], exec
	s_and_b64 s[4:5], s[4:5], exec
	v_addc_co_u32_e32 v21, vcc, 0, v21, vcc
	s_or_b64 s[40:41], s[40:41], s[44:45]
	s_andn2_b64 s[36:37], s[36:37], exec
	s_or_b64 s[38:39], s[38:39], s[4:5]
                                        ; implicit-def: $sgpr44_sgpr45
	s_branch .LBB385_36
.LBB385_39:
	s_or_b64 exec, exec, s[34:35]
	s_and_saveexec_b64 s[2:3], s[30:31]
	s_xor_b64 s[2:3], exec, s[2:3]
	s_cbranch_execz .LBB385_43
; %bb.40:
	v_pk_mov_b32 v[18:19], v[10:11], v[10:11] op_sel:[0,1]
	s_and_saveexec_b64 s[4:5], s[28:29]
; %bb.41:
	v_mov_b32_e32 v0, v10
	v_mov_b32_e32 v1, v11
	;; [unrolled: 1-line block ×4, first 2 shown]
	v_pk_mov_b32 v[18:19], v[8:9], v[8:9] op_sel:[0,1]
	v_pk_mov_b32 v[8:9], v[10:11], v[10:11] op_sel:[0,1]
; %bb.42:
	s_or_b64 exec, exec, s[4:5]
	v_pk_mov_b32 v[10:11], v[18:19], v[18:19] op_sel:[0,1]
.LBB385_43:
	s_or_b64 exec, exec, s[2:3]
.LBB385_44:
	v_mul_lo_u32 v20, v15, s16
	v_mul_lo_u32 v21, v14, s17
	v_mad_u64_u32 v[18:19], s[2:3], v14, s16, 0
	s_and_b64 vcc, exec, s[0:1]
	v_add3_u32 v19, v19, v21, v20
	s_cbranch_vccnz .LBB385_54
; %bb.45:
	v_mul_lo_u32 v22, v17, s16
	v_mul_lo_u32 v23, v16, s17
	v_mad_u64_u32 v[20:21], s[2:3], v16, s16, 0
	v_add3_u32 v21, v21, v23, v22
	v_lshlrev_b64 v[22:23], 2, v[20:21]
	v_mov_b32_e32 v24, s19
	v_add_co_u32_e32 v22, vcc, s18, v22
	v_addc_co_u32_e32 v23, vcc, v24, v23, vcc
	v_lshlrev_b64 v[24:25], 2, v[18:19]
	v_mov_b32_e32 v38, s19
	v_add_co_u32_e32 v24, vcc, s18, v24
	v_addc_co_u32_e32 v25, vcc, v38, v25, vcc
	s_mov_b64 s[34:35], 0
	s_mov_b64 s[42:43], s[16:17]
                                        ; implicit-def: $sgpr28_sgpr29
                                        ; implicit-def: $sgpr30_sgpr31
                                        ; implicit-def: $sgpr38_sgpr39
                                        ; implicit-def: $sgpr36_sgpr37
                                        ; implicit-def: $sgpr40_sgpr41
                                        ; implicit-def: $sgpr44_sgpr45
	s_branch .LBB385_47
.LBB385_46:                             ;   in Loop: Header=BB385_47 Depth=1
	s_or_b64 exec, exec, s[46:47]
	s_and_b64 s[4:5], exec, s[38:39]
	s_or_b64 s[34:35], s[4:5], s[34:35]
	s_andn2_b64 s[4:5], s[44:45], exec
	s_and_b64 s[44:45], s[40:41], exec
	s_or_b64 s[44:45], s[4:5], s[44:45]
	s_andn2_b64 s[4:5], s[30:31], exec
	s_and_b64 s[30:31], s[36:37], exec
	;; [unrolled: 3-line block ×3, first 2 shown]
	s_or_b64 s[28:29], s[4:5], s[2:3]
	s_andn2_b64 exec, exec, s[34:35]
	s_cbranch_execz .LBB385_49
.LBB385_47:                             ; =>This Inner Loop Header: Depth=1
	global_load_dword v38, v[22:23], off
	global_load_dword v39, v[24:25], off
	s_andn2_b64 s[40:41], s[40:41], exec
	s_or_b64 s[36:37], s[36:37], exec
	s_or_b64 s[38:39], s[38:39], exec
	s_waitcnt vmcnt(0)
	v_cmp_le_i32_e64 s[2:3], v38, v39
	v_cmp_lt_i32_e32 vcc, v38, v39
	s_and_b64 s[2:3], s[2:3], s[44:45]
	v_cmp_eq_u32_e64 s[4:5], v38, v39
	s_or_b64 s[2:3], vcc, s[2:3]
	s_and_saveexec_b64 s[46:47], s[4:5]
	s_cbranch_execz .LBB385_46
; %bb.48:                               ;   in Loop: Header=BB385_47 Depth=1
	s_add_u32 s42, s42, -1
	s_addc_u32 s43, s43, -1
	v_add_co_u32_e32 v22, vcc, 4, v22
	s_cmp_eq_u64 s[42:43], 0
	v_addc_co_u32_e32 v23, vcc, 0, v23, vcc
	s_cselect_b64 s[4:5], -1, 0
	v_add_co_u32_e32 v24, vcc, 4, v24
	s_andn2_b64 s[40:41], s[40:41], exec
	s_and_b64 s[44:45], s[2:3], exec
	s_andn2_b64 s[38:39], s[38:39], exec
	s_and_b64 s[4:5], s[4:5], exec
	v_addc_co_u32_e32 v25, vcc, 0, v25, vcc
	s_or_b64 s[40:41], s[40:41], s[44:45]
	s_andn2_b64 s[36:37], s[36:37], exec
	s_or_b64 s[38:39], s[38:39], s[4:5]
                                        ; implicit-def: $sgpr44_sgpr45
	s_branch .LBB385_46
.LBB385_49:
	s_or_b64 exec, exec, s[34:35]
	s_and_saveexec_b64 s[2:3], s[30:31]
	s_xor_b64 s[2:3], exec, s[2:3]
	s_cbranch_execz .LBB385_53
; %bb.50:
	s_and_saveexec_b64 s[4:5], s[28:29]
; %bb.51:
	v_mov_b32_e32 v4, v16
	v_mov_b32_e32 v5, v17
	;; [unrolled: 1-line block ×4, first 2 shown]
	v_pk_mov_b32 v[14:15], v[16:17], v[16:17] op_sel:[0,1]
	v_pk_mov_b32 v[18:19], v[20:21], v[20:21] op_sel:[0,1]
; %bb.52:
	s_or_b64 exec, exec, s[4:5]
.LBB385_53:
	s_or_b64 exec, exec, s[2:3]
.LBB385_54:
	s_and_b64 vcc, exec, s[0:1]
	s_cbranch_vccnz .LBB385_62
; %bb.55:
	v_lshlrev_b64 v[16:17], 2, v[18:19]
	v_mov_b32_e32 v18, s19
	v_add_co_u32_e32 v16, vcc, s18, v16
	v_addc_co_u32_e32 v17, vcc, v18, v17, vcc
	v_mul_lo_u32 v20, v11, s16
	v_mul_lo_u32 v21, v10, s17
	v_mad_u64_u32 v[18:19], s[0:1], v10, s16, 0
	v_add3_u32 v19, v19, v21, v20
	v_lshlrev_b64 v[18:19], 2, v[18:19]
	v_mov_b32_e32 v20, s19
	v_add_co_u32_e32 v18, vcc, s18, v18
	v_addc_co_u32_e32 v19, vcc, v20, v19, vcc
	s_mov_b64 s[28:29], 0
	s_mov_b64 s[40:41], s[16:17]
                                        ; implicit-def: $sgpr4_sgpr5
                                        ; implicit-def: $sgpr30_sgpr31
                                        ; implicit-def: $sgpr36_sgpr37
                                        ; implicit-def: $sgpr34_sgpr35
                                        ; implicit-def: $sgpr38_sgpr39
                                        ; implicit-def: $sgpr42_sgpr43
	s_branch .LBB385_57
.LBB385_56:                             ;   in Loop: Header=BB385_57 Depth=1
	s_or_b64 exec, exec, s[44:45]
	s_and_b64 s[2:3], exec, s[36:37]
	s_or_b64 s[28:29], s[2:3], s[28:29]
	s_andn2_b64 s[2:3], s[42:43], exec
	s_and_b64 s[42:43], s[38:39], exec
	s_or_b64 s[42:43], s[2:3], s[42:43]
	s_andn2_b64 s[2:3], s[30:31], exec
	s_and_b64 s[30:31], s[34:35], exec
	s_or_b64 s[30:31], s[2:3], s[30:31]
	s_andn2_b64 s[2:3], s[4:5], exec
	s_and_b64 s[0:1], s[0:1], exec
	s_or_b64 s[4:5], s[2:3], s[0:1]
	s_andn2_b64 exec, exec, s[28:29]
	s_cbranch_execz .LBB385_59
.LBB385_57:                             ; =>This Inner Loop Header: Depth=1
	global_load_dword v20, v[16:17], off
	global_load_dword v21, v[18:19], off
	s_andn2_b64 s[38:39], s[38:39], exec
	s_or_b64 s[34:35], s[34:35], exec
	s_or_b64 s[36:37], s[36:37], exec
	s_waitcnt vmcnt(0)
	v_cmp_le_i32_e64 s[0:1], v20, v21
	v_cmp_lt_i32_e32 vcc, v20, v21
	s_and_b64 s[0:1], s[0:1], s[42:43]
	v_cmp_eq_u32_e64 s[2:3], v20, v21
	s_or_b64 s[0:1], vcc, s[0:1]
	s_and_saveexec_b64 s[44:45], s[2:3]
	s_cbranch_execz .LBB385_56
; %bb.58:                               ;   in Loop: Header=BB385_57 Depth=1
	s_add_u32 s40, s40, -1
	s_addc_u32 s41, s41, -1
	v_add_co_u32_e32 v16, vcc, 4, v16
	s_cmp_eq_u64 s[40:41], 0
	v_addc_co_u32_e32 v17, vcc, 0, v17, vcc
	s_cselect_b64 s[2:3], -1, 0
	v_add_co_u32_e32 v18, vcc, 4, v18
	s_andn2_b64 s[38:39], s[38:39], exec
	s_and_b64 s[42:43], s[0:1], exec
	s_andn2_b64 s[36:37], s[36:37], exec
	s_and_b64 s[2:3], s[2:3], exec
	v_addc_co_u32_e32 v19, vcc, 0, v19, vcc
	s_or_b64 s[38:39], s[38:39], s[42:43]
	s_andn2_b64 s[34:35], s[34:35], exec
	s_or_b64 s[36:37], s[36:37], s[2:3]
                                        ; implicit-def: $sgpr42_sgpr43
	s_branch .LBB385_56
.LBB385_59:
	s_or_b64 exec, exec, s[28:29]
	s_and_saveexec_b64 s[0:1], s[30:31]
	s_xor_b64 s[0:1], exec, s[0:1]
; %bb.60:
	v_cndmask_b32_e64 v5, v5, v11, s[4:5]
	v_cndmask_b32_e64 v4, v4, v10, s[4:5]
	;; [unrolled: 1-line block ×4, first 2 shown]
; %bb.61:
	s_or_b64 exec, exec, s[0:1]
.LBB385_62:
	s_or_b64 exec, exec, s[26:27]
	v_mbcnt_lo_u32_b32 v10, -1, 0
	v_and_b32_e32 v11, 0xffffff00, v37
	v_mbcnt_hi_u32_b32 v10, -1, v10
	s_movk_i32 s0, 0x400
	v_lshlrev_b32_e32 v16, 3, v11
	v_sub_u32_e64 v17, s0, v11 clamp
	v_lshlrev_b32_e32 v18, 2, v10
	v_lshl_add_u32 v19, v10, 5, v16
	v_mov_b32_e32 v10, v2
	v_mov_b32_e32 v11, v3
	ds_write_b128 v19, v[8:11]
	ds_write_b128 v19, v[4:7] offset:16
	v_or_b32_e32 v8, 4, v18
	v_min_u32_e32 v14, v17, v8
	v_add_u32_e32 v8, 4, v14
	v_and_b32_e32 v22, 0x1f8, v18
	v_min_u32_e32 v15, v17, v8
	v_and_b32_e32 v8, 4, v18
	v_min_u32_e32 v23, v17, v8
	v_sub_u32_e32 v8, v14, v22
	v_sub_u32_e32 v9, v15, v14
	v_sub_u32_e64 v21, v23, v9 clamp
	v_min_u32_e32 v24, v23, v8
	v_lshl_add_u32 v20, v22, 3, v16
	v_cmp_lt_u32_e32 vcc, v21, v24
	; wave barrier
	s_and_saveexec_b64 s[26:27], vcc
	s_cbranch_execz .LBB385_72
; %bb.63:
	v_lshlrev_b32_e32 v8, 3, v14
	v_lshlrev_b32_e32 v9, 3, v23
	v_add3_u32 v25, v16, v8, v9
	v_cndmask_b32_e64 v8, 0, 1, s[24:25]
	s_lshl_b64 s[30:31], s[16:17], 2
	s_mov_b64 s[28:29], 0
	v_cmp_ne_u32_e64 s[0:1], 1, v8
	s_branch .LBB385_66
.LBB385_64:                             ;   in Loop: Header=BB385_66 Depth=1
	s_or_b64 exec, exec, s[36:37]
.LBB385_65:                             ;   in Loop: Header=BB385_66 Depth=1
	v_add_u32_e32 v8, 1, v37
	v_cndmask_b32_e64 v24, v24, v37, s[34:35]
	v_cndmask_b32_e64 v21, v8, v21, s[34:35]
	v_cmp_ge_u32_e32 vcc, v21, v24
	s_or_b64 s[28:29], vcc, s[28:29]
	s_andn2_b64 exec, exec, s[28:29]
	s_cbranch_execz .LBB385_71
.LBB385_66:                             ; =>This Loop Header: Depth=1
                                        ;     Child Loop BB385_69 Depth 2
	v_add_u32_e32 v8, v24, v21
	v_lshrrev_b32_e32 v37, 1, v8
	s_and_b64 vcc, exec, s[0:1]
	s_mov_b64 s[34:35], 0
	s_cbranch_vccnz .LBB385_65
; %bb.67:                               ;   in Loop: Header=BB385_66 Depth=1
	v_not_b32_e32 v8, v37
	v_lshl_add_u32 v8, v8, 3, v25
	ds_read_b64 v[8:9], v8
	v_lshl_add_u32 v38, v37, 3, v20
	ds_read_b64 v[38:39], v38
	v_pk_mov_b32 v[10:11], s[18:19], s[18:19] op_sel:[0,1]
	s_mov_b64 s[36:37], 0
	s_waitcnt lgkmcnt(1)
	v_mul_lo_u32 v40, s30, v9
	v_mul_lo_u32 v41, s31, v8
	v_mad_u64_u32 v[8:9], s[2:3], s30, v8, v[10:11]
	v_add3_u32 v9, v41, v9, v40
	s_waitcnt lgkmcnt(0)
	v_mul_lo_u32 v39, s30, v39
	v_mul_lo_u32 v40, s31, v38
	v_mad_u64_u32 v[10:11], s[2:3], s30, v38, v[10:11]
	v_add3_u32 v11, v40, v11, v39
	s_mov_b64 s[42:43], s[16:17]
                                        ; implicit-def: $sgpr34_sgpr35
                                        ; implicit-def: $sgpr38_sgpr39
                                        ; implicit-def: $sgpr40_sgpr41
                                        ; implicit-def: $sgpr2_sgpr3
                                        ; implicit-def: $sgpr44_sgpr45
	s_branch .LBB385_69
.LBB385_68:                             ;   in Loop: Header=BB385_69 Depth=2
	s_or_b64 exec, exec, s[46:47]
	s_and_b64 s[4:5], exec, s[38:39]
	s_or_b64 s[36:37], s[4:5], s[36:37]
	s_andn2_b64 s[4:5], s[44:45], exec
	s_and_b64 s[44:45], s[40:41], exec
	s_or_b64 s[44:45], s[4:5], s[44:45]
	s_andn2_b64 s[4:5], s[34:35], exec
	s_and_b64 s[34:35], s[2:3], exec
	s_or_b64 s[34:35], s[4:5], s[34:35]
	s_andn2_b64 exec, exec, s[36:37]
	s_cbranch_execz .LBB385_64
.LBB385_69:                             ;   Parent Loop BB385_66 Depth=1
                                        ; =>  This Inner Loop Header: Depth=2
	global_load_dword v38, v[8:9], off
	global_load_dword v39, v[10:11], off
	s_andn2_b64 s[46:47], s[2:3], exec
	s_andn2_b64 s[40:41], s[40:41], exec
	s_or_b64 s[38:39], s[38:39], exec
	s_waitcnt vmcnt(0)
	v_cmp_le_i32_e64 s[2:3], v38, v39
	v_cmp_lt_i32_e32 vcc, v38, v39
	s_and_b64 s[2:3], s[2:3], s[44:45]
	s_or_b64 s[48:49], vcc, s[2:3]
	s_and_b64 s[2:3], s[48:49], exec
	v_cmp_eq_u32_e64 s[4:5], v38, v39
	s_or_b64 s[2:3], s[46:47], s[2:3]
	s_and_saveexec_b64 s[46:47], s[4:5]
	s_cbranch_execz .LBB385_68
; %bb.70:                               ;   in Loop: Header=BB385_69 Depth=2
	s_add_u32 s42, s42, -1
	s_addc_u32 s43, s43, -1
	v_add_co_u32_e32 v8, vcc, 4, v8
	s_cmp_eq_u64 s[42:43], 0
	v_addc_co_u32_e32 v9, vcc, 0, v9, vcc
	s_cselect_b64 s[4:5], -1, 0
	v_add_co_u32_e32 v10, vcc, 4, v10
	s_andn2_b64 s[40:41], s[40:41], exec
	s_and_b64 s[44:45], s[48:49], exec
	s_andn2_b64 s[38:39], s[38:39], exec
	s_and_b64 s[4:5], s[4:5], exec
	v_addc_co_u32_e32 v11, vcc, 0, v11, vcc
	s_andn2_b64 s[2:3], s[2:3], exec
	s_or_b64 s[40:41], s[40:41], s[44:45]
	s_or_b64 s[38:39], s[38:39], s[4:5]
                                        ; implicit-def: $sgpr44_sgpr45
	s_branch .LBB385_68
.LBB385_71:
	s_or_b64 exec, exec, s[28:29]
.LBB385_72:
	s_or_b64 exec, exec, s[26:27]
	v_add_u32_e32 v9, v14, v23
	v_add_u32_e32 v8, v21, v22
	v_sub_u32_e32 v9, v9, v21
	v_cmp_le_u32_e32 vcc, v8, v14
	v_cmp_le_u32_e64 s[0:1], v9, v15
	s_or_b64 s[0:1], vcc, s[0:1]
	s_and_saveexec_b64 s[4:5], s[0:1]
	s_cbranch_execz .LBB385_119
; %bb.73:
	v_cmp_ge_u32_e32 vcc, v8, v14
	v_cmp_lt_u32_e64 s[0:1], v8, v14
                                        ; implicit-def: $vgpr0_vgpr1
	s_and_saveexec_b64 s[2:3], s[0:1]
	s_cbranch_execz .LBB385_75
; %bb.74:
	v_lshl_add_u32 v0, v21, 3, v20
	ds_read_b64 v[0:1], v0
.LBB385_75:
	s_or_b64 exec, exec, s[2:3]
	v_cmp_ge_u32_e64 s[26:27], v9, v15
	v_cmp_lt_u32_e64 s[0:1], v9, v15
                                        ; implicit-def: $vgpr2_vgpr3
	s_and_saveexec_b64 s[2:3], s[0:1]
	s_cbranch_execz .LBB385_77
; %bb.76:
	v_lshl_add_u32 v2, v9, 3, v16
	ds_read_b64 v[2:3], v2
.LBB385_77:
	s_or_b64 exec, exec, s[2:3]
	s_or_b64 s[0:1], vcc, s[26:27]
	s_mov_b64 s[28:29], -1
	s_xor_b64 s[0:1], s[0:1], -1
	s_and_saveexec_b64 s[30:31], s[0:1]
	s_cbranch_execz .LBB385_86
; %bb.78:
	s_andn2_b64 vcc, exec, s[24:25]
	s_cbranch_vccnz .LBB385_84
; %bb.79:
	s_waitcnt lgkmcnt(0)
	v_mul_lo_u32 v6, v3, s16
	v_mul_lo_u32 v7, v2, s17
	v_mad_u64_u32 v[4:5], s[0:1], v2, s16, 0
	v_add3_u32 v5, v5, v7, v6
	v_lshlrev_b64 v[4:5], 2, v[4:5]
	v_mov_b32_e32 v6, s19
	v_add_co_u32_e32 v4, vcc, s18, v4
	v_addc_co_u32_e32 v5, vcc, v6, v5, vcc
	v_mul_lo_u32 v10, v1, s16
	v_mul_lo_u32 v11, v0, s17
	v_mad_u64_u32 v[6:7], s[0:1], v0, s16, 0
	v_add3_u32 v7, v7, v11, v10
	v_lshlrev_b64 v[6:7], 2, v[6:7]
	v_mov_b32_e32 v10, s19
	v_add_co_u32_e32 v6, vcc, s18, v6
	v_addc_co_u32_e32 v7, vcc, v10, v7, vcc
	s_mov_b64 s[34:35], 0
	s_mov_b64 s[42:43], s[16:17]
                                        ; implicit-def: $sgpr36_sgpr37
                                        ; implicit-def: $sgpr38_sgpr39
                                        ; implicit-def: $sgpr0_sgpr1
                                        ; implicit-def: $sgpr40_sgpr41
                                        ; implicit-def: $sgpr44_sgpr45
	s_branch .LBB385_81
.LBB385_80:                             ;   in Loop: Header=BB385_81 Depth=1
	s_or_b64 exec, exec, s[46:47]
	s_and_b64 s[2:3], exec, s[38:39]
	s_or_b64 s[34:35], s[2:3], s[34:35]
	s_andn2_b64 s[2:3], s[44:45], exec
	s_and_b64 s[44:45], s[40:41], exec
	s_or_b64 s[44:45], s[2:3], s[44:45]
	s_andn2_b64 s[2:3], s[36:37], exec
	s_and_b64 s[36:37], s[0:1], exec
	s_or_b64 s[36:37], s[2:3], s[36:37]
	s_andn2_b64 exec, exec, s[34:35]
	s_cbranch_execz .LBB385_83
.LBB385_81:                             ; =>This Inner Loop Header: Depth=1
	global_load_dword v10, v[4:5], off
	global_load_dword v11, v[6:7], off
	s_andn2_b64 s[46:47], s[0:1], exec
	s_andn2_b64 s[40:41], s[40:41], exec
	s_or_b64 s[38:39], s[38:39], exec
	s_waitcnt vmcnt(0)
	v_cmp_le_i32_e64 s[0:1], v10, v11
	v_cmp_lt_i32_e32 vcc, v10, v11
	s_and_b64 s[0:1], s[0:1], s[44:45]
	s_or_b64 s[48:49], vcc, s[0:1]
	s_and_b64 s[0:1], s[48:49], exec
	v_cmp_eq_u32_e64 s[2:3], v10, v11
	s_or_b64 s[0:1], s[46:47], s[0:1]
	s_and_saveexec_b64 s[46:47], s[2:3]
	s_cbranch_execz .LBB385_80
; %bb.82:                               ;   in Loop: Header=BB385_81 Depth=1
	s_add_u32 s42, s42, -1
	s_addc_u32 s43, s43, -1
	v_add_co_u32_e32 v4, vcc, 4, v4
	s_cmp_eq_u64 s[42:43], 0
	v_addc_co_u32_e32 v5, vcc, 0, v5, vcc
	s_cselect_b64 s[2:3], -1, 0
	v_add_co_u32_e32 v6, vcc, 4, v6
	s_andn2_b64 s[40:41], s[40:41], exec
	s_and_b64 s[44:45], s[48:49], exec
	s_andn2_b64 s[38:39], s[38:39], exec
	s_and_b64 s[2:3], s[2:3], exec
	v_addc_co_u32_e32 v7, vcc, 0, v7, vcc
	s_or_b64 s[40:41], s[40:41], s[44:45]
	s_andn2_b64 s[0:1], s[0:1], exec
	s_or_b64 s[38:39], s[38:39], s[2:3]
                                        ; implicit-def: $sgpr44_sgpr45
	s_branch .LBB385_80
.LBB385_83:
	s_or_b64 exec, exec, s[34:35]
	s_xor_b64 s[0:1], s[36:37], -1
	s_branch .LBB385_85
.LBB385_84:
	s_mov_b64 s[0:1], -1
.LBB385_85:
	s_andn2_b64 s[2:3], s[26:27], exec
	s_and_b64 s[0:1], s[0:1], exec
	s_or_b64 s[26:27], s[2:3], s[0:1]
.LBB385_86:
	s_or_b64 exec, exec, s[30:31]
	v_cndmask_b32_e64 v4, v9, v8, s[26:27]
	v_cndmask_b32_e64 v5, v15, v14, s[26:27]
	v_add_u32_e32 v6, 1, v4
	v_add_u32_e32 v4, -1, v5
	v_min_u32_e32 v4, v6, v4
	v_lshl_add_u32 v4, v4, 3, v16
	ds_read_b64 v[4:5], v4
	v_cndmask_b32_e64 v9, v6, v9, s[26:27]
	v_cndmask_b32_e64 v8, v8, v6, s[26:27]
	v_cmp_lt_u32_e32 vcc, v9, v15
	s_waitcnt lgkmcnt(0)
	v_cndmask_b32_e64 v20, v5, v3, s[26:27]
	v_cndmask_b32_e64 v21, v4, v2, s[26:27]
	;; [unrolled: 1-line block ×4, first 2 shown]
	s_and_saveexec_b64 s[30:31], vcc
	s_cbranch_execz .LBB385_97
; %bb.87:
	v_cmp_lt_u32_e32 vcc, v8, v14
	s_mov_b64 s[0:1], 0
	s_and_saveexec_b64 s[28:29], vcc
	s_cbranch_execz .LBB385_96
; %bb.88:
	s_andn2_b64 vcc, exec, s[24:25]
	s_cbranch_vccnz .LBB385_94
; %bb.89:
	v_mul_lo_u32 v6, v20, s16
	v_mul_lo_u32 v7, v21, s17
	v_mad_u64_u32 v[4:5], s[0:1], v21, s16, 0
	v_add3_u32 v5, v5, v7, v6
	v_lshlrev_b64 v[4:5], 2, v[4:5]
	v_mov_b32_e32 v6, s19
	v_add_co_u32_e32 v4, vcc, s18, v4
	v_addc_co_u32_e32 v5, vcc, v6, v5, vcc
	v_mul_lo_u32 v10, v22, s16
	v_mul_lo_u32 v11, v23, s17
	v_mad_u64_u32 v[6:7], s[0:1], v23, s16, 0
	v_add3_u32 v7, v7, v11, v10
	v_lshlrev_b64 v[6:7], 2, v[6:7]
	v_mov_b32_e32 v10, s19
	v_add_co_u32_e32 v6, vcc, s18, v6
	v_addc_co_u32_e32 v7, vcc, v10, v7, vcc
	s_mov_b64 s[34:35], 0
	s_mov_b64 s[42:43], s[16:17]
                                        ; implicit-def: $sgpr36_sgpr37
                                        ; implicit-def: $sgpr38_sgpr39
                                        ; implicit-def: $sgpr0_sgpr1
                                        ; implicit-def: $sgpr40_sgpr41
                                        ; implicit-def: $sgpr44_sgpr45
	s_branch .LBB385_91
.LBB385_90:                             ;   in Loop: Header=BB385_91 Depth=1
	s_or_b64 exec, exec, s[46:47]
	s_and_b64 s[2:3], exec, s[38:39]
	s_or_b64 s[34:35], s[2:3], s[34:35]
	s_andn2_b64 s[2:3], s[44:45], exec
	s_and_b64 s[44:45], s[40:41], exec
	s_or_b64 s[44:45], s[2:3], s[44:45]
	s_andn2_b64 s[2:3], s[36:37], exec
	s_and_b64 s[36:37], s[0:1], exec
	s_or_b64 s[36:37], s[2:3], s[36:37]
	s_andn2_b64 exec, exec, s[34:35]
	s_cbranch_execz .LBB385_93
.LBB385_91:                             ; =>This Inner Loop Header: Depth=1
	global_load_dword v10, v[4:5], off
	global_load_dword v11, v[6:7], off
	s_andn2_b64 s[46:47], s[0:1], exec
	s_andn2_b64 s[40:41], s[40:41], exec
	s_or_b64 s[38:39], s[38:39], exec
	s_waitcnt vmcnt(0)
	v_cmp_le_i32_e64 s[0:1], v10, v11
	v_cmp_lt_i32_e32 vcc, v10, v11
	s_and_b64 s[0:1], s[0:1], s[44:45]
	s_or_b64 s[48:49], vcc, s[0:1]
	s_and_b64 s[0:1], s[48:49], exec
	v_cmp_eq_u32_e64 s[2:3], v10, v11
	s_or_b64 s[0:1], s[46:47], s[0:1]
	s_and_saveexec_b64 s[46:47], s[2:3]
	s_cbranch_execz .LBB385_90
; %bb.92:                               ;   in Loop: Header=BB385_91 Depth=1
	s_add_u32 s42, s42, -1
	s_addc_u32 s43, s43, -1
	v_add_co_u32_e32 v4, vcc, 4, v4
	s_cmp_eq_u64 s[42:43], 0
	v_addc_co_u32_e32 v5, vcc, 0, v5, vcc
	s_cselect_b64 s[2:3], -1, 0
	v_add_co_u32_e32 v6, vcc, 4, v6
	s_andn2_b64 s[40:41], s[40:41], exec
	s_and_b64 s[44:45], s[48:49], exec
	s_andn2_b64 s[38:39], s[38:39], exec
	s_and_b64 s[2:3], s[2:3], exec
	v_addc_co_u32_e32 v7, vcc, 0, v7, vcc
	s_or_b64 s[40:41], s[40:41], s[44:45]
	s_andn2_b64 s[0:1], s[0:1], exec
	s_or_b64 s[38:39], s[38:39], s[2:3]
                                        ; implicit-def: $sgpr44_sgpr45
	s_branch .LBB385_90
.LBB385_93:
	s_or_b64 exec, exec, s[34:35]
	s_xor_b64 s[0:1], s[36:37], -1
	s_branch .LBB385_95
.LBB385_94:
	s_mov_b64 s[0:1], -1
.LBB385_95:
	s_and_b64 s[0:1], s[0:1], exec
.LBB385_96:
	s_or_b64 exec, exec, s[28:29]
	s_orn2_b64 s[28:29], s[0:1], exec
.LBB385_97:
	s_or_b64 exec, exec, s[30:31]
	v_cndmask_b32_e64 v4, v9, v8, s[28:29]
	v_cndmask_b32_e64 v5, v15, v14, s[28:29]
	v_add_u32_e32 v6, 1, v4
	v_add_u32_e32 v4, -1, v5
	v_min_u32_e32 v4, v6, v4
	v_lshl_add_u32 v4, v4, 3, v16
	ds_read_b64 v[4:5], v4
	v_cndmask_b32_e64 v9, v6, v9, s[28:29]
	v_cndmask_b32_e64 v8, v8, v6, s[28:29]
	v_cmp_lt_u32_e32 vcc, v9, v15
	s_mov_b64 s[30:31], -1
	s_waitcnt lgkmcnt(0)
	v_cndmask_b32_e64 v24, v5, v20, s[28:29]
	v_cndmask_b32_e64 v25, v4, v21, s[28:29]
	v_cndmask_b32_e64 v37, v22, v5, s[28:29]
	v_cndmask_b32_e64 v38, v23, v4, s[28:29]
	s_and_saveexec_b64 s[34:35], vcc
	s_cbranch_execz .LBB385_108
; %bb.98:
	v_cmp_lt_u32_e32 vcc, v8, v14
	s_mov_b64 s[0:1], 0
	s_and_saveexec_b64 s[30:31], vcc
	s_cbranch_execz .LBB385_107
; %bb.99:
	s_andn2_b64 vcc, exec, s[24:25]
	s_cbranch_vccnz .LBB385_105
; %bb.100:
	v_mul_lo_u32 v6, v24, s16
	v_mul_lo_u32 v7, v25, s17
	v_mad_u64_u32 v[4:5], s[0:1], v25, s16, 0
	v_add3_u32 v5, v5, v7, v6
	v_lshlrev_b64 v[4:5], 2, v[4:5]
	v_mov_b32_e32 v6, s19
	v_add_co_u32_e32 v4, vcc, s18, v4
	v_addc_co_u32_e32 v5, vcc, v6, v5, vcc
	v_mul_lo_u32 v10, v37, s16
	v_mul_lo_u32 v11, v38, s17
	v_mad_u64_u32 v[6:7], s[0:1], v38, s16, 0
	v_add3_u32 v7, v7, v11, v10
	v_lshlrev_b64 v[6:7], 2, v[6:7]
	v_mov_b32_e32 v10, s19
	v_add_co_u32_e32 v6, vcc, s18, v6
	v_addc_co_u32_e32 v7, vcc, v10, v7, vcc
	s_mov_b64 s[36:37], 0
	s_mov_b64 s[44:45], s[16:17]
                                        ; implicit-def: $sgpr38_sgpr39
                                        ; implicit-def: $sgpr40_sgpr41
                                        ; implicit-def: $sgpr0_sgpr1
                                        ; implicit-def: $sgpr42_sgpr43
                                        ; implicit-def: $sgpr46_sgpr47
	s_branch .LBB385_102
.LBB385_101:                            ;   in Loop: Header=BB385_102 Depth=1
	s_or_b64 exec, exec, s[48:49]
	s_and_b64 s[2:3], exec, s[40:41]
	s_or_b64 s[36:37], s[2:3], s[36:37]
	s_andn2_b64 s[2:3], s[46:47], exec
	s_and_b64 s[46:47], s[42:43], exec
	s_or_b64 s[46:47], s[2:3], s[46:47]
	s_andn2_b64 s[2:3], s[38:39], exec
	s_and_b64 s[38:39], s[0:1], exec
	s_or_b64 s[38:39], s[2:3], s[38:39]
	s_andn2_b64 exec, exec, s[36:37]
	s_cbranch_execz .LBB385_104
.LBB385_102:                            ; =>This Inner Loop Header: Depth=1
	global_load_dword v10, v[4:5], off
	global_load_dword v11, v[6:7], off
	s_andn2_b64 s[48:49], s[0:1], exec
	s_andn2_b64 s[42:43], s[42:43], exec
	s_or_b64 s[40:41], s[40:41], exec
	s_waitcnt vmcnt(0)
	v_cmp_le_i32_e64 s[0:1], v10, v11
	v_cmp_lt_i32_e32 vcc, v10, v11
	s_and_b64 s[0:1], s[0:1], s[46:47]
	s_or_b64 s[50:51], vcc, s[0:1]
	s_and_b64 s[0:1], s[50:51], exec
	v_cmp_eq_u32_e64 s[2:3], v10, v11
	s_or_b64 s[0:1], s[48:49], s[0:1]
	s_and_saveexec_b64 s[48:49], s[2:3]
	s_cbranch_execz .LBB385_101
; %bb.103:                              ;   in Loop: Header=BB385_102 Depth=1
	s_add_u32 s44, s44, -1
	s_addc_u32 s45, s45, -1
	v_add_co_u32_e32 v4, vcc, 4, v4
	s_cmp_eq_u64 s[44:45], 0
	v_addc_co_u32_e32 v5, vcc, 0, v5, vcc
	s_cselect_b64 s[2:3], -1, 0
	v_add_co_u32_e32 v6, vcc, 4, v6
	s_andn2_b64 s[42:43], s[42:43], exec
	s_and_b64 s[46:47], s[50:51], exec
	s_andn2_b64 s[40:41], s[40:41], exec
	s_and_b64 s[2:3], s[2:3], exec
	v_addc_co_u32_e32 v7, vcc, 0, v7, vcc
	s_or_b64 s[42:43], s[42:43], s[46:47]
	s_andn2_b64 s[0:1], s[0:1], exec
	s_or_b64 s[40:41], s[40:41], s[2:3]
                                        ; implicit-def: $sgpr46_sgpr47
	s_branch .LBB385_101
.LBB385_104:
	s_or_b64 exec, exec, s[36:37]
	s_xor_b64 s[0:1], s[38:39], -1
	s_branch .LBB385_106
.LBB385_105:
	s_mov_b64 s[0:1], -1
.LBB385_106:
	s_and_b64 s[0:1], s[0:1], exec
.LBB385_107:
	s_or_b64 exec, exec, s[30:31]
	s_orn2_b64 s[30:31], s[0:1], exec
.LBB385_108:
	s_or_b64 exec, exec, s[34:35]
	v_cndmask_b32_e64 v4, v9, v8, s[30:31]
	v_cndmask_b32_e64 v5, v15, v14, s[30:31]
	v_add_u32_e32 v10, 1, v4
	v_add_u32_e32 v4, -1, v5
	v_min_u32_e32 v4, v10, v4
	v_lshl_add_u32 v4, v4, 3, v16
	ds_read_b64 v[4:5], v4
	v_cndmask_b32_e64 v9, v10, v9, s[30:31]
	v_cmp_lt_u32_e32 vcc, v9, v15
	s_waitcnt lgkmcnt(0)
	v_cndmask_b32_e64 v7, v37, v5, s[30:31]
	v_cndmask_b32_e64 v6, v38, v4, s[30:31]
	s_and_saveexec_b64 s[34:35], vcc
	s_cbranch_execz .LBB385_118
; %bb.109:
	v_cndmask_b32_e64 v8, v8, v10, s[30:31]
	v_cndmask_b32_e64 v5, v5, v24, s[30:31]
	;; [unrolled: 1-line block ×3, first 2 shown]
	v_cmp_lt_u32_e32 vcc, v8, v14
	s_and_saveexec_b64 s[36:37], vcc
	s_cbranch_execz .LBB385_117
; %bb.110:
	s_andn2_b64 vcc, exec, s[24:25]
	s_cbranch_vccnz .LBB385_116
; %bb.111:
	v_mul_lo_u32 v10, v5, s16
	v_mul_lo_u32 v11, v4, s17
	v_mad_u64_u32 v[8:9], s[0:1], v4, s16, 0
	v_add3_u32 v9, v9, v11, v10
	v_lshlrev_b64 v[8:9], 2, v[8:9]
	v_mov_b32_e32 v10, s19
	v_add_co_u32_e32 v8, vcc, s18, v8
	v_addc_co_u32_e32 v9, vcc, v10, v9, vcc
	v_mul_lo_u32 v14, v7, s16
	v_mul_lo_u32 v15, v6, s17
	v_mad_u64_u32 v[10:11], s[0:1], v6, s16, 0
	v_add3_u32 v11, v11, v15, v14
	v_lshlrev_b64 v[10:11], 2, v[10:11]
	v_mov_b32_e32 v14, s19
	v_add_co_u32_e32 v10, vcc, s18, v10
	v_addc_co_u32_e32 v11, vcc, v14, v11, vcc
	s_mov_b64 s[38:39], 0
	s_mov_b64 s[46:47], s[16:17]
                                        ; implicit-def: $sgpr40_sgpr41
                                        ; implicit-def: $sgpr42_sgpr43
                                        ; implicit-def: $sgpr0_sgpr1
                                        ; implicit-def: $sgpr44_sgpr45
                                        ; implicit-def: $sgpr48_sgpr49
	s_branch .LBB385_113
.LBB385_112:                            ;   in Loop: Header=BB385_113 Depth=1
	s_or_b64 exec, exec, s[50:51]
	s_and_b64 s[2:3], exec, s[42:43]
	s_or_b64 s[38:39], s[2:3], s[38:39]
	s_andn2_b64 s[2:3], s[48:49], exec
	s_and_b64 s[48:49], s[44:45], exec
	s_or_b64 s[48:49], s[2:3], s[48:49]
	s_andn2_b64 s[2:3], s[40:41], exec
	s_and_b64 s[40:41], s[0:1], exec
	s_or_b64 s[40:41], s[2:3], s[40:41]
	s_andn2_b64 exec, exec, s[38:39]
	s_cbranch_execz .LBB385_115
.LBB385_113:                            ; =>This Inner Loop Header: Depth=1
	global_load_dword v14, v[8:9], off
	global_load_dword v15, v[10:11], off
	s_andn2_b64 s[50:51], s[0:1], exec
	s_andn2_b64 s[44:45], s[44:45], exec
	s_or_b64 s[42:43], s[42:43], exec
	s_waitcnt vmcnt(0)
	v_cmp_le_i32_e64 s[0:1], v14, v15
	v_cmp_lt_i32_e32 vcc, v14, v15
	s_and_b64 s[0:1], s[0:1], s[48:49]
	s_or_b64 s[52:53], vcc, s[0:1]
	s_and_b64 s[0:1], s[52:53], exec
	v_cmp_eq_u32_e64 s[2:3], v14, v15
	s_or_b64 s[0:1], s[50:51], s[0:1]
	s_and_saveexec_b64 s[50:51], s[2:3]
	s_cbranch_execz .LBB385_112
; %bb.114:                              ;   in Loop: Header=BB385_113 Depth=1
	s_add_u32 s46, s46, -1
	s_addc_u32 s47, s47, -1
	v_add_co_u32_e32 v8, vcc, 4, v8
	s_cmp_eq_u64 s[46:47], 0
	v_addc_co_u32_e32 v9, vcc, 0, v9, vcc
	s_cselect_b64 s[2:3], -1, 0
	v_add_co_u32_e32 v10, vcc, 4, v10
	s_andn2_b64 s[44:45], s[44:45], exec
	s_and_b64 s[48:49], s[52:53], exec
	s_andn2_b64 s[42:43], s[42:43], exec
	s_and_b64 s[2:3], s[2:3], exec
	v_addc_co_u32_e32 v11, vcc, 0, v11, vcc
	s_or_b64 s[44:45], s[44:45], s[48:49]
	s_andn2_b64 s[0:1], s[0:1], exec
	s_or_b64 s[42:43], s[42:43], s[2:3]
                                        ; implicit-def: $sgpr48_sgpr49
	s_branch .LBB385_112
.LBB385_115:
	s_or_b64 exec, exec, s[38:39]
	v_cndmask_b32_e64 v7, v7, v5, s[40:41]
	v_cndmask_b32_e64 v6, v6, v4, s[40:41]
.LBB385_116:
	v_pk_mov_b32 v[4:5], v[6:7], v[6:7] op_sel:[0,1]
.LBB385_117:
	s_or_b64 exec, exec, s[36:37]
	v_pk_mov_b32 v[6:7], v[4:5], v[4:5] op_sel:[0,1]
.LBB385_118:
	s_or_b64 exec, exec, s[34:35]
	v_cndmask_b32_e64 v1, v3, v1, s[26:27]
	v_cndmask_b32_e64 v0, v2, v0, s[26:27]
	;; [unrolled: 1-line block ×6, first 2 shown]
.LBB385_119:
	s_or_b64 exec, exec, s[4:5]
	v_and_b32_e32 v20, 0x1f0, v18
	v_or_b32_e32 v8, 8, v20
	v_min_u32_e32 v14, v17, v8
	v_add_u32_e32 v8, 8, v14
	v_min_u32_e32 v15, v17, v8
	v_and_b32_e32 v8, 12, v18
	v_min_u32_e32 v21, v17, v8
	v_sub_u32_e32 v8, v14, v20
	v_sub_u32_e32 v9, v15, v14
	v_sub_u32_e64 v23, v21, v9 clamp
	v_min_u32_e32 v24, v21, v8
	v_lshl_add_u32 v22, v20, 3, v16
	v_cmp_lt_u32_e32 vcc, v23, v24
	; wave barrier
	ds_write_b128 v19, v[0:3]
	ds_write_b128 v19, v[4:7] offset:16
	; wave barrier
	s_and_saveexec_b64 s[26:27], vcc
	s_cbranch_execz .LBB385_129
; %bb.120:
	v_lshlrev_b32_e32 v8, 3, v14
	v_lshlrev_b32_e32 v9, 3, v21
	v_add3_u32 v25, v16, v8, v9
	v_cndmask_b32_e64 v8, 0, 1, s[24:25]
	s_lshl_b64 s[30:31], s[16:17], 2
	s_mov_b64 s[28:29], 0
	v_cmp_ne_u32_e64 s[0:1], 1, v8
	s_branch .LBB385_123
.LBB385_121:                            ;   in Loop: Header=BB385_123 Depth=1
	s_or_b64 exec, exec, s[36:37]
.LBB385_122:                            ;   in Loop: Header=BB385_123 Depth=1
	v_add_u32_e32 v8, 1, v37
	v_cndmask_b32_e64 v24, v24, v37, s[34:35]
	v_cndmask_b32_e64 v23, v8, v23, s[34:35]
	v_cmp_ge_u32_e32 vcc, v23, v24
	s_or_b64 s[28:29], vcc, s[28:29]
	s_andn2_b64 exec, exec, s[28:29]
	s_cbranch_execz .LBB385_128
.LBB385_123:                            ; =>This Loop Header: Depth=1
                                        ;     Child Loop BB385_126 Depth 2
	v_add_u32_e32 v8, v24, v23
	v_lshrrev_b32_e32 v37, 1, v8
	s_and_b64 vcc, exec, s[0:1]
	s_mov_b64 s[34:35], 0
	s_cbranch_vccnz .LBB385_122
; %bb.124:                              ;   in Loop: Header=BB385_123 Depth=1
	v_not_b32_e32 v8, v37
	v_lshl_add_u32 v8, v8, 3, v25
	ds_read_b64 v[8:9], v8
	v_lshl_add_u32 v38, v37, 3, v22
	ds_read_b64 v[38:39], v38
	v_pk_mov_b32 v[10:11], s[18:19], s[18:19] op_sel:[0,1]
	s_mov_b64 s[36:37], 0
	s_waitcnt lgkmcnt(1)
	v_mul_lo_u32 v40, s30, v9
	v_mul_lo_u32 v41, s31, v8
	v_mad_u64_u32 v[8:9], s[2:3], s30, v8, v[10:11]
	v_add3_u32 v9, v41, v9, v40
	s_waitcnt lgkmcnt(0)
	v_mul_lo_u32 v39, s30, v39
	v_mul_lo_u32 v40, s31, v38
	v_mad_u64_u32 v[10:11], s[2:3], s30, v38, v[10:11]
	v_add3_u32 v11, v40, v11, v39
	s_mov_b64 s[42:43], s[16:17]
                                        ; implicit-def: $sgpr34_sgpr35
                                        ; implicit-def: $sgpr38_sgpr39
                                        ; implicit-def: $sgpr40_sgpr41
                                        ; implicit-def: $sgpr2_sgpr3
                                        ; implicit-def: $sgpr44_sgpr45
	s_branch .LBB385_126
.LBB385_125:                            ;   in Loop: Header=BB385_126 Depth=2
	s_or_b64 exec, exec, s[46:47]
	s_and_b64 s[4:5], exec, s[38:39]
	s_or_b64 s[36:37], s[4:5], s[36:37]
	s_andn2_b64 s[4:5], s[44:45], exec
	s_and_b64 s[44:45], s[40:41], exec
	s_or_b64 s[44:45], s[4:5], s[44:45]
	s_andn2_b64 s[4:5], s[34:35], exec
	s_and_b64 s[34:35], s[2:3], exec
	s_or_b64 s[34:35], s[4:5], s[34:35]
	s_andn2_b64 exec, exec, s[36:37]
	s_cbranch_execz .LBB385_121
.LBB385_126:                            ;   Parent Loop BB385_123 Depth=1
                                        ; =>  This Inner Loop Header: Depth=2
	global_load_dword v38, v[8:9], off
	global_load_dword v39, v[10:11], off
	s_andn2_b64 s[46:47], s[2:3], exec
	s_andn2_b64 s[40:41], s[40:41], exec
	s_or_b64 s[38:39], s[38:39], exec
	s_waitcnt vmcnt(0)
	v_cmp_le_i32_e64 s[2:3], v38, v39
	v_cmp_lt_i32_e32 vcc, v38, v39
	s_and_b64 s[2:3], s[2:3], s[44:45]
	s_or_b64 s[48:49], vcc, s[2:3]
	s_and_b64 s[2:3], s[48:49], exec
	v_cmp_eq_u32_e64 s[4:5], v38, v39
	s_or_b64 s[2:3], s[46:47], s[2:3]
	s_and_saveexec_b64 s[46:47], s[4:5]
	s_cbranch_execz .LBB385_125
; %bb.127:                              ;   in Loop: Header=BB385_126 Depth=2
	s_add_u32 s42, s42, -1
	s_addc_u32 s43, s43, -1
	v_add_co_u32_e32 v8, vcc, 4, v8
	s_cmp_eq_u64 s[42:43], 0
	v_addc_co_u32_e32 v9, vcc, 0, v9, vcc
	s_cselect_b64 s[4:5], -1, 0
	v_add_co_u32_e32 v10, vcc, 4, v10
	s_andn2_b64 s[40:41], s[40:41], exec
	s_and_b64 s[44:45], s[48:49], exec
	s_andn2_b64 s[38:39], s[38:39], exec
	s_and_b64 s[4:5], s[4:5], exec
	v_addc_co_u32_e32 v11, vcc, 0, v11, vcc
	s_andn2_b64 s[2:3], s[2:3], exec
	s_or_b64 s[40:41], s[40:41], s[44:45]
	s_or_b64 s[38:39], s[38:39], s[4:5]
                                        ; implicit-def: $sgpr44_sgpr45
	s_branch .LBB385_125
.LBB385_128:
	s_or_b64 exec, exec, s[28:29]
.LBB385_129:
	s_or_b64 exec, exec, s[26:27]
	v_add_u32_e32 v8, v14, v21
	v_add_u32_e32 v20, v23, v20
	v_sub_u32_e32 v21, v8, v23
	v_cmp_le_u32_e32 vcc, v20, v14
	v_cmp_le_u32_e64 s[0:1], v21, v15
	s_or_b64 s[0:1], vcc, s[0:1]
	s_and_saveexec_b64 s[4:5], s[0:1]
	s_cbranch_execz .LBB385_176
; %bb.130:
	v_cmp_ge_u32_e32 vcc, v20, v14
	v_cmp_lt_u32_e64 s[0:1], v20, v14
                                        ; implicit-def: $vgpr0_vgpr1
	s_and_saveexec_b64 s[2:3], s[0:1]
	s_cbranch_execz .LBB385_132
; %bb.131:
	v_lshl_add_u32 v0, v23, 3, v22
	ds_read_b64 v[0:1], v0
.LBB385_132:
	s_or_b64 exec, exec, s[2:3]
	v_cmp_ge_u32_e64 s[26:27], v21, v15
	v_cmp_lt_u32_e64 s[0:1], v21, v15
                                        ; implicit-def: $vgpr4_vgpr5
	s_and_saveexec_b64 s[2:3], s[0:1]
	s_cbranch_execz .LBB385_134
; %bb.133:
	v_lshl_add_u32 v2, v21, 3, v16
	ds_read_b64 v[4:5], v2
.LBB385_134:
	s_or_b64 exec, exec, s[2:3]
	s_or_b64 s[0:1], vcc, s[26:27]
	s_mov_b64 s[28:29], -1
	s_xor_b64 s[0:1], s[0:1], -1
	s_and_saveexec_b64 s[30:31], s[0:1]
	s_cbranch_execz .LBB385_143
; %bb.135:
	s_andn2_b64 vcc, exec, s[24:25]
	s_cbranch_vccnz .LBB385_141
; %bb.136:
	s_waitcnt lgkmcnt(0)
	v_mul_lo_u32 v6, v5, s16
	v_mul_lo_u32 v7, v4, s17
	v_mad_u64_u32 v[2:3], s[0:1], v4, s16, 0
	v_add3_u32 v3, v3, v7, v6
	v_lshlrev_b64 v[2:3], 2, v[2:3]
	v_mov_b32_e32 v6, s19
	v_add_co_u32_e32 v2, vcc, s18, v2
	v_addc_co_u32_e32 v3, vcc, v6, v3, vcc
	v_mul_lo_u32 v8, v1, s16
	v_mul_lo_u32 v9, v0, s17
	v_mad_u64_u32 v[6:7], s[0:1], v0, s16, 0
	v_add3_u32 v7, v7, v9, v8
	v_lshlrev_b64 v[6:7], 2, v[6:7]
	v_mov_b32_e32 v8, s19
	v_add_co_u32_e32 v6, vcc, s18, v6
	v_addc_co_u32_e32 v7, vcc, v8, v7, vcc
	s_mov_b64 s[34:35], 0
	s_mov_b64 s[42:43], s[16:17]
                                        ; implicit-def: $sgpr36_sgpr37
                                        ; implicit-def: $sgpr38_sgpr39
                                        ; implicit-def: $sgpr0_sgpr1
                                        ; implicit-def: $sgpr40_sgpr41
                                        ; implicit-def: $sgpr44_sgpr45
	s_branch .LBB385_138
.LBB385_137:                            ;   in Loop: Header=BB385_138 Depth=1
	s_or_b64 exec, exec, s[46:47]
	s_and_b64 s[2:3], exec, s[38:39]
	s_or_b64 s[34:35], s[2:3], s[34:35]
	s_andn2_b64 s[2:3], s[44:45], exec
	s_and_b64 s[44:45], s[40:41], exec
	s_or_b64 s[44:45], s[2:3], s[44:45]
	s_andn2_b64 s[2:3], s[36:37], exec
	s_and_b64 s[36:37], s[0:1], exec
	s_or_b64 s[36:37], s[2:3], s[36:37]
	s_andn2_b64 exec, exec, s[34:35]
	s_cbranch_execz .LBB385_140
.LBB385_138:                            ; =>This Inner Loop Header: Depth=1
	global_load_dword v8, v[2:3], off
	global_load_dword v9, v[6:7], off
	s_andn2_b64 s[46:47], s[0:1], exec
	s_andn2_b64 s[40:41], s[40:41], exec
	s_or_b64 s[38:39], s[38:39], exec
	s_waitcnt vmcnt(0)
	v_cmp_le_i32_e64 s[0:1], v8, v9
	v_cmp_lt_i32_e32 vcc, v8, v9
	s_and_b64 s[0:1], s[0:1], s[44:45]
	s_or_b64 s[48:49], vcc, s[0:1]
	s_and_b64 s[0:1], s[48:49], exec
	v_cmp_eq_u32_e64 s[2:3], v8, v9
	s_or_b64 s[0:1], s[46:47], s[0:1]
	s_and_saveexec_b64 s[46:47], s[2:3]
	s_cbranch_execz .LBB385_137
; %bb.139:                              ;   in Loop: Header=BB385_138 Depth=1
	s_add_u32 s42, s42, -1
	s_addc_u32 s43, s43, -1
	v_add_co_u32_e32 v2, vcc, 4, v2
	s_cmp_eq_u64 s[42:43], 0
	v_addc_co_u32_e32 v3, vcc, 0, v3, vcc
	s_cselect_b64 s[2:3], -1, 0
	v_add_co_u32_e32 v6, vcc, 4, v6
	s_andn2_b64 s[40:41], s[40:41], exec
	s_and_b64 s[44:45], s[48:49], exec
	s_andn2_b64 s[38:39], s[38:39], exec
	s_and_b64 s[2:3], s[2:3], exec
	v_addc_co_u32_e32 v7, vcc, 0, v7, vcc
	s_or_b64 s[40:41], s[40:41], s[44:45]
	s_andn2_b64 s[0:1], s[0:1], exec
	s_or_b64 s[38:39], s[38:39], s[2:3]
                                        ; implicit-def: $sgpr44_sgpr45
	s_branch .LBB385_137
.LBB385_140:
	s_or_b64 exec, exec, s[34:35]
	s_xor_b64 s[0:1], s[36:37], -1
	s_branch .LBB385_142
.LBB385_141:
	s_mov_b64 s[0:1], -1
.LBB385_142:
	s_andn2_b64 s[2:3], s[26:27], exec
	s_and_b64 s[0:1], s[0:1], exec
	s_or_b64 s[26:27], s[2:3], s[0:1]
.LBB385_143:
	s_or_b64 exec, exec, s[30:31]
	v_cndmask_b32_e64 v2, v21, v20, s[26:27]
	v_cndmask_b32_e64 v3, v15, v14, s[26:27]
	v_add_u32_e32 v6, 1, v2
	v_add_u32_e32 v2, -1, v3
	v_min_u32_e32 v2, v6, v2
	v_lshl_add_u32 v2, v2, 3, v16
	ds_read_b64 v[2:3], v2
	v_cndmask_b32_e64 v22, v6, v21, s[26:27]
	v_cndmask_b32_e64 v37, v20, v6, s[26:27]
	v_cmp_lt_u32_e32 vcc, v22, v15
	s_waitcnt lgkmcnt(0)
	v_cndmask_b32_e64 v8, v3, v5, s[26:27]
	v_cndmask_b32_e64 v9, v2, v4, s[26:27]
	;; [unrolled: 1-line block ×4, first 2 shown]
	s_and_saveexec_b64 s[30:31], vcc
	s_cbranch_execz .LBB385_154
; %bb.144:
	v_cmp_lt_u32_e32 vcc, v37, v14
	s_mov_b64 s[0:1], 0
	s_and_saveexec_b64 s[28:29], vcc
	s_cbranch_execz .LBB385_153
; %bb.145:
	s_andn2_b64 vcc, exec, s[24:25]
	s_cbranch_vccnz .LBB385_151
; %bb.146:
	v_mul_lo_u32 v6, v8, s16
	v_mul_lo_u32 v7, v9, s17
	v_mad_u64_u32 v[2:3], s[0:1], v9, s16, 0
	v_add3_u32 v3, v3, v7, v6
	v_lshlrev_b64 v[2:3], 2, v[2:3]
	v_mov_b32_e32 v6, s19
	v_add_co_u32_e32 v2, vcc, s18, v2
	v_addc_co_u32_e32 v3, vcc, v6, v3, vcc
	v_mul_lo_u32 v20, v10, s16
	v_mul_lo_u32 v21, v11, s17
	v_mad_u64_u32 v[6:7], s[0:1], v11, s16, 0
	v_add3_u32 v7, v7, v21, v20
	v_lshlrev_b64 v[6:7], 2, v[6:7]
	v_mov_b32_e32 v20, s19
	v_add_co_u32_e32 v6, vcc, s18, v6
	v_addc_co_u32_e32 v7, vcc, v20, v7, vcc
	s_mov_b64 s[34:35], 0
	s_mov_b64 s[42:43], s[16:17]
                                        ; implicit-def: $sgpr36_sgpr37
                                        ; implicit-def: $sgpr38_sgpr39
                                        ; implicit-def: $sgpr0_sgpr1
                                        ; implicit-def: $sgpr40_sgpr41
                                        ; implicit-def: $sgpr44_sgpr45
	s_branch .LBB385_148
.LBB385_147:                            ;   in Loop: Header=BB385_148 Depth=1
	s_or_b64 exec, exec, s[46:47]
	s_and_b64 s[2:3], exec, s[38:39]
	s_or_b64 s[34:35], s[2:3], s[34:35]
	s_andn2_b64 s[2:3], s[44:45], exec
	s_and_b64 s[44:45], s[40:41], exec
	s_or_b64 s[44:45], s[2:3], s[44:45]
	s_andn2_b64 s[2:3], s[36:37], exec
	s_and_b64 s[36:37], s[0:1], exec
	s_or_b64 s[36:37], s[2:3], s[36:37]
	s_andn2_b64 exec, exec, s[34:35]
	s_cbranch_execz .LBB385_150
.LBB385_148:                            ; =>This Inner Loop Header: Depth=1
	global_load_dword v20, v[2:3], off
	global_load_dword v21, v[6:7], off
	s_andn2_b64 s[46:47], s[0:1], exec
	s_andn2_b64 s[40:41], s[40:41], exec
	s_or_b64 s[38:39], s[38:39], exec
	s_waitcnt vmcnt(0)
	v_cmp_le_i32_e64 s[0:1], v20, v21
	v_cmp_lt_i32_e32 vcc, v20, v21
	s_and_b64 s[0:1], s[0:1], s[44:45]
	s_or_b64 s[48:49], vcc, s[0:1]
	s_and_b64 s[0:1], s[48:49], exec
	v_cmp_eq_u32_e64 s[2:3], v20, v21
	s_or_b64 s[0:1], s[46:47], s[0:1]
	s_and_saveexec_b64 s[46:47], s[2:3]
	s_cbranch_execz .LBB385_147
; %bb.149:                              ;   in Loop: Header=BB385_148 Depth=1
	s_add_u32 s42, s42, -1
	s_addc_u32 s43, s43, -1
	v_add_co_u32_e32 v2, vcc, 4, v2
	s_cmp_eq_u64 s[42:43], 0
	v_addc_co_u32_e32 v3, vcc, 0, v3, vcc
	s_cselect_b64 s[2:3], -1, 0
	v_add_co_u32_e32 v6, vcc, 4, v6
	s_andn2_b64 s[40:41], s[40:41], exec
	s_and_b64 s[44:45], s[48:49], exec
	s_andn2_b64 s[38:39], s[38:39], exec
	s_and_b64 s[2:3], s[2:3], exec
	v_addc_co_u32_e32 v7, vcc, 0, v7, vcc
	s_or_b64 s[40:41], s[40:41], s[44:45]
	s_andn2_b64 s[0:1], s[0:1], exec
	s_or_b64 s[38:39], s[38:39], s[2:3]
                                        ; implicit-def: $sgpr44_sgpr45
	s_branch .LBB385_147
.LBB385_150:
	s_or_b64 exec, exec, s[34:35]
	s_xor_b64 s[0:1], s[36:37], -1
	s_branch .LBB385_152
.LBB385_151:
	s_mov_b64 s[0:1], -1
.LBB385_152:
	s_and_b64 s[0:1], s[0:1], exec
.LBB385_153:
	s_or_b64 exec, exec, s[28:29]
	s_orn2_b64 s[28:29], s[0:1], exec
.LBB385_154:
	s_or_b64 exec, exec, s[30:31]
	v_cndmask_b32_e64 v2, v22, v37, s[28:29]
	v_cndmask_b32_e64 v3, v15, v14, s[28:29]
	v_add_u32_e32 v6, 1, v2
	v_add_u32_e32 v2, -1, v3
	v_min_u32_e32 v2, v6, v2
	v_lshl_add_u32 v2, v2, 3, v16
	ds_read_b64 v[2:3], v2
	v_cndmask_b32_e64 v23, v6, v22, s[28:29]
	v_cndmask_b32_e64 v22, v37, v6, s[28:29]
	v_cmp_lt_u32_e32 vcc, v23, v15
	s_mov_b64 s[0:1], -1
	s_waitcnt lgkmcnt(0)
	v_cndmask_b32_e64 v20, v3, v8, s[28:29]
	v_cndmask_b32_e64 v21, v2, v9, s[28:29]
	;; [unrolled: 1-line block ×4, first 2 shown]
	s_and_saveexec_b64 s[30:31], vcc
	s_cbranch_execz .LBB385_165
; %bb.155:
	v_cmp_lt_u32_e32 vcc, v22, v14
	s_mov_b64 s[0:1], 0
	s_and_saveexec_b64 s[34:35], vcc
	s_cbranch_execz .LBB385_164
; %bb.156:
	s_andn2_b64 vcc, exec, s[24:25]
	s_cbranch_vccnz .LBB385_162
; %bb.157:
	v_mul_lo_u32 v6, v20, s16
	v_mul_lo_u32 v7, v21, s17
	v_mad_u64_u32 v[2:3], s[0:1], v21, s16, 0
	v_add3_u32 v3, v3, v7, v6
	v_lshlrev_b64 v[2:3], 2, v[2:3]
	v_mov_b32_e32 v6, s19
	v_add_co_u32_e32 v2, vcc, s18, v2
	v_addc_co_u32_e32 v3, vcc, v6, v3, vcc
	v_mul_lo_u32 v37, v24, s16
	v_mul_lo_u32 v38, v25, s17
	v_mad_u64_u32 v[6:7], s[0:1], v25, s16, 0
	v_add3_u32 v7, v7, v38, v37
	v_lshlrev_b64 v[6:7], 2, v[6:7]
	v_mov_b32_e32 v37, s19
	v_add_co_u32_e32 v6, vcc, s18, v6
	v_addc_co_u32_e32 v7, vcc, v37, v7, vcc
	s_mov_b64 s[36:37], 0
	s_mov_b64 s[44:45], s[16:17]
                                        ; implicit-def: $sgpr38_sgpr39
                                        ; implicit-def: $sgpr40_sgpr41
                                        ; implicit-def: $sgpr0_sgpr1
                                        ; implicit-def: $sgpr42_sgpr43
                                        ; implicit-def: $sgpr46_sgpr47
	s_branch .LBB385_159
.LBB385_158:                            ;   in Loop: Header=BB385_159 Depth=1
	s_or_b64 exec, exec, s[48:49]
	s_and_b64 s[2:3], exec, s[40:41]
	s_or_b64 s[36:37], s[2:3], s[36:37]
	s_andn2_b64 s[2:3], s[46:47], exec
	s_and_b64 s[46:47], s[42:43], exec
	s_or_b64 s[46:47], s[2:3], s[46:47]
	s_andn2_b64 s[2:3], s[38:39], exec
	s_and_b64 s[38:39], s[0:1], exec
	s_or_b64 s[38:39], s[2:3], s[38:39]
	s_andn2_b64 exec, exec, s[36:37]
	s_cbranch_execz .LBB385_161
.LBB385_159:                            ; =>This Inner Loop Header: Depth=1
	global_load_dword v37, v[2:3], off
	global_load_dword v38, v[6:7], off
	s_andn2_b64 s[48:49], s[0:1], exec
	s_andn2_b64 s[42:43], s[42:43], exec
	s_or_b64 s[40:41], s[40:41], exec
	s_waitcnt vmcnt(0)
	v_cmp_le_i32_e64 s[0:1], v37, v38
	v_cmp_lt_i32_e32 vcc, v37, v38
	s_and_b64 s[0:1], s[0:1], s[46:47]
	s_or_b64 s[50:51], vcc, s[0:1]
	s_and_b64 s[0:1], s[50:51], exec
	v_cmp_eq_u32_e64 s[2:3], v37, v38
	s_or_b64 s[0:1], s[48:49], s[0:1]
	s_and_saveexec_b64 s[48:49], s[2:3]
	s_cbranch_execz .LBB385_158
; %bb.160:                              ;   in Loop: Header=BB385_159 Depth=1
	s_add_u32 s44, s44, -1
	s_addc_u32 s45, s45, -1
	v_add_co_u32_e32 v2, vcc, 4, v2
	s_cmp_eq_u64 s[44:45], 0
	v_addc_co_u32_e32 v3, vcc, 0, v3, vcc
	s_cselect_b64 s[2:3], -1, 0
	v_add_co_u32_e32 v6, vcc, 4, v6
	s_andn2_b64 s[42:43], s[42:43], exec
	s_and_b64 s[46:47], s[50:51], exec
	s_andn2_b64 s[40:41], s[40:41], exec
	s_and_b64 s[2:3], s[2:3], exec
	v_addc_co_u32_e32 v7, vcc, 0, v7, vcc
	s_or_b64 s[42:43], s[42:43], s[46:47]
	s_andn2_b64 s[0:1], s[0:1], exec
	s_or_b64 s[40:41], s[40:41], s[2:3]
                                        ; implicit-def: $sgpr46_sgpr47
	s_branch .LBB385_158
.LBB385_161:
	s_or_b64 exec, exec, s[36:37]
	s_xor_b64 s[0:1], s[38:39], -1
	s_branch .LBB385_163
.LBB385_162:
	s_mov_b64 s[0:1], -1
.LBB385_163:
	s_and_b64 s[0:1], s[0:1], exec
.LBB385_164:
	s_or_b64 exec, exec, s[34:35]
	s_orn2_b64 s[0:1], s[0:1], exec
.LBB385_165:
	s_or_b64 exec, exec, s[30:31]
	v_cndmask_b32_e64 v6, v23, v22, s[0:1]
	v_cndmask_b32_e64 v7, v15, v14, s[0:1]
	;; [unrolled: 1-line block ×3, first 2 shown]
	v_add_u32_e32 v10, 1, v6
	v_add_u32_e32 v6, -1, v7
	v_min_u32_e32 v6, v10, v6
	v_lshl_add_u32 v6, v6, 3, v16
	v_cndmask_b32_e64 v2, v9, v11, s[28:29]
	ds_read_b64 v[8:9], v6
	v_cndmask_b32_e64 v11, v10, v23, s[0:1]
	v_cndmask_b32_e64 v1, v5, v1, s[26:27]
	;; [unrolled: 1-line block ×5, first 2 shown]
	s_waitcnt lgkmcnt(0)
	v_cndmask_b32_e64 v7, v24, v9, s[0:1]
	v_cndmask_b32_e64 v6, v25, v8, s[0:1]
	v_cmp_lt_u32_e32 vcc, v11, v15
	s_and_saveexec_b64 s[26:27], vcc
	s_cbranch_execz .LBB385_175
; %bb.166:
	v_cndmask_b32_e64 v10, v22, v10, s[0:1]
	v_cndmask_b32_e64 v9, v9, v20, s[0:1]
	;; [unrolled: 1-line block ×3, first 2 shown]
	v_cmp_lt_u32_e32 vcc, v10, v14
	s_and_saveexec_b64 s[28:29], vcc
	s_cbranch_execz .LBB385_174
; %bb.167:
	s_andn2_b64 vcc, exec, s[24:25]
	s_cbranch_vccnz .LBB385_173
; %bb.168:
	v_mul_lo_u32 v14, v9, s16
	v_mul_lo_u32 v15, v8, s17
	v_mad_u64_u32 v[10:11], s[0:1], v8, s16, 0
	v_add3_u32 v11, v11, v15, v14
	v_lshlrev_b64 v[10:11], 2, v[10:11]
	v_mov_b32_e32 v14, s19
	v_add_co_u32_e32 v10, vcc, s18, v10
	v_addc_co_u32_e32 v11, vcc, v14, v11, vcc
	v_mul_lo_u32 v20, v7, s16
	v_mul_lo_u32 v21, v6, s17
	v_mad_u64_u32 v[14:15], s[0:1], v6, s16, 0
	v_add3_u32 v15, v15, v21, v20
	v_lshlrev_b64 v[14:15], 2, v[14:15]
	v_mov_b32_e32 v20, s19
	v_add_co_u32_e32 v14, vcc, s18, v14
	v_addc_co_u32_e32 v15, vcc, v20, v15, vcc
	s_mov_b64 s[30:31], 0
	s_mov_b64 s[40:41], s[16:17]
                                        ; implicit-def: $sgpr34_sgpr35
                                        ; implicit-def: $sgpr36_sgpr37
                                        ; implicit-def: $sgpr0_sgpr1
                                        ; implicit-def: $sgpr38_sgpr39
                                        ; implicit-def: $sgpr42_sgpr43
	s_branch .LBB385_170
.LBB385_169:                            ;   in Loop: Header=BB385_170 Depth=1
	s_or_b64 exec, exec, s[44:45]
	s_and_b64 s[2:3], exec, s[36:37]
	s_or_b64 s[30:31], s[2:3], s[30:31]
	s_andn2_b64 s[2:3], s[42:43], exec
	s_and_b64 s[42:43], s[38:39], exec
	s_or_b64 s[42:43], s[2:3], s[42:43]
	s_andn2_b64 s[2:3], s[34:35], exec
	s_and_b64 s[34:35], s[0:1], exec
	s_or_b64 s[34:35], s[2:3], s[34:35]
	s_andn2_b64 exec, exec, s[30:31]
	s_cbranch_execz .LBB385_172
.LBB385_170:                            ; =>This Inner Loop Header: Depth=1
	global_load_dword v20, v[10:11], off
	global_load_dword v21, v[14:15], off
	s_andn2_b64 s[44:45], s[0:1], exec
	s_andn2_b64 s[38:39], s[38:39], exec
	s_or_b64 s[36:37], s[36:37], exec
	s_waitcnt vmcnt(0)
	v_cmp_le_i32_e64 s[0:1], v20, v21
	v_cmp_lt_i32_e32 vcc, v20, v21
	s_and_b64 s[0:1], s[0:1], s[42:43]
	s_or_b64 s[46:47], vcc, s[0:1]
	s_and_b64 s[0:1], s[46:47], exec
	v_cmp_eq_u32_e64 s[2:3], v20, v21
	s_or_b64 s[0:1], s[44:45], s[0:1]
	s_and_saveexec_b64 s[44:45], s[2:3]
	s_cbranch_execz .LBB385_169
; %bb.171:                              ;   in Loop: Header=BB385_170 Depth=1
	s_add_u32 s40, s40, -1
	s_addc_u32 s41, s41, -1
	v_add_co_u32_e32 v10, vcc, 4, v10
	s_cmp_eq_u64 s[40:41], 0
	v_addc_co_u32_e32 v11, vcc, 0, v11, vcc
	s_cselect_b64 s[2:3], -1, 0
	v_add_co_u32_e32 v14, vcc, 4, v14
	s_andn2_b64 s[38:39], s[38:39], exec
	s_and_b64 s[42:43], s[46:47], exec
	s_andn2_b64 s[36:37], s[36:37], exec
	s_and_b64 s[2:3], s[2:3], exec
	v_addc_co_u32_e32 v15, vcc, 0, v15, vcc
	s_or_b64 s[38:39], s[38:39], s[42:43]
	s_andn2_b64 s[0:1], s[0:1], exec
	s_or_b64 s[36:37], s[36:37], s[2:3]
                                        ; implicit-def: $sgpr42_sgpr43
	s_branch .LBB385_169
.LBB385_172:
	s_or_b64 exec, exec, s[30:31]
	v_cndmask_b32_e64 v7, v7, v9, s[34:35]
	v_cndmask_b32_e64 v6, v6, v8, s[34:35]
.LBB385_173:
	v_pk_mov_b32 v[8:9], v[6:7], v[6:7] op_sel:[0,1]
.LBB385_174:
	s_or_b64 exec, exec, s[28:29]
	v_pk_mov_b32 v[6:7], v[8:9], v[8:9] op_sel:[0,1]
.LBB385_175:
	s_or_b64 exec, exec, s[26:27]
.LBB385_176:
	s_or_b64 exec, exec, s[4:5]
	v_and_b32_e32 v20, 0x1e0, v18
	v_or_b32_e32 v8, 16, v20
	v_min_u32_e32 v14, v17, v8
	v_add_u32_e32 v8, 16, v14
	v_min_u32_e32 v15, v17, v8
	v_and_b32_e32 v8, 28, v18
	v_min_u32_e32 v21, v17, v8
	v_sub_u32_e32 v8, v14, v20
	v_sub_u32_e32 v9, v15, v14
	v_sub_u32_e64 v23, v21, v9 clamp
	v_min_u32_e32 v24, v21, v8
	v_lshl_add_u32 v22, v20, 3, v16
	v_cmp_lt_u32_e32 vcc, v23, v24
	; wave barrier
	ds_write_b128 v19, v[0:3]
	ds_write_b128 v19, v[4:7] offset:16
	; wave barrier
	s_and_saveexec_b64 s[26:27], vcc
	s_cbranch_execz .LBB385_186
; %bb.177:
	v_lshlrev_b32_e32 v8, 3, v14
	v_lshlrev_b32_e32 v9, 3, v21
	v_add3_u32 v25, v16, v8, v9
	v_cndmask_b32_e64 v8, 0, 1, s[24:25]
	s_lshl_b64 s[30:31], s[16:17], 2
	s_mov_b64 s[28:29], 0
	v_cmp_ne_u32_e64 s[0:1], 1, v8
	s_branch .LBB385_180
.LBB385_178:                            ;   in Loop: Header=BB385_180 Depth=1
	s_or_b64 exec, exec, s[36:37]
.LBB385_179:                            ;   in Loop: Header=BB385_180 Depth=1
	v_add_u32_e32 v8, 1, v37
	v_cndmask_b32_e64 v24, v24, v37, s[34:35]
	v_cndmask_b32_e64 v23, v8, v23, s[34:35]
	v_cmp_ge_u32_e32 vcc, v23, v24
	s_or_b64 s[28:29], vcc, s[28:29]
	s_andn2_b64 exec, exec, s[28:29]
	s_cbranch_execz .LBB385_185
.LBB385_180:                            ; =>This Loop Header: Depth=1
                                        ;     Child Loop BB385_183 Depth 2
	v_add_u32_e32 v8, v24, v23
	v_lshrrev_b32_e32 v37, 1, v8
	s_and_b64 vcc, exec, s[0:1]
	s_mov_b64 s[34:35], 0
	s_cbranch_vccnz .LBB385_179
; %bb.181:                              ;   in Loop: Header=BB385_180 Depth=1
	v_not_b32_e32 v8, v37
	v_lshl_add_u32 v8, v8, 3, v25
	ds_read_b64 v[8:9], v8
	v_lshl_add_u32 v38, v37, 3, v22
	ds_read_b64 v[38:39], v38
	v_pk_mov_b32 v[10:11], s[18:19], s[18:19] op_sel:[0,1]
	s_mov_b64 s[36:37], 0
	s_waitcnt lgkmcnt(1)
	v_mul_lo_u32 v40, s30, v9
	v_mul_lo_u32 v41, s31, v8
	v_mad_u64_u32 v[8:9], s[2:3], s30, v8, v[10:11]
	v_add3_u32 v9, v41, v9, v40
	s_waitcnt lgkmcnt(0)
	v_mul_lo_u32 v39, s30, v39
	v_mul_lo_u32 v40, s31, v38
	v_mad_u64_u32 v[10:11], s[2:3], s30, v38, v[10:11]
	v_add3_u32 v11, v40, v11, v39
	s_mov_b64 s[42:43], s[16:17]
                                        ; implicit-def: $sgpr34_sgpr35
                                        ; implicit-def: $sgpr38_sgpr39
                                        ; implicit-def: $sgpr40_sgpr41
                                        ; implicit-def: $sgpr2_sgpr3
                                        ; implicit-def: $sgpr44_sgpr45
	s_branch .LBB385_183
.LBB385_182:                            ;   in Loop: Header=BB385_183 Depth=2
	s_or_b64 exec, exec, s[46:47]
	s_and_b64 s[4:5], exec, s[38:39]
	s_or_b64 s[36:37], s[4:5], s[36:37]
	s_andn2_b64 s[4:5], s[44:45], exec
	s_and_b64 s[44:45], s[40:41], exec
	s_or_b64 s[44:45], s[4:5], s[44:45]
	s_andn2_b64 s[4:5], s[34:35], exec
	s_and_b64 s[34:35], s[2:3], exec
	s_or_b64 s[34:35], s[4:5], s[34:35]
	s_andn2_b64 exec, exec, s[36:37]
	s_cbranch_execz .LBB385_178
.LBB385_183:                            ;   Parent Loop BB385_180 Depth=1
                                        ; =>  This Inner Loop Header: Depth=2
	global_load_dword v38, v[8:9], off
	global_load_dword v39, v[10:11], off
	s_andn2_b64 s[46:47], s[2:3], exec
	s_andn2_b64 s[40:41], s[40:41], exec
	s_or_b64 s[38:39], s[38:39], exec
	s_waitcnt vmcnt(0)
	v_cmp_le_i32_e64 s[2:3], v38, v39
	v_cmp_lt_i32_e32 vcc, v38, v39
	s_and_b64 s[2:3], s[2:3], s[44:45]
	s_or_b64 s[48:49], vcc, s[2:3]
	s_and_b64 s[2:3], s[48:49], exec
	v_cmp_eq_u32_e64 s[4:5], v38, v39
	s_or_b64 s[2:3], s[46:47], s[2:3]
	s_and_saveexec_b64 s[46:47], s[4:5]
	s_cbranch_execz .LBB385_182
; %bb.184:                              ;   in Loop: Header=BB385_183 Depth=2
	s_add_u32 s42, s42, -1
	s_addc_u32 s43, s43, -1
	v_add_co_u32_e32 v8, vcc, 4, v8
	s_cmp_eq_u64 s[42:43], 0
	v_addc_co_u32_e32 v9, vcc, 0, v9, vcc
	s_cselect_b64 s[4:5], -1, 0
	v_add_co_u32_e32 v10, vcc, 4, v10
	s_andn2_b64 s[40:41], s[40:41], exec
	s_and_b64 s[44:45], s[48:49], exec
	s_andn2_b64 s[38:39], s[38:39], exec
	s_and_b64 s[4:5], s[4:5], exec
	v_addc_co_u32_e32 v11, vcc, 0, v11, vcc
	s_andn2_b64 s[2:3], s[2:3], exec
	s_or_b64 s[40:41], s[40:41], s[44:45]
	s_or_b64 s[38:39], s[38:39], s[4:5]
                                        ; implicit-def: $sgpr44_sgpr45
	s_branch .LBB385_182
.LBB385_185:
	s_or_b64 exec, exec, s[28:29]
.LBB385_186:
	s_or_b64 exec, exec, s[26:27]
	v_add_u32_e32 v8, v14, v21
	v_add_u32_e32 v20, v23, v20
	v_sub_u32_e32 v21, v8, v23
	v_cmp_le_u32_e32 vcc, v20, v14
	v_cmp_le_u32_e64 s[0:1], v21, v15
	s_or_b64 s[0:1], vcc, s[0:1]
	s_and_saveexec_b64 s[4:5], s[0:1]
	s_cbranch_execz .LBB385_233
; %bb.187:
	v_cmp_ge_u32_e32 vcc, v20, v14
	v_cmp_lt_u32_e64 s[0:1], v20, v14
                                        ; implicit-def: $vgpr0_vgpr1
	s_and_saveexec_b64 s[2:3], s[0:1]
	s_cbranch_execz .LBB385_189
; %bb.188:
	v_lshl_add_u32 v0, v23, 3, v22
	ds_read_b64 v[0:1], v0
.LBB385_189:
	s_or_b64 exec, exec, s[2:3]
	v_cmp_ge_u32_e64 s[26:27], v21, v15
	v_cmp_lt_u32_e64 s[0:1], v21, v15
                                        ; implicit-def: $vgpr4_vgpr5
	s_and_saveexec_b64 s[2:3], s[0:1]
	s_cbranch_execz .LBB385_191
; %bb.190:
	v_lshl_add_u32 v2, v21, 3, v16
	ds_read_b64 v[4:5], v2
.LBB385_191:
	s_or_b64 exec, exec, s[2:3]
	s_or_b64 s[0:1], vcc, s[26:27]
	s_mov_b64 s[28:29], -1
	s_xor_b64 s[0:1], s[0:1], -1
	s_and_saveexec_b64 s[30:31], s[0:1]
	s_cbranch_execz .LBB385_200
; %bb.192:
	s_andn2_b64 vcc, exec, s[24:25]
	s_cbranch_vccnz .LBB385_198
; %bb.193:
	s_waitcnt lgkmcnt(0)
	v_mul_lo_u32 v6, v5, s16
	v_mul_lo_u32 v7, v4, s17
	v_mad_u64_u32 v[2:3], s[0:1], v4, s16, 0
	v_add3_u32 v3, v3, v7, v6
	v_lshlrev_b64 v[2:3], 2, v[2:3]
	v_mov_b32_e32 v6, s19
	v_add_co_u32_e32 v2, vcc, s18, v2
	v_addc_co_u32_e32 v3, vcc, v6, v3, vcc
	v_mul_lo_u32 v8, v1, s16
	v_mul_lo_u32 v9, v0, s17
	v_mad_u64_u32 v[6:7], s[0:1], v0, s16, 0
	v_add3_u32 v7, v7, v9, v8
	v_lshlrev_b64 v[6:7], 2, v[6:7]
	v_mov_b32_e32 v8, s19
	v_add_co_u32_e32 v6, vcc, s18, v6
	v_addc_co_u32_e32 v7, vcc, v8, v7, vcc
	s_mov_b64 s[34:35], 0
	s_mov_b64 s[42:43], s[16:17]
                                        ; implicit-def: $sgpr36_sgpr37
                                        ; implicit-def: $sgpr38_sgpr39
                                        ; implicit-def: $sgpr0_sgpr1
                                        ; implicit-def: $sgpr40_sgpr41
                                        ; implicit-def: $sgpr44_sgpr45
	s_branch .LBB385_195
.LBB385_194:                            ;   in Loop: Header=BB385_195 Depth=1
	s_or_b64 exec, exec, s[46:47]
	s_and_b64 s[2:3], exec, s[38:39]
	s_or_b64 s[34:35], s[2:3], s[34:35]
	s_andn2_b64 s[2:3], s[44:45], exec
	s_and_b64 s[44:45], s[40:41], exec
	s_or_b64 s[44:45], s[2:3], s[44:45]
	s_andn2_b64 s[2:3], s[36:37], exec
	s_and_b64 s[36:37], s[0:1], exec
	s_or_b64 s[36:37], s[2:3], s[36:37]
	s_andn2_b64 exec, exec, s[34:35]
	s_cbranch_execz .LBB385_197
.LBB385_195:                            ; =>This Inner Loop Header: Depth=1
	global_load_dword v8, v[2:3], off
	global_load_dword v9, v[6:7], off
	s_andn2_b64 s[46:47], s[0:1], exec
	s_andn2_b64 s[40:41], s[40:41], exec
	s_or_b64 s[38:39], s[38:39], exec
	s_waitcnt vmcnt(0)
	v_cmp_le_i32_e64 s[0:1], v8, v9
	v_cmp_lt_i32_e32 vcc, v8, v9
	s_and_b64 s[0:1], s[0:1], s[44:45]
	s_or_b64 s[48:49], vcc, s[0:1]
	s_and_b64 s[0:1], s[48:49], exec
	v_cmp_eq_u32_e64 s[2:3], v8, v9
	s_or_b64 s[0:1], s[46:47], s[0:1]
	s_and_saveexec_b64 s[46:47], s[2:3]
	s_cbranch_execz .LBB385_194
; %bb.196:                              ;   in Loop: Header=BB385_195 Depth=1
	s_add_u32 s42, s42, -1
	s_addc_u32 s43, s43, -1
	v_add_co_u32_e32 v2, vcc, 4, v2
	s_cmp_eq_u64 s[42:43], 0
	v_addc_co_u32_e32 v3, vcc, 0, v3, vcc
	s_cselect_b64 s[2:3], -1, 0
	v_add_co_u32_e32 v6, vcc, 4, v6
	s_andn2_b64 s[40:41], s[40:41], exec
	s_and_b64 s[44:45], s[48:49], exec
	s_andn2_b64 s[38:39], s[38:39], exec
	s_and_b64 s[2:3], s[2:3], exec
	v_addc_co_u32_e32 v7, vcc, 0, v7, vcc
	s_or_b64 s[40:41], s[40:41], s[44:45]
	s_andn2_b64 s[0:1], s[0:1], exec
	s_or_b64 s[38:39], s[38:39], s[2:3]
                                        ; implicit-def: $sgpr44_sgpr45
	s_branch .LBB385_194
.LBB385_197:
	s_or_b64 exec, exec, s[34:35]
	s_xor_b64 s[0:1], s[36:37], -1
	s_branch .LBB385_199
.LBB385_198:
	s_mov_b64 s[0:1], -1
.LBB385_199:
	s_andn2_b64 s[2:3], s[26:27], exec
	s_and_b64 s[0:1], s[0:1], exec
	s_or_b64 s[26:27], s[2:3], s[0:1]
.LBB385_200:
	s_or_b64 exec, exec, s[30:31]
	v_cndmask_b32_e64 v2, v21, v20, s[26:27]
	v_cndmask_b32_e64 v3, v15, v14, s[26:27]
	v_add_u32_e32 v6, 1, v2
	v_add_u32_e32 v2, -1, v3
	v_min_u32_e32 v2, v6, v2
	v_lshl_add_u32 v2, v2, 3, v16
	ds_read_b64 v[2:3], v2
	v_cndmask_b32_e64 v22, v6, v21, s[26:27]
	v_cndmask_b32_e64 v37, v20, v6, s[26:27]
	v_cmp_lt_u32_e32 vcc, v22, v15
	s_waitcnt lgkmcnt(0)
	v_cndmask_b32_e64 v8, v3, v5, s[26:27]
	v_cndmask_b32_e64 v9, v2, v4, s[26:27]
	;; [unrolled: 1-line block ×4, first 2 shown]
	s_and_saveexec_b64 s[30:31], vcc
	s_cbranch_execz .LBB385_211
; %bb.201:
	v_cmp_lt_u32_e32 vcc, v37, v14
	s_mov_b64 s[0:1], 0
	s_and_saveexec_b64 s[28:29], vcc
	s_cbranch_execz .LBB385_210
; %bb.202:
	s_andn2_b64 vcc, exec, s[24:25]
	s_cbranch_vccnz .LBB385_208
; %bb.203:
	v_mul_lo_u32 v6, v8, s16
	v_mul_lo_u32 v7, v9, s17
	v_mad_u64_u32 v[2:3], s[0:1], v9, s16, 0
	v_add3_u32 v3, v3, v7, v6
	v_lshlrev_b64 v[2:3], 2, v[2:3]
	v_mov_b32_e32 v6, s19
	v_add_co_u32_e32 v2, vcc, s18, v2
	v_addc_co_u32_e32 v3, vcc, v6, v3, vcc
	v_mul_lo_u32 v20, v10, s16
	v_mul_lo_u32 v21, v11, s17
	v_mad_u64_u32 v[6:7], s[0:1], v11, s16, 0
	v_add3_u32 v7, v7, v21, v20
	v_lshlrev_b64 v[6:7], 2, v[6:7]
	v_mov_b32_e32 v20, s19
	v_add_co_u32_e32 v6, vcc, s18, v6
	v_addc_co_u32_e32 v7, vcc, v20, v7, vcc
	s_mov_b64 s[34:35], 0
	s_mov_b64 s[42:43], s[16:17]
                                        ; implicit-def: $sgpr36_sgpr37
                                        ; implicit-def: $sgpr38_sgpr39
                                        ; implicit-def: $sgpr0_sgpr1
                                        ; implicit-def: $sgpr40_sgpr41
                                        ; implicit-def: $sgpr44_sgpr45
	s_branch .LBB385_205
.LBB385_204:                            ;   in Loop: Header=BB385_205 Depth=1
	s_or_b64 exec, exec, s[46:47]
	s_and_b64 s[2:3], exec, s[38:39]
	s_or_b64 s[34:35], s[2:3], s[34:35]
	s_andn2_b64 s[2:3], s[44:45], exec
	s_and_b64 s[44:45], s[40:41], exec
	s_or_b64 s[44:45], s[2:3], s[44:45]
	s_andn2_b64 s[2:3], s[36:37], exec
	s_and_b64 s[36:37], s[0:1], exec
	s_or_b64 s[36:37], s[2:3], s[36:37]
	s_andn2_b64 exec, exec, s[34:35]
	s_cbranch_execz .LBB385_207
.LBB385_205:                            ; =>This Inner Loop Header: Depth=1
	global_load_dword v20, v[2:3], off
	global_load_dword v21, v[6:7], off
	s_andn2_b64 s[46:47], s[0:1], exec
	s_andn2_b64 s[40:41], s[40:41], exec
	s_or_b64 s[38:39], s[38:39], exec
	s_waitcnt vmcnt(0)
	v_cmp_le_i32_e64 s[0:1], v20, v21
	v_cmp_lt_i32_e32 vcc, v20, v21
	s_and_b64 s[0:1], s[0:1], s[44:45]
	s_or_b64 s[48:49], vcc, s[0:1]
	s_and_b64 s[0:1], s[48:49], exec
	v_cmp_eq_u32_e64 s[2:3], v20, v21
	s_or_b64 s[0:1], s[46:47], s[0:1]
	s_and_saveexec_b64 s[46:47], s[2:3]
	s_cbranch_execz .LBB385_204
; %bb.206:                              ;   in Loop: Header=BB385_205 Depth=1
	s_add_u32 s42, s42, -1
	s_addc_u32 s43, s43, -1
	v_add_co_u32_e32 v2, vcc, 4, v2
	s_cmp_eq_u64 s[42:43], 0
	v_addc_co_u32_e32 v3, vcc, 0, v3, vcc
	s_cselect_b64 s[2:3], -1, 0
	v_add_co_u32_e32 v6, vcc, 4, v6
	s_andn2_b64 s[40:41], s[40:41], exec
	s_and_b64 s[44:45], s[48:49], exec
	s_andn2_b64 s[38:39], s[38:39], exec
	s_and_b64 s[2:3], s[2:3], exec
	v_addc_co_u32_e32 v7, vcc, 0, v7, vcc
	s_or_b64 s[40:41], s[40:41], s[44:45]
	s_andn2_b64 s[0:1], s[0:1], exec
	s_or_b64 s[38:39], s[38:39], s[2:3]
                                        ; implicit-def: $sgpr44_sgpr45
	s_branch .LBB385_204
.LBB385_207:
	s_or_b64 exec, exec, s[34:35]
	s_xor_b64 s[0:1], s[36:37], -1
	s_branch .LBB385_209
.LBB385_208:
	s_mov_b64 s[0:1], -1
.LBB385_209:
	s_and_b64 s[0:1], s[0:1], exec
.LBB385_210:
	s_or_b64 exec, exec, s[28:29]
	s_orn2_b64 s[28:29], s[0:1], exec
.LBB385_211:
	s_or_b64 exec, exec, s[30:31]
	v_cndmask_b32_e64 v2, v22, v37, s[28:29]
	v_cndmask_b32_e64 v3, v15, v14, s[28:29]
	v_add_u32_e32 v6, 1, v2
	v_add_u32_e32 v2, -1, v3
	v_min_u32_e32 v2, v6, v2
	v_lshl_add_u32 v2, v2, 3, v16
	ds_read_b64 v[2:3], v2
	v_cndmask_b32_e64 v23, v6, v22, s[28:29]
	v_cndmask_b32_e64 v22, v37, v6, s[28:29]
	v_cmp_lt_u32_e32 vcc, v23, v15
	s_mov_b64 s[0:1], -1
	s_waitcnt lgkmcnt(0)
	v_cndmask_b32_e64 v20, v3, v8, s[28:29]
	v_cndmask_b32_e64 v21, v2, v9, s[28:29]
	;; [unrolled: 1-line block ×4, first 2 shown]
	s_and_saveexec_b64 s[30:31], vcc
	s_cbranch_execz .LBB385_222
; %bb.212:
	v_cmp_lt_u32_e32 vcc, v22, v14
	s_mov_b64 s[0:1], 0
	s_and_saveexec_b64 s[34:35], vcc
	s_cbranch_execz .LBB385_221
; %bb.213:
	s_andn2_b64 vcc, exec, s[24:25]
	s_cbranch_vccnz .LBB385_219
; %bb.214:
	v_mul_lo_u32 v6, v20, s16
	v_mul_lo_u32 v7, v21, s17
	v_mad_u64_u32 v[2:3], s[0:1], v21, s16, 0
	v_add3_u32 v3, v3, v7, v6
	v_lshlrev_b64 v[2:3], 2, v[2:3]
	v_mov_b32_e32 v6, s19
	v_add_co_u32_e32 v2, vcc, s18, v2
	v_addc_co_u32_e32 v3, vcc, v6, v3, vcc
	v_mul_lo_u32 v37, v24, s16
	v_mul_lo_u32 v38, v25, s17
	v_mad_u64_u32 v[6:7], s[0:1], v25, s16, 0
	v_add3_u32 v7, v7, v38, v37
	v_lshlrev_b64 v[6:7], 2, v[6:7]
	v_mov_b32_e32 v37, s19
	v_add_co_u32_e32 v6, vcc, s18, v6
	v_addc_co_u32_e32 v7, vcc, v37, v7, vcc
	s_mov_b64 s[36:37], 0
	s_mov_b64 s[44:45], s[16:17]
                                        ; implicit-def: $sgpr38_sgpr39
                                        ; implicit-def: $sgpr40_sgpr41
                                        ; implicit-def: $sgpr0_sgpr1
                                        ; implicit-def: $sgpr42_sgpr43
                                        ; implicit-def: $sgpr46_sgpr47
	s_branch .LBB385_216
.LBB385_215:                            ;   in Loop: Header=BB385_216 Depth=1
	s_or_b64 exec, exec, s[48:49]
	s_and_b64 s[2:3], exec, s[40:41]
	s_or_b64 s[36:37], s[2:3], s[36:37]
	s_andn2_b64 s[2:3], s[46:47], exec
	s_and_b64 s[46:47], s[42:43], exec
	s_or_b64 s[46:47], s[2:3], s[46:47]
	s_andn2_b64 s[2:3], s[38:39], exec
	s_and_b64 s[38:39], s[0:1], exec
	s_or_b64 s[38:39], s[2:3], s[38:39]
	s_andn2_b64 exec, exec, s[36:37]
	s_cbranch_execz .LBB385_218
.LBB385_216:                            ; =>This Inner Loop Header: Depth=1
	global_load_dword v37, v[2:3], off
	global_load_dword v38, v[6:7], off
	s_andn2_b64 s[48:49], s[0:1], exec
	s_andn2_b64 s[42:43], s[42:43], exec
	s_or_b64 s[40:41], s[40:41], exec
	s_waitcnt vmcnt(0)
	v_cmp_le_i32_e64 s[0:1], v37, v38
	v_cmp_lt_i32_e32 vcc, v37, v38
	s_and_b64 s[0:1], s[0:1], s[46:47]
	s_or_b64 s[50:51], vcc, s[0:1]
	s_and_b64 s[0:1], s[50:51], exec
	v_cmp_eq_u32_e64 s[2:3], v37, v38
	s_or_b64 s[0:1], s[48:49], s[0:1]
	s_and_saveexec_b64 s[48:49], s[2:3]
	s_cbranch_execz .LBB385_215
; %bb.217:                              ;   in Loop: Header=BB385_216 Depth=1
	s_add_u32 s44, s44, -1
	s_addc_u32 s45, s45, -1
	v_add_co_u32_e32 v2, vcc, 4, v2
	s_cmp_eq_u64 s[44:45], 0
	v_addc_co_u32_e32 v3, vcc, 0, v3, vcc
	s_cselect_b64 s[2:3], -1, 0
	v_add_co_u32_e32 v6, vcc, 4, v6
	s_andn2_b64 s[42:43], s[42:43], exec
	s_and_b64 s[46:47], s[50:51], exec
	s_andn2_b64 s[40:41], s[40:41], exec
	s_and_b64 s[2:3], s[2:3], exec
	v_addc_co_u32_e32 v7, vcc, 0, v7, vcc
	s_or_b64 s[42:43], s[42:43], s[46:47]
	s_andn2_b64 s[0:1], s[0:1], exec
	s_or_b64 s[40:41], s[40:41], s[2:3]
                                        ; implicit-def: $sgpr46_sgpr47
	s_branch .LBB385_215
.LBB385_218:
	s_or_b64 exec, exec, s[36:37]
	s_xor_b64 s[0:1], s[38:39], -1
	s_branch .LBB385_220
.LBB385_219:
	s_mov_b64 s[0:1], -1
.LBB385_220:
	s_and_b64 s[0:1], s[0:1], exec
.LBB385_221:
	s_or_b64 exec, exec, s[34:35]
	s_orn2_b64 s[0:1], s[0:1], exec
.LBB385_222:
	s_or_b64 exec, exec, s[30:31]
	v_cndmask_b32_e64 v6, v23, v22, s[0:1]
	v_cndmask_b32_e64 v7, v15, v14, s[0:1]
	;; [unrolled: 1-line block ×3, first 2 shown]
	v_add_u32_e32 v10, 1, v6
	v_add_u32_e32 v6, -1, v7
	v_min_u32_e32 v6, v10, v6
	v_lshl_add_u32 v6, v6, 3, v16
	v_cndmask_b32_e64 v2, v9, v11, s[28:29]
	ds_read_b64 v[8:9], v6
	v_cndmask_b32_e64 v11, v10, v23, s[0:1]
	v_cndmask_b32_e64 v1, v5, v1, s[26:27]
	;; [unrolled: 1-line block ×5, first 2 shown]
	s_waitcnt lgkmcnt(0)
	v_cndmask_b32_e64 v7, v24, v9, s[0:1]
	v_cndmask_b32_e64 v6, v25, v8, s[0:1]
	v_cmp_lt_u32_e32 vcc, v11, v15
	s_and_saveexec_b64 s[26:27], vcc
	s_cbranch_execz .LBB385_232
; %bb.223:
	v_cndmask_b32_e64 v10, v22, v10, s[0:1]
	v_cndmask_b32_e64 v9, v9, v20, s[0:1]
	;; [unrolled: 1-line block ×3, first 2 shown]
	v_cmp_lt_u32_e32 vcc, v10, v14
	s_and_saveexec_b64 s[28:29], vcc
	s_cbranch_execz .LBB385_231
; %bb.224:
	s_andn2_b64 vcc, exec, s[24:25]
	s_cbranch_vccnz .LBB385_230
; %bb.225:
	v_mul_lo_u32 v14, v9, s16
	v_mul_lo_u32 v15, v8, s17
	v_mad_u64_u32 v[10:11], s[0:1], v8, s16, 0
	v_add3_u32 v11, v11, v15, v14
	v_lshlrev_b64 v[10:11], 2, v[10:11]
	v_mov_b32_e32 v14, s19
	v_add_co_u32_e32 v10, vcc, s18, v10
	v_addc_co_u32_e32 v11, vcc, v14, v11, vcc
	v_mul_lo_u32 v20, v7, s16
	v_mul_lo_u32 v21, v6, s17
	v_mad_u64_u32 v[14:15], s[0:1], v6, s16, 0
	v_add3_u32 v15, v15, v21, v20
	v_lshlrev_b64 v[14:15], 2, v[14:15]
	v_mov_b32_e32 v20, s19
	v_add_co_u32_e32 v14, vcc, s18, v14
	v_addc_co_u32_e32 v15, vcc, v20, v15, vcc
	s_mov_b64 s[30:31], 0
	s_mov_b64 s[40:41], s[16:17]
                                        ; implicit-def: $sgpr34_sgpr35
                                        ; implicit-def: $sgpr36_sgpr37
                                        ; implicit-def: $sgpr0_sgpr1
                                        ; implicit-def: $sgpr38_sgpr39
                                        ; implicit-def: $sgpr42_sgpr43
	s_branch .LBB385_227
.LBB385_226:                            ;   in Loop: Header=BB385_227 Depth=1
	s_or_b64 exec, exec, s[44:45]
	s_and_b64 s[2:3], exec, s[36:37]
	s_or_b64 s[30:31], s[2:3], s[30:31]
	s_andn2_b64 s[2:3], s[42:43], exec
	s_and_b64 s[42:43], s[38:39], exec
	s_or_b64 s[42:43], s[2:3], s[42:43]
	s_andn2_b64 s[2:3], s[34:35], exec
	s_and_b64 s[34:35], s[0:1], exec
	s_or_b64 s[34:35], s[2:3], s[34:35]
	s_andn2_b64 exec, exec, s[30:31]
	s_cbranch_execz .LBB385_229
.LBB385_227:                            ; =>This Inner Loop Header: Depth=1
	global_load_dword v20, v[10:11], off
	global_load_dword v21, v[14:15], off
	s_andn2_b64 s[44:45], s[0:1], exec
	s_andn2_b64 s[38:39], s[38:39], exec
	s_or_b64 s[36:37], s[36:37], exec
	s_waitcnt vmcnt(0)
	v_cmp_le_i32_e64 s[0:1], v20, v21
	v_cmp_lt_i32_e32 vcc, v20, v21
	s_and_b64 s[0:1], s[0:1], s[42:43]
	s_or_b64 s[46:47], vcc, s[0:1]
	s_and_b64 s[0:1], s[46:47], exec
	v_cmp_eq_u32_e64 s[2:3], v20, v21
	s_or_b64 s[0:1], s[44:45], s[0:1]
	s_and_saveexec_b64 s[44:45], s[2:3]
	s_cbranch_execz .LBB385_226
; %bb.228:                              ;   in Loop: Header=BB385_227 Depth=1
	s_add_u32 s40, s40, -1
	s_addc_u32 s41, s41, -1
	v_add_co_u32_e32 v10, vcc, 4, v10
	s_cmp_eq_u64 s[40:41], 0
	v_addc_co_u32_e32 v11, vcc, 0, v11, vcc
	s_cselect_b64 s[2:3], -1, 0
	v_add_co_u32_e32 v14, vcc, 4, v14
	s_andn2_b64 s[38:39], s[38:39], exec
	s_and_b64 s[42:43], s[46:47], exec
	s_andn2_b64 s[36:37], s[36:37], exec
	s_and_b64 s[2:3], s[2:3], exec
	v_addc_co_u32_e32 v15, vcc, 0, v15, vcc
	s_or_b64 s[38:39], s[38:39], s[42:43]
	s_andn2_b64 s[0:1], s[0:1], exec
	s_or_b64 s[36:37], s[36:37], s[2:3]
                                        ; implicit-def: $sgpr42_sgpr43
	s_branch .LBB385_226
.LBB385_229:
	s_or_b64 exec, exec, s[30:31]
	v_cndmask_b32_e64 v7, v7, v9, s[34:35]
	v_cndmask_b32_e64 v6, v6, v8, s[34:35]
.LBB385_230:
	v_pk_mov_b32 v[8:9], v[6:7], v[6:7] op_sel:[0,1]
.LBB385_231:
	s_or_b64 exec, exec, s[28:29]
	v_pk_mov_b32 v[6:7], v[8:9], v[8:9] op_sel:[0,1]
.LBB385_232:
	s_or_b64 exec, exec, s[26:27]
.LBB385_233:
	s_or_b64 exec, exec, s[4:5]
	v_and_b32_e32 v21, 0x1c0, v18
	v_or_b32_e32 v8, 32, v21
	v_min_u32_e32 v14, v17, v8
	v_add_u32_e32 v8, 32, v14
	v_min_u32_e32 v15, v17, v8
	v_and_b32_e32 v8, 60, v18
	v_min_u32_e32 v18, v17, v8
	v_sub_u32_e32 v8, v14, v21
	v_sub_u32_e32 v9, v15, v14
	v_sub_u32_e64 v20, v18, v9 clamp
	v_min_u32_e32 v17, v18, v8
	; wave barrier
	ds_write_b128 v19, v[0:3]
	ds_write_b128 v19, v[4:7] offset:16
	v_lshl_add_u32 v19, v21, 3, v16
	v_cmp_lt_u32_e32 vcc, v20, v17
	; wave barrier
	s_and_saveexec_b64 s[26:27], vcc
	s_cbranch_execz .LBB385_243
; %bb.234:
	v_lshlrev_b32_e32 v8, 3, v14
	v_lshlrev_b32_e32 v9, 3, v18
	v_add3_u32 v22, v16, v8, v9
	v_cndmask_b32_e64 v8, 0, 1, s[24:25]
	s_lshl_b64 s[30:31], s[16:17], 2
	s_mov_b64 s[28:29], 0
	v_cmp_ne_u32_e64 s[0:1], 1, v8
	s_branch .LBB385_237
.LBB385_235:                            ;   in Loop: Header=BB385_237 Depth=1
	s_or_b64 exec, exec, s[36:37]
.LBB385_236:                            ;   in Loop: Header=BB385_237 Depth=1
	v_add_u32_e32 v8, 1, v23
	v_cndmask_b32_e64 v17, v17, v23, s[34:35]
	v_cndmask_b32_e64 v20, v8, v20, s[34:35]
	v_cmp_ge_u32_e32 vcc, v20, v17
	s_or_b64 s[28:29], vcc, s[28:29]
	s_andn2_b64 exec, exec, s[28:29]
	s_cbranch_execz .LBB385_242
.LBB385_237:                            ; =>This Loop Header: Depth=1
                                        ;     Child Loop BB385_240 Depth 2
	v_add_u32_e32 v8, v17, v20
	v_lshrrev_b32_e32 v23, 1, v8
	s_and_b64 vcc, exec, s[0:1]
	s_mov_b64 s[34:35], 0
	s_cbranch_vccnz .LBB385_236
; %bb.238:                              ;   in Loop: Header=BB385_237 Depth=1
	v_not_b32_e32 v8, v23
	v_lshl_add_u32 v8, v8, 3, v22
	ds_read_b64 v[8:9], v8
	v_lshl_add_u32 v24, v23, 3, v19
	ds_read_b64 v[24:25], v24
	v_pk_mov_b32 v[10:11], s[18:19], s[18:19] op_sel:[0,1]
	s_mov_b64 s[36:37], 0
	s_waitcnt lgkmcnt(1)
	v_mul_lo_u32 v37, s30, v9
	v_mul_lo_u32 v38, s31, v8
	v_mad_u64_u32 v[8:9], s[2:3], s30, v8, v[10:11]
	v_add3_u32 v9, v38, v9, v37
	s_waitcnt lgkmcnt(0)
	v_mul_lo_u32 v25, s30, v25
	v_mul_lo_u32 v37, s31, v24
	v_mad_u64_u32 v[10:11], s[2:3], s30, v24, v[10:11]
	v_add3_u32 v11, v37, v11, v25
	s_mov_b64 s[42:43], s[16:17]
                                        ; implicit-def: $sgpr34_sgpr35
                                        ; implicit-def: $sgpr38_sgpr39
                                        ; implicit-def: $sgpr40_sgpr41
                                        ; implicit-def: $sgpr2_sgpr3
                                        ; implicit-def: $sgpr44_sgpr45
	s_branch .LBB385_240
.LBB385_239:                            ;   in Loop: Header=BB385_240 Depth=2
	s_or_b64 exec, exec, s[46:47]
	s_and_b64 s[4:5], exec, s[38:39]
	s_or_b64 s[36:37], s[4:5], s[36:37]
	s_andn2_b64 s[4:5], s[44:45], exec
	s_and_b64 s[44:45], s[40:41], exec
	s_or_b64 s[44:45], s[4:5], s[44:45]
	s_andn2_b64 s[4:5], s[34:35], exec
	s_and_b64 s[34:35], s[2:3], exec
	s_or_b64 s[34:35], s[4:5], s[34:35]
	s_andn2_b64 exec, exec, s[36:37]
	s_cbranch_execz .LBB385_235
.LBB385_240:                            ;   Parent Loop BB385_237 Depth=1
                                        ; =>  This Inner Loop Header: Depth=2
	global_load_dword v24, v[8:9], off
	global_load_dword v25, v[10:11], off
	s_andn2_b64 s[46:47], s[2:3], exec
	s_andn2_b64 s[40:41], s[40:41], exec
	s_or_b64 s[38:39], s[38:39], exec
	s_waitcnt vmcnt(0)
	v_cmp_le_i32_e64 s[2:3], v24, v25
	v_cmp_lt_i32_e32 vcc, v24, v25
	s_and_b64 s[2:3], s[2:3], s[44:45]
	s_or_b64 s[48:49], vcc, s[2:3]
	s_and_b64 s[2:3], s[48:49], exec
	v_cmp_eq_u32_e64 s[4:5], v24, v25
	s_or_b64 s[2:3], s[46:47], s[2:3]
	s_and_saveexec_b64 s[46:47], s[4:5]
	s_cbranch_execz .LBB385_239
; %bb.241:                              ;   in Loop: Header=BB385_240 Depth=2
	s_add_u32 s42, s42, -1
	s_addc_u32 s43, s43, -1
	v_add_co_u32_e32 v8, vcc, 4, v8
	s_cmp_eq_u64 s[42:43], 0
	v_addc_co_u32_e32 v9, vcc, 0, v9, vcc
	s_cselect_b64 s[4:5], -1, 0
	v_add_co_u32_e32 v10, vcc, 4, v10
	s_andn2_b64 s[40:41], s[40:41], exec
	s_and_b64 s[44:45], s[48:49], exec
	s_andn2_b64 s[38:39], s[38:39], exec
	s_and_b64 s[4:5], s[4:5], exec
	v_addc_co_u32_e32 v11, vcc, 0, v11, vcc
	s_andn2_b64 s[2:3], s[2:3], exec
	s_or_b64 s[40:41], s[40:41], s[44:45]
	s_or_b64 s[38:39], s[38:39], s[4:5]
                                        ; implicit-def: $sgpr44_sgpr45
	s_branch .LBB385_239
.LBB385_242:
	s_or_b64 exec, exec, s[28:29]
.LBB385_243:
	s_or_b64 exec, exec, s[26:27]
	v_add_u32_e32 v8, v14, v18
	v_add_u32_e32 v17, v20, v21
	v_sub_u32_e32 v18, v8, v20
	v_cmp_le_u32_e32 vcc, v17, v14
	v_cmp_le_u32_e64 s[0:1], v18, v15
	s_or_b64 s[0:1], vcc, s[0:1]
	s_and_saveexec_b64 s[4:5], s[0:1]
	s_cbranch_execz .LBB385_290
; %bb.244:
	v_cmp_ge_u32_e32 vcc, v17, v14
	v_cmp_lt_u32_e64 s[0:1], v17, v14
                                        ; implicit-def: $vgpr0_vgpr1
	s_and_saveexec_b64 s[2:3], s[0:1]
	s_cbranch_execz .LBB385_246
; %bb.245:
	v_lshl_add_u32 v0, v20, 3, v19
	ds_read_b64 v[0:1], v0
.LBB385_246:
	s_or_b64 exec, exec, s[2:3]
	v_cmp_ge_u32_e64 s[26:27], v18, v15
	v_cmp_lt_u32_e64 s[0:1], v18, v15
                                        ; implicit-def: $vgpr4_vgpr5
	s_and_saveexec_b64 s[2:3], s[0:1]
	s_cbranch_execz .LBB385_248
; %bb.247:
	v_lshl_add_u32 v2, v18, 3, v16
	ds_read_b64 v[4:5], v2
.LBB385_248:
	s_or_b64 exec, exec, s[2:3]
	s_or_b64 s[0:1], vcc, s[26:27]
	s_mov_b64 s[28:29], -1
	s_xor_b64 s[0:1], s[0:1], -1
	s_and_saveexec_b64 s[30:31], s[0:1]
	s_cbranch_execz .LBB385_257
; %bb.249:
	s_andn2_b64 vcc, exec, s[24:25]
	s_cbranch_vccnz .LBB385_255
; %bb.250:
	s_waitcnt lgkmcnt(0)
	v_mul_lo_u32 v6, v5, s16
	v_mul_lo_u32 v7, v4, s17
	v_mad_u64_u32 v[2:3], s[0:1], v4, s16, 0
	v_add3_u32 v3, v3, v7, v6
	v_lshlrev_b64 v[2:3], 2, v[2:3]
	v_mov_b32_e32 v6, s19
	v_add_co_u32_e32 v2, vcc, s18, v2
	v_addc_co_u32_e32 v3, vcc, v6, v3, vcc
	v_mul_lo_u32 v8, v1, s16
	v_mul_lo_u32 v9, v0, s17
	v_mad_u64_u32 v[6:7], s[0:1], v0, s16, 0
	v_add3_u32 v7, v7, v9, v8
	v_lshlrev_b64 v[6:7], 2, v[6:7]
	v_mov_b32_e32 v8, s19
	v_add_co_u32_e32 v6, vcc, s18, v6
	v_addc_co_u32_e32 v7, vcc, v8, v7, vcc
	s_mov_b64 s[34:35], 0
	s_mov_b64 s[42:43], s[16:17]
                                        ; implicit-def: $sgpr36_sgpr37
                                        ; implicit-def: $sgpr38_sgpr39
                                        ; implicit-def: $sgpr0_sgpr1
                                        ; implicit-def: $sgpr40_sgpr41
                                        ; implicit-def: $sgpr44_sgpr45
	s_branch .LBB385_252
.LBB385_251:                            ;   in Loop: Header=BB385_252 Depth=1
	s_or_b64 exec, exec, s[46:47]
	s_and_b64 s[2:3], exec, s[38:39]
	s_or_b64 s[34:35], s[2:3], s[34:35]
	s_andn2_b64 s[2:3], s[44:45], exec
	s_and_b64 s[44:45], s[40:41], exec
	s_or_b64 s[44:45], s[2:3], s[44:45]
	s_andn2_b64 s[2:3], s[36:37], exec
	s_and_b64 s[36:37], s[0:1], exec
	s_or_b64 s[36:37], s[2:3], s[36:37]
	s_andn2_b64 exec, exec, s[34:35]
	s_cbranch_execz .LBB385_254
.LBB385_252:                            ; =>This Inner Loop Header: Depth=1
	global_load_dword v8, v[2:3], off
	global_load_dword v9, v[6:7], off
	s_andn2_b64 s[46:47], s[0:1], exec
	s_andn2_b64 s[40:41], s[40:41], exec
	s_or_b64 s[38:39], s[38:39], exec
	s_waitcnt vmcnt(0)
	v_cmp_le_i32_e64 s[0:1], v8, v9
	v_cmp_lt_i32_e32 vcc, v8, v9
	s_and_b64 s[0:1], s[0:1], s[44:45]
	s_or_b64 s[48:49], vcc, s[0:1]
	s_and_b64 s[0:1], s[48:49], exec
	v_cmp_eq_u32_e64 s[2:3], v8, v9
	s_or_b64 s[0:1], s[46:47], s[0:1]
	s_and_saveexec_b64 s[46:47], s[2:3]
	s_cbranch_execz .LBB385_251
; %bb.253:                              ;   in Loop: Header=BB385_252 Depth=1
	s_add_u32 s42, s42, -1
	s_addc_u32 s43, s43, -1
	v_add_co_u32_e32 v2, vcc, 4, v2
	s_cmp_eq_u64 s[42:43], 0
	v_addc_co_u32_e32 v3, vcc, 0, v3, vcc
	s_cselect_b64 s[2:3], -1, 0
	v_add_co_u32_e32 v6, vcc, 4, v6
	s_andn2_b64 s[40:41], s[40:41], exec
	s_and_b64 s[44:45], s[48:49], exec
	s_andn2_b64 s[38:39], s[38:39], exec
	s_and_b64 s[2:3], s[2:3], exec
	v_addc_co_u32_e32 v7, vcc, 0, v7, vcc
	s_or_b64 s[40:41], s[40:41], s[44:45]
	s_andn2_b64 s[0:1], s[0:1], exec
	s_or_b64 s[38:39], s[38:39], s[2:3]
                                        ; implicit-def: $sgpr44_sgpr45
	s_branch .LBB385_251
.LBB385_254:
	s_or_b64 exec, exec, s[34:35]
	s_xor_b64 s[0:1], s[36:37], -1
	s_branch .LBB385_256
.LBB385_255:
	s_mov_b64 s[0:1], -1
.LBB385_256:
	s_andn2_b64 s[2:3], s[26:27], exec
	s_and_b64 s[0:1], s[0:1], exec
	s_or_b64 s[26:27], s[2:3], s[0:1]
.LBB385_257:
	s_or_b64 exec, exec, s[30:31]
	v_cndmask_b32_e64 v2, v18, v17, s[26:27]
	v_cndmask_b32_e64 v3, v15, v14, s[26:27]
	v_add_u32_e32 v6, 1, v2
	v_add_u32_e32 v2, -1, v3
	v_min_u32_e32 v2, v6, v2
	v_lshl_add_u32 v2, v2, 3, v16
	ds_read_b64 v[2:3], v2
	v_cndmask_b32_e64 v19, v6, v18, s[26:27]
	v_cndmask_b32_e64 v23, v17, v6, s[26:27]
	v_cmp_lt_u32_e32 vcc, v19, v15
	s_waitcnt lgkmcnt(0)
	v_cndmask_b32_e64 v8, v3, v5, s[26:27]
	v_cndmask_b32_e64 v9, v2, v4, s[26:27]
	;; [unrolled: 1-line block ×4, first 2 shown]
	s_and_saveexec_b64 s[30:31], vcc
	s_cbranch_execz .LBB385_268
; %bb.258:
	v_cmp_lt_u32_e32 vcc, v23, v14
	s_mov_b64 s[0:1], 0
	s_and_saveexec_b64 s[28:29], vcc
	s_cbranch_execz .LBB385_267
; %bb.259:
	s_andn2_b64 vcc, exec, s[24:25]
	s_cbranch_vccnz .LBB385_265
; %bb.260:
	v_mul_lo_u32 v6, v8, s16
	v_mul_lo_u32 v7, v9, s17
	v_mad_u64_u32 v[2:3], s[0:1], v9, s16, 0
	v_add3_u32 v3, v3, v7, v6
	v_lshlrev_b64 v[2:3], 2, v[2:3]
	v_mov_b32_e32 v6, s19
	v_add_co_u32_e32 v2, vcc, s18, v2
	v_addc_co_u32_e32 v3, vcc, v6, v3, vcc
	v_mul_lo_u32 v17, v10, s16
	v_mul_lo_u32 v18, v11, s17
	v_mad_u64_u32 v[6:7], s[0:1], v11, s16, 0
	v_add3_u32 v7, v7, v18, v17
	v_lshlrev_b64 v[6:7], 2, v[6:7]
	v_mov_b32_e32 v17, s19
	v_add_co_u32_e32 v6, vcc, s18, v6
	v_addc_co_u32_e32 v7, vcc, v17, v7, vcc
	s_mov_b64 s[34:35], 0
	s_mov_b64 s[42:43], s[16:17]
                                        ; implicit-def: $sgpr36_sgpr37
                                        ; implicit-def: $sgpr38_sgpr39
                                        ; implicit-def: $sgpr0_sgpr1
                                        ; implicit-def: $sgpr40_sgpr41
                                        ; implicit-def: $sgpr44_sgpr45
	s_branch .LBB385_262
.LBB385_261:                            ;   in Loop: Header=BB385_262 Depth=1
	s_or_b64 exec, exec, s[46:47]
	s_and_b64 s[2:3], exec, s[38:39]
	s_or_b64 s[34:35], s[2:3], s[34:35]
	s_andn2_b64 s[2:3], s[44:45], exec
	s_and_b64 s[44:45], s[40:41], exec
	s_or_b64 s[44:45], s[2:3], s[44:45]
	s_andn2_b64 s[2:3], s[36:37], exec
	s_and_b64 s[36:37], s[0:1], exec
	s_or_b64 s[36:37], s[2:3], s[36:37]
	s_andn2_b64 exec, exec, s[34:35]
	s_cbranch_execz .LBB385_264
.LBB385_262:                            ; =>This Inner Loop Header: Depth=1
	global_load_dword v17, v[2:3], off
	global_load_dword v18, v[6:7], off
	s_andn2_b64 s[46:47], s[0:1], exec
	s_andn2_b64 s[40:41], s[40:41], exec
	s_or_b64 s[38:39], s[38:39], exec
	s_waitcnt vmcnt(0)
	v_cmp_le_i32_e64 s[0:1], v17, v18
	v_cmp_lt_i32_e32 vcc, v17, v18
	s_and_b64 s[0:1], s[0:1], s[44:45]
	s_or_b64 s[48:49], vcc, s[0:1]
	s_and_b64 s[0:1], s[48:49], exec
	v_cmp_eq_u32_e64 s[2:3], v17, v18
	s_or_b64 s[0:1], s[46:47], s[0:1]
	s_and_saveexec_b64 s[46:47], s[2:3]
	s_cbranch_execz .LBB385_261
; %bb.263:                              ;   in Loop: Header=BB385_262 Depth=1
	s_add_u32 s42, s42, -1
	s_addc_u32 s43, s43, -1
	v_add_co_u32_e32 v2, vcc, 4, v2
	s_cmp_eq_u64 s[42:43], 0
	v_addc_co_u32_e32 v3, vcc, 0, v3, vcc
	s_cselect_b64 s[2:3], -1, 0
	v_add_co_u32_e32 v6, vcc, 4, v6
	s_andn2_b64 s[40:41], s[40:41], exec
	s_and_b64 s[44:45], s[48:49], exec
	s_andn2_b64 s[38:39], s[38:39], exec
	s_and_b64 s[2:3], s[2:3], exec
	v_addc_co_u32_e32 v7, vcc, 0, v7, vcc
	s_or_b64 s[40:41], s[40:41], s[44:45]
	s_andn2_b64 s[0:1], s[0:1], exec
	s_or_b64 s[38:39], s[38:39], s[2:3]
                                        ; implicit-def: $sgpr44_sgpr45
	s_branch .LBB385_261
.LBB385_264:
	s_or_b64 exec, exec, s[34:35]
	s_xor_b64 s[0:1], s[36:37], -1
	s_branch .LBB385_266
.LBB385_265:
	s_mov_b64 s[0:1], -1
.LBB385_266:
	s_and_b64 s[0:1], s[0:1], exec
.LBB385_267:
	s_or_b64 exec, exec, s[28:29]
	s_orn2_b64 s[28:29], s[0:1], exec
.LBB385_268:
	s_or_b64 exec, exec, s[30:31]
	v_cndmask_b32_e64 v2, v19, v23, s[28:29]
	v_cndmask_b32_e64 v3, v15, v14, s[28:29]
	v_add_u32_e32 v6, 1, v2
	v_add_u32_e32 v2, -1, v3
	v_min_u32_e32 v2, v6, v2
	v_lshl_add_u32 v2, v2, 3, v16
	ds_read_b64 v[2:3], v2
	v_cndmask_b32_e64 v20, v6, v19, s[28:29]
	v_cndmask_b32_e64 v19, v23, v6, s[28:29]
	v_cmp_lt_u32_e32 vcc, v20, v15
	s_mov_b64 s[0:1], -1
	s_waitcnt lgkmcnt(0)
	v_cndmask_b32_e64 v17, v3, v8, s[28:29]
	v_cndmask_b32_e64 v18, v2, v9, s[28:29]
	;; [unrolled: 1-line block ×4, first 2 shown]
	s_and_saveexec_b64 s[30:31], vcc
	s_cbranch_execz .LBB385_279
; %bb.269:
	v_cmp_lt_u32_e32 vcc, v19, v14
	s_mov_b64 s[0:1], 0
	s_and_saveexec_b64 s[34:35], vcc
	s_cbranch_execz .LBB385_278
; %bb.270:
	s_andn2_b64 vcc, exec, s[24:25]
	s_cbranch_vccnz .LBB385_276
; %bb.271:
	v_mul_lo_u32 v6, v17, s16
	v_mul_lo_u32 v7, v18, s17
	v_mad_u64_u32 v[2:3], s[0:1], v18, s16, 0
	v_add3_u32 v3, v3, v7, v6
	v_lshlrev_b64 v[2:3], 2, v[2:3]
	v_mov_b32_e32 v6, s19
	v_add_co_u32_e32 v2, vcc, s18, v2
	v_addc_co_u32_e32 v3, vcc, v6, v3, vcc
	v_mul_lo_u32 v23, v21, s16
	v_mul_lo_u32 v24, v22, s17
	v_mad_u64_u32 v[6:7], s[0:1], v22, s16, 0
	v_add3_u32 v7, v7, v24, v23
	v_lshlrev_b64 v[6:7], 2, v[6:7]
	v_mov_b32_e32 v23, s19
	v_add_co_u32_e32 v6, vcc, s18, v6
	v_addc_co_u32_e32 v7, vcc, v23, v7, vcc
	s_mov_b64 s[36:37], 0
	s_mov_b64 s[44:45], s[16:17]
                                        ; implicit-def: $sgpr38_sgpr39
                                        ; implicit-def: $sgpr40_sgpr41
                                        ; implicit-def: $sgpr0_sgpr1
                                        ; implicit-def: $sgpr42_sgpr43
                                        ; implicit-def: $sgpr46_sgpr47
	s_branch .LBB385_273
.LBB385_272:                            ;   in Loop: Header=BB385_273 Depth=1
	s_or_b64 exec, exec, s[48:49]
	s_and_b64 s[2:3], exec, s[40:41]
	s_or_b64 s[36:37], s[2:3], s[36:37]
	s_andn2_b64 s[2:3], s[46:47], exec
	s_and_b64 s[46:47], s[42:43], exec
	s_or_b64 s[46:47], s[2:3], s[46:47]
	s_andn2_b64 s[2:3], s[38:39], exec
	s_and_b64 s[38:39], s[0:1], exec
	s_or_b64 s[38:39], s[2:3], s[38:39]
	s_andn2_b64 exec, exec, s[36:37]
	s_cbranch_execz .LBB385_275
.LBB385_273:                            ; =>This Inner Loop Header: Depth=1
	global_load_dword v23, v[2:3], off
	global_load_dword v24, v[6:7], off
	s_andn2_b64 s[48:49], s[0:1], exec
	s_andn2_b64 s[42:43], s[42:43], exec
	s_or_b64 s[40:41], s[40:41], exec
	s_waitcnt vmcnt(0)
	v_cmp_le_i32_e64 s[0:1], v23, v24
	v_cmp_lt_i32_e32 vcc, v23, v24
	s_and_b64 s[0:1], s[0:1], s[46:47]
	s_or_b64 s[50:51], vcc, s[0:1]
	s_and_b64 s[0:1], s[50:51], exec
	v_cmp_eq_u32_e64 s[2:3], v23, v24
	s_or_b64 s[0:1], s[48:49], s[0:1]
	s_and_saveexec_b64 s[48:49], s[2:3]
	s_cbranch_execz .LBB385_272
; %bb.274:                              ;   in Loop: Header=BB385_273 Depth=1
	s_add_u32 s44, s44, -1
	s_addc_u32 s45, s45, -1
	v_add_co_u32_e32 v2, vcc, 4, v2
	s_cmp_eq_u64 s[44:45], 0
	v_addc_co_u32_e32 v3, vcc, 0, v3, vcc
	s_cselect_b64 s[2:3], -1, 0
	v_add_co_u32_e32 v6, vcc, 4, v6
	s_andn2_b64 s[42:43], s[42:43], exec
	s_and_b64 s[46:47], s[50:51], exec
	s_andn2_b64 s[40:41], s[40:41], exec
	s_and_b64 s[2:3], s[2:3], exec
	v_addc_co_u32_e32 v7, vcc, 0, v7, vcc
	s_or_b64 s[42:43], s[42:43], s[46:47]
	s_andn2_b64 s[0:1], s[0:1], exec
	s_or_b64 s[40:41], s[40:41], s[2:3]
                                        ; implicit-def: $sgpr46_sgpr47
	s_branch .LBB385_272
.LBB385_275:
	s_or_b64 exec, exec, s[36:37]
	s_xor_b64 s[0:1], s[38:39], -1
	s_branch .LBB385_277
.LBB385_276:
	s_mov_b64 s[0:1], -1
.LBB385_277:
	s_and_b64 s[0:1], s[0:1], exec
.LBB385_278:
	s_or_b64 exec, exec, s[34:35]
	s_orn2_b64 s[0:1], s[0:1], exec
.LBB385_279:
	s_or_b64 exec, exec, s[30:31]
	v_cndmask_b32_e64 v6, v20, v19, s[0:1]
	v_cndmask_b32_e64 v7, v15, v14, s[0:1]
	;; [unrolled: 1-line block ×3, first 2 shown]
	v_add_u32_e32 v10, 1, v6
	v_add_u32_e32 v6, -1, v7
	v_min_u32_e32 v6, v10, v6
	v_lshl_add_u32 v6, v6, 3, v16
	v_cndmask_b32_e64 v2, v9, v11, s[28:29]
	ds_read_b64 v[8:9], v6
	v_cndmask_b32_e64 v11, v10, v20, s[0:1]
	v_cndmask_b32_e64 v1, v5, v1, s[26:27]
	v_cndmask_b32_e64 v0, v4, v0, s[26:27]
	v_cndmask_b32_e64 v5, v17, v21, s[0:1]
	v_cndmask_b32_e64 v4, v18, v22, s[0:1]
	s_waitcnt lgkmcnt(0)
	v_cndmask_b32_e64 v7, v21, v9, s[0:1]
	v_cndmask_b32_e64 v6, v22, v8, s[0:1]
	v_cmp_lt_u32_e32 vcc, v11, v15
	s_and_saveexec_b64 s[26:27], vcc
	s_cbranch_execz .LBB385_289
; %bb.280:
	v_cndmask_b32_e64 v10, v19, v10, s[0:1]
	v_cndmask_b32_e64 v9, v9, v17, s[0:1]
	;; [unrolled: 1-line block ×3, first 2 shown]
	v_cmp_lt_u32_e32 vcc, v10, v14
	s_and_saveexec_b64 s[28:29], vcc
	s_cbranch_execz .LBB385_288
; %bb.281:
	s_andn2_b64 vcc, exec, s[24:25]
	s_cbranch_vccnz .LBB385_287
; %bb.282:
	v_mul_lo_u32 v14, v9, s16
	v_mul_lo_u32 v15, v8, s17
	v_mad_u64_u32 v[10:11], s[0:1], v8, s16, 0
	v_add3_u32 v11, v11, v15, v14
	v_lshlrev_b64 v[10:11], 2, v[10:11]
	v_mov_b32_e32 v14, s19
	v_add_co_u32_e32 v10, vcc, s18, v10
	v_addc_co_u32_e32 v11, vcc, v14, v11, vcc
	v_mul_lo_u32 v16, v7, s16
	v_mul_lo_u32 v17, v6, s17
	v_mad_u64_u32 v[14:15], s[0:1], v6, s16, 0
	v_add3_u32 v15, v15, v17, v16
	v_lshlrev_b64 v[14:15], 2, v[14:15]
	v_mov_b32_e32 v16, s19
	v_add_co_u32_e32 v14, vcc, s18, v14
	v_addc_co_u32_e32 v15, vcc, v16, v15, vcc
	s_mov_b64 s[30:31], 0
	s_mov_b64 s[40:41], s[16:17]
                                        ; implicit-def: $sgpr34_sgpr35
                                        ; implicit-def: $sgpr36_sgpr37
                                        ; implicit-def: $sgpr0_sgpr1
                                        ; implicit-def: $sgpr38_sgpr39
                                        ; implicit-def: $sgpr42_sgpr43
	s_branch .LBB385_284
.LBB385_283:                            ;   in Loop: Header=BB385_284 Depth=1
	s_or_b64 exec, exec, s[44:45]
	s_and_b64 s[2:3], exec, s[36:37]
	s_or_b64 s[30:31], s[2:3], s[30:31]
	s_andn2_b64 s[2:3], s[42:43], exec
	s_and_b64 s[42:43], s[38:39], exec
	s_or_b64 s[42:43], s[2:3], s[42:43]
	s_andn2_b64 s[2:3], s[34:35], exec
	s_and_b64 s[34:35], s[0:1], exec
	s_or_b64 s[34:35], s[2:3], s[34:35]
	s_andn2_b64 exec, exec, s[30:31]
	s_cbranch_execz .LBB385_286
.LBB385_284:                            ; =>This Inner Loop Header: Depth=1
	global_load_dword v16, v[10:11], off
	global_load_dword v17, v[14:15], off
	s_andn2_b64 s[44:45], s[0:1], exec
	s_andn2_b64 s[38:39], s[38:39], exec
	s_or_b64 s[36:37], s[36:37], exec
	s_waitcnt vmcnt(0)
	v_cmp_le_i32_e64 s[0:1], v16, v17
	v_cmp_lt_i32_e32 vcc, v16, v17
	s_and_b64 s[0:1], s[0:1], s[42:43]
	s_or_b64 s[46:47], vcc, s[0:1]
	s_and_b64 s[0:1], s[46:47], exec
	v_cmp_eq_u32_e64 s[2:3], v16, v17
	s_or_b64 s[0:1], s[44:45], s[0:1]
	s_and_saveexec_b64 s[44:45], s[2:3]
	s_cbranch_execz .LBB385_283
; %bb.285:                              ;   in Loop: Header=BB385_284 Depth=1
	s_add_u32 s40, s40, -1
	s_addc_u32 s41, s41, -1
	v_add_co_u32_e32 v10, vcc, 4, v10
	s_cmp_eq_u64 s[40:41], 0
	v_addc_co_u32_e32 v11, vcc, 0, v11, vcc
	s_cselect_b64 s[2:3], -1, 0
	v_add_co_u32_e32 v14, vcc, 4, v14
	s_andn2_b64 s[38:39], s[38:39], exec
	s_and_b64 s[42:43], s[46:47], exec
	s_andn2_b64 s[36:37], s[36:37], exec
	s_and_b64 s[2:3], s[2:3], exec
	v_addc_co_u32_e32 v15, vcc, 0, v15, vcc
	s_or_b64 s[38:39], s[38:39], s[42:43]
	s_andn2_b64 s[0:1], s[0:1], exec
	s_or_b64 s[36:37], s[36:37], s[2:3]
                                        ; implicit-def: $sgpr42_sgpr43
	s_branch .LBB385_283
.LBB385_286:
	s_or_b64 exec, exec, s[30:31]
	v_cndmask_b32_e64 v7, v7, v9, s[34:35]
	v_cndmask_b32_e64 v6, v6, v8, s[34:35]
.LBB385_287:
	v_pk_mov_b32 v[8:9], v[6:7], v[6:7] op_sel:[0,1]
.LBB385_288:
	s_or_b64 exec, exec, s[28:29]
	v_pk_mov_b32 v[6:7], v[8:9], v[8:9] op_sel:[0,1]
.LBB385_289:
	s_or_b64 exec, exec, s[26:27]
.LBB385_290:
	s_or_b64 exec, exec, s[4:5]
	v_and_b32_e32 v17, 0xf80, v27
	v_or_b32_e32 v8, 64, v17
	v_min_u32_e32 v14, 0x400, v8
	v_min_u32_e32 v8, 0x3c0, v8
	v_add_u32_e32 v15, 64, v8
	v_and_b32_e32 v18, 0x7c, v27
	v_sub_u32_e32 v8, v14, v17
	v_sub_u32_e32 v9, v15, v14
	v_sub_u32_e64 v20, v18, v9 clamp
	v_min_u32_e32 v21, v18, v8
	v_lshlrev_b32_e32 v16, 3, v27
	v_lshlrev_b32_e32 v19, 3, v17
	v_cmp_lt_u32_e32 vcc, v20, v21
	; wave barrier
	s_waitcnt lgkmcnt(0)
	s_barrier
	ds_write_b128 v16, v[0:3]
	ds_write_b128 v16, v[4:7] offset:16
	s_waitcnt lgkmcnt(0)
	s_barrier
	s_and_saveexec_b64 s[26:27], vcc
	s_cbranch_execz .LBB385_300
; %bb.291:
	v_lshlrev_b32_e32 v8, 3, v18
	v_lshl_add_u32 v22, v14, 3, v8
	v_cndmask_b32_e64 v8, 0, 1, s[24:25]
	s_lshl_b64 s[30:31], s[16:17], 2
	s_mov_b64 s[28:29], 0
	v_cmp_ne_u32_e64 s[0:1], 1, v8
	s_branch .LBB385_294
.LBB385_292:                            ;   in Loop: Header=BB385_294 Depth=1
	s_or_b64 exec, exec, s[36:37]
.LBB385_293:                            ;   in Loop: Header=BB385_294 Depth=1
	v_add_u32_e32 v8, 1, v23
	v_cndmask_b32_e64 v21, v21, v23, s[34:35]
	v_cndmask_b32_e64 v20, v8, v20, s[34:35]
	v_cmp_ge_u32_e32 vcc, v20, v21
	s_or_b64 s[28:29], vcc, s[28:29]
	s_andn2_b64 exec, exec, s[28:29]
	s_cbranch_execz .LBB385_299
.LBB385_294:                            ; =>This Loop Header: Depth=1
                                        ;     Child Loop BB385_297 Depth 2
	v_add_u32_e32 v8, v21, v20
	v_lshrrev_b32_e32 v23, 1, v8
	s_and_b64 vcc, exec, s[0:1]
	s_mov_b64 s[34:35], 0
	s_cbranch_vccnz .LBB385_293
; %bb.295:                              ;   in Loop: Header=BB385_294 Depth=1
	v_not_b32_e32 v8, v23
	v_lshl_add_u32 v8, v8, 3, v22
	ds_read_b64 v[8:9], v8
	v_lshl_add_u32 v24, v23, 3, v19
	ds_read_b64 v[24:25], v24
	v_pk_mov_b32 v[10:11], s[18:19], s[18:19] op_sel:[0,1]
	s_mov_b64 s[36:37], 0
	s_waitcnt lgkmcnt(1)
	v_mul_lo_u32 v37, s30, v9
	v_mul_lo_u32 v38, s31, v8
	v_mad_u64_u32 v[8:9], s[2:3], s30, v8, v[10:11]
	v_add3_u32 v9, v38, v9, v37
	s_waitcnt lgkmcnt(0)
	v_mul_lo_u32 v25, s30, v25
	v_mul_lo_u32 v37, s31, v24
	v_mad_u64_u32 v[10:11], s[2:3], s30, v24, v[10:11]
	v_add3_u32 v11, v37, v11, v25
	s_mov_b64 s[42:43], s[16:17]
                                        ; implicit-def: $sgpr34_sgpr35
                                        ; implicit-def: $sgpr38_sgpr39
                                        ; implicit-def: $sgpr40_sgpr41
                                        ; implicit-def: $sgpr2_sgpr3
                                        ; implicit-def: $sgpr44_sgpr45
	s_branch .LBB385_297
.LBB385_296:                            ;   in Loop: Header=BB385_297 Depth=2
	s_or_b64 exec, exec, s[46:47]
	s_and_b64 s[4:5], exec, s[38:39]
	s_or_b64 s[36:37], s[4:5], s[36:37]
	s_andn2_b64 s[4:5], s[44:45], exec
	s_and_b64 s[44:45], s[40:41], exec
	s_or_b64 s[44:45], s[4:5], s[44:45]
	s_andn2_b64 s[4:5], s[34:35], exec
	s_and_b64 s[34:35], s[2:3], exec
	s_or_b64 s[34:35], s[4:5], s[34:35]
	s_andn2_b64 exec, exec, s[36:37]
	s_cbranch_execz .LBB385_292
.LBB385_297:                            ;   Parent Loop BB385_294 Depth=1
                                        ; =>  This Inner Loop Header: Depth=2
	global_load_dword v24, v[8:9], off
	global_load_dword v25, v[10:11], off
	s_andn2_b64 s[46:47], s[2:3], exec
	s_andn2_b64 s[40:41], s[40:41], exec
	s_or_b64 s[38:39], s[38:39], exec
	s_waitcnt vmcnt(0)
	v_cmp_le_i32_e64 s[2:3], v24, v25
	v_cmp_lt_i32_e32 vcc, v24, v25
	s_and_b64 s[2:3], s[2:3], s[44:45]
	s_or_b64 s[48:49], vcc, s[2:3]
	s_and_b64 s[2:3], s[48:49], exec
	v_cmp_eq_u32_e64 s[4:5], v24, v25
	s_or_b64 s[2:3], s[46:47], s[2:3]
	s_and_saveexec_b64 s[46:47], s[4:5]
	s_cbranch_execz .LBB385_296
; %bb.298:                              ;   in Loop: Header=BB385_297 Depth=2
	s_add_u32 s42, s42, -1
	s_addc_u32 s43, s43, -1
	v_add_co_u32_e32 v8, vcc, 4, v8
	s_cmp_eq_u64 s[42:43], 0
	v_addc_co_u32_e32 v9, vcc, 0, v9, vcc
	s_cselect_b64 s[4:5], -1, 0
	v_add_co_u32_e32 v10, vcc, 4, v10
	s_andn2_b64 s[40:41], s[40:41], exec
	s_and_b64 s[44:45], s[48:49], exec
	s_andn2_b64 s[38:39], s[38:39], exec
	s_and_b64 s[4:5], s[4:5], exec
	v_addc_co_u32_e32 v11, vcc, 0, v11, vcc
	s_andn2_b64 s[2:3], s[2:3], exec
	s_or_b64 s[40:41], s[40:41], s[44:45]
	s_or_b64 s[38:39], s[38:39], s[4:5]
                                        ; implicit-def: $sgpr44_sgpr45
	s_branch .LBB385_296
.LBB385_299:
	s_or_b64 exec, exec, s[28:29]
.LBB385_300:
	s_or_b64 exec, exec, s[26:27]
	v_sub_u32_e32 v8, v18, v20
	v_add_u32_e32 v17, v20, v17
	v_add_u32_e32 v18, v8, v14
	v_cmp_le_u32_e32 vcc, v17, v14
	v_cmp_le_u32_e64 s[0:1], v18, v15
	s_or_b64 s[0:1], vcc, s[0:1]
	s_and_saveexec_b64 s[4:5], s[0:1]
	s_cbranch_execz .LBB385_347
; %bb.301:
	v_cmp_ge_u32_e32 vcc, v17, v14
	v_cmp_lt_u32_e64 s[0:1], v17, v14
                                        ; implicit-def: $vgpr0_vgpr1
	s_and_saveexec_b64 s[2:3], s[0:1]
	s_cbranch_execz .LBB385_303
; %bb.302:
	v_lshl_add_u32 v0, v20, 3, v19
	ds_read_b64 v[0:1], v0
.LBB385_303:
	s_or_b64 exec, exec, s[2:3]
	v_cmp_ge_u32_e64 s[26:27], v18, v15
	v_cmp_lt_u32_e64 s[0:1], v18, v15
                                        ; implicit-def: $vgpr4_vgpr5
	s_and_saveexec_b64 s[2:3], s[0:1]
	s_cbranch_execz .LBB385_305
; %bb.304:
	v_lshlrev_b32_e32 v2, 3, v18
	ds_read_b64 v[4:5], v2
.LBB385_305:
	s_or_b64 exec, exec, s[2:3]
	s_or_b64 s[0:1], vcc, s[26:27]
	s_mov_b64 s[28:29], -1
	s_xor_b64 s[0:1], s[0:1], -1
	s_and_saveexec_b64 s[30:31], s[0:1]
	s_cbranch_execz .LBB385_314
; %bb.306:
	s_andn2_b64 vcc, exec, s[24:25]
	s_cbranch_vccnz .LBB385_312
; %bb.307:
	s_waitcnt lgkmcnt(0)
	v_mul_lo_u32 v6, v5, s16
	v_mul_lo_u32 v7, v4, s17
	v_mad_u64_u32 v[2:3], s[0:1], v4, s16, 0
	v_add3_u32 v3, v3, v7, v6
	v_lshlrev_b64 v[2:3], 2, v[2:3]
	v_mov_b32_e32 v6, s19
	v_add_co_u32_e32 v2, vcc, s18, v2
	v_addc_co_u32_e32 v3, vcc, v6, v3, vcc
	v_mul_lo_u32 v8, v1, s16
	v_mul_lo_u32 v9, v0, s17
	v_mad_u64_u32 v[6:7], s[0:1], v0, s16, 0
	v_add3_u32 v7, v7, v9, v8
	v_lshlrev_b64 v[6:7], 2, v[6:7]
	v_mov_b32_e32 v8, s19
	v_add_co_u32_e32 v6, vcc, s18, v6
	v_addc_co_u32_e32 v7, vcc, v8, v7, vcc
	s_mov_b64 s[34:35], 0
	s_mov_b64 s[42:43], s[16:17]
                                        ; implicit-def: $sgpr36_sgpr37
                                        ; implicit-def: $sgpr38_sgpr39
                                        ; implicit-def: $sgpr0_sgpr1
                                        ; implicit-def: $sgpr40_sgpr41
                                        ; implicit-def: $sgpr44_sgpr45
	s_branch .LBB385_309
.LBB385_308:                            ;   in Loop: Header=BB385_309 Depth=1
	s_or_b64 exec, exec, s[46:47]
	s_and_b64 s[2:3], exec, s[38:39]
	s_or_b64 s[34:35], s[2:3], s[34:35]
	s_andn2_b64 s[2:3], s[44:45], exec
	s_and_b64 s[44:45], s[40:41], exec
	s_or_b64 s[44:45], s[2:3], s[44:45]
	s_andn2_b64 s[2:3], s[36:37], exec
	s_and_b64 s[36:37], s[0:1], exec
	s_or_b64 s[36:37], s[2:3], s[36:37]
	s_andn2_b64 exec, exec, s[34:35]
	s_cbranch_execz .LBB385_311
.LBB385_309:                            ; =>This Inner Loop Header: Depth=1
	global_load_dword v8, v[2:3], off
	global_load_dword v9, v[6:7], off
	s_andn2_b64 s[46:47], s[0:1], exec
	s_andn2_b64 s[40:41], s[40:41], exec
	s_or_b64 s[38:39], s[38:39], exec
	s_waitcnt vmcnt(0)
	v_cmp_le_i32_e64 s[0:1], v8, v9
	v_cmp_lt_i32_e32 vcc, v8, v9
	s_and_b64 s[0:1], s[0:1], s[44:45]
	s_or_b64 s[48:49], vcc, s[0:1]
	s_and_b64 s[0:1], s[48:49], exec
	v_cmp_eq_u32_e64 s[2:3], v8, v9
	s_or_b64 s[0:1], s[46:47], s[0:1]
	s_and_saveexec_b64 s[46:47], s[2:3]
	s_cbranch_execz .LBB385_308
; %bb.310:                              ;   in Loop: Header=BB385_309 Depth=1
	s_add_u32 s42, s42, -1
	s_addc_u32 s43, s43, -1
	v_add_co_u32_e32 v2, vcc, 4, v2
	s_cmp_eq_u64 s[42:43], 0
	v_addc_co_u32_e32 v3, vcc, 0, v3, vcc
	s_cselect_b64 s[2:3], -1, 0
	v_add_co_u32_e32 v6, vcc, 4, v6
	s_andn2_b64 s[40:41], s[40:41], exec
	s_and_b64 s[44:45], s[48:49], exec
	s_andn2_b64 s[38:39], s[38:39], exec
	s_and_b64 s[2:3], s[2:3], exec
	v_addc_co_u32_e32 v7, vcc, 0, v7, vcc
	s_or_b64 s[40:41], s[40:41], s[44:45]
	s_andn2_b64 s[0:1], s[0:1], exec
	s_or_b64 s[38:39], s[38:39], s[2:3]
                                        ; implicit-def: $sgpr44_sgpr45
	s_branch .LBB385_308
.LBB385_311:
	s_or_b64 exec, exec, s[34:35]
	s_xor_b64 s[0:1], s[36:37], -1
	s_branch .LBB385_313
.LBB385_312:
	s_mov_b64 s[0:1], -1
.LBB385_313:
	s_andn2_b64 s[2:3], s[26:27], exec
	s_and_b64 s[0:1], s[0:1], exec
	s_or_b64 s[26:27], s[2:3], s[0:1]
.LBB385_314:
	s_or_b64 exec, exec, s[30:31]
	v_cndmask_b32_e64 v2, v18, v17, s[26:27]
	v_cndmask_b32_e64 v3, v15, v14, s[26:27]
	v_add_u32_e32 v6, 1, v2
	v_add_u32_e32 v2, -1, v3
	v_min_u32_e32 v2, v6, v2
	v_lshlrev_b32_e32 v2, 3, v2
	ds_read_b64 v[2:3], v2
	v_cndmask_b32_e64 v19, v6, v18, s[26:27]
	v_cndmask_b32_e64 v23, v17, v6, s[26:27]
	v_cmp_lt_u32_e32 vcc, v19, v15
	s_waitcnt lgkmcnt(0)
	v_cndmask_b32_e64 v8, v3, v5, s[26:27]
	v_cndmask_b32_e64 v9, v2, v4, s[26:27]
	;; [unrolled: 1-line block ×4, first 2 shown]
	s_and_saveexec_b64 s[30:31], vcc
	s_cbranch_execz .LBB385_325
; %bb.315:
	v_cmp_lt_u32_e32 vcc, v23, v14
	s_mov_b64 s[0:1], 0
	s_and_saveexec_b64 s[28:29], vcc
	s_cbranch_execz .LBB385_324
; %bb.316:
	s_andn2_b64 vcc, exec, s[24:25]
	s_cbranch_vccnz .LBB385_322
; %bb.317:
	v_mul_lo_u32 v6, v8, s16
	v_mul_lo_u32 v7, v9, s17
	v_mad_u64_u32 v[2:3], s[0:1], v9, s16, 0
	v_add3_u32 v3, v3, v7, v6
	v_lshlrev_b64 v[2:3], 2, v[2:3]
	v_mov_b32_e32 v6, s19
	v_add_co_u32_e32 v2, vcc, s18, v2
	v_addc_co_u32_e32 v3, vcc, v6, v3, vcc
	v_mul_lo_u32 v17, v10, s16
	v_mul_lo_u32 v18, v11, s17
	v_mad_u64_u32 v[6:7], s[0:1], v11, s16, 0
	v_add3_u32 v7, v7, v18, v17
	v_lshlrev_b64 v[6:7], 2, v[6:7]
	v_mov_b32_e32 v17, s19
	v_add_co_u32_e32 v6, vcc, s18, v6
	v_addc_co_u32_e32 v7, vcc, v17, v7, vcc
	s_mov_b64 s[34:35], 0
	s_mov_b64 s[42:43], s[16:17]
                                        ; implicit-def: $sgpr36_sgpr37
                                        ; implicit-def: $sgpr38_sgpr39
                                        ; implicit-def: $sgpr0_sgpr1
                                        ; implicit-def: $sgpr40_sgpr41
                                        ; implicit-def: $sgpr44_sgpr45
	s_branch .LBB385_319
.LBB385_318:                            ;   in Loop: Header=BB385_319 Depth=1
	s_or_b64 exec, exec, s[46:47]
	s_and_b64 s[2:3], exec, s[38:39]
	s_or_b64 s[34:35], s[2:3], s[34:35]
	s_andn2_b64 s[2:3], s[44:45], exec
	s_and_b64 s[44:45], s[40:41], exec
	s_or_b64 s[44:45], s[2:3], s[44:45]
	s_andn2_b64 s[2:3], s[36:37], exec
	s_and_b64 s[36:37], s[0:1], exec
	s_or_b64 s[36:37], s[2:3], s[36:37]
	s_andn2_b64 exec, exec, s[34:35]
	s_cbranch_execz .LBB385_321
.LBB385_319:                            ; =>This Inner Loop Header: Depth=1
	global_load_dword v17, v[2:3], off
	global_load_dword v18, v[6:7], off
	s_andn2_b64 s[46:47], s[0:1], exec
	s_andn2_b64 s[40:41], s[40:41], exec
	s_or_b64 s[38:39], s[38:39], exec
	s_waitcnt vmcnt(0)
	v_cmp_le_i32_e64 s[0:1], v17, v18
	v_cmp_lt_i32_e32 vcc, v17, v18
	s_and_b64 s[0:1], s[0:1], s[44:45]
	s_or_b64 s[48:49], vcc, s[0:1]
	s_and_b64 s[0:1], s[48:49], exec
	v_cmp_eq_u32_e64 s[2:3], v17, v18
	s_or_b64 s[0:1], s[46:47], s[0:1]
	s_and_saveexec_b64 s[46:47], s[2:3]
	s_cbranch_execz .LBB385_318
; %bb.320:                              ;   in Loop: Header=BB385_319 Depth=1
	s_add_u32 s42, s42, -1
	s_addc_u32 s43, s43, -1
	v_add_co_u32_e32 v2, vcc, 4, v2
	s_cmp_eq_u64 s[42:43], 0
	v_addc_co_u32_e32 v3, vcc, 0, v3, vcc
	s_cselect_b64 s[2:3], -1, 0
	v_add_co_u32_e32 v6, vcc, 4, v6
	s_andn2_b64 s[40:41], s[40:41], exec
	s_and_b64 s[44:45], s[48:49], exec
	s_andn2_b64 s[38:39], s[38:39], exec
	s_and_b64 s[2:3], s[2:3], exec
	v_addc_co_u32_e32 v7, vcc, 0, v7, vcc
	s_or_b64 s[40:41], s[40:41], s[44:45]
	s_andn2_b64 s[0:1], s[0:1], exec
	s_or_b64 s[38:39], s[38:39], s[2:3]
                                        ; implicit-def: $sgpr44_sgpr45
	s_branch .LBB385_318
.LBB385_321:
	s_or_b64 exec, exec, s[34:35]
	s_xor_b64 s[0:1], s[36:37], -1
	s_branch .LBB385_323
.LBB385_322:
	s_mov_b64 s[0:1], -1
.LBB385_323:
	s_and_b64 s[0:1], s[0:1], exec
.LBB385_324:
	s_or_b64 exec, exec, s[28:29]
	s_orn2_b64 s[28:29], s[0:1], exec
.LBB385_325:
	s_or_b64 exec, exec, s[30:31]
	v_cndmask_b32_e64 v2, v19, v23, s[28:29]
	v_cndmask_b32_e64 v3, v15, v14, s[28:29]
	v_add_u32_e32 v6, 1, v2
	v_add_u32_e32 v2, -1, v3
	v_min_u32_e32 v2, v6, v2
	v_lshlrev_b32_e32 v2, 3, v2
	ds_read_b64 v[2:3], v2
	v_cndmask_b32_e64 v20, v6, v19, s[28:29]
	v_cndmask_b32_e64 v19, v23, v6, s[28:29]
	v_cmp_lt_u32_e32 vcc, v20, v15
	s_mov_b64 s[0:1], -1
	s_waitcnt lgkmcnt(0)
	v_cndmask_b32_e64 v17, v3, v8, s[28:29]
	v_cndmask_b32_e64 v18, v2, v9, s[28:29]
	;; [unrolled: 1-line block ×4, first 2 shown]
	s_and_saveexec_b64 s[30:31], vcc
	s_cbranch_execz .LBB385_336
; %bb.326:
	v_cmp_lt_u32_e32 vcc, v19, v14
	s_mov_b64 s[0:1], 0
	s_and_saveexec_b64 s[34:35], vcc
	s_cbranch_execz .LBB385_335
; %bb.327:
	s_andn2_b64 vcc, exec, s[24:25]
	s_cbranch_vccnz .LBB385_333
; %bb.328:
	v_mul_lo_u32 v6, v17, s16
	v_mul_lo_u32 v7, v18, s17
	v_mad_u64_u32 v[2:3], s[0:1], v18, s16, 0
	v_add3_u32 v3, v3, v7, v6
	v_lshlrev_b64 v[2:3], 2, v[2:3]
	v_mov_b32_e32 v6, s19
	v_add_co_u32_e32 v2, vcc, s18, v2
	v_addc_co_u32_e32 v3, vcc, v6, v3, vcc
	v_mul_lo_u32 v23, v21, s16
	v_mul_lo_u32 v24, v22, s17
	v_mad_u64_u32 v[6:7], s[0:1], v22, s16, 0
	v_add3_u32 v7, v7, v24, v23
	v_lshlrev_b64 v[6:7], 2, v[6:7]
	v_mov_b32_e32 v23, s19
	v_add_co_u32_e32 v6, vcc, s18, v6
	v_addc_co_u32_e32 v7, vcc, v23, v7, vcc
	s_mov_b64 s[36:37], 0
	s_mov_b64 s[44:45], s[16:17]
                                        ; implicit-def: $sgpr38_sgpr39
                                        ; implicit-def: $sgpr40_sgpr41
                                        ; implicit-def: $sgpr0_sgpr1
                                        ; implicit-def: $sgpr42_sgpr43
                                        ; implicit-def: $sgpr46_sgpr47
	s_branch .LBB385_330
.LBB385_329:                            ;   in Loop: Header=BB385_330 Depth=1
	s_or_b64 exec, exec, s[48:49]
	s_and_b64 s[2:3], exec, s[40:41]
	s_or_b64 s[36:37], s[2:3], s[36:37]
	s_andn2_b64 s[2:3], s[46:47], exec
	s_and_b64 s[46:47], s[42:43], exec
	s_or_b64 s[46:47], s[2:3], s[46:47]
	s_andn2_b64 s[2:3], s[38:39], exec
	s_and_b64 s[38:39], s[0:1], exec
	s_or_b64 s[38:39], s[2:3], s[38:39]
	s_andn2_b64 exec, exec, s[36:37]
	s_cbranch_execz .LBB385_332
.LBB385_330:                            ; =>This Inner Loop Header: Depth=1
	global_load_dword v23, v[2:3], off
	global_load_dword v24, v[6:7], off
	s_andn2_b64 s[48:49], s[0:1], exec
	s_andn2_b64 s[42:43], s[42:43], exec
	s_or_b64 s[40:41], s[40:41], exec
	s_waitcnt vmcnt(0)
	v_cmp_le_i32_e64 s[0:1], v23, v24
	v_cmp_lt_i32_e32 vcc, v23, v24
	s_and_b64 s[0:1], s[0:1], s[46:47]
	s_or_b64 s[50:51], vcc, s[0:1]
	s_and_b64 s[0:1], s[50:51], exec
	v_cmp_eq_u32_e64 s[2:3], v23, v24
	s_or_b64 s[0:1], s[48:49], s[0:1]
	s_and_saveexec_b64 s[48:49], s[2:3]
	s_cbranch_execz .LBB385_329
; %bb.331:                              ;   in Loop: Header=BB385_330 Depth=1
	s_add_u32 s44, s44, -1
	s_addc_u32 s45, s45, -1
	v_add_co_u32_e32 v2, vcc, 4, v2
	s_cmp_eq_u64 s[44:45], 0
	v_addc_co_u32_e32 v3, vcc, 0, v3, vcc
	s_cselect_b64 s[2:3], -1, 0
	v_add_co_u32_e32 v6, vcc, 4, v6
	s_andn2_b64 s[42:43], s[42:43], exec
	s_and_b64 s[46:47], s[50:51], exec
	s_andn2_b64 s[40:41], s[40:41], exec
	s_and_b64 s[2:3], s[2:3], exec
	v_addc_co_u32_e32 v7, vcc, 0, v7, vcc
	s_or_b64 s[42:43], s[42:43], s[46:47]
	s_andn2_b64 s[0:1], s[0:1], exec
	s_or_b64 s[40:41], s[40:41], s[2:3]
                                        ; implicit-def: $sgpr46_sgpr47
	s_branch .LBB385_329
.LBB385_332:
	s_or_b64 exec, exec, s[36:37]
	s_xor_b64 s[0:1], s[38:39], -1
	s_branch .LBB385_334
.LBB385_333:
	s_mov_b64 s[0:1], -1
.LBB385_334:
	s_and_b64 s[0:1], s[0:1], exec
.LBB385_335:
	s_or_b64 exec, exec, s[34:35]
	s_orn2_b64 s[0:1], s[0:1], exec
.LBB385_336:
	s_or_b64 exec, exec, s[30:31]
	v_cndmask_b32_e64 v6, v20, v19, s[0:1]
	v_cndmask_b32_e64 v7, v15, v14, s[0:1]
	;; [unrolled: 1-line block ×3, first 2 shown]
	v_add_u32_e32 v10, 1, v6
	v_add_u32_e32 v6, -1, v7
	v_min_u32_e32 v6, v10, v6
	v_lshlrev_b32_e32 v6, 3, v6
	v_cndmask_b32_e64 v2, v9, v11, s[28:29]
	ds_read_b64 v[8:9], v6
	v_cndmask_b32_e64 v11, v10, v20, s[0:1]
	v_cndmask_b32_e64 v1, v5, v1, s[26:27]
	v_cndmask_b32_e64 v0, v4, v0, s[26:27]
	v_cndmask_b32_e64 v5, v17, v21, s[0:1]
	v_cndmask_b32_e64 v4, v18, v22, s[0:1]
	s_waitcnt lgkmcnt(0)
	v_cndmask_b32_e64 v7, v21, v9, s[0:1]
	v_cndmask_b32_e64 v6, v22, v8, s[0:1]
	v_cmp_lt_u32_e32 vcc, v11, v15
	s_and_saveexec_b64 s[26:27], vcc
	s_cbranch_execz .LBB385_346
; %bb.337:
	v_cndmask_b32_e64 v10, v19, v10, s[0:1]
	v_cndmask_b32_e64 v9, v9, v17, s[0:1]
	;; [unrolled: 1-line block ×3, first 2 shown]
	v_cmp_lt_u32_e32 vcc, v10, v14
	s_and_saveexec_b64 s[28:29], vcc
	s_cbranch_execz .LBB385_345
; %bb.338:
	s_andn2_b64 vcc, exec, s[24:25]
	s_cbranch_vccnz .LBB385_344
; %bb.339:
	v_mul_lo_u32 v14, v9, s16
	v_mul_lo_u32 v15, v8, s17
	v_mad_u64_u32 v[10:11], s[0:1], v8, s16, 0
	v_add3_u32 v11, v11, v15, v14
	v_lshlrev_b64 v[10:11], 2, v[10:11]
	v_mov_b32_e32 v14, s19
	v_add_co_u32_e32 v10, vcc, s18, v10
	v_addc_co_u32_e32 v11, vcc, v14, v11, vcc
	v_mul_lo_u32 v17, v7, s16
	v_mul_lo_u32 v18, v6, s17
	v_mad_u64_u32 v[14:15], s[0:1], v6, s16, 0
	v_add3_u32 v15, v15, v18, v17
	v_lshlrev_b64 v[14:15], 2, v[14:15]
	v_mov_b32_e32 v17, s19
	v_add_co_u32_e32 v14, vcc, s18, v14
	v_addc_co_u32_e32 v15, vcc, v17, v15, vcc
	s_mov_b64 s[30:31], 0
	s_mov_b64 s[40:41], s[16:17]
                                        ; implicit-def: $sgpr34_sgpr35
                                        ; implicit-def: $sgpr36_sgpr37
                                        ; implicit-def: $sgpr0_sgpr1
                                        ; implicit-def: $sgpr38_sgpr39
                                        ; implicit-def: $sgpr42_sgpr43
	s_branch .LBB385_341
.LBB385_340:                            ;   in Loop: Header=BB385_341 Depth=1
	s_or_b64 exec, exec, s[44:45]
	s_and_b64 s[2:3], exec, s[36:37]
	s_or_b64 s[30:31], s[2:3], s[30:31]
	s_andn2_b64 s[2:3], s[42:43], exec
	s_and_b64 s[42:43], s[38:39], exec
	s_or_b64 s[42:43], s[2:3], s[42:43]
	s_andn2_b64 s[2:3], s[34:35], exec
	s_and_b64 s[34:35], s[0:1], exec
	s_or_b64 s[34:35], s[2:3], s[34:35]
	s_andn2_b64 exec, exec, s[30:31]
	s_cbranch_execz .LBB385_343
.LBB385_341:                            ; =>This Inner Loop Header: Depth=1
	global_load_dword v17, v[10:11], off
	global_load_dword v18, v[14:15], off
	s_andn2_b64 s[44:45], s[0:1], exec
	s_andn2_b64 s[38:39], s[38:39], exec
	s_or_b64 s[36:37], s[36:37], exec
	s_waitcnt vmcnt(0)
	v_cmp_le_i32_e64 s[0:1], v17, v18
	v_cmp_lt_i32_e32 vcc, v17, v18
	s_and_b64 s[0:1], s[0:1], s[42:43]
	s_or_b64 s[46:47], vcc, s[0:1]
	s_and_b64 s[0:1], s[46:47], exec
	v_cmp_eq_u32_e64 s[2:3], v17, v18
	s_or_b64 s[0:1], s[44:45], s[0:1]
	s_and_saveexec_b64 s[44:45], s[2:3]
	s_cbranch_execz .LBB385_340
; %bb.342:                              ;   in Loop: Header=BB385_341 Depth=1
	s_add_u32 s40, s40, -1
	s_addc_u32 s41, s41, -1
	v_add_co_u32_e32 v10, vcc, 4, v10
	s_cmp_eq_u64 s[40:41], 0
	v_addc_co_u32_e32 v11, vcc, 0, v11, vcc
	s_cselect_b64 s[2:3], -1, 0
	v_add_co_u32_e32 v14, vcc, 4, v14
	s_andn2_b64 s[38:39], s[38:39], exec
	s_and_b64 s[42:43], s[46:47], exec
	s_andn2_b64 s[36:37], s[36:37], exec
	s_and_b64 s[2:3], s[2:3], exec
	v_addc_co_u32_e32 v15, vcc, 0, v15, vcc
	s_or_b64 s[38:39], s[38:39], s[42:43]
	s_andn2_b64 s[0:1], s[0:1], exec
	s_or_b64 s[36:37], s[36:37], s[2:3]
                                        ; implicit-def: $sgpr42_sgpr43
	s_branch .LBB385_340
.LBB385_343:
	s_or_b64 exec, exec, s[30:31]
	v_cndmask_b32_e64 v7, v7, v9, s[34:35]
	v_cndmask_b32_e64 v6, v6, v8, s[34:35]
.LBB385_344:
	v_pk_mov_b32 v[8:9], v[6:7], v[6:7] op_sel:[0,1]
.LBB385_345:
	s_or_b64 exec, exec, s[28:29]
	v_pk_mov_b32 v[6:7], v[8:9], v[8:9] op_sel:[0,1]
.LBB385_346:
	s_or_b64 exec, exec, s[26:27]
.LBB385_347:
	s_or_b64 exec, exec, s[4:5]
	v_and_b32_e32 v17, 0xf00, v27
	v_or_b32_e32 v8, 0x80, v17
	v_min_u32_e32 v14, 0x400, v8
	v_min_u32_e32 v8, 0x380, v8
	v_add_u32_e32 v15, 0x80, v8
	v_and_b32_e32 v18, 0xfc, v27
	v_sub_u32_e32 v8, v14, v17
	v_sub_u32_e32 v9, v15, v14
	v_sub_u32_e64 v20, v18, v9 clamp
	v_min_u32_e32 v21, v18, v8
	v_lshlrev_b32_e32 v19, 3, v17
	v_cmp_lt_u32_e32 vcc, v20, v21
	s_barrier
	ds_write_b128 v16, v[0:3]
	ds_write_b128 v16, v[4:7] offset:16
	s_waitcnt lgkmcnt(0)
	s_barrier
	s_and_saveexec_b64 s[26:27], vcc
	s_cbranch_execz .LBB385_357
; %bb.348:
	v_lshlrev_b32_e32 v8, 3, v18
	v_lshl_add_u32 v22, v14, 3, v8
	v_cndmask_b32_e64 v8, 0, 1, s[24:25]
	s_lshl_b64 s[30:31], s[16:17], 2
	s_mov_b64 s[28:29], 0
	v_cmp_ne_u32_e64 s[0:1], 1, v8
	s_branch .LBB385_351
.LBB385_349:                            ;   in Loop: Header=BB385_351 Depth=1
	s_or_b64 exec, exec, s[36:37]
.LBB385_350:                            ;   in Loop: Header=BB385_351 Depth=1
	v_add_u32_e32 v8, 1, v23
	v_cndmask_b32_e64 v21, v21, v23, s[34:35]
	v_cndmask_b32_e64 v20, v8, v20, s[34:35]
	v_cmp_ge_u32_e32 vcc, v20, v21
	s_or_b64 s[28:29], vcc, s[28:29]
	s_andn2_b64 exec, exec, s[28:29]
	s_cbranch_execz .LBB385_356
.LBB385_351:                            ; =>This Loop Header: Depth=1
                                        ;     Child Loop BB385_354 Depth 2
	v_add_u32_e32 v8, v21, v20
	v_lshrrev_b32_e32 v23, 1, v8
	s_and_b64 vcc, exec, s[0:1]
	s_mov_b64 s[34:35], 0
	s_cbranch_vccnz .LBB385_350
; %bb.352:                              ;   in Loop: Header=BB385_351 Depth=1
	v_not_b32_e32 v8, v23
	v_lshl_add_u32 v8, v8, 3, v22
	ds_read_b64 v[8:9], v8
	v_lshl_add_u32 v24, v23, 3, v19
	ds_read_b64 v[24:25], v24
	v_pk_mov_b32 v[10:11], s[18:19], s[18:19] op_sel:[0,1]
	s_mov_b64 s[36:37], 0
	s_waitcnt lgkmcnt(1)
	v_mul_lo_u32 v37, s30, v9
	v_mul_lo_u32 v38, s31, v8
	v_mad_u64_u32 v[8:9], s[2:3], s30, v8, v[10:11]
	v_add3_u32 v9, v38, v9, v37
	s_waitcnt lgkmcnt(0)
	v_mul_lo_u32 v25, s30, v25
	v_mul_lo_u32 v37, s31, v24
	v_mad_u64_u32 v[10:11], s[2:3], s30, v24, v[10:11]
	v_add3_u32 v11, v37, v11, v25
	s_mov_b64 s[42:43], s[16:17]
                                        ; implicit-def: $sgpr34_sgpr35
                                        ; implicit-def: $sgpr38_sgpr39
                                        ; implicit-def: $sgpr40_sgpr41
                                        ; implicit-def: $sgpr2_sgpr3
                                        ; implicit-def: $sgpr44_sgpr45
	s_branch .LBB385_354
.LBB385_353:                            ;   in Loop: Header=BB385_354 Depth=2
	s_or_b64 exec, exec, s[46:47]
	s_and_b64 s[4:5], exec, s[38:39]
	s_or_b64 s[36:37], s[4:5], s[36:37]
	s_andn2_b64 s[4:5], s[44:45], exec
	s_and_b64 s[44:45], s[40:41], exec
	s_or_b64 s[44:45], s[4:5], s[44:45]
	s_andn2_b64 s[4:5], s[34:35], exec
	s_and_b64 s[34:35], s[2:3], exec
	s_or_b64 s[34:35], s[4:5], s[34:35]
	s_andn2_b64 exec, exec, s[36:37]
	s_cbranch_execz .LBB385_349
.LBB385_354:                            ;   Parent Loop BB385_351 Depth=1
                                        ; =>  This Inner Loop Header: Depth=2
	global_load_dword v24, v[8:9], off
	global_load_dword v25, v[10:11], off
	s_andn2_b64 s[46:47], s[2:3], exec
	s_andn2_b64 s[40:41], s[40:41], exec
	s_or_b64 s[38:39], s[38:39], exec
	s_waitcnt vmcnt(0)
	v_cmp_le_i32_e64 s[2:3], v24, v25
	v_cmp_lt_i32_e32 vcc, v24, v25
	s_and_b64 s[2:3], s[2:3], s[44:45]
	s_or_b64 s[48:49], vcc, s[2:3]
	s_and_b64 s[2:3], s[48:49], exec
	v_cmp_eq_u32_e64 s[4:5], v24, v25
	s_or_b64 s[2:3], s[46:47], s[2:3]
	s_and_saveexec_b64 s[46:47], s[4:5]
	s_cbranch_execz .LBB385_353
; %bb.355:                              ;   in Loop: Header=BB385_354 Depth=2
	s_add_u32 s42, s42, -1
	s_addc_u32 s43, s43, -1
	v_add_co_u32_e32 v8, vcc, 4, v8
	s_cmp_eq_u64 s[42:43], 0
	v_addc_co_u32_e32 v9, vcc, 0, v9, vcc
	s_cselect_b64 s[4:5], -1, 0
	v_add_co_u32_e32 v10, vcc, 4, v10
	s_andn2_b64 s[40:41], s[40:41], exec
	s_and_b64 s[44:45], s[48:49], exec
	s_andn2_b64 s[38:39], s[38:39], exec
	s_and_b64 s[4:5], s[4:5], exec
	v_addc_co_u32_e32 v11, vcc, 0, v11, vcc
	s_andn2_b64 s[2:3], s[2:3], exec
	s_or_b64 s[40:41], s[40:41], s[44:45]
	s_or_b64 s[38:39], s[38:39], s[4:5]
                                        ; implicit-def: $sgpr44_sgpr45
	s_branch .LBB385_353
.LBB385_356:
	s_or_b64 exec, exec, s[28:29]
.LBB385_357:
	s_or_b64 exec, exec, s[26:27]
	v_sub_u32_e32 v8, v18, v20
	v_add_u32_e32 v17, v20, v17
	v_add_u32_e32 v18, v8, v14
	v_cmp_le_u32_e32 vcc, v17, v14
	v_cmp_le_u32_e64 s[0:1], v18, v15
	s_or_b64 s[0:1], vcc, s[0:1]
	s_and_saveexec_b64 s[4:5], s[0:1]
	s_cbranch_execz .LBB385_404
; %bb.358:
	v_cmp_ge_u32_e32 vcc, v17, v14
	v_cmp_lt_u32_e64 s[0:1], v17, v14
                                        ; implicit-def: $vgpr0_vgpr1
	s_and_saveexec_b64 s[2:3], s[0:1]
	s_cbranch_execz .LBB385_360
; %bb.359:
	v_lshl_add_u32 v0, v20, 3, v19
	ds_read_b64 v[0:1], v0
.LBB385_360:
	s_or_b64 exec, exec, s[2:3]
	v_cmp_ge_u32_e64 s[26:27], v18, v15
	v_cmp_lt_u32_e64 s[0:1], v18, v15
                                        ; implicit-def: $vgpr4_vgpr5
	s_and_saveexec_b64 s[2:3], s[0:1]
	s_cbranch_execz .LBB385_362
; %bb.361:
	v_lshlrev_b32_e32 v2, 3, v18
	ds_read_b64 v[4:5], v2
.LBB385_362:
	s_or_b64 exec, exec, s[2:3]
	s_or_b64 s[0:1], vcc, s[26:27]
	s_mov_b64 s[28:29], -1
	s_xor_b64 s[0:1], s[0:1], -1
	s_and_saveexec_b64 s[30:31], s[0:1]
	s_cbranch_execz .LBB385_371
; %bb.363:
	s_andn2_b64 vcc, exec, s[24:25]
	s_cbranch_vccnz .LBB385_369
; %bb.364:
	s_waitcnt lgkmcnt(0)
	v_mul_lo_u32 v6, v5, s16
	v_mul_lo_u32 v7, v4, s17
	v_mad_u64_u32 v[2:3], s[0:1], v4, s16, 0
	v_add3_u32 v3, v3, v7, v6
	v_lshlrev_b64 v[2:3], 2, v[2:3]
	v_mov_b32_e32 v6, s19
	v_add_co_u32_e32 v2, vcc, s18, v2
	v_addc_co_u32_e32 v3, vcc, v6, v3, vcc
	v_mul_lo_u32 v8, v1, s16
	v_mul_lo_u32 v9, v0, s17
	v_mad_u64_u32 v[6:7], s[0:1], v0, s16, 0
	v_add3_u32 v7, v7, v9, v8
	v_lshlrev_b64 v[6:7], 2, v[6:7]
	v_mov_b32_e32 v8, s19
	v_add_co_u32_e32 v6, vcc, s18, v6
	v_addc_co_u32_e32 v7, vcc, v8, v7, vcc
	s_mov_b64 s[34:35], 0
	s_mov_b64 s[42:43], s[16:17]
                                        ; implicit-def: $sgpr36_sgpr37
                                        ; implicit-def: $sgpr38_sgpr39
                                        ; implicit-def: $sgpr0_sgpr1
                                        ; implicit-def: $sgpr40_sgpr41
                                        ; implicit-def: $sgpr44_sgpr45
	s_branch .LBB385_366
.LBB385_365:                            ;   in Loop: Header=BB385_366 Depth=1
	s_or_b64 exec, exec, s[46:47]
	s_and_b64 s[2:3], exec, s[38:39]
	s_or_b64 s[34:35], s[2:3], s[34:35]
	s_andn2_b64 s[2:3], s[44:45], exec
	s_and_b64 s[44:45], s[40:41], exec
	s_or_b64 s[44:45], s[2:3], s[44:45]
	s_andn2_b64 s[2:3], s[36:37], exec
	s_and_b64 s[36:37], s[0:1], exec
	s_or_b64 s[36:37], s[2:3], s[36:37]
	s_andn2_b64 exec, exec, s[34:35]
	s_cbranch_execz .LBB385_368
.LBB385_366:                            ; =>This Inner Loop Header: Depth=1
	global_load_dword v8, v[2:3], off
	global_load_dword v9, v[6:7], off
	s_andn2_b64 s[46:47], s[0:1], exec
	s_andn2_b64 s[40:41], s[40:41], exec
	s_or_b64 s[38:39], s[38:39], exec
	s_waitcnt vmcnt(0)
	v_cmp_le_i32_e64 s[0:1], v8, v9
	v_cmp_lt_i32_e32 vcc, v8, v9
	s_and_b64 s[0:1], s[0:1], s[44:45]
	s_or_b64 s[48:49], vcc, s[0:1]
	s_and_b64 s[0:1], s[48:49], exec
	v_cmp_eq_u32_e64 s[2:3], v8, v9
	s_or_b64 s[0:1], s[46:47], s[0:1]
	s_and_saveexec_b64 s[46:47], s[2:3]
	s_cbranch_execz .LBB385_365
; %bb.367:                              ;   in Loop: Header=BB385_366 Depth=1
	s_add_u32 s42, s42, -1
	s_addc_u32 s43, s43, -1
	v_add_co_u32_e32 v2, vcc, 4, v2
	s_cmp_eq_u64 s[42:43], 0
	v_addc_co_u32_e32 v3, vcc, 0, v3, vcc
	s_cselect_b64 s[2:3], -1, 0
	v_add_co_u32_e32 v6, vcc, 4, v6
	s_andn2_b64 s[40:41], s[40:41], exec
	s_and_b64 s[44:45], s[48:49], exec
	s_andn2_b64 s[38:39], s[38:39], exec
	s_and_b64 s[2:3], s[2:3], exec
	v_addc_co_u32_e32 v7, vcc, 0, v7, vcc
	s_or_b64 s[40:41], s[40:41], s[44:45]
	s_andn2_b64 s[0:1], s[0:1], exec
	s_or_b64 s[38:39], s[38:39], s[2:3]
                                        ; implicit-def: $sgpr44_sgpr45
	s_branch .LBB385_365
.LBB385_368:
	s_or_b64 exec, exec, s[34:35]
	s_xor_b64 s[0:1], s[36:37], -1
	s_branch .LBB385_370
.LBB385_369:
	s_mov_b64 s[0:1], -1
.LBB385_370:
	s_andn2_b64 s[2:3], s[26:27], exec
	s_and_b64 s[0:1], s[0:1], exec
	s_or_b64 s[26:27], s[2:3], s[0:1]
.LBB385_371:
	s_or_b64 exec, exec, s[30:31]
	v_cndmask_b32_e64 v2, v18, v17, s[26:27]
	v_cndmask_b32_e64 v3, v15, v14, s[26:27]
	v_add_u32_e32 v6, 1, v2
	v_add_u32_e32 v2, -1, v3
	v_min_u32_e32 v2, v6, v2
	v_lshlrev_b32_e32 v2, 3, v2
	ds_read_b64 v[2:3], v2
	v_cndmask_b32_e64 v19, v6, v18, s[26:27]
	v_cndmask_b32_e64 v23, v17, v6, s[26:27]
	v_cmp_lt_u32_e32 vcc, v19, v15
	s_waitcnt lgkmcnt(0)
	v_cndmask_b32_e64 v8, v3, v5, s[26:27]
	v_cndmask_b32_e64 v9, v2, v4, s[26:27]
	;; [unrolled: 1-line block ×4, first 2 shown]
	s_and_saveexec_b64 s[30:31], vcc
	s_cbranch_execz .LBB385_382
; %bb.372:
	v_cmp_lt_u32_e32 vcc, v23, v14
	s_mov_b64 s[0:1], 0
	s_and_saveexec_b64 s[28:29], vcc
	s_cbranch_execz .LBB385_381
; %bb.373:
	s_andn2_b64 vcc, exec, s[24:25]
	s_cbranch_vccnz .LBB385_379
; %bb.374:
	v_mul_lo_u32 v6, v8, s16
	v_mul_lo_u32 v7, v9, s17
	v_mad_u64_u32 v[2:3], s[0:1], v9, s16, 0
	v_add3_u32 v3, v3, v7, v6
	v_lshlrev_b64 v[2:3], 2, v[2:3]
	v_mov_b32_e32 v6, s19
	v_add_co_u32_e32 v2, vcc, s18, v2
	v_addc_co_u32_e32 v3, vcc, v6, v3, vcc
	v_mul_lo_u32 v17, v10, s16
	v_mul_lo_u32 v18, v11, s17
	v_mad_u64_u32 v[6:7], s[0:1], v11, s16, 0
	v_add3_u32 v7, v7, v18, v17
	v_lshlrev_b64 v[6:7], 2, v[6:7]
	v_mov_b32_e32 v17, s19
	v_add_co_u32_e32 v6, vcc, s18, v6
	v_addc_co_u32_e32 v7, vcc, v17, v7, vcc
	s_mov_b64 s[34:35], 0
	s_mov_b64 s[42:43], s[16:17]
                                        ; implicit-def: $sgpr36_sgpr37
                                        ; implicit-def: $sgpr38_sgpr39
                                        ; implicit-def: $sgpr0_sgpr1
                                        ; implicit-def: $sgpr40_sgpr41
                                        ; implicit-def: $sgpr44_sgpr45
	s_branch .LBB385_376
.LBB385_375:                            ;   in Loop: Header=BB385_376 Depth=1
	s_or_b64 exec, exec, s[46:47]
	s_and_b64 s[2:3], exec, s[38:39]
	s_or_b64 s[34:35], s[2:3], s[34:35]
	s_andn2_b64 s[2:3], s[44:45], exec
	s_and_b64 s[44:45], s[40:41], exec
	s_or_b64 s[44:45], s[2:3], s[44:45]
	s_andn2_b64 s[2:3], s[36:37], exec
	s_and_b64 s[36:37], s[0:1], exec
	s_or_b64 s[36:37], s[2:3], s[36:37]
	s_andn2_b64 exec, exec, s[34:35]
	s_cbranch_execz .LBB385_378
.LBB385_376:                            ; =>This Inner Loop Header: Depth=1
	global_load_dword v17, v[2:3], off
	global_load_dword v18, v[6:7], off
	s_andn2_b64 s[46:47], s[0:1], exec
	s_andn2_b64 s[40:41], s[40:41], exec
	s_or_b64 s[38:39], s[38:39], exec
	s_waitcnt vmcnt(0)
	v_cmp_le_i32_e64 s[0:1], v17, v18
	v_cmp_lt_i32_e32 vcc, v17, v18
	s_and_b64 s[0:1], s[0:1], s[44:45]
	s_or_b64 s[48:49], vcc, s[0:1]
	s_and_b64 s[0:1], s[48:49], exec
	v_cmp_eq_u32_e64 s[2:3], v17, v18
	s_or_b64 s[0:1], s[46:47], s[0:1]
	s_and_saveexec_b64 s[46:47], s[2:3]
	s_cbranch_execz .LBB385_375
; %bb.377:                              ;   in Loop: Header=BB385_376 Depth=1
	s_add_u32 s42, s42, -1
	s_addc_u32 s43, s43, -1
	v_add_co_u32_e32 v2, vcc, 4, v2
	s_cmp_eq_u64 s[42:43], 0
	v_addc_co_u32_e32 v3, vcc, 0, v3, vcc
	s_cselect_b64 s[2:3], -1, 0
	v_add_co_u32_e32 v6, vcc, 4, v6
	s_andn2_b64 s[40:41], s[40:41], exec
	s_and_b64 s[44:45], s[48:49], exec
	s_andn2_b64 s[38:39], s[38:39], exec
	s_and_b64 s[2:3], s[2:3], exec
	v_addc_co_u32_e32 v7, vcc, 0, v7, vcc
	s_or_b64 s[40:41], s[40:41], s[44:45]
	s_andn2_b64 s[0:1], s[0:1], exec
	s_or_b64 s[38:39], s[38:39], s[2:3]
                                        ; implicit-def: $sgpr44_sgpr45
	s_branch .LBB385_375
.LBB385_378:
	s_or_b64 exec, exec, s[34:35]
	s_xor_b64 s[0:1], s[36:37], -1
	s_branch .LBB385_380
.LBB385_379:
	s_mov_b64 s[0:1], -1
.LBB385_380:
	s_and_b64 s[0:1], s[0:1], exec
.LBB385_381:
	s_or_b64 exec, exec, s[28:29]
	s_orn2_b64 s[28:29], s[0:1], exec
.LBB385_382:
	s_or_b64 exec, exec, s[30:31]
	v_cndmask_b32_e64 v2, v19, v23, s[28:29]
	v_cndmask_b32_e64 v3, v15, v14, s[28:29]
	v_add_u32_e32 v6, 1, v2
	v_add_u32_e32 v2, -1, v3
	v_min_u32_e32 v2, v6, v2
	v_lshlrev_b32_e32 v2, 3, v2
	ds_read_b64 v[2:3], v2
	v_cndmask_b32_e64 v20, v6, v19, s[28:29]
	v_cndmask_b32_e64 v19, v23, v6, s[28:29]
	v_cmp_lt_u32_e32 vcc, v20, v15
	s_mov_b64 s[0:1], -1
	s_waitcnt lgkmcnt(0)
	v_cndmask_b32_e64 v17, v3, v8, s[28:29]
	v_cndmask_b32_e64 v18, v2, v9, s[28:29]
	;; [unrolled: 1-line block ×4, first 2 shown]
	s_and_saveexec_b64 s[30:31], vcc
	s_cbranch_execz .LBB385_393
; %bb.383:
	v_cmp_lt_u32_e32 vcc, v19, v14
	s_mov_b64 s[0:1], 0
	s_and_saveexec_b64 s[34:35], vcc
	s_cbranch_execz .LBB385_392
; %bb.384:
	s_andn2_b64 vcc, exec, s[24:25]
	s_cbranch_vccnz .LBB385_390
; %bb.385:
	v_mul_lo_u32 v6, v17, s16
	v_mul_lo_u32 v7, v18, s17
	v_mad_u64_u32 v[2:3], s[0:1], v18, s16, 0
	v_add3_u32 v3, v3, v7, v6
	v_lshlrev_b64 v[2:3], 2, v[2:3]
	v_mov_b32_e32 v6, s19
	v_add_co_u32_e32 v2, vcc, s18, v2
	v_addc_co_u32_e32 v3, vcc, v6, v3, vcc
	v_mul_lo_u32 v23, v21, s16
	v_mul_lo_u32 v24, v22, s17
	v_mad_u64_u32 v[6:7], s[0:1], v22, s16, 0
	v_add3_u32 v7, v7, v24, v23
	v_lshlrev_b64 v[6:7], 2, v[6:7]
	v_mov_b32_e32 v23, s19
	v_add_co_u32_e32 v6, vcc, s18, v6
	v_addc_co_u32_e32 v7, vcc, v23, v7, vcc
	s_mov_b64 s[36:37], 0
	s_mov_b64 s[44:45], s[16:17]
                                        ; implicit-def: $sgpr38_sgpr39
                                        ; implicit-def: $sgpr40_sgpr41
                                        ; implicit-def: $sgpr0_sgpr1
                                        ; implicit-def: $sgpr42_sgpr43
                                        ; implicit-def: $sgpr46_sgpr47
	s_branch .LBB385_387
.LBB385_386:                            ;   in Loop: Header=BB385_387 Depth=1
	s_or_b64 exec, exec, s[48:49]
	s_and_b64 s[2:3], exec, s[40:41]
	s_or_b64 s[36:37], s[2:3], s[36:37]
	s_andn2_b64 s[2:3], s[46:47], exec
	s_and_b64 s[46:47], s[42:43], exec
	s_or_b64 s[46:47], s[2:3], s[46:47]
	s_andn2_b64 s[2:3], s[38:39], exec
	s_and_b64 s[38:39], s[0:1], exec
	s_or_b64 s[38:39], s[2:3], s[38:39]
	s_andn2_b64 exec, exec, s[36:37]
	s_cbranch_execz .LBB385_389
.LBB385_387:                            ; =>This Inner Loop Header: Depth=1
	global_load_dword v23, v[2:3], off
	global_load_dword v24, v[6:7], off
	s_andn2_b64 s[48:49], s[0:1], exec
	s_andn2_b64 s[42:43], s[42:43], exec
	s_or_b64 s[40:41], s[40:41], exec
	s_waitcnt vmcnt(0)
	v_cmp_le_i32_e64 s[0:1], v23, v24
	v_cmp_lt_i32_e32 vcc, v23, v24
	s_and_b64 s[0:1], s[0:1], s[46:47]
	s_or_b64 s[50:51], vcc, s[0:1]
	s_and_b64 s[0:1], s[50:51], exec
	v_cmp_eq_u32_e64 s[2:3], v23, v24
	s_or_b64 s[0:1], s[48:49], s[0:1]
	s_and_saveexec_b64 s[48:49], s[2:3]
	s_cbranch_execz .LBB385_386
; %bb.388:                              ;   in Loop: Header=BB385_387 Depth=1
	s_add_u32 s44, s44, -1
	s_addc_u32 s45, s45, -1
	v_add_co_u32_e32 v2, vcc, 4, v2
	s_cmp_eq_u64 s[44:45], 0
	v_addc_co_u32_e32 v3, vcc, 0, v3, vcc
	s_cselect_b64 s[2:3], -1, 0
	v_add_co_u32_e32 v6, vcc, 4, v6
	s_andn2_b64 s[42:43], s[42:43], exec
	s_and_b64 s[46:47], s[50:51], exec
	s_andn2_b64 s[40:41], s[40:41], exec
	s_and_b64 s[2:3], s[2:3], exec
	v_addc_co_u32_e32 v7, vcc, 0, v7, vcc
	s_or_b64 s[42:43], s[42:43], s[46:47]
	s_andn2_b64 s[0:1], s[0:1], exec
	s_or_b64 s[40:41], s[40:41], s[2:3]
                                        ; implicit-def: $sgpr46_sgpr47
	s_branch .LBB385_386
.LBB385_389:
	s_or_b64 exec, exec, s[36:37]
	s_xor_b64 s[0:1], s[38:39], -1
	s_branch .LBB385_391
.LBB385_390:
	s_mov_b64 s[0:1], -1
.LBB385_391:
	s_and_b64 s[0:1], s[0:1], exec
.LBB385_392:
	s_or_b64 exec, exec, s[34:35]
	s_orn2_b64 s[0:1], s[0:1], exec
.LBB385_393:
	s_or_b64 exec, exec, s[30:31]
	v_cndmask_b32_e64 v6, v20, v19, s[0:1]
	v_cndmask_b32_e64 v7, v15, v14, s[0:1]
	;; [unrolled: 1-line block ×3, first 2 shown]
	v_add_u32_e32 v10, 1, v6
	v_add_u32_e32 v6, -1, v7
	v_min_u32_e32 v6, v10, v6
	v_lshlrev_b32_e32 v6, 3, v6
	v_cndmask_b32_e64 v2, v9, v11, s[28:29]
	ds_read_b64 v[8:9], v6
	v_cndmask_b32_e64 v11, v10, v20, s[0:1]
	v_cndmask_b32_e64 v1, v5, v1, s[26:27]
	;; [unrolled: 1-line block ×5, first 2 shown]
	s_waitcnt lgkmcnt(0)
	v_cndmask_b32_e64 v7, v21, v9, s[0:1]
	v_cndmask_b32_e64 v6, v22, v8, s[0:1]
	v_cmp_lt_u32_e32 vcc, v11, v15
	s_and_saveexec_b64 s[26:27], vcc
	s_cbranch_execz .LBB385_403
; %bb.394:
	v_cndmask_b32_e64 v10, v19, v10, s[0:1]
	v_cndmask_b32_e64 v9, v9, v17, s[0:1]
	;; [unrolled: 1-line block ×3, first 2 shown]
	v_cmp_lt_u32_e32 vcc, v10, v14
	s_and_saveexec_b64 s[28:29], vcc
	s_cbranch_execz .LBB385_402
; %bb.395:
	s_andn2_b64 vcc, exec, s[24:25]
	s_cbranch_vccnz .LBB385_401
; %bb.396:
	v_mul_lo_u32 v14, v9, s16
	v_mul_lo_u32 v15, v8, s17
	v_mad_u64_u32 v[10:11], s[0:1], v8, s16, 0
	v_add3_u32 v11, v11, v15, v14
	v_lshlrev_b64 v[10:11], 2, v[10:11]
	v_mov_b32_e32 v14, s19
	v_add_co_u32_e32 v10, vcc, s18, v10
	v_addc_co_u32_e32 v11, vcc, v14, v11, vcc
	v_mul_lo_u32 v17, v7, s16
	v_mul_lo_u32 v18, v6, s17
	v_mad_u64_u32 v[14:15], s[0:1], v6, s16, 0
	v_add3_u32 v15, v15, v18, v17
	v_lshlrev_b64 v[14:15], 2, v[14:15]
	v_mov_b32_e32 v17, s19
	v_add_co_u32_e32 v14, vcc, s18, v14
	v_addc_co_u32_e32 v15, vcc, v17, v15, vcc
	s_mov_b64 s[30:31], 0
	s_mov_b64 s[40:41], s[16:17]
                                        ; implicit-def: $sgpr34_sgpr35
                                        ; implicit-def: $sgpr36_sgpr37
                                        ; implicit-def: $sgpr0_sgpr1
                                        ; implicit-def: $sgpr38_sgpr39
                                        ; implicit-def: $sgpr42_sgpr43
	s_branch .LBB385_398
.LBB385_397:                            ;   in Loop: Header=BB385_398 Depth=1
	s_or_b64 exec, exec, s[44:45]
	s_and_b64 s[2:3], exec, s[36:37]
	s_or_b64 s[30:31], s[2:3], s[30:31]
	s_andn2_b64 s[2:3], s[42:43], exec
	s_and_b64 s[42:43], s[38:39], exec
	s_or_b64 s[42:43], s[2:3], s[42:43]
	s_andn2_b64 s[2:3], s[34:35], exec
	s_and_b64 s[34:35], s[0:1], exec
	s_or_b64 s[34:35], s[2:3], s[34:35]
	s_andn2_b64 exec, exec, s[30:31]
	s_cbranch_execz .LBB385_400
.LBB385_398:                            ; =>This Inner Loop Header: Depth=1
	global_load_dword v17, v[10:11], off
	global_load_dword v18, v[14:15], off
	s_andn2_b64 s[44:45], s[0:1], exec
	s_andn2_b64 s[38:39], s[38:39], exec
	s_or_b64 s[36:37], s[36:37], exec
	s_waitcnt vmcnt(0)
	v_cmp_le_i32_e64 s[0:1], v17, v18
	v_cmp_lt_i32_e32 vcc, v17, v18
	s_and_b64 s[0:1], s[0:1], s[42:43]
	s_or_b64 s[46:47], vcc, s[0:1]
	s_and_b64 s[0:1], s[46:47], exec
	v_cmp_eq_u32_e64 s[2:3], v17, v18
	s_or_b64 s[0:1], s[44:45], s[0:1]
	s_and_saveexec_b64 s[44:45], s[2:3]
	s_cbranch_execz .LBB385_397
; %bb.399:                              ;   in Loop: Header=BB385_398 Depth=1
	s_add_u32 s40, s40, -1
	s_addc_u32 s41, s41, -1
	v_add_co_u32_e32 v10, vcc, 4, v10
	s_cmp_eq_u64 s[40:41], 0
	v_addc_co_u32_e32 v11, vcc, 0, v11, vcc
	s_cselect_b64 s[2:3], -1, 0
	v_add_co_u32_e32 v14, vcc, 4, v14
	s_andn2_b64 s[38:39], s[38:39], exec
	s_and_b64 s[42:43], s[46:47], exec
	s_andn2_b64 s[36:37], s[36:37], exec
	s_and_b64 s[2:3], s[2:3], exec
	v_addc_co_u32_e32 v15, vcc, 0, v15, vcc
	s_or_b64 s[38:39], s[38:39], s[42:43]
	s_andn2_b64 s[0:1], s[0:1], exec
	s_or_b64 s[36:37], s[36:37], s[2:3]
                                        ; implicit-def: $sgpr42_sgpr43
	s_branch .LBB385_397
.LBB385_400:
	s_or_b64 exec, exec, s[30:31]
	v_cndmask_b32_e64 v7, v7, v9, s[34:35]
	v_cndmask_b32_e64 v6, v6, v8, s[34:35]
.LBB385_401:
	v_pk_mov_b32 v[8:9], v[6:7], v[6:7] op_sel:[0,1]
.LBB385_402:
	s_or_b64 exec, exec, s[28:29]
	v_pk_mov_b32 v[6:7], v[8:9], v[8:9] op_sel:[0,1]
.LBB385_403:
	s_or_b64 exec, exec, s[26:27]
.LBB385_404:
	s_or_b64 exec, exec, s[4:5]
	v_and_b32_e32 v17, 0xe00, v27
	v_or_b32_e32 v8, 0x100, v17
	v_min_u32_e32 v14, 0x400, v8
	v_min_u32_e32 v8, 0x300, v8
	v_add_u32_e32 v15, 0x100, v8
	v_and_b32_e32 v18, 0x1fc, v27
	v_sub_u32_e32 v8, v14, v17
	v_sub_u32_e32 v9, v15, v14
	v_sub_u32_e64 v20, v18, v9 clamp
	v_min_u32_e32 v21, v18, v8
	v_lshlrev_b32_e32 v19, 3, v17
	v_cmp_lt_u32_e32 vcc, v20, v21
	s_barrier
	ds_write_b128 v16, v[0:3]
	ds_write_b128 v16, v[4:7] offset:16
	s_waitcnt lgkmcnt(0)
	s_barrier
	s_and_saveexec_b64 s[26:27], vcc
	s_cbranch_execz .LBB385_414
; %bb.405:
	v_lshlrev_b32_e32 v8, 3, v18
	v_lshl_add_u32 v22, v14, 3, v8
	v_cndmask_b32_e64 v8, 0, 1, s[24:25]
	s_lshl_b64 s[30:31], s[16:17], 2
	s_mov_b64 s[28:29], 0
	v_cmp_ne_u32_e64 s[0:1], 1, v8
	s_branch .LBB385_408
.LBB385_406:                            ;   in Loop: Header=BB385_408 Depth=1
	s_or_b64 exec, exec, s[36:37]
.LBB385_407:                            ;   in Loop: Header=BB385_408 Depth=1
	v_add_u32_e32 v8, 1, v23
	v_cndmask_b32_e64 v21, v21, v23, s[34:35]
	v_cndmask_b32_e64 v20, v8, v20, s[34:35]
	v_cmp_ge_u32_e32 vcc, v20, v21
	s_or_b64 s[28:29], vcc, s[28:29]
	s_andn2_b64 exec, exec, s[28:29]
	s_cbranch_execz .LBB385_413
.LBB385_408:                            ; =>This Loop Header: Depth=1
                                        ;     Child Loop BB385_411 Depth 2
	v_add_u32_e32 v8, v21, v20
	v_lshrrev_b32_e32 v23, 1, v8
	s_and_b64 vcc, exec, s[0:1]
	s_mov_b64 s[34:35], 0
	s_cbranch_vccnz .LBB385_407
; %bb.409:                              ;   in Loop: Header=BB385_408 Depth=1
	v_not_b32_e32 v8, v23
	v_lshl_add_u32 v8, v8, 3, v22
	ds_read_b64 v[8:9], v8
	v_lshl_add_u32 v24, v23, 3, v19
	ds_read_b64 v[24:25], v24
	v_pk_mov_b32 v[10:11], s[18:19], s[18:19] op_sel:[0,1]
	s_mov_b64 s[36:37], 0
	s_waitcnt lgkmcnt(1)
	v_mul_lo_u32 v37, s30, v9
	v_mul_lo_u32 v38, s31, v8
	v_mad_u64_u32 v[8:9], s[2:3], s30, v8, v[10:11]
	v_add3_u32 v9, v38, v9, v37
	s_waitcnt lgkmcnt(0)
	v_mul_lo_u32 v25, s30, v25
	v_mul_lo_u32 v37, s31, v24
	v_mad_u64_u32 v[10:11], s[2:3], s30, v24, v[10:11]
	v_add3_u32 v11, v37, v11, v25
	s_mov_b64 s[42:43], s[16:17]
                                        ; implicit-def: $sgpr34_sgpr35
                                        ; implicit-def: $sgpr38_sgpr39
                                        ; implicit-def: $sgpr40_sgpr41
                                        ; implicit-def: $sgpr2_sgpr3
                                        ; implicit-def: $sgpr44_sgpr45
	s_branch .LBB385_411
.LBB385_410:                            ;   in Loop: Header=BB385_411 Depth=2
	s_or_b64 exec, exec, s[46:47]
	s_and_b64 s[4:5], exec, s[38:39]
	s_or_b64 s[36:37], s[4:5], s[36:37]
	s_andn2_b64 s[4:5], s[44:45], exec
	s_and_b64 s[44:45], s[40:41], exec
	s_or_b64 s[44:45], s[4:5], s[44:45]
	s_andn2_b64 s[4:5], s[34:35], exec
	s_and_b64 s[34:35], s[2:3], exec
	s_or_b64 s[34:35], s[4:5], s[34:35]
	s_andn2_b64 exec, exec, s[36:37]
	s_cbranch_execz .LBB385_406
.LBB385_411:                            ;   Parent Loop BB385_408 Depth=1
                                        ; =>  This Inner Loop Header: Depth=2
	global_load_dword v24, v[8:9], off
	global_load_dword v25, v[10:11], off
	s_andn2_b64 s[46:47], s[2:3], exec
	s_andn2_b64 s[40:41], s[40:41], exec
	s_or_b64 s[38:39], s[38:39], exec
	s_waitcnt vmcnt(0)
	v_cmp_le_i32_e64 s[2:3], v24, v25
	v_cmp_lt_i32_e32 vcc, v24, v25
	s_and_b64 s[2:3], s[2:3], s[44:45]
	s_or_b64 s[48:49], vcc, s[2:3]
	s_and_b64 s[2:3], s[48:49], exec
	v_cmp_eq_u32_e64 s[4:5], v24, v25
	s_or_b64 s[2:3], s[46:47], s[2:3]
	s_and_saveexec_b64 s[46:47], s[4:5]
	s_cbranch_execz .LBB385_410
; %bb.412:                              ;   in Loop: Header=BB385_411 Depth=2
	s_add_u32 s42, s42, -1
	s_addc_u32 s43, s43, -1
	v_add_co_u32_e32 v8, vcc, 4, v8
	s_cmp_eq_u64 s[42:43], 0
	v_addc_co_u32_e32 v9, vcc, 0, v9, vcc
	s_cselect_b64 s[4:5], -1, 0
	v_add_co_u32_e32 v10, vcc, 4, v10
	s_andn2_b64 s[40:41], s[40:41], exec
	s_and_b64 s[44:45], s[48:49], exec
	s_andn2_b64 s[38:39], s[38:39], exec
	s_and_b64 s[4:5], s[4:5], exec
	v_addc_co_u32_e32 v11, vcc, 0, v11, vcc
	s_andn2_b64 s[2:3], s[2:3], exec
	s_or_b64 s[40:41], s[40:41], s[44:45]
	s_or_b64 s[38:39], s[38:39], s[4:5]
                                        ; implicit-def: $sgpr44_sgpr45
	s_branch .LBB385_410
.LBB385_413:
	s_or_b64 exec, exec, s[28:29]
.LBB385_414:
	s_or_b64 exec, exec, s[26:27]
	v_sub_u32_e32 v8, v18, v20
	v_add_u32_e32 v17, v20, v17
	v_add_u32_e32 v18, v8, v14
	v_cmp_le_u32_e32 vcc, v17, v14
	v_cmp_le_u32_e64 s[0:1], v18, v15
	s_or_b64 s[0:1], vcc, s[0:1]
	s_and_saveexec_b64 s[4:5], s[0:1]
	s_cbranch_execz .LBB385_461
; %bb.415:
	v_cmp_ge_u32_e32 vcc, v17, v14
	v_cmp_lt_u32_e64 s[0:1], v17, v14
                                        ; implicit-def: $vgpr0_vgpr1
	s_and_saveexec_b64 s[2:3], s[0:1]
	s_cbranch_execz .LBB385_417
; %bb.416:
	v_lshl_add_u32 v0, v20, 3, v19
	ds_read_b64 v[0:1], v0
.LBB385_417:
	s_or_b64 exec, exec, s[2:3]
	v_cmp_ge_u32_e64 s[26:27], v18, v15
	v_cmp_lt_u32_e64 s[0:1], v18, v15
                                        ; implicit-def: $vgpr4_vgpr5
	s_and_saveexec_b64 s[2:3], s[0:1]
	s_cbranch_execz .LBB385_419
; %bb.418:
	v_lshlrev_b32_e32 v2, 3, v18
	ds_read_b64 v[4:5], v2
.LBB385_419:
	s_or_b64 exec, exec, s[2:3]
	s_or_b64 s[0:1], vcc, s[26:27]
	s_mov_b64 s[28:29], -1
	s_xor_b64 s[0:1], s[0:1], -1
	s_and_saveexec_b64 s[30:31], s[0:1]
	s_cbranch_execz .LBB385_428
; %bb.420:
	s_andn2_b64 vcc, exec, s[24:25]
	s_cbranch_vccnz .LBB385_426
; %bb.421:
	s_waitcnt lgkmcnt(0)
	v_mul_lo_u32 v6, v5, s16
	v_mul_lo_u32 v7, v4, s17
	v_mad_u64_u32 v[2:3], s[0:1], v4, s16, 0
	v_add3_u32 v3, v3, v7, v6
	v_lshlrev_b64 v[2:3], 2, v[2:3]
	v_mov_b32_e32 v6, s19
	v_add_co_u32_e32 v2, vcc, s18, v2
	v_addc_co_u32_e32 v3, vcc, v6, v3, vcc
	v_mul_lo_u32 v8, v1, s16
	v_mul_lo_u32 v9, v0, s17
	v_mad_u64_u32 v[6:7], s[0:1], v0, s16, 0
	v_add3_u32 v7, v7, v9, v8
	v_lshlrev_b64 v[6:7], 2, v[6:7]
	v_mov_b32_e32 v8, s19
	v_add_co_u32_e32 v6, vcc, s18, v6
	v_addc_co_u32_e32 v7, vcc, v8, v7, vcc
	s_mov_b64 s[34:35], 0
	s_mov_b64 s[42:43], s[16:17]
                                        ; implicit-def: $sgpr36_sgpr37
                                        ; implicit-def: $sgpr38_sgpr39
                                        ; implicit-def: $sgpr0_sgpr1
                                        ; implicit-def: $sgpr40_sgpr41
                                        ; implicit-def: $sgpr44_sgpr45
	s_branch .LBB385_423
.LBB385_422:                            ;   in Loop: Header=BB385_423 Depth=1
	s_or_b64 exec, exec, s[46:47]
	s_and_b64 s[2:3], exec, s[38:39]
	s_or_b64 s[34:35], s[2:3], s[34:35]
	s_andn2_b64 s[2:3], s[44:45], exec
	s_and_b64 s[44:45], s[40:41], exec
	s_or_b64 s[44:45], s[2:3], s[44:45]
	s_andn2_b64 s[2:3], s[36:37], exec
	s_and_b64 s[36:37], s[0:1], exec
	s_or_b64 s[36:37], s[2:3], s[36:37]
	s_andn2_b64 exec, exec, s[34:35]
	s_cbranch_execz .LBB385_425
.LBB385_423:                            ; =>This Inner Loop Header: Depth=1
	global_load_dword v8, v[2:3], off
	global_load_dword v9, v[6:7], off
	s_andn2_b64 s[46:47], s[0:1], exec
	s_andn2_b64 s[40:41], s[40:41], exec
	s_or_b64 s[38:39], s[38:39], exec
	s_waitcnt vmcnt(0)
	v_cmp_le_i32_e64 s[0:1], v8, v9
	v_cmp_lt_i32_e32 vcc, v8, v9
	s_and_b64 s[0:1], s[0:1], s[44:45]
	s_or_b64 s[48:49], vcc, s[0:1]
	s_and_b64 s[0:1], s[48:49], exec
	v_cmp_eq_u32_e64 s[2:3], v8, v9
	s_or_b64 s[0:1], s[46:47], s[0:1]
	s_and_saveexec_b64 s[46:47], s[2:3]
	s_cbranch_execz .LBB385_422
; %bb.424:                              ;   in Loop: Header=BB385_423 Depth=1
	s_add_u32 s42, s42, -1
	s_addc_u32 s43, s43, -1
	v_add_co_u32_e32 v2, vcc, 4, v2
	s_cmp_eq_u64 s[42:43], 0
	v_addc_co_u32_e32 v3, vcc, 0, v3, vcc
	s_cselect_b64 s[2:3], -1, 0
	v_add_co_u32_e32 v6, vcc, 4, v6
	s_andn2_b64 s[40:41], s[40:41], exec
	s_and_b64 s[44:45], s[48:49], exec
	s_andn2_b64 s[38:39], s[38:39], exec
	s_and_b64 s[2:3], s[2:3], exec
	v_addc_co_u32_e32 v7, vcc, 0, v7, vcc
	s_or_b64 s[40:41], s[40:41], s[44:45]
	s_andn2_b64 s[0:1], s[0:1], exec
	s_or_b64 s[38:39], s[38:39], s[2:3]
                                        ; implicit-def: $sgpr44_sgpr45
	s_branch .LBB385_422
.LBB385_425:
	s_or_b64 exec, exec, s[34:35]
	s_xor_b64 s[0:1], s[36:37], -1
	s_branch .LBB385_427
.LBB385_426:
	s_mov_b64 s[0:1], -1
.LBB385_427:
	s_andn2_b64 s[2:3], s[26:27], exec
	s_and_b64 s[0:1], s[0:1], exec
	s_or_b64 s[26:27], s[2:3], s[0:1]
.LBB385_428:
	s_or_b64 exec, exec, s[30:31]
	v_cndmask_b32_e64 v2, v18, v17, s[26:27]
	v_cndmask_b32_e64 v3, v15, v14, s[26:27]
	v_add_u32_e32 v6, 1, v2
	v_add_u32_e32 v2, -1, v3
	v_min_u32_e32 v2, v6, v2
	v_lshlrev_b32_e32 v2, 3, v2
	ds_read_b64 v[2:3], v2
	v_cndmask_b32_e64 v19, v6, v18, s[26:27]
	v_cndmask_b32_e64 v23, v17, v6, s[26:27]
	v_cmp_lt_u32_e32 vcc, v19, v15
	s_waitcnt lgkmcnt(0)
	v_cndmask_b32_e64 v8, v3, v5, s[26:27]
	v_cndmask_b32_e64 v9, v2, v4, s[26:27]
	;; [unrolled: 1-line block ×4, first 2 shown]
	s_and_saveexec_b64 s[30:31], vcc
	s_cbranch_execz .LBB385_439
; %bb.429:
	v_cmp_lt_u32_e32 vcc, v23, v14
	s_mov_b64 s[0:1], 0
	s_and_saveexec_b64 s[28:29], vcc
	s_cbranch_execz .LBB385_438
; %bb.430:
	s_andn2_b64 vcc, exec, s[24:25]
	s_cbranch_vccnz .LBB385_436
; %bb.431:
	v_mul_lo_u32 v6, v8, s16
	v_mul_lo_u32 v7, v9, s17
	v_mad_u64_u32 v[2:3], s[0:1], v9, s16, 0
	v_add3_u32 v3, v3, v7, v6
	v_lshlrev_b64 v[2:3], 2, v[2:3]
	v_mov_b32_e32 v6, s19
	v_add_co_u32_e32 v2, vcc, s18, v2
	v_addc_co_u32_e32 v3, vcc, v6, v3, vcc
	v_mul_lo_u32 v17, v10, s16
	v_mul_lo_u32 v18, v11, s17
	v_mad_u64_u32 v[6:7], s[0:1], v11, s16, 0
	v_add3_u32 v7, v7, v18, v17
	v_lshlrev_b64 v[6:7], 2, v[6:7]
	v_mov_b32_e32 v17, s19
	v_add_co_u32_e32 v6, vcc, s18, v6
	v_addc_co_u32_e32 v7, vcc, v17, v7, vcc
	s_mov_b64 s[34:35], 0
	s_mov_b64 s[42:43], s[16:17]
                                        ; implicit-def: $sgpr36_sgpr37
                                        ; implicit-def: $sgpr38_sgpr39
                                        ; implicit-def: $sgpr0_sgpr1
                                        ; implicit-def: $sgpr40_sgpr41
                                        ; implicit-def: $sgpr44_sgpr45
	s_branch .LBB385_433
.LBB385_432:                            ;   in Loop: Header=BB385_433 Depth=1
	s_or_b64 exec, exec, s[46:47]
	s_and_b64 s[2:3], exec, s[38:39]
	s_or_b64 s[34:35], s[2:3], s[34:35]
	s_andn2_b64 s[2:3], s[44:45], exec
	s_and_b64 s[44:45], s[40:41], exec
	s_or_b64 s[44:45], s[2:3], s[44:45]
	s_andn2_b64 s[2:3], s[36:37], exec
	s_and_b64 s[36:37], s[0:1], exec
	s_or_b64 s[36:37], s[2:3], s[36:37]
	s_andn2_b64 exec, exec, s[34:35]
	s_cbranch_execz .LBB385_435
.LBB385_433:                            ; =>This Inner Loop Header: Depth=1
	global_load_dword v17, v[2:3], off
	global_load_dword v18, v[6:7], off
	s_andn2_b64 s[46:47], s[0:1], exec
	s_andn2_b64 s[40:41], s[40:41], exec
	s_or_b64 s[38:39], s[38:39], exec
	s_waitcnt vmcnt(0)
	v_cmp_le_i32_e64 s[0:1], v17, v18
	v_cmp_lt_i32_e32 vcc, v17, v18
	s_and_b64 s[0:1], s[0:1], s[44:45]
	s_or_b64 s[48:49], vcc, s[0:1]
	s_and_b64 s[0:1], s[48:49], exec
	v_cmp_eq_u32_e64 s[2:3], v17, v18
	s_or_b64 s[0:1], s[46:47], s[0:1]
	s_and_saveexec_b64 s[46:47], s[2:3]
	s_cbranch_execz .LBB385_432
; %bb.434:                              ;   in Loop: Header=BB385_433 Depth=1
	s_add_u32 s42, s42, -1
	s_addc_u32 s43, s43, -1
	v_add_co_u32_e32 v2, vcc, 4, v2
	s_cmp_eq_u64 s[42:43], 0
	v_addc_co_u32_e32 v3, vcc, 0, v3, vcc
	s_cselect_b64 s[2:3], -1, 0
	v_add_co_u32_e32 v6, vcc, 4, v6
	s_andn2_b64 s[40:41], s[40:41], exec
	s_and_b64 s[44:45], s[48:49], exec
	s_andn2_b64 s[38:39], s[38:39], exec
	s_and_b64 s[2:3], s[2:3], exec
	v_addc_co_u32_e32 v7, vcc, 0, v7, vcc
	s_or_b64 s[40:41], s[40:41], s[44:45]
	s_andn2_b64 s[0:1], s[0:1], exec
	s_or_b64 s[38:39], s[38:39], s[2:3]
                                        ; implicit-def: $sgpr44_sgpr45
	s_branch .LBB385_432
.LBB385_435:
	s_or_b64 exec, exec, s[34:35]
	s_xor_b64 s[0:1], s[36:37], -1
	s_branch .LBB385_437
.LBB385_436:
	s_mov_b64 s[0:1], -1
.LBB385_437:
	s_and_b64 s[0:1], s[0:1], exec
.LBB385_438:
	s_or_b64 exec, exec, s[28:29]
	s_orn2_b64 s[28:29], s[0:1], exec
.LBB385_439:
	s_or_b64 exec, exec, s[30:31]
	v_cndmask_b32_e64 v2, v19, v23, s[28:29]
	v_cndmask_b32_e64 v3, v15, v14, s[28:29]
	v_add_u32_e32 v6, 1, v2
	v_add_u32_e32 v2, -1, v3
	v_min_u32_e32 v2, v6, v2
	v_lshlrev_b32_e32 v2, 3, v2
	ds_read_b64 v[2:3], v2
	v_cndmask_b32_e64 v20, v6, v19, s[28:29]
	v_cndmask_b32_e64 v19, v23, v6, s[28:29]
	v_cmp_lt_u32_e32 vcc, v20, v15
	s_mov_b64 s[0:1], -1
	s_waitcnt lgkmcnt(0)
	v_cndmask_b32_e64 v17, v3, v8, s[28:29]
	v_cndmask_b32_e64 v18, v2, v9, s[28:29]
	;; [unrolled: 1-line block ×4, first 2 shown]
	s_and_saveexec_b64 s[30:31], vcc
	s_cbranch_execz .LBB385_450
; %bb.440:
	v_cmp_lt_u32_e32 vcc, v19, v14
	s_mov_b64 s[0:1], 0
	s_and_saveexec_b64 s[34:35], vcc
	s_cbranch_execz .LBB385_449
; %bb.441:
	s_andn2_b64 vcc, exec, s[24:25]
	s_cbranch_vccnz .LBB385_447
; %bb.442:
	v_mul_lo_u32 v6, v17, s16
	v_mul_lo_u32 v7, v18, s17
	v_mad_u64_u32 v[2:3], s[0:1], v18, s16, 0
	v_add3_u32 v3, v3, v7, v6
	v_lshlrev_b64 v[2:3], 2, v[2:3]
	v_mov_b32_e32 v6, s19
	v_add_co_u32_e32 v2, vcc, s18, v2
	v_addc_co_u32_e32 v3, vcc, v6, v3, vcc
	v_mul_lo_u32 v23, v21, s16
	v_mul_lo_u32 v24, v22, s17
	v_mad_u64_u32 v[6:7], s[0:1], v22, s16, 0
	v_add3_u32 v7, v7, v24, v23
	v_lshlrev_b64 v[6:7], 2, v[6:7]
	v_mov_b32_e32 v23, s19
	v_add_co_u32_e32 v6, vcc, s18, v6
	v_addc_co_u32_e32 v7, vcc, v23, v7, vcc
	s_mov_b64 s[36:37], 0
	s_mov_b64 s[44:45], s[16:17]
                                        ; implicit-def: $sgpr38_sgpr39
                                        ; implicit-def: $sgpr40_sgpr41
                                        ; implicit-def: $sgpr0_sgpr1
                                        ; implicit-def: $sgpr42_sgpr43
                                        ; implicit-def: $sgpr46_sgpr47
	s_branch .LBB385_444
.LBB385_443:                            ;   in Loop: Header=BB385_444 Depth=1
	s_or_b64 exec, exec, s[48:49]
	s_and_b64 s[2:3], exec, s[40:41]
	s_or_b64 s[36:37], s[2:3], s[36:37]
	s_andn2_b64 s[2:3], s[46:47], exec
	s_and_b64 s[46:47], s[42:43], exec
	s_or_b64 s[46:47], s[2:3], s[46:47]
	s_andn2_b64 s[2:3], s[38:39], exec
	s_and_b64 s[38:39], s[0:1], exec
	s_or_b64 s[38:39], s[2:3], s[38:39]
	s_andn2_b64 exec, exec, s[36:37]
	s_cbranch_execz .LBB385_446
.LBB385_444:                            ; =>This Inner Loop Header: Depth=1
	global_load_dword v23, v[2:3], off
	global_load_dword v24, v[6:7], off
	s_andn2_b64 s[48:49], s[0:1], exec
	s_andn2_b64 s[42:43], s[42:43], exec
	s_or_b64 s[40:41], s[40:41], exec
	s_waitcnt vmcnt(0)
	v_cmp_le_i32_e64 s[0:1], v23, v24
	v_cmp_lt_i32_e32 vcc, v23, v24
	s_and_b64 s[0:1], s[0:1], s[46:47]
	s_or_b64 s[50:51], vcc, s[0:1]
	s_and_b64 s[0:1], s[50:51], exec
	v_cmp_eq_u32_e64 s[2:3], v23, v24
	s_or_b64 s[0:1], s[48:49], s[0:1]
	s_and_saveexec_b64 s[48:49], s[2:3]
	s_cbranch_execz .LBB385_443
; %bb.445:                              ;   in Loop: Header=BB385_444 Depth=1
	s_add_u32 s44, s44, -1
	s_addc_u32 s45, s45, -1
	v_add_co_u32_e32 v2, vcc, 4, v2
	s_cmp_eq_u64 s[44:45], 0
	v_addc_co_u32_e32 v3, vcc, 0, v3, vcc
	s_cselect_b64 s[2:3], -1, 0
	v_add_co_u32_e32 v6, vcc, 4, v6
	s_andn2_b64 s[42:43], s[42:43], exec
	s_and_b64 s[46:47], s[50:51], exec
	s_andn2_b64 s[40:41], s[40:41], exec
	s_and_b64 s[2:3], s[2:3], exec
	v_addc_co_u32_e32 v7, vcc, 0, v7, vcc
	s_or_b64 s[42:43], s[42:43], s[46:47]
	s_andn2_b64 s[0:1], s[0:1], exec
	s_or_b64 s[40:41], s[40:41], s[2:3]
                                        ; implicit-def: $sgpr46_sgpr47
	s_branch .LBB385_443
.LBB385_446:
	s_or_b64 exec, exec, s[36:37]
	s_xor_b64 s[0:1], s[38:39], -1
	s_branch .LBB385_448
.LBB385_447:
	s_mov_b64 s[0:1], -1
.LBB385_448:
	s_and_b64 s[0:1], s[0:1], exec
.LBB385_449:
	s_or_b64 exec, exec, s[34:35]
	s_orn2_b64 s[0:1], s[0:1], exec
.LBB385_450:
	s_or_b64 exec, exec, s[30:31]
	v_cndmask_b32_e64 v6, v20, v19, s[0:1]
	v_cndmask_b32_e64 v7, v15, v14, s[0:1]
	;; [unrolled: 1-line block ×3, first 2 shown]
	v_add_u32_e32 v10, 1, v6
	v_add_u32_e32 v6, -1, v7
	v_min_u32_e32 v6, v10, v6
	v_lshlrev_b32_e32 v6, 3, v6
	v_cndmask_b32_e64 v2, v9, v11, s[28:29]
	ds_read_b64 v[8:9], v6
	v_cndmask_b32_e64 v11, v10, v20, s[0:1]
	v_cndmask_b32_e64 v1, v5, v1, s[26:27]
	v_cndmask_b32_e64 v0, v4, v0, s[26:27]
	v_cndmask_b32_e64 v5, v17, v21, s[0:1]
	v_cndmask_b32_e64 v4, v18, v22, s[0:1]
	s_waitcnt lgkmcnt(0)
	v_cndmask_b32_e64 v7, v21, v9, s[0:1]
	v_cndmask_b32_e64 v6, v22, v8, s[0:1]
	v_cmp_lt_u32_e32 vcc, v11, v15
	s_and_saveexec_b64 s[26:27], vcc
	s_cbranch_execz .LBB385_460
; %bb.451:
	v_cndmask_b32_e64 v10, v19, v10, s[0:1]
	v_cndmask_b32_e64 v9, v9, v17, s[0:1]
	;; [unrolled: 1-line block ×3, first 2 shown]
	v_cmp_lt_u32_e32 vcc, v10, v14
	s_and_saveexec_b64 s[28:29], vcc
	s_cbranch_execz .LBB385_459
; %bb.452:
	s_andn2_b64 vcc, exec, s[24:25]
	s_cbranch_vccnz .LBB385_458
; %bb.453:
	v_mul_lo_u32 v14, v9, s16
	v_mul_lo_u32 v15, v8, s17
	v_mad_u64_u32 v[10:11], s[0:1], v8, s16, 0
	v_add3_u32 v11, v11, v15, v14
	v_lshlrev_b64 v[10:11], 2, v[10:11]
	v_mov_b32_e32 v14, s19
	v_add_co_u32_e32 v10, vcc, s18, v10
	v_addc_co_u32_e32 v11, vcc, v14, v11, vcc
	v_mul_lo_u32 v17, v7, s16
	v_mul_lo_u32 v18, v6, s17
	v_mad_u64_u32 v[14:15], s[0:1], v6, s16, 0
	v_add3_u32 v15, v15, v18, v17
	v_lshlrev_b64 v[14:15], 2, v[14:15]
	v_mov_b32_e32 v17, s19
	v_add_co_u32_e32 v14, vcc, s18, v14
	v_addc_co_u32_e32 v15, vcc, v17, v15, vcc
	s_mov_b64 s[30:31], 0
	s_mov_b64 s[40:41], s[16:17]
                                        ; implicit-def: $sgpr34_sgpr35
                                        ; implicit-def: $sgpr36_sgpr37
                                        ; implicit-def: $sgpr0_sgpr1
                                        ; implicit-def: $sgpr38_sgpr39
                                        ; implicit-def: $sgpr42_sgpr43
	s_branch .LBB385_455
.LBB385_454:                            ;   in Loop: Header=BB385_455 Depth=1
	s_or_b64 exec, exec, s[44:45]
	s_and_b64 s[2:3], exec, s[36:37]
	s_or_b64 s[30:31], s[2:3], s[30:31]
	s_andn2_b64 s[2:3], s[42:43], exec
	s_and_b64 s[42:43], s[38:39], exec
	s_or_b64 s[42:43], s[2:3], s[42:43]
	s_andn2_b64 s[2:3], s[34:35], exec
	s_and_b64 s[34:35], s[0:1], exec
	s_or_b64 s[34:35], s[2:3], s[34:35]
	s_andn2_b64 exec, exec, s[30:31]
	s_cbranch_execz .LBB385_457
.LBB385_455:                            ; =>This Inner Loop Header: Depth=1
	global_load_dword v17, v[10:11], off
	global_load_dword v18, v[14:15], off
	s_andn2_b64 s[44:45], s[0:1], exec
	s_andn2_b64 s[38:39], s[38:39], exec
	s_or_b64 s[36:37], s[36:37], exec
	s_waitcnt vmcnt(0)
	v_cmp_le_i32_e64 s[0:1], v17, v18
	v_cmp_lt_i32_e32 vcc, v17, v18
	s_and_b64 s[0:1], s[0:1], s[42:43]
	s_or_b64 s[46:47], vcc, s[0:1]
	s_and_b64 s[0:1], s[46:47], exec
	v_cmp_eq_u32_e64 s[2:3], v17, v18
	s_or_b64 s[0:1], s[44:45], s[0:1]
	s_and_saveexec_b64 s[44:45], s[2:3]
	s_cbranch_execz .LBB385_454
; %bb.456:                              ;   in Loop: Header=BB385_455 Depth=1
	s_add_u32 s40, s40, -1
	s_addc_u32 s41, s41, -1
	v_add_co_u32_e32 v10, vcc, 4, v10
	s_cmp_eq_u64 s[40:41], 0
	v_addc_co_u32_e32 v11, vcc, 0, v11, vcc
	s_cselect_b64 s[2:3], -1, 0
	v_add_co_u32_e32 v14, vcc, 4, v14
	s_andn2_b64 s[38:39], s[38:39], exec
	s_and_b64 s[42:43], s[46:47], exec
	s_andn2_b64 s[36:37], s[36:37], exec
	s_and_b64 s[2:3], s[2:3], exec
	v_addc_co_u32_e32 v15, vcc, 0, v15, vcc
	s_or_b64 s[38:39], s[38:39], s[42:43]
	s_andn2_b64 s[0:1], s[0:1], exec
	s_or_b64 s[36:37], s[36:37], s[2:3]
                                        ; implicit-def: $sgpr42_sgpr43
	s_branch .LBB385_454
.LBB385_457:
	s_or_b64 exec, exec, s[30:31]
	v_cndmask_b32_e64 v7, v7, v9, s[34:35]
	v_cndmask_b32_e64 v6, v6, v8, s[34:35]
.LBB385_458:
	v_pk_mov_b32 v[8:9], v[6:7], v[6:7] op_sel:[0,1]
.LBB385_459:
	s_or_b64 exec, exec, s[28:29]
	v_pk_mov_b32 v[6:7], v[8:9], v[8:9] op_sel:[0,1]
.LBB385_460:
	s_or_b64 exec, exec, s[26:27]
.LBB385_461:
	s_or_b64 exec, exec, s[4:5]
	s_barrier
	ds_write_b128 v16, v[0:3]
	ds_write_b128 v16, v[4:7] offset:16
	v_and_b32_e32 v16, 0xc00, v27
	v_or_b32_e32 v8, 0x200, v16
	v_min_u32_e32 v14, 0x400, v8
	v_and_b32_e32 v17, 0x3fc, v27
	v_sub_u32_e32 v8, v14, v16
	v_sub_u32_e32 v9, 0x400, v14
	v_sub_u32_e64 v18, v17, v9 clamp
	v_min_u32_e32 v19, v17, v8
	v_lshlrev_b32_e32 v15, 3, v16
	v_cmp_lt_u32_e32 vcc, v18, v19
	s_waitcnt lgkmcnt(0)
	s_barrier
	s_and_saveexec_b64 s[26:27], vcc
	s_cbranch_execz .LBB385_471
; %bb.462:
	v_lshlrev_b32_e32 v8, 3, v17
	v_lshl_add_u32 v20, v14, 3, v8
	v_cndmask_b32_e64 v8, 0, 1, s[24:25]
	s_lshl_b64 s[30:31], s[16:17], 2
	s_mov_b64 s[28:29], 0
	v_cmp_ne_u32_e64 s[0:1], 1, v8
	s_branch .LBB385_465
.LBB385_463:                            ;   in Loop: Header=BB385_465 Depth=1
	s_or_b64 exec, exec, s[36:37]
.LBB385_464:                            ;   in Loop: Header=BB385_465 Depth=1
	v_add_u32_e32 v8, 1, v21
	v_cndmask_b32_e64 v19, v19, v21, s[34:35]
	v_cndmask_b32_e64 v18, v8, v18, s[34:35]
	v_cmp_ge_u32_e32 vcc, v18, v19
	s_or_b64 s[28:29], vcc, s[28:29]
	s_andn2_b64 exec, exec, s[28:29]
	s_cbranch_execz .LBB385_470
.LBB385_465:                            ; =>This Loop Header: Depth=1
                                        ;     Child Loop BB385_468 Depth 2
	v_add_u32_e32 v8, v19, v18
	v_lshrrev_b32_e32 v21, 1, v8
	s_and_b64 vcc, exec, s[0:1]
	s_mov_b64 s[34:35], 0
	s_cbranch_vccnz .LBB385_464
; %bb.466:                              ;   in Loop: Header=BB385_465 Depth=1
	v_not_b32_e32 v8, v21
	v_lshl_add_u32 v8, v8, 3, v20
	ds_read_b64 v[8:9], v8
	v_lshl_add_u32 v22, v21, 3, v15
	ds_read_b64 v[22:23], v22
	v_pk_mov_b32 v[10:11], s[18:19], s[18:19] op_sel:[0,1]
	s_mov_b64 s[36:37], 0
	s_waitcnt lgkmcnt(1)
	v_mul_lo_u32 v24, s30, v9
	v_mul_lo_u32 v25, s31, v8
	v_mad_u64_u32 v[8:9], s[2:3], s30, v8, v[10:11]
	v_add3_u32 v9, v25, v9, v24
	s_waitcnt lgkmcnt(0)
	v_mul_lo_u32 v23, s30, v23
	v_mul_lo_u32 v24, s31, v22
	v_mad_u64_u32 v[10:11], s[2:3], s30, v22, v[10:11]
	v_add3_u32 v11, v24, v11, v23
	s_mov_b64 s[42:43], s[16:17]
                                        ; implicit-def: $sgpr34_sgpr35
                                        ; implicit-def: $sgpr38_sgpr39
                                        ; implicit-def: $sgpr40_sgpr41
                                        ; implicit-def: $sgpr2_sgpr3
                                        ; implicit-def: $sgpr44_sgpr45
	s_branch .LBB385_468
.LBB385_467:                            ;   in Loop: Header=BB385_468 Depth=2
	s_or_b64 exec, exec, s[46:47]
	s_and_b64 s[4:5], exec, s[38:39]
	s_or_b64 s[36:37], s[4:5], s[36:37]
	s_andn2_b64 s[4:5], s[44:45], exec
	s_and_b64 s[44:45], s[40:41], exec
	s_or_b64 s[44:45], s[4:5], s[44:45]
	s_andn2_b64 s[4:5], s[34:35], exec
	s_and_b64 s[34:35], s[2:3], exec
	s_or_b64 s[34:35], s[4:5], s[34:35]
	s_andn2_b64 exec, exec, s[36:37]
	s_cbranch_execz .LBB385_463
.LBB385_468:                            ;   Parent Loop BB385_465 Depth=1
                                        ; =>  This Inner Loop Header: Depth=2
	global_load_dword v22, v[8:9], off
	global_load_dword v23, v[10:11], off
	s_andn2_b64 s[46:47], s[2:3], exec
	s_andn2_b64 s[40:41], s[40:41], exec
	s_or_b64 s[38:39], s[38:39], exec
	s_waitcnt vmcnt(0)
	v_cmp_le_i32_e64 s[2:3], v22, v23
	v_cmp_lt_i32_e32 vcc, v22, v23
	s_and_b64 s[2:3], s[2:3], s[44:45]
	s_or_b64 s[48:49], vcc, s[2:3]
	s_and_b64 s[2:3], s[48:49], exec
	v_cmp_eq_u32_e64 s[4:5], v22, v23
	s_or_b64 s[2:3], s[46:47], s[2:3]
	s_and_saveexec_b64 s[46:47], s[4:5]
	s_cbranch_execz .LBB385_467
; %bb.469:                              ;   in Loop: Header=BB385_468 Depth=2
	s_add_u32 s42, s42, -1
	s_addc_u32 s43, s43, -1
	v_add_co_u32_e32 v8, vcc, 4, v8
	s_cmp_eq_u64 s[42:43], 0
	v_addc_co_u32_e32 v9, vcc, 0, v9, vcc
	s_cselect_b64 s[4:5], -1, 0
	v_add_co_u32_e32 v10, vcc, 4, v10
	s_andn2_b64 s[40:41], s[40:41], exec
	s_and_b64 s[44:45], s[48:49], exec
	s_andn2_b64 s[38:39], s[38:39], exec
	s_and_b64 s[4:5], s[4:5], exec
	v_addc_co_u32_e32 v11, vcc, 0, v11, vcc
	s_andn2_b64 s[2:3], s[2:3], exec
	s_or_b64 s[40:41], s[40:41], s[44:45]
	s_or_b64 s[38:39], s[38:39], s[4:5]
                                        ; implicit-def: $sgpr44_sgpr45
	s_branch .LBB385_467
.LBB385_470:
	s_or_b64 exec, exec, s[28:29]
.LBB385_471:
	s_or_b64 exec, exec, s[26:27]
	v_sub_u32_e32 v8, v17, v18
	v_add_u32_e32 v16, v18, v16
	v_add_u32_e32 v17, v8, v14
	s_movk_i32 s0, 0x401
	v_cmp_le_u32_e32 vcc, v16, v14
	v_cmp_gt_u32_e64 s[0:1], s0, v17
	s_or_b64 s[0:1], vcc, s[0:1]
	s_and_saveexec_b64 s[4:5], s[0:1]
	s_cbranch_execz .LBB385_518
; %bb.472:
	v_cmp_ge_u32_e32 vcc, v16, v14
	v_cmp_lt_u32_e64 s[0:1], v16, v14
                                        ; implicit-def: $vgpr0_vgpr1
	s_and_saveexec_b64 s[2:3], s[0:1]
	s_cbranch_execz .LBB385_474
; %bb.473:
	v_lshl_add_u32 v0, v18, 3, v15
	ds_read_b64 v[0:1], v0
.LBB385_474:
	s_or_b64 exec, exec, s[2:3]
	s_movk_i32 s0, 0x3ff
	v_cmp_lt_u32_e64 s[26:27], s0, v17
	s_movk_i32 s0, 0x400
	v_cmp_gt_u32_e64 s[0:1], s0, v17
                                        ; implicit-def: $vgpr4_vgpr5
	s_and_saveexec_b64 s[2:3], s[0:1]
	s_cbranch_execz .LBB385_476
; %bb.475:
	v_lshlrev_b32_e32 v2, 3, v17
	ds_read_b64 v[4:5], v2
.LBB385_476:
	s_or_b64 exec, exec, s[2:3]
	s_or_b64 s[0:1], vcc, s[26:27]
	s_mov_b64 s[28:29], -1
	s_xor_b64 s[0:1], s[0:1], -1
	s_and_saveexec_b64 s[30:31], s[0:1]
	s_cbranch_execz .LBB385_485
; %bb.477:
	s_andn2_b64 vcc, exec, s[24:25]
	s_cbranch_vccnz .LBB385_483
; %bb.478:
	s_waitcnt lgkmcnt(0)
	v_mul_lo_u32 v6, v5, s16
	v_mul_lo_u32 v7, v4, s17
	v_mad_u64_u32 v[2:3], s[0:1], v4, s16, 0
	v_add3_u32 v3, v3, v7, v6
	v_lshlrev_b64 v[2:3], 2, v[2:3]
	v_mov_b32_e32 v6, s19
	v_add_co_u32_e32 v2, vcc, s18, v2
	v_addc_co_u32_e32 v3, vcc, v6, v3, vcc
	v_mul_lo_u32 v8, v1, s16
	v_mul_lo_u32 v9, v0, s17
	v_mad_u64_u32 v[6:7], s[0:1], v0, s16, 0
	v_add3_u32 v7, v7, v9, v8
	v_lshlrev_b64 v[6:7], 2, v[6:7]
	v_mov_b32_e32 v8, s19
	v_add_co_u32_e32 v6, vcc, s18, v6
	v_addc_co_u32_e32 v7, vcc, v8, v7, vcc
	s_mov_b64 s[34:35], 0
	s_mov_b64 s[42:43], s[16:17]
                                        ; implicit-def: $sgpr36_sgpr37
                                        ; implicit-def: $sgpr38_sgpr39
                                        ; implicit-def: $sgpr0_sgpr1
                                        ; implicit-def: $sgpr40_sgpr41
                                        ; implicit-def: $sgpr44_sgpr45
	s_branch .LBB385_480
.LBB385_479:                            ;   in Loop: Header=BB385_480 Depth=1
	s_or_b64 exec, exec, s[46:47]
	s_and_b64 s[2:3], exec, s[38:39]
	s_or_b64 s[34:35], s[2:3], s[34:35]
	s_andn2_b64 s[2:3], s[44:45], exec
	s_and_b64 s[44:45], s[40:41], exec
	s_or_b64 s[44:45], s[2:3], s[44:45]
	s_andn2_b64 s[2:3], s[36:37], exec
	s_and_b64 s[36:37], s[0:1], exec
	s_or_b64 s[36:37], s[2:3], s[36:37]
	s_andn2_b64 exec, exec, s[34:35]
	s_cbranch_execz .LBB385_482
.LBB385_480:                            ; =>This Inner Loop Header: Depth=1
	global_load_dword v8, v[2:3], off
	global_load_dword v9, v[6:7], off
	s_andn2_b64 s[46:47], s[0:1], exec
	s_andn2_b64 s[40:41], s[40:41], exec
	s_or_b64 s[38:39], s[38:39], exec
	s_waitcnt vmcnt(0)
	v_cmp_le_i32_e64 s[0:1], v8, v9
	v_cmp_lt_i32_e32 vcc, v8, v9
	s_and_b64 s[0:1], s[0:1], s[44:45]
	s_or_b64 s[48:49], vcc, s[0:1]
	s_and_b64 s[0:1], s[48:49], exec
	v_cmp_eq_u32_e64 s[2:3], v8, v9
	s_or_b64 s[0:1], s[46:47], s[0:1]
	s_and_saveexec_b64 s[46:47], s[2:3]
	s_cbranch_execz .LBB385_479
; %bb.481:                              ;   in Loop: Header=BB385_480 Depth=1
	s_add_u32 s42, s42, -1
	s_addc_u32 s43, s43, -1
	v_add_co_u32_e32 v2, vcc, 4, v2
	s_cmp_eq_u64 s[42:43], 0
	v_addc_co_u32_e32 v3, vcc, 0, v3, vcc
	s_cselect_b64 s[2:3], -1, 0
	v_add_co_u32_e32 v6, vcc, 4, v6
	s_andn2_b64 s[40:41], s[40:41], exec
	s_and_b64 s[44:45], s[48:49], exec
	s_andn2_b64 s[38:39], s[38:39], exec
	s_and_b64 s[2:3], s[2:3], exec
	v_addc_co_u32_e32 v7, vcc, 0, v7, vcc
	s_or_b64 s[40:41], s[40:41], s[44:45]
	s_andn2_b64 s[0:1], s[0:1], exec
	s_or_b64 s[38:39], s[38:39], s[2:3]
                                        ; implicit-def: $sgpr44_sgpr45
	s_branch .LBB385_479
.LBB385_482:
	s_or_b64 exec, exec, s[34:35]
	s_xor_b64 s[0:1], s[36:37], -1
	s_branch .LBB385_484
.LBB385_483:
	s_mov_b64 s[0:1], -1
.LBB385_484:
	s_andn2_b64 s[2:3], s[26:27], exec
	s_and_b64 s[0:1], s[0:1], exec
	s_or_b64 s[26:27], s[2:3], s[0:1]
.LBB385_485:
	s_or_b64 exec, exec, s[30:31]
	v_cndmask_b32_e64 v2, v17, v16, s[26:27]
	v_add_u32_e32 v8, -1, v14
	v_mov_b32_e32 v18, 0x3ff
	v_add_u32_e32 v6, 1, v2
	v_cndmask_b32_e64 v2, v18, v8, s[26:27]
	v_min_u32_e32 v2, v6, v2
	v_lshlrev_b32_e32 v2, 3, v2
	ds_read_b64 v[2:3], v2
	v_cndmask_b32_e64 v19, v6, v17, s[26:27]
	s_movk_i32 s7, 0x400
	v_cndmask_b32_e64 v22, v16, v6, s[26:27]
	v_cmp_gt_u32_e32 vcc, s7, v19
	s_waitcnt lgkmcnt(0)
	v_cndmask_b32_e64 v9, v3, v5, s[26:27]
	v_cndmask_b32_e64 v10, v2, v4, s[26:27]
	;; [unrolled: 1-line block ×4, first 2 shown]
	s_and_saveexec_b64 s[30:31], vcc
	s_cbranch_execz .LBB385_496
; %bb.486:
	v_cmp_lt_u32_e32 vcc, v22, v14
	s_mov_b64 s[0:1], 0
	s_and_saveexec_b64 s[28:29], vcc
	s_cbranch_execz .LBB385_495
; %bb.487:
	s_andn2_b64 vcc, exec, s[24:25]
	s_cbranch_vccnz .LBB385_493
; %bb.488:
	v_mul_lo_u32 v6, v9, s16
	v_mul_lo_u32 v7, v10, s17
	v_mad_u64_u32 v[2:3], s[0:1], v10, s16, 0
	v_add3_u32 v3, v3, v7, v6
	v_lshlrev_b64 v[2:3], 2, v[2:3]
	v_mov_b32_e32 v6, s19
	v_add_co_u32_e32 v2, vcc, s18, v2
	v_addc_co_u32_e32 v3, vcc, v6, v3, vcc
	v_mul_lo_u32 v16, v11, s16
	v_mul_lo_u32 v17, v15, s17
	v_mad_u64_u32 v[6:7], s[0:1], v15, s16, 0
	v_add3_u32 v7, v7, v17, v16
	v_lshlrev_b64 v[6:7], 2, v[6:7]
	v_mov_b32_e32 v16, s19
	v_add_co_u32_e32 v6, vcc, s18, v6
	v_addc_co_u32_e32 v7, vcc, v16, v7, vcc
	s_mov_b64 s[34:35], 0
	s_mov_b64 s[42:43], s[16:17]
                                        ; implicit-def: $sgpr36_sgpr37
                                        ; implicit-def: $sgpr38_sgpr39
                                        ; implicit-def: $sgpr0_sgpr1
                                        ; implicit-def: $sgpr40_sgpr41
                                        ; implicit-def: $sgpr44_sgpr45
	s_branch .LBB385_490
.LBB385_489:                            ;   in Loop: Header=BB385_490 Depth=1
	s_or_b64 exec, exec, s[46:47]
	s_and_b64 s[2:3], exec, s[38:39]
	s_or_b64 s[34:35], s[2:3], s[34:35]
	s_andn2_b64 s[2:3], s[44:45], exec
	s_and_b64 s[44:45], s[40:41], exec
	s_or_b64 s[44:45], s[2:3], s[44:45]
	s_andn2_b64 s[2:3], s[36:37], exec
	s_and_b64 s[36:37], s[0:1], exec
	s_or_b64 s[36:37], s[2:3], s[36:37]
	s_andn2_b64 exec, exec, s[34:35]
	s_cbranch_execz .LBB385_492
.LBB385_490:                            ; =>This Inner Loop Header: Depth=1
	global_load_dword v16, v[2:3], off
	global_load_dword v17, v[6:7], off
	s_andn2_b64 s[46:47], s[0:1], exec
	s_andn2_b64 s[40:41], s[40:41], exec
	s_or_b64 s[38:39], s[38:39], exec
	s_waitcnt vmcnt(0)
	v_cmp_le_i32_e64 s[0:1], v16, v17
	v_cmp_lt_i32_e32 vcc, v16, v17
	s_and_b64 s[0:1], s[0:1], s[44:45]
	s_or_b64 s[48:49], vcc, s[0:1]
	s_and_b64 s[0:1], s[48:49], exec
	v_cmp_eq_u32_e64 s[2:3], v16, v17
	s_or_b64 s[0:1], s[46:47], s[0:1]
	s_and_saveexec_b64 s[46:47], s[2:3]
	s_cbranch_execz .LBB385_489
; %bb.491:                              ;   in Loop: Header=BB385_490 Depth=1
	s_add_u32 s42, s42, -1
	s_addc_u32 s43, s43, -1
	v_add_co_u32_e32 v2, vcc, 4, v2
	s_cmp_eq_u64 s[42:43], 0
	v_addc_co_u32_e32 v3, vcc, 0, v3, vcc
	s_cselect_b64 s[2:3], -1, 0
	v_add_co_u32_e32 v6, vcc, 4, v6
	s_andn2_b64 s[40:41], s[40:41], exec
	s_and_b64 s[44:45], s[48:49], exec
	s_andn2_b64 s[38:39], s[38:39], exec
	s_and_b64 s[2:3], s[2:3], exec
	v_addc_co_u32_e32 v7, vcc, 0, v7, vcc
	s_or_b64 s[40:41], s[40:41], s[44:45]
	s_andn2_b64 s[0:1], s[0:1], exec
	s_or_b64 s[38:39], s[38:39], s[2:3]
                                        ; implicit-def: $sgpr44_sgpr45
	s_branch .LBB385_489
.LBB385_492:
	s_or_b64 exec, exec, s[34:35]
	s_xor_b64 s[0:1], s[36:37], -1
	s_branch .LBB385_494
.LBB385_493:
	s_mov_b64 s[0:1], -1
.LBB385_494:
	s_and_b64 s[0:1], s[0:1], exec
.LBB385_495:
	s_or_b64 exec, exec, s[28:29]
	s_orn2_b64 s[28:29], s[0:1], exec
.LBB385_496:
	s_or_b64 exec, exec, s[30:31]
	v_cndmask_b32_e64 v2, v19, v22, s[28:29]
	v_add_u32_e32 v6, 1, v2
	v_cndmask_b32_e64 v2, v18, v8, s[28:29]
	v_min_u32_e32 v2, v6, v2
	v_lshlrev_b32_e32 v2, 3, v2
	ds_read_b64 v[2:3], v2
	v_cndmask_b32_e64 v19, v6, v19, s[28:29]
	v_cndmask_b32_e64 v18, v22, v6, s[28:29]
	v_cmp_gt_u32_e32 vcc, s7, v19
	s_mov_b64 s[0:1], -1
	s_waitcnt lgkmcnt(0)
	v_cndmask_b32_e64 v16, v3, v9, s[28:29]
	v_cndmask_b32_e64 v17, v2, v10, s[28:29]
	;; [unrolled: 1-line block ×4, first 2 shown]
	s_and_saveexec_b64 s[30:31], vcc
	s_cbranch_execz .LBB385_507
; %bb.497:
	v_cmp_lt_u32_e32 vcc, v18, v14
	s_mov_b64 s[0:1], 0
	s_and_saveexec_b64 s[34:35], vcc
	s_cbranch_execz .LBB385_506
; %bb.498:
	s_andn2_b64 vcc, exec, s[24:25]
	s_cbranch_vccnz .LBB385_504
; %bb.499:
	v_mul_lo_u32 v6, v16, s16
	v_mul_lo_u32 v7, v17, s17
	v_mad_u64_u32 v[2:3], s[0:1], v17, s16, 0
	v_add3_u32 v3, v3, v7, v6
	v_lshlrev_b64 v[2:3], 2, v[2:3]
	v_mov_b32_e32 v6, s19
	v_add_co_u32_e32 v2, vcc, s18, v2
	v_addc_co_u32_e32 v3, vcc, v6, v3, vcc
	v_mul_lo_u32 v22, v20, s16
	v_mul_lo_u32 v23, v21, s17
	v_mad_u64_u32 v[6:7], s[0:1], v21, s16, 0
	v_add3_u32 v7, v7, v23, v22
	v_lshlrev_b64 v[6:7], 2, v[6:7]
	v_mov_b32_e32 v22, s19
	v_add_co_u32_e32 v6, vcc, s18, v6
	v_addc_co_u32_e32 v7, vcc, v22, v7, vcc
	s_mov_b64 s[36:37], 0
	s_mov_b64 s[44:45], s[16:17]
                                        ; implicit-def: $sgpr38_sgpr39
                                        ; implicit-def: $sgpr40_sgpr41
                                        ; implicit-def: $sgpr0_sgpr1
                                        ; implicit-def: $sgpr42_sgpr43
                                        ; implicit-def: $sgpr46_sgpr47
	s_branch .LBB385_501
.LBB385_500:                            ;   in Loop: Header=BB385_501 Depth=1
	s_or_b64 exec, exec, s[48:49]
	s_and_b64 s[2:3], exec, s[40:41]
	s_or_b64 s[36:37], s[2:3], s[36:37]
	s_andn2_b64 s[2:3], s[46:47], exec
	s_and_b64 s[46:47], s[42:43], exec
	s_or_b64 s[46:47], s[2:3], s[46:47]
	s_andn2_b64 s[2:3], s[38:39], exec
	s_and_b64 s[38:39], s[0:1], exec
	s_or_b64 s[38:39], s[2:3], s[38:39]
	s_andn2_b64 exec, exec, s[36:37]
	s_cbranch_execz .LBB385_503
.LBB385_501:                            ; =>This Inner Loop Header: Depth=1
	global_load_dword v22, v[2:3], off
	global_load_dword v23, v[6:7], off
	s_andn2_b64 s[48:49], s[0:1], exec
	s_andn2_b64 s[42:43], s[42:43], exec
	s_or_b64 s[40:41], s[40:41], exec
	s_waitcnt vmcnt(0)
	v_cmp_le_i32_e64 s[0:1], v22, v23
	v_cmp_lt_i32_e32 vcc, v22, v23
	s_and_b64 s[0:1], s[0:1], s[46:47]
	s_or_b64 s[50:51], vcc, s[0:1]
	s_and_b64 s[0:1], s[50:51], exec
	v_cmp_eq_u32_e64 s[2:3], v22, v23
	s_or_b64 s[0:1], s[48:49], s[0:1]
	s_and_saveexec_b64 s[48:49], s[2:3]
	s_cbranch_execz .LBB385_500
; %bb.502:                              ;   in Loop: Header=BB385_501 Depth=1
	s_add_u32 s44, s44, -1
	s_addc_u32 s45, s45, -1
	v_add_co_u32_e32 v2, vcc, 4, v2
	s_cmp_eq_u64 s[44:45], 0
	v_addc_co_u32_e32 v3, vcc, 0, v3, vcc
	s_cselect_b64 s[2:3], -1, 0
	v_add_co_u32_e32 v6, vcc, 4, v6
	s_andn2_b64 s[42:43], s[42:43], exec
	s_and_b64 s[46:47], s[50:51], exec
	s_andn2_b64 s[40:41], s[40:41], exec
	s_and_b64 s[2:3], s[2:3], exec
	v_addc_co_u32_e32 v7, vcc, 0, v7, vcc
	s_or_b64 s[42:43], s[42:43], s[46:47]
	s_andn2_b64 s[0:1], s[0:1], exec
	s_or_b64 s[40:41], s[40:41], s[2:3]
                                        ; implicit-def: $sgpr46_sgpr47
	s_branch .LBB385_500
.LBB385_503:
	s_or_b64 exec, exec, s[36:37]
	s_xor_b64 s[0:1], s[38:39], -1
	s_branch .LBB385_505
.LBB385_504:
	s_mov_b64 s[0:1], -1
.LBB385_505:
	s_and_b64 s[0:1], s[0:1], exec
.LBB385_506:
	s_or_b64 exec, exec, s[34:35]
	s_orn2_b64 s[0:1], s[0:1], exec
.LBB385_507:
	s_or_b64 exec, exec, s[30:31]
	v_cndmask_b32_e64 v6, v19, v18, s[0:1]
	v_cndmask_b32_e64 v2, v10, v15, s[28:29]
	v_add_u32_e32 v10, 1, v6
	v_mov_b32_e32 v6, 0x3ff
	v_cndmask_b32_e64 v6, v6, v8, s[0:1]
	v_min_u32_e32 v6, v10, v6
	v_lshlrev_b32_e32 v6, 3, v6
	v_cndmask_b32_e64 v3, v9, v11, s[28:29]
	ds_read_b64 v[8:9], v6
	v_cndmask_b32_e64 v11, v10, v19, s[0:1]
	s_movk_i32 s2, 0x400
	v_cndmask_b32_e64 v1, v5, v1, s[26:27]
	v_cndmask_b32_e64 v0, v4, v0, s[26:27]
	;; [unrolled: 1-line block ×4, first 2 shown]
	s_waitcnt lgkmcnt(0)
	v_cndmask_b32_e64 v7, v20, v9, s[0:1]
	v_cndmask_b32_e64 v6, v21, v8, s[0:1]
	v_cmp_gt_u32_e32 vcc, s2, v11
	s_and_saveexec_b64 s[26:27], vcc
	s_cbranch_execz .LBB385_517
; %bb.508:
	v_cndmask_b32_e64 v10, v18, v10, s[0:1]
	v_cndmask_b32_e64 v9, v9, v16, s[0:1]
	;; [unrolled: 1-line block ×3, first 2 shown]
	v_cmp_lt_u32_e32 vcc, v10, v14
	s_and_saveexec_b64 s[28:29], vcc
	s_cbranch_execz .LBB385_516
; %bb.509:
	s_andn2_b64 vcc, exec, s[24:25]
	s_cbranch_vccnz .LBB385_515
; %bb.510:
	v_mul_lo_u32 v14, v9, s16
	v_mul_lo_u32 v15, v8, s17
	v_mad_u64_u32 v[10:11], s[0:1], v8, s16, 0
	v_add3_u32 v11, v11, v15, v14
	v_lshlrev_b64 v[10:11], 2, v[10:11]
	v_mov_b32_e32 v14, s19
	v_add_co_u32_e32 v10, vcc, s18, v10
	v_addc_co_u32_e32 v11, vcc, v14, v11, vcc
	v_mul_lo_u32 v16, v7, s16
	v_mul_lo_u32 v17, v6, s17
	v_mad_u64_u32 v[14:15], s[0:1], v6, s16, 0
	v_add3_u32 v15, v15, v17, v16
	v_lshlrev_b64 v[14:15], 2, v[14:15]
	v_mov_b32_e32 v16, s19
	v_add_co_u32_e32 v14, vcc, s18, v14
	v_addc_co_u32_e32 v15, vcc, v16, v15, vcc
	s_mov_b64 s[24:25], 0
	s_mov_b64 s[38:39], s[16:17]
                                        ; implicit-def: $sgpr30_sgpr31
                                        ; implicit-def: $sgpr34_sgpr35
                                        ; implicit-def: $sgpr0_sgpr1
                                        ; implicit-def: $sgpr36_sgpr37
                                        ; implicit-def: $sgpr40_sgpr41
	s_branch .LBB385_512
.LBB385_511:                            ;   in Loop: Header=BB385_512 Depth=1
	s_or_b64 exec, exec, s[42:43]
	s_and_b64 s[2:3], exec, s[34:35]
	s_or_b64 s[24:25], s[2:3], s[24:25]
	s_andn2_b64 s[2:3], s[40:41], exec
	s_and_b64 s[40:41], s[36:37], exec
	s_or_b64 s[40:41], s[2:3], s[40:41]
	s_andn2_b64 s[2:3], s[30:31], exec
	s_and_b64 s[30:31], s[0:1], exec
	s_or_b64 s[30:31], s[2:3], s[30:31]
	s_andn2_b64 exec, exec, s[24:25]
	s_cbranch_execz .LBB385_514
.LBB385_512:                            ; =>This Inner Loop Header: Depth=1
	global_load_dword v16, v[10:11], off
	global_load_dword v17, v[14:15], off
	s_andn2_b64 s[42:43], s[0:1], exec
	s_andn2_b64 s[36:37], s[36:37], exec
	s_or_b64 s[34:35], s[34:35], exec
	s_waitcnt vmcnt(0)
	v_cmp_le_i32_e64 s[0:1], v16, v17
	v_cmp_lt_i32_e32 vcc, v16, v17
	s_and_b64 s[0:1], s[0:1], s[40:41]
	s_or_b64 s[44:45], vcc, s[0:1]
	s_and_b64 s[0:1], s[44:45], exec
	v_cmp_eq_u32_e64 s[2:3], v16, v17
	s_or_b64 s[0:1], s[42:43], s[0:1]
	s_and_saveexec_b64 s[42:43], s[2:3]
	s_cbranch_execz .LBB385_511
; %bb.513:                              ;   in Loop: Header=BB385_512 Depth=1
	s_add_u32 s38, s38, -1
	s_addc_u32 s39, s39, -1
	v_add_co_u32_e32 v10, vcc, 4, v10
	s_cmp_eq_u64 s[38:39], 0
	v_addc_co_u32_e32 v11, vcc, 0, v11, vcc
	s_cselect_b64 s[2:3], -1, 0
	v_add_co_u32_e32 v14, vcc, 4, v14
	s_andn2_b64 s[36:37], s[36:37], exec
	s_and_b64 s[40:41], s[44:45], exec
	s_andn2_b64 s[34:35], s[34:35], exec
	s_and_b64 s[2:3], s[2:3], exec
	v_addc_co_u32_e32 v15, vcc, 0, v15, vcc
	s_or_b64 s[36:37], s[36:37], s[40:41]
	s_andn2_b64 s[0:1], s[0:1], exec
	s_or_b64 s[34:35], s[34:35], s[2:3]
                                        ; implicit-def: $sgpr40_sgpr41
	s_branch .LBB385_511
.LBB385_514:
	s_or_b64 exec, exec, s[24:25]
	v_cndmask_b32_e64 v7, v7, v9, s[30:31]
	v_cndmask_b32_e64 v6, v6, v8, s[30:31]
.LBB385_515:
	v_pk_mov_b32 v[8:9], v[6:7], v[6:7] op_sel:[0,1]
.LBB385_516:
	s_or_b64 exec, exec, s[28:29]
	v_pk_mov_b32 v[6:7], v[8:9], v[8:9] op_sel:[0,1]
.LBB385_517:
	s_or_b64 exec, exec, s[26:27]
.LBB385_518:
	s_or_b64 exec, exec, s[4:5]
	s_barrier
	s_barrier
	ds_write2_b64 v33, v[0:1], v[2:3] offset1:1
	ds_write2_b64 v33, v[4:5], v[6:7] offset0:2 offset1:3
	s_waitcnt lgkmcnt(0)
	s_barrier
	ds_read_b64 v[2:3], v32
	ds_read_b64 v[4:5], v34 offset:2048
	ds_read_b64 v[6:7], v35 offset:4096
	;; [unrolled: 1-line block ×3, first 2 shown]
	v_mov_b32_e32 v8, s21
	v_add_co_u32_e32 v9, vcc, s20, v26
	v_addc_co_u32_e32 v8, vcc, 0, v8, vcc
	s_waitcnt lgkmcnt(3)
	global_store_dwordx2 v26, v[2:3], s[20:21]
	s_waitcnt lgkmcnt(2)
	global_store_dwordx2 v26, v[4:5], s[20:21] offset:2048
	v_add_co_u32_e32 v2, vcc, 0x1000, v9
	v_addc_co_u32_e32 v3, vcc, 0, v8, vcc
	s_waitcnt lgkmcnt(1)
	global_store_dwordx2 v[2:3], v[6:7], off
	s_mov_b64 s[24:25], -1
	s_branch .LBB385_874
.LBB385_519:
	s_lshl_b64 s[0:1], s[14:15], 10
	s_sub_i32 s33, s22, s0
	v_cmp_gt_u32_e64 s[0:1], s33, v12
                                        ; implicit-def: $vgpr0_vgpr1_vgpr2_vgpr3_vgpr4_vgpr5_vgpr6_vgpr7
	s_and_saveexec_b64 s[2:3], s[0:1]
	s_cbranch_execz .LBB385_521
; %bb.520:
	s_waitcnt lgkmcnt(0)
	global_load_dwordx2 v[0:1], v26, s[8:9]
.LBB385_521:
	s_or_b64 exec, exec, s[2:3]
	v_add_u32_e32 v8, 0x100, v12
	v_cmp_gt_u32_e64 s[2:3], s33, v8
	s_and_saveexec_b64 s[4:5], s[2:3]
	s_cbranch_execz .LBB385_523
; %bb.522:
	global_load_dwordx2 v[2:3], v26, s[8:9] offset:2048
.LBB385_523:
	s_or_b64 exec, exec, s[4:5]
	v_add_u32_e32 v9, 0x200, v12
	v_cmp_gt_u32_e64 s[4:5], s33, v9
	s_and_saveexec_b64 s[14:15], s[4:5]
	s_cbranch_execz .LBB385_525
; %bb.524:
	v_lshlrev_b32_e32 v4, 3, v9
	global_load_dwordx2 v[4:5], v4, s[8:9]
.LBB385_525:
	s_or_b64 exec, exec, s[14:15]
	v_add_u32_e32 v10, 0x300, v12
	v_cmp_gt_u32_e64 s[24:25], s33, v10
	s_and_saveexec_b64 s[14:15], s[24:25]
	s_cbranch_execz .LBB385_527
; %bb.526:
	v_lshlrev_b32_e32 v6, 3, v10
	global_load_dwordx2 v[6:7], v6, s[8:9]
.LBB385_527:
	s_or_b64 exec, exec, s[14:15]
	v_and_b32_e32 v11, 0xf8, v31
	v_add_u32_e32 v14, v11, v26
	s_waitcnt vmcnt(0) lgkmcnt(0)
	ds_write_b64 v14, v[0:1]
	v_lshrrev_b32_e32 v0, 2, v8
	v_and_b32_e32 v0, 0x1f8, v0
	v_add_u32_e32 v13, v0, v26
	v_lshrrev_b32_e32 v0, 2, v9
	v_and_b32_e32 v0, 0x1f8, v0
	v_add_u32_e32 v15, v0, v26
	;; [unrolled: 3-line block ×3, first 2 shown]
	v_add_lshl_u32 v17, v30, v27, 3
	ds_write_b64 v13, v[2:3] offset:2048
	ds_write_b64 v15, v[4:5] offset:4096
	;; [unrolled: 1-line block ×3, first 2 shown]
	s_waitcnt lgkmcnt(0)
	s_barrier
	ds_read2_b64 v[0:3], v17 offset1:1
	ds_read2_b64 v[4:7], v17 offset0:2 offset1:3
	s_waitcnt lgkmcnt(0)
	s_barrier
	s_load_dword s7, s[10:11], 0xc
	v_mov_b32_e32 v8, 0
	v_cmp_gt_i64_e64 s[22:23], s[16:17], 0
	s_waitcnt lgkmcnt(0)
	s_lshr_b32 s8, s7, 16
	s_cmp_lt_u32 s6, s12
	s_cselect_b32 s6, 12, 18
	s_add_u32 s6, s10, s6
	s_addc_u32 s7, s11, 0
	global_load_ushort v8, v8, s[6:7]
	v_mad_u32_u24 v9, v29, s8, v28
	s_waitcnt vmcnt(0)
	v_mul_lo_u32 v8, v9, v8
	v_add_lshl_u32 v18, v8, v12, 2
	v_sub_u32_e64 v19, s33, v18 clamp
	v_cmp_lt_u32_e64 s[6:7], 1, v19
	s_and_saveexec_b64 s[12:13], s[6:7]
	s_cbranch_execz .LBB385_536
; %bb.528:
	s_andn2_b64 vcc, exec, s[22:23]
	s_cbranch_vccnz .LBB385_536
; %bb.529:
	v_mul_lo_u32 v10, v3, s16
	v_mul_lo_u32 v11, v2, s17
	v_mad_u64_u32 v[8:9], s[8:9], v2, s16, 0
	v_add3_u32 v9, v9, v11, v10
	v_lshlrev_b64 v[8:9], 2, v[8:9]
	v_mov_b32_e32 v10, s19
	v_add_co_u32_e32 v8, vcc, s18, v8
	v_addc_co_u32_e32 v9, vcc, v10, v9, vcc
	v_mul_lo_u32 v20, v1, s16
	v_mul_lo_u32 v21, v0, s17
	v_mad_u64_u32 v[10:11], s[8:9], v0, s16, 0
	v_add3_u32 v11, v11, v21, v20
	v_lshlrev_b64 v[10:11], 2, v[10:11]
	v_mov_b32_e32 v20, s19
	v_add_co_u32_e32 v10, vcc, s18, v10
	v_addc_co_u32_e32 v11, vcc, v20, v11, vcc
	s_mov_b64 s[26:27], 0
	s_mov_b64 s[38:39], s[16:17]
                                        ; implicit-def: $sgpr14_sgpr15
                                        ; implicit-def: $sgpr28_sgpr29
                                        ; implicit-def: $sgpr34_sgpr35
                                        ; implicit-def: $sgpr30_sgpr31
                                        ; implicit-def: $sgpr36_sgpr37
                                        ; implicit-def: $sgpr40_sgpr41
	s_branch .LBB385_531
.LBB385_530:                            ;   in Loop: Header=BB385_531 Depth=1
	s_or_b64 exec, exec, s[42:43]
	s_and_b64 s[10:11], exec, s[34:35]
	s_or_b64 s[26:27], s[10:11], s[26:27]
	s_andn2_b64 s[10:11], s[40:41], exec
	s_and_b64 s[40:41], s[36:37], exec
	s_or_b64 s[40:41], s[10:11], s[40:41]
	s_andn2_b64 s[10:11], s[28:29], exec
	s_and_b64 s[28:29], s[30:31], exec
	;; [unrolled: 3-line block ×3, first 2 shown]
	s_or_b64 s[14:15], s[10:11], s[8:9]
	s_andn2_b64 exec, exec, s[26:27]
	s_cbranch_execz .LBB385_533
.LBB385_531:                            ; =>This Inner Loop Header: Depth=1
	global_load_dword v20, v[8:9], off
	global_load_dword v21, v[10:11], off
	s_andn2_b64 s[36:37], s[36:37], exec
	s_or_b64 s[30:31], s[30:31], exec
	s_or_b64 s[34:35], s[34:35], exec
	s_waitcnt vmcnt(0)
	v_cmp_le_i32_e64 s[8:9], v20, v21
	v_cmp_lt_i32_e32 vcc, v20, v21
	s_and_b64 s[8:9], s[8:9], s[40:41]
	v_cmp_eq_u32_e64 s[10:11], v20, v21
	s_or_b64 s[8:9], vcc, s[8:9]
	s_and_saveexec_b64 s[42:43], s[10:11]
	s_cbranch_execz .LBB385_530
; %bb.532:                              ;   in Loop: Header=BB385_531 Depth=1
	s_add_u32 s38, s38, -1
	s_addc_u32 s39, s39, -1
	v_add_co_u32_e32 v8, vcc, 4, v8
	s_cmp_eq_u64 s[38:39], 0
	v_addc_co_u32_e32 v9, vcc, 0, v9, vcc
	s_cselect_b64 s[10:11], -1, 0
	v_add_co_u32_e32 v10, vcc, 4, v10
	s_andn2_b64 s[36:37], s[36:37], exec
	s_and_b64 s[40:41], s[8:9], exec
	s_andn2_b64 s[34:35], s[34:35], exec
	s_and_b64 s[10:11], s[10:11], exec
	v_addc_co_u32_e32 v11, vcc, 0, v11, vcc
	s_or_b64 s[36:37], s[36:37], s[40:41]
	s_andn2_b64 s[30:31], s[30:31], exec
	s_or_b64 s[34:35], s[34:35], s[10:11]
                                        ; implicit-def: $sgpr40_sgpr41
	s_branch .LBB385_530
.LBB385_533:
	s_or_b64 exec, exec, s[26:27]
	s_and_saveexec_b64 s[8:9], s[28:29]
	s_xor_b64 s[8:9], exec, s[8:9]
	s_cbranch_execz .LBB385_535
; %bb.534:
	v_cndmask_b32_e64 v29, v1, v3, s[14:15]
	v_cndmask_b32_e64 v28, v0, v2, s[14:15]
	;; [unrolled: 1-line block ×4, first 2 shown]
	v_mov_b32_e32 v32, v4
	v_mov_b32_e32 v33, v5
	v_mov_b32_e32 v34, v6
	v_mov_b32_e32 v35, v7
	v_pk_mov_b32 v[0:1], v[28:29], v[28:29] op_sel:[0,1]
	v_pk_mov_b32 v[2:3], v[30:31], v[30:31] op_sel:[0,1]
	v_pk_mov_b32 v[4:5], v[32:33], v[32:33] op_sel:[0,1]
	v_pk_mov_b32 v[6:7], v[34:35], v[34:35] op_sel:[0,1]
.LBB385_535:
	s_or_b64 exec, exec, s[8:9]
.LBB385_536:
	s_or_b64 exec, exec, s[12:13]
	v_cmp_lt_u32_e64 s[8:9], 3, v19
	s_and_saveexec_b64 s[14:15], s[8:9]
	s_cbranch_execz .LBB385_545
; %bb.537:
	s_andn2_b64 vcc, exec, s[22:23]
	s_cbranch_vccnz .LBB385_545
; %bb.538:
	v_mul_lo_u32 v10, v7, s16
	v_mul_lo_u32 v11, v6, s17
	v_mad_u64_u32 v[8:9], s[10:11], v6, s16, 0
	v_add3_u32 v9, v9, v11, v10
	v_lshlrev_b64 v[8:9], 2, v[8:9]
	v_mov_b32_e32 v10, s19
	v_add_co_u32_e32 v8, vcc, s18, v8
	v_addc_co_u32_e32 v9, vcc, v10, v9, vcc
	v_mul_lo_u32 v20, v5, s16
	v_mul_lo_u32 v21, v4, s17
	v_mad_u64_u32 v[10:11], s[10:11], v4, s16, 0
	v_add3_u32 v11, v11, v21, v20
	v_lshlrev_b64 v[10:11], 2, v[10:11]
	v_mov_b32_e32 v20, s19
	v_add_co_u32_e32 v10, vcc, s18, v10
	v_addc_co_u32_e32 v11, vcc, v20, v11, vcc
	s_mov_b64 s[28:29], 0
	s_mov_b64 s[40:41], s[16:17]
                                        ; implicit-def: $sgpr26_sgpr27
                                        ; implicit-def: $sgpr30_sgpr31
                                        ; implicit-def: $sgpr36_sgpr37
                                        ; implicit-def: $sgpr34_sgpr35
                                        ; implicit-def: $sgpr38_sgpr39
                                        ; implicit-def: $sgpr42_sgpr43
	s_branch .LBB385_540
.LBB385_539:                            ;   in Loop: Header=BB385_540 Depth=1
	s_or_b64 exec, exec, s[44:45]
	s_and_b64 s[12:13], exec, s[36:37]
	s_or_b64 s[28:29], s[12:13], s[28:29]
	s_andn2_b64 s[12:13], s[42:43], exec
	s_and_b64 s[42:43], s[38:39], exec
	s_or_b64 s[42:43], s[12:13], s[42:43]
	s_andn2_b64 s[12:13], s[30:31], exec
	s_and_b64 s[30:31], s[34:35], exec
	;; [unrolled: 3-line block ×3, first 2 shown]
	s_or_b64 s[26:27], s[12:13], s[10:11]
	s_andn2_b64 exec, exec, s[28:29]
	s_cbranch_execz .LBB385_542
.LBB385_540:                            ; =>This Inner Loop Header: Depth=1
	global_load_dword v20, v[8:9], off
	global_load_dword v21, v[10:11], off
	s_andn2_b64 s[38:39], s[38:39], exec
	s_or_b64 s[34:35], s[34:35], exec
	s_or_b64 s[36:37], s[36:37], exec
	s_waitcnt vmcnt(0)
	v_cmp_le_i32_e64 s[10:11], v20, v21
	v_cmp_lt_i32_e32 vcc, v20, v21
	s_and_b64 s[10:11], s[10:11], s[42:43]
	v_cmp_eq_u32_e64 s[12:13], v20, v21
	s_or_b64 s[10:11], vcc, s[10:11]
	s_and_saveexec_b64 s[44:45], s[12:13]
	s_cbranch_execz .LBB385_539
; %bb.541:                              ;   in Loop: Header=BB385_540 Depth=1
	s_add_u32 s40, s40, -1
	s_addc_u32 s41, s41, -1
	v_add_co_u32_e32 v8, vcc, 4, v8
	s_cmp_eq_u64 s[40:41], 0
	v_addc_co_u32_e32 v9, vcc, 0, v9, vcc
	s_cselect_b64 s[12:13], -1, 0
	v_add_co_u32_e32 v10, vcc, 4, v10
	s_andn2_b64 s[38:39], s[38:39], exec
	s_and_b64 s[42:43], s[10:11], exec
	s_andn2_b64 s[36:37], s[36:37], exec
	s_and_b64 s[12:13], s[12:13], exec
	v_addc_co_u32_e32 v11, vcc, 0, v11, vcc
	s_or_b64 s[38:39], s[38:39], s[42:43]
	s_andn2_b64 s[34:35], s[34:35], exec
	s_or_b64 s[36:37], s[36:37], s[12:13]
                                        ; implicit-def: $sgpr42_sgpr43
	s_branch .LBB385_539
.LBB385_542:
	s_or_b64 exec, exec, s[28:29]
	s_and_saveexec_b64 s[10:11], s[30:31]
	s_xor_b64 s[10:11], exec, s[10:11]
; %bb.543:
	v_cndmask_b32_e64 v8, v7, v5, s[26:27]
	v_cndmask_b32_e64 v9, v6, v4, s[26:27]
	v_cndmask_b32_e64 v5, v5, v7, s[26:27]
	v_cndmask_b32_e64 v4, v4, v6, s[26:27]
	v_mov_b32_e32 v6, v9
	v_mov_b32_e32 v7, v8
; %bb.544:
	s_or_b64 exec, exec, s[10:11]
.LBB385_545:
	s_or_b64 exec, exec, s[14:15]
	v_cmp_lt_u32_e64 s[10:11], 2, v19
	s_and_saveexec_b64 s[12:13], s[10:11]
	s_xor_b64 s[26:27], exec, s[12:13]
	s_cbranch_execz .LBB385_554
; %bb.546:
	s_andn2_b64 vcc, exec, s[22:23]
	s_cbranch_vccnz .LBB385_554
; %bb.547:
	v_mul_lo_u32 v10, v5, s16
	v_mul_lo_u32 v11, v4, s17
	v_mad_u64_u32 v[8:9], s[12:13], v4, s16, 0
	v_add3_u32 v9, v9, v11, v10
	v_lshlrev_b64 v[8:9], 2, v[8:9]
	v_mov_b32_e32 v10, s19
	v_add_co_u32_e32 v8, vcc, s18, v8
	v_addc_co_u32_e32 v9, vcc, v10, v9, vcc
	v_mul_lo_u32 v19, v3, s16
	v_mul_lo_u32 v20, v2, s17
	v_mad_u64_u32 v[10:11], s[12:13], v2, s16, 0
	v_add3_u32 v11, v11, v20, v19
	v_lshlrev_b64 v[10:11], 2, v[10:11]
	v_mov_b32_e32 v19, s19
	v_add_co_u32_e32 v10, vcc, s18, v10
	v_addc_co_u32_e32 v11, vcc, v19, v11, vcc
	s_mov_b64 s[30:31], 0
	s_mov_b64 s[42:43], s[16:17]
                                        ; implicit-def: $sgpr28_sgpr29
                                        ; implicit-def: $sgpr34_sgpr35
                                        ; implicit-def: $sgpr38_sgpr39
                                        ; implicit-def: $sgpr36_sgpr37
                                        ; implicit-def: $sgpr40_sgpr41
                                        ; implicit-def: $sgpr44_sgpr45
	s_branch .LBB385_549
.LBB385_548:                            ;   in Loop: Header=BB385_549 Depth=1
	s_or_b64 exec, exec, s[46:47]
	s_and_b64 s[14:15], exec, s[38:39]
	s_or_b64 s[30:31], s[14:15], s[30:31]
	s_andn2_b64 s[14:15], s[44:45], exec
	s_and_b64 s[44:45], s[40:41], exec
	s_or_b64 s[44:45], s[14:15], s[44:45]
	s_andn2_b64 s[14:15], s[34:35], exec
	s_and_b64 s[34:35], s[36:37], exec
	;; [unrolled: 3-line block ×3, first 2 shown]
	s_or_b64 s[28:29], s[14:15], s[12:13]
	s_andn2_b64 exec, exec, s[30:31]
	s_cbranch_execz .LBB385_551
.LBB385_549:                            ; =>This Inner Loop Header: Depth=1
	global_load_dword v19, v[8:9], off
	global_load_dword v20, v[10:11], off
	s_andn2_b64 s[40:41], s[40:41], exec
	s_or_b64 s[36:37], s[36:37], exec
	s_or_b64 s[38:39], s[38:39], exec
	s_waitcnt vmcnt(0)
	v_cmp_le_i32_e64 s[12:13], v19, v20
	v_cmp_lt_i32_e32 vcc, v19, v20
	s_and_b64 s[12:13], s[12:13], s[44:45]
	v_cmp_eq_u32_e64 s[14:15], v19, v20
	s_or_b64 s[12:13], vcc, s[12:13]
	s_and_saveexec_b64 s[46:47], s[14:15]
	s_cbranch_execz .LBB385_548
; %bb.550:                              ;   in Loop: Header=BB385_549 Depth=1
	s_add_u32 s42, s42, -1
	s_addc_u32 s43, s43, -1
	v_add_co_u32_e32 v8, vcc, 4, v8
	s_cmp_eq_u64 s[42:43], 0
	v_addc_co_u32_e32 v9, vcc, 0, v9, vcc
	s_cselect_b64 s[14:15], -1, 0
	v_add_co_u32_e32 v10, vcc, 4, v10
	s_andn2_b64 s[40:41], s[40:41], exec
	s_and_b64 s[44:45], s[12:13], exec
	s_andn2_b64 s[38:39], s[38:39], exec
	s_and_b64 s[14:15], s[14:15], exec
	v_addc_co_u32_e32 v11, vcc, 0, v11, vcc
	s_or_b64 s[40:41], s[40:41], s[44:45]
	s_andn2_b64 s[36:37], s[36:37], exec
	s_or_b64 s[38:39], s[38:39], s[14:15]
                                        ; implicit-def: $sgpr44_sgpr45
	s_branch .LBB385_548
.LBB385_551:
	s_or_b64 exec, exec, s[30:31]
	s_and_saveexec_b64 s[12:13], s[34:35]
	s_xor_b64 s[12:13], exec, s[12:13]
; %bb.552:
	v_cndmask_b32_e64 v8, v5, v3, s[28:29]
	v_cndmask_b32_e64 v9, v4, v2, s[28:29]
	;; [unrolled: 1-line block ×4, first 2 shown]
	v_mov_b32_e32 v4, v9
	v_mov_b32_e32 v5, v8
; %bb.553:
	s_or_b64 exec, exec, s[12:13]
.LBB385_554:
	s_or_b64 exec, exec, s[26:27]
	s_and_saveexec_b64 s[14:15], s[6:7]
	s_cbranch_execz .LBB385_563
; %bb.555:
	s_andn2_b64 vcc, exec, s[22:23]
	s_cbranch_vccnz .LBB385_563
; %bb.556:
	v_mul_lo_u32 v10, v3, s16
	v_mul_lo_u32 v11, v2, s17
	v_mad_u64_u32 v[8:9], s[6:7], v2, s16, 0
	v_add3_u32 v9, v9, v11, v10
	v_lshlrev_b64 v[8:9], 2, v[8:9]
	v_mov_b32_e32 v10, s19
	v_add_co_u32_e32 v8, vcc, s18, v8
	v_addc_co_u32_e32 v9, vcc, v10, v9, vcc
	v_mul_lo_u32 v19, v1, s16
	v_mul_lo_u32 v20, v0, s17
	v_mad_u64_u32 v[10:11], s[6:7], v0, s16, 0
	v_add3_u32 v11, v11, v20, v19
	v_lshlrev_b64 v[10:11], 2, v[10:11]
	v_mov_b32_e32 v19, s19
	v_add_co_u32_e32 v10, vcc, s18, v10
	v_addc_co_u32_e32 v11, vcc, v19, v11, vcc
	s_mov_b64 s[28:29], 0
	s_mov_b64 s[40:41], s[16:17]
                                        ; implicit-def: $sgpr26_sgpr27
                                        ; implicit-def: $sgpr30_sgpr31
                                        ; implicit-def: $sgpr36_sgpr37
                                        ; implicit-def: $sgpr34_sgpr35
                                        ; implicit-def: $sgpr38_sgpr39
                                        ; implicit-def: $sgpr42_sgpr43
	s_branch .LBB385_558
.LBB385_557:                            ;   in Loop: Header=BB385_558 Depth=1
	s_or_b64 exec, exec, s[44:45]
	s_and_b64 s[12:13], exec, s[36:37]
	s_or_b64 s[28:29], s[12:13], s[28:29]
	s_andn2_b64 s[12:13], s[42:43], exec
	s_and_b64 s[42:43], s[38:39], exec
	s_or_b64 s[42:43], s[12:13], s[42:43]
	s_andn2_b64 s[12:13], s[30:31], exec
	s_and_b64 s[30:31], s[34:35], exec
	;; [unrolled: 3-line block ×3, first 2 shown]
	s_or_b64 s[26:27], s[12:13], s[6:7]
	s_andn2_b64 exec, exec, s[28:29]
	s_cbranch_execz .LBB385_560
.LBB385_558:                            ; =>This Inner Loop Header: Depth=1
	global_load_dword v19, v[8:9], off
	global_load_dword v20, v[10:11], off
	s_andn2_b64 s[38:39], s[38:39], exec
	s_or_b64 s[34:35], s[34:35], exec
	s_or_b64 s[36:37], s[36:37], exec
	s_waitcnt vmcnt(0)
	v_cmp_le_i32_e64 s[6:7], v19, v20
	v_cmp_lt_i32_e32 vcc, v19, v20
	s_and_b64 s[6:7], s[6:7], s[42:43]
	v_cmp_eq_u32_e64 s[12:13], v19, v20
	s_or_b64 s[6:7], vcc, s[6:7]
	s_and_saveexec_b64 s[44:45], s[12:13]
	s_cbranch_execz .LBB385_557
; %bb.559:                              ;   in Loop: Header=BB385_558 Depth=1
	s_add_u32 s40, s40, -1
	s_addc_u32 s41, s41, -1
	v_add_co_u32_e32 v8, vcc, 4, v8
	s_cmp_eq_u64 s[40:41], 0
	v_addc_co_u32_e32 v9, vcc, 0, v9, vcc
	s_cselect_b64 s[12:13], -1, 0
	v_add_co_u32_e32 v10, vcc, 4, v10
	s_andn2_b64 s[38:39], s[38:39], exec
	s_and_b64 s[42:43], s[6:7], exec
	s_andn2_b64 s[36:37], s[36:37], exec
	s_and_b64 s[12:13], s[12:13], exec
	v_addc_co_u32_e32 v11, vcc, 0, v11, vcc
	s_or_b64 s[38:39], s[38:39], s[42:43]
	s_andn2_b64 s[34:35], s[34:35], exec
	s_or_b64 s[36:37], s[36:37], s[12:13]
                                        ; implicit-def: $sgpr42_sgpr43
	s_branch .LBB385_557
.LBB385_560:
	s_or_b64 exec, exec, s[28:29]
	s_and_saveexec_b64 s[6:7], s[30:31]
	s_xor_b64 s[6:7], exec, s[6:7]
	s_cbranch_execz .LBB385_562
; %bb.561:
	v_cndmask_b32_e64 v29, v1, v3, s[26:27]
	v_cndmask_b32_e64 v28, v0, v2, s[26:27]
	;; [unrolled: 1-line block ×4, first 2 shown]
	v_mov_b32_e32 v32, v4
	v_mov_b32_e32 v33, v5
	;; [unrolled: 1-line block ×4, first 2 shown]
	v_pk_mov_b32 v[0:1], v[28:29], v[28:29] op_sel:[0,1]
	v_pk_mov_b32 v[2:3], v[30:31], v[30:31] op_sel:[0,1]
	;; [unrolled: 1-line block ×4, first 2 shown]
.LBB385_562:
	s_or_b64 exec, exec, s[6:7]
.LBB385_563:
	s_or_b64 exec, exec, s[14:15]
	s_and_saveexec_b64 s[12:13], s[8:9]
	s_cbranch_execz .LBB385_572
; %bb.564:
	s_andn2_b64 vcc, exec, s[22:23]
	s_cbranch_vccnz .LBB385_572
; %bb.565:
	v_mul_lo_u32 v10, v7, s16
	v_mul_lo_u32 v11, v6, s17
	v_mad_u64_u32 v[8:9], s[6:7], v6, s16, 0
	v_add3_u32 v9, v9, v11, v10
	v_lshlrev_b64 v[8:9], 2, v[8:9]
	v_mov_b32_e32 v10, s19
	v_add_co_u32_e32 v8, vcc, s18, v8
	v_addc_co_u32_e32 v9, vcc, v10, v9, vcc
	v_mul_lo_u32 v19, v5, s16
	v_mul_lo_u32 v20, v4, s17
	v_mad_u64_u32 v[10:11], s[6:7], v4, s16, 0
	v_add3_u32 v11, v11, v20, v19
	v_lshlrev_b64 v[10:11], 2, v[10:11]
	v_mov_b32_e32 v19, s19
	v_add_co_u32_e32 v10, vcc, s18, v10
	v_addc_co_u32_e32 v11, vcc, v19, v11, vcc
	s_mov_b64 s[26:27], 0
	s_mov_b64 s[38:39], s[16:17]
                                        ; implicit-def: $sgpr14_sgpr15
                                        ; implicit-def: $sgpr28_sgpr29
                                        ; implicit-def: $sgpr34_sgpr35
                                        ; implicit-def: $sgpr30_sgpr31
                                        ; implicit-def: $sgpr36_sgpr37
                                        ; implicit-def: $sgpr40_sgpr41
	s_branch .LBB385_567
.LBB385_566:                            ;   in Loop: Header=BB385_567 Depth=1
	s_or_b64 exec, exec, s[42:43]
	s_and_b64 s[8:9], exec, s[34:35]
	s_or_b64 s[26:27], s[8:9], s[26:27]
	s_andn2_b64 s[8:9], s[40:41], exec
	s_and_b64 s[40:41], s[36:37], exec
	s_or_b64 s[40:41], s[8:9], s[40:41]
	s_andn2_b64 s[8:9], s[28:29], exec
	s_and_b64 s[28:29], s[30:31], exec
	s_or_b64 s[28:29], s[8:9], s[28:29]
	s_andn2_b64 s[8:9], s[14:15], exec
	s_and_b64 s[6:7], s[6:7], exec
	s_or_b64 s[14:15], s[8:9], s[6:7]
	s_andn2_b64 exec, exec, s[26:27]
	s_cbranch_execz .LBB385_569
.LBB385_567:                            ; =>This Inner Loop Header: Depth=1
	global_load_dword v19, v[8:9], off
	global_load_dword v20, v[10:11], off
	s_andn2_b64 s[36:37], s[36:37], exec
	s_or_b64 s[30:31], s[30:31], exec
	s_or_b64 s[34:35], s[34:35], exec
	s_waitcnt vmcnt(0)
	v_cmp_le_i32_e64 s[6:7], v19, v20
	v_cmp_lt_i32_e32 vcc, v19, v20
	s_and_b64 s[6:7], s[6:7], s[40:41]
	v_cmp_eq_u32_e64 s[8:9], v19, v20
	s_or_b64 s[6:7], vcc, s[6:7]
	s_and_saveexec_b64 s[42:43], s[8:9]
	s_cbranch_execz .LBB385_566
; %bb.568:                              ;   in Loop: Header=BB385_567 Depth=1
	s_add_u32 s38, s38, -1
	s_addc_u32 s39, s39, -1
	v_add_co_u32_e32 v8, vcc, 4, v8
	s_cmp_eq_u64 s[38:39], 0
	v_addc_co_u32_e32 v9, vcc, 0, v9, vcc
	s_cselect_b64 s[8:9], -1, 0
	v_add_co_u32_e32 v10, vcc, 4, v10
	s_andn2_b64 s[36:37], s[36:37], exec
	s_and_b64 s[40:41], s[6:7], exec
	s_andn2_b64 s[34:35], s[34:35], exec
	s_and_b64 s[8:9], s[8:9], exec
	v_addc_co_u32_e32 v11, vcc, 0, v11, vcc
	s_or_b64 s[36:37], s[36:37], s[40:41]
	s_andn2_b64 s[30:31], s[30:31], exec
	s_or_b64 s[34:35], s[34:35], s[8:9]
                                        ; implicit-def: $sgpr40_sgpr41
	s_branch .LBB385_566
.LBB385_569:
	s_or_b64 exec, exec, s[26:27]
	s_and_saveexec_b64 s[6:7], s[28:29]
	s_xor_b64 s[6:7], exec, s[6:7]
; %bb.570:
	v_cndmask_b32_e64 v8, v7, v5, s[14:15]
	v_cndmask_b32_e64 v9, v6, v4, s[14:15]
	v_cndmask_b32_e64 v5, v5, v7, s[14:15]
	v_cndmask_b32_e64 v4, v4, v6, s[14:15]
	v_mov_b32_e32 v6, v9
	v_mov_b32_e32 v7, v8
; %bb.571:
	s_or_b64 exec, exec, s[6:7]
.LBB385_572:
	s_or_b64 exec, exec, s[12:13]
	s_and_saveexec_b64 s[12:13], s[10:11]
	s_cbranch_execz .LBB385_581
; %bb.573:
	s_andn2_b64 vcc, exec, s[22:23]
	s_cbranch_vccnz .LBB385_581
; %bb.574:
	v_mul_lo_u32 v10, v5, s16
	v_mul_lo_u32 v11, v4, s17
	v_mad_u64_u32 v[8:9], s[6:7], v4, s16, 0
	v_add3_u32 v9, v9, v11, v10
	v_lshlrev_b64 v[8:9], 2, v[8:9]
	v_mov_b32_e32 v10, s19
	v_add_co_u32_e32 v8, vcc, s18, v8
	v_addc_co_u32_e32 v9, vcc, v10, v9, vcc
	v_mul_lo_u32 v19, v3, s16
	v_mul_lo_u32 v20, v2, s17
	v_mad_u64_u32 v[10:11], s[6:7], v2, s16, 0
	v_add3_u32 v11, v11, v20, v19
	v_lshlrev_b64 v[10:11], 2, v[10:11]
	v_mov_b32_e32 v19, s19
	v_add_co_u32_e32 v10, vcc, s18, v10
	v_addc_co_u32_e32 v11, vcc, v19, v11, vcc
	s_mov_b64 s[14:15], 0
	s_mov_b64 s[36:37], s[16:17]
                                        ; implicit-def: $sgpr10_sgpr11
                                        ; implicit-def: $sgpr26_sgpr27
                                        ; implicit-def: $sgpr30_sgpr31
                                        ; implicit-def: $sgpr28_sgpr29
                                        ; implicit-def: $sgpr34_sgpr35
                                        ; implicit-def: $sgpr38_sgpr39
	s_branch .LBB385_576
.LBB385_575:                            ;   in Loop: Header=BB385_576 Depth=1
	s_or_b64 exec, exec, s[40:41]
	s_and_b64 s[8:9], exec, s[30:31]
	s_or_b64 s[14:15], s[8:9], s[14:15]
	s_andn2_b64 s[8:9], s[38:39], exec
	s_and_b64 s[38:39], s[34:35], exec
	s_or_b64 s[38:39], s[8:9], s[38:39]
	s_andn2_b64 s[8:9], s[26:27], exec
	s_and_b64 s[26:27], s[28:29], exec
	;; [unrolled: 3-line block ×3, first 2 shown]
	s_or_b64 s[10:11], s[8:9], s[6:7]
	s_andn2_b64 exec, exec, s[14:15]
	s_cbranch_execz .LBB385_578
.LBB385_576:                            ; =>This Inner Loop Header: Depth=1
	global_load_dword v19, v[8:9], off
	global_load_dword v20, v[10:11], off
	s_andn2_b64 s[34:35], s[34:35], exec
	s_or_b64 s[28:29], s[28:29], exec
	s_or_b64 s[30:31], s[30:31], exec
	s_waitcnt vmcnt(0)
	v_cmp_le_i32_e64 s[6:7], v19, v20
	v_cmp_lt_i32_e32 vcc, v19, v20
	s_and_b64 s[6:7], s[6:7], s[38:39]
	v_cmp_eq_u32_e64 s[8:9], v19, v20
	s_or_b64 s[6:7], vcc, s[6:7]
	s_and_saveexec_b64 s[40:41], s[8:9]
	s_cbranch_execz .LBB385_575
; %bb.577:                              ;   in Loop: Header=BB385_576 Depth=1
	s_add_u32 s36, s36, -1
	s_addc_u32 s37, s37, -1
	v_add_co_u32_e32 v8, vcc, 4, v8
	s_cmp_eq_u64 s[36:37], 0
	v_addc_co_u32_e32 v9, vcc, 0, v9, vcc
	s_cselect_b64 s[8:9], -1, 0
	v_add_co_u32_e32 v10, vcc, 4, v10
	s_andn2_b64 s[34:35], s[34:35], exec
	s_and_b64 s[38:39], s[6:7], exec
	s_andn2_b64 s[30:31], s[30:31], exec
	s_and_b64 s[8:9], s[8:9], exec
	v_addc_co_u32_e32 v11, vcc, 0, v11, vcc
	s_or_b64 s[34:35], s[34:35], s[38:39]
	s_andn2_b64 s[28:29], s[28:29], exec
	s_or_b64 s[30:31], s[30:31], s[8:9]
                                        ; implicit-def: $sgpr38_sgpr39
	s_branch .LBB385_575
.LBB385_578:
	s_or_b64 exec, exec, s[14:15]
	s_and_saveexec_b64 s[6:7], s[26:27]
	s_xor_b64 s[6:7], exec, s[6:7]
; %bb.579:
	v_cndmask_b32_e64 v8, v5, v3, s[10:11]
	v_cndmask_b32_e64 v9, v4, v2, s[10:11]
	;; [unrolled: 1-line block ×4, first 2 shown]
	v_mov_b32_e32 v4, v9
	v_mov_b32_e32 v5, v8
; %bb.580:
	s_or_b64 exec, exec, s[6:7]
.LBB385_581:
	s_or_b64 exec, exec, s[12:13]
	v_mbcnt_lo_u32_b32 v8, -1, 0
	v_mbcnt_hi_u32_b32 v8, -1, v8
	v_and_b32_e32 v9, 0xffffff00, v18
	v_lshlrev_b32_e32 v18, 3, v9
	v_lshlrev_b32_e32 v20, 2, v8
	v_sub_u32_e64 v19, s33, v9 clamp
	v_lshl_add_u32 v21, v8, 5, v18
	v_or_b32_e32 v8, 4, v20
	v_min_u32_e32 v22, v19, v8
	v_add_u32_e32 v8, 4, v22
	v_and_b32_e32 v28, 0x1f8, v20
	v_min_u32_e32 v23, v19, v8
	v_and_b32_e32 v8, 4, v20
	v_min_u32_e32 v29, v19, v8
	v_sub_u32_e32 v8, v22, v28
	v_sub_u32_e32 v9, v23, v22
	v_sub_u32_e64 v25, v29, v9 clamp
	v_min_u32_e32 v30, v29, v8
	v_lshl_add_u32 v24, v28, 3, v18
	v_cmp_lt_u32_e32 vcc, v25, v30
	ds_write_b128 v21, v[0:3]
	ds_write_b128 v21, v[4:7] offset:16
	; wave barrier
	s_and_saveexec_b64 s[12:13], vcc
	s_cbranch_execz .LBB385_591
; %bb.582:
	v_lshlrev_b32_e32 v8, 3, v22
	v_lshlrev_b32_e32 v9, 3, v29
	v_add3_u32 v31, v18, v8, v9
	v_cndmask_b32_e64 v8, 0, 1, s[22:23]
	s_lshl_b64 s[26:27], s[16:17], 2
	s_mov_b64 s[14:15], 0
	v_cmp_ne_u32_e64 s[6:7], 1, v8
	s_branch .LBB385_585
.LBB385_583:                            ;   in Loop: Header=BB385_585 Depth=1
	s_or_b64 exec, exec, s[30:31]
.LBB385_584:                            ;   in Loop: Header=BB385_585 Depth=1
	v_add_u32_e32 v8, 1, v32
	v_cndmask_b32_e64 v30, v30, v32, s[28:29]
	v_cndmask_b32_e64 v25, v8, v25, s[28:29]
	v_cmp_ge_u32_e32 vcc, v25, v30
	s_or_b64 s[14:15], vcc, s[14:15]
	s_andn2_b64 exec, exec, s[14:15]
	s_cbranch_execz .LBB385_590
.LBB385_585:                            ; =>This Loop Header: Depth=1
                                        ;     Child Loop BB385_588 Depth 2
	v_add_u32_e32 v8, v30, v25
	v_lshrrev_b32_e32 v32, 1, v8
	s_and_b64 vcc, exec, s[6:7]
	s_mov_b64 s[28:29], 0
	s_cbranch_vccnz .LBB385_584
; %bb.586:                              ;   in Loop: Header=BB385_585 Depth=1
	v_not_b32_e32 v8, v32
	v_lshl_add_u32 v8, v8, 3, v31
	ds_read_b64 v[8:9], v8
	v_lshl_add_u32 v33, v32, 3, v24
	ds_read_b64 v[34:35], v33
	v_pk_mov_b32 v[10:11], s[18:19], s[18:19] op_sel:[0,1]
	s_mov_b64 s[30:31], 0
	s_waitcnt lgkmcnt(1)
	v_mul_lo_u32 v33, s26, v9
	v_mul_lo_u32 v36, s27, v8
	v_mad_u64_u32 v[8:9], s[8:9], s26, v8, v[10:11]
	v_add3_u32 v9, v36, v9, v33
	s_waitcnt lgkmcnt(0)
	v_mul_lo_u32 v33, s26, v35
	v_mul_lo_u32 v35, s27, v34
	v_mad_u64_u32 v[10:11], s[8:9], s26, v34, v[10:11]
	v_add3_u32 v11, v35, v11, v33
	s_mov_b64 s[38:39], s[16:17]
                                        ; implicit-def: $sgpr28_sgpr29
                                        ; implicit-def: $sgpr34_sgpr35
                                        ; implicit-def: $sgpr36_sgpr37
                                        ; implicit-def: $sgpr8_sgpr9
                                        ; implicit-def: $sgpr40_sgpr41
	s_branch .LBB385_588
.LBB385_587:                            ;   in Loop: Header=BB385_588 Depth=2
	s_or_b64 exec, exec, s[42:43]
	s_and_b64 s[10:11], exec, s[34:35]
	s_or_b64 s[30:31], s[10:11], s[30:31]
	s_andn2_b64 s[10:11], s[40:41], exec
	s_and_b64 s[40:41], s[36:37], exec
	s_or_b64 s[40:41], s[10:11], s[40:41]
	s_andn2_b64 s[10:11], s[28:29], exec
	s_and_b64 s[28:29], s[8:9], exec
	s_or_b64 s[28:29], s[10:11], s[28:29]
	s_andn2_b64 exec, exec, s[30:31]
	s_cbranch_execz .LBB385_583
.LBB385_588:                            ;   Parent Loop BB385_585 Depth=1
                                        ; =>  This Inner Loop Header: Depth=2
	global_load_dword v33, v[8:9], off
	global_load_dword v34, v[10:11], off
	s_andn2_b64 s[42:43], s[8:9], exec
	s_andn2_b64 s[36:37], s[36:37], exec
	s_or_b64 s[34:35], s[34:35], exec
	s_waitcnt vmcnt(0)
	v_cmp_le_i32_e64 s[8:9], v33, v34
	v_cmp_lt_i32_e32 vcc, v33, v34
	s_and_b64 s[8:9], s[8:9], s[40:41]
	s_or_b64 s[44:45], vcc, s[8:9]
	s_and_b64 s[8:9], s[44:45], exec
	v_cmp_eq_u32_e64 s[10:11], v33, v34
	s_or_b64 s[8:9], s[42:43], s[8:9]
	s_and_saveexec_b64 s[42:43], s[10:11]
	s_cbranch_execz .LBB385_587
; %bb.589:                              ;   in Loop: Header=BB385_588 Depth=2
	s_add_u32 s38, s38, -1
	s_addc_u32 s39, s39, -1
	v_add_co_u32_e32 v8, vcc, 4, v8
	s_cmp_eq_u64 s[38:39], 0
	v_addc_co_u32_e32 v9, vcc, 0, v9, vcc
	s_cselect_b64 s[10:11], -1, 0
	v_add_co_u32_e32 v10, vcc, 4, v10
	s_andn2_b64 s[36:37], s[36:37], exec
	s_and_b64 s[40:41], s[44:45], exec
	s_andn2_b64 s[34:35], s[34:35], exec
	s_and_b64 s[10:11], s[10:11], exec
	v_addc_co_u32_e32 v11, vcc, 0, v11, vcc
	s_andn2_b64 s[8:9], s[8:9], exec
	s_or_b64 s[36:37], s[36:37], s[40:41]
	s_or_b64 s[34:35], s[34:35], s[10:11]
                                        ; implicit-def: $sgpr40_sgpr41
	s_branch .LBB385_587
.LBB385_590:
	s_or_b64 exec, exec, s[14:15]
.LBB385_591:
	s_or_b64 exec, exec, s[12:13]
	v_add_u32_e32 v9, v22, v29
	v_add_u32_e32 v8, v25, v28
	v_sub_u32_e32 v9, v9, v25
	v_cmp_le_u32_e32 vcc, v8, v22
	v_cmp_le_u32_e64 s[6:7], v9, v23
	s_or_b64 s[6:7], vcc, s[6:7]
	s_and_saveexec_b64 s[10:11], s[6:7]
	s_cbranch_execz .LBB385_638
; %bb.592:
	v_cmp_ge_u32_e32 vcc, v8, v22
	v_cmp_lt_u32_e64 s[6:7], v8, v22
                                        ; implicit-def: $vgpr0_vgpr1
	s_and_saveexec_b64 s[8:9], s[6:7]
	s_cbranch_execz .LBB385_594
; %bb.593:
	v_lshl_add_u32 v0, v25, 3, v24
	ds_read_b64 v[0:1], v0
.LBB385_594:
	s_or_b64 exec, exec, s[8:9]
	v_cmp_ge_u32_e64 s[12:13], v9, v23
	v_cmp_lt_u32_e64 s[6:7], v9, v23
                                        ; implicit-def: $vgpr2_vgpr3
	s_and_saveexec_b64 s[8:9], s[6:7]
	s_cbranch_execz .LBB385_596
; %bb.595:
	v_lshl_add_u32 v2, v9, 3, v18
	ds_read_b64 v[2:3], v2
.LBB385_596:
	s_or_b64 exec, exec, s[8:9]
	s_or_b64 s[6:7], vcc, s[12:13]
	s_mov_b64 s[14:15], -1
	s_xor_b64 s[6:7], s[6:7], -1
	s_and_saveexec_b64 s[26:27], s[6:7]
	s_cbranch_execz .LBB385_605
; %bb.597:
	s_andn2_b64 vcc, exec, s[22:23]
	s_cbranch_vccnz .LBB385_603
; %bb.598:
	s_waitcnt lgkmcnt(0)
	v_mul_lo_u32 v6, v3, s16
	v_mul_lo_u32 v7, v2, s17
	v_mad_u64_u32 v[4:5], s[6:7], v2, s16, 0
	v_add3_u32 v5, v5, v7, v6
	v_lshlrev_b64 v[4:5], 2, v[4:5]
	v_mov_b32_e32 v6, s19
	v_add_co_u32_e32 v4, vcc, s18, v4
	v_addc_co_u32_e32 v5, vcc, v6, v5, vcc
	v_mul_lo_u32 v10, v1, s16
	v_mul_lo_u32 v11, v0, s17
	v_mad_u64_u32 v[6:7], s[6:7], v0, s16, 0
	v_add3_u32 v7, v7, v11, v10
	v_lshlrev_b64 v[6:7], 2, v[6:7]
	v_mov_b32_e32 v10, s19
	v_add_co_u32_e32 v6, vcc, s18, v6
	v_addc_co_u32_e32 v7, vcc, v10, v7, vcc
	s_mov_b64 s[28:29], 0
	s_mov_b64 s[38:39], s[16:17]
                                        ; implicit-def: $sgpr30_sgpr31
                                        ; implicit-def: $sgpr34_sgpr35
                                        ; implicit-def: $sgpr6_sgpr7
                                        ; implicit-def: $sgpr36_sgpr37
                                        ; implicit-def: $sgpr40_sgpr41
	s_branch .LBB385_600
.LBB385_599:                            ;   in Loop: Header=BB385_600 Depth=1
	s_or_b64 exec, exec, s[42:43]
	s_and_b64 s[8:9], exec, s[34:35]
	s_or_b64 s[28:29], s[8:9], s[28:29]
	s_andn2_b64 s[8:9], s[40:41], exec
	s_and_b64 s[40:41], s[36:37], exec
	s_or_b64 s[40:41], s[8:9], s[40:41]
	s_andn2_b64 s[8:9], s[30:31], exec
	s_and_b64 s[30:31], s[6:7], exec
	s_or_b64 s[30:31], s[8:9], s[30:31]
	s_andn2_b64 exec, exec, s[28:29]
	s_cbranch_execz .LBB385_602
.LBB385_600:                            ; =>This Inner Loop Header: Depth=1
	global_load_dword v10, v[4:5], off
	global_load_dword v11, v[6:7], off
	s_andn2_b64 s[42:43], s[6:7], exec
	s_andn2_b64 s[36:37], s[36:37], exec
	s_or_b64 s[34:35], s[34:35], exec
	s_waitcnt vmcnt(0)
	v_cmp_le_i32_e64 s[6:7], v10, v11
	v_cmp_lt_i32_e32 vcc, v10, v11
	s_and_b64 s[6:7], s[6:7], s[40:41]
	s_or_b64 s[44:45], vcc, s[6:7]
	s_and_b64 s[6:7], s[44:45], exec
	v_cmp_eq_u32_e64 s[8:9], v10, v11
	s_or_b64 s[6:7], s[42:43], s[6:7]
	s_and_saveexec_b64 s[42:43], s[8:9]
	s_cbranch_execz .LBB385_599
; %bb.601:                              ;   in Loop: Header=BB385_600 Depth=1
	s_add_u32 s38, s38, -1
	s_addc_u32 s39, s39, -1
	v_add_co_u32_e32 v4, vcc, 4, v4
	s_cmp_eq_u64 s[38:39], 0
	v_addc_co_u32_e32 v5, vcc, 0, v5, vcc
	s_cselect_b64 s[8:9], -1, 0
	v_add_co_u32_e32 v6, vcc, 4, v6
	s_andn2_b64 s[36:37], s[36:37], exec
	s_and_b64 s[40:41], s[44:45], exec
	s_andn2_b64 s[34:35], s[34:35], exec
	s_and_b64 s[8:9], s[8:9], exec
	v_addc_co_u32_e32 v7, vcc, 0, v7, vcc
	s_or_b64 s[36:37], s[36:37], s[40:41]
	s_andn2_b64 s[6:7], s[6:7], exec
	s_or_b64 s[34:35], s[34:35], s[8:9]
                                        ; implicit-def: $sgpr40_sgpr41
	s_branch .LBB385_599
.LBB385_602:
	s_or_b64 exec, exec, s[28:29]
	s_xor_b64 s[6:7], s[30:31], -1
	s_branch .LBB385_604
.LBB385_603:
	s_mov_b64 s[6:7], -1
.LBB385_604:
	s_andn2_b64 s[8:9], s[12:13], exec
	s_and_b64 s[6:7], s[6:7], exec
	s_or_b64 s[12:13], s[8:9], s[6:7]
.LBB385_605:
	s_or_b64 exec, exec, s[26:27]
	v_cndmask_b32_e64 v4, v9, v8, s[12:13]
	v_cndmask_b32_e64 v5, v23, v22, s[12:13]
	v_add_u32_e32 v6, 1, v4
	v_add_u32_e32 v4, -1, v5
	v_min_u32_e32 v4, v6, v4
	v_lshl_add_u32 v4, v4, 3, v18
	ds_read_b64 v[4:5], v4
	v_cndmask_b32_e64 v9, v6, v9, s[12:13]
	v_cndmask_b32_e64 v8, v8, v6, s[12:13]
	v_cmp_lt_u32_e32 vcc, v9, v23
	s_waitcnt lgkmcnt(0)
	v_cndmask_b32_e64 v24, v5, v3, s[12:13]
	v_cndmask_b32_e64 v25, v4, v2, s[12:13]
	;; [unrolled: 1-line block ×4, first 2 shown]
	s_and_saveexec_b64 s[26:27], vcc
	s_cbranch_execz .LBB385_616
; %bb.606:
	v_cmp_lt_u32_e32 vcc, v8, v22
	s_mov_b64 s[6:7], 0
	s_and_saveexec_b64 s[14:15], vcc
	s_cbranch_execz .LBB385_615
; %bb.607:
	s_andn2_b64 vcc, exec, s[22:23]
	s_cbranch_vccnz .LBB385_613
; %bb.608:
	v_mul_lo_u32 v6, v24, s16
	v_mul_lo_u32 v7, v25, s17
	v_mad_u64_u32 v[4:5], s[6:7], v25, s16, 0
	v_add3_u32 v5, v5, v7, v6
	v_lshlrev_b64 v[4:5], 2, v[4:5]
	v_mov_b32_e32 v6, s19
	v_add_co_u32_e32 v4, vcc, s18, v4
	v_addc_co_u32_e32 v5, vcc, v6, v5, vcc
	v_mul_lo_u32 v10, v28, s16
	v_mul_lo_u32 v11, v29, s17
	v_mad_u64_u32 v[6:7], s[6:7], v29, s16, 0
	v_add3_u32 v7, v7, v11, v10
	v_lshlrev_b64 v[6:7], 2, v[6:7]
	v_mov_b32_e32 v10, s19
	v_add_co_u32_e32 v6, vcc, s18, v6
	v_addc_co_u32_e32 v7, vcc, v10, v7, vcc
	s_mov_b64 s[28:29], 0
	s_mov_b64 s[38:39], s[16:17]
                                        ; implicit-def: $sgpr30_sgpr31
                                        ; implicit-def: $sgpr34_sgpr35
                                        ; implicit-def: $sgpr6_sgpr7
                                        ; implicit-def: $sgpr36_sgpr37
                                        ; implicit-def: $sgpr40_sgpr41
	s_branch .LBB385_610
.LBB385_609:                            ;   in Loop: Header=BB385_610 Depth=1
	s_or_b64 exec, exec, s[42:43]
	s_and_b64 s[8:9], exec, s[34:35]
	s_or_b64 s[28:29], s[8:9], s[28:29]
	s_andn2_b64 s[8:9], s[40:41], exec
	s_and_b64 s[40:41], s[36:37], exec
	s_or_b64 s[40:41], s[8:9], s[40:41]
	s_andn2_b64 s[8:9], s[30:31], exec
	s_and_b64 s[30:31], s[6:7], exec
	s_or_b64 s[30:31], s[8:9], s[30:31]
	s_andn2_b64 exec, exec, s[28:29]
	s_cbranch_execz .LBB385_612
.LBB385_610:                            ; =>This Inner Loop Header: Depth=1
	global_load_dword v10, v[4:5], off
	global_load_dword v11, v[6:7], off
	s_andn2_b64 s[42:43], s[6:7], exec
	s_andn2_b64 s[36:37], s[36:37], exec
	s_or_b64 s[34:35], s[34:35], exec
	s_waitcnt vmcnt(0)
	v_cmp_le_i32_e64 s[6:7], v10, v11
	v_cmp_lt_i32_e32 vcc, v10, v11
	s_and_b64 s[6:7], s[6:7], s[40:41]
	s_or_b64 s[44:45], vcc, s[6:7]
	s_and_b64 s[6:7], s[44:45], exec
	v_cmp_eq_u32_e64 s[8:9], v10, v11
	s_or_b64 s[6:7], s[42:43], s[6:7]
	s_and_saveexec_b64 s[42:43], s[8:9]
	s_cbranch_execz .LBB385_609
; %bb.611:                              ;   in Loop: Header=BB385_610 Depth=1
	s_add_u32 s38, s38, -1
	s_addc_u32 s39, s39, -1
	v_add_co_u32_e32 v4, vcc, 4, v4
	s_cmp_eq_u64 s[38:39], 0
	v_addc_co_u32_e32 v5, vcc, 0, v5, vcc
	s_cselect_b64 s[8:9], -1, 0
	v_add_co_u32_e32 v6, vcc, 4, v6
	s_andn2_b64 s[36:37], s[36:37], exec
	s_and_b64 s[40:41], s[44:45], exec
	s_andn2_b64 s[34:35], s[34:35], exec
	s_and_b64 s[8:9], s[8:9], exec
	v_addc_co_u32_e32 v7, vcc, 0, v7, vcc
	s_or_b64 s[36:37], s[36:37], s[40:41]
	s_andn2_b64 s[6:7], s[6:7], exec
	s_or_b64 s[34:35], s[34:35], s[8:9]
                                        ; implicit-def: $sgpr40_sgpr41
	s_branch .LBB385_609
.LBB385_612:
	s_or_b64 exec, exec, s[28:29]
	s_xor_b64 s[6:7], s[30:31], -1
	s_branch .LBB385_614
.LBB385_613:
	s_mov_b64 s[6:7], -1
.LBB385_614:
	s_and_b64 s[6:7], s[6:7], exec
.LBB385_615:
	s_or_b64 exec, exec, s[14:15]
	s_orn2_b64 s[14:15], s[6:7], exec
.LBB385_616:
	s_or_b64 exec, exec, s[26:27]
	v_cndmask_b32_e64 v4, v9, v8, s[14:15]
	v_cndmask_b32_e64 v5, v23, v22, s[14:15]
	v_add_u32_e32 v6, 1, v4
	v_add_u32_e32 v4, -1, v5
	v_min_u32_e32 v4, v6, v4
	v_lshl_add_u32 v4, v4, 3, v18
	ds_read_b64 v[4:5], v4
	v_cndmask_b32_e64 v9, v6, v9, s[14:15]
	v_cndmask_b32_e64 v8, v8, v6, s[14:15]
	v_cmp_lt_u32_e32 vcc, v9, v23
	s_mov_b64 s[26:27], -1
	s_waitcnt lgkmcnt(0)
	v_cndmask_b32_e64 v30, v5, v24, s[14:15]
	v_cndmask_b32_e64 v31, v4, v25, s[14:15]
	;; [unrolled: 1-line block ×4, first 2 shown]
	s_and_saveexec_b64 s[28:29], vcc
	s_cbranch_execz .LBB385_627
; %bb.617:
	v_cmp_lt_u32_e32 vcc, v8, v22
	s_mov_b64 s[6:7], 0
	s_and_saveexec_b64 s[26:27], vcc
	s_cbranch_execz .LBB385_626
; %bb.618:
	s_andn2_b64 vcc, exec, s[22:23]
	s_cbranch_vccnz .LBB385_624
; %bb.619:
	v_mul_lo_u32 v6, v30, s16
	v_mul_lo_u32 v7, v31, s17
	v_mad_u64_u32 v[4:5], s[6:7], v31, s16, 0
	v_add3_u32 v5, v5, v7, v6
	v_lshlrev_b64 v[4:5], 2, v[4:5]
	v_mov_b32_e32 v6, s19
	v_add_co_u32_e32 v4, vcc, s18, v4
	v_addc_co_u32_e32 v5, vcc, v6, v5, vcc
	v_mul_lo_u32 v10, v32, s16
	v_mul_lo_u32 v11, v33, s17
	v_mad_u64_u32 v[6:7], s[6:7], v33, s16, 0
	v_add3_u32 v7, v7, v11, v10
	v_lshlrev_b64 v[6:7], 2, v[6:7]
	v_mov_b32_e32 v10, s19
	v_add_co_u32_e32 v6, vcc, s18, v6
	v_addc_co_u32_e32 v7, vcc, v10, v7, vcc
	s_mov_b64 s[30:31], 0
	s_mov_b64 s[40:41], s[16:17]
                                        ; implicit-def: $sgpr34_sgpr35
                                        ; implicit-def: $sgpr36_sgpr37
                                        ; implicit-def: $sgpr6_sgpr7
                                        ; implicit-def: $sgpr38_sgpr39
                                        ; implicit-def: $sgpr42_sgpr43
	s_branch .LBB385_621
.LBB385_620:                            ;   in Loop: Header=BB385_621 Depth=1
	s_or_b64 exec, exec, s[44:45]
	s_and_b64 s[8:9], exec, s[36:37]
	s_or_b64 s[30:31], s[8:9], s[30:31]
	s_andn2_b64 s[8:9], s[42:43], exec
	s_and_b64 s[42:43], s[38:39], exec
	s_or_b64 s[42:43], s[8:9], s[42:43]
	s_andn2_b64 s[8:9], s[34:35], exec
	s_and_b64 s[34:35], s[6:7], exec
	s_or_b64 s[34:35], s[8:9], s[34:35]
	s_andn2_b64 exec, exec, s[30:31]
	s_cbranch_execz .LBB385_623
.LBB385_621:                            ; =>This Inner Loop Header: Depth=1
	global_load_dword v10, v[4:5], off
	global_load_dword v11, v[6:7], off
	s_andn2_b64 s[44:45], s[6:7], exec
	s_andn2_b64 s[38:39], s[38:39], exec
	s_or_b64 s[36:37], s[36:37], exec
	s_waitcnt vmcnt(0)
	v_cmp_le_i32_e64 s[6:7], v10, v11
	v_cmp_lt_i32_e32 vcc, v10, v11
	s_and_b64 s[6:7], s[6:7], s[42:43]
	s_or_b64 s[46:47], vcc, s[6:7]
	s_and_b64 s[6:7], s[46:47], exec
	v_cmp_eq_u32_e64 s[8:9], v10, v11
	s_or_b64 s[6:7], s[44:45], s[6:7]
	s_and_saveexec_b64 s[44:45], s[8:9]
	s_cbranch_execz .LBB385_620
; %bb.622:                              ;   in Loop: Header=BB385_621 Depth=1
	s_add_u32 s40, s40, -1
	s_addc_u32 s41, s41, -1
	v_add_co_u32_e32 v4, vcc, 4, v4
	s_cmp_eq_u64 s[40:41], 0
	v_addc_co_u32_e32 v5, vcc, 0, v5, vcc
	s_cselect_b64 s[8:9], -1, 0
	v_add_co_u32_e32 v6, vcc, 4, v6
	s_andn2_b64 s[38:39], s[38:39], exec
	s_and_b64 s[42:43], s[46:47], exec
	s_andn2_b64 s[36:37], s[36:37], exec
	s_and_b64 s[8:9], s[8:9], exec
	v_addc_co_u32_e32 v7, vcc, 0, v7, vcc
	s_or_b64 s[38:39], s[38:39], s[42:43]
	s_andn2_b64 s[6:7], s[6:7], exec
	s_or_b64 s[36:37], s[36:37], s[8:9]
                                        ; implicit-def: $sgpr42_sgpr43
	s_branch .LBB385_620
.LBB385_623:
	s_or_b64 exec, exec, s[30:31]
	s_xor_b64 s[6:7], s[34:35], -1
	s_branch .LBB385_625
.LBB385_624:
	s_mov_b64 s[6:7], -1
.LBB385_625:
	s_and_b64 s[6:7], s[6:7], exec
.LBB385_626:
	s_or_b64 exec, exec, s[26:27]
	s_orn2_b64 s[26:27], s[6:7], exec
.LBB385_627:
	s_or_b64 exec, exec, s[28:29]
	v_cndmask_b32_e64 v4, v9, v8, s[26:27]
	v_cndmask_b32_e64 v5, v23, v22, s[26:27]
	v_add_u32_e32 v10, 1, v4
	v_add_u32_e32 v4, -1, v5
	v_min_u32_e32 v4, v10, v4
	v_lshl_add_u32 v4, v4, 3, v18
	ds_read_b64 v[4:5], v4
	v_cndmask_b32_e64 v9, v10, v9, s[26:27]
	v_cmp_lt_u32_e32 vcc, v9, v23
	s_waitcnt lgkmcnt(0)
	v_cndmask_b32_e64 v7, v32, v5, s[26:27]
	v_cndmask_b32_e64 v6, v33, v4, s[26:27]
	s_and_saveexec_b64 s[28:29], vcc
	s_cbranch_execz .LBB385_637
; %bb.628:
	v_cndmask_b32_e64 v8, v8, v10, s[26:27]
	v_cndmask_b32_e64 v5, v5, v30, s[26:27]
	;; [unrolled: 1-line block ×3, first 2 shown]
	v_cmp_lt_u32_e32 vcc, v8, v22
	s_and_saveexec_b64 s[30:31], vcc
	s_cbranch_execz .LBB385_636
; %bb.629:
	s_andn2_b64 vcc, exec, s[22:23]
	s_cbranch_vccnz .LBB385_635
; %bb.630:
	v_mul_lo_u32 v10, v5, s16
	v_mul_lo_u32 v11, v4, s17
	v_mad_u64_u32 v[8:9], s[6:7], v4, s16, 0
	v_add3_u32 v9, v9, v11, v10
	v_lshlrev_b64 v[8:9], 2, v[8:9]
	v_mov_b32_e32 v10, s19
	v_add_co_u32_e32 v8, vcc, s18, v8
	v_addc_co_u32_e32 v9, vcc, v10, v9, vcc
	v_mul_lo_u32 v22, v7, s16
	v_mul_lo_u32 v23, v6, s17
	v_mad_u64_u32 v[10:11], s[6:7], v6, s16, 0
	v_add3_u32 v11, v11, v23, v22
	v_lshlrev_b64 v[10:11], 2, v[10:11]
	v_mov_b32_e32 v22, s19
	v_add_co_u32_e32 v10, vcc, s18, v10
	v_addc_co_u32_e32 v11, vcc, v22, v11, vcc
	s_mov_b64 s[34:35], 0
	s_mov_b64 s[42:43], s[16:17]
                                        ; implicit-def: $sgpr36_sgpr37
                                        ; implicit-def: $sgpr38_sgpr39
                                        ; implicit-def: $sgpr6_sgpr7
                                        ; implicit-def: $sgpr40_sgpr41
                                        ; implicit-def: $sgpr44_sgpr45
	s_branch .LBB385_632
.LBB385_631:                            ;   in Loop: Header=BB385_632 Depth=1
	s_or_b64 exec, exec, s[46:47]
	s_and_b64 s[8:9], exec, s[38:39]
	s_or_b64 s[34:35], s[8:9], s[34:35]
	s_andn2_b64 s[8:9], s[44:45], exec
	s_and_b64 s[44:45], s[40:41], exec
	s_or_b64 s[44:45], s[8:9], s[44:45]
	s_andn2_b64 s[8:9], s[36:37], exec
	s_and_b64 s[36:37], s[6:7], exec
	s_or_b64 s[36:37], s[8:9], s[36:37]
	s_andn2_b64 exec, exec, s[34:35]
	s_cbranch_execz .LBB385_634
.LBB385_632:                            ; =>This Inner Loop Header: Depth=1
	global_load_dword v22, v[8:9], off
	global_load_dword v23, v[10:11], off
	s_andn2_b64 s[46:47], s[6:7], exec
	s_andn2_b64 s[40:41], s[40:41], exec
	s_or_b64 s[38:39], s[38:39], exec
	s_waitcnt vmcnt(0)
	v_cmp_le_i32_e64 s[6:7], v22, v23
	v_cmp_lt_i32_e32 vcc, v22, v23
	s_and_b64 s[6:7], s[6:7], s[44:45]
	s_or_b64 s[48:49], vcc, s[6:7]
	s_and_b64 s[6:7], s[48:49], exec
	v_cmp_eq_u32_e64 s[8:9], v22, v23
	s_or_b64 s[6:7], s[46:47], s[6:7]
	s_and_saveexec_b64 s[46:47], s[8:9]
	s_cbranch_execz .LBB385_631
; %bb.633:                              ;   in Loop: Header=BB385_632 Depth=1
	s_add_u32 s42, s42, -1
	s_addc_u32 s43, s43, -1
	v_add_co_u32_e32 v8, vcc, 4, v8
	s_cmp_eq_u64 s[42:43], 0
	v_addc_co_u32_e32 v9, vcc, 0, v9, vcc
	s_cselect_b64 s[8:9], -1, 0
	v_add_co_u32_e32 v10, vcc, 4, v10
	s_andn2_b64 s[40:41], s[40:41], exec
	s_and_b64 s[44:45], s[48:49], exec
	s_andn2_b64 s[38:39], s[38:39], exec
	s_and_b64 s[8:9], s[8:9], exec
	v_addc_co_u32_e32 v11, vcc, 0, v11, vcc
	s_or_b64 s[40:41], s[40:41], s[44:45]
	s_andn2_b64 s[6:7], s[6:7], exec
	s_or_b64 s[38:39], s[38:39], s[8:9]
                                        ; implicit-def: $sgpr44_sgpr45
	s_branch .LBB385_631
.LBB385_634:
	s_or_b64 exec, exec, s[34:35]
	v_cndmask_b32_e64 v7, v7, v5, s[36:37]
	v_cndmask_b32_e64 v6, v6, v4, s[36:37]
.LBB385_635:
	v_pk_mov_b32 v[4:5], v[6:7], v[6:7] op_sel:[0,1]
.LBB385_636:
	s_or_b64 exec, exec, s[30:31]
	v_pk_mov_b32 v[6:7], v[4:5], v[4:5] op_sel:[0,1]
.LBB385_637:
	s_or_b64 exec, exec, s[28:29]
	v_cndmask_b32_e64 v1, v3, v1, s[12:13]
	v_cndmask_b32_e64 v0, v2, v0, s[12:13]
	;; [unrolled: 1-line block ×6, first 2 shown]
.LBB385_638:
	s_or_b64 exec, exec, s[10:11]
	v_and_b32_e32 v28, 0x1f0, v20
	v_or_b32_e32 v8, 8, v28
	v_min_u32_e32 v22, v19, v8
	v_add_u32_e32 v8, 8, v22
	v_min_u32_e32 v23, v19, v8
	v_and_b32_e32 v8, 12, v20
	v_min_u32_e32 v29, v19, v8
	v_sub_u32_e32 v8, v22, v28
	v_sub_u32_e32 v9, v23, v22
	v_sub_u32_e64 v25, v29, v9 clamp
	v_min_u32_e32 v30, v29, v8
	v_lshl_add_u32 v24, v28, 3, v18
	v_cmp_lt_u32_e32 vcc, v25, v30
	; wave barrier
	ds_write_b128 v21, v[0:3]
	ds_write_b128 v21, v[4:7] offset:16
	; wave barrier
	s_and_saveexec_b64 s[12:13], vcc
	s_cbranch_execz .LBB385_648
; %bb.639:
	v_lshlrev_b32_e32 v8, 3, v22
	v_lshlrev_b32_e32 v9, 3, v29
	v_add3_u32 v31, v18, v8, v9
	v_cndmask_b32_e64 v8, 0, 1, s[22:23]
	s_lshl_b64 s[26:27], s[16:17], 2
	s_mov_b64 s[14:15], 0
	v_cmp_ne_u32_e64 s[6:7], 1, v8
	s_branch .LBB385_642
.LBB385_640:                            ;   in Loop: Header=BB385_642 Depth=1
	s_or_b64 exec, exec, s[30:31]
.LBB385_641:                            ;   in Loop: Header=BB385_642 Depth=1
	v_add_u32_e32 v8, 1, v32
	v_cndmask_b32_e64 v30, v30, v32, s[28:29]
	v_cndmask_b32_e64 v25, v8, v25, s[28:29]
	v_cmp_ge_u32_e32 vcc, v25, v30
	s_or_b64 s[14:15], vcc, s[14:15]
	s_andn2_b64 exec, exec, s[14:15]
	s_cbranch_execz .LBB385_647
.LBB385_642:                            ; =>This Loop Header: Depth=1
                                        ;     Child Loop BB385_645 Depth 2
	v_add_u32_e32 v8, v30, v25
	v_lshrrev_b32_e32 v32, 1, v8
	s_and_b64 vcc, exec, s[6:7]
	s_mov_b64 s[28:29], 0
	s_cbranch_vccnz .LBB385_641
; %bb.643:                              ;   in Loop: Header=BB385_642 Depth=1
	v_not_b32_e32 v8, v32
	v_lshl_add_u32 v8, v8, 3, v31
	ds_read_b64 v[8:9], v8
	v_lshl_add_u32 v33, v32, 3, v24
	ds_read_b64 v[34:35], v33
	v_pk_mov_b32 v[10:11], s[18:19], s[18:19] op_sel:[0,1]
	s_mov_b64 s[30:31], 0
	s_waitcnt lgkmcnt(1)
	v_mul_lo_u32 v33, s26, v9
	v_mul_lo_u32 v36, s27, v8
	v_mad_u64_u32 v[8:9], s[8:9], s26, v8, v[10:11]
	v_add3_u32 v9, v36, v9, v33
	s_waitcnt lgkmcnt(0)
	v_mul_lo_u32 v33, s26, v35
	v_mul_lo_u32 v35, s27, v34
	v_mad_u64_u32 v[10:11], s[8:9], s26, v34, v[10:11]
	v_add3_u32 v11, v35, v11, v33
	s_mov_b64 s[38:39], s[16:17]
                                        ; implicit-def: $sgpr28_sgpr29
                                        ; implicit-def: $sgpr34_sgpr35
                                        ; implicit-def: $sgpr36_sgpr37
                                        ; implicit-def: $sgpr8_sgpr9
                                        ; implicit-def: $sgpr40_sgpr41
	s_branch .LBB385_645
.LBB385_644:                            ;   in Loop: Header=BB385_645 Depth=2
	s_or_b64 exec, exec, s[42:43]
	s_and_b64 s[10:11], exec, s[34:35]
	s_or_b64 s[30:31], s[10:11], s[30:31]
	s_andn2_b64 s[10:11], s[40:41], exec
	s_and_b64 s[40:41], s[36:37], exec
	s_or_b64 s[40:41], s[10:11], s[40:41]
	s_andn2_b64 s[10:11], s[28:29], exec
	s_and_b64 s[28:29], s[8:9], exec
	s_or_b64 s[28:29], s[10:11], s[28:29]
	s_andn2_b64 exec, exec, s[30:31]
	s_cbranch_execz .LBB385_640
.LBB385_645:                            ;   Parent Loop BB385_642 Depth=1
                                        ; =>  This Inner Loop Header: Depth=2
	global_load_dword v33, v[8:9], off
	global_load_dword v34, v[10:11], off
	s_andn2_b64 s[42:43], s[8:9], exec
	s_andn2_b64 s[36:37], s[36:37], exec
	s_or_b64 s[34:35], s[34:35], exec
	s_waitcnt vmcnt(0)
	v_cmp_le_i32_e64 s[8:9], v33, v34
	v_cmp_lt_i32_e32 vcc, v33, v34
	s_and_b64 s[8:9], s[8:9], s[40:41]
	s_or_b64 s[44:45], vcc, s[8:9]
	s_and_b64 s[8:9], s[44:45], exec
	v_cmp_eq_u32_e64 s[10:11], v33, v34
	s_or_b64 s[8:9], s[42:43], s[8:9]
	s_and_saveexec_b64 s[42:43], s[10:11]
	s_cbranch_execz .LBB385_644
; %bb.646:                              ;   in Loop: Header=BB385_645 Depth=2
	s_add_u32 s38, s38, -1
	s_addc_u32 s39, s39, -1
	v_add_co_u32_e32 v8, vcc, 4, v8
	s_cmp_eq_u64 s[38:39], 0
	v_addc_co_u32_e32 v9, vcc, 0, v9, vcc
	s_cselect_b64 s[10:11], -1, 0
	v_add_co_u32_e32 v10, vcc, 4, v10
	s_andn2_b64 s[36:37], s[36:37], exec
	s_and_b64 s[40:41], s[44:45], exec
	s_andn2_b64 s[34:35], s[34:35], exec
	s_and_b64 s[10:11], s[10:11], exec
	v_addc_co_u32_e32 v11, vcc, 0, v11, vcc
	s_andn2_b64 s[8:9], s[8:9], exec
	s_or_b64 s[36:37], s[36:37], s[40:41]
	s_or_b64 s[34:35], s[34:35], s[10:11]
                                        ; implicit-def: $sgpr40_sgpr41
	s_branch .LBB385_644
.LBB385_647:
	s_or_b64 exec, exec, s[14:15]
.LBB385_648:
	s_or_b64 exec, exec, s[12:13]
	v_add_u32_e32 v9, v22, v29
	v_add_u32_e32 v8, v25, v28
	v_sub_u32_e32 v9, v9, v25
	v_cmp_le_u32_e32 vcc, v8, v22
	v_cmp_le_u32_e64 s[6:7], v9, v23
	s_or_b64 s[6:7], vcc, s[6:7]
	s_and_saveexec_b64 s[10:11], s[6:7]
	s_cbranch_execz .LBB385_695
; %bb.649:
	v_cmp_ge_u32_e32 vcc, v8, v22
	v_cmp_lt_u32_e64 s[6:7], v8, v22
                                        ; implicit-def: $vgpr0_vgpr1
	s_and_saveexec_b64 s[8:9], s[6:7]
	s_cbranch_execz .LBB385_651
; %bb.650:
	v_lshl_add_u32 v0, v25, 3, v24
	ds_read_b64 v[0:1], v0
.LBB385_651:
	s_or_b64 exec, exec, s[8:9]
	v_cmp_ge_u32_e64 s[12:13], v9, v23
	v_cmp_lt_u32_e64 s[6:7], v9, v23
                                        ; implicit-def: $vgpr2_vgpr3
	s_and_saveexec_b64 s[8:9], s[6:7]
	s_cbranch_execz .LBB385_653
; %bb.652:
	v_lshl_add_u32 v2, v9, 3, v18
	ds_read_b64 v[2:3], v2
.LBB385_653:
	s_or_b64 exec, exec, s[8:9]
	s_or_b64 s[6:7], vcc, s[12:13]
	s_mov_b64 s[14:15], -1
	s_xor_b64 s[6:7], s[6:7], -1
	s_and_saveexec_b64 s[26:27], s[6:7]
	s_cbranch_execz .LBB385_662
; %bb.654:
	s_andn2_b64 vcc, exec, s[22:23]
	s_cbranch_vccnz .LBB385_660
; %bb.655:
	s_waitcnt lgkmcnt(0)
	v_mul_lo_u32 v6, v3, s16
	v_mul_lo_u32 v7, v2, s17
	v_mad_u64_u32 v[4:5], s[6:7], v2, s16, 0
	v_add3_u32 v5, v5, v7, v6
	v_lshlrev_b64 v[4:5], 2, v[4:5]
	v_mov_b32_e32 v6, s19
	v_add_co_u32_e32 v4, vcc, s18, v4
	v_addc_co_u32_e32 v5, vcc, v6, v5, vcc
	v_mul_lo_u32 v10, v1, s16
	v_mul_lo_u32 v11, v0, s17
	v_mad_u64_u32 v[6:7], s[6:7], v0, s16, 0
	v_add3_u32 v7, v7, v11, v10
	v_lshlrev_b64 v[6:7], 2, v[6:7]
	v_mov_b32_e32 v10, s19
	v_add_co_u32_e32 v6, vcc, s18, v6
	v_addc_co_u32_e32 v7, vcc, v10, v7, vcc
	s_mov_b64 s[28:29], 0
	s_mov_b64 s[38:39], s[16:17]
                                        ; implicit-def: $sgpr30_sgpr31
                                        ; implicit-def: $sgpr34_sgpr35
                                        ; implicit-def: $sgpr6_sgpr7
                                        ; implicit-def: $sgpr36_sgpr37
                                        ; implicit-def: $sgpr40_sgpr41
	s_branch .LBB385_657
.LBB385_656:                            ;   in Loop: Header=BB385_657 Depth=1
	s_or_b64 exec, exec, s[42:43]
	s_and_b64 s[8:9], exec, s[34:35]
	s_or_b64 s[28:29], s[8:9], s[28:29]
	s_andn2_b64 s[8:9], s[40:41], exec
	s_and_b64 s[40:41], s[36:37], exec
	s_or_b64 s[40:41], s[8:9], s[40:41]
	s_andn2_b64 s[8:9], s[30:31], exec
	s_and_b64 s[30:31], s[6:7], exec
	s_or_b64 s[30:31], s[8:9], s[30:31]
	s_andn2_b64 exec, exec, s[28:29]
	s_cbranch_execz .LBB385_659
.LBB385_657:                            ; =>This Inner Loop Header: Depth=1
	global_load_dword v10, v[4:5], off
	global_load_dword v11, v[6:7], off
	s_andn2_b64 s[42:43], s[6:7], exec
	s_andn2_b64 s[36:37], s[36:37], exec
	s_or_b64 s[34:35], s[34:35], exec
	s_waitcnt vmcnt(0)
	v_cmp_le_i32_e64 s[6:7], v10, v11
	v_cmp_lt_i32_e32 vcc, v10, v11
	s_and_b64 s[6:7], s[6:7], s[40:41]
	s_or_b64 s[44:45], vcc, s[6:7]
	s_and_b64 s[6:7], s[44:45], exec
	v_cmp_eq_u32_e64 s[8:9], v10, v11
	s_or_b64 s[6:7], s[42:43], s[6:7]
	s_and_saveexec_b64 s[42:43], s[8:9]
	s_cbranch_execz .LBB385_656
; %bb.658:                              ;   in Loop: Header=BB385_657 Depth=1
	s_add_u32 s38, s38, -1
	s_addc_u32 s39, s39, -1
	v_add_co_u32_e32 v4, vcc, 4, v4
	s_cmp_eq_u64 s[38:39], 0
	v_addc_co_u32_e32 v5, vcc, 0, v5, vcc
	s_cselect_b64 s[8:9], -1, 0
	v_add_co_u32_e32 v6, vcc, 4, v6
	s_andn2_b64 s[36:37], s[36:37], exec
	s_and_b64 s[40:41], s[44:45], exec
	s_andn2_b64 s[34:35], s[34:35], exec
	s_and_b64 s[8:9], s[8:9], exec
	v_addc_co_u32_e32 v7, vcc, 0, v7, vcc
	s_or_b64 s[36:37], s[36:37], s[40:41]
	s_andn2_b64 s[6:7], s[6:7], exec
	s_or_b64 s[34:35], s[34:35], s[8:9]
                                        ; implicit-def: $sgpr40_sgpr41
	s_branch .LBB385_656
.LBB385_659:
	s_or_b64 exec, exec, s[28:29]
	s_xor_b64 s[6:7], s[30:31], -1
	s_branch .LBB385_661
.LBB385_660:
	s_mov_b64 s[6:7], -1
.LBB385_661:
	s_andn2_b64 s[8:9], s[12:13], exec
	s_and_b64 s[6:7], s[6:7], exec
	s_or_b64 s[12:13], s[8:9], s[6:7]
.LBB385_662:
	s_or_b64 exec, exec, s[26:27]
	v_cndmask_b32_e64 v4, v9, v8, s[12:13]
	v_cndmask_b32_e64 v5, v23, v22, s[12:13]
	v_add_u32_e32 v6, 1, v4
	v_add_u32_e32 v4, -1, v5
	v_min_u32_e32 v4, v6, v4
	v_lshl_add_u32 v4, v4, 3, v18
	ds_read_b64 v[4:5], v4
	v_cndmask_b32_e64 v9, v6, v9, s[12:13]
	v_cndmask_b32_e64 v8, v8, v6, s[12:13]
	v_cmp_lt_u32_e32 vcc, v9, v23
	s_waitcnt lgkmcnt(0)
	v_cndmask_b32_e64 v24, v5, v3, s[12:13]
	v_cndmask_b32_e64 v25, v4, v2, s[12:13]
	;; [unrolled: 1-line block ×4, first 2 shown]
	s_and_saveexec_b64 s[26:27], vcc
	s_cbranch_execz .LBB385_673
; %bb.663:
	v_cmp_lt_u32_e32 vcc, v8, v22
	s_mov_b64 s[6:7], 0
	s_and_saveexec_b64 s[14:15], vcc
	s_cbranch_execz .LBB385_672
; %bb.664:
	s_andn2_b64 vcc, exec, s[22:23]
	s_cbranch_vccnz .LBB385_670
; %bb.665:
	v_mul_lo_u32 v6, v24, s16
	v_mul_lo_u32 v7, v25, s17
	v_mad_u64_u32 v[4:5], s[6:7], v25, s16, 0
	v_add3_u32 v5, v5, v7, v6
	v_lshlrev_b64 v[4:5], 2, v[4:5]
	v_mov_b32_e32 v6, s19
	v_add_co_u32_e32 v4, vcc, s18, v4
	v_addc_co_u32_e32 v5, vcc, v6, v5, vcc
	v_mul_lo_u32 v10, v28, s16
	v_mul_lo_u32 v11, v29, s17
	v_mad_u64_u32 v[6:7], s[6:7], v29, s16, 0
	v_add3_u32 v7, v7, v11, v10
	v_lshlrev_b64 v[6:7], 2, v[6:7]
	v_mov_b32_e32 v10, s19
	v_add_co_u32_e32 v6, vcc, s18, v6
	v_addc_co_u32_e32 v7, vcc, v10, v7, vcc
	s_mov_b64 s[28:29], 0
	s_mov_b64 s[38:39], s[16:17]
                                        ; implicit-def: $sgpr30_sgpr31
                                        ; implicit-def: $sgpr34_sgpr35
                                        ; implicit-def: $sgpr6_sgpr7
                                        ; implicit-def: $sgpr36_sgpr37
                                        ; implicit-def: $sgpr40_sgpr41
	s_branch .LBB385_667
.LBB385_666:                            ;   in Loop: Header=BB385_667 Depth=1
	s_or_b64 exec, exec, s[42:43]
	s_and_b64 s[8:9], exec, s[34:35]
	s_or_b64 s[28:29], s[8:9], s[28:29]
	s_andn2_b64 s[8:9], s[40:41], exec
	s_and_b64 s[40:41], s[36:37], exec
	s_or_b64 s[40:41], s[8:9], s[40:41]
	s_andn2_b64 s[8:9], s[30:31], exec
	s_and_b64 s[30:31], s[6:7], exec
	s_or_b64 s[30:31], s[8:9], s[30:31]
	s_andn2_b64 exec, exec, s[28:29]
	s_cbranch_execz .LBB385_669
.LBB385_667:                            ; =>This Inner Loop Header: Depth=1
	global_load_dword v10, v[4:5], off
	global_load_dword v11, v[6:7], off
	s_andn2_b64 s[42:43], s[6:7], exec
	s_andn2_b64 s[36:37], s[36:37], exec
	s_or_b64 s[34:35], s[34:35], exec
	s_waitcnt vmcnt(0)
	v_cmp_le_i32_e64 s[6:7], v10, v11
	v_cmp_lt_i32_e32 vcc, v10, v11
	s_and_b64 s[6:7], s[6:7], s[40:41]
	s_or_b64 s[44:45], vcc, s[6:7]
	s_and_b64 s[6:7], s[44:45], exec
	v_cmp_eq_u32_e64 s[8:9], v10, v11
	s_or_b64 s[6:7], s[42:43], s[6:7]
	s_and_saveexec_b64 s[42:43], s[8:9]
	s_cbranch_execz .LBB385_666
; %bb.668:                              ;   in Loop: Header=BB385_667 Depth=1
	s_add_u32 s38, s38, -1
	s_addc_u32 s39, s39, -1
	v_add_co_u32_e32 v4, vcc, 4, v4
	s_cmp_eq_u64 s[38:39], 0
	v_addc_co_u32_e32 v5, vcc, 0, v5, vcc
	s_cselect_b64 s[8:9], -1, 0
	v_add_co_u32_e32 v6, vcc, 4, v6
	s_andn2_b64 s[36:37], s[36:37], exec
	s_and_b64 s[40:41], s[44:45], exec
	s_andn2_b64 s[34:35], s[34:35], exec
	s_and_b64 s[8:9], s[8:9], exec
	v_addc_co_u32_e32 v7, vcc, 0, v7, vcc
	s_or_b64 s[36:37], s[36:37], s[40:41]
	s_andn2_b64 s[6:7], s[6:7], exec
	s_or_b64 s[34:35], s[34:35], s[8:9]
                                        ; implicit-def: $sgpr40_sgpr41
	s_branch .LBB385_666
.LBB385_669:
	s_or_b64 exec, exec, s[28:29]
	s_xor_b64 s[6:7], s[30:31], -1
	s_branch .LBB385_671
.LBB385_670:
	s_mov_b64 s[6:7], -1
.LBB385_671:
	s_and_b64 s[6:7], s[6:7], exec
.LBB385_672:
	s_or_b64 exec, exec, s[14:15]
	s_orn2_b64 s[14:15], s[6:7], exec
.LBB385_673:
	s_or_b64 exec, exec, s[26:27]
	v_cndmask_b32_e64 v4, v9, v8, s[14:15]
	v_cndmask_b32_e64 v5, v23, v22, s[14:15]
	v_add_u32_e32 v6, 1, v4
	v_add_u32_e32 v4, -1, v5
	v_min_u32_e32 v4, v6, v4
	v_lshl_add_u32 v4, v4, 3, v18
	ds_read_b64 v[4:5], v4
	v_cndmask_b32_e64 v9, v6, v9, s[14:15]
	v_cndmask_b32_e64 v8, v8, v6, s[14:15]
	v_cmp_lt_u32_e32 vcc, v9, v23
	s_mov_b64 s[26:27], -1
	s_waitcnt lgkmcnt(0)
	v_cndmask_b32_e64 v30, v5, v24, s[14:15]
	v_cndmask_b32_e64 v31, v4, v25, s[14:15]
	;; [unrolled: 1-line block ×4, first 2 shown]
	s_and_saveexec_b64 s[28:29], vcc
	s_cbranch_execz .LBB385_684
; %bb.674:
	v_cmp_lt_u32_e32 vcc, v8, v22
	s_mov_b64 s[6:7], 0
	s_and_saveexec_b64 s[26:27], vcc
	s_cbranch_execz .LBB385_683
; %bb.675:
	s_andn2_b64 vcc, exec, s[22:23]
	s_cbranch_vccnz .LBB385_681
; %bb.676:
	v_mul_lo_u32 v6, v30, s16
	v_mul_lo_u32 v7, v31, s17
	v_mad_u64_u32 v[4:5], s[6:7], v31, s16, 0
	v_add3_u32 v5, v5, v7, v6
	v_lshlrev_b64 v[4:5], 2, v[4:5]
	v_mov_b32_e32 v6, s19
	v_add_co_u32_e32 v4, vcc, s18, v4
	v_addc_co_u32_e32 v5, vcc, v6, v5, vcc
	v_mul_lo_u32 v10, v32, s16
	v_mul_lo_u32 v11, v33, s17
	v_mad_u64_u32 v[6:7], s[6:7], v33, s16, 0
	v_add3_u32 v7, v7, v11, v10
	v_lshlrev_b64 v[6:7], 2, v[6:7]
	v_mov_b32_e32 v10, s19
	v_add_co_u32_e32 v6, vcc, s18, v6
	v_addc_co_u32_e32 v7, vcc, v10, v7, vcc
	s_mov_b64 s[30:31], 0
	s_mov_b64 s[40:41], s[16:17]
                                        ; implicit-def: $sgpr34_sgpr35
                                        ; implicit-def: $sgpr36_sgpr37
                                        ; implicit-def: $sgpr6_sgpr7
                                        ; implicit-def: $sgpr38_sgpr39
                                        ; implicit-def: $sgpr42_sgpr43
	s_branch .LBB385_678
.LBB385_677:                            ;   in Loop: Header=BB385_678 Depth=1
	s_or_b64 exec, exec, s[44:45]
	s_and_b64 s[8:9], exec, s[36:37]
	s_or_b64 s[30:31], s[8:9], s[30:31]
	s_andn2_b64 s[8:9], s[42:43], exec
	s_and_b64 s[42:43], s[38:39], exec
	s_or_b64 s[42:43], s[8:9], s[42:43]
	s_andn2_b64 s[8:9], s[34:35], exec
	s_and_b64 s[34:35], s[6:7], exec
	s_or_b64 s[34:35], s[8:9], s[34:35]
	s_andn2_b64 exec, exec, s[30:31]
	s_cbranch_execz .LBB385_680
.LBB385_678:                            ; =>This Inner Loop Header: Depth=1
	global_load_dword v10, v[4:5], off
	global_load_dword v11, v[6:7], off
	s_andn2_b64 s[44:45], s[6:7], exec
	s_andn2_b64 s[38:39], s[38:39], exec
	s_or_b64 s[36:37], s[36:37], exec
	s_waitcnt vmcnt(0)
	v_cmp_le_i32_e64 s[6:7], v10, v11
	v_cmp_lt_i32_e32 vcc, v10, v11
	s_and_b64 s[6:7], s[6:7], s[42:43]
	s_or_b64 s[46:47], vcc, s[6:7]
	s_and_b64 s[6:7], s[46:47], exec
	v_cmp_eq_u32_e64 s[8:9], v10, v11
	s_or_b64 s[6:7], s[44:45], s[6:7]
	s_and_saveexec_b64 s[44:45], s[8:9]
	s_cbranch_execz .LBB385_677
; %bb.679:                              ;   in Loop: Header=BB385_678 Depth=1
	s_add_u32 s40, s40, -1
	s_addc_u32 s41, s41, -1
	v_add_co_u32_e32 v4, vcc, 4, v4
	s_cmp_eq_u64 s[40:41], 0
	v_addc_co_u32_e32 v5, vcc, 0, v5, vcc
	s_cselect_b64 s[8:9], -1, 0
	v_add_co_u32_e32 v6, vcc, 4, v6
	s_andn2_b64 s[38:39], s[38:39], exec
	s_and_b64 s[42:43], s[46:47], exec
	s_andn2_b64 s[36:37], s[36:37], exec
	s_and_b64 s[8:9], s[8:9], exec
	v_addc_co_u32_e32 v7, vcc, 0, v7, vcc
	s_or_b64 s[38:39], s[38:39], s[42:43]
	s_andn2_b64 s[6:7], s[6:7], exec
	s_or_b64 s[36:37], s[36:37], s[8:9]
                                        ; implicit-def: $sgpr42_sgpr43
	s_branch .LBB385_677
.LBB385_680:
	s_or_b64 exec, exec, s[30:31]
	s_xor_b64 s[6:7], s[34:35], -1
	s_branch .LBB385_682
.LBB385_681:
	s_mov_b64 s[6:7], -1
.LBB385_682:
	s_and_b64 s[6:7], s[6:7], exec
.LBB385_683:
	s_or_b64 exec, exec, s[26:27]
	s_orn2_b64 s[26:27], s[6:7], exec
.LBB385_684:
	s_or_b64 exec, exec, s[28:29]
	v_cndmask_b32_e64 v4, v9, v8, s[26:27]
	v_cndmask_b32_e64 v5, v23, v22, s[26:27]
	v_add_u32_e32 v10, 1, v4
	v_add_u32_e32 v4, -1, v5
	v_min_u32_e32 v4, v10, v4
	v_lshl_add_u32 v4, v4, 3, v18
	ds_read_b64 v[4:5], v4
	v_cndmask_b32_e64 v9, v10, v9, s[26:27]
	v_cmp_lt_u32_e32 vcc, v9, v23
	s_waitcnt lgkmcnt(0)
	v_cndmask_b32_e64 v7, v32, v5, s[26:27]
	v_cndmask_b32_e64 v6, v33, v4, s[26:27]
	s_and_saveexec_b64 s[28:29], vcc
	s_cbranch_execz .LBB385_694
; %bb.685:
	v_cndmask_b32_e64 v8, v8, v10, s[26:27]
	v_cndmask_b32_e64 v5, v5, v30, s[26:27]
	v_cndmask_b32_e64 v4, v4, v31, s[26:27]
	v_cmp_lt_u32_e32 vcc, v8, v22
	s_and_saveexec_b64 s[30:31], vcc
	s_cbranch_execz .LBB385_693
; %bb.686:
	s_andn2_b64 vcc, exec, s[22:23]
	s_cbranch_vccnz .LBB385_692
; %bb.687:
	v_mul_lo_u32 v10, v5, s16
	v_mul_lo_u32 v11, v4, s17
	v_mad_u64_u32 v[8:9], s[6:7], v4, s16, 0
	v_add3_u32 v9, v9, v11, v10
	v_lshlrev_b64 v[8:9], 2, v[8:9]
	v_mov_b32_e32 v10, s19
	v_add_co_u32_e32 v8, vcc, s18, v8
	v_addc_co_u32_e32 v9, vcc, v10, v9, vcc
	v_mul_lo_u32 v22, v7, s16
	v_mul_lo_u32 v23, v6, s17
	v_mad_u64_u32 v[10:11], s[6:7], v6, s16, 0
	v_add3_u32 v11, v11, v23, v22
	v_lshlrev_b64 v[10:11], 2, v[10:11]
	v_mov_b32_e32 v22, s19
	v_add_co_u32_e32 v10, vcc, s18, v10
	v_addc_co_u32_e32 v11, vcc, v22, v11, vcc
	s_mov_b64 s[34:35], 0
	s_mov_b64 s[42:43], s[16:17]
                                        ; implicit-def: $sgpr36_sgpr37
                                        ; implicit-def: $sgpr38_sgpr39
                                        ; implicit-def: $sgpr6_sgpr7
                                        ; implicit-def: $sgpr40_sgpr41
                                        ; implicit-def: $sgpr44_sgpr45
	s_branch .LBB385_689
.LBB385_688:                            ;   in Loop: Header=BB385_689 Depth=1
	s_or_b64 exec, exec, s[46:47]
	s_and_b64 s[8:9], exec, s[38:39]
	s_or_b64 s[34:35], s[8:9], s[34:35]
	s_andn2_b64 s[8:9], s[44:45], exec
	s_and_b64 s[44:45], s[40:41], exec
	s_or_b64 s[44:45], s[8:9], s[44:45]
	s_andn2_b64 s[8:9], s[36:37], exec
	s_and_b64 s[36:37], s[6:7], exec
	s_or_b64 s[36:37], s[8:9], s[36:37]
	s_andn2_b64 exec, exec, s[34:35]
	s_cbranch_execz .LBB385_691
.LBB385_689:                            ; =>This Inner Loop Header: Depth=1
	global_load_dword v22, v[8:9], off
	global_load_dword v23, v[10:11], off
	s_andn2_b64 s[46:47], s[6:7], exec
	s_andn2_b64 s[40:41], s[40:41], exec
	s_or_b64 s[38:39], s[38:39], exec
	s_waitcnt vmcnt(0)
	v_cmp_le_i32_e64 s[6:7], v22, v23
	v_cmp_lt_i32_e32 vcc, v22, v23
	s_and_b64 s[6:7], s[6:7], s[44:45]
	s_or_b64 s[48:49], vcc, s[6:7]
	s_and_b64 s[6:7], s[48:49], exec
	v_cmp_eq_u32_e64 s[8:9], v22, v23
	s_or_b64 s[6:7], s[46:47], s[6:7]
	s_and_saveexec_b64 s[46:47], s[8:9]
	s_cbranch_execz .LBB385_688
; %bb.690:                              ;   in Loop: Header=BB385_689 Depth=1
	s_add_u32 s42, s42, -1
	s_addc_u32 s43, s43, -1
	v_add_co_u32_e32 v8, vcc, 4, v8
	s_cmp_eq_u64 s[42:43], 0
	v_addc_co_u32_e32 v9, vcc, 0, v9, vcc
	s_cselect_b64 s[8:9], -1, 0
	v_add_co_u32_e32 v10, vcc, 4, v10
	s_andn2_b64 s[40:41], s[40:41], exec
	s_and_b64 s[44:45], s[48:49], exec
	s_andn2_b64 s[38:39], s[38:39], exec
	s_and_b64 s[8:9], s[8:9], exec
	v_addc_co_u32_e32 v11, vcc, 0, v11, vcc
	s_or_b64 s[40:41], s[40:41], s[44:45]
	s_andn2_b64 s[6:7], s[6:7], exec
	s_or_b64 s[38:39], s[38:39], s[8:9]
                                        ; implicit-def: $sgpr44_sgpr45
	s_branch .LBB385_688
.LBB385_691:
	s_or_b64 exec, exec, s[34:35]
	v_cndmask_b32_e64 v7, v7, v5, s[36:37]
	v_cndmask_b32_e64 v6, v6, v4, s[36:37]
.LBB385_692:
	v_pk_mov_b32 v[4:5], v[6:7], v[6:7] op_sel:[0,1]
.LBB385_693:
	s_or_b64 exec, exec, s[30:31]
	v_pk_mov_b32 v[6:7], v[4:5], v[4:5] op_sel:[0,1]
.LBB385_694:
	s_or_b64 exec, exec, s[28:29]
	v_cndmask_b32_e64 v1, v3, v1, s[12:13]
	v_cndmask_b32_e64 v0, v2, v0, s[12:13]
	;; [unrolled: 1-line block ×6, first 2 shown]
.LBB385_695:
	s_or_b64 exec, exec, s[10:11]
	v_and_b32_e32 v28, 0x1e0, v20
	v_or_b32_e32 v8, 16, v28
	v_min_u32_e32 v22, v19, v8
	v_add_u32_e32 v8, 16, v22
	v_min_u32_e32 v23, v19, v8
	v_and_b32_e32 v8, 28, v20
	v_min_u32_e32 v29, v19, v8
	v_sub_u32_e32 v8, v22, v28
	v_sub_u32_e32 v9, v23, v22
	v_sub_u32_e64 v25, v29, v9 clamp
	v_min_u32_e32 v30, v29, v8
	v_lshl_add_u32 v24, v28, 3, v18
	v_cmp_lt_u32_e32 vcc, v25, v30
	; wave barrier
	ds_write_b128 v21, v[0:3]
	ds_write_b128 v21, v[4:7] offset:16
	; wave barrier
	s_and_saveexec_b64 s[12:13], vcc
	s_cbranch_execz .LBB385_705
; %bb.696:
	v_lshlrev_b32_e32 v8, 3, v22
	v_lshlrev_b32_e32 v9, 3, v29
	v_add3_u32 v31, v18, v8, v9
	v_cndmask_b32_e64 v8, 0, 1, s[22:23]
	s_lshl_b64 s[26:27], s[16:17], 2
	s_mov_b64 s[14:15], 0
	v_cmp_ne_u32_e64 s[6:7], 1, v8
	s_branch .LBB385_699
.LBB385_697:                            ;   in Loop: Header=BB385_699 Depth=1
	s_or_b64 exec, exec, s[30:31]
.LBB385_698:                            ;   in Loop: Header=BB385_699 Depth=1
	v_add_u32_e32 v8, 1, v32
	v_cndmask_b32_e64 v30, v30, v32, s[28:29]
	v_cndmask_b32_e64 v25, v8, v25, s[28:29]
	v_cmp_ge_u32_e32 vcc, v25, v30
	s_or_b64 s[14:15], vcc, s[14:15]
	s_andn2_b64 exec, exec, s[14:15]
	s_cbranch_execz .LBB385_704
.LBB385_699:                            ; =>This Loop Header: Depth=1
                                        ;     Child Loop BB385_702 Depth 2
	v_add_u32_e32 v8, v30, v25
	v_lshrrev_b32_e32 v32, 1, v8
	s_and_b64 vcc, exec, s[6:7]
	s_mov_b64 s[28:29], 0
	s_cbranch_vccnz .LBB385_698
; %bb.700:                              ;   in Loop: Header=BB385_699 Depth=1
	v_not_b32_e32 v8, v32
	v_lshl_add_u32 v8, v8, 3, v31
	ds_read_b64 v[8:9], v8
	v_lshl_add_u32 v33, v32, 3, v24
	ds_read_b64 v[34:35], v33
	v_pk_mov_b32 v[10:11], s[18:19], s[18:19] op_sel:[0,1]
	s_mov_b64 s[30:31], 0
	s_waitcnt lgkmcnt(1)
	v_mul_lo_u32 v33, s26, v9
	v_mul_lo_u32 v36, s27, v8
	v_mad_u64_u32 v[8:9], s[8:9], s26, v8, v[10:11]
	v_add3_u32 v9, v36, v9, v33
	s_waitcnt lgkmcnt(0)
	v_mul_lo_u32 v33, s26, v35
	v_mul_lo_u32 v35, s27, v34
	v_mad_u64_u32 v[10:11], s[8:9], s26, v34, v[10:11]
	v_add3_u32 v11, v35, v11, v33
	s_mov_b64 s[38:39], s[16:17]
                                        ; implicit-def: $sgpr28_sgpr29
                                        ; implicit-def: $sgpr34_sgpr35
                                        ; implicit-def: $sgpr36_sgpr37
                                        ; implicit-def: $sgpr8_sgpr9
                                        ; implicit-def: $sgpr40_sgpr41
	s_branch .LBB385_702
.LBB385_701:                            ;   in Loop: Header=BB385_702 Depth=2
	s_or_b64 exec, exec, s[42:43]
	s_and_b64 s[10:11], exec, s[34:35]
	s_or_b64 s[30:31], s[10:11], s[30:31]
	s_andn2_b64 s[10:11], s[40:41], exec
	s_and_b64 s[40:41], s[36:37], exec
	s_or_b64 s[40:41], s[10:11], s[40:41]
	s_andn2_b64 s[10:11], s[28:29], exec
	s_and_b64 s[28:29], s[8:9], exec
	s_or_b64 s[28:29], s[10:11], s[28:29]
	s_andn2_b64 exec, exec, s[30:31]
	s_cbranch_execz .LBB385_697
.LBB385_702:                            ;   Parent Loop BB385_699 Depth=1
                                        ; =>  This Inner Loop Header: Depth=2
	global_load_dword v33, v[8:9], off
	global_load_dword v34, v[10:11], off
	s_andn2_b64 s[42:43], s[8:9], exec
	s_andn2_b64 s[36:37], s[36:37], exec
	s_or_b64 s[34:35], s[34:35], exec
	s_waitcnt vmcnt(0)
	v_cmp_le_i32_e64 s[8:9], v33, v34
	v_cmp_lt_i32_e32 vcc, v33, v34
	s_and_b64 s[8:9], s[8:9], s[40:41]
	s_or_b64 s[44:45], vcc, s[8:9]
	s_and_b64 s[8:9], s[44:45], exec
	v_cmp_eq_u32_e64 s[10:11], v33, v34
	s_or_b64 s[8:9], s[42:43], s[8:9]
	s_and_saveexec_b64 s[42:43], s[10:11]
	s_cbranch_execz .LBB385_701
; %bb.703:                              ;   in Loop: Header=BB385_702 Depth=2
	s_add_u32 s38, s38, -1
	s_addc_u32 s39, s39, -1
	v_add_co_u32_e32 v8, vcc, 4, v8
	s_cmp_eq_u64 s[38:39], 0
	v_addc_co_u32_e32 v9, vcc, 0, v9, vcc
	s_cselect_b64 s[10:11], -1, 0
	v_add_co_u32_e32 v10, vcc, 4, v10
	s_andn2_b64 s[36:37], s[36:37], exec
	s_and_b64 s[40:41], s[44:45], exec
	s_andn2_b64 s[34:35], s[34:35], exec
	s_and_b64 s[10:11], s[10:11], exec
	v_addc_co_u32_e32 v11, vcc, 0, v11, vcc
	s_andn2_b64 s[8:9], s[8:9], exec
	s_or_b64 s[36:37], s[36:37], s[40:41]
	s_or_b64 s[34:35], s[34:35], s[10:11]
                                        ; implicit-def: $sgpr40_sgpr41
	s_branch .LBB385_701
.LBB385_704:
	s_or_b64 exec, exec, s[14:15]
.LBB385_705:
	s_or_b64 exec, exec, s[12:13]
	v_add_u32_e32 v9, v22, v29
	v_add_u32_e32 v8, v25, v28
	v_sub_u32_e32 v9, v9, v25
	v_cmp_le_u32_e32 vcc, v8, v22
	v_cmp_le_u32_e64 s[6:7], v9, v23
	s_or_b64 s[6:7], vcc, s[6:7]
	s_and_saveexec_b64 s[10:11], s[6:7]
	s_cbranch_execz .LBB385_752
; %bb.706:
	v_cmp_ge_u32_e32 vcc, v8, v22
	v_cmp_lt_u32_e64 s[6:7], v8, v22
                                        ; implicit-def: $vgpr0_vgpr1
	s_and_saveexec_b64 s[8:9], s[6:7]
	s_cbranch_execz .LBB385_708
; %bb.707:
	v_lshl_add_u32 v0, v25, 3, v24
	ds_read_b64 v[0:1], v0
.LBB385_708:
	s_or_b64 exec, exec, s[8:9]
	v_cmp_ge_u32_e64 s[12:13], v9, v23
	v_cmp_lt_u32_e64 s[6:7], v9, v23
                                        ; implicit-def: $vgpr2_vgpr3
	s_and_saveexec_b64 s[8:9], s[6:7]
	s_cbranch_execz .LBB385_710
; %bb.709:
	v_lshl_add_u32 v2, v9, 3, v18
	ds_read_b64 v[2:3], v2
.LBB385_710:
	s_or_b64 exec, exec, s[8:9]
	s_or_b64 s[6:7], vcc, s[12:13]
	s_mov_b64 s[14:15], -1
	s_xor_b64 s[6:7], s[6:7], -1
	s_and_saveexec_b64 s[26:27], s[6:7]
	s_cbranch_execz .LBB385_719
; %bb.711:
	s_andn2_b64 vcc, exec, s[22:23]
	s_cbranch_vccnz .LBB385_717
; %bb.712:
	s_waitcnt lgkmcnt(0)
	v_mul_lo_u32 v6, v3, s16
	v_mul_lo_u32 v7, v2, s17
	v_mad_u64_u32 v[4:5], s[6:7], v2, s16, 0
	v_add3_u32 v5, v5, v7, v6
	v_lshlrev_b64 v[4:5], 2, v[4:5]
	v_mov_b32_e32 v6, s19
	v_add_co_u32_e32 v4, vcc, s18, v4
	v_addc_co_u32_e32 v5, vcc, v6, v5, vcc
	v_mul_lo_u32 v10, v1, s16
	v_mul_lo_u32 v11, v0, s17
	v_mad_u64_u32 v[6:7], s[6:7], v0, s16, 0
	v_add3_u32 v7, v7, v11, v10
	v_lshlrev_b64 v[6:7], 2, v[6:7]
	v_mov_b32_e32 v10, s19
	v_add_co_u32_e32 v6, vcc, s18, v6
	v_addc_co_u32_e32 v7, vcc, v10, v7, vcc
	s_mov_b64 s[28:29], 0
	s_mov_b64 s[38:39], s[16:17]
                                        ; implicit-def: $sgpr30_sgpr31
                                        ; implicit-def: $sgpr34_sgpr35
                                        ; implicit-def: $sgpr6_sgpr7
                                        ; implicit-def: $sgpr36_sgpr37
                                        ; implicit-def: $sgpr40_sgpr41
	s_branch .LBB385_714
.LBB385_713:                            ;   in Loop: Header=BB385_714 Depth=1
	s_or_b64 exec, exec, s[42:43]
	s_and_b64 s[8:9], exec, s[34:35]
	s_or_b64 s[28:29], s[8:9], s[28:29]
	s_andn2_b64 s[8:9], s[40:41], exec
	s_and_b64 s[40:41], s[36:37], exec
	s_or_b64 s[40:41], s[8:9], s[40:41]
	s_andn2_b64 s[8:9], s[30:31], exec
	s_and_b64 s[30:31], s[6:7], exec
	s_or_b64 s[30:31], s[8:9], s[30:31]
	s_andn2_b64 exec, exec, s[28:29]
	s_cbranch_execz .LBB385_716
.LBB385_714:                            ; =>This Inner Loop Header: Depth=1
	global_load_dword v10, v[4:5], off
	global_load_dword v11, v[6:7], off
	s_andn2_b64 s[42:43], s[6:7], exec
	s_andn2_b64 s[36:37], s[36:37], exec
	s_or_b64 s[34:35], s[34:35], exec
	s_waitcnt vmcnt(0)
	v_cmp_le_i32_e64 s[6:7], v10, v11
	v_cmp_lt_i32_e32 vcc, v10, v11
	s_and_b64 s[6:7], s[6:7], s[40:41]
	s_or_b64 s[44:45], vcc, s[6:7]
	s_and_b64 s[6:7], s[44:45], exec
	v_cmp_eq_u32_e64 s[8:9], v10, v11
	s_or_b64 s[6:7], s[42:43], s[6:7]
	s_and_saveexec_b64 s[42:43], s[8:9]
	s_cbranch_execz .LBB385_713
; %bb.715:                              ;   in Loop: Header=BB385_714 Depth=1
	s_add_u32 s38, s38, -1
	s_addc_u32 s39, s39, -1
	v_add_co_u32_e32 v4, vcc, 4, v4
	s_cmp_eq_u64 s[38:39], 0
	v_addc_co_u32_e32 v5, vcc, 0, v5, vcc
	s_cselect_b64 s[8:9], -1, 0
	v_add_co_u32_e32 v6, vcc, 4, v6
	s_andn2_b64 s[36:37], s[36:37], exec
	s_and_b64 s[40:41], s[44:45], exec
	s_andn2_b64 s[34:35], s[34:35], exec
	s_and_b64 s[8:9], s[8:9], exec
	v_addc_co_u32_e32 v7, vcc, 0, v7, vcc
	s_or_b64 s[36:37], s[36:37], s[40:41]
	s_andn2_b64 s[6:7], s[6:7], exec
	s_or_b64 s[34:35], s[34:35], s[8:9]
                                        ; implicit-def: $sgpr40_sgpr41
	s_branch .LBB385_713
.LBB385_716:
	s_or_b64 exec, exec, s[28:29]
	s_xor_b64 s[6:7], s[30:31], -1
	s_branch .LBB385_718
.LBB385_717:
	s_mov_b64 s[6:7], -1
.LBB385_718:
	s_andn2_b64 s[8:9], s[12:13], exec
	s_and_b64 s[6:7], s[6:7], exec
	s_or_b64 s[12:13], s[8:9], s[6:7]
.LBB385_719:
	s_or_b64 exec, exec, s[26:27]
	v_cndmask_b32_e64 v4, v9, v8, s[12:13]
	v_cndmask_b32_e64 v5, v23, v22, s[12:13]
	v_add_u32_e32 v6, 1, v4
	v_add_u32_e32 v4, -1, v5
	v_min_u32_e32 v4, v6, v4
	v_lshl_add_u32 v4, v4, 3, v18
	ds_read_b64 v[4:5], v4
	v_cndmask_b32_e64 v9, v6, v9, s[12:13]
	v_cndmask_b32_e64 v8, v8, v6, s[12:13]
	v_cmp_lt_u32_e32 vcc, v9, v23
	s_waitcnt lgkmcnt(0)
	v_cndmask_b32_e64 v24, v5, v3, s[12:13]
	v_cndmask_b32_e64 v25, v4, v2, s[12:13]
	;; [unrolled: 1-line block ×4, first 2 shown]
	s_and_saveexec_b64 s[26:27], vcc
	s_cbranch_execz .LBB385_730
; %bb.720:
	v_cmp_lt_u32_e32 vcc, v8, v22
	s_mov_b64 s[6:7], 0
	s_and_saveexec_b64 s[14:15], vcc
	s_cbranch_execz .LBB385_729
; %bb.721:
	s_andn2_b64 vcc, exec, s[22:23]
	s_cbranch_vccnz .LBB385_727
; %bb.722:
	v_mul_lo_u32 v6, v24, s16
	v_mul_lo_u32 v7, v25, s17
	v_mad_u64_u32 v[4:5], s[6:7], v25, s16, 0
	v_add3_u32 v5, v5, v7, v6
	v_lshlrev_b64 v[4:5], 2, v[4:5]
	v_mov_b32_e32 v6, s19
	v_add_co_u32_e32 v4, vcc, s18, v4
	v_addc_co_u32_e32 v5, vcc, v6, v5, vcc
	v_mul_lo_u32 v10, v28, s16
	v_mul_lo_u32 v11, v29, s17
	v_mad_u64_u32 v[6:7], s[6:7], v29, s16, 0
	v_add3_u32 v7, v7, v11, v10
	v_lshlrev_b64 v[6:7], 2, v[6:7]
	v_mov_b32_e32 v10, s19
	v_add_co_u32_e32 v6, vcc, s18, v6
	v_addc_co_u32_e32 v7, vcc, v10, v7, vcc
	s_mov_b64 s[28:29], 0
	s_mov_b64 s[38:39], s[16:17]
                                        ; implicit-def: $sgpr30_sgpr31
                                        ; implicit-def: $sgpr34_sgpr35
                                        ; implicit-def: $sgpr6_sgpr7
                                        ; implicit-def: $sgpr36_sgpr37
                                        ; implicit-def: $sgpr40_sgpr41
	s_branch .LBB385_724
.LBB385_723:                            ;   in Loop: Header=BB385_724 Depth=1
	s_or_b64 exec, exec, s[42:43]
	s_and_b64 s[8:9], exec, s[34:35]
	s_or_b64 s[28:29], s[8:9], s[28:29]
	s_andn2_b64 s[8:9], s[40:41], exec
	s_and_b64 s[40:41], s[36:37], exec
	s_or_b64 s[40:41], s[8:9], s[40:41]
	s_andn2_b64 s[8:9], s[30:31], exec
	s_and_b64 s[30:31], s[6:7], exec
	s_or_b64 s[30:31], s[8:9], s[30:31]
	s_andn2_b64 exec, exec, s[28:29]
	s_cbranch_execz .LBB385_726
.LBB385_724:                            ; =>This Inner Loop Header: Depth=1
	global_load_dword v10, v[4:5], off
	global_load_dword v11, v[6:7], off
	s_andn2_b64 s[42:43], s[6:7], exec
	s_andn2_b64 s[36:37], s[36:37], exec
	s_or_b64 s[34:35], s[34:35], exec
	s_waitcnt vmcnt(0)
	v_cmp_le_i32_e64 s[6:7], v10, v11
	v_cmp_lt_i32_e32 vcc, v10, v11
	s_and_b64 s[6:7], s[6:7], s[40:41]
	s_or_b64 s[44:45], vcc, s[6:7]
	s_and_b64 s[6:7], s[44:45], exec
	v_cmp_eq_u32_e64 s[8:9], v10, v11
	s_or_b64 s[6:7], s[42:43], s[6:7]
	s_and_saveexec_b64 s[42:43], s[8:9]
	s_cbranch_execz .LBB385_723
; %bb.725:                              ;   in Loop: Header=BB385_724 Depth=1
	s_add_u32 s38, s38, -1
	s_addc_u32 s39, s39, -1
	v_add_co_u32_e32 v4, vcc, 4, v4
	s_cmp_eq_u64 s[38:39], 0
	v_addc_co_u32_e32 v5, vcc, 0, v5, vcc
	s_cselect_b64 s[8:9], -1, 0
	v_add_co_u32_e32 v6, vcc, 4, v6
	s_andn2_b64 s[36:37], s[36:37], exec
	s_and_b64 s[40:41], s[44:45], exec
	s_andn2_b64 s[34:35], s[34:35], exec
	s_and_b64 s[8:9], s[8:9], exec
	v_addc_co_u32_e32 v7, vcc, 0, v7, vcc
	s_or_b64 s[36:37], s[36:37], s[40:41]
	s_andn2_b64 s[6:7], s[6:7], exec
	s_or_b64 s[34:35], s[34:35], s[8:9]
                                        ; implicit-def: $sgpr40_sgpr41
	s_branch .LBB385_723
.LBB385_726:
	s_or_b64 exec, exec, s[28:29]
	s_xor_b64 s[6:7], s[30:31], -1
	s_branch .LBB385_728
.LBB385_727:
	s_mov_b64 s[6:7], -1
.LBB385_728:
	s_and_b64 s[6:7], s[6:7], exec
.LBB385_729:
	s_or_b64 exec, exec, s[14:15]
	s_orn2_b64 s[14:15], s[6:7], exec
.LBB385_730:
	s_or_b64 exec, exec, s[26:27]
	v_cndmask_b32_e64 v4, v9, v8, s[14:15]
	v_cndmask_b32_e64 v5, v23, v22, s[14:15]
	v_add_u32_e32 v6, 1, v4
	v_add_u32_e32 v4, -1, v5
	v_min_u32_e32 v4, v6, v4
	v_lshl_add_u32 v4, v4, 3, v18
	ds_read_b64 v[4:5], v4
	v_cndmask_b32_e64 v9, v6, v9, s[14:15]
	v_cndmask_b32_e64 v8, v8, v6, s[14:15]
	v_cmp_lt_u32_e32 vcc, v9, v23
	s_mov_b64 s[26:27], -1
	s_waitcnt lgkmcnt(0)
	v_cndmask_b32_e64 v30, v5, v24, s[14:15]
	v_cndmask_b32_e64 v31, v4, v25, s[14:15]
	;; [unrolled: 1-line block ×4, first 2 shown]
	s_and_saveexec_b64 s[28:29], vcc
	s_cbranch_execz .LBB385_741
; %bb.731:
	v_cmp_lt_u32_e32 vcc, v8, v22
	s_mov_b64 s[6:7], 0
	s_and_saveexec_b64 s[26:27], vcc
	s_cbranch_execz .LBB385_740
; %bb.732:
	s_andn2_b64 vcc, exec, s[22:23]
	s_cbranch_vccnz .LBB385_738
; %bb.733:
	v_mul_lo_u32 v6, v30, s16
	v_mul_lo_u32 v7, v31, s17
	v_mad_u64_u32 v[4:5], s[6:7], v31, s16, 0
	v_add3_u32 v5, v5, v7, v6
	v_lshlrev_b64 v[4:5], 2, v[4:5]
	v_mov_b32_e32 v6, s19
	v_add_co_u32_e32 v4, vcc, s18, v4
	v_addc_co_u32_e32 v5, vcc, v6, v5, vcc
	v_mul_lo_u32 v10, v32, s16
	v_mul_lo_u32 v11, v33, s17
	v_mad_u64_u32 v[6:7], s[6:7], v33, s16, 0
	v_add3_u32 v7, v7, v11, v10
	v_lshlrev_b64 v[6:7], 2, v[6:7]
	v_mov_b32_e32 v10, s19
	v_add_co_u32_e32 v6, vcc, s18, v6
	v_addc_co_u32_e32 v7, vcc, v10, v7, vcc
	s_mov_b64 s[30:31], 0
	s_mov_b64 s[40:41], s[16:17]
                                        ; implicit-def: $sgpr34_sgpr35
                                        ; implicit-def: $sgpr36_sgpr37
                                        ; implicit-def: $sgpr6_sgpr7
                                        ; implicit-def: $sgpr38_sgpr39
                                        ; implicit-def: $sgpr42_sgpr43
	s_branch .LBB385_735
.LBB385_734:                            ;   in Loop: Header=BB385_735 Depth=1
	s_or_b64 exec, exec, s[44:45]
	s_and_b64 s[8:9], exec, s[36:37]
	s_or_b64 s[30:31], s[8:9], s[30:31]
	s_andn2_b64 s[8:9], s[42:43], exec
	s_and_b64 s[42:43], s[38:39], exec
	s_or_b64 s[42:43], s[8:9], s[42:43]
	s_andn2_b64 s[8:9], s[34:35], exec
	s_and_b64 s[34:35], s[6:7], exec
	s_or_b64 s[34:35], s[8:9], s[34:35]
	s_andn2_b64 exec, exec, s[30:31]
	s_cbranch_execz .LBB385_737
.LBB385_735:                            ; =>This Inner Loop Header: Depth=1
	global_load_dword v10, v[4:5], off
	global_load_dword v11, v[6:7], off
	s_andn2_b64 s[44:45], s[6:7], exec
	s_andn2_b64 s[38:39], s[38:39], exec
	s_or_b64 s[36:37], s[36:37], exec
	s_waitcnt vmcnt(0)
	v_cmp_le_i32_e64 s[6:7], v10, v11
	v_cmp_lt_i32_e32 vcc, v10, v11
	s_and_b64 s[6:7], s[6:7], s[42:43]
	s_or_b64 s[46:47], vcc, s[6:7]
	s_and_b64 s[6:7], s[46:47], exec
	v_cmp_eq_u32_e64 s[8:9], v10, v11
	s_or_b64 s[6:7], s[44:45], s[6:7]
	s_and_saveexec_b64 s[44:45], s[8:9]
	s_cbranch_execz .LBB385_734
; %bb.736:                              ;   in Loop: Header=BB385_735 Depth=1
	s_add_u32 s40, s40, -1
	s_addc_u32 s41, s41, -1
	v_add_co_u32_e32 v4, vcc, 4, v4
	s_cmp_eq_u64 s[40:41], 0
	v_addc_co_u32_e32 v5, vcc, 0, v5, vcc
	s_cselect_b64 s[8:9], -1, 0
	v_add_co_u32_e32 v6, vcc, 4, v6
	s_andn2_b64 s[38:39], s[38:39], exec
	s_and_b64 s[42:43], s[46:47], exec
	s_andn2_b64 s[36:37], s[36:37], exec
	s_and_b64 s[8:9], s[8:9], exec
	v_addc_co_u32_e32 v7, vcc, 0, v7, vcc
	s_or_b64 s[38:39], s[38:39], s[42:43]
	s_andn2_b64 s[6:7], s[6:7], exec
	s_or_b64 s[36:37], s[36:37], s[8:9]
                                        ; implicit-def: $sgpr42_sgpr43
	s_branch .LBB385_734
.LBB385_737:
	s_or_b64 exec, exec, s[30:31]
	s_xor_b64 s[6:7], s[34:35], -1
	s_branch .LBB385_739
.LBB385_738:
	s_mov_b64 s[6:7], -1
.LBB385_739:
	s_and_b64 s[6:7], s[6:7], exec
.LBB385_740:
	s_or_b64 exec, exec, s[26:27]
	s_orn2_b64 s[26:27], s[6:7], exec
.LBB385_741:
	s_or_b64 exec, exec, s[28:29]
	v_cndmask_b32_e64 v4, v9, v8, s[26:27]
	v_cndmask_b32_e64 v5, v23, v22, s[26:27]
	v_add_u32_e32 v10, 1, v4
	v_add_u32_e32 v4, -1, v5
	v_min_u32_e32 v4, v10, v4
	v_lshl_add_u32 v4, v4, 3, v18
	ds_read_b64 v[4:5], v4
	v_cndmask_b32_e64 v9, v10, v9, s[26:27]
	v_cmp_lt_u32_e32 vcc, v9, v23
	s_waitcnt lgkmcnt(0)
	v_cndmask_b32_e64 v7, v32, v5, s[26:27]
	v_cndmask_b32_e64 v6, v33, v4, s[26:27]
	s_and_saveexec_b64 s[28:29], vcc
	s_cbranch_execz .LBB385_751
; %bb.742:
	v_cndmask_b32_e64 v8, v8, v10, s[26:27]
	v_cndmask_b32_e64 v5, v5, v30, s[26:27]
	;; [unrolled: 1-line block ×3, first 2 shown]
	v_cmp_lt_u32_e32 vcc, v8, v22
	s_and_saveexec_b64 s[30:31], vcc
	s_cbranch_execz .LBB385_750
; %bb.743:
	s_andn2_b64 vcc, exec, s[22:23]
	s_cbranch_vccnz .LBB385_749
; %bb.744:
	v_mul_lo_u32 v10, v5, s16
	v_mul_lo_u32 v11, v4, s17
	v_mad_u64_u32 v[8:9], s[6:7], v4, s16, 0
	v_add3_u32 v9, v9, v11, v10
	v_lshlrev_b64 v[8:9], 2, v[8:9]
	v_mov_b32_e32 v10, s19
	v_add_co_u32_e32 v8, vcc, s18, v8
	v_addc_co_u32_e32 v9, vcc, v10, v9, vcc
	v_mul_lo_u32 v22, v7, s16
	v_mul_lo_u32 v23, v6, s17
	v_mad_u64_u32 v[10:11], s[6:7], v6, s16, 0
	v_add3_u32 v11, v11, v23, v22
	v_lshlrev_b64 v[10:11], 2, v[10:11]
	v_mov_b32_e32 v22, s19
	v_add_co_u32_e32 v10, vcc, s18, v10
	v_addc_co_u32_e32 v11, vcc, v22, v11, vcc
	s_mov_b64 s[34:35], 0
	s_mov_b64 s[42:43], s[16:17]
                                        ; implicit-def: $sgpr36_sgpr37
                                        ; implicit-def: $sgpr38_sgpr39
                                        ; implicit-def: $sgpr6_sgpr7
                                        ; implicit-def: $sgpr40_sgpr41
                                        ; implicit-def: $sgpr44_sgpr45
	s_branch .LBB385_746
.LBB385_745:                            ;   in Loop: Header=BB385_746 Depth=1
	s_or_b64 exec, exec, s[46:47]
	s_and_b64 s[8:9], exec, s[38:39]
	s_or_b64 s[34:35], s[8:9], s[34:35]
	s_andn2_b64 s[8:9], s[44:45], exec
	s_and_b64 s[44:45], s[40:41], exec
	s_or_b64 s[44:45], s[8:9], s[44:45]
	s_andn2_b64 s[8:9], s[36:37], exec
	s_and_b64 s[36:37], s[6:7], exec
	s_or_b64 s[36:37], s[8:9], s[36:37]
	s_andn2_b64 exec, exec, s[34:35]
	s_cbranch_execz .LBB385_748
.LBB385_746:                            ; =>This Inner Loop Header: Depth=1
	global_load_dword v22, v[8:9], off
	global_load_dword v23, v[10:11], off
	s_andn2_b64 s[46:47], s[6:7], exec
	s_andn2_b64 s[40:41], s[40:41], exec
	s_or_b64 s[38:39], s[38:39], exec
	s_waitcnt vmcnt(0)
	v_cmp_le_i32_e64 s[6:7], v22, v23
	v_cmp_lt_i32_e32 vcc, v22, v23
	s_and_b64 s[6:7], s[6:7], s[44:45]
	s_or_b64 s[48:49], vcc, s[6:7]
	s_and_b64 s[6:7], s[48:49], exec
	v_cmp_eq_u32_e64 s[8:9], v22, v23
	s_or_b64 s[6:7], s[46:47], s[6:7]
	s_and_saveexec_b64 s[46:47], s[8:9]
	s_cbranch_execz .LBB385_745
; %bb.747:                              ;   in Loop: Header=BB385_746 Depth=1
	s_add_u32 s42, s42, -1
	s_addc_u32 s43, s43, -1
	v_add_co_u32_e32 v8, vcc, 4, v8
	s_cmp_eq_u64 s[42:43], 0
	v_addc_co_u32_e32 v9, vcc, 0, v9, vcc
	s_cselect_b64 s[8:9], -1, 0
	v_add_co_u32_e32 v10, vcc, 4, v10
	s_andn2_b64 s[40:41], s[40:41], exec
	s_and_b64 s[44:45], s[48:49], exec
	s_andn2_b64 s[38:39], s[38:39], exec
	s_and_b64 s[8:9], s[8:9], exec
	v_addc_co_u32_e32 v11, vcc, 0, v11, vcc
	s_or_b64 s[40:41], s[40:41], s[44:45]
	s_andn2_b64 s[6:7], s[6:7], exec
	s_or_b64 s[38:39], s[38:39], s[8:9]
                                        ; implicit-def: $sgpr44_sgpr45
	s_branch .LBB385_745
.LBB385_748:
	s_or_b64 exec, exec, s[34:35]
	v_cndmask_b32_e64 v7, v7, v5, s[36:37]
	v_cndmask_b32_e64 v6, v6, v4, s[36:37]
.LBB385_749:
	v_pk_mov_b32 v[4:5], v[6:7], v[6:7] op_sel:[0,1]
.LBB385_750:
	s_or_b64 exec, exec, s[30:31]
	v_pk_mov_b32 v[6:7], v[4:5], v[4:5] op_sel:[0,1]
.LBB385_751:
	s_or_b64 exec, exec, s[28:29]
	v_cndmask_b32_e64 v1, v3, v1, s[12:13]
	v_cndmask_b32_e64 v0, v2, v0, s[12:13]
	;; [unrolled: 1-line block ×6, first 2 shown]
.LBB385_752:
	s_or_b64 exec, exec, s[10:11]
	v_and_b32_e32 v23, 0x1c0, v20
	v_or_b32_e32 v8, 32, v23
	; wave barrier
	ds_write_b128 v21, v[0:3]
	ds_write_b128 v21, v[4:7] offset:16
	v_min_u32_e32 v21, v19, v8
	v_add_u32_e32 v8, 32, v21
	v_min_u32_e32 v22, v19, v8
	v_and_b32_e32 v8, 60, v20
	v_min_u32_e32 v24, v19, v8
	v_sub_u32_e32 v8, v21, v23
	v_sub_u32_e32 v9, v22, v21
	v_sub_u32_e64 v20, v24, v9 clamp
	v_min_u32_e32 v25, v24, v8
	v_lshl_add_u32 v19, v23, 3, v18
	v_cmp_lt_u32_e32 vcc, v20, v25
	; wave barrier
	s_and_saveexec_b64 s[12:13], vcc
	s_cbranch_execz .LBB385_762
; %bb.753:
	v_lshlrev_b32_e32 v8, 3, v21
	v_lshlrev_b32_e32 v9, 3, v24
	v_add3_u32 v28, v18, v8, v9
	v_cndmask_b32_e64 v8, 0, 1, s[22:23]
	s_lshl_b64 s[26:27], s[16:17], 2
	s_mov_b64 s[14:15], 0
	v_cmp_ne_u32_e64 s[6:7], 1, v8
	s_branch .LBB385_756
.LBB385_754:                            ;   in Loop: Header=BB385_756 Depth=1
	s_or_b64 exec, exec, s[30:31]
.LBB385_755:                            ;   in Loop: Header=BB385_756 Depth=1
	v_add_u32_e32 v8, 1, v29
	v_cndmask_b32_e64 v25, v25, v29, s[28:29]
	v_cndmask_b32_e64 v20, v8, v20, s[28:29]
	v_cmp_ge_u32_e32 vcc, v20, v25
	s_or_b64 s[14:15], vcc, s[14:15]
	s_andn2_b64 exec, exec, s[14:15]
	s_cbranch_execz .LBB385_761
.LBB385_756:                            ; =>This Loop Header: Depth=1
                                        ;     Child Loop BB385_759 Depth 2
	v_add_u32_e32 v8, v25, v20
	v_lshrrev_b32_e32 v29, 1, v8
	s_and_b64 vcc, exec, s[6:7]
	s_mov_b64 s[28:29], 0
	s_cbranch_vccnz .LBB385_755
; %bb.757:                              ;   in Loop: Header=BB385_756 Depth=1
	v_not_b32_e32 v8, v29
	v_lshl_add_u32 v8, v8, 3, v28
	ds_read_b64 v[8:9], v8
	v_lshl_add_u32 v30, v29, 3, v19
	ds_read_b64 v[30:31], v30
	v_pk_mov_b32 v[10:11], s[18:19], s[18:19] op_sel:[0,1]
	s_mov_b64 s[30:31], 0
	s_waitcnt lgkmcnt(1)
	v_mul_lo_u32 v32, s26, v9
	v_mul_lo_u32 v33, s27, v8
	v_mad_u64_u32 v[8:9], s[8:9], s26, v8, v[10:11]
	v_add3_u32 v9, v33, v9, v32
	s_waitcnt lgkmcnt(0)
	v_mul_lo_u32 v31, s26, v31
	v_mul_lo_u32 v32, s27, v30
	v_mad_u64_u32 v[10:11], s[8:9], s26, v30, v[10:11]
	v_add3_u32 v11, v32, v11, v31
	s_mov_b64 s[38:39], s[16:17]
                                        ; implicit-def: $sgpr28_sgpr29
                                        ; implicit-def: $sgpr34_sgpr35
                                        ; implicit-def: $sgpr36_sgpr37
                                        ; implicit-def: $sgpr8_sgpr9
                                        ; implicit-def: $sgpr40_sgpr41
	s_branch .LBB385_759
.LBB385_758:                            ;   in Loop: Header=BB385_759 Depth=2
	s_or_b64 exec, exec, s[42:43]
	s_and_b64 s[10:11], exec, s[34:35]
	s_or_b64 s[30:31], s[10:11], s[30:31]
	s_andn2_b64 s[10:11], s[40:41], exec
	s_and_b64 s[40:41], s[36:37], exec
	s_or_b64 s[40:41], s[10:11], s[40:41]
	s_andn2_b64 s[10:11], s[28:29], exec
	s_and_b64 s[28:29], s[8:9], exec
	s_or_b64 s[28:29], s[10:11], s[28:29]
	s_andn2_b64 exec, exec, s[30:31]
	s_cbranch_execz .LBB385_754
.LBB385_759:                            ;   Parent Loop BB385_756 Depth=1
                                        ; =>  This Inner Loop Header: Depth=2
	global_load_dword v30, v[8:9], off
	global_load_dword v31, v[10:11], off
	s_andn2_b64 s[42:43], s[8:9], exec
	s_andn2_b64 s[36:37], s[36:37], exec
	s_or_b64 s[34:35], s[34:35], exec
	s_waitcnt vmcnt(0)
	v_cmp_le_i32_e64 s[8:9], v30, v31
	v_cmp_lt_i32_e32 vcc, v30, v31
	s_and_b64 s[8:9], s[8:9], s[40:41]
	s_or_b64 s[44:45], vcc, s[8:9]
	s_and_b64 s[8:9], s[44:45], exec
	v_cmp_eq_u32_e64 s[10:11], v30, v31
	s_or_b64 s[8:9], s[42:43], s[8:9]
	s_and_saveexec_b64 s[42:43], s[10:11]
	s_cbranch_execz .LBB385_758
; %bb.760:                              ;   in Loop: Header=BB385_759 Depth=2
	s_add_u32 s38, s38, -1
	s_addc_u32 s39, s39, -1
	v_add_co_u32_e32 v8, vcc, 4, v8
	s_cmp_eq_u64 s[38:39], 0
	v_addc_co_u32_e32 v9, vcc, 0, v9, vcc
	s_cselect_b64 s[10:11], -1, 0
	v_add_co_u32_e32 v10, vcc, 4, v10
	s_andn2_b64 s[36:37], s[36:37], exec
	s_and_b64 s[40:41], s[44:45], exec
	s_andn2_b64 s[34:35], s[34:35], exec
	s_and_b64 s[10:11], s[10:11], exec
	v_addc_co_u32_e32 v11, vcc, 0, v11, vcc
	s_andn2_b64 s[8:9], s[8:9], exec
	s_or_b64 s[36:37], s[36:37], s[40:41]
	s_or_b64 s[34:35], s[34:35], s[10:11]
                                        ; implicit-def: $sgpr40_sgpr41
	s_branch .LBB385_758
.LBB385_761:
	s_or_b64 exec, exec, s[14:15]
.LBB385_762:
	s_or_b64 exec, exec, s[12:13]
	v_add_u32_e32 v9, v21, v24
	v_add_u32_e32 v8, v20, v23
	v_sub_u32_e32 v9, v9, v20
	v_cmp_le_u32_e32 vcc, v8, v21
	v_cmp_le_u32_e64 s[6:7], v9, v22
	s_or_b64 s[6:7], vcc, s[6:7]
	s_and_saveexec_b64 s[10:11], s[6:7]
	s_cbranch_execz .LBB385_809
; %bb.763:
	v_cmp_ge_u32_e32 vcc, v8, v21
	v_cmp_lt_u32_e64 s[6:7], v8, v21
                                        ; implicit-def: $vgpr0_vgpr1
	s_and_saveexec_b64 s[8:9], s[6:7]
	s_cbranch_execz .LBB385_765
; %bb.764:
	v_lshl_add_u32 v0, v20, 3, v19
	ds_read_b64 v[0:1], v0
.LBB385_765:
	s_or_b64 exec, exec, s[8:9]
	v_cmp_ge_u32_e64 s[12:13], v9, v22
	v_cmp_lt_u32_e64 s[6:7], v9, v22
                                        ; implicit-def: $vgpr2_vgpr3
	s_and_saveexec_b64 s[8:9], s[6:7]
	s_cbranch_execz .LBB385_767
; %bb.766:
	v_lshl_add_u32 v2, v9, 3, v18
	ds_read_b64 v[2:3], v2
.LBB385_767:
	s_or_b64 exec, exec, s[8:9]
	s_or_b64 s[6:7], vcc, s[12:13]
	s_mov_b64 s[14:15], -1
	s_xor_b64 s[6:7], s[6:7], -1
	s_and_saveexec_b64 s[26:27], s[6:7]
	s_cbranch_execz .LBB385_776
; %bb.768:
	s_andn2_b64 vcc, exec, s[22:23]
	s_cbranch_vccnz .LBB385_774
; %bb.769:
	s_waitcnt lgkmcnt(0)
	v_mul_lo_u32 v6, v3, s16
	v_mul_lo_u32 v7, v2, s17
	v_mad_u64_u32 v[4:5], s[6:7], v2, s16, 0
	v_add3_u32 v5, v5, v7, v6
	v_lshlrev_b64 v[4:5], 2, v[4:5]
	v_mov_b32_e32 v6, s19
	v_add_co_u32_e32 v4, vcc, s18, v4
	v_addc_co_u32_e32 v5, vcc, v6, v5, vcc
	v_mul_lo_u32 v10, v1, s16
	v_mul_lo_u32 v11, v0, s17
	v_mad_u64_u32 v[6:7], s[6:7], v0, s16, 0
	v_add3_u32 v7, v7, v11, v10
	v_lshlrev_b64 v[6:7], 2, v[6:7]
	v_mov_b32_e32 v10, s19
	v_add_co_u32_e32 v6, vcc, s18, v6
	v_addc_co_u32_e32 v7, vcc, v10, v7, vcc
	s_mov_b64 s[28:29], 0
	s_mov_b64 s[38:39], s[16:17]
                                        ; implicit-def: $sgpr30_sgpr31
                                        ; implicit-def: $sgpr34_sgpr35
                                        ; implicit-def: $sgpr6_sgpr7
                                        ; implicit-def: $sgpr36_sgpr37
                                        ; implicit-def: $sgpr40_sgpr41
	s_branch .LBB385_771
.LBB385_770:                            ;   in Loop: Header=BB385_771 Depth=1
	s_or_b64 exec, exec, s[42:43]
	s_and_b64 s[8:9], exec, s[34:35]
	s_or_b64 s[28:29], s[8:9], s[28:29]
	s_andn2_b64 s[8:9], s[40:41], exec
	s_and_b64 s[40:41], s[36:37], exec
	s_or_b64 s[40:41], s[8:9], s[40:41]
	s_andn2_b64 s[8:9], s[30:31], exec
	s_and_b64 s[30:31], s[6:7], exec
	s_or_b64 s[30:31], s[8:9], s[30:31]
	s_andn2_b64 exec, exec, s[28:29]
	s_cbranch_execz .LBB385_773
.LBB385_771:                            ; =>This Inner Loop Header: Depth=1
	global_load_dword v10, v[4:5], off
	global_load_dword v11, v[6:7], off
	s_andn2_b64 s[42:43], s[6:7], exec
	s_andn2_b64 s[36:37], s[36:37], exec
	s_or_b64 s[34:35], s[34:35], exec
	s_waitcnt vmcnt(0)
	v_cmp_le_i32_e64 s[6:7], v10, v11
	v_cmp_lt_i32_e32 vcc, v10, v11
	s_and_b64 s[6:7], s[6:7], s[40:41]
	s_or_b64 s[44:45], vcc, s[6:7]
	s_and_b64 s[6:7], s[44:45], exec
	v_cmp_eq_u32_e64 s[8:9], v10, v11
	s_or_b64 s[6:7], s[42:43], s[6:7]
	s_and_saveexec_b64 s[42:43], s[8:9]
	s_cbranch_execz .LBB385_770
; %bb.772:                              ;   in Loop: Header=BB385_771 Depth=1
	s_add_u32 s38, s38, -1
	s_addc_u32 s39, s39, -1
	v_add_co_u32_e32 v4, vcc, 4, v4
	s_cmp_eq_u64 s[38:39], 0
	v_addc_co_u32_e32 v5, vcc, 0, v5, vcc
	s_cselect_b64 s[8:9], -1, 0
	v_add_co_u32_e32 v6, vcc, 4, v6
	s_andn2_b64 s[36:37], s[36:37], exec
	s_and_b64 s[40:41], s[44:45], exec
	s_andn2_b64 s[34:35], s[34:35], exec
	s_and_b64 s[8:9], s[8:9], exec
	v_addc_co_u32_e32 v7, vcc, 0, v7, vcc
	s_or_b64 s[36:37], s[36:37], s[40:41]
	s_andn2_b64 s[6:7], s[6:7], exec
	s_or_b64 s[34:35], s[34:35], s[8:9]
                                        ; implicit-def: $sgpr40_sgpr41
	s_branch .LBB385_770
.LBB385_773:
	s_or_b64 exec, exec, s[28:29]
	s_xor_b64 s[6:7], s[30:31], -1
	s_branch .LBB385_775
.LBB385_774:
	s_mov_b64 s[6:7], -1
.LBB385_775:
	s_andn2_b64 s[8:9], s[12:13], exec
	s_and_b64 s[6:7], s[6:7], exec
	s_or_b64 s[12:13], s[8:9], s[6:7]
.LBB385_776:
	s_or_b64 exec, exec, s[26:27]
	v_cndmask_b32_e64 v4, v9, v8, s[12:13]
	v_cndmask_b32_e64 v5, v22, v21, s[12:13]
	v_add_u32_e32 v6, 1, v4
	v_add_u32_e32 v4, -1, v5
	v_min_u32_e32 v4, v6, v4
	v_lshl_add_u32 v4, v4, 3, v18
	ds_read_b64 v[4:5], v4
	v_cndmask_b32_e64 v9, v6, v9, s[12:13]
	v_cndmask_b32_e64 v8, v8, v6, s[12:13]
	v_cmp_lt_u32_e32 vcc, v9, v22
	s_waitcnt lgkmcnt(0)
	v_cndmask_b32_e64 v19, v5, v3, s[12:13]
	v_cndmask_b32_e64 v20, v4, v2, s[12:13]
	;; [unrolled: 1-line block ×4, first 2 shown]
	s_and_saveexec_b64 s[26:27], vcc
	s_cbranch_execz .LBB385_787
; %bb.777:
	v_cmp_lt_u32_e32 vcc, v8, v21
	s_mov_b64 s[6:7], 0
	s_and_saveexec_b64 s[14:15], vcc
	s_cbranch_execz .LBB385_786
; %bb.778:
	s_andn2_b64 vcc, exec, s[22:23]
	s_cbranch_vccnz .LBB385_784
; %bb.779:
	v_mul_lo_u32 v6, v19, s16
	v_mul_lo_u32 v7, v20, s17
	v_mad_u64_u32 v[4:5], s[6:7], v20, s16, 0
	v_add3_u32 v5, v5, v7, v6
	v_lshlrev_b64 v[4:5], 2, v[4:5]
	v_mov_b32_e32 v6, s19
	v_add_co_u32_e32 v4, vcc, s18, v4
	v_addc_co_u32_e32 v5, vcc, v6, v5, vcc
	v_mul_lo_u32 v10, v23, s16
	v_mul_lo_u32 v11, v24, s17
	v_mad_u64_u32 v[6:7], s[6:7], v24, s16, 0
	v_add3_u32 v7, v7, v11, v10
	v_lshlrev_b64 v[6:7], 2, v[6:7]
	v_mov_b32_e32 v10, s19
	v_add_co_u32_e32 v6, vcc, s18, v6
	v_addc_co_u32_e32 v7, vcc, v10, v7, vcc
	s_mov_b64 s[28:29], 0
	s_mov_b64 s[38:39], s[16:17]
                                        ; implicit-def: $sgpr30_sgpr31
                                        ; implicit-def: $sgpr34_sgpr35
                                        ; implicit-def: $sgpr6_sgpr7
                                        ; implicit-def: $sgpr36_sgpr37
                                        ; implicit-def: $sgpr40_sgpr41
	s_branch .LBB385_781
.LBB385_780:                            ;   in Loop: Header=BB385_781 Depth=1
	s_or_b64 exec, exec, s[42:43]
	s_and_b64 s[8:9], exec, s[34:35]
	s_or_b64 s[28:29], s[8:9], s[28:29]
	s_andn2_b64 s[8:9], s[40:41], exec
	s_and_b64 s[40:41], s[36:37], exec
	s_or_b64 s[40:41], s[8:9], s[40:41]
	s_andn2_b64 s[8:9], s[30:31], exec
	s_and_b64 s[30:31], s[6:7], exec
	s_or_b64 s[30:31], s[8:9], s[30:31]
	s_andn2_b64 exec, exec, s[28:29]
	s_cbranch_execz .LBB385_783
.LBB385_781:                            ; =>This Inner Loop Header: Depth=1
	global_load_dword v10, v[4:5], off
	global_load_dword v11, v[6:7], off
	s_andn2_b64 s[42:43], s[6:7], exec
	s_andn2_b64 s[36:37], s[36:37], exec
	s_or_b64 s[34:35], s[34:35], exec
	s_waitcnt vmcnt(0)
	v_cmp_le_i32_e64 s[6:7], v10, v11
	v_cmp_lt_i32_e32 vcc, v10, v11
	s_and_b64 s[6:7], s[6:7], s[40:41]
	s_or_b64 s[44:45], vcc, s[6:7]
	s_and_b64 s[6:7], s[44:45], exec
	v_cmp_eq_u32_e64 s[8:9], v10, v11
	s_or_b64 s[6:7], s[42:43], s[6:7]
	s_and_saveexec_b64 s[42:43], s[8:9]
	s_cbranch_execz .LBB385_780
; %bb.782:                              ;   in Loop: Header=BB385_781 Depth=1
	s_add_u32 s38, s38, -1
	s_addc_u32 s39, s39, -1
	v_add_co_u32_e32 v4, vcc, 4, v4
	s_cmp_eq_u64 s[38:39], 0
	v_addc_co_u32_e32 v5, vcc, 0, v5, vcc
	s_cselect_b64 s[8:9], -1, 0
	v_add_co_u32_e32 v6, vcc, 4, v6
	s_andn2_b64 s[36:37], s[36:37], exec
	s_and_b64 s[40:41], s[44:45], exec
	s_andn2_b64 s[34:35], s[34:35], exec
	s_and_b64 s[8:9], s[8:9], exec
	v_addc_co_u32_e32 v7, vcc, 0, v7, vcc
	s_or_b64 s[36:37], s[36:37], s[40:41]
	s_andn2_b64 s[6:7], s[6:7], exec
	s_or_b64 s[34:35], s[34:35], s[8:9]
                                        ; implicit-def: $sgpr40_sgpr41
	s_branch .LBB385_780
.LBB385_783:
	s_or_b64 exec, exec, s[28:29]
	s_xor_b64 s[6:7], s[30:31], -1
	s_branch .LBB385_785
.LBB385_784:
	s_mov_b64 s[6:7], -1
.LBB385_785:
	s_and_b64 s[6:7], s[6:7], exec
.LBB385_786:
	s_or_b64 exec, exec, s[14:15]
	s_orn2_b64 s[14:15], s[6:7], exec
.LBB385_787:
	s_or_b64 exec, exec, s[26:27]
	v_cndmask_b32_e64 v4, v9, v8, s[14:15]
	v_cndmask_b32_e64 v5, v22, v21, s[14:15]
	v_add_u32_e32 v6, 1, v4
	v_add_u32_e32 v4, -1, v5
	v_min_u32_e32 v4, v6, v4
	v_lshl_add_u32 v4, v4, 3, v18
	ds_read_b64 v[4:5], v4
	v_cndmask_b32_e64 v9, v6, v9, s[14:15]
	v_cndmask_b32_e64 v8, v8, v6, s[14:15]
	v_cmp_lt_u32_e32 vcc, v9, v22
	s_mov_b64 s[26:27], -1
	s_waitcnt lgkmcnt(0)
	v_cndmask_b32_e64 v25, v5, v19, s[14:15]
	v_cndmask_b32_e64 v28, v4, v20, s[14:15]
	;; [unrolled: 1-line block ×4, first 2 shown]
	s_and_saveexec_b64 s[28:29], vcc
	s_cbranch_execz .LBB385_798
; %bb.788:
	v_cmp_lt_u32_e32 vcc, v8, v21
	s_mov_b64 s[6:7], 0
	s_and_saveexec_b64 s[26:27], vcc
	s_cbranch_execz .LBB385_797
; %bb.789:
	s_andn2_b64 vcc, exec, s[22:23]
	s_cbranch_vccnz .LBB385_795
; %bb.790:
	v_mul_lo_u32 v6, v25, s16
	v_mul_lo_u32 v7, v28, s17
	v_mad_u64_u32 v[4:5], s[6:7], v28, s16, 0
	v_add3_u32 v5, v5, v7, v6
	v_lshlrev_b64 v[4:5], 2, v[4:5]
	v_mov_b32_e32 v6, s19
	v_add_co_u32_e32 v4, vcc, s18, v4
	v_addc_co_u32_e32 v5, vcc, v6, v5, vcc
	v_mul_lo_u32 v10, v29, s16
	v_mul_lo_u32 v11, v30, s17
	v_mad_u64_u32 v[6:7], s[6:7], v30, s16, 0
	v_add3_u32 v7, v7, v11, v10
	v_lshlrev_b64 v[6:7], 2, v[6:7]
	v_mov_b32_e32 v10, s19
	v_add_co_u32_e32 v6, vcc, s18, v6
	v_addc_co_u32_e32 v7, vcc, v10, v7, vcc
	s_mov_b64 s[30:31], 0
	s_mov_b64 s[40:41], s[16:17]
                                        ; implicit-def: $sgpr34_sgpr35
                                        ; implicit-def: $sgpr36_sgpr37
                                        ; implicit-def: $sgpr6_sgpr7
                                        ; implicit-def: $sgpr38_sgpr39
                                        ; implicit-def: $sgpr42_sgpr43
	s_branch .LBB385_792
.LBB385_791:                            ;   in Loop: Header=BB385_792 Depth=1
	s_or_b64 exec, exec, s[44:45]
	s_and_b64 s[8:9], exec, s[36:37]
	s_or_b64 s[30:31], s[8:9], s[30:31]
	s_andn2_b64 s[8:9], s[42:43], exec
	s_and_b64 s[42:43], s[38:39], exec
	s_or_b64 s[42:43], s[8:9], s[42:43]
	s_andn2_b64 s[8:9], s[34:35], exec
	s_and_b64 s[34:35], s[6:7], exec
	s_or_b64 s[34:35], s[8:9], s[34:35]
	s_andn2_b64 exec, exec, s[30:31]
	s_cbranch_execz .LBB385_794
.LBB385_792:                            ; =>This Inner Loop Header: Depth=1
	global_load_dword v10, v[4:5], off
	global_load_dword v11, v[6:7], off
	s_andn2_b64 s[44:45], s[6:7], exec
	s_andn2_b64 s[38:39], s[38:39], exec
	s_or_b64 s[36:37], s[36:37], exec
	s_waitcnt vmcnt(0)
	v_cmp_le_i32_e64 s[6:7], v10, v11
	v_cmp_lt_i32_e32 vcc, v10, v11
	s_and_b64 s[6:7], s[6:7], s[42:43]
	s_or_b64 s[46:47], vcc, s[6:7]
	s_and_b64 s[6:7], s[46:47], exec
	v_cmp_eq_u32_e64 s[8:9], v10, v11
	s_or_b64 s[6:7], s[44:45], s[6:7]
	s_and_saveexec_b64 s[44:45], s[8:9]
	s_cbranch_execz .LBB385_791
; %bb.793:                              ;   in Loop: Header=BB385_792 Depth=1
	s_add_u32 s40, s40, -1
	s_addc_u32 s41, s41, -1
	v_add_co_u32_e32 v4, vcc, 4, v4
	s_cmp_eq_u64 s[40:41], 0
	v_addc_co_u32_e32 v5, vcc, 0, v5, vcc
	s_cselect_b64 s[8:9], -1, 0
	v_add_co_u32_e32 v6, vcc, 4, v6
	s_andn2_b64 s[38:39], s[38:39], exec
	s_and_b64 s[42:43], s[46:47], exec
	s_andn2_b64 s[36:37], s[36:37], exec
	s_and_b64 s[8:9], s[8:9], exec
	v_addc_co_u32_e32 v7, vcc, 0, v7, vcc
	s_or_b64 s[38:39], s[38:39], s[42:43]
	s_andn2_b64 s[6:7], s[6:7], exec
	s_or_b64 s[36:37], s[36:37], s[8:9]
                                        ; implicit-def: $sgpr42_sgpr43
	s_branch .LBB385_791
.LBB385_794:
	s_or_b64 exec, exec, s[30:31]
	s_xor_b64 s[6:7], s[34:35], -1
	s_branch .LBB385_796
.LBB385_795:
	s_mov_b64 s[6:7], -1
.LBB385_796:
	s_and_b64 s[6:7], s[6:7], exec
.LBB385_797:
	s_or_b64 exec, exec, s[26:27]
	s_orn2_b64 s[26:27], s[6:7], exec
.LBB385_798:
	s_or_b64 exec, exec, s[28:29]
	v_cndmask_b32_e64 v4, v9, v8, s[26:27]
	v_cndmask_b32_e64 v5, v22, v21, s[26:27]
	v_add_u32_e32 v10, 1, v4
	v_add_u32_e32 v4, -1, v5
	v_min_u32_e32 v4, v10, v4
	v_lshl_add_u32 v4, v4, 3, v18
	ds_read_b64 v[4:5], v4
	v_cndmask_b32_e64 v9, v10, v9, s[26:27]
	v_cmp_lt_u32_e32 vcc, v9, v22
	s_waitcnt lgkmcnt(0)
	v_cndmask_b32_e64 v7, v29, v5, s[26:27]
	v_cndmask_b32_e64 v6, v30, v4, s[26:27]
	s_and_saveexec_b64 s[28:29], vcc
	s_cbranch_execz .LBB385_808
; %bb.799:
	v_cndmask_b32_e64 v8, v8, v10, s[26:27]
	v_cndmask_b32_e64 v5, v5, v25, s[26:27]
	;; [unrolled: 1-line block ×3, first 2 shown]
	v_cmp_lt_u32_e32 vcc, v8, v21
	s_and_saveexec_b64 s[30:31], vcc
	s_cbranch_execz .LBB385_807
; %bb.800:
	s_andn2_b64 vcc, exec, s[22:23]
	s_cbranch_vccnz .LBB385_806
; %bb.801:
	v_mul_lo_u32 v10, v5, s16
	v_mul_lo_u32 v11, v4, s17
	v_mad_u64_u32 v[8:9], s[6:7], v4, s16, 0
	v_add3_u32 v9, v9, v11, v10
	v_lshlrev_b64 v[8:9], 2, v[8:9]
	v_mov_b32_e32 v10, s19
	v_add_co_u32_e32 v8, vcc, s18, v8
	v_addc_co_u32_e32 v9, vcc, v10, v9, vcc
	v_mul_lo_u32 v18, v7, s16
	v_mul_lo_u32 v21, v6, s17
	v_mad_u64_u32 v[10:11], s[6:7], v6, s16, 0
	v_add3_u32 v11, v11, v21, v18
	v_lshlrev_b64 v[10:11], 2, v[10:11]
	v_mov_b32_e32 v18, s19
	v_add_co_u32_e32 v10, vcc, s18, v10
	v_addc_co_u32_e32 v11, vcc, v18, v11, vcc
	s_mov_b64 s[34:35], 0
	s_mov_b64 s[42:43], s[16:17]
                                        ; implicit-def: $sgpr36_sgpr37
                                        ; implicit-def: $sgpr38_sgpr39
                                        ; implicit-def: $sgpr6_sgpr7
                                        ; implicit-def: $sgpr40_sgpr41
                                        ; implicit-def: $sgpr44_sgpr45
	s_branch .LBB385_803
.LBB385_802:                            ;   in Loop: Header=BB385_803 Depth=1
	s_or_b64 exec, exec, s[46:47]
	s_and_b64 s[8:9], exec, s[38:39]
	s_or_b64 s[34:35], s[8:9], s[34:35]
	s_andn2_b64 s[8:9], s[44:45], exec
	s_and_b64 s[44:45], s[40:41], exec
	s_or_b64 s[44:45], s[8:9], s[44:45]
	s_andn2_b64 s[8:9], s[36:37], exec
	s_and_b64 s[36:37], s[6:7], exec
	s_or_b64 s[36:37], s[8:9], s[36:37]
	s_andn2_b64 exec, exec, s[34:35]
	s_cbranch_execz .LBB385_805
.LBB385_803:                            ; =>This Inner Loop Header: Depth=1
	global_load_dword v18, v[8:9], off
	global_load_dword v21, v[10:11], off
	s_andn2_b64 s[46:47], s[6:7], exec
	s_andn2_b64 s[40:41], s[40:41], exec
	s_or_b64 s[38:39], s[38:39], exec
	s_waitcnt vmcnt(0)
	v_cmp_le_i32_e64 s[6:7], v18, v21
	v_cmp_lt_i32_e32 vcc, v18, v21
	s_and_b64 s[6:7], s[6:7], s[44:45]
	s_or_b64 s[48:49], vcc, s[6:7]
	s_and_b64 s[6:7], s[48:49], exec
	v_cmp_eq_u32_e64 s[8:9], v18, v21
	s_or_b64 s[6:7], s[46:47], s[6:7]
	s_and_saveexec_b64 s[46:47], s[8:9]
	s_cbranch_execz .LBB385_802
; %bb.804:                              ;   in Loop: Header=BB385_803 Depth=1
	s_add_u32 s42, s42, -1
	s_addc_u32 s43, s43, -1
	v_add_co_u32_e32 v8, vcc, 4, v8
	s_cmp_eq_u64 s[42:43], 0
	v_addc_co_u32_e32 v9, vcc, 0, v9, vcc
	s_cselect_b64 s[8:9], -1, 0
	v_add_co_u32_e32 v10, vcc, 4, v10
	s_andn2_b64 s[40:41], s[40:41], exec
	s_and_b64 s[44:45], s[48:49], exec
	s_andn2_b64 s[38:39], s[38:39], exec
	s_and_b64 s[8:9], s[8:9], exec
	v_addc_co_u32_e32 v11, vcc, 0, v11, vcc
	s_or_b64 s[40:41], s[40:41], s[44:45]
	s_andn2_b64 s[6:7], s[6:7], exec
	s_or_b64 s[38:39], s[38:39], s[8:9]
                                        ; implicit-def: $sgpr44_sgpr45
	s_branch .LBB385_802
.LBB385_805:
	s_or_b64 exec, exec, s[34:35]
	v_cndmask_b32_e64 v7, v7, v5, s[36:37]
	v_cndmask_b32_e64 v6, v6, v4, s[36:37]
.LBB385_806:
	v_pk_mov_b32 v[4:5], v[6:7], v[6:7] op_sel:[0,1]
.LBB385_807:
	s_or_b64 exec, exec, s[30:31]
	v_pk_mov_b32 v[6:7], v[4:5], v[4:5] op_sel:[0,1]
.LBB385_808:
	s_or_b64 exec, exec, s[28:29]
	v_cndmask_b32_e64 v1, v3, v1, s[12:13]
	v_cndmask_b32_e64 v0, v2, v0, s[12:13]
	;; [unrolled: 1-line block ×6, first 2 shown]
.LBB385_809:
	s_or_b64 exec, exec, s[10:11]
	s_cmpk_lt_u32 s33, 0x41
	; wave barrier
	s_waitcnt lgkmcnt(0)
	s_barrier
	s_cbranch_scc1 .LBB385_869
; %bb.810:
	v_cndmask_b32_e64 v8, 0, 1, s[22:23]
	v_lshlrev_b32_e32 v18, 3, v27
	s_lshl_b64 s[12:13], s[16:17], 2
	s_mov_b32 s52, 64
	v_cmp_ne_u32_e64 s[6:7], 1, v8
	s_branch .LBB385_816
.LBB385_811:                            ;   in Loop: Header=BB385_816 Depth=1
	s_or_b64 exec, exec, s[36:37]
	v_cndmask_b32_e64 v7, v7, v5, s[38:39]
	v_cndmask_b32_e64 v6, v6, v4, s[38:39]
.LBB385_812:                            ;   in Loop: Header=BB385_816 Depth=1
	v_pk_mov_b32 v[4:5], v[6:7], v[6:7] op_sel:[0,1]
.LBB385_813:                            ;   in Loop: Header=BB385_816 Depth=1
	s_or_b64 exec, exec, s[34:35]
	v_pk_mov_b32 v[6:7], v[4:5], v[4:5] op_sel:[0,1]
.LBB385_814:                            ;   in Loop: Header=BB385_816 Depth=1
	s_or_b64 exec, exec, s[30:31]
	v_cndmask_b32_e64 v1, v3, v1, s[22:23]
	v_cndmask_b32_e64 v0, v2, v0, s[22:23]
	;; [unrolled: 1-line block ×6, first 2 shown]
.LBB385_815:                            ;   in Loop: Header=BB385_816 Depth=1
	s_or_b64 exec, exec, s[14:15]
	s_cmp_lt_u32 s52, s33
	s_barrier
	s_cbranch_scc0 .LBB385_869
.LBB385_816:                            ; =>This Loop Header: Depth=1
                                        ;     Child Loop BB385_820 Depth 2
                                        ;       Child Loop BB385_823 Depth 3
                                        ;     Child Loop BB385_835 Depth 2
                                        ;     Child Loop BB385_845 Depth 2
	;; [unrolled: 1-line block ×4, first 2 shown]
	s_mov_b32 s8, s52
	s_lshl_b32 s52, s52, 1
	s_sub_i32 s10, 0, s52
	v_and_b32_e32 v23, s10, v27
	v_add_u32_e32 v8, s8, v23
	v_min_u32_e32 v19, s33, v8
	s_add_i32 s9, s52, -1
	v_add_u32_e32 v8, s8, v19
	v_min_u32_e32 v20, s33, v8
	v_and_b32_e32 v8, s9, v27
	v_min_u32_e32 v24, s33, v8
	v_sub_u32_e32 v8, v19, v23
	v_sub_u32_e32 v9, v20, v19
	v_sub_u32_e64 v22, v24, v9 clamp
	v_min_u32_e32 v25, v24, v8
	v_lshlrev_b32_e32 v21, 3, v23
	v_cmp_lt_u32_e32 vcc, v22, v25
	ds_write_b128 v18, v[0:3]
	ds_write_b128 v18, v[4:7] offset:16
	s_waitcnt lgkmcnt(0)
	s_barrier
	s_and_saveexec_b64 s[14:15], vcc
	s_cbranch_execz .LBB385_826
; %bb.817:                              ;   in Loop: Header=BB385_816 Depth=1
	v_lshlrev_b32_e32 v8, 3, v24
	v_lshl_add_u32 v28, v19, 3, v8
	s_mov_b64 s[22:23], 0
	s_branch .LBB385_820
.LBB385_818:                            ;   in Loop: Header=BB385_820 Depth=2
	s_or_b64 exec, exec, s[28:29]
.LBB385_819:                            ;   in Loop: Header=BB385_820 Depth=2
	v_add_u32_e32 v8, 1, v29
	v_cndmask_b32_e64 v25, v25, v29, s[26:27]
	v_cndmask_b32_e64 v22, v8, v22, s[26:27]
	v_cmp_ge_u32_e32 vcc, v22, v25
	s_or_b64 s[22:23], vcc, s[22:23]
	s_andn2_b64 exec, exec, s[22:23]
	s_cbranch_execz .LBB385_825
.LBB385_820:                            ;   Parent Loop BB385_816 Depth=1
                                        ; =>  This Loop Header: Depth=2
                                        ;       Child Loop BB385_823 Depth 3
	v_add_u32_e32 v8, v25, v22
	v_lshrrev_b32_e32 v29, 1, v8
	s_and_b64 vcc, exec, s[6:7]
	s_mov_b64 s[26:27], 0
	s_cbranch_vccnz .LBB385_819
; %bb.821:                              ;   in Loop: Header=BB385_820 Depth=2
	v_not_b32_e32 v8, v29
	v_lshl_add_u32 v8, v8, 3, v28
	ds_read_b64 v[8:9], v8
	v_lshl_add_u32 v30, v29, 3, v21
	ds_read_b64 v[30:31], v30
	v_pk_mov_b32 v[10:11], s[18:19], s[18:19] op_sel:[0,1]
	s_mov_b64 s[28:29], 0
	s_waitcnt lgkmcnt(1)
	v_mul_lo_u32 v32, s12, v9
	v_mul_lo_u32 v33, s13, v8
	v_mad_u64_u32 v[8:9], s[8:9], s12, v8, v[10:11]
	v_add3_u32 v9, v33, v9, v32
	s_waitcnt lgkmcnt(0)
	v_mul_lo_u32 v31, s12, v31
	v_mul_lo_u32 v32, s13, v30
	v_mad_u64_u32 v[10:11], s[8:9], s12, v30, v[10:11]
	v_add3_u32 v11, v32, v11, v31
	s_mov_b64 s[36:37], s[16:17]
                                        ; implicit-def: $sgpr26_sgpr27
                                        ; implicit-def: $sgpr30_sgpr31
                                        ; implicit-def: $sgpr34_sgpr35
                                        ; implicit-def: $sgpr8_sgpr9
                                        ; implicit-def: $sgpr38_sgpr39
	s_branch .LBB385_823
.LBB385_822:                            ;   in Loop: Header=BB385_823 Depth=3
	s_or_b64 exec, exec, s[40:41]
	s_and_b64 s[10:11], exec, s[30:31]
	s_or_b64 s[28:29], s[10:11], s[28:29]
	s_andn2_b64 s[10:11], s[38:39], exec
	s_and_b64 s[38:39], s[34:35], exec
	s_or_b64 s[38:39], s[10:11], s[38:39]
	s_andn2_b64 s[10:11], s[26:27], exec
	s_and_b64 s[26:27], s[8:9], exec
	s_or_b64 s[26:27], s[10:11], s[26:27]
	s_andn2_b64 exec, exec, s[28:29]
	s_cbranch_execz .LBB385_818
.LBB385_823:                            ;   Parent Loop BB385_816 Depth=1
                                        ;     Parent Loop BB385_820 Depth=2
                                        ; =>    This Inner Loop Header: Depth=3
	global_load_dword v30, v[8:9], off
	global_load_dword v31, v[10:11], off
	s_andn2_b64 s[40:41], s[8:9], exec
	s_andn2_b64 s[34:35], s[34:35], exec
	s_or_b64 s[30:31], s[30:31], exec
	s_waitcnt vmcnt(0)
	v_cmp_le_i32_e64 s[8:9], v30, v31
	v_cmp_lt_i32_e32 vcc, v30, v31
	s_and_b64 s[8:9], s[8:9], s[38:39]
	s_or_b64 s[42:43], vcc, s[8:9]
	s_and_b64 s[8:9], s[42:43], exec
	v_cmp_eq_u32_e64 s[10:11], v30, v31
	s_or_b64 s[8:9], s[40:41], s[8:9]
	s_and_saveexec_b64 s[40:41], s[10:11]
	s_cbranch_execz .LBB385_822
; %bb.824:                              ;   in Loop: Header=BB385_823 Depth=3
	s_add_u32 s36, s36, -1
	s_addc_u32 s37, s37, -1
	v_add_co_u32_e32 v8, vcc, 4, v8
	s_cmp_eq_u64 s[36:37], 0
	v_addc_co_u32_e32 v9, vcc, 0, v9, vcc
	s_cselect_b64 s[10:11], -1, 0
	v_add_co_u32_e32 v10, vcc, 4, v10
	s_andn2_b64 s[34:35], s[34:35], exec
	s_and_b64 s[38:39], s[42:43], exec
	s_andn2_b64 s[30:31], s[30:31], exec
	s_and_b64 s[10:11], s[10:11], exec
	v_addc_co_u32_e32 v11, vcc, 0, v11, vcc
	s_andn2_b64 s[8:9], s[8:9], exec
	s_or_b64 s[34:35], s[34:35], s[38:39]
	s_or_b64 s[30:31], s[30:31], s[10:11]
                                        ; implicit-def: $sgpr38_sgpr39
	s_branch .LBB385_822
.LBB385_825:                            ;   in Loop: Header=BB385_816 Depth=1
	s_or_b64 exec, exec, s[22:23]
.LBB385_826:                            ;   in Loop: Header=BB385_816 Depth=1
	s_or_b64 exec, exec, s[14:15]
	v_sub_u32_e32 v9, v24, v22
	v_add_u32_e32 v8, v22, v23
	v_add_u32_e32 v9, v9, v19
	v_cmp_le_u32_e32 vcc, v8, v19
	v_cmp_le_u32_e64 s[8:9], v9, v20
	s_or_b64 s[8:9], vcc, s[8:9]
	s_and_saveexec_b64 s[14:15], s[8:9]
	s_cbranch_execz .LBB385_815
; %bb.827:                              ;   in Loop: Header=BB385_816 Depth=1
	v_cmp_ge_u32_e32 vcc, v8, v19
	v_cmp_lt_u32_e64 s[8:9], v8, v19
                                        ; implicit-def: $vgpr0_vgpr1
	s_and_saveexec_b64 s[10:11], s[8:9]
	s_cbranch_execz .LBB385_829
; %bb.828:                              ;   in Loop: Header=BB385_816 Depth=1
	v_lshl_add_u32 v0, v22, 3, v21
	ds_read_b64 v[0:1], v0
.LBB385_829:                            ;   in Loop: Header=BB385_816 Depth=1
	s_or_b64 exec, exec, s[10:11]
	v_cmp_ge_u32_e64 s[22:23], v9, v20
	v_cmp_lt_u32_e64 s[8:9], v9, v20
                                        ; implicit-def: $vgpr2_vgpr3
	s_and_saveexec_b64 s[10:11], s[8:9]
	s_cbranch_execz .LBB385_831
; %bb.830:                              ;   in Loop: Header=BB385_816 Depth=1
	v_lshlrev_b32_e32 v2, 3, v9
	ds_read_b64 v[2:3], v2
.LBB385_831:                            ;   in Loop: Header=BB385_816 Depth=1
	s_or_b64 exec, exec, s[10:11]
	s_or_b64 s[8:9], vcc, s[22:23]
	s_xor_b64 s[8:9], s[8:9], -1
	s_and_saveexec_b64 s[26:27], s[8:9]
	s_cbranch_execz .LBB385_840
; %bb.832:                              ;   in Loop: Header=BB385_816 Depth=1
	s_and_b64 vcc, exec, s[6:7]
	s_cbranch_vccnz .LBB385_838
; %bb.833:                              ;   in Loop: Header=BB385_816 Depth=1
	v_pk_mov_b32 v[6:7], s[18:19], s[18:19] op_sel:[0,1]
	s_waitcnt lgkmcnt(0)
	v_mad_u64_u32 v[4:5], s[8:9], s12, v2, v[6:7]
	v_mul_lo_u32 v10, s12, v3
	v_mul_lo_u32 v11, s13, v2
	v_add3_u32 v5, v11, v5, v10
	v_mad_u64_u32 v[6:7], s[8:9], s12, v0, v[6:7]
	v_mul_lo_u32 v10, s12, v1
	v_mul_lo_u32 v11, s13, v0
	v_add3_u32 v7, v11, v7, v10
	s_mov_b64 s[28:29], 0
	s_mov_b64 s[38:39], s[16:17]
                                        ; implicit-def: $sgpr30_sgpr31
                                        ; implicit-def: $sgpr34_sgpr35
                                        ; implicit-def: $sgpr8_sgpr9
                                        ; implicit-def: $sgpr36_sgpr37
                                        ; implicit-def: $sgpr40_sgpr41
	s_branch .LBB385_835
.LBB385_834:                            ;   in Loop: Header=BB385_835 Depth=2
	s_or_b64 exec, exec, s[42:43]
	s_and_b64 s[10:11], exec, s[34:35]
	s_or_b64 s[28:29], s[10:11], s[28:29]
	s_andn2_b64 s[10:11], s[40:41], exec
	s_and_b64 s[40:41], s[36:37], exec
	s_or_b64 s[40:41], s[10:11], s[40:41]
	s_andn2_b64 s[10:11], s[30:31], exec
	s_and_b64 s[30:31], s[8:9], exec
	s_or_b64 s[30:31], s[10:11], s[30:31]
	s_andn2_b64 exec, exec, s[28:29]
	s_cbranch_execz .LBB385_837
.LBB385_835:                            ;   Parent Loop BB385_816 Depth=1
                                        ; =>  This Inner Loop Header: Depth=2
	global_load_dword v10, v[4:5], off
	global_load_dword v11, v[6:7], off
	s_andn2_b64 s[42:43], s[8:9], exec
	s_andn2_b64 s[36:37], s[36:37], exec
	s_or_b64 s[34:35], s[34:35], exec
	s_waitcnt vmcnt(0)
	v_cmp_le_i32_e64 s[8:9], v10, v11
	v_cmp_lt_i32_e32 vcc, v10, v11
	s_and_b64 s[8:9], s[8:9], s[40:41]
	s_or_b64 s[44:45], vcc, s[8:9]
	s_and_b64 s[8:9], s[44:45], exec
	v_cmp_eq_u32_e64 s[10:11], v10, v11
	s_or_b64 s[8:9], s[42:43], s[8:9]
	s_and_saveexec_b64 s[42:43], s[10:11]
	s_cbranch_execz .LBB385_834
; %bb.836:                              ;   in Loop: Header=BB385_835 Depth=2
	s_add_u32 s38, s38, -1
	s_addc_u32 s39, s39, -1
	v_add_co_u32_e32 v4, vcc, 4, v4
	s_cmp_eq_u64 s[38:39], 0
	v_addc_co_u32_e32 v5, vcc, 0, v5, vcc
	s_cselect_b64 s[10:11], -1, 0
	v_add_co_u32_e32 v6, vcc, 4, v6
	s_andn2_b64 s[36:37], s[36:37], exec
	s_and_b64 s[40:41], s[44:45], exec
	s_andn2_b64 s[34:35], s[34:35], exec
	s_and_b64 s[10:11], s[10:11], exec
	v_addc_co_u32_e32 v7, vcc, 0, v7, vcc
	s_or_b64 s[36:37], s[36:37], s[40:41]
	s_andn2_b64 s[8:9], s[8:9], exec
	s_or_b64 s[34:35], s[34:35], s[10:11]
                                        ; implicit-def: $sgpr40_sgpr41
	s_branch .LBB385_834
.LBB385_837:                            ;   in Loop: Header=BB385_816 Depth=1
	s_or_b64 exec, exec, s[28:29]
	s_xor_b64 s[8:9], s[30:31], -1
	s_branch .LBB385_839
.LBB385_838:                            ;   in Loop: Header=BB385_816 Depth=1
	s_mov_b64 s[8:9], -1
.LBB385_839:                            ;   in Loop: Header=BB385_816 Depth=1
	s_andn2_b64 s[10:11], s[22:23], exec
	s_and_b64 s[8:9], s[8:9], exec
	s_or_b64 s[22:23], s[10:11], s[8:9]
.LBB385_840:                            ;   in Loop: Header=BB385_816 Depth=1
	s_or_b64 exec, exec, s[26:27]
	v_cndmask_b32_e64 v4, v9, v8, s[22:23]
	v_cndmask_b32_e64 v5, v20, v19, s[22:23]
	v_add_u32_e32 v6, 1, v4
	v_add_u32_e32 v4, -1, v5
	v_min_u32_e32 v4, v6, v4
	v_lshlrev_b32_e32 v4, 3, v4
	ds_read_b64 v[4:5], v4
	v_cndmask_b32_e64 v9, v6, v9, s[22:23]
	v_cndmask_b32_e64 v8, v8, v6, s[22:23]
	v_cmp_lt_u32_e32 vcc, v9, v20
	s_mov_b64 s[26:27], -1
	s_waitcnt lgkmcnt(0)
	v_cndmask_b32_e64 v21, v5, v3, s[22:23]
	v_cndmask_b32_e64 v22, v4, v2, s[22:23]
	;; [unrolled: 1-line block ×4, first 2 shown]
	s_mov_b64 s[28:29], -1
	s_and_saveexec_b64 s[30:31], vcc
	s_cbranch_execz .LBB385_851
; %bb.841:                              ;   in Loop: Header=BB385_816 Depth=1
	v_cmp_lt_u32_e32 vcc, v8, v19
	s_mov_b64 s[8:9], 0
	s_and_saveexec_b64 s[28:29], vcc
	s_cbranch_execz .LBB385_850
; %bb.842:                              ;   in Loop: Header=BB385_816 Depth=1
	s_and_b64 vcc, exec, s[6:7]
	s_cbranch_vccnz .LBB385_848
; %bb.843:                              ;   in Loop: Header=BB385_816 Depth=1
	v_pk_mov_b32 v[6:7], s[18:19], s[18:19] op_sel:[0,1]
	v_mad_u64_u32 v[4:5], s[8:9], s12, v22, v[6:7]
	v_mul_lo_u32 v10, s12, v21
	v_mul_lo_u32 v11, s13, v22
	v_add3_u32 v5, v11, v5, v10
	v_mad_u64_u32 v[6:7], s[8:9], s12, v24, v[6:7]
	v_mul_lo_u32 v10, s12, v23
	v_mul_lo_u32 v11, s13, v24
	v_add3_u32 v7, v11, v7, v10
	s_mov_b64 s[34:35], 0
	s_mov_b64 s[42:43], s[16:17]
                                        ; implicit-def: $sgpr36_sgpr37
                                        ; implicit-def: $sgpr38_sgpr39
                                        ; implicit-def: $sgpr8_sgpr9
                                        ; implicit-def: $sgpr40_sgpr41
                                        ; implicit-def: $sgpr44_sgpr45
	s_branch .LBB385_845
.LBB385_844:                            ;   in Loop: Header=BB385_845 Depth=2
	s_or_b64 exec, exec, s[46:47]
	s_and_b64 s[10:11], exec, s[38:39]
	s_or_b64 s[34:35], s[10:11], s[34:35]
	s_andn2_b64 s[10:11], s[44:45], exec
	s_and_b64 s[44:45], s[40:41], exec
	s_or_b64 s[44:45], s[10:11], s[44:45]
	s_andn2_b64 s[10:11], s[36:37], exec
	s_and_b64 s[36:37], s[8:9], exec
	s_or_b64 s[36:37], s[10:11], s[36:37]
	s_andn2_b64 exec, exec, s[34:35]
	s_cbranch_execz .LBB385_847
.LBB385_845:                            ;   Parent Loop BB385_816 Depth=1
                                        ; =>  This Inner Loop Header: Depth=2
	global_load_dword v10, v[4:5], off
	global_load_dword v11, v[6:7], off
	s_andn2_b64 s[46:47], s[8:9], exec
	s_andn2_b64 s[40:41], s[40:41], exec
	s_or_b64 s[38:39], s[38:39], exec
	s_waitcnt vmcnt(0)
	v_cmp_le_i32_e64 s[8:9], v10, v11
	v_cmp_lt_i32_e32 vcc, v10, v11
	s_and_b64 s[8:9], s[8:9], s[44:45]
	s_or_b64 s[48:49], vcc, s[8:9]
	s_and_b64 s[8:9], s[48:49], exec
	v_cmp_eq_u32_e64 s[10:11], v10, v11
	s_or_b64 s[8:9], s[46:47], s[8:9]
	s_and_saveexec_b64 s[46:47], s[10:11]
	s_cbranch_execz .LBB385_844
; %bb.846:                              ;   in Loop: Header=BB385_845 Depth=2
	s_add_u32 s42, s42, -1
	s_addc_u32 s43, s43, -1
	v_add_co_u32_e32 v4, vcc, 4, v4
	s_cmp_eq_u64 s[42:43], 0
	v_addc_co_u32_e32 v5, vcc, 0, v5, vcc
	s_cselect_b64 s[10:11], -1, 0
	v_add_co_u32_e32 v6, vcc, 4, v6
	s_andn2_b64 s[40:41], s[40:41], exec
	s_and_b64 s[44:45], s[48:49], exec
	s_andn2_b64 s[38:39], s[38:39], exec
	s_and_b64 s[10:11], s[10:11], exec
	v_addc_co_u32_e32 v7, vcc, 0, v7, vcc
	s_or_b64 s[40:41], s[40:41], s[44:45]
	s_andn2_b64 s[8:9], s[8:9], exec
	s_or_b64 s[38:39], s[38:39], s[10:11]
                                        ; implicit-def: $sgpr44_sgpr45
	s_branch .LBB385_844
.LBB385_847:                            ;   in Loop: Header=BB385_816 Depth=1
	s_or_b64 exec, exec, s[34:35]
	s_xor_b64 s[8:9], s[36:37], -1
	s_branch .LBB385_849
.LBB385_848:                            ;   in Loop: Header=BB385_816 Depth=1
	s_mov_b64 s[8:9], -1
.LBB385_849:                            ;   in Loop: Header=BB385_816 Depth=1
	s_and_b64 s[8:9], s[8:9], exec
.LBB385_850:                            ;   in Loop: Header=BB385_816 Depth=1
	s_or_b64 exec, exec, s[28:29]
	s_orn2_b64 s[28:29], s[8:9], exec
.LBB385_851:                            ;   in Loop: Header=BB385_816 Depth=1
	s_or_b64 exec, exec, s[30:31]
	v_cndmask_b32_e64 v4, v9, v8, s[28:29]
	v_cndmask_b32_e64 v5, v20, v19, s[28:29]
	v_add_u32_e32 v6, 1, v4
	v_add_u32_e32 v4, -1, v5
	v_min_u32_e32 v4, v6, v4
	v_lshlrev_b32_e32 v4, 3, v4
	ds_read_b64 v[4:5], v4
	v_cndmask_b32_e64 v9, v6, v9, s[28:29]
	v_cndmask_b32_e64 v8, v8, v6, s[28:29]
	v_cmp_lt_u32_e32 vcc, v9, v20
	s_waitcnt lgkmcnt(0)
	v_cndmask_b32_e64 v25, v5, v21, s[28:29]
	v_cndmask_b32_e64 v28, v4, v22, s[28:29]
	;; [unrolled: 1-line block ×4, first 2 shown]
	s_and_saveexec_b64 s[30:31], vcc
	s_cbranch_execz .LBB385_862
; %bb.852:                              ;   in Loop: Header=BB385_816 Depth=1
	v_cmp_lt_u32_e32 vcc, v8, v19
	s_mov_b64 s[8:9], 0
	s_and_saveexec_b64 s[26:27], vcc
	s_cbranch_execz .LBB385_861
; %bb.853:                              ;   in Loop: Header=BB385_816 Depth=1
	s_and_b64 vcc, exec, s[6:7]
	s_cbranch_vccnz .LBB385_859
; %bb.854:                              ;   in Loop: Header=BB385_816 Depth=1
	v_pk_mov_b32 v[6:7], s[18:19], s[18:19] op_sel:[0,1]
	v_mad_u64_u32 v[4:5], s[8:9], s12, v28, v[6:7]
	v_mul_lo_u32 v10, s12, v25
	v_mul_lo_u32 v11, s13, v28
	v_add3_u32 v5, v11, v5, v10
	v_mad_u64_u32 v[6:7], s[8:9], s12, v30, v[6:7]
	v_mul_lo_u32 v10, s12, v29
	v_mul_lo_u32 v11, s13, v30
	v_add3_u32 v7, v11, v7, v10
	s_mov_b64 s[34:35], 0
	s_mov_b64 s[42:43], s[16:17]
                                        ; implicit-def: $sgpr36_sgpr37
                                        ; implicit-def: $sgpr38_sgpr39
                                        ; implicit-def: $sgpr8_sgpr9
                                        ; implicit-def: $sgpr40_sgpr41
                                        ; implicit-def: $sgpr44_sgpr45
	s_branch .LBB385_856
.LBB385_855:                            ;   in Loop: Header=BB385_856 Depth=2
	s_or_b64 exec, exec, s[46:47]
	s_and_b64 s[10:11], exec, s[38:39]
	s_or_b64 s[34:35], s[10:11], s[34:35]
	s_andn2_b64 s[10:11], s[44:45], exec
	s_and_b64 s[44:45], s[40:41], exec
	s_or_b64 s[44:45], s[10:11], s[44:45]
	s_andn2_b64 s[10:11], s[36:37], exec
	s_and_b64 s[36:37], s[8:9], exec
	s_or_b64 s[36:37], s[10:11], s[36:37]
	s_andn2_b64 exec, exec, s[34:35]
	s_cbranch_execz .LBB385_858
.LBB385_856:                            ;   Parent Loop BB385_816 Depth=1
                                        ; =>  This Inner Loop Header: Depth=2
	global_load_dword v10, v[4:5], off
	global_load_dword v11, v[6:7], off
	s_andn2_b64 s[46:47], s[8:9], exec
	s_andn2_b64 s[40:41], s[40:41], exec
	s_or_b64 s[38:39], s[38:39], exec
	s_waitcnt vmcnt(0)
	v_cmp_le_i32_e64 s[8:9], v10, v11
	v_cmp_lt_i32_e32 vcc, v10, v11
	s_and_b64 s[8:9], s[8:9], s[44:45]
	s_or_b64 s[48:49], vcc, s[8:9]
	s_and_b64 s[8:9], s[48:49], exec
	v_cmp_eq_u32_e64 s[10:11], v10, v11
	s_or_b64 s[8:9], s[46:47], s[8:9]
	s_and_saveexec_b64 s[46:47], s[10:11]
	s_cbranch_execz .LBB385_855
; %bb.857:                              ;   in Loop: Header=BB385_856 Depth=2
	s_add_u32 s42, s42, -1
	s_addc_u32 s43, s43, -1
	v_add_co_u32_e32 v4, vcc, 4, v4
	s_cmp_eq_u64 s[42:43], 0
	v_addc_co_u32_e32 v5, vcc, 0, v5, vcc
	s_cselect_b64 s[10:11], -1, 0
	v_add_co_u32_e32 v6, vcc, 4, v6
	s_andn2_b64 s[40:41], s[40:41], exec
	s_and_b64 s[44:45], s[48:49], exec
	s_andn2_b64 s[38:39], s[38:39], exec
	s_and_b64 s[10:11], s[10:11], exec
	v_addc_co_u32_e32 v7, vcc, 0, v7, vcc
	s_or_b64 s[40:41], s[40:41], s[44:45]
	s_andn2_b64 s[8:9], s[8:9], exec
	s_or_b64 s[38:39], s[38:39], s[10:11]
                                        ; implicit-def: $sgpr44_sgpr45
	s_branch .LBB385_855
.LBB385_858:                            ;   in Loop: Header=BB385_816 Depth=1
	s_or_b64 exec, exec, s[34:35]
	s_xor_b64 s[8:9], s[36:37], -1
	s_branch .LBB385_860
.LBB385_859:                            ;   in Loop: Header=BB385_816 Depth=1
	s_mov_b64 s[8:9], -1
.LBB385_860:                            ;   in Loop: Header=BB385_816 Depth=1
	s_and_b64 s[8:9], s[8:9], exec
.LBB385_861:                            ;   in Loop: Header=BB385_816 Depth=1
	s_or_b64 exec, exec, s[26:27]
	s_orn2_b64 s[26:27], s[8:9], exec
.LBB385_862:                            ;   in Loop: Header=BB385_816 Depth=1
	s_or_b64 exec, exec, s[30:31]
	v_cndmask_b32_e64 v4, v9, v8, s[26:27]
	v_cndmask_b32_e64 v5, v20, v19, s[26:27]
	v_add_u32_e32 v10, 1, v4
	v_add_u32_e32 v4, -1, v5
	v_min_u32_e32 v4, v10, v4
	v_lshlrev_b32_e32 v4, 3, v4
	ds_read_b64 v[4:5], v4
	v_cndmask_b32_e64 v9, v10, v9, s[26:27]
	v_cmp_lt_u32_e32 vcc, v9, v20
	s_waitcnt lgkmcnt(0)
	v_cndmask_b32_e64 v7, v29, v5, s[26:27]
	v_cndmask_b32_e64 v6, v30, v4, s[26:27]
	s_and_saveexec_b64 s[30:31], vcc
	s_cbranch_execz .LBB385_814
; %bb.863:                              ;   in Loop: Header=BB385_816 Depth=1
	v_cndmask_b32_e64 v8, v8, v10, s[26:27]
	v_cndmask_b32_e64 v5, v5, v25, s[26:27]
	;; [unrolled: 1-line block ×3, first 2 shown]
	v_cmp_lt_u32_e32 vcc, v8, v19
	s_and_saveexec_b64 s[34:35], vcc
	s_cbranch_execz .LBB385_813
; %bb.864:                              ;   in Loop: Header=BB385_816 Depth=1
	s_and_b64 vcc, exec, s[6:7]
	s_cbranch_vccnz .LBB385_812
; %bb.865:                              ;   in Loop: Header=BB385_816 Depth=1
	v_pk_mov_b32 v[10:11], s[18:19], s[18:19] op_sel:[0,1]
	v_mad_u64_u32 v[8:9], s[8:9], s12, v4, v[10:11]
	v_mul_lo_u32 v19, s12, v5
	v_mul_lo_u32 v20, s13, v4
	v_add3_u32 v9, v20, v9, v19
	v_mad_u64_u32 v[10:11], s[8:9], s12, v6, v[10:11]
	v_mul_lo_u32 v19, s12, v7
	v_mul_lo_u32 v20, s13, v6
	v_add3_u32 v11, v20, v11, v19
	s_mov_b64 s[36:37], 0
	s_mov_b64 s[44:45], s[16:17]
                                        ; implicit-def: $sgpr38_sgpr39
                                        ; implicit-def: $sgpr40_sgpr41
                                        ; implicit-def: $sgpr8_sgpr9
                                        ; implicit-def: $sgpr42_sgpr43
                                        ; implicit-def: $sgpr46_sgpr47
	s_branch .LBB385_867
.LBB385_866:                            ;   in Loop: Header=BB385_867 Depth=2
	s_or_b64 exec, exec, s[48:49]
	s_and_b64 s[10:11], exec, s[40:41]
	s_or_b64 s[36:37], s[10:11], s[36:37]
	s_andn2_b64 s[10:11], s[46:47], exec
	s_and_b64 s[46:47], s[42:43], exec
	s_or_b64 s[46:47], s[10:11], s[46:47]
	s_andn2_b64 s[10:11], s[38:39], exec
	s_and_b64 s[38:39], s[8:9], exec
	s_or_b64 s[38:39], s[10:11], s[38:39]
	s_andn2_b64 exec, exec, s[36:37]
	s_cbranch_execz .LBB385_811
.LBB385_867:                            ;   Parent Loop BB385_816 Depth=1
                                        ; =>  This Inner Loop Header: Depth=2
	global_load_dword v19, v[8:9], off
	global_load_dword v20, v[10:11], off
	s_andn2_b64 s[48:49], s[8:9], exec
	s_andn2_b64 s[42:43], s[42:43], exec
	s_or_b64 s[40:41], s[40:41], exec
	s_waitcnt vmcnt(0)
	v_cmp_le_i32_e64 s[8:9], v19, v20
	v_cmp_lt_i32_e32 vcc, v19, v20
	s_and_b64 s[8:9], s[8:9], s[46:47]
	s_or_b64 s[50:51], vcc, s[8:9]
	s_and_b64 s[8:9], s[50:51], exec
	v_cmp_eq_u32_e64 s[10:11], v19, v20
	s_or_b64 s[8:9], s[48:49], s[8:9]
	s_and_saveexec_b64 s[48:49], s[10:11]
	s_cbranch_execz .LBB385_866
; %bb.868:                              ;   in Loop: Header=BB385_867 Depth=2
	s_add_u32 s44, s44, -1
	s_addc_u32 s45, s45, -1
	v_add_co_u32_e32 v8, vcc, 4, v8
	s_cmp_eq_u64 s[44:45], 0
	v_addc_co_u32_e32 v9, vcc, 0, v9, vcc
	s_cselect_b64 s[10:11], -1, 0
	v_add_co_u32_e32 v10, vcc, 4, v10
	s_andn2_b64 s[42:43], s[42:43], exec
	s_and_b64 s[46:47], s[50:51], exec
	s_andn2_b64 s[40:41], s[40:41], exec
	s_and_b64 s[10:11], s[10:11], exec
	v_addc_co_u32_e32 v11, vcc, 0, v11, vcc
	s_or_b64 s[42:43], s[42:43], s[46:47]
	s_andn2_b64 s[8:9], s[8:9], exec
	s_or_b64 s[40:41], s[40:41], s[10:11]
                                        ; implicit-def: $sgpr46_sgpr47
	s_branch .LBB385_866
.LBB385_869:
	s_barrier
	ds_write2_b64 v17, v[0:1], v[2:3] offset1:1
	ds_write2_b64 v17, v[4:5], v[6:7] offset0:2 offset1:3
	s_waitcnt lgkmcnt(0)
	s_barrier
	ds_read_b64 v[6:7], v13 offset:2048
	ds_read_b64 v[2:3], v15 offset:4096
	;; [unrolled: 1-line block ×3, first 2 shown]
	v_mov_b32_e32 v5, s21
	v_add_co_u32_e32 v4, vcc, s20, v26
	v_mov_b32_e32 v13, 0
	v_addc_co_u32_e32 v5, vcc, 0, v5, vcc
	s_and_saveexec_b64 s[6:7], s[0:1]
	s_cbranch_execnz .LBB385_877
; %bb.870:
	s_or_b64 exec, exec, s[6:7]
	s_and_saveexec_b64 s[0:1], s[2:3]
	s_cbranch_execnz .LBB385_878
.LBB385_871:
	s_or_b64 exec, exec, s[0:1]
	s_and_saveexec_b64 s[0:1], s[4:5]
	s_cbranch_execz .LBB385_873
.LBB385_872:
	v_add_co_u32_e32 v4, vcc, 0x1000, v4
	v_addc_co_u32_e32 v5, vcc, 0, v5, vcc
	s_waitcnt lgkmcnt(1)
	global_store_dwordx2 v[4:5], v[2:3], off
.LBB385_873:
	s_or_b64 exec, exec, s[0:1]
.LBB385_874:
	s_and_saveexec_b64 s[0:1], s[24:25]
	s_cbranch_execz .LBB385_876
; %bb.875:
	s_waitcnt lgkmcnt(1)
	v_lshlrev_b64 v[2:3], 3, v[12:13]
	v_mov_b32_e32 v4, s21
	v_add_co_u32_e32 v2, vcc, s20, v2
	v_addc_co_u32_e32 v3, vcc, v4, v3, vcc
	v_add_co_u32_e32 v2, vcc, 0x1000, v2
	v_addc_co_u32_e32 v3, vcc, 0, v3, vcc
	s_waitcnt lgkmcnt(0)
	global_store_dwordx2 v[2:3], v[0:1], off offset:2048
.LBB385_876:
	s_endpgm
.LBB385_877:
	ds_read_b64 v[8:9], v14
	s_waitcnt lgkmcnt(0)
	global_store_dwordx2 v[4:5], v[8:9], off
	s_or_b64 exec, exec, s[6:7]
	s_and_saveexec_b64 s[0:1], s[2:3]
	s_cbranch_execz .LBB385_871
.LBB385_878:
	s_waitcnt lgkmcnt(2)
	global_store_dwordx2 v[4:5], v[6:7], off offset:2048
	s_or_b64 exec, exec, s[0:1]
	s_and_saveexec_b64 s[0:1], s[4:5]
	s_cbranch_execnz .LBB385_872
	s_branch .LBB385_873
	.section	.rodata,"a",@progbits
	.p2align	6, 0x0
	.amdhsa_kernel _ZN7rocprim17ROCPRIM_400000_NS6detail17trampoline_kernelINS0_14default_configENS1_37merge_sort_block_sort_config_selectorIlNS0_10empty_typeEEEZNS1_21merge_sort_block_sortIS3_PlS8_PS5_S9_ZN2at6native12_GLOBAL__N_124unique_dim_cuda_templateIiEESt5tupleIJNSA_6TensorESF_SF_EERKSF_lbbbEUlllE_EE10hipError_tT0_T1_T2_T3_mRjT4_P12ihipStream_tbNS1_7vsmem_tEEUlT_E_NS1_11comp_targetILNS1_3genE4ELNS1_11target_archE910ELNS1_3gpuE8ELNS1_3repE0EEENS1_30default_config_static_selectorELNS0_4arch9wavefront6targetE1EEEvSM_
		.amdhsa_group_segment_fixed_size 8448
		.amdhsa_private_segment_fixed_size 0
		.amdhsa_kernarg_size 328
		.amdhsa_user_sgpr_count 6
		.amdhsa_user_sgpr_private_segment_buffer 1
		.amdhsa_user_sgpr_dispatch_ptr 0
		.amdhsa_user_sgpr_queue_ptr 0
		.amdhsa_user_sgpr_kernarg_segment_ptr 1
		.amdhsa_user_sgpr_dispatch_id 0
		.amdhsa_user_sgpr_flat_scratch_init 0
		.amdhsa_user_sgpr_kernarg_preload_length 0
		.amdhsa_user_sgpr_kernarg_preload_offset 0
		.amdhsa_user_sgpr_private_segment_size 0
		.amdhsa_uses_dynamic_stack 0
		.amdhsa_system_sgpr_private_segment_wavefront_offset 0
		.amdhsa_system_sgpr_workgroup_id_x 1
		.amdhsa_system_sgpr_workgroup_id_y 1
		.amdhsa_system_sgpr_workgroup_id_z 1
		.amdhsa_system_sgpr_workgroup_info 0
		.amdhsa_system_vgpr_workitem_id 2
		.amdhsa_next_free_vgpr 46
		.amdhsa_next_free_sgpr 54
		.amdhsa_accum_offset 48
		.amdhsa_reserve_vcc 1
		.amdhsa_reserve_flat_scratch 0
		.amdhsa_float_round_mode_32 0
		.amdhsa_float_round_mode_16_64 0
		.amdhsa_float_denorm_mode_32 3
		.amdhsa_float_denorm_mode_16_64 3
		.amdhsa_dx10_clamp 1
		.amdhsa_ieee_mode 1
		.amdhsa_fp16_overflow 0
		.amdhsa_tg_split 0
		.amdhsa_exception_fp_ieee_invalid_op 0
		.amdhsa_exception_fp_denorm_src 0
		.amdhsa_exception_fp_ieee_div_zero 0
		.amdhsa_exception_fp_ieee_overflow 0
		.amdhsa_exception_fp_ieee_underflow 0
		.amdhsa_exception_fp_ieee_inexact 0
		.amdhsa_exception_int_div_zero 0
	.end_amdhsa_kernel
	.section	.text._ZN7rocprim17ROCPRIM_400000_NS6detail17trampoline_kernelINS0_14default_configENS1_37merge_sort_block_sort_config_selectorIlNS0_10empty_typeEEEZNS1_21merge_sort_block_sortIS3_PlS8_PS5_S9_ZN2at6native12_GLOBAL__N_124unique_dim_cuda_templateIiEESt5tupleIJNSA_6TensorESF_SF_EERKSF_lbbbEUlllE_EE10hipError_tT0_T1_T2_T3_mRjT4_P12ihipStream_tbNS1_7vsmem_tEEUlT_E_NS1_11comp_targetILNS1_3genE4ELNS1_11target_archE910ELNS1_3gpuE8ELNS1_3repE0EEENS1_30default_config_static_selectorELNS0_4arch9wavefront6targetE1EEEvSM_,"axG",@progbits,_ZN7rocprim17ROCPRIM_400000_NS6detail17trampoline_kernelINS0_14default_configENS1_37merge_sort_block_sort_config_selectorIlNS0_10empty_typeEEEZNS1_21merge_sort_block_sortIS3_PlS8_PS5_S9_ZN2at6native12_GLOBAL__N_124unique_dim_cuda_templateIiEESt5tupleIJNSA_6TensorESF_SF_EERKSF_lbbbEUlllE_EE10hipError_tT0_T1_T2_T3_mRjT4_P12ihipStream_tbNS1_7vsmem_tEEUlT_E_NS1_11comp_targetILNS1_3genE4ELNS1_11target_archE910ELNS1_3gpuE8ELNS1_3repE0EEENS1_30default_config_static_selectorELNS0_4arch9wavefront6targetE1EEEvSM_,comdat
.Lfunc_end385:
	.size	_ZN7rocprim17ROCPRIM_400000_NS6detail17trampoline_kernelINS0_14default_configENS1_37merge_sort_block_sort_config_selectorIlNS0_10empty_typeEEEZNS1_21merge_sort_block_sortIS3_PlS8_PS5_S9_ZN2at6native12_GLOBAL__N_124unique_dim_cuda_templateIiEESt5tupleIJNSA_6TensorESF_SF_EERKSF_lbbbEUlllE_EE10hipError_tT0_T1_T2_T3_mRjT4_P12ihipStream_tbNS1_7vsmem_tEEUlT_E_NS1_11comp_targetILNS1_3genE4ELNS1_11target_archE910ELNS1_3gpuE8ELNS1_3repE0EEENS1_30default_config_static_selectorELNS0_4arch9wavefront6targetE1EEEvSM_, .Lfunc_end385-_ZN7rocprim17ROCPRIM_400000_NS6detail17trampoline_kernelINS0_14default_configENS1_37merge_sort_block_sort_config_selectorIlNS0_10empty_typeEEEZNS1_21merge_sort_block_sortIS3_PlS8_PS5_S9_ZN2at6native12_GLOBAL__N_124unique_dim_cuda_templateIiEESt5tupleIJNSA_6TensorESF_SF_EERKSF_lbbbEUlllE_EE10hipError_tT0_T1_T2_T3_mRjT4_P12ihipStream_tbNS1_7vsmem_tEEUlT_E_NS1_11comp_targetILNS1_3genE4ELNS1_11target_archE910ELNS1_3gpuE8ELNS1_3repE0EEENS1_30default_config_static_selectorELNS0_4arch9wavefront6targetE1EEEvSM_
                                        ; -- End function
	.section	.AMDGPU.csdata,"",@progbits
; Kernel info:
; codeLenInByte = 37876
; NumSgprs: 58
; NumVgprs: 46
; NumAgprs: 0
; TotalNumVgprs: 46
; ScratchSize: 0
; MemoryBound: 0
; FloatMode: 240
; IeeeMode: 1
; LDSByteSize: 8448 bytes/workgroup (compile time only)
; SGPRBlocks: 7
; VGPRBlocks: 5
; NumSGPRsForWavesPerEU: 58
; NumVGPRsForWavesPerEU: 46
; AccumOffset: 48
; Occupancy: 7
; WaveLimiterHint : 1
; COMPUTE_PGM_RSRC2:SCRATCH_EN: 0
; COMPUTE_PGM_RSRC2:USER_SGPR: 6
; COMPUTE_PGM_RSRC2:TRAP_HANDLER: 0
; COMPUTE_PGM_RSRC2:TGID_X_EN: 1
; COMPUTE_PGM_RSRC2:TGID_Y_EN: 1
; COMPUTE_PGM_RSRC2:TGID_Z_EN: 1
; COMPUTE_PGM_RSRC2:TIDIG_COMP_CNT: 2
; COMPUTE_PGM_RSRC3_GFX90A:ACCUM_OFFSET: 11
; COMPUTE_PGM_RSRC3_GFX90A:TG_SPLIT: 0
	.section	.text._ZN7rocprim17ROCPRIM_400000_NS6detail17trampoline_kernelINS0_14default_configENS1_37merge_sort_block_sort_config_selectorIlNS0_10empty_typeEEEZNS1_21merge_sort_block_sortIS3_PlS8_PS5_S9_ZN2at6native12_GLOBAL__N_124unique_dim_cuda_templateIiEESt5tupleIJNSA_6TensorESF_SF_EERKSF_lbbbEUlllE_EE10hipError_tT0_T1_T2_T3_mRjT4_P12ihipStream_tbNS1_7vsmem_tEEUlT_E_NS1_11comp_targetILNS1_3genE3ELNS1_11target_archE908ELNS1_3gpuE7ELNS1_3repE0EEENS1_30default_config_static_selectorELNS0_4arch9wavefront6targetE1EEEvSM_,"axG",@progbits,_ZN7rocprim17ROCPRIM_400000_NS6detail17trampoline_kernelINS0_14default_configENS1_37merge_sort_block_sort_config_selectorIlNS0_10empty_typeEEEZNS1_21merge_sort_block_sortIS3_PlS8_PS5_S9_ZN2at6native12_GLOBAL__N_124unique_dim_cuda_templateIiEESt5tupleIJNSA_6TensorESF_SF_EERKSF_lbbbEUlllE_EE10hipError_tT0_T1_T2_T3_mRjT4_P12ihipStream_tbNS1_7vsmem_tEEUlT_E_NS1_11comp_targetILNS1_3genE3ELNS1_11target_archE908ELNS1_3gpuE7ELNS1_3repE0EEENS1_30default_config_static_selectorELNS0_4arch9wavefront6targetE1EEEvSM_,comdat
	.globl	_ZN7rocprim17ROCPRIM_400000_NS6detail17trampoline_kernelINS0_14default_configENS1_37merge_sort_block_sort_config_selectorIlNS0_10empty_typeEEEZNS1_21merge_sort_block_sortIS3_PlS8_PS5_S9_ZN2at6native12_GLOBAL__N_124unique_dim_cuda_templateIiEESt5tupleIJNSA_6TensorESF_SF_EERKSF_lbbbEUlllE_EE10hipError_tT0_T1_T2_T3_mRjT4_P12ihipStream_tbNS1_7vsmem_tEEUlT_E_NS1_11comp_targetILNS1_3genE3ELNS1_11target_archE908ELNS1_3gpuE7ELNS1_3repE0EEENS1_30default_config_static_selectorELNS0_4arch9wavefront6targetE1EEEvSM_ ; -- Begin function _ZN7rocprim17ROCPRIM_400000_NS6detail17trampoline_kernelINS0_14default_configENS1_37merge_sort_block_sort_config_selectorIlNS0_10empty_typeEEEZNS1_21merge_sort_block_sortIS3_PlS8_PS5_S9_ZN2at6native12_GLOBAL__N_124unique_dim_cuda_templateIiEESt5tupleIJNSA_6TensorESF_SF_EERKSF_lbbbEUlllE_EE10hipError_tT0_T1_T2_T3_mRjT4_P12ihipStream_tbNS1_7vsmem_tEEUlT_E_NS1_11comp_targetILNS1_3genE3ELNS1_11target_archE908ELNS1_3gpuE7ELNS1_3repE0EEENS1_30default_config_static_selectorELNS0_4arch9wavefront6targetE1EEEvSM_
	.p2align	8
	.type	_ZN7rocprim17ROCPRIM_400000_NS6detail17trampoline_kernelINS0_14default_configENS1_37merge_sort_block_sort_config_selectorIlNS0_10empty_typeEEEZNS1_21merge_sort_block_sortIS3_PlS8_PS5_S9_ZN2at6native12_GLOBAL__N_124unique_dim_cuda_templateIiEESt5tupleIJNSA_6TensorESF_SF_EERKSF_lbbbEUlllE_EE10hipError_tT0_T1_T2_T3_mRjT4_P12ihipStream_tbNS1_7vsmem_tEEUlT_E_NS1_11comp_targetILNS1_3genE3ELNS1_11target_archE908ELNS1_3gpuE7ELNS1_3repE0EEENS1_30default_config_static_selectorELNS0_4arch9wavefront6targetE1EEEvSM_,@function
_ZN7rocprim17ROCPRIM_400000_NS6detail17trampoline_kernelINS0_14default_configENS1_37merge_sort_block_sort_config_selectorIlNS0_10empty_typeEEEZNS1_21merge_sort_block_sortIS3_PlS8_PS5_S9_ZN2at6native12_GLOBAL__N_124unique_dim_cuda_templateIiEESt5tupleIJNSA_6TensorESF_SF_EERKSF_lbbbEUlllE_EE10hipError_tT0_T1_T2_T3_mRjT4_P12ihipStream_tbNS1_7vsmem_tEEUlT_E_NS1_11comp_targetILNS1_3genE3ELNS1_11target_archE908ELNS1_3gpuE7ELNS1_3repE0EEENS1_30default_config_static_selectorELNS0_4arch9wavefront6targetE1EEEvSM_: ; @_ZN7rocprim17ROCPRIM_400000_NS6detail17trampoline_kernelINS0_14default_configENS1_37merge_sort_block_sort_config_selectorIlNS0_10empty_typeEEEZNS1_21merge_sort_block_sortIS3_PlS8_PS5_S9_ZN2at6native12_GLOBAL__N_124unique_dim_cuda_templateIiEESt5tupleIJNSA_6TensorESF_SF_EERKSF_lbbbEUlllE_EE10hipError_tT0_T1_T2_T3_mRjT4_P12ihipStream_tbNS1_7vsmem_tEEUlT_E_NS1_11comp_targetILNS1_3genE3ELNS1_11target_archE908ELNS1_3gpuE7ELNS1_3repE0EEENS1_30default_config_static_selectorELNS0_4arch9wavefront6targetE1EEEvSM_
; %bb.0:
	.section	.rodata,"a",@progbits
	.p2align	6, 0x0
	.amdhsa_kernel _ZN7rocprim17ROCPRIM_400000_NS6detail17trampoline_kernelINS0_14default_configENS1_37merge_sort_block_sort_config_selectorIlNS0_10empty_typeEEEZNS1_21merge_sort_block_sortIS3_PlS8_PS5_S9_ZN2at6native12_GLOBAL__N_124unique_dim_cuda_templateIiEESt5tupleIJNSA_6TensorESF_SF_EERKSF_lbbbEUlllE_EE10hipError_tT0_T1_T2_T3_mRjT4_P12ihipStream_tbNS1_7vsmem_tEEUlT_E_NS1_11comp_targetILNS1_3genE3ELNS1_11target_archE908ELNS1_3gpuE7ELNS1_3repE0EEENS1_30default_config_static_selectorELNS0_4arch9wavefront6targetE1EEEvSM_
		.amdhsa_group_segment_fixed_size 0
		.amdhsa_private_segment_fixed_size 0
		.amdhsa_kernarg_size 72
		.amdhsa_user_sgpr_count 6
		.amdhsa_user_sgpr_private_segment_buffer 1
		.amdhsa_user_sgpr_dispatch_ptr 0
		.amdhsa_user_sgpr_queue_ptr 0
		.amdhsa_user_sgpr_kernarg_segment_ptr 1
		.amdhsa_user_sgpr_dispatch_id 0
		.amdhsa_user_sgpr_flat_scratch_init 0
		.amdhsa_user_sgpr_kernarg_preload_length 0
		.amdhsa_user_sgpr_kernarg_preload_offset 0
		.amdhsa_user_sgpr_private_segment_size 0
		.amdhsa_uses_dynamic_stack 0
		.amdhsa_system_sgpr_private_segment_wavefront_offset 0
		.amdhsa_system_sgpr_workgroup_id_x 1
		.amdhsa_system_sgpr_workgroup_id_y 0
		.amdhsa_system_sgpr_workgroup_id_z 0
		.amdhsa_system_sgpr_workgroup_info 0
		.amdhsa_system_vgpr_workitem_id 0
		.amdhsa_next_free_vgpr 1
		.amdhsa_next_free_sgpr 0
		.amdhsa_accum_offset 4
		.amdhsa_reserve_vcc 0
		.amdhsa_reserve_flat_scratch 0
		.amdhsa_float_round_mode_32 0
		.amdhsa_float_round_mode_16_64 0
		.amdhsa_float_denorm_mode_32 3
		.amdhsa_float_denorm_mode_16_64 3
		.amdhsa_dx10_clamp 1
		.amdhsa_ieee_mode 1
		.amdhsa_fp16_overflow 0
		.amdhsa_tg_split 0
		.amdhsa_exception_fp_ieee_invalid_op 0
		.amdhsa_exception_fp_denorm_src 0
		.amdhsa_exception_fp_ieee_div_zero 0
		.amdhsa_exception_fp_ieee_overflow 0
		.amdhsa_exception_fp_ieee_underflow 0
		.amdhsa_exception_fp_ieee_inexact 0
		.amdhsa_exception_int_div_zero 0
	.end_amdhsa_kernel
	.section	.text._ZN7rocprim17ROCPRIM_400000_NS6detail17trampoline_kernelINS0_14default_configENS1_37merge_sort_block_sort_config_selectorIlNS0_10empty_typeEEEZNS1_21merge_sort_block_sortIS3_PlS8_PS5_S9_ZN2at6native12_GLOBAL__N_124unique_dim_cuda_templateIiEESt5tupleIJNSA_6TensorESF_SF_EERKSF_lbbbEUlllE_EE10hipError_tT0_T1_T2_T3_mRjT4_P12ihipStream_tbNS1_7vsmem_tEEUlT_E_NS1_11comp_targetILNS1_3genE3ELNS1_11target_archE908ELNS1_3gpuE7ELNS1_3repE0EEENS1_30default_config_static_selectorELNS0_4arch9wavefront6targetE1EEEvSM_,"axG",@progbits,_ZN7rocprim17ROCPRIM_400000_NS6detail17trampoline_kernelINS0_14default_configENS1_37merge_sort_block_sort_config_selectorIlNS0_10empty_typeEEEZNS1_21merge_sort_block_sortIS3_PlS8_PS5_S9_ZN2at6native12_GLOBAL__N_124unique_dim_cuda_templateIiEESt5tupleIJNSA_6TensorESF_SF_EERKSF_lbbbEUlllE_EE10hipError_tT0_T1_T2_T3_mRjT4_P12ihipStream_tbNS1_7vsmem_tEEUlT_E_NS1_11comp_targetILNS1_3genE3ELNS1_11target_archE908ELNS1_3gpuE7ELNS1_3repE0EEENS1_30default_config_static_selectorELNS0_4arch9wavefront6targetE1EEEvSM_,comdat
.Lfunc_end386:
	.size	_ZN7rocprim17ROCPRIM_400000_NS6detail17trampoline_kernelINS0_14default_configENS1_37merge_sort_block_sort_config_selectorIlNS0_10empty_typeEEEZNS1_21merge_sort_block_sortIS3_PlS8_PS5_S9_ZN2at6native12_GLOBAL__N_124unique_dim_cuda_templateIiEESt5tupleIJNSA_6TensorESF_SF_EERKSF_lbbbEUlllE_EE10hipError_tT0_T1_T2_T3_mRjT4_P12ihipStream_tbNS1_7vsmem_tEEUlT_E_NS1_11comp_targetILNS1_3genE3ELNS1_11target_archE908ELNS1_3gpuE7ELNS1_3repE0EEENS1_30default_config_static_selectorELNS0_4arch9wavefront6targetE1EEEvSM_, .Lfunc_end386-_ZN7rocprim17ROCPRIM_400000_NS6detail17trampoline_kernelINS0_14default_configENS1_37merge_sort_block_sort_config_selectorIlNS0_10empty_typeEEEZNS1_21merge_sort_block_sortIS3_PlS8_PS5_S9_ZN2at6native12_GLOBAL__N_124unique_dim_cuda_templateIiEESt5tupleIJNSA_6TensorESF_SF_EERKSF_lbbbEUlllE_EE10hipError_tT0_T1_T2_T3_mRjT4_P12ihipStream_tbNS1_7vsmem_tEEUlT_E_NS1_11comp_targetILNS1_3genE3ELNS1_11target_archE908ELNS1_3gpuE7ELNS1_3repE0EEENS1_30default_config_static_selectorELNS0_4arch9wavefront6targetE1EEEvSM_
                                        ; -- End function
	.section	.AMDGPU.csdata,"",@progbits
; Kernel info:
; codeLenInByte = 0
; NumSgprs: 4
; NumVgprs: 0
; NumAgprs: 0
; TotalNumVgprs: 0
; ScratchSize: 0
; MemoryBound: 0
; FloatMode: 240
; IeeeMode: 1
; LDSByteSize: 0 bytes/workgroup (compile time only)
; SGPRBlocks: 0
; VGPRBlocks: 0
; NumSGPRsForWavesPerEU: 4
; NumVGPRsForWavesPerEU: 1
; AccumOffset: 4
; Occupancy: 8
; WaveLimiterHint : 0
; COMPUTE_PGM_RSRC2:SCRATCH_EN: 0
; COMPUTE_PGM_RSRC2:USER_SGPR: 6
; COMPUTE_PGM_RSRC2:TRAP_HANDLER: 0
; COMPUTE_PGM_RSRC2:TGID_X_EN: 1
; COMPUTE_PGM_RSRC2:TGID_Y_EN: 0
; COMPUTE_PGM_RSRC2:TGID_Z_EN: 0
; COMPUTE_PGM_RSRC2:TIDIG_COMP_CNT: 0
; COMPUTE_PGM_RSRC3_GFX90A:ACCUM_OFFSET: 0
; COMPUTE_PGM_RSRC3_GFX90A:TG_SPLIT: 0
	.section	.text._ZN7rocprim17ROCPRIM_400000_NS6detail17trampoline_kernelINS0_14default_configENS1_37merge_sort_block_sort_config_selectorIlNS0_10empty_typeEEEZNS1_21merge_sort_block_sortIS3_PlS8_PS5_S9_ZN2at6native12_GLOBAL__N_124unique_dim_cuda_templateIiEESt5tupleIJNSA_6TensorESF_SF_EERKSF_lbbbEUlllE_EE10hipError_tT0_T1_T2_T3_mRjT4_P12ihipStream_tbNS1_7vsmem_tEEUlT_E_NS1_11comp_targetILNS1_3genE2ELNS1_11target_archE906ELNS1_3gpuE6ELNS1_3repE0EEENS1_30default_config_static_selectorELNS0_4arch9wavefront6targetE1EEEvSM_,"axG",@progbits,_ZN7rocprim17ROCPRIM_400000_NS6detail17trampoline_kernelINS0_14default_configENS1_37merge_sort_block_sort_config_selectorIlNS0_10empty_typeEEEZNS1_21merge_sort_block_sortIS3_PlS8_PS5_S9_ZN2at6native12_GLOBAL__N_124unique_dim_cuda_templateIiEESt5tupleIJNSA_6TensorESF_SF_EERKSF_lbbbEUlllE_EE10hipError_tT0_T1_T2_T3_mRjT4_P12ihipStream_tbNS1_7vsmem_tEEUlT_E_NS1_11comp_targetILNS1_3genE2ELNS1_11target_archE906ELNS1_3gpuE6ELNS1_3repE0EEENS1_30default_config_static_selectorELNS0_4arch9wavefront6targetE1EEEvSM_,comdat
	.globl	_ZN7rocprim17ROCPRIM_400000_NS6detail17trampoline_kernelINS0_14default_configENS1_37merge_sort_block_sort_config_selectorIlNS0_10empty_typeEEEZNS1_21merge_sort_block_sortIS3_PlS8_PS5_S9_ZN2at6native12_GLOBAL__N_124unique_dim_cuda_templateIiEESt5tupleIJNSA_6TensorESF_SF_EERKSF_lbbbEUlllE_EE10hipError_tT0_T1_T2_T3_mRjT4_P12ihipStream_tbNS1_7vsmem_tEEUlT_E_NS1_11comp_targetILNS1_3genE2ELNS1_11target_archE906ELNS1_3gpuE6ELNS1_3repE0EEENS1_30default_config_static_selectorELNS0_4arch9wavefront6targetE1EEEvSM_ ; -- Begin function _ZN7rocprim17ROCPRIM_400000_NS6detail17trampoline_kernelINS0_14default_configENS1_37merge_sort_block_sort_config_selectorIlNS0_10empty_typeEEEZNS1_21merge_sort_block_sortIS3_PlS8_PS5_S9_ZN2at6native12_GLOBAL__N_124unique_dim_cuda_templateIiEESt5tupleIJNSA_6TensorESF_SF_EERKSF_lbbbEUlllE_EE10hipError_tT0_T1_T2_T3_mRjT4_P12ihipStream_tbNS1_7vsmem_tEEUlT_E_NS1_11comp_targetILNS1_3genE2ELNS1_11target_archE906ELNS1_3gpuE6ELNS1_3repE0EEENS1_30default_config_static_selectorELNS0_4arch9wavefront6targetE1EEEvSM_
	.p2align	8
	.type	_ZN7rocprim17ROCPRIM_400000_NS6detail17trampoline_kernelINS0_14default_configENS1_37merge_sort_block_sort_config_selectorIlNS0_10empty_typeEEEZNS1_21merge_sort_block_sortIS3_PlS8_PS5_S9_ZN2at6native12_GLOBAL__N_124unique_dim_cuda_templateIiEESt5tupleIJNSA_6TensorESF_SF_EERKSF_lbbbEUlllE_EE10hipError_tT0_T1_T2_T3_mRjT4_P12ihipStream_tbNS1_7vsmem_tEEUlT_E_NS1_11comp_targetILNS1_3genE2ELNS1_11target_archE906ELNS1_3gpuE6ELNS1_3repE0EEENS1_30default_config_static_selectorELNS0_4arch9wavefront6targetE1EEEvSM_,@function
_ZN7rocprim17ROCPRIM_400000_NS6detail17trampoline_kernelINS0_14default_configENS1_37merge_sort_block_sort_config_selectorIlNS0_10empty_typeEEEZNS1_21merge_sort_block_sortIS3_PlS8_PS5_S9_ZN2at6native12_GLOBAL__N_124unique_dim_cuda_templateIiEESt5tupleIJNSA_6TensorESF_SF_EERKSF_lbbbEUlllE_EE10hipError_tT0_T1_T2_T3_mRjT4_P12ihipStream_tbNS1_7vsmem_tEEUlT_E_NS1_11comp_targetILNS1_3genE2ELNS1_11target_archE906ELNS1_3gpuE6ELNS1_3repE0EEENS1_30default_config_static_selectorELNS0_4arch9wavefront6targetE1EEEvSM_: ; @_ZN7rocprim17ROCPRIM_400000_NS6detail17trampoline_kernelINS0_14default_configENS1_37merge_sort_block_sort_config_selectorIlNS0_10empty_typeEEEZNS1_21merge_sort_block_sortIS3_PlS8_PS5_S9_ZN2at6native12_GLOBAL__N_124unique_dim_cuda_templateIiEESt5tupleIJNSA_6TensorESF_SF_EERKSF_lbbbEUlllE_EE10hipError_tT0_T1_T2_T3_mRjT4_P12ihipStream_tbNS1_7vsmem_tEEUlT_E_NS1_11comp_targetILNS1_3genE2ELNS1_11target_archE906ELNS1_3gpuE6ELNS1_3repE0EEENS1_30default_config_static_selectorELNS0_4arch9wavefront6targetE1EEEvSM_
; %bb.0:
	.section	.rodata,"a",@progbits
	.p2align	6, 0x0
	.amdhsa_kernel _ZN7rocprim17ROCPRIM_400000_NS6detail17trampoline_kernelINS0_14default_configENS1_37merge_sort_block_sort_config_selectorIlNS0_10empty_typeEEEZNS1_21merge_sort_block_sortIS3_PlS8_PS5_S9_ZN2at6native12_GLOBAL__N_124unique_dim_cuda_templateIiEESt5tupleIJNSA_6TensorESF_SF_EERKSF_lbbbEUlllE_EE10hipError_tT0_T1_T2_T3_mRjT4_P12ihipStream_tbNS1_7vsmem_tEEUlT_E_NS1_11comp_targetILNS1_3genE2ELNS1_11target_archE906ELNS1_3gpuE6ELNS1_3repE0EEENS1_30default_config_static_selectorELNS0_4arch9wavefront6targetE1EEEvSM_
		.amdhsa_group_segment_fixed_size 0
		.amdhsa_private_segment_fixed_size 0
		.amdhsa_kernarg_size 72
		.amdhsa_user_sgpr_count 6
		.amdhsa_user_sgpr_private_segment_buffer 1
		.amdhsa_user_sgpr_dispatch_ptr 0
		.amdhsa_user_sgpr_queue_ptr 0
		.amdhsa_user_sgpr_kernarg_segment_ptr 1
		.amdhsa_user_sgpr_dispatch_id 0
		.amdhsa_user_sgpr_flat_scratch_init 0
		.amdhsa_user_sgpr_kernarg_preload_length 0
		.amdhsa_user_sgpr_kernarg_preload_offset 0
		.amdhsa_user_sgpr_private_segment_size 0
		.amdhsa_uses_dynamic_stack 0
		.amdhsa_system_sgpr_private_segment_wavefront_offset 0
		.amdhsa_system_sgpr_workgroup_id_x 1
		.amdhsa_system_sgpr_workgroup_id_y 0
		.amdhsa_system_sgpr_workgroup_id_z 0
		.amdhsa_system_sgpr_workgroup_info 0
		.amdhsa_system_vgpr_workitem_id 0
		.amdhsa_next_free_vgpr 1
		.amdhsa_next_free_sgpr 0
		.amdhsa_accum_offset 4
		.amdhsa_reserve_vcc 0
		.amdhsa_reserve_flat_scratch 0
		.amdhsa_float_round_mode_32 0
		.amdhsa_float_round_mode_16_64 0
		.amdhsa_float_denorm_mode_32 3
		.amdhsa_float_denorm_mode_16_64 3
		.amdhsa_dx10_clamp 1
		.amdhsa_ieee_mode 1
		.amdhsa_fp16_overflow 0
		.amdhsa_tg_split 0
		.amdhsa_exception_fp_ieee_invalid_op 0
		.amdhsa_exception_fp_denorm_src 0
		.amdhsa_exception_fp_ieee_div_zero 0
		.amdhsa_exception_fp_ieee_overflow 0
		.amdhsa_exception_fp_ieee_underflow 0
		.amdhsa_exception_fp_ieee_inexact 0
		.amdhsa_exception_int_div_zero 0
	.end_amdhsa_kernel
	.section	.text._ZN7rocprim17ROCPRIM_400000_NS6detail17trampoline_kernelINS0_14default_configENS1_37merge_sort_block_sort_config_selectorIlNS0_10empty_typeEEEZNS1_21merge_sort_block_sortIS3_PlS8_PS5_S9_ZN2at6native12_GLOBAL__N_124unique_dim_cuda_templateIiEESt5tupleIJNSA_6TensorESF_SF_EERKSF_lbbbEUlllE_EE10hipError_tT0_T1_T2_T3_mRjT4_P12ihipStream_tbNS1_7vsmem_tEEUlT_E_NS1_11comp_targetILNS1_3genE2ELNS1_11target_archE906ELNS1_3gpuE6ELNS1_3repE0EEENS1_30default_config_static_selectorELNS0_4arch9wavefront6targetE1EEEvSM_,"axG",@progbits,_ZN7rocprim17ROCPRIM_400000_NS6detail17trampoline_kernelINS0_14default_configENS1_37merge_sort_block_sort_config_selectorIlNS0_10empty_typeEEEZNS1_21merge_sort_block_sortIS3_PlS8_PS5_S9_ZN2at6native12_GLOBAL__N_124unique_dim_cuda_templateIiEESt5tupleIJNSA_6TensorESF_SF_EERKSF_lbbbEUlllE_EE10hipError_tT0_T1_T2_T3_mRjT4_P12ihipStream_tbNS1_7vsmem_tEEUlT_E_NS1_11comp_targetILNS1_3genE2ELNS1_11target_archE906ELNS1_3gpuE6ELNS1_3repE0EEENS1_30default_config_static_selectorELNS0_4arch9wavefront6targetE1EEEvSM_,comdat
.Lfunc_end387:
	.size	_ZN7rocprim17ROCPRIM_400000_NS6detail17trampoline_kernelINS0_14default_configENS1_37merge_sort_block_sort_config_selectorIlNS0_10empty_typeEEEZNS1_21merge_sort_block_sortIS3_PlS8_PS5_S9_ZN2at6native12_GLOBAL__N_124unique_dim_cuda_templateIiEESt5tupleIJNSA_6TensorESF_SF_EERKSF_lbbbEUlllE_EE10hipError_tT0_T1_T2_T3_mRjT4_P12ihipStream_tbNS1_7vsmem_tEEUlT_E_NS1_11comp_targetILNS1_3genE2ELNS1_11target_archE906ELNS1_3gpuE6ELNS1_3repE0EEENS1_30default_config_static_selectorELNS0_4arch9wavefront6targetE1EEEvSM_, .Lfunc_end387-_ZN7rocprim17ROCPRIM_400000_NS6detail17trampoline_kernelINS0_14default_configENS1_37merge_sort_block_sort_config_selectorIlNS0_10empty_typeEEEZNS1_21merge_sort_block_sortIS3_PlS8_PS5_S9_ZN2at6native12_GLOBAL__N_124unique_dim_cuda_templateIiEESt5tupleIJNSA_6TensorESF_SF_EERKSF_lbbbEUlllE_EE10hipError_tT0_T1_T2_T3_mRjT4_P12ihipStream_tbNS1_7vsmem_tEEUlT_E_NS1_11comp_targetILNS1_3genE2ELNS1_11target_archE906ELNS1_3gpuE6ELNS1_3repE0EEENS1_30default_config_static_selectorELNS0_4arch9wavefront6targetE1EEEvSM_
                                        ; -- End function
	.section	.AMDGPU.csdata,"",@progbits
; Kernel info:
; codeLenInByte = 0
; NumSgprs: 4
; NumVgprs: 0
; NumAgprs: 0
; TotalNumVgprs: 0
; ScratchSize: 0
; MemoryBound: 0
; FloatMode: 240
; IeeeMode: 1
; LDSByteSize: 0 bytes/workgroup (compile time only)
; SGPRBlocks: 0
; VGPRBlocks: 0
; NumSGPRsForWavesPerEU: 4
; NumVGPRsForWavesPerEU: 1
; AccumOffset: 4
; Occupancy: 8
; WaveLimiterHint : 0
; COMPUTE_PGM_RSRC2:SCRATCH_EN: 0
; COMPUTE_PGM_RSRC2:USER_SGPR: 6
; COMPUTE_PGM_RSRC2:TRAP_HANDLER: 0
; COMPUTE_PGM_RSRC2:TGID_X_EN: 1
; COMPUTE_PGM_RSRC2:TGID_Y_EN: 0
; COMPUTE_PGM_RSRC2:TGID_Z_EN: 0
; COMPUTE_PGM_RSRC2:TIDIG_COMP_CNT: 0
; COMPUTE_PGM_RSRC3_GFX90A:ACCUM_OFFSET: 0
; COMPUTE_PGM_RSRC3_GFX90A:TG_SPLIT: 0
	.section	.text._ZN7rocprim17ROCPRIM_400000_NS6detail17trampoline_kernelINS0_14default_configENS1_37merge_sort_block_sort_config_selectorIlNS0_10empty_typeEEEZNS1_21merge_sort_block_sortIS3_PlS8_PS5_S9_ZN2at6native12_GLOBAL__N_124unique_dim_cuda_templateIiEESt5tupleIJNSA_6TensorESF_SF_EERKSF_lbbbEUlllE_EE10hipError_tT0_T1_T2_T3_mRjT4_P12ihipStream_tbNS1_7vsmem_tEEUlT_E_NS1_11comp_targetILNS1_3genE10ELNS1_11target_archE1201ELNS1_3gpuE5ELNS1_3repE0EEENS1_30default_config_static_selectorELNS0_4arch9wavefront6targetE1EEEvSM_,"axG",@progbits,_ZN7rocprim17ROCPRIM_400000_NS6detail17trampoline_kernelINS0_14default_configENS1_37merge_sort_block_sort_config_selectorIlNS0_10empty_typeEEEZNS1_21merge_sort_block_sortIS3_PlS8_PS5_S9_ZN2at6native12_GLOBAL__N_124unique_dim_cuda_templateIiEESt5tupleIJNSA_6TensorESF_SF_EERKSF_lbbbEUlllE_EE10hipError_tT0_T1_T2_T3_mRjT4_P12ihipStream_tbNS1_7vsmem_tEEUlT_E_NS1_11comp_targetILNS1_3genE10ELNS1_11target_archE1201ELNS1_3gpuE5ELNS1_3repE0EEENS1_30default_config_static_selectorELNS0_4arch9wavefront6targetE1EEEvSM_,comdat
	.globl	_ZN7rocprim17ROCPRIM_400000_NS6detail17trampoline_kernelINS0_14default_configENS1_37merge_sort_block_sort_config_selectorIlNS0_10empty_typeEEEZNS1_21merge_sort_block_sortIS3_PlS8_PS5_S9_ZN2at6native12_GLOBAL__N_124unique_dim_cuda_templateIiEESt5tupleIJNSA_6TensorESF_SF_EERKSF_lbbbEUlllE_EE10hipError_tT0_T1_T2_T3_mRjT4_P12ihipStream_tbNS1_7vsmem_tEEUlT_E_NS1_11comp_targetILNS1_3genE10ELNS1_11target_archE1201ELNS1_3gpuE5ELNS1_3repE0EEENS1_30default_config_static_selectorELNS0_4arch9wavefront6targetE1EEEvSM_ ; -- Begin function _ZN7rocprim17ROCPRIM_400000_NS6detail17trampoline_kernelINS0_14default_configENS1_37merge_sort_block_sort_config_selectorIlNS0_10empty_typeEEEZNS1_21merge_sort_block_sortIS3_PlS8_PS5_S9_ZN2at6native12_GLOBAL__N_124unique_dim_cuda_templateIiEESt5tupleIJNSA_6TensorESF_SF_EERKSF_lbbbEUlllE_EE10hipError_tT0_T1_T2_T3_mRjT4_P12ihipStream_tbNS1_7vsmem_tEEUlT_E_NS1_11comp_targetILNS1_3genE10ELNS1_11target_archE1201ELNS1_3gpuE5ELNS1_3repE0EEENS1_30default_config_static_selectorELNS0_4arch9wavefront6targetE1EEEvSM_
	.p2align	8
	.type	_ZN7rocprim17ROCPRIM_400000_NS6detail17trampoline_kernelINS0_14default_configENS1_37merge_sort_block_sort_config_selectorIlNS0_10empty_typeEEEZNS1_21merge_sort_block_sortIS3_PlS8_PS5_S9_ZN2at6native12_GLOBAL__N_124unique_dim_cuda_templateIiEESt5tupleIJNSA_6TensorESF_SF_EERKSF_lbbbEUlllE_EE10hipError_tT0_T1_T2_T3_mRjT4_P12ihipStream_tbNS1_7vsmem_tEEUlT_E_NS1_11comp_targetILNS1_3genE10ELNS1_11target_archE1201ELNS1_3gpuE5ELNS1_3repE0EEENS1_30default_config_static_selectorELNS0_4arch9wavefront6targetE1EEEvSM_,@function
_ZN7rocprim17ROCPRIM_400000_NS6detail17trampoline_kernelINS0_14default_configENS1_37merge_sort_block_sort_config_selectorIlNS0_10empty_typeEEEZNS1_21merge_sort_block_sortIS3_PlS8_PS5_S9_ZN2at6native12_GLOBAL__N_124unique_dim_cuda_templateIiEESt5tupleIJNSA_6TensorESF_SF_EERKSF_lbbbEUlllE_EE10hipError_tT0_T1_T2_T3_mRjT4_P12ihipStream_tbNS1_7vsmem_tEEUlT_E_NS1_11comp_targetILNS1_3genE10ELNS1_11target_archE1201ELNS1_3gpuE5ELNS1_3repE0EEENS1_30default_config_static_selectorELNS0_4arch9wavefront6targetE1EEEvSM_: ; @_ZN7rocprim17ROCPRIM_400000_NS6detail17trampoline_kernelINS0_14default_configENS1_37merge_sort_block_sort_config_selectorIlNS0_10empty_typeEEEZNS1_21merge_sort_block_sortIS3_PlS8_PS5_S9_ZN2at6native12_GLOBAL__N_124unique_dim_cuda_templateIiEESt5tupleIJNSA_6TensorESF_SF_EERKSF_lbbbEUlllE_EE10hipError_tT0_T1_T2_T3_mRjT4_P12ihipStream_tbNS1_7vsmem_tEEUlT_E_NS1_11comp_targetILNS1_3genE10ELNS1_11target_archE1201ELNS1_3gpuE5ELNS1_3repE0EEENS1_30default_config_static_selectorELNS0_4arch9wavefront6targetE1EEEvSM_
; %bb.0:
	.section	.rodata,"a",@progbits
	.p2align	6, 0x0
	.amdhsa_kernel _ZN7rocprim17ROCPRIM_400000_NS6detail17trampoline_kernelINS0_14default_configENS1_37merge_sort_block_sort_config_selectorIlNS0_10empty_typeEEEZNS1_21merge_sort_block_sortIS3_PlS8_PS5_S9_ZN2at6native12_GLOBAL__N_124unique_dim_cuda_templateIiEESt5tupleIJNSA_6TensorESF_SF_EERKSF_lbbbEUlllE_EE10hipError_tT0_T1_T2_T3_mRjT4_P12ihipStream_tbNS1_7vsmem_tEEUlT_E_NS1_11comp_targetILNS1_3genE10ELNS1_11target_archE1201ELNS1_3gpuE5ELNS1_3repE0EEENS1_30default_config_static_selectorELNS0_4arch9wavefront6targetE1EEEvSM_
		.amdhsa_group_segment_fixed_size 0
		.amdhsa_private_segment_fixed_size 0
		.amdhsa_kernarg_size 72
		.amdhsa_user_sgpr_count 6
		.amdhsa_user_sgpr_private_segment_buffer 1
		.amdhsa_user_sgpr_dispatch_ptr 0
		.amdhsa_user_sgpr_queue_ptr 0
		.amdhsa_user_sgpr_kernarg_segment_ptr 1
		.amdhsa_user_sgpr_dispatch_id 0
		.amdhsa_user_sgpr_flat_scratch_init 0
		.amdhsa_user_sgpr_kernarg_preload_length 0
		.amdhsa_user_sgpr_kernarg_preload_offset 0
		.amdhsa_user_sgpr_private_segment_size 0
		.amdhsa_uses_dynamic_stack 0
		.amdhsa_system_sgpr_private_segment_wavefront_offset 0
		.amdhsa_system_sgpr_workgroup_id_x 1
		.amdhsa_system_sgpr_workgroup_id_y 0
		.amdhsa_system_sgpr_workgroup_id_z 0
		.amdhsa_system_sgpr_workgroup_info 0
		.amdhsa_system_vgpr_workitem_id 0
		.amdhsa_next_free_vgpr 1
		.amdhsa_next_free_sgpr 0
		.amdhsa_accum_offset 4
		.amdhsa_reserve_vcc 0
		.amdhsa_reserve_flat_scratch 0
		.amdhsa_float_round_mode_32 0
		.amdhsa_float_round_mode_16_64 0
		.amdhsa_float_denorm_mode_32 3
		.amdhsa_float_denorm_mode_16_64 3
		.amdhsa_dx10_clamp 1
		.amdhsa_ieee_mode 1
		.amdhsa_fp16_overflow 0
		.amdhsa_tg_split 0
		.amdhsa_exception_fp_ieee_invalid_op 0
		.amdhsa_exception_fp_denorm_src 0
		.amdhsa_exception_fp_ieee_div_zero 0
		.amdhsa_exception_fp_ieee_overflow 0
		.amdhsa_exception_fp_ieee_underflow 0
		.amdhsa_exception_fp_ieee_inexact 0
		.amdhsa_exception_int_div_zero 0
	.end_amdhsa_kernel
	.section	.text._ZN7rocprim17ROCPRIM_400000_NS6detail17trampoline_kernelINS0_14default_configENS1_37merge_sort_block_sort_config_selectorIlNS0_10empty_typeEEEZNS1_21merge_sort_block_sortIS3_PlS8_PS5_S9_ZN2at6native12_GLOBAL__N_124unique_dim_cuda_templateIiEESt5tupleIJNSA_6TensorESF_SF_EERKSF_lbbbEUlllE_EE10hipError_tT0_T1_T2_T3_mRjT4_P12ihipStream_tbNS1_7vsmem_tEEUlT_E_NS1_11comp_targetILNS1_3genE10ELNS1_11target_archE1201ELNS1_3gpuE5ELNS1_3repE0EEENS1_30default_config_static_selectorELNS0_4arch9wavefront6targetE1EEEvSM_,"axG",@progbits,_ZN7rocprim17ROCPRIM_400000_NS6detail17trampoline_kernelINS0_14default_configENS1_37merge_sort_block_sort_config_selectorIlNS0_10empty_typeEEEZNS1_21merge_sort_block_sortIS3_PlS8_PS5_S9_ZN2at6native12_GLOBAL__N_124unique_dim_cuda_templateIiEESt5tupleIJNSA_6TensorESF_SF_EERKSF_lbbbEUlllE_EE10hipError_tT0_T1_T2_T3_mRjT4_P12ihipStream_tbNS1_7vsmem_tEEUlT_E_NS1_11comp_targetILNS1_3genE10ELNS1_11target_archE1201ELNS1_3gpuE5ELNS1_3repE0EEENS1_30default_config_static_selectorELNS0_4arch9wavefront6targetE1EEEvSM_,comdat
.Lfunc_end388:
	.size	_ZN7rocprim17ROCPRIM_400000_NS6detail17trampoline_kernelINS0_14default_configENS1_37merge_sort_block_sort_config_selectorIlNS0_10empty_typeEEEZNS1_21merge_sort_block_sortIS3_PlS8_PS5_S9_ZN2at6native12_GLOBAL__N_124unique_dim_cuda_templateIiEESt5tupleIJNSA_6TensorESF_SF_EERKSF_lbbbEUlllE_EE10hipError_tT0_T1_T2_T3_mRjT4_P12ihipStream_tbNS1_7vsmem_tEEUlT_E_NS1_11comp_targetILNS1_3genE10ELNS1_11target_archE1201ELNS1_3gpuE5ELNS1_3repE0EEENS1_30default_config_static_selectorELNS0_4arch9wavefront6targetE1EEEvSM_, .Lfunc_end388-_ZN7rocprim17ROCPRIM_400000_NS6detail17trampoline_kernelINS0_14default_configENS1_37merge_sort_block_sort_config_selectorIlNS0_10empty_typeEEEZNS1_21merge_sort_block_sortIS3_PlS8_PS5_S9_ZN2at6native12_GLOBAL__N_124unique_dim_cuda_templateIiEESt5tupleIJNSA_6TensorESF_SF_EERKSF_lbbbEUlllE_EE10hipError_tT0_T1_T2_T3_mRjT4_P12ihipStream_tbNS1_7vsmem_tEEUlT_E_NS1_11comp_targetILNS1_3genE10ELNS1_11target_archE1201ELNS1_3gpuE5ELNS1_3repE0EEENS1_30default_config_static_selectorELNS0_4arch9wavefront6targetE1EEEvSM_
                                        ; -- End function
	.section	.AMDGPU.csdata,"",@progbits
; Kernel info:
; codeLenInByte = 0
; NumSgprs: 4
; NumVgprs: 0
; NumAgprs: 0
; TotalNumVgprs: 0
; ScratchSize: 0
; MemoryBound: 0
; FloatMode: 240
; IeeeMode: 1
; LDSByteSize: 0 bytes/workgroup (compile time only)
; SGPRBlocks: 0
; VGPRBlocks: 0
; NumSGPRsForWavesPerEU: 4
; NumVGPRsForWavesPerEU: 1
; AccumOffset: 4
; Occupancy: 8
; WaveLimiterHint : 0
; COMPUTE_PGM_RSRC2:SCRATCH_EN: 0
; COMPUTE_PGM_RSRC2:USER_SGPR: 6
; COMPUTE_PGM_RSRC2:TRAP_HANDLER: 0
; COMPUTE_PGM_RSRC2:TGID_X_EN: 1
; COMPUTE_PGM_RSRC2:TGID_Y_EN: 0
; COMPUTE_PGM_RSRC2:TGID_Z_EN: 0
; COMPUTE_PGM_RSRC2:TIDIG_COMP_CNT: 0
; COMPUTE_PGM_RSRC3_GFX90A:ACCUM_OFFSET: 0
; COMPUTE_PGM_RSRC3_GFX90A:TG_SPLIT: 0
	.section	.text._ZN7rocprim17ROCPRIM_400000_NS6detail17trampoline_kernelINS0_14default_configENS1_37merge_sort_block_sort_config_selectorIlNS0_10empty_typeEEEZNS1_21merge_sort_block_sortIS3_PlS8_PS5_S9_ZN2at6native12_GLOBAL__N_124unique_dim_cuda_templateIiEESt5tupleIJNSA_6TensorESF_SF_EERKSF_lbbbEUlllE_EE10hipError_tT0_T1_T2_T3_mRjT4_P12ihipStream_tbNS1_7vsmem_tEEUlT_E_NS1_11comp_targetILNS1_3genE10ELNS1_11target_archE1200ELNS1_3gpuE4ELNS1_3repE0EEENS1_30default_config_static_selectorELNS0_4arch9wavefront6targetE1EEEvSM_,"axG",@progbits,_ZN7rocprim17ROCPRIM_400000_NS6detail17trampoline_kernelINS0_14default_configENS1_37merge_sort_block_sort_config_selectorIlNS0_10empty_typeEEEZNS1_21merge_sort_block_sortIS3_PlS8_PS5_S9_ZN2at6native12_GLOBAL__N_124unique_dim_cuda_templateIiEESt5tupleIJNSA_6TensorESF_SF_EERKSF_lbbbEUlllE_EE10hipError_tT0_T1_T2_T3_mRjT4_P12ihipStream_tbNS1_7vsmem_tEEUlT_E_NS1_11comp_targetILNS1_3genE10ELNS1_11target_archE1200ELNS1_3gpuE4ELNS1_3repE0EEENS1_30default_config_static_selectorELNS0_4arch9wavefront6targetE1EEEvSM_,comdat
	.globl	_ZN7rocprim17ROCPRIM_400000_NS6detail17trampoline_kernelINS0_14default_configENS1_37merge_sort_block_sort_config_selectorIlNS0_10empty_typeEEEZNS1_21merge_sort_block_sortIS3_PlS8_PS5_S9_ZN2at6native12_GLOBAL__N_124unique_dim_cuda_templateIiEESt5tupleIJNSA_6TensorESF_SF_EERKSF_lbbbEUlllE_EE10hipError_tT0_T1_T2_T3_mRjT4_P12ihipStream_tbNS1_7vsmem_tEEUlT_E_NS1_11comp_targetILNS1_3genE10ELNS1_11target_archE1200ELNS1_3gpuE4ELNS1_3repE0EEENS1_30default_config_static_selectorELNS0_4arch9wavefront6targetE1EEEvSM_ ; -- Begin function _ZN7rocprim17ROCPRIM_400000_NS6detail17trampoline_kernelINS0_14default_configENS1_37merge_sort_block_sort_config_selectorIlNS0_10empty_typeEEEZNS1_21merge_sort_block_sortIS3_PlS8_PS5_S9_ZN2at6native12_GLOBAL__N_124unique_dim_cuda_templateIiEESt5tupleIJNSA_6TensorESF_SF_EERKSF_lbbbEUlllE_EE10hipError_tT0_T1_T2_T3_mRjT4_P12ihipStream_tbNS1_7vsmem_tEEUlT_E_NS1_11comp_targetILNS1_3genE10ELNS1_11target_archE1200ELNS1_3gpuE4ELNS1_3repE0EEENS1_30default_config_static_selectorELNS0_4arch9wavefront6targetE1EEEvSM_
	.p2align	8
	.type	_ZN7rocprim17ROCPRIM_400000_NS6detail17trampoline_kernelINS0_14default_configENS1_37merge_sort_block_sort_config_selectorIlNS0_10empty_typeEEEZNS1_21merge_sort_block_sortIS3_PlS8_PS5_S9_ZN2at6native12_GLOBAL__N_124unique_dim_cuda_templateIiEESt5tupleIJNSA_6TensorESF_SF_EERKSF_lbbbEUlllE_EE10hipError_tT0_T1_T2_T3_mRjT4_P12ihipStream_tbNS1_7vsmem_tEEUlT_E_NS1_11comp_targetILNS1_3genE10ELNS1_11target_archE1200ELNS1_3gpuE4ELNS1_3repE0EEENS1_30default_config_static_selectorELNS0_4arch9wavefront6targetE1EEEvSM_,@function
_ZN7rocprim17ROCPRIM_400000_NS6detail17trampoline_kernelINS0_14default_configENS1_37merge_sort_block_sort_config_selectorIlNS0_10empty_typeEEEZNS1_21merge_sort_block_sortIS3_PlS8_PS5_S9_ZN2at6native12_GLOBAL__N_124unique_dim_cuda_templateIiEESt5tupleIJNSA_6TensorESF_SF_EERKSF_lbbbEUlllE_EE10hipError_tT0_T1_T2_T3_mRjT4_P12ihipStream_tbNS1_7vsmem_tEEUlT_E_NS1_11comp_targetILNS1_3genE10ELNS1_11target_archE1200ELNS1_3gpuE4ELNS1_3repE0EEENS1_30default_config_static_selectorELNS0_4arch9wavefront6targetE1EEEvSM_: ; @_ZN7rocprim17ROCPRIM_400000_NS6detail17trampoline_kernelINS0_14default_configENS1_37merge_sort_block_sort_config_selectorIlNS0_10empty_typeEEEZNS1_21merge_sort_block_sortIS3_PlS8_PS5_S9_ZN2at6native12_GLOBAL__N_124unique_dim_cuda_templateIiEESt5tupleIJNSA_6TensorESF_SF_EERKSF_lbbbEUlllE_EE10hipError_tT0_T1_T2_T3_mRjT4_P12ihipStream_tbNS1_7vsmem_tEEUlT_E_NS1_11comp_targetILNS1_3genE10ELNS1_11target_archE1200ELNS1_3gpuE4ELNS1_3repE0EEENS1_30default_config_static_selectorELNS0_4arch9wavefront6targetE1EEEvSM_
; %bb.0:
	.section	.rodata,"a",@progbits
	.p2align	6, 0x0
	.amdhsa_kernel _ZN7rocprim17ROCPRIM_400000_NS6detail17trampoline_kernelINS0_14default_configENS1_37merge_sort_block_sort_config_selectorIlNS0_10empty_typeEEEZNS1_21merge_sort_block_sortIS3_PlS8_PS5_S9_ZN2at6native12_GLOBAL__N_124unique_dim_cuda_templateIiEESt5tupleIJNSA_6TensorESF_SF_EERKSF_lbbbEUlllE_EE10hipError_tT0_T1_T2_T3_mRjT4_P12ihipStream_tbNS1_7vsmem_tEEUlT_E_NS1_11comp_targetILNS1_3genE10ELNS1_11target_archE1200ELNS1_3gpuE4ELNS1_3repE0EEENS1_30default_config_static_selectorELNS0_4arch9wavefront6targetE1EEEvSM_
		.amdhsa_group_segment_fixed_size 0
		.amdhsa_private_segment_fixed_size 0
		.amdhsa_kernarg_size 72
		.amdhsa_user_sgpr_count 6
		.amdhsa_user_sgpr_private_segment_buffer 1
		.amdhsa_user_sgpr_dispatch_ptr 0
		.amdhsa_user_sgpr_queue_ptr 0
		.amdhsa_user_sgpr_kernarg_segment_ptr 1
		.amdhsa_user_sgpr_dispatch_id 0
		.amdhsa_user_sgpr_flat_scratch_init 0
		.amdhsa_user_sgpr_kernarg_preload_length 0
		.amdhsa_user_sgpr_kernarg_preload_offset 0
		.amdhsa_user_sgpr_private_segment_size 0
		.amdhsa_uses_dynamic_stack 0
		.amdhsa_system_sgpr_private_segment_wavefront_offset 0
		.amdhsa_system_sgpr_workgroup_id_x 1
		.amdhsa_system_sgpr_workgroup_id_y 0
		.amdhsa_system_sgpr_workgroup_id_z 0
		.amdhsa_system_sgpr_workgroup_info 0
		.amdhsa_system_vgpr_workitem_id 0
		.amdhsa_next_free_vgpr 1
		.amdhsa_next_free_sgpr 0
		.amdhsa_accum_offset 4
		.amdhsa_reserve_vcc 0
		.amdhsa_reserve_flat_scratch 0
		.amdhsa_float_round_mode_32 0
		.amdhsa_float_round_mode_16_64 0
		.amdhsa_float_denorm_mode_32 3
		.amdhsa_float_denorm_mode_16_64 3
		.amdhsa_dx10_clamp 1
		.amdhsa_ieee_mode 1
		.amdhsa_fp16_overflow 0
		.amdhsa_tg_split 0
		.amdhsa_exception_fp_ieee_invalid_op 0
		.amdhsa_exception_fp_denorm_src 0
		.amdhsa_exception_fp_ieee_div_zero 0
		.amdhsa_exception_fp_ieee_overflow 0
		.amdhsa_exception_fp_ieee_underflow 0
		.amdhsa_exception_fp_ieee_inexact 0
		.amdhsa_exception_int_div_zero 0
	.end_amdhsa_kernel
	.section	.text._ZN7rocprim17ROCPRIM_400000_NS6detail17trampoline_kernelINS0_14default_configENS1_37merge_sort_block_sort_config_selectorIlNS0_10empty_typeEEEZNS1_21merge_sort_block_sortIS3_PlS8_PS5_S9_ZN2at6native12_GLOBAL__N_124unique_dim_cuda_templateIiEESt5tupleIJNSA_6TensorESF_SF_EERKSF_lbbbEUlllE_EE10hipError_tT0_T1_T2_T3_mRjT4_P12ihipStream_tbNS1_7vsmem_tEEUlT_E_NS1_11comp_targetILNS1_3genE10ELNS1_11target_archE1200ELNS1_3gpuE4ELNS1_3repE0EEENS1_30default_config_static_selectorELNS0_4arch9wavefront6targetE1EEEvSM_,"axG",@progbits,_ZN7rocprim17ROCPRIM_400000_NS6detail17trampoline_kernelINS0_14default_configENS1_37merge_sort_block_sort_config_selectorIlNS0_10empty_typeEEEZNS1_21merge_sort_block_sortIS3_PlS8_PS5_S9_ZN2at6native12_GLOBAL__N_124unique_dim_cuda_templateIiEESt5tupleIJNSA_6TensorESF_SF_EERKSF_lbbbEUlllE_EE10hipError_tT0_T1_T2_T3_mRjT4_P12ihipStream_tbNS1_7vsmem_tEEUlT_E_NS1_11comp_targetILNS1_3genE10ELNS1_11target_archE1200ELNS1_3gpuE4ELNS1_3repE0EEENS1_30default_config_static_selectorELNS0_4arch9wavefront6targetE1EEEvSM_,comdat
.Lfunc_end389:
	.size	_ZN7rocprim17ROCPRIM_400000_NS6detail17trampoline_kernelINS0_14default_configENS1_37merge_sort_block_sort_config_selectorIlNS0_10empty_typeEEEZNS1_21merge_sort_block_sortIS3_PlS8_PS5_S9_ZN2at6native12_GLOBAL__N_124unique_dim_cuda_templateIiEESt5tupleIJNSA_6TensorESF_SF_EERKSF_lbbbEUlllE_EE10hipError_tT0_T1_T2_T3_mRjT4_P12ihipStream_tbNS1_7vsmem_tEEUlT_E_NS1_11comp_targetILNS1_3genE10ELNS1_11target_archE1200ELNS1_3gpuE4ELNS1_3repE0EEENS1_30default_config_static_selectorELNS0_4arch9wavefront6targetE1EEEvSM_, .Lfunc_end389-_ZN7rocprim17ROCPRIM_400000_NS6detail17trampoline_kernelINS0_14default_configENS1_37merge_sort_block_sort_config_selectorIlNS0_10empty_typeEEEZNS1_21merge_sort_block_sortIS3_PlS8_PS5_S9_ZN2at6native12_GLOBAL__N_124unique_dim_cuda_templateIiEESt5tupleIJNSA_6TensorESF_SF_EERKSF_lbbbEUlllE_EE10hipError_tT0_T1_T2_T3_mRjT4_P12ihipStream_tbNS1_7vsmem_tEEUlT_E_NS1_11comp_targetILNS1_3genE10ELNS1_11target_archE1200ELNS1_3gpuE4ELNS1_3repE0EEENS1_30default_config_static_selectorELNS0_4arch9wavefront6targetE1EEEvSM_
                                        ; -- End function
	.section	.AMDGPU.csdata,"",@progbits
; Kernel info:
; codeLenInByte = 0
; NumSgprs: 4
; NumVgprs: 0
; NumAgprs: 0
; TotalNumVgprs: 0
; ScratchSize: 0
; MemoryBound: 0
; FloatMode: 240
; IeeeMode: 1
; LDSByteSize: 0 bytes/workgroup (compile time only)
; SGPRBlocks: 0
; VGPRBlocks: 0
; NumSGPRsForWavesPerEU: 4
; NumVGPRsForWavesPerEU: 1
; AccumOffset: 4
; Occupancy: 8
; WaveLimiterHint : 0
; COMPUTE_PGM_RSRC2:SCRATCH_EN: 0
; COMPUTE_PGM_RSRC2:USER_SGPR: 6
; COMPUTE_PGM_RSRC2:TRAP_HANDLER: 0
; COMPUTE_PGM_RSRC2:TGID_X_EN: 1
; COMPUTE_PGM_RSRC2:TGID_Y_EN: 0
; COMPUTE_PGM_RSRC2:TGID_Z_EN: 0
; COMPUTE_PGM_RSRC2:TIDIG_COMP_CNT: 0
; COMPUTE_PGM_RSRC3_GFX90A:ACCUM_OFFSET: 0
; COMPUTE_PGM_RSRC3_GFX90A:TG_SPLIT: 0
	.section	.text._ZN7rocprim17ROCPRIM_400000_NS6detail17trampoline_kernelINS0_14default_configENS1_37merge_sort_block_sort_config_selectorIlNS0_10empty_typeEEEZNS1_21merge_sort_block_sortIS3_PlS8_PS5_S9_ZN2at6native12_GLOBAL__N_124unique_dim_cuda_templateIiEESt5tupleIJNSA_6TensorESF_SF_EERKSF_lbbbEUlllE_EE10hipError_tT0_T1_T2_T3_mRjT4_P12ihipStream_tbNS1_7vsmem_tEEUlT_E_NS1_11comp_targetILNS1_3genE9ELNS1_11target_archE1100ELNS1_3gpuE3ELNS1_3repE0EEENS1_30default_config_static_selectorELNS0_4arch9wavefront6targetE1EEEvSM_,"axG",@progbits,_ZN7rocprim17ROCPRIM_400000_NS6detail17trampoline_kernelINS0_14default_configENS1_37merge_sort_block_sort_config_selectorIlNS0_10empty_typeEEEZNS1_21merge_sort_block_sortIS3_PlS8_PS5_S9_ZN2at6native12_GLOBAL__N_124unique_dim_cuda_templateIiEESt5tupleIJNSA_6TensorESF_SF_EERKSF_lbbbEUlllE_EE10hipError_tT0_T1_T2_T3_mRjT4_P12ihipStream_tbNS1_7vsmem_tEEUlT_E_NS1_11comp_targetILNS1_3genE9ELNS1_11target_archE1100ELNS1_3gpuE3ELNS1_3repE0EEENS1_30default_config_static_selectorELNS0_4arch9wavefront6targetE1EEEvSM_,comdat
	.globl	_ZN7rocprim17ROCPRIM_400000_NS6detail17trampoline_kernelINS0_14default_configENS1_37merge_sort_block_sort_config_selectorIlNS0_10empty_typeEEEZNS1_21merge_sort_block_sortIS3_PlS8_PS5_S9_ZN2at6native12_GLOBAL__N_124unique_dim_cuda_templateIiEESt5tupleIJNSA_6TensorESF_SF_EERKSF_lbbbEUlllE_EE10hipError_tT0_T1_T2_T3_mRjT4_P12ihipStream_tbNS1_7vsmem_tEEUlT_E_NS1_11comp_targetILNS1_3genE9ELNS1_11target_archE1100ELNS1_3gpuE3ELNS1_3repE0EEENS1_30default_config_static_selectorELNS0_4arch9wavefront6targetE1EEEvSM_ ; -- Begin function _ZN7rocprim17ROCPRIM_400000_NS6detail17trampoline_kernelINS0_14default_configENS1_37merge_sort_block_sort_config_selectorIlNS0_10empty_typeEEEZNS1_21merge_sort_block_sortIS3_PlS8_PS5_S9_ZN2at6native12_GLOBAL__N_124unique_dim_cuda_templateIiEESt5tupleIJNSA_6TensorESF_SF_EERKSF_lbbbEUlllE_EE10hipError_tT0_T1_T2_T3_mRjT4_P12ihipStream_tbNS1_7vsmem_tEEUlT_E_NS1_11comp_targetILNS1_3genE9ELNS1_11target_archE1100ELNS1_3gpuE3ELNS1_3repE0EEENS1_30default_config_static_selectorELNS0_4arch9wavefront6targetE1EEEvSM_
	.p2align	8
	.type	_ZN7rocprim17ROCPRIM_400000_NS6detail17trampoline_kernelINS0_14default_configENS1_37merge_sort_block_sort_config_selectorIlNS0_10empty_typeEEEZNS1_21merge_sort_block_sortIS3_PlS8_PS5_S9_ZN2at6native12_GLOBAL__N_124unique_dim_cuda_templateIiEESt5tupleIJNSA_6TensorESF_SF_EERKSF_lbbbEUlllE_EE10hipError_tT0_T1_T2_T3_mRjT4_P12ihipStream_tbNS1_7vsmem_tEEUlT_E_NS1_11comp_targetILNS1_3genE9ELNS1_11target_archE1100ELNS1_3gpuE3ELNS1_3repE0EEENS1_30default_config_static_selectorELNS0_4arch9wavefront6targetE1EEEvSM_,@function
_ZN7rocprim17ROCPRIM_400000_NS6detail17trampoline_kernelINS0_14default_configENS1_37merge_sort_block_sort_config_selectorIlNS0_10empty_typeEEEZNS1_21merge_sort_block_sortIS3_PlS8_PS5_S9_ZN2at6native12_GLOBAL__N_124unique_dim_cuda_templateIiEESt5tupleIJNSA_6TensorESF_SF_EERKSF_lbbbEUlllE_EE10hipError_tT0_T1_T2_T3_mRjT4_P12ihipStream_tbNS1_7vsmem_tEEUlT_E_NS1_11comp_targetILNS1_3genE9ELNS1_11target_archE1100ELNS1_3gpuE3ELNS1_3repE0EEENS1_30default_config_static_selectorELNS0_4arch9wavefront6targetE1EEEvSM_: ; @_ZN7rocprim17ROCPRIM_400000_NS6detail17trampoline_kernelINS0_14default_configENS1_37merge_sort_block_sort_config_selectorIlNS0_10empty_typeEEEZNS1_21merge_sort_block_sortIS3_PlS8_PS5_S9_ZN2at6native12_GLOBAL__N_124unique_dim_cuda_templateIiEESt5tupleIJNSA_6TensorESF_SF_EERKSF_lbbbEUlllE_EE10hipError_tT0_T1_T2_T3_mRjT4_P12ihipStream_tbNS1_7vsmem_tEEUlT_E_NS1_11comp_targetILNS1_3genE9ELNS1_11target_archE1100ELNS1_3gpuE3ELNS1_3repE0EEENS1_30default_config_static_selectorELNS0_4arch9wavefront6targetE1EEEvSM_
; %bb.0:
	.section	.rodata,"a",@progbits
	.p2align	6, 0x0
	.amdhsa_kernel _ZN7rocprim17ROCPRIM_400000_NS6detail17trampoline_kernelINS0_14default_configENS1_37merge_sort_block_sort_config_selectorIlNS0_10empty_typeEEEZNS1_21merge_sort_block_sortIS3_PlS8_PS5_S9_ZN2at6native12_GLOBAL__N_124unique_dim_cuda_templateIiEESt5tupleIJNSA_6TensorESF_SF_EERKSF_lbbbEUlllE_EE10hipError_tT0_T1_T2_T3_mRjT4_P12ihipStream_tbNS1_7vsmem_tEEUlT_E_NS1_11comp_targetILNS1_3genE9ELNS1_11target_archE1100ELNS1_3gpuE3ELNS1_3repE0EEENS1_30default_config_static_selectorELNS0_4arch9wavefront6targetE1EEEvSM_
		.amdhsa_group_segment_fixed_size 0
		.amdhsa_private_segment_fixed_size 0
		.amdhsa_kernarg_size 72
		.amdhsa_user_sgpr_count 6
		.amdhsa_user_sgpr_private_segment_buffer 1
		.amdhsa_user_sgpr_dispatch_ptr 0
		.amdhsa_user_sgpr_queue_ptr 0
		.amdhsa_user_sgpr_kernarg_segment_ptr 1
		.amdhsa_user_sgpr_dispatch_id 0
		.amdhsa_user_sgpr_flat_scratch_init 0
		.amdhsa_user_sgpr_kernarg_preload_length 0
		.amdhsa_user_sgpr_kernarg_preload_offset 0
		.amdhsa_user_sgpr_private_segment_size 0
		.amdhsa_uses_dynamic_stack 0
		.amdhsa_system_sgpr_private_segment_wavefront_offset 0
		.amdhsa_system_sgpr_workgroup_id_x 1
		.amdhsa_system_sgpr_workgroup_id_y 0
		.amdhsa_system_sgpr_workgroup_id_z 0
		.amdhsa_system_sgpr_workgroup_info 0
		.amdhsa_system_vgpr_workitem_id 0
		.amdhsa_next_free_vgpr 1
		.amdhsa_next_free_sgpr 0
		.amdhsa_accum_offset 4
		.amdhsa_reserve_vcc 0
		.amdhsa_reserve_flat_scratch 0
		.amdhsa_float_round_mode_32 0
		.amdhsa_float_round_mode_16_64 0
		.amdhsa_float_denorm_mode_32 3
		.amdhsa_float_denorm_mode_16_64 3
		.amdhsa_dx10_clamp 1
		.amdhsa_ieee_mode 1
		.amdhsa_fp16_overflow 0
		.amdhsa_tg_split 0
		.amdhsa_exception_fp_ieee_invalid_op 0
		.amdhsa_exception_fp_denorm_src 0
		.amdhsa_exception_fp_ieee_div_zero 0
		.amdhsa_exception_fp_ieee_overflow 0
		.amdhsa_exception_fp_ieee_underflow 0
		.amdhsa_exception_fp_ieee_inexact 0
		.amdhsa_exception_int_div_zero 0
	.end_amdhsa_kernel
	.section	.text._ZN7rocprim17ROCPRIM_400000_NS6detail17trampoline_kernelINS0_14default_configENS1_37merge_sort_block_sort_config_selectorIlNS0_10empty_typeEEEZNS1_21merge_sort_block_sortIS3_PlS8_PS5_S9_ZN2at6native12_GLOBAL__N_124unique_dim_cuda_templateIiEESt5tupleIJNSA_6TensorESF_SF_EERKSF_lbbbEUlllE_EE10hipError_tT0_T1_T2_T3_mRjT4_P12ihipStream_tbNS1_7vsmem_tEEUlT_E_NS1_11comp_targetILNS1_3genE9ELNS1_11target_archE1100ELNS1_3gpuE3ELNS1_3repE0EEENS1_30default_config_static_selectorELNS0_4arch9wavefront6targetE1EEEvSM_,"axG",@progbits,_ZN7rocprim17ROCPRIM_400000_NS6detail17trampoline_kernelINS0_14default_configENS1_37merge_sort_block_sort_config_selectorIlNS0_10empty_typeEEEZNS1_21merge_sort_block_sortIS3_PlS8_PS5_S9_ZN2at6native12_GLOBAL__N_124unique_dim_cuda_templateIiEESt5tupleIJNSA_6TensorESF_SF_EERKSF_lbbbEUlllE_EE10hipError_tT0_T1_T2_T3_mRjT4_P12ihipStream_tbNS1_7vsmem_tEEUlT_E_NS1_11comp_targetILNS1_3genE9ELNS1_11target_archE1100ELNS1_3gpuE3ELNS1_3repE0EEENS1_30default_config_static_selectorELNS0_4arch9wavefront6targetE1EEEvSM_,comdat
.Lfunc_end390:
	.size	_ZN7rocprim17ROCPRIM_400000_NS6detail17trampoline_kernelINS0_14default_configENS1_37merge_sort_block_sort_config_selectorIlNS0_10empty_typeEEEZNS1_21merge_sort_block_sortIS3_PlS8_PS5_S9_ZN2at6native12_GLOBAL__N_124unique_dim_cuda_templateIiEESt5tupleIJNSA_6TensorESF_SF_EERKSF_lbbbEUlllE_EE10hipError_tT0_T1_T2_T3_mRjT4_P12ihipStream_tbNS1_7vsmem_tEEUlT_E_NS1_11comp_targetILNS1_3genE9ELNS1_11target_archE1100ELNS1_3gpuE3ELNS1_3repE0EEENS1_30default_config_static_selectorELNS0_4arch9wavefront6targetE1EEEvSM_, .Lfunc_end390-_ZN7rocprim17ROCPRIM_400000_NS6detail17trampoline_kernelINS0_14default_configENS1_37merge_sort_block_sort_config_selectorIlNS0_10empty_typeEEEZNS1_21merge_sort_block_sortIS3_PlS8_PS5_S9_ZN2at6native12_GLOBAL__N_124unique_dim_cuda_templateIiEESt5tupleIJNSA_6TensorESF_SF_EERKSF_lbbbEUlllE_EE10hipError_tT0_T1_T2_T3_mRjT4_P12ihipStream_tbNS1_7vsmem_tEEUlT_E_NS1_11comp_targetILNS1_3genE9ELNS1_11target_archE1100ELNS1_3gpuE3ELNS1_3repE0EEENS1_30default_config_static_selectorELNS0_4arch9wavefront6targetE1EEEvSM_
                                        ; -- End function
	.section	.AMDGPU.csdata,"",@progbits
; Kernel info:
; codeLenInByte = 0
; NumSgprs: 4
; NumVgprs: 0
; NumAgprs: 0
; TotalNumVgprs: 0
; ScratchSize: 0
; MemoryBound: 0
; FloatMode: 240
; IeeeMode: 1
; LDSByteSize: 0 bytes/workgroup (compile time only)
; SGPRBlocks: 0
; VGPRBlocks: 0
; NumSGPRsForWavesPerEU: 4
; NumVGPRsForWavesPerEU: 1
; AccumOffset: 4
; Occupancy: 8
; WaveLimiterHint : 0
; COMPUTE_PGM_RSRC2:SCRATCH_EN: 0
; COMPUTE_PGM_RSRC2:USER_SGPR: 6
; COMPUTE_PGM_RSRC2:TRAP_HANDLER: 0
; COMPUTE_PGM_RSRC2:TGID_X_EN: 1
; COMPUTE_PGM_RSRC2:TGID_Y_EN: 0
; COMPUTE_PGM_RSRC2:TGID_Z_EN: 0
; COMPUTE_PGM_RSRC2:TIDIG_COMP_CNT: 0
; COMPUTE_PGM_RSRC3_GFX90A:ACCUM_OFFSET: 0
; COMPUTE_PGM_RSRC3_GFX90A:TG_SPLIT: 0
	.section	.text._ZN7rocprim17ROCPRIM_400000_NS6detail17trampoline_kernelINS0_14default_configENS1_37merge_sort_block_sort_config_selectorIlNS0_10empty_typeEEEZNS1_21merge_sort_block_sortIS3_PlS8_PS5_S9_ZN2at6native12_GLOBAL__N_124unique_dim_cuda_templateIiEESt5tupleIJNSA_6TensorESF_SF_EERKSF_lbbbEUlllE_EE10hipError_tT0_T1_T2_T3_mRjT4_P12ihipStream_tbNS1_7vsmem_tEEUlT_E_NS1_11comp_targetILNS1_3genE8ELNS1_11target_archE1030ELNS1_3gpuE2ELNS1_3repE0EEENS1_30default_config_static_selectorELNS0_4arch9wavefront6targetE1EEEvSM_,"axG",@progbits,_ZN7rocprim17ROCPRIM_400000_NS6detail17trampoline_kernelINS0_14default_configENS1_37merge_sort_block_sort_config_selectorIlNS0_10empty_typeEEEZNS1_21merge_sort_block_sortIS3_PlS8_PS5_S9_ZN2at6native12_GLOBAL__N_124unique_dim_cuda_templateIiEESt5tupleIJNSA_6TensorESF_SF_EERKSF_lbbbEUlllE_EE10hipError_tT0_T1_T2_T3_mRjT4_P12ihipStream_tbNS1_7vsmem_tEEUlT_E_NS1_11comp_targetILNS1_3genE8ELNS1_11target_archE1030ELNS1_3gpuE2ELNS1_3repE0EEENS1_30default_config_static_selectorELNS0_4arch9wavefront6targetE1EEEvSM_,comdat
	.globl	_ZN7rocprim17ROCPRIM_400000_NS6detail17trampoline_kernelINS0_14default_configENS1_37merge_sort_block_sort_config_selectorIlNS0_10empty_typeEEEZNS1_21merge_sort_block_sortIS3_PlS8_PS5_S9_ZN2at6native12_GLOBAL__N_124unique_dim_cuda_templateIiEESt5tupleIJNSA_6TensorESF_SF_EERKSF_lbbbEUlllE_EE10hipError_tT0_T1_T2_T3_mRjT4_P12ihipStream_tbNS1_7vsmem_tEEUlT_E_NS1_11comp_targetILNS1_3genE8ELNS1_11target_archE1030ELNS1_3gpuE2ELNS1_3repE0EEENS1_30default_config_static_selectorELNS0_4arch9wavefront6targetE1EEEvSM_ ; -- Begin function _ZN7rocprim17ROCPRIM_400000_NS6detail17trampoline_kernelINS0_14default_configENS1_37merge_sort_block_sort_config_selectorIlNS0_10empty_typeEEEZNS1_21merge_sort_block_sortIS3_PlS8_PS5_S9_ZN2at6native12_GLOBAL__N_124unique_dim_cuda_templateIiEESt5tupleIJNSA_6TensorESF_SF_EERKSF_lbbbEUlllE_EE10hipError_tT0_T1_T2_T3_mRjT4_P12ihipStream_tbNS1_7vsmem_tEEUlT_E_NS1_11comp_targetILNS1_3genE8ELNS1_11target_archE1030ELNS1_3gpuE2ELNS1_3repE0EEENS1_30default_config_static_selectorELNS0_4arch9wavefront6targetE1EEEvSM_
	.p2align	8
	.type	_ZN7rocprim17ROCPRIM_400000_NS6detail17trampoline_kernelINS0_14default_configENS1_37merge_sort_block_sort_config_selectorIlNS0_10empty_typeEEEZNS1_21merge_sort_block_sortIS3_PlS8_PS5_S9_ZN2at6native12_GLOBAL__N_124unique_dim_cuda_templateIiEESt5tupleIJNSA_6TensorESF_SF_EERKSF_lbbbEUlllE_EE10hipError_tT0_T1_T2_T3_mRjT4_P12ihipStream_tbNS1_7vsmem_tEEUlT_E_NS1_11comp_targetILNS1_3genE8ELNS1_11target_archE1030ELNS1_3gpuE2ELNS1_3repE0EEENS1_30default_config_static_selectorELNS0_4arch9wavefront6targetE1EEEvSM_,@function
_ZN7rocprim17ROCPRIM_400000_NS6detail17trampoline_kernelINS0_14default_configENS1_37merge_sort_block_sort_config_selectorIlNS0_10empty_typeEEEZNS1_21merge_sort_block_sortIS3_PlS8_PS5_S9_ZN2at6native12_GLOBAL__N_124unique_dim_cuda_templateIiEESt5tupleIJNSA_6TensorESF_SF_EERKSF_lbbbEUlllE_EE10hipError_tT0_T1_T2_T3_mRjT4_P12ihipStream_tbNS1_7vsmem_tEEUlT_E_NS1_11comp_targetILNS1_3genE8ELNS1_11target_archE1030ELNS1_3gpuE2ELNS1_3repE0EEENS1_30default_config_static_selectorELNS0_4arch9wavefront6targetE1EEEvSM_: ; @_ZN7rocprim17ROCPRIM_400000_NS6detail17trampoline_kernelINS0_14default_configENS1_37merge_sort_block_sort_config_selectorIlNS0_10empty_typeEEEZNS1_21merge_sort_block_sortIS3_PlS8_PS5_S9_ZN2at6native12_GLOBAL__N_124unique_dim_cuda_templateIiEESt5tupleIJNSA_6TensorESF_SF_EERKSF_lbbbEUlllE_EE10hipError_tT0_T1_T2_T3_mRjT4_P12ihipStream_tbNS1_7vsmem_tEEUlT_E_NS1_11comp_targetILNS1_3genE8ELNS1_11target_archE1030ELNS1_3gpuE2ELNS1_3repE0EEENS1_30default_config_static_selectorELNS0_4arch9wavefront6targetE1EEEvSM_
; %bb.0:
	.section	.rodata,"a",@progbits
	.p2align	6, 0x0
	.amdhsa_kernel _ZN7rocprim17ROCPRIM_400000_NS6detail17trampoline_kernelINS0_14default_configENS1_37merge_sort_block_sort_config_selectorIlNS0_10empty_typeEEEZNS1_21merge_sort_block_sortIS3_PlS8_PS5_S9_ZN2at6native12_GLOBAL__N_124unique_dim_cuda_templateIiEESt5tupleIJNSA_6TensorESF_SF_EERKSF_lbbbEUlllE_EE10hipError_tT0_T1_T2_T3_mRjT4_P12ihipStream_tbNS1_7vsmem_tEEUlT_E_NS1_11comp_targetILNS1_3genE8ELNS1_11target_archE1030ELNS1_3gpuE2ELNS1_3repE0EEENS1_30default_config_static_selectorELNS0_4arch9wavefront6targetE1EEEvSM_
		.amdhsa_group_segment_fixed_size 0
		.amdhsa_private_segment_fixed_size 0
		.amdhsa_kernarg_size 72
		.amdhsa_user_sgpr_count 6
		.amdhsa_user_sgpr_private_segment_buffer 1
		.amdhsa_user_sgpr_dispatch_ptr 0
		.amdhsa_user_sgpr_queue_ptr 0
		.amdhsa_user_sgpr_kernarg_segment_ptr 1
		.amdhsa_user_sgpr_dispatch_id 0
		.amdhsa_user_sgpr_flat_scratch_init 0
		.amdhsa_user_sgpr_kernarg_preload_length 0
		.amdhsa_user_sgpr_kernarg_preload_offset 0
		.amdhsa_user_sgpr_private_segment_size 0
		.amdhsa_uses_dynamic_stack 0
		.amdhsa_system_sgpr_private_segment_wavefront_offset 0
		.amdhsa_system_sgpr_workgroup_id_x 1
		.amdhsa_system_sgpr_workgroup_id_y 0
		.amdhsa_system_sgpr_workgroup_id_z 0
		.amdhsa_system_sgpr_workgroup_info 0
		.amdhsa_system_vgpr_workitem_id 0
		.amdhsa_next_free_vgpr 1
		.amdhsa_next_free_sgpr 0
		.amdhsa_accum_offset 4
		.amdhsa_reserve_vcc 0
		.amdhsa_reserve_flat_scratch 0
		.amdhsa_float_round_mode_32 0
		.amdhsa_float_round_mode_16_64 0
		.amdhsa_float_denorm_mode_32 3
		.amdhsa_float_denorm_mode_16_64 3
		.amdhsa_dx10_clamp 1
		.amdhsa_ieee_mode 1
		.amdhsa_fp16_overflow 0
		.amdhsa_tg_split 0
		.amdhsa_exception_fp_ieee_invalid_op 0
		.amdhsa_exception_fp_denorm_src 0
		.amdhsa_exception_fp_ieee_div_zero 0
		.amdhsa_exception_fp_ieee_overflow 0
		.amdhsa_exception_fp_ieee_underflow 0
		.amdhsa_exception_fp_ieee_inexact 0
		.amdhsa_exception_int_div_zero 0
	.end_amdhsa_kernel
	.section	.text._ZN7rocprim17ROCPRIM_400000_NS6detail17trampoline_kernelINS0_14default_configENS1_37merge_sort_block_sort_config_selectorIlNS0_10empty_typeEEEZNS1_21merge_sort_block_sortIS3_PlS8_PS5_S9_ZN2at6native12_GLOBAL__N_124unique_dim_cuda_templateIiEESt5tupleIJNSA_6TensorESF_SF_EERKSF_lbbbEUlllE_EE10hipError_tT0_T1_T2_T3_mRjT4_P12ihipStream_tbNS1_7vsmem_tEEUlT_E_NS1_11comp_targetILNS1_3genE8ELNS1_11target_archE1030ELNS1_3gpuE2ELNS1_3repE0EEENS1_30default_config_static_selectorELNS0_4arch9wavefront6targetE1EEEvSM_,"axG",@progbits,_ZN7rocprim17ROCPRIM_400000_NS6detail17trampoline_kernelINS0_14default_configENS1_37merge_sort_block_sort_config_selectorIlNS0_10empty_typeEEEZNS1_21merge_sort_block_sortIS3_PlS8_PS5_S9_ZN2at6native12_GLOBAL__N_124unique_dim_cuda_templateIiEESt5tupleIJNSA_6TensorESF_SF_EERKSF_lbbbEUlllE_EE10hipError_tT0_T1_T2_T3_mRjT4_P12ihipStream_tbNS1_7vsmem_tEEUlT_E_NS1_11comp_targetILNS1_3genE8ELNS1_11target_archE1030ELNS1_3gpuE2ELNS1_3repE0EEENS1_30default_config_static_selectorELNS0_4arch9wavefront6targetE1EEEvSM_,comdat
.Lfunc_end391:
	.size	_ZN7rocprim17ROCPRIM_400000_NS6detail17trampoline_kernelINS0_14default_configENS1_37merge_sort_block_sort_config_selectorIlNS0_10empty_typeEEEZNS1_21merge_sort_block_sortIS3_PlS8_PS5_S9_ZN2at6native12_GLOBAL__N_124unique_dim_cuda_templateIiEESt5tupleIJNSA_6TensorESF_SF_EERKSF_lbbbEUlllE_EE10hipError_tT0_T1_T2_T3_mRjT4_P12ihipStream_tbNS1_7vsmem_tEEUlT_E_NS1_11comp_targetILNS1_3genE8ELNS1_11target_archE1030ELNS1_3gpuE2ELNS1_3repE0EEENS1_30default_config_static_selectorELNS0_4arch9wavefront6targetE1EEEvSM_, .Lfunc_end391-_ZN7rocprim17ROCPRIM_400000_NS6detail17trampoline_kernelINS0_14default_configENS1_37merge_sort_block_sort_config_selectorIlNS0_10empty_typeEEEZNS1_21merge_sort_block_sortIS3_PlS8_PS5_S9_ZN2at6native12_GLOBAL__N_124unique_dim_cuda_templateIiEESt5tupleIJNSA_6TensorESF_SF_EERKSF_lbbbEUlllE_EE10hipError_tT0_T1_T2_T3_mRjT4_P12ihipStream_tbNS1_7vsmem_tEEUlT_E_NS1_11comp_targetILNS1_3genE8ELNS1_11target_archE1030ELNS1_3gpuE2ELNS1_3repE0EEENS1_30default_config_static_selectorELNS0_4arch9wavefront6targetE1EEEvSM_
                                        ; -- End function
	.section	.AMDGPU.csdata,"",@progbits
; Kernel info:
; codeLenInByte = 0
; NumSgprs: 4
; NumVgprs: 0
; NumAgprs: 0
; TotalNumVgprs: 0
; ScratchSize: 0
; MemoryBound: 0
; FloatMode: 240
; IeeeMode: 1
; LDSByteSize: 0 bytes/workgroup (compile time only)
; SGPRBlocks: 0
; VGPRBlocks: 0
; NumSGPRsForWavesPerEU: 4
; NumVGPRsForWavesPerEU: 1
; AccumOffset: 4
; Occupancy: 8
; WaveLimiterHint : 0
; COMPUTE_PGM_RSRC2:SCRATCH_EN: 0
; COMPUTE_PGM_RSRC2:USER_SGPR: 6
; COMPUTE_PGM_RSRC2:TRAP_HANDLER: 0
; COMPUTE_PGM_RSRC2:TGID_X_EN: 1
; COMPUTE_PGM_RSRC2:TGID_Y_EN: 0
; COMPUTE_PGM_RSRC2:TGID_Z_EN: 0
; COMPUTE_PGM_RSRC2:TIDIG_COMP_CNT: 0
; COMPUTE_PGM_RSRC3_GFX90A:ACCUM_OFFSET: 0
; COMPUTE_PGM_RSRC3_GFX90A:TG_SPLIT: 0
	.section	.text._ZN7rocprim17ROCPRIM_400000_NS6detail17trampoline_kernelINS0_14default_configENS1_38merge_sort_block_merge_config_selectorIlNS0_10empty_typeEEEZZNS1_27merge_sort_block_merge_implIS3_PlPS5_mZN2at6native12_GLOBAL__N_124unique_dim_cuda_templateIiEESt5tupleIJNSA_6TensorESF_SF_EERKSF_lbbbEUlllE_EE10hipError_tT0_T1_T2_jT3_P12ihipStream_tbPNSt15iterator_traitsISL_E10value_typeEPNSR_ISM_E10value_typeEPSN_NS1_7vsmem_tEENKUlT_SL_SM_SN_E_clIS8_S8_S9_S9_EESK_S10_SL_SM_SN_EUlS10_E_NS1_11comp_targetILNS1_3genE0ELNS1_11target_archE4294967295ELNS1_3gpuE0ELNS1_3repE0EEENS1_48merge_mergepath_partition_config_static_selectorELNS0_4arch9wavefront6targetE1EEEvSM_,"axG",@progbits,_ZN7rocprim17ROCPRIM_400000_NS6detail17trampoline_kernelINS0_14default_configENS1_38merge_sort_block_merge_config_selectorIlNS0_10empty_typeEEEZZNS1_27merge_sort_block_merge_implIS3_PlPS5_mZN2at6native12_GLOBAL__N_124unique_dim_cuda_templateIiEESt5tupleIJNSA_6TensorESF_SF_EERKSF_lbbbEUlllE_EE10hipError_tT0_T1_T2_jT3_P12ihipStream_tbPNSt15iterator_traitsISL_E10value_typeEPNSR_ISM_E10value_typeEPSN_NS1_7vsmem_tEENKUlT_SL_SM_SN_E_clIS8_S8_S9_S9_EESK_S10_SL_SM_SN_EUlS10_E_NS1_11comp_targetILNS1_3genE0ELNS1_11target_archE4294967295ELNS1_3gpuE0ELNS1_3repE0EEENS1_48merge_mergepath_partition_config_static_selectorELNS0_4arch9wavefront6targetE1EEEvSM_,comdat
	.globl	_ZN7rocprim17ROCPRIM_400000_NS6detail17trampoline_kernelINS0_14default_configENS1_38merge_sort_block_merge_config_selectorIlNS0_10empty_typeEEEZZNS1_27merge_sort_block_merge_implIS3_PlPS5_mZN2at6native12_GLOBAL__N_124unique_dim_cuda_templateIiEESt5tupleIJNSA_6TensorESF_SF_EERKSF_lbbbEUlllE_EE10hipError_tT0_T1_T2_jT3_P12ihipStream_tbPNSt15iterator_traitsISL_E10value_typeEPNSR_ISM_E10value_typeEPSN_NS1_7vsmem_tEENKUlT_SL_SM_SN_E_clIS8_S8_S9_S9_EESK_S10_SL_SM_SN_EUlS10_E_NS1_11comp_targetILNS1_3genE0ELNS1_11target_archE4294967295ELNS1_3gpuE0ELNS1_3repE0EEENS1_48merge_mergepath_partition_config_static_selectorELNS0_4arch9wavefront6targetE1EEEvSM_ ; -- Begin function _ZN7rocprim17ROCPRIM_400000_NS6detail17trampoline_kernelINS0_14default_configENS1_38merge_sort_block_merge_config_selectorIlNS0_10empty_typeEEEZZNS1_27merge_sort_block_merge_implIS3_PlPS5_mZN2at6native12_GLOBAL__N_124unique_dim_cuda_templateIiEESt5tupleIJNSA_6TensorESF_SF_EERKSF_lbbbEUlllE_EE10hipError_tT0_T1_T2_jT3_P12ihipStream_tbPNSt15iterator_traitsISL_E10value_typeEPNSR_ISM_E10value_typeEPSN_NS1_7vsmem_tEENKUlT_SL_SM_SN_E_clIS8_S8_S9_S9_EESK_S10_SL_SM_SN_EUlS10_E_NS1_11comp_targetILNS1_3genE0ELNS1_11target_archE4294967295ELNS1_3gpuE0ELNS1_3repE0EEENS1_48merge_mergepath_partition_config_static_selectorELNS0_4arch9wavefront6targetE1EEEvSM_
	.p2align	8
	.type	_ZN7rocprim17ROCPRIM_400000_NS6detail17trampoline_kernelINS0_14default_configENS1_38merge_sort_block_merge_config_selectorIlNS0_10empty_typeEEEZZNS1_27merge_sort_block_merge_implIS3_PlPS5_mZN2at6native12_GLOBAL__N_124unique_dim_cuda_templateIiEESt5tupleIJNSA_6TensorESF_SF_EERKSF_lbbbEUlllE_EE10hipError_tT0_T1_T2_jT3_P12ihipStream_tbPNSt15iterator_traitsISL_E10value_typeEPNSR_ISM_E10value_typeEPSN_NS1_7vsmem_tEENKUlT_SL_SM_SN_E_clIS8_S8_S9_S9_EESK_S10_SL_SM_SN_EUlS10_E_NS1_11comp_targetILNS1_3genE0ELNS1_11target_archE4294967295ELNS1_3gpuE0ELNS1_3repE0EEENS1_48merge_mergepath_partition_config_static_selectorELNS0_4arch9wavefront6targetE1EEEvSM_,@function
_ZN7rocprim17ROCPRIM_400000_NS6detail17trampoline_kernelINS0_14default_configENS1_38merge_sort_block_merge_config_selectorIlNS0_10empty_typeEEEZZNS1_27merge_sort_block_merge_implIS3_PlPS5_mZN2at6native12_GLOBAL__N_124unique_dim_cuda_templateIiEESt5tupleIJNSA_6TensorESF_SF_EERKSF_lbbbEUlllE_EE10hipError_tT0_T1_T2_jT3_P12ihipStream_tbPNSt15iterator_traitsISL_E10value_typeEPNSR_ISM_E10value_typeEPSN_NS1_7vsmem_tEENKUlT_SL_SM_SN_E_clIS8_S8_S9_S9_EESK_S10_SL_SM_SN_EUlS10_E_NS1_11comp_targetILNS1_3genE0ELNS1_11target_archE4294967295ELNS1_3gpuE0ELNS1_3repE0EEENS1_48merge_mergepath_partition_config_static_selectorELNS0_4arch9wavefront6targetE1EEEvSM_: ; @_ZN7rocprim17ROCPRIM_400000_NS6detail17trampoline_kernelINS0_14default_configENS1_38merge_sort_block_merge_config_selectorIlNS0_10empty_typeEEEZZNS1_27merge_sort_block_merge_implIS3_PlPS5_mZN2at6native12_GLOBAL__N_124unique_dim_cuda_templateIiEESt5tupleIJNSA_6TensorESF_SF_EERKSF_lbbbEUlllE_EE10hipError_tT0_T1_T2_jT3_P12ihipStream_tbPNSt15iterator_traitsISL_E10value_typeEPNSR_ISM_E10value_typeEPSN_NS1_7vsmem_tEENKUlT_SL_SM_SN_E_clIS8_S8_S9_S9_EESK_S10_SL_SM_SN_EUlS10_E_NS1_11comp_targetILNS1_3genE0ELNS1_11target_archE4294967295ELNS1_3gpuE0ELNS1_3repE0EEENS1_48merge_mergepath_partition_config_static_selectorELNS0_4arch9wavefront6targetE1EEEvSM_
; %bb.0:
	.section	.rodata,"a",@progbits
	.p2align	6, 0x0
	.amdhsa_kernel _ZN7rocprim17ROCPRIM_400000_NS6detail17trampoline_kernelINS0_14default_configENS1_38merge_sort_block_merge_config_selectorIlNS0_10empty_typeEEEZZNS1_27merge_sort_block_merge_implIS3_PlPS5_mZN2at6native12_GLOBAL__N_124unique_dim_cuda_templateIiEESt5tupleIJNSA_6TensorESF_SF_EERKSF_lbbbEUlllE_EE10hipError_tT0_T1_T2_jT3_P12ihipStream_tbPNSt15iterator_traitsISL_E10value_typeEPNSR_ISM_E10value_typeEPSN_NS1_7vsmem_tEENKUlT_SL_SM_SN_E_clIS8_S8_S9_S9_EESK_S10_SL_SM_SN_EUlS10_E_NS1_11comp_targetILNS1_3genE0ELNS1_11target_archE4294967295ELNS1_3gpuE0ELNS1_3repE0EEENS1_48merge_mergepath_partition_config_static_selectorELNS0_4arch9wavefront6targetE1EEEvSM_
		.amdhsa_group_segment_fixed_size 0
		.amdhsa_private_segment_fixed_size 0
		.amdhsa_kernarg_size 56
		.amdhsa_user_sgpr_count 6
		.amdhsa_user_sgpr_private_segment_buffer 1
		.amdhsa_user_sgpr_dispatch_ptr 0
		.amdhsa_user_sgpr_queue_ptr 0
		.amdhsa_user_sgpr_kernarg_segment_ptr 1
		.amdhsa_user_sgpr_dispatch_id 0
		.amdhsa_user_sgpr_flat_scratch_init 0
		.amdhsa_user_sgpr_kernarg_preload_length 0
		.amdhsa_user_sgpr_kernarg_preload_offset 0
		.amdhsa_user_sgpr_private_segment_size 0
		.amdhsa_uses_dynamic_stack 0
		.amdhsa_system_sgpr_private_segment_wavefront_offset 0
		.amdhsa_system_sgpr_workgroup_id_x 1
		.amdhsa_system_sgpr_workgroup_id_y 0
		.amdhsa_system_sgpr_workgroup_id_z 0
		.amdhsa_system_sgpr_workgroup_info 0
		.amdhsa_system_vgpr_workitem_id 0
		.amdhsa_next_free_vgpr 1
		.amdhsa_next_free_sgpr 0
		.amdhsa_accum_offset 4
		.amdhsa_reserve_vcc 0
		.amdhsa_reserve_flat_scratch 0
		.amdhsa_float_round_mode_32 0
		.amdhsa_float_round_mode_16_64 0
		.amdhsa_float_denorm_mode_32 3
		.amdhsa_float_denorm_mode_16_64 3
		.amdhsa_dx10_clamp 1
		.amdhsa_ieee_mode 1
		.amdhsa_fp16_overflow 0
		.amdhsa_tg_split 0
		.amdhsa_exception_fp_ieee_invalid_op 0
		.amdhsa_exception_fp_denorm_src 0
		.amdhsa_exception_fp_ieee_div_zero 0
		.amdhsa_exception_fp_ieee_overflow 0
		.amdhsa_exception_fp_ieee_underflow 0
		.amdhsa_exception_fp_ieee_inexact 0
		.amdhsa_exception_int_div_zero 0
	.end_amdhsa_kernel
	.section	.text._ZN7rocprim17ROCPRIM_400000_NS6detail17trampoline_kernelINS0_14default_configENS1_38merge_sort_block_merge_config_selectorIlNS0_10empty_typeEEEZZNS1_27merge_sort_block_merge_implIS3_PlPS5_mZN2at6native12_GLOBAL__N_124unique_dim_cuda_templateIiEESt5tupleIJNSA_6TensorESF_SF_EERKSF_lbbbEUlllE_EE10hipError_tT0_T1_T2_jT3_P12ihipStream_tbPNSt15iterator_traitsISL_E10value_typeEPNSR_ISM_E10value_typeEPSN_NS1_7vsmem_tEENKUlT_SL_SM_SN_E_clIS8_S8_S9_S9_EESK_S10_SL_SM_SN_EUlS10_E_NS1_11comp_targetILNS1_3genE0ELNS1_11target_archE4294967295ELNS1_3gpuE0ELNS1_3repE0EEENS1_48merge_mergepath_partition_config_static_selectorELNS0_4arch9wavefront6targetE1EEEvSM_,"axG",@progbits,_ZN7rocprim17ROCPRIM_400000_NS6detail17trampoline_kernelINS0_14default_configENS1_38merge_sort_block_merge_config_selectorIlNS0_10empty_typeEEEZZNS1_27merge_sort_block_merge_implIS3_PlPS5_mZN2at6native12_GLOBAL__N_124unique_dim_cuda_templateIiEESt5tupleIJNSA_6TensorESF_SF_EERKSF_lbbbEUlllE_EE10hipError_tT0_T1_T2_jT3_P12ihipStream_tbPNSt15iterator_traitsISL_E10value_typeEPNSR_ISM_E10value_typeEPSN_NS1_7vsmem_tEENKUlT_SL_SM_SN_E_clIS8_S8_S9_S9_EESK_S10_SL_SM_SN_EUlS10_E_NS1_11comp_targetILNS1_3genE0ELNS1_11target_archE4294967295ELNS1_3gpuE0ELNS1_3repE0EEENS1_48merge_mergepath_partition_config_static_selectorELNS0_4arch9wavefront6targetE1EEEvSM_,comdat
.Lfunc_end392:
	.size	_ZN7rocprim17ROCPRIM_400000_NS6detail17trampoline_kernelINS0_14default_configENS1_38merge_sort_block_merge_config_selectorIlNS0_10empty_typeEEEZZNS1_27merge_sort_block_merge_implIS3_PlPS5_mZN2at6native12_GLOBAL__N_124unique_dim_cuda_templateIiEESt5tupleIJNSA_6TensorESF_SF_EERKSF_lbbbEUlllE_EE10hipError_tT0_T1_T2_jT3_P12ihipStream_tbPNSt15iterator_traitsISL_E10value_typeEPNSR_ISM_E10value_typeEPSN_NS1_7vsmem_tEENKUlT_SL_SM_SN_E_clIS8_S8_S9_S9_EESK_S10_SL_SM_SN_EUlS10_E_NS1_11comp_targetILNS1_3genE0ELNS1_11target_archE4294967295ELNS1_3gpuE0ELNS1_3repE0EEENS1_48merge_mergepath_partition_config_static_selectorELNS0_4arch9wavefront6targetE1EEEvSM_, .Lfunc_end392-_ZN7rocprim17ROCPRIM_400000_NS6detail17trampoline_kernelINS0_14default_configENS1_38merge_sort_block_merge_config_selectorIlNS0_10empty_typeEEEZZNS1_27merge_sort_block_merge_implIS3_PlPS5_mZN2at6native12_GLOBAL__N_124unique_dim_cuda_templateIiEESt5tupleIJNSA_6TensorESF_SF_EERKSF_lbbbEUlllE_EE10hipError_tT0_T1_T2_jT3_P12ihipStream_tbPNSt15iterator_traitsISL_E10value_typeEPNSR_ISM_E10value_typeEPSN_NS1_7vsmem_tEENKUlT_SL_SM_SN_E_clIS8_S8_S9_S9_EESK_S10_SL_SM_SN_EUlS10_E_NS1_11comp_targetILNS1_3genE0ELNS1_11target_archE4294967295ELNS1_3gpuE0ELNS1_3repE0EEENS1_48merge_mergepath_partition_config_static_selectorELNS0_4arch9wavefront6targetE1EEEvSM_
                                        ; -- End function
	.section	.AMDGPU.csdata,"",@progbits
; Kernel info:
; codeLenInByte = 0
; NumSgprs: 4
; NumVgprs: 0
; NumAgprs: 0
; TotalNumVgprs: 0
; ScratchSize: 0
; MemoryBound: 0
; FloatMode: 240
; IeeeMode: 1
; LDSByteSize: 0 bytes/workgroup (compile time only)
; SGPRBlocks: 0
; VGPRBlocks: 0
; NumSGPRsForWavesPerEU: 4
; NumVGPRsForWavesPerEU: 1
; AccumOffset: 4
; Occupancy: 8
; WaveLimiterHint : 0
; COMPUTE_PGM_RSRC2:SCRATCH_EN: 0
; COMPUTE_PGM_RSRC2:USER_SGPR: 6
; COMPUTE_PGM_RSRC2:TRAP_HANDLER: 0
; COMPUTE_PGM_RSRC2:TGID_X_EN: 1
; COMPUTE_PGM_RSRC2:TGID_Y_EN: 0
; COMPUTE_PGM_RSRC2:TGID_Z_EN: 0
; COMPUTE_PGM_RSRC2:TIDIG_COMP_CNT: 0
; COMPUTE_PGM_RSRC3_GFX90A:ACCUM_OFFSET: 0
; COMPUTE_PGM_RSRC3_GFX90A:TG_SPLIT: 0
	.section	.text._ZN7rocprim17ROCPRIM_400000_NS6detail17trampoline_kernelINS0_14default_configENS1_38merge_sort_block_merge_config_selectorIlNS0_10empty_typeEEEZZNS1_27merge_sort_block_merge_implIS3_PlPS5_mZN2at6native12_GLOBAL__N_124unique_dim_cuda_templateIiEESt5tupleIJNSA_6TensorESF_SF_EERKSF_lbbbEUlllE_EE10hipError_tT0_T1_T2_jT3_P12ihipStream_tbPNSt15iterator_traitsISL_E10value_typeEPNSR_ISM_E10value_typeEPSN_NS1_7vsmem_tEENKUlT_SL_SM_SN_E_clIS8_S8_S9_S9_EESK_S10_SL_SM_SN_EUlS10_E_NS1_11comp_targetILNS1_3genE10ELNS1_11target_archE1201ELNS1_3gpuE5ELNS1_3repE0EEENS1_48merge_mergepath_partition_config_static_selectorELNS0_4arch9wavefront6targetE1EEEvSM_,"axG",@progbits,_ZN7rocprim17ROCPRIM_400000_NS6detail17trampoline_kernelINS0_14default_configENS1_38merge_sort_block_merge_config_selectorIlNS0_10empty_typeEEEZZNS1_27merge_sort_block_merge_implIS3_PlPS5_mZN2at6native12_GLOBAL__N_124unique_dim_cuda_templateIiEESt5tupleIJNSA_6TensorESF_SF_EERKSF_lbbbEUlllE_EE10hipError_tT0_T1_T2_jT3_P12ihipStream_tbPNSt15iterator_traitsISL_E10value_typeEPNSR_ISM_E10value_typeEPSN_NS1_7vsmem_tEENKUlT_SL_SM_SN_E_clIS8_S8_S9_S9_EESK_S10_SL_SM_SN_EUlS10_E_NS1_11comp_targetILNS1_3genE10ELNS1_11target_archE1201ELNS1_3gpuE5ELNS1_3repE0EEENS1_48merge_mergepath_partition_config_static_selectorELNS0_4arch9wavefront6targetE1EEEvSM_,comdat
	.globl	_ZN7rocprim17ROCPRIM_400000_NS6detail17trampoline_kernelINS0_14default_configENS1_38merge_sort_block_merge_config_selectorIlNS0_10empty_typeEEEZZNS1_27merge_sort_block_merge_implIS3_PlPS5_mZN2at6native12_GLOBAL__N_124unique_dim_cuda_templateIiEESt5tupleIJNSA_6TensorESF_SF_EERKSF_lbbbEUlllE_EE10hipError_tT0_T1_T2_jT3_P12ihipStream_tbPNSt15iterator_traitsISL_E10value_typeEPNSR_ISM_E10value_typeEPSN_NS1_7vsmem_tEENKUlT_SL_SM_SN_E_clIS8_S8_S9_S9_EESK_S10_SL_SM_SN_EUlS10_E_NS1_11comp_targetILNS1_3genE10ELNS1_11target_archE1201ELNS1_3gpuE5ELNS1_3repE0EEENS1_48merge_mergepath_partition_config_static_selectorELNS0_4arch9wavefront6targetE1EEEvSM_ ; -- Begin function _ZN7rocprim17ROCPRIM_400000_NS6detail17trampoline_kernelINS0_14default_configENS1_38merge_sort_block_merge_config_selectorIlNS0_10empty_typeEEEZZNS1_27merge_sort_block_merge_implIS3_PlPS5_mZN2at6native12_GLOBAL__N_124unique_dim_cuda_templateIiEESt5tupleIJNSA_6TensorESF_SF_EERKSF_lbbbEUlllE_EE10hipError_tT0_T1_T2_jT3_P12ihipStream_tbPNSt15iterator_traitsISL_E10value_typeEPNSR_ISM_E10value_typeEPSN_NS1_7vsmem_tEENKUlT_SL_SM_SN_E_clIS8_S8_S9_S9_EESK_S10_SL_SM_SN_EUlS10_E_NS1_11comp_targetILNS1_3genE10ELNS1_11target_archE1201ELNS1_3gpuE5ELNS1_3repE0EEENS1_48merge_mergepath_partition_config_static_selectorELNS0_4arch9wavefront6targetE1EEEvSM_
	.p2align	8
	.type	_ZN7rocprim17ROCPRIM_400000_NS6detail17trampoline_kernelINS0_14default_configENS1_38merge_sort_block_merge_config_selectorIlNS0_10empty_typeEEEZZNS1_27merge_sort_block_merge_implIS3_PlPS5_mZN2at6native12_GLOBAL__N_124unique_dim_cuda_templateIiEESt5tupleIJNSA_6TensorESF_SF_EERKSF_lbbbEUlllE_EE10hipError_tT0_T1_T2_jT3_P12ihipStream_tbPNSt15iterator_traitsISL_E10value_typeEPNSR_ISM_E10value_typeEPSN_NS1_7vsmem_tEENKUlT_SL_SM_SN_E_clIS8_S8_S9_S9_EESK_S10_SL_SM_SN_EUlS10_E_NS1_11comp_targetILNS1_3genE10ELNS1_11target_archE1201ELNS1_3gpuE5ELNS1_3repE0EEENS1_48merge_mergepath_partition_config_static_selectorELNS0_4arch9wavefront6targetE1EEEvSM_,@function
_ZN7rocprim17ROCPRIM_400000_NS6detail17trampoline_kernelINS0_14default_configENS1_38merge_sort_block_merge_config_selectorIlNS0_10empty_typeEEEZZNS1_27merge_sort_block_merge_implIS3_PlPS5_mZN2at6native12_GLOBAL__N_124unique_dim_cuda_templateIiEESt5tupleIJNSA_6TensorESF_SF_EERKSF_lbbbEUlllE_EE10hipError_tT0_T1_T2_jT3_P12ihipStream_tbPNSt15iterator_traitsISL_E10value_typeEPNSR_ISM_E10value_typeEPSN_NS1_7vsmem_tEENKUlT_SL_SM_SN_E_clIS8_S8_S9_S9_EESK_S10_SL_SM_SN_EUlS10_E_NS1_11comp_targetILNS1_3genE10ELNS1_11target_archE1201ELNS1_3gpuE5ELNS1_3repE0EEENS1_48merge_mergepath_partition_config_static_selectorELNS0_4arch9wavefront6targetE1EEEvSM_: ; @_ZN7rocprim17ROCPRIM_400000_NS6detail17trampoline_kernelINS0_14default_configENS1_38merge_sort_block_merge_config_selectorIlNS0_10empty_typeEEEZZNS1_27merge_sort_block_merge_implIS3_PlPS5_mZN2at6native12_GLOBAL__N_124unique_dim_cuda_templateIiEESt5tupleIJNSA_6TensorESF_SF_EERKSF_lbbbEUlllE_EE10hipError_tT0_T1_T2_jT3_P12ihipStream_tbPNSt15iterator_traitsISL_E10value_typeEPNSR_ISM_E10value_typeEPSN_NS1_7vsmem_tEENKUlT_SL_SM_SN_E_clIS8_S8_S9_S9_EESK_S10_SL_SM_SN_EUlS10_E_NS1_11comp_targetILNS1_3genE10ELNS1_11target_archE1201ELNS1_3gpuE5ELNS1_3repE0EEENS1_48merge_mergepath_partition_config_static_selectorELNS0_4arch9wavefront6targetE1EEEvSM_
; %bb.0:
	.section	.rodata,"a",@progbits
	.p2align	6, 0x0
	.amdhsa_kernel _ZN7rocprim17ROCPRIM_400000_NS6detail17trampoline_kernelINS0_14default_configENS1_38merge_sort_block_merge_config_selectorIlNS0_10empty_typeEEEZZNS1_27merge_sort_block_merge_implIS3_PlPS5_mZN2at6native12_GLOBAL__N_124unique_dim_cuda_templateIiEESt5tupleIJNSA_6TensorESF_SF_EERKSF_lbbbEUlllE_EE10hipError_tT0_T1_T2_jT3_P12ihipStream_tbPNSt15iterator_traitsISL_E10value_typeEPNSR_ISM_E10value_typeEPSN_NS1_7vsmem_tEENKUlT_SL_SM_SN_E_clIS8_S8_S9_S9_EESK_S10_SL_SM_SN_EUlS10_E_NS1_11comp_targetILNS1_3genE10ELNS1_11target_archE1201ELNS1_3gpuE5ELNS1_3repE0EEENS1_48merge_mergepath_partition_config_static_selectorELNS0_4arch9wavefront6targetE1EEEvSM_
		.amdhsa_group_segment_fixed_size 0
		.amdhsa_private_segment_fixed_size 0
		.amdhsa_kernarg_size 56
		.amdhsa_user_sgpr_count 6
		.amdhsa_user_sgpr_private_segment_buffer 1
		.amdhsa_user_sgpr_dispatch_ptr 0
		.amdhsa_user_sgpr_queue_ptr 0
		.amdhsa_user_sgpr_kernarg_segment_ptr 1
		.amdhsa_user_sgpr_dispatch_id 0
		.amdhsa_user_sgpr_flat_scratch_init 0
		.amdhsa_user_sgpr_kernarg_preload_length 0
		.amdhsa_user_sgpr_kernarg_preload_offset 0
		.amdhsa_user_sgpr_private_segment_size 0
		.amdhsa_uses_dynamic_stack 0
		.amdhsa_system_sgpr_private_segment_wavefront_offset 0
		.amdhsa_system_sgpr_workgroup_id_x 1
		.amdhsa_system_sgpr_workgroup_id_y 0
		.amdhsa_system_sgpr_workgroup_id_z 0
		.amdhsa_system_sgpr_workgroup_info 0
		.amdhsa_system_vgpr_workitem_id 0
		.amdhsa_next_free_vgpr 1
		.amdhsa_next_free_sgpr 0
		.amdhsa_accum_offset 4
		.amdhsa_reserve_vcc 0
		.amdhsa_reserve_flat_scratch 0
		.amdhsa_float_round_mode_32 0
		.amdhsa_float_round_mode_16_64 0
		.amdhsa_float_denorm_mode_32 3
		.amdhsa_float_denorm_mode_16_64 3
		.amdhsa_dx10_clamp 1
		.amdhsa_ieee_mode 1
		.amdhsa_fp16_overflow 0
		.amdhsa_tg_split 0
		.amdhsa_exception_fp_ieee_invalid_op 0
		.amdhsa_exception_fp_denorm_src 0
		.amdhsa_exception_fp_ieee_div_zero 0
		.amdhsa_exception_fp_ieee_overflow 0
		.amdhsa_exception_fp_ieee_underflow 0
		.amdhsa_exception_fp_ieee_inexact 0
		.amdhsa_exception_int_div_zero 0
	.end_amdhsa_kernel
	.section	.text._ZN7rocprim17ROCPRIM_400000_NS6detail17trampoline_kernelINS0_14default_configENS1_38merge_sort_block_merge_config_selectorIlNS0_10empty_typeEEEZZNS1_27merge_sort_block_merge_implIS3_PlPS5_mZN2at6native12_GLOBAL__N_124unique_dim_cuda_templateIiEESt5tupleIJNSA_6TensorESF_SF_EERKSF_lbbbEUlllE_EE10hipError_tT0_T1_T2_jT3_P12ihipStream_tbPNSt15iterator_traitsISL_E10value_typeEPNSR_ISM_E10value_typeEPSN_NS1_7vsmem_tEENKUlT_SL_SM_SN_E_clIS8_S8_S9_S9_EESK_S10_SL_SM_SN_EUlS10_E_NS1_11comp_targetILNS1_3genE10ELNS1_11target_archE1201ELNS1_3gpuE5ELNS1_3repE0EEENS1_48merge_mergepath_partition_config_static_selectorELNS0_4arch9wavefront6targetE1EEEvSM_,"axG",@progbits,_ZN7rocprim17ROCPRIM_400000_NS6detail17trampoline_kernelINS0_14default_configENS1_38merge_sort_block_merge_config_selectorIlNS0_10empty_typeEEEZZNS1_27merge_sort_block_merge_implIS3_PlPS5_mZN2at6native12_GLOBAL__N_124unique_dim_cuda_templateIiEESt5tupleIJNSA_6TensorESF_SF_EERKSF_lbbbEUlllE_EE10hipError_tT0_T1_T2_jT3_P12ihipStream_tbPNSt15iterator_traitsISL_E10value_typeEPNSR_ISM_E10value_typeEPSN_NS1_7vsmem_tEENKUlT_SL_SM_SN_E_clIS8_S8_S9_S9_EESK_S10_SL_SM_SN_EUlS10_E_NS1_11comp_targetILNS1_3genE10ELNS1_11target_archE1201ELNS1_3gpuE5ELNS1_3repE0EEENS1_48merge_mergepath_partition_config_static_selectorELNS0_4arch9wavefront6targetE1EEEvSM_,comdat
.Lfunc_end393:
	.size	_ZN7rocprim17ROCPRIM_400000_NS6detail17trampoline_kernelINS0_14default_configENS1_38merge_sort_block_merge_config_selectorIlNS0_10empty_typeEEEZZNS1_27merge_sort_block_merge_implIS3_PlPS5_mZN2at6native12_GLOBAL__N_124unique_dim_cuda_templateIiEESt5tupleIJNSA_6TensorESF_SF_EERKSF_lbbbEUlllE_EE10hipError_tT0_T1_T2_jT3_P12ihipStream_tbPNSt15iterator_traitsISL_E10value_typeEPNSR_ISM_E10value_typeEPSN_NS1_7vsmem_tEENKUlT_SL_SM_SN_E_clIS8_S8_S9_S9_EESK_S10_SL_SM_SN_EUlS10_E_NS1_11comp_targetILNS1_3genE10ELNS1_11target_archE1201ELNS1_3gpuE5ELNS1_3repE0EEENS1_48merge_mergepath_partition_config_static_selectorELNS0_4arch9wavefront6targetE1EEEvSM_, .Lfunc_end393-_ZN7rocprim17ROCPRIM_400000_NS6detail17trampoline_kernelINS0_14default_configENS1_38merge_sort_block_merge_config_selectorIlNS0_10empty_typeEEEZZNS1_27merge_sort_block_merge_implIS3_PlPS5_mZN2at6native12_GLOBAL__N_124unique_dim_cuda_templateIiEESt5tupleIJNSA_6TensorESF_SF_EERKSF_lbbbEUlllE_EE10hipError_tT0_T1_T2_jT3_P12ihipStream_tbPNSt15iterator_traitsISL_E10value_typeEPNSR_ISM_E10value_typeEPSN_NS1_7vsmem_tEENKUlT_SL_SM_SN_E_clIS8_S8_S9_S9_EESK_S10_SL_SM_SN_EUlS10_E_NS1_11comp_targetILNS1_3genE10ELNS1_11target_archE1201ELNS1_3gpuE5ELNS1_3repE0EEENS1_48merge_mergepath_partition_config_static_selectorELNS0_4arch9wavefront6targetE1EEEvSM_
                                        ; -- End function
	.section	.AMDGPU.csdata,"",@progbits
; Kernel info:
; codeLenInByte = 0
; NumSgprs: 4
; NumVgprs: 0
; NumAgprs: 0
; TotalNumVgprs: 0
; ScratchSize: 0
; MemoryBound: 0
; FloatMode: 240
; IeeeMode: 1
; LDSByteSize: 0 bytes/workgroup (compile time only)
; SGPRBlocks: 0
; VGPRBlocks: 0
; NumSGPRsForWavesPerEU: 4
; NumVGPRsForWavesPerEU: 1
; AccumOffset: 4
; Occupancy: 8
; WaveLimiterHint : 0
; COMPUTE_PGM_RSRC2:SCRATCH_EN: 0
; COMPUTE_PGM_RSRC2:USER_SGPR: 6
; COMPUTE_PGM_RSRC2:TRAP_HANDLER: 0
; COMPUTE_PGM_RSRC2:TGID_X_EN: 1
; COMPUTE_PGM_RSRC2:TGID_Y_EN: 0
; COMPUTE_PGM_RSRC2:TGID_Z_EN: 0
; COMPUTE_PGM_RSRC2:TIDIG_COMP_CNT: 0
; COMPUTE_PGM_RSRC3_GFX90A:ACCUM_OFFSET: 0
; COMPUTE_PGM_RSRC3_GFX90A:TG_SPLIT: 0
	.section	.text._ZN7rocprim17ROCPRIM_400000_NS6detail17trampoline_kernelINS0_14default_configENS1_38merge_sort_block_merge_config_selectorIlNS0_10empty_typeEEEZZNS1_27merge_sort_block_merge_implIS3_PlPS5_mZN2at6native12_GLOBAL__N_124unique_dim_cuda_templateIiEESt5tupleIJNSA_6TensorESF_SF_EERKSF_lbbbEUlllE_EE10hipError_tT0_T1_T2_jT3_P12ihipStream_tbPNSt15iterator_traitsISL_E10value_typeEPNSR_ISM_E10value_typeEPSN_NS1_7vsmem_tEENKUlT_SL_SM_SN_E_clIS8_S8_S9_S9_EESK_S10_SL_SM_SN_EUlS10_E_NS1_11comp_targetILNS1_3genE5ELNS1_11target_archE942ELNS1_3gpuE9ELNS1_3repE0EEENS1_48merge_mergepath_partition_config_static_selectorELNS0_4arch9wavefront6targetE1EEEvSM_,"axG",@progbits,_ZN7rocprim17ROCPRIM_400000_NS6detail17trampoline_kernelINS0_14default_configENS1_38merge_sort_block_merge_config_selectorIlNS0_10empty_typeEEEZZNS1_27merge_sort_block_merge_implIS3_PlPS5_mZN2at6native12_GLOBAL__N_124unique_dim_cuda_templateIiEESt5tupleIJNSA_6TensorESF_SF_EERKSF_lbbbEUlllE_EE10hipError_tT0_T1_T2_jT3_P12ihipStream_tbPNSt15iterator_traitsISL_E10value_typeEPNSR_ISM_E10value_typeEPSN_NS1_7vsmem_tEENKUlT_SL_SM_SN_E_clIS8_S8_S9_S9_EESK_S10_SL_SM_SN_EUlS10_E_NS1_11comp_targetILNS1_3genE5ELNS1_11target_archE942ELNS1_3gpuE9ELNS1_3repE0EEENS1_48merge_mergepath_partition_config_static_selectorELNS0_4arch9wavefront6targetE1EEEvSM_,comdat
	.globl	_ZN7rocprim17ROCPRIM_400000_NS6detail17trampoline_kernelINS0_14default_configENS1_38merge_sort_block_merge_config_selectorIlNS0_10empty_typeEEEZZNS1_27merge_sort_block_merge_implIS3_PlPS5_mZN2at6native12_GLOBAL__N_124unique_dim_cuda_templateIiEESt5tupleIJNSA_6TensorESF_SF_EERKSF_lbbbEUlllE_EE10hipError_tT0_T1_T2_jT3_P12ihipStream_tbPNSt15iterator_traitsISL_E10value_typeEPNSR_ISM_E10value_typeEPSN_NS1_7vsmem_tEENKUlT_SL_SM_SN_E_clIS8_S8_S9_S9_EESK_S10_SL_SM_SN_EUlS10_E_NS1_11comp_targetILNS1_3genE5ELNS1_11target_archE942ELNS1_3gpuE9ELNS1_3repE0EEENS1_48merge_mergepath_partition_config_static_selectorELNS0_4arch9wavefront6targetE1EEEvSM_ ; -- Begin function _ZN7rocprim17ROCPRIM_400000_NS6detail17trampoline_kernelINS0_14default_configENS1_38merge_sort_block_merge_config_selectorIlNS0_10empty_typeEEEZZNS1_27merge_sort_block_merge_implIS3_PlPS5_mZN2at6native12_GLOBAL__N_124unique_dim_cuda_templateIiEESt5tupleIJNSA_6TensorESF_SF_EERKSF_lbbbEUlllE_EE10hipError_tT0_T1_T2_jT3_P12ihipStream_tbPNSt15iterator_traitsISL_E10value_typeEPNSR_ISM_E10value_typeEPSN_NS1_7vsmem_tEENKUlT_SL_SM_SN_E_clIS8_S8_S9_S9_EESK_S10_SL_SM_SN_EUlS10_E_NS1_11comp_targetILNS1_3genE5ELNS1_11target_archE942ELNS1_3gpuE9ELNS1_3repE0EEENS1_48merge_mergepath_partition_config_static_selectorELNS0_4arch9wavefront6targetE1EEEvSM_
	.p2align	8
	.type	_ZN7rocprim17ROCPRIM_400000_NS6detail17trampoline_kernelINS0_14default_configENS1_38merge_sort_block_merge_config_selectorIlNS0_10empty_typeEEEZZNS1_27merge_sort_block_merge_implIS3_PlPS5_mZN2at6native12_GLOBAL__N_124unique_dim_cuda_templateIiEESt5tupleIJNSA_6TensorESF_SF_EERKSF_lbbbEUlllE_EE10hipError_tT0_T1_T2_jT3_P12ihipStream_tbPNSt15iterator_traitsISL_E10value_typeEPNSR_ISM_E10value_typeEPSN_NS1_7vsmem_tEENKUlT_SL_SM_SN_E_clIS8_S8_S9_S9_EESK_S10_SL_SM_SN_EUlS10_E_NS1_11comp_targetILNS1_3genE5ELNS1_11target_archE942ELNS1_3gpuE9ELNS1_3repE0EEENS1_48merge_mergepath_partition_config_static_selectorELNS0_4arch9wavefront6targetE1EEEvSM_,@function
_ZN7rocprim17ROCPRIM_400000_NS6detail17trampoline_kernelINS0_14default_configENS1_38merge_sort_block_merge_config_selectorIlNS0_10empty_typeEEEZZNS1_27merge_sort_block_merge_implIS3_PlPS5_mZN2at6native12_GLOBAL__N_124unique_dim_cuda_templateIiEESt5tupleIJNSA_6TensorESF_SF_EERKSF_lbbbEUlllE_EE10hipError_tT0_T1_T2_jT3_P12ihipStream_tbPNSt15iterator_traitsISL_E10value_typeEPNSR_ISM_E10value_typeEPSN_NS1_7vsmem_tEENKUlT_SL_SM_SN_E_clIS8_S8_S9_S9_EESK_S10_SL_SM_SN_EUlS10_E_NS1_11comp_targetILNS1_3genE5ELNS1_11target_archE942ELNS1_3gpuE9ELNS1_3repE0EEENS1_48merge_mergepath_partition_config_static_selectorELNS0_4arch9wavefront6targetE1EEEvSM_: ; @_ZN7rocprim17ROCPRIM_400000_NS6detail17trampoline_kernelINS0_14default_configENS1_38merge_sort_block_merge_config_selectorIlNS0_10empty_typeEEEZZNS1_27merge_sort_block_merge_implIS3_PlPS5_mZN2at6native12_GLOBAL__N_124unique_dim_cuda_templateIiEESt5tupleIJNSA_6TensorESF_SF_EERKSF_lbbbEUlllE_EE10hipError_tT0_T1_T2_jT3_P12ihipStream_tbPNSt15iterator_traitsISL_E10value_typeEPNSR_ISM_E10value_typeEPSN_NS1_7vsmem_tEENKUlT_SL_SM_SN_E_clIS8_S8_S9_S9_EESK_S10_SL_SM_SN_EUlS10_E_NS1_11comp_targetILNS1_3genE5ELNS1_11target_archE942ELNS1_3gpuE9ELNS1_3repE0EEENS1_48merge_mergepath_partition_config_static_selectorELNS0_4arch9wavefront6targetE1EEEvSM_
; %bb.0:
	.section	.rodata,"a",@progbits
	.p2align	6, 0x0
	.amdhsa_kernel _ZN7rocprim17ROCPRIM_400000_NS6detail17trampoline_kernelINS0_14default_configENS1_38merge_sort_block_merge_config_selectorIlNS0_10empty_typeEEEZZNS1_27merge_sort_block_merge_implIS3_PlPS5_mZN2at6native12_GLOBAL__N_124unique_dim_cuda_templateIiEESt5tupleIJNSA_6TensorESF_SF_EERKSF_lbbbEUlllE_EE10hipError_tT0_T1_T2_jT3_P12ihipStream_tbPNSt15iterator_traitsISL_E10value_typeEPNSR_ISM_E10value_typeEPSN_NS1_7vsmem_tEENKUlT_SL_SM_SN_E_clIS8_S8_S9_S9_EESK_S10_SL_SM_SN_EUlS10_E_NS1_11comp_targetILNS1_3genE5ELNS1_11target_archE942ELNS1_3gpuE9ELNS1_3repE0EEENS1_48merge_mergepath_partition_config_static_selectorELNS0_4arch9wavefront6targetE1EEEvSM_
		.amdhsa_group_segment_fixed_size 0
		.amdhsa_private_segment_fixed_size 0
		.amdhsa_kernarg_size 56
		.amdhsa_user_sgpr_count 6
		.amdhsa_user_sgpr_private_segment_buffer 1
		.amdhsa_user_sgpr_dispatch_ptr 0
		.amdhsa_user_sgpr_queue_ptr 0
		.amdhsa_user_sgpr_kernarg_segment_ptr 1
		.amdhsa_user_sgpr_dispatch_id 0
		.amdhsa_user_sgpr_flat_scratch_init 0
		.amdhsa_user_sgpr_kernarg_preload_length 0
		.amdhsa_user_sgpr_kernarg_preload_offset 0
		.amdhsa_user_sgpr_private_segment_size 0
		.amdhsa_uses_dynamic_stack 0
		.amdhsa_system_sgpr_private_segment_wavefront_offset 0
		.amdhsa_system_sgpr_workgroup_id_x 1
		.amdhsa_system_sgpr_workgroup_id_y 0
		.amdhsa_system_sgpr_workgroup_id_z 0
		.amdhsa_system_sgpr_workgroup_info 0
		.amdhsa_system_vgpr_workitem_id 0
		.amdhsa_next_free_vgpr 1
		.amdhsa_next_free_sgpr 0
		.amdhsa_accum_offset 4
		.amdhsa_reserve_vcc 0
		.amdhsa_reserve_flat_scratch 0
		.amdhsa_float_round_mode_32 0
		.amdhsa_float_round_mode_16_64 0
		.amdhsa_float_denorm_mode_32 3
		.amdhsa_float_denorm_mode_16_64 3
		.amdhsa_dx10_clamp 1
		.amdhsa_ieee_mode 1
		.amdhsa_fp16_overflow 0
		.amdhsa_tg_split 0
		.amdhsa_exception_fp_ieee_invalid_op 0
		.amdhsa_exception_fp_denorm_src 0
		.amdhsa_exception_fp_ieee_div_zero 0
		.amdhsa_exception_fp_ieee_overflow 0
		.amdhsa_exception_fp_ieee_underflow 0
		.amdhsa_exception_fp_ieee_inexact 0
		.amdhsa_exception_int_div_zero 0
	.end_amdhsa_kernel
	.section	.text._ZN7rocprim17ROCPRIM_400000_NS6detail17trampoline_kernelINS0_14default_configENS1_38merge_sort_block_merge_config_selectorIlNS0_10empty_typeEEEZZNS1_27merge_sort_block_merge_implIS3_PlPS5_mZN2at6native12_GLOBAL__N_124unique_dim_cuda_templateIiEESt5tupleIJNSA_6TensorESF_SF_EERKSF_lbbbEUlllE_EE10hipError_tT0_T1_T2_jT3_P12ihipStream_tbPNSt15iterator_traitsISL_E10value_typeEPNSR_ISM_E10value_typeEPSN_NS1_7vsmem_tEENKUlT_SL_SM_SN_E_clIS8_S8_S9_S9_EESK_S10_SL_SM_SN_EUlS10_E_NS1_11comp_targetILNS1_3genE5ELNS1_11target_archE942ELNS1_3gpuE9ELNS1_3repE0EEENS1_48merge_mergepath_partition_config_static_selectorELNS0_4arch9wavefront6targetE1EEEvSM_,"axG",@progbits,_ZN7rocprim17ROCPRIM_400000_NS6detail17trampoline_kernelINS0_14default_configENS1_38merge_sort_block_merge_config_selectorIlNS0_10empty_typeEEEZZNS1_27merge_sort_block_merge_implIS3_PlPS5_mZN2at6native12_GLOBAL__N_124unique_dim_cuda_templateIiEESt5tupleIJNSA_6TensorESF_SF_EERKSF_lbbbEUlllE_EE10hipError_tT0_T1_T2_jT3_P12ihipStream_tbPNSt15iterator_traitsISL_E10value_typeEPNSR_ISM_E10value_typeEPSN_NS1_7vsmem_tEENKUlT_SL_SM_SN_E_clIS8_S8_S9_S9_EESK_S10_SL_SM_SN_EUlS10_E_NS1_11comp_targetILNS1_3genE5ELNS1_11target_archE942ELNS1_3gpuE9ELNS1_3repE0EEENS1_48merge_mergepath_partition_config_static_selectorELNS0_4arch9wavefront6targetE1EEEvSM_,comdat
.Lfunc_end394:
	.size	_ZN7rocprim17ROCPRIM_400000_NS6detail17trampoline_kernelINS0_14default_configENS1_38merge_sort_block_merge_config_selectorIlNS0_10empty_typeEEEZZNS1_27merge_sort_block_merge_implIS3_PlPS5_mZN2at6native12_GLOBAL__N_124unique_dim_cuda_templateIiEESt5tupleIJNSA_6TensorESF_SF_EERKSF_lbbbEUlllE_EE10hipError_tT0_T1_T2_jT3_P12ihipStream_tbPNSt15iterator_traitsISL_E10value_typeEPNSR_ISM_E10value_typeEPSN_NS1_7vsmem_tEENKUlT_SL_SM_SN_E_clIS8_S8_S9_S9_EESK_S10_SL_SM_SN_EUlS10_E_NS1_11comp_targetILNS1_3genE5ELNS1_11target_archE942ELNS1_3gpuE9ELNS1_3repE0EEENS1_48merge_mergepath_partition_config_static_selectorELNS0_4arch9wavefront6targetE1EEEvSM_, .Lfunc_end394-_ZN7rocprim17ROCPRIM_400000_NS6detail17trampoline_kernelINS0_14default_configENS1_38merge_sort_block_merge_config_selectorIlNS0_10empty_typeEEEZZNS1_27merge_sort_block_merge_implIS3_PlPS5_mZN2at6native12_GLOBAL__N_124unique_dim_cuda_templateIiEESt5tupleIJNSA_6TensorESF_SF_EERKSF_lbbbEUlllE_EE10hipError_tT0_T1_T2_jT3_P12ihipStream_tbPNSt15iterator_traitsISL_E10value_typeEPNSR_ISM_E10value_typeEPSN_NS1_7vsmem_tEENKUlT_SL_SM_SN_E_clIS8_S8_S9_S9_EESK_S10_SL_SM_SN_EUlS10_E_NS1_11comp_targetILNS1_3genE5ELNS1_11target_archE942ELNS1_3gpuE9ELNS1_3repE0EEENS1_48merge_mergepath_partition_config_static_selectorELNS0_4arch9wavefront6targetE1EEEvSM_
                                        ; -- End function
	.section	.AMDGPU.csdata,"",@progbits
; Kernel info:
; codeLenInByte = 0
; NumSgprs: 4
; NumVgprs: 0
; NumAgprs: 0
; TotalNumVgprs: 0
; ScratchSize: 0
; MemoryBound: 0
; FloatMode: 240
; IeeeMode: 1
; LDSByteSize: 0 bytes/workgroup (compile time only)
; SGPRBlocks: 0
; VGPRBlocks: 0
; NumSGPRsForWavesPerEU: 4
; NumVGPRsForWavesPerEU: 1
; AccumOffset: 4
; Occupancy: 8
; WaveLimiterHint : 0
; COMPUTE_PGM_RSRC2:SCRATCH_EN: 0
; COMPUTE_PGM_RSRC2:USER_SGPR: 6
; COMPUTE_PGM_RSRC2:TRAP_HANDLER: 0
; COMPUTE_PGM_RSRC2:TGID_X_EN: 1
; COMPUTE_PGM_RSRC2:TGID_Y_EN: 0
; COMPUTE_PGM_RSRC2:TGID_Z_EN: 0
; COMPUTE_PGM_RSRC2:TIDIG_COMP_CNT: 0
; COMPUTE_PGM_RSRC3_GFX90A:ACCUM_OFFSET: 0
; COMPUTE_PGM_RSRC3_GFX90A:TG_SPLIT: 0
	.section	.text._ZN7rocprim17ROCPRIM_400000_NS6detail17trampoline_kernelINS0_14default_configENS1_38merge_sort_block_merge_config_selectorIlNS0_10empty_typeEEEZZNS1_27merge_sort_block_merge_implIS3_PlPS5_mZN2at6native12_GLOBAL__N_124unique_dim_cuda_templateIiEESt5tupleIJNSA_6TensorESF_SF_EERKSF_lbbbEUlllE_EE10hipError_tT0_T1_T2_jT3_P12ihipStream_tbPNSt15iterator_traitsISL_E10value_typeEPNSR_ISM_E10value_typeEPSN_NS1_7vsmem_tEENKUlT_SL_SM_SN_E_clIS8_S8_S9_S9_EESK_S10_SL_SM_SN_EUlS10_E_NS1_11comp_targetILNS1_3genE4ELNS1_11target_archE910ELNS1_3gpuE8ELNS1_3repE0EEENS1_48merge_mergepath_partition_config_static_selectorELNS0_4arch9wavefront6targetE1EEEvSM_,"axG",@progbits,_ZN7rocprim17ROCPRIM_400000_NS6detail17trampoline_kernelINS0_14default_configENS1_38merge_sort_block_merge_config_selectorIlNS0_10empty_typeEEEZZNS1_27merge_sort_block_merge_implIS3_PlPS5_mZN2at6native12_GLOBAL__N_124unique_dim_cuda_templateIiEESt5tupleIJNSA_6TensorESF_SF_EERKSF_lbbbEUlllE_EE10hipError_tT0_T1_T2_jT3_P12ihipStream_tbPNSt15iterator_traitsISL_E10value_typeEPNSR_ISM_E10value_typeEPSN_NS1_7vsmem_tEENKUlT_SL_SM_SN_E_clIS8_S8_S9_S9_EESK_S10_SL_SM_SN_EUlS10_E_NS1_11comp_targetILNS1_3genE4ELNS1_11target_archE910ELNS1_3gpuE8ELNS1_3repE0EEENS1_48merge_mergepath_partition_config_static_selectorELNS0_4arch9wavefront6targetE1EEEvSM_,comdat
	.globl	_ZN7rocprim17ROCPRIM_400000_NS6detail17trampoline_kernelINS0_14default_configENS1_38merge_sort_block_merge_config_selectorIlNS0_10empty_typeEEEZZNS1_27merge_sort_block_merge_implIS3_PlPS5_mZN2at6native12_GLOBAL__N_124unique_dim_cuda_templateIiEESt5tupleIJNSA_6TensorESF_SF_EERKSF_lbbbEUlllE_EE10hipError_tT0_T1_T2_jT3_P12ihipStream_tbPNSt15iterator_traitsISL_E10value_typeEPNSR_ISM_E10value_typeEPSN_NS1_7vsmem_tEENKUlT_SL_SM_SN_E_clIS8_S8_S9_S9_EESK_S10_SL_SM_SN_EUlS10_E_NS1_11comp_targetILNS1_3genE4ELNS1_11target_archE910ELNS1_3gpuE8ELNS1_3repE0EEENS1_48merge_mergepath_partition_config_static_selectorELNS0_4arch9wavefront6targetE1EEEvSM_ ; -- Begin function _ZN7rocprim17ROCPRIM_400000_NS6detail17trampoline_kernelINS0_14default_configENS1_38merge_sort_block_merge_config_selectorIlNS0_10empty_typeEEEZZNS1_27merge_sort_block_merge_implIS3_PlPS5_mZN2at6native12_GLOBAL__N_124unique_dim_cuda_templateIiEESt5tupleIJNSA_6TensorESF_SF_EERKSF_lbbbEUlllE_EE10hipError_tT0_T1_T2_jT3_P12ihipStream_tbPNSt15iterator_traitsISL_E10value_typeEPNSR_ISM_E10value_typeEPSN_NS1_7vsmem_tEENKUlT_SL_SM_SN_E_clIS8_S8_S9_S9_EESK_S10_SL_SM_SN_EUlS10_E_NS1_11comp_targetILNS1_3genE4ELNS1_11target_archE910ELNS1_3gpuE8ELNS1_3repE0EEENS1_48merge_mergepath_partition_config_static_selectorELNS0_4arch9wavefront6targetE1EEEvSM_
	.p2align	8
	.type	_ZN7rocprim17ROCPRIM_400000_NS6detail17trampoline_kernelINS0_14default_configENS1_38merge_sort_block_merge_config_selectorIlNS0_10empty_typeEEEZZNS1_27merge_sort_block_merge_implIS3_PlPS5_mZN2at6native12_GLOBAL__N_124unique_dim_cuda_templateIiEESt5tupleIJNSA_6TensorESF_SF_EERKSF_lbbbEUlllE_EE10hipError_tT0_T1_T2_jT3_P12ihipStream_tbPNSt15iterator_traitsISL_E10value_typeEPNSR_ISM_E10value_typeEPSN_NS1_7vsmem_tEENKUlT_SL_SM_SN_E_clIS8_S8_S9_S9_EESK_S10_SL_SM_SN_EUlS10_E_NS1_11comp_targetILNS1_3genE4ELNS1_11target_archE910ELNS1_3gpuE8ELNS1_3repE0EEENS1_48merge_mergepath_partition_config_static_selectorELNS0_4arch9wavefront6targetE1EEEvSM_,@function
_ZN7rocprim17ROCPRIM_400000_NS6detail17trampoline_kernelINS0_14default_configENS1_38merge_sort_block_merge_config_selectorIlNS0_10empty_typeEEEZZNS1_27merge_sort_block_merge_implIS3_PlPS5_mZN2at6native12_GLOBAL__N_124unique_dim_cuda_templateIiEESt5tupleIJNSA_6TensorESF_SF_EERKSF_lbbbEUlllE_EE10hipError_tT0_T1_T2_jT3_P12ihipStream_tbPNSt15iterator_traitsISL_E10value_typeEPNSR_ISM_E10value_typeEPSN_NS1_7vsmem_tEENKUlT_SL_SM_SN_E_clIS8_S8_S9_S9_EESK_S10_SL_SM_SN_EUlS10_E_NS1_11comp_targetILNS1_3genE4ELNS1_11target_archE910ELNS1_3gpuE8ELNS1_3repE0EEENS1_48merge_mergepath_partition_config_static_selectorELNS0_4arch9wavefront6targetE1EEEvSM_: ; @_ZN7rocprim17ROCPRIM_400000_NS6detail17trampoline_kernelINS0_14default_configENS1_38merge_sort_block_merge_config_selectorIlNS0_10empty_typeEEEZZNS1_27merge_sort_block_merge_implIS3_PlPS5_mZN2at6native12_GLOBAL__N_124unique_dim_cuda_templateIiEESt5tupleIJNSA_6TensorESF_SF_EERKSF_lbbbEUlllE_EE10hipError_tT0_T1_T2_jT3_P12ihipStream_tbPNSt15iterator_traitsISL_E10value_typeEPNSR_ISM_E10value_typeEPSN_NS1_7vsmem_tEENKUlT_SL_SM_SN_E_clIS8_S8_S9_S9_EESK_S10_SL_SM_SN_EUlS10_E_NS1_11comp_targetILNS1_3genE4ELNS1_11target_archE910ELNS1_3gpuE8ELNS1_3repE0EEENS1_48merge_mergepath_partition_config_static_selectorELNS0_4arch9wavefront6targetE1EEEvSM_
; %bb.0:
	s_load_dword s0, s[4:5], 0x0
	v_lshl_or_b32 v0, s6, 7, v0
	s_waitcnt lgkmcnt(0)
	v_cmp_gt_u32_e32 vcc, s0, v0
	s_and_saveexec_b64 s[0:1], vcc
	s_cbranch_execz .LBB395_12
; %bb.1:
	s_load_dwordx4 s[0:3], s[4:5], 0x8
	s_load_dwordx8 s[8:15], s[4:5], 0x18
	v_mov_b32_e32 v5, 0
	s_waitcnt lgkmcnt(0)
	v_mov_b32_e32 v1, s0
	v_alignbit_b32 v1, s1, v1, 9
	v_and_b32_e32 v1, -2, v1
	v_add_u32_e32 v2, -1, v1
	v_sub_u32_e32 v1, 0, v1
	v_and_b32_e32 v4, v0, v1
	v_lshlrev_b64 v[8:9], 10, v[4:5]
	v_mov_b32_e32 v1, s3
	v_cmp_lt_u64_e32 vcc, s[2:3], v[8:9]
	v_mov_b32_e32 v4, s2
	v_and_b32_e32 v6, v2, v0
	v_cndmask_b32_e32 v3, v9, v1, vcc
	v_cndmask_b32_e32 v2, v8, v4, vcc
	v_mov_b32_e32 v7, s1
	v_add_co_u32_e32 v8, vcc, s0, v8
	v_addc_co_u32_e32 v9, vcc, v9, v7, vcc
	v_cmp_lt_u64_e32 vcc, s[2:3], v[8:9]
	v_cndmask_b32_e32 v8, v8, v4, vcc
	v_cndmask_b32_e32 v9, v9, v1, vcc
	v_add_co_u32_e32 v10, vcc, s0, v8
	v_addc_co_u32_e32 v11, vcc, v9, v7, vcc
	v_cmp_lt_u64_e32 vcc, s[2:3], v[10:11]
	v_cndmask_b32_e32 v12, v10, v4, vcc
	v_cndmask_b32_e32 v1, v11, v1, vcc
	v_sub_co_u32_e32 v10, vcc, v12, v2
	v_mov_b32_e32 v7, v5
	v_subb_co_u32_e32 v11, vcc, v1, v3, vcc
	v_lshlrev_b64 v[4:5], 10, v[6:7]
	v_cmp_lt_u64_e32 vcc, v[10:11], v[4:5]
	v_cndmask_b32_e32 v11, v5, v11, vcc
	v_cndmask_b32_e32 v10, v4, v10, vcc
	v_sub_co_u32_e32 v6, vcc, v8, v2
	v_subb_co_u32_e32 v7, vcc, v9, v3, vcc
	v_sub_co_u32_e32 v4, vcc, v8, v12
	v_subb_co_u32_e32 v1, vcc, v9, v1, vcc
	v_add_co_u32_e32 v4, vcc, v10, v4
	v_addc_co_u32_e32 v5, vcc, v11, v1, vcc
	v_cmp_gt_u64_e32 vcc, v[4:5], v[10:11]
	v_cndmask_b32_e64 v5, v5, 0, vcc
	v_cndmask_b32_e64 v4, v4, 0, vcc
	v_cmp_lt_u64_e32 vcc, v[10:11], v[6:7]
	v_cndmask_b32_e32 v7, v7, v11, vcc
	v_cndmask_b32_e32 v6, v6, v10, vcc
	v_cmp_lt_u64_e32 vcc, v[4:5], v[6:7]
	s_and_saveexec_b64 s[6:7], vcc
	s_cbranch_execz .LBB395_11
; %bb.2:
	v_lshlrev_b64 v[12:13], 3, v[2:3]
	v_mov_b32_e32 v14, s9
	v_add_co_u32_e32 v1, vcc, s8, v12
	v_addc_co_u32_e32 v14, vcc, v14, v13, vcc
	v_lshlrev_b64 v[8:9], 3, v[8:9]
	v_mov_b32_e32 v12, s9
	v_add_co_u32_e32 v13, vcc, s8, v8
	v_addc_co_u32_e32 v12, vcc, v12, v9, vcc
	v_lshlrev_b64 v[8:9], 3, v[10:11]
	v_cmp_gt_i64_e64 s[0:1], s[10:11], 0
	v_add_co_u32_e32 v15, vcc, v13, v8
	v_cndmask_b32_e64 v8, 0, 1, s[0:1]
	v_addc_co_u32_e32 v16, vcc, v12, v9, vcc
	s_mov_b64 s[8:9], 0
	s_lshl_b64 s[16:17], s[10:11], 2
	v_cmp_ne_u32_e64 s[0:1], 1, v8
	s_branch .LBB395_5
.LBB395_3:                              ;   in Loop: Header=BB395_5 Depth=1
	s_or_b64 exec, exec, s[20:21]
.LBB395_4:                              ;   in Loop: Header=BB395_5 Depth=1
	v_add_co_u32_e32 v10, vcc, 1, v8
	v_addc_co_u32_e32 v11, vcc, 0, v9, vcc
	v_cndmask_b32_e64 v7, v7, v9, s[18:19]
	v_cndmask_b32_e64 v6, v6, v8, s[18:19]
	;; [unrolled: 1-line block ×4, first 2 shown]
	v_cmp_ge_u64_e32 vcc, v[4:5], v[6:7]
	s_or_b64 s[8:9], vcc, s[8:9]
	s_andn2_b64 exec, exec, s[8:9]
	s_cbranch_execz .LBB395_10
.LBB395_5:                              ; =>This Loop Header: Depth=1
                                        ;     Child Loop BB395_8 Depth 2
	v_add_co_u32_e32 v8, vcc, v6, v4
	v_addc_co_u32_e32 v9, vcc, v7, v5, vcc
	v_lshrrev_b64 v[8:9], 1, v[8:9]
	s_and_b64 vcc, exec, s[0:1]
	s_mov_b64 s[18:19], 0
	s_cbranch_vccnz .LBB395_4
; %bb.6:                                ;   in Loop: Header=BB395_5 Depth=1
	v_not_b32_e32 v11, v9
	v_not_b32_e32 v10, v8
	v_lshlrev_b64 v[10:11], 3, v[10:11]
	v_add_co_u32_e32 v10, vcc, v15, v10
	v_addc_co_u32_e32 v11, vcc, v16, v11, vcc
	v_lshlrev_b64 v[12:13], 3, v[8:9]
	v_add_co_u32_e32 v12, vcc, v1, v12
	v_addc_co_u32_e32 v13, vcc, v14, v13, vcc
	global_load_dwordx2 v[10:11], v[10:11], off
	v_pk_mov_b32 v[18:19], s[12:13], s[12:13] op_sel:[0,1]
	global_load_dwordx2 v[12:13], v[12:13], off
	s_mov_b64 s[20:21], 0
	s_mov_b64 s[26:27], s[10:11]
                                        ; implicit-def: $sgpr18_sgpr19
                                        ; implicit-def: $sgpr22_sgpr23
                                        ; implicit-def: $sgpr24_sgpr25
                                        ; implicit-def: $sgpr2_sgpr3
                                        ; implicit-def: $sgpr28_sgpr29
	s_waitcnt vmcnt(1)
	v_mul_lo_u32 v17, s16, v11
	v_mul_lo_u32 v20, s17, v10
	v_mad_u64_u32 v[10:11], s[4:5], s16, v10, v[18:19]
	s_waitcnt vmcnt(0)
	v_mul_lo_u32 v21, s16, v13
	v_mul_lo_u32 v22, s17, v12
	v_mad_u64_u32 v[12:13], s[4:5], s16, v12, v[18:19]
	v_add3_u32 v11, v20, v11, v17
	v_add3_u32 v13, v22, v13, v21
	s_branch .LBB395_8
.LBB395_7:                              ;   in Loop: Header=BB395_8 Depth=2
	s_or_b64 exec, exec, s[30:31]
	s_and_b64 s[4:5], exec, s[22:23]
	s_or_b64 s[20:21], s[4:5], s[20:21]
	s_andn2_b64 s[4:5], s[28:29], exec
	s_and_b64 s[28:29], s[24:25], exec
	s_or_b64 s[28:29], s[4:5], s[28:29]
	s_andn2_b64 s[4:5], s[18:19], exec
	s_and_b64 s[18:19], s[2:3], exec
	s_or_b64 s[18:19], s[4:5], s[18:19]
	s_andn2_b64 exec, exec, s[20:21]
	s_cbranch_execz .LBB395_3
.LBB395_8:                              ;   Parent Loop BB395_5 Depth=1
                                        ; =>  This Inner Loop Header: Depth=2
	global_load_dword v17, v[10:11], off
	global_load_dword v18, v[12:13], off
	s_andn2_b64 s[30:31], s[2:3], exec
	s_andn2_b64 s[24:25], s[24:25], exec
	s_or_b64 s[22:23], s[22:23], exec
	s_waitcnt vmcnt(0)
	v_cmp_le_i32_e64 s[2:3], v17, v18
	v_cmp_lt_i32_e32 vcc, v17, v18
	s_and_b64 s[2:3], s[2:3], s[28:29]
	s_or_b64 s[34:35], vcc, s[2:3]
	s_and_b64 s[2:3], s[34:35], exec
	v_cmp_eq_u32_e64 s[4:5], v17, v18
	s_or_b64 s[2:3], s[30:31], s[2:3]
	s_and_saveexec_b64 s[30:31], s[4:5]
	s_cbranch_execz .LBB395_7
; %bb.9:                                ;   in Loop: Header=BB395_8 Depth=2
	s_add_u32 s26, s26, -1
	s_addc_u32 s27, s27, -1
	v_add_co_u32_e32 v10, vcc, 4, v10
	s_cmp_eq_u64 s[26:27], 0
	v_addc_co_u32_e32 v11, vcc, 0, v11, vcc
	s_cselect_b64 s[4:5], -1, 0
	v_add_co_u32_e32 v12, vcc, 4, v12
	s_andn2_b64 s[24:25], s[24:25], exec
	s_and_b64 s[28:29], s[34:35], exec
	s_andn2_b64 s[22:23], s[22:23], exec
	s_and_b64 s[4:5], s[4:5], exec
	v_addc_co_u32_e32 v13, vcc, 0, v13, vcc
	s_andn2_b64 s[2:3], s[2:3], exec
	s_or_b64 s[24:25], s[24:25], s[28:29]
	s_or_b64 s[22:23], s[22:23], s[4:5]
                                        ; implicit-def: $sgpr28_sgpr29
	s_branch .LBB395_7
.LBB395_10:
	s_or_b64 exec, exec, s[8:9]
.LBB395_11:
	s_or_b64 exec, exec, s[6:7]
	v_add_co_u32_e32 v2, vcc, v4, v2
	v_mov_b32_e32 v1, 0
	v_addc_co_u32_e32 v3, vcc, v5, v3, vcc
	v_lshlrev_b64 v[0:1], 3, v[0:1]
	v_mov_b32_e32 v4, s15
	v_add_co_u32_e32 v0, vcc, s14, v0
	v_addc_co_u32_e32 v1, vcc, v4, v1, vcc
	global_store_dwordx2 v[0:1], v[2:3], off
.LBB395_12:
	s_endpgm
	.section	.rodata,"a",@progbits
	.p2align	6, 0x0
	.amdhsa_kernel _ZN7rocprim17ROCPRIM_400000_NS6detail17trampoline_kernelINS0_14default_configENS1_38merge_sort_block_merge_config_selectorIlNS0_10empty_typeEEEZZNS1_27merge_sort_block_merge_implIS3_PlPS5_mZN2at6native12_GLOBAL__N_124unique_dim_cuda_templateIiEESt5tupleIJNSA_6TensorESF_SF_EERKSF_lbbbEUlllE_EE10hipError_tT0_T1_T2_jT3_P12ihipStream_tbPNSt15iterator_traitsISL_E10value_typeEPNSR_ISM_E10value_typeEPSN_NS1_7vsmem_tEENKUlT_SL_SM_SN_E_clIS8_S8_S9_S9_EESK_S10_SL_SM_SN_EUlS10_E_NS1_11comp_targetILNS1_3genE4ELNS1_11target_archE910ELNS1_3gpuE8ELNS1_3repE0EEENS1_48merge_mergepath_partition_config_static_selectorELNS0_4arch9wavefront6targetE1EEEvSM_
		.amdhsa_group_segment_fixed_size 0
		.amdhsa_private_segment_fixed_size 0
		.amdhsa_kernarg_size 56
		.amdhsa_user_sgpr_count 6
		.amdhsa_user_sgpr_private_segment_buffer 1
		.amdhsa_user_sgpr_dispatch_ptr 0
		.amdhsa_user_sgpr_queue_ptr 0
		.amdhsa_user_sgpr_kernarg_segment_ptr 1
		.amdhsa_user_sgpr_dispatch_id 0
		.amdhsa_user_sgpr_flat_scratch_init 0
		.amdhsa_user_sgpr_kernarg_preload_length 0
		.amdhsa_user_sgpr_kernarg_preload_offset 0
		.amdhsa_user_sgpr_private_segment_size 0
		.amdhsa_uses_dynamic_stack 0
		.amdhsa_system_sgpr_private_segment_wavefront_offset 0
		.amdhsa_system_sgpr_workgroup_id_x 1
		.amdhsa_system_sgpr_workgroup_id_y 0
		.amdhsa_system_sgpr_workgroup_id_z 0
		.amdhsa_system_sgpr_workgroup_info 0
		.amdhsa_system_vgpr_workitem_id 0
		.amdhsa_next_free_vgpr 23
		.amdhsa_next_free_sgpr 36
		.amdhsa_accum_offset 24
		.amdhsa_reserve_vcc 1
		.amdhsa_reserve_flat_scratch 0
		.amdhsa_float_round_mode_32 0
		.amdhsa_float_round_mode_16_64 0
		.amdhsa_float_denorm_mode_32 3
		.amdhsa_float_denorm_mode_16_64 3
		.amdhsa_dx10_clamp 1
		.amdhsa_ieee_mode 1
		.amdhsa_fp16_overflow 0
		.amdhsa_tg_split 0
		.amdhsa_exception_fp_ieee_invalid_op 0
		.amdhsa_exception_fp_denorm_src 0
		.amdhsa_exception_fp_ieee_div_zero 0
		.amdhsa_exception_fp_ieee_overflow 0
		.amdhsa_exception_fp_ieee_underflow 0
		.amdhsa_exception_fp_ieee_inexact 0
		.amdhsa_exception_int_div_zero 0
	.end_amdhsa_kernel
	.section	.text._ZN7rocprim17ROCPRIM_400000_NS6detail17trampoline_kernelINS0_14default_configENS1_38merge_sort_block_merge_config_selectorIlNS0_10empty_typeEEEZZNS1_27merge_sort_block_merge_implIS3_PlPS5_mZN2at6native12_GLOBAL__N_124unique_dim_cuda_templateIiEESt5tupleIJNSA_6TensorESF_SF_EERKSF_lbbbEUlllE_EE10hipError_tT0_T1_T2_jT3_P12ihipStream_tbPNSt15iterator_traitsISL_E10value_typeEPNSR_ISM_E10value_typeEPSN_NS1_7vsmem_tEENKUlT_SL_SM_SN_E_clIS8_S8_S9_S9_EESK_S10_SL_SM_SN_EUlS10_E_NS1_11comp_targetILNS1_3genE4ELNS1_11target_archE910ELNS1_3gpuE8ELNS1_3repE0EEENS1_48merge_mergepath_partition_config_static_selectorELNS0_4arch9wavefront6targetE1EEEvSM_,"axG",@progbits,_ZN7rocprim17ROCPRIM_400000_NS6detail17trampoline_kernelINS0_14default_configENS1_38merge_sort_block_merge_config_selectorIlNS0_10empty_typeEEEZZNS1_27merge_sort_block_merge_implIS3_PlPS5_mZN2at6native12_GLOBAL__N_124unique_dim_cuda_templateIiEESt5tupleIJNSA_6TensorESF_SF_EERKSF_lbbbEUlllE_EE10hipError_tT0_T1_T2_jT3_P12ihipStream_tbPNSt15iterator_traitsISL_E10value_typeEPNSR_ISM_E10value_typeEPSN_NS1_7vsmem_tEENKUlT_SL_SM_SN_E_clIS8_S8_S9_S9_EESK_S10_SL_SM_SN_EUlS10_E_NS1_11comp_targetILNS1_3genE4ELNS1_11target_archE910ELNS1_3gpuE8ELNS1_3repE0EEENS1_48merge_mergepath_partition_config_static_selectorELNS0_4arch9wavefront6targetE1EEEvSM_,comdat
.Lfunc_end395:
	.size	_ZN7rocprim17ROCPRIM_400000_NS6detail17trampoline_kernelINS0_14default_configENS1_38merge_sort_block_merge_config_selectorIlNS0_10empty_typeEEEZZNS1_27merge_sort_block_merge_implIS3_PlPS5_mZN2at6native12_GLOBAL__N_124unique_dim_cuda_templateIiEESt5tupleIJNSA_6TensorESF_SF_EERKSF_lbbbEUlllE_EE10hipError_tT0_T1_T2_jT3_P12ihipStream_tbPNSt15iterator_traitsISL_E10value_typeEPNSR_ISM_E10value_typeEPSN_NS1_7vsmem_tEENKUlT_SL_SM_SN_E_clIS8_S8_S9_S9_EESK_S10_SL_SM_SN_EUlS10_E_NS1_11comp_targetILNS1_3genE4ELNS1_11target_archE910ELNS1_3gpuE8ELNS1_3repE0EEENS1_48merge_mergepath_partition_config_static_selectorELNS0_4arch9wavefront6targetE1EEEvSM_, .Lfunc_end395-_ZN7rocprim17ROCPRIM_400000_NS6detail17trampoline_kernelINS0_14default_configENS1_38merge_sort_block_merge_config_selectorIlNS0_10empty_typeEEEZZNS1_27merge_sort_block_merge_implIS3_PlPS5_mZN2at6native12_GLOBAL__N_124unique_dim_cuda_templateIiEESt5tupleIJNSA_6TensorESF_SF_EERKSF_lbbbEUlllE_EE10hipError_tT0_T1_T2_jT3_P12ihipStream_tbPNSt15iterator_traitsISL_E10value_typeEPNSR_ISM_E10value_typeEPSN_NS1_7vsmem_tEENKUlT_SL_SM_SN_E_clIS8_S8_S9_S9_EESK_S10_SL_SM_SN_EUlS10_E_NS1_11comp_targetILNS1_3genE4ELNS1_11target_archE910ELNS1_3gpuE8ELNS1_3repE0EEENS1_48merge_mergepath_partition_config_static_selectorELNS0_4arch9wavefront6targetE1EEEvSM_
                                        ; -- End function
	.section	.AMDGPU.csdata,"",@progbits
; Kernel info:
; codeLenInByte = 824
; NumSgprs: 40
; NumVgprs: 23
; NumAgprs: 0
; TotalNumVgprs: 23
; ScratchSize: 0
; MemoryBound: 0
; FloatMode: 240
; IeeeMode: 1
; LDSByteSize: 0 bytes/workgroup (compile time only)
; SGPRBlocks: 4
; VGPRBlocks: 2
; NumSGPRsForWavesPerEU: 40
; NumVGPRsForWavesPerEU: 23
; AccumOffset: 24
; Occupancy: 8
; WaveLimiterHint : 0
; COMPUTE_PGM_RSRC2:SCRATCH_EN: 0
; COMPUTE_PGM_RSRC2:USER_SGPR: 6
; COMPUTE_PGM_RSRC2:TRAP_HANDLER: 0
; COMPUTE_PGM_RSRC2:TGID_X_EN: 1
; COMPUTE_PGM_RSRC2:TGID_Y_EN: 0
; COMPUTE_PGM_RSRC2:TGID_Z_EN: 0
; COMPUTE_PGM_RSRC2:TIDIG_COMP_CNT: 0
; COMPUTE_PGM_RSRC3_GFX90A:ACCUM_OFFSET: 5
; COMPUTE_PGM_RSRC3_GFX90A:TG_SPLIT: 0
	.section	.text._ZN7rocprim17ROCPRIM_400000_NS6detail17trampoline_kernelINS0_14default_configENS1_38merge_sort_block_merge_config_selectorIlNS0_10empty_typeEEEZZNS1_27merge_sort_block_merge_implIS3_PlPS5_mZN2at6native12_GLOBAL__N_124unique_dim_cuda_templateIiEESt5tupleIJNSA_6TensorESF_SF_EERKSF_lbbbEUlllE_EE10hipError_tT0_T1_T2_jT3_P12ihipStream_tbPNSt15iterator_traitsISL_E10value_typeEPNSR_ISM_E10value_typeEPSN_NS1_7vsmem_tEENKUlT_SL_SM_SN_E_clIS8_S8_S9_S9_EESK_S10_SL_SM_SN_EUlS10_E_NS1_11comp_targetILNS1_3genE3ELNS1_11target_archE908ELNS1_3gpuE7ELNS1_3repE0EEENS1_48merge_mergepath_partition_config_static_selectorELNS0_4arch9wavefront6targetE1EEEvSM_,"axG",@progbits,_ZN7rocprim17ROCPRIM_400000_NS6detail17trampoline_kernelINS0_14default_configENS1_38merge_sort_block_merge_config_selectorIlNS0_10empty_typeEEEZZNS1_27merge_sort_block_merge_implIS3_PlPS5_mZN2at6native12_GLOBAL__N_124unique_dim_cuda_templateIiEESt5tupleIJNSA_6TensorESF_SF_EERKSF_lbbbEUlllE_EE10hipError_tT0_T1_T2_jT3_P12ihipStream_tbPNSt15iterator_traitsISL_E10value_typeEPNSR_ISM_E10value_typeEPSN_NS1_7vsmem_tEENKUlT_SL_SM_SN_E_clIS8_S8_S9_S9_EESK_S10_SL_SM_SN_EUlS10_E_NS1_11comp_targetILNS1_3genE3ELNS1_11target_archE908ELNS1_3gpuE7ELNS1_3repE0EEENS1_48merge_mergepath_partition_config_static_selectorELNS0_4arch9wavefront6targetE1EEEvSM_,comdat
	.globl	_ZN7rocprim17ROCPRIM_400000_NS6detail17trampoline_kernelINS0_14default_configENS1_38merge_sort_block_merge_config_selectorIlNS0_10empty_typeEEEZZNS1_27merge_sort_block_merge_implIS3_PlPS5_mZN2at6native12_GLOBAL__N_124unique_dim_cuda_templateIiEESt5tupleIJNSA_6TensorESF_SF_EERKSF_lbbbEUlllE_EE10hipError_tT0_T1_T2_jT3_P12ihipStream_tbPNSt15iterator_traitsISL_E10value_typeEPNSR_ISM_E10value_typeEPSN_NS1_7vsmem_tEENKUlT_SL_SM_SN_E_clIS8_S8_S9_S9_EESK_S10_SL_SM_SN_EUlS10_E_NS1_11comp_targetILNS1_3genE3ELNS1_11target_archE908ELNS1_3gpuE7ELNS1_3repE0EEENS1_48merge_mergepath_partition_config_static_selectorELNS0_4arch9wavefront6targetE1EEEvSM_ ; -- Begin function _ZN7rocprim17ROCPRIM_400000_NS6detail17trampoline_kernelINS0_14default_configENS1_38merge_sort_block_merge_config_selectorIlNS0_10empty_typeEEEZZNS1_27merge_sort_block_merge_implIS3_PlPS5_mZN2at6native12_GLOBAL__N_124unique_dim_cuda_templateIiEESt5tupleIJNSA_6TensorESF_SF_EERKSF_lbbbEUlllE_EE10hipError_tT0_T1_T2_jT3_P12ihipStream_tbPNSt15iterator_traitsISL_E10value_typeEPNSR_ISM_E10value_typeEPSN_NS1_7vsmem_tEENKUlT_SL_SM_SN_E_clIS8_S8_S9_S9_EESK_S10_SL_SM_SN_EUlS10_E_NS1_11comp_targetILNS1_3genE3ELNS1_11target_archE908ELNS1_3gpuE7ELNS1_3repE0EEENS1_48merge_mergepath_partition_config_static_selectorELNS0_4arch9wavefront6targetE1EEEvSM_
	.p2align	8
	.type	_ZN7rocprim17ROCPRIM_400000_NS6detail17trampoline_kernelINS0_14default_configENS1_38merge_sort_block_merge_config_selectorIlNS0_10empty_typeEEEZZNS1_27merge_sort_block_merge_implIS3_PlPS5_mZN2at6native12_GLOBAL__N_124unique_dim_cuda_templateIiEESt5tupleIJNSA_6TensorESF_SF_EERKSF_lbbbEUlllE_EE10hipError_tT0_T1_T2_jT3_P12ihipStream_tbPNSt15iterator_traitsISL_E10value_typeEPNSR_ISM_E10value_typeEPSN_NS1_7vsmem_tEENKUlT_SL_SM_SN_E_clIS8_S8_S9_S9_EESK_S10_SL_SM_SN_EUlS10_E_NS1_11comp_targetILNS1_3genE3ELNS1_11target_archE908ELNS1_3gpuE7ELNS1_3repE0EEENS1_48merge_mergepath_partition_config_static_selectorELNS0_4arch9wavefront6targetE1EEEvSM_,@function
_ZN7rocprim17ROCPRIM_400000_NS6detail17trampoline_kernelINS0_14default_configENS1_38merge_sort_block_merge_config_selectorIlNS0_10empty_typeEEEZZNS1_27merge_sort_block_merge_implIS3_PlPS5_mZN2at6native12_GLOBAL__N_124unique_dim_cuda_templateIiEESt5tupleIJNSA_6TensorESF_SF_EERKSF_lbbbEUlllE_EE10hipError_tT0_T1_T2_jT3_P12ihipStream_tbPNSt15iterator_traitsISL_E10value_typeEPNSR_ISM_E10value_typeEPSN_NS1_7vsmem_tEENKUlT_SL_SM_SN_E_clIS8_S8_S9_S9_EESK_S10_SL_SM_SN_EUlS10_E_NS1_11comp_targetILNS1_3genE3ELNS1_11target_archE908ELNS1_3gpuE7ELNS1_3repE0EEENS1_48merge_mergepath_partition_config_static_selectorELNS0_4arch9wavefront6targetE1EEEvSM_: ; @_ZN7rocprim17ROCPRIM_400000_NS6detail17trampoline_kernelINS0_14default_configENS1_38merge_sort_block_merge_config_selectorIlNS0_10empty_typeEEEZZNS1_27merge_sort_block_merge_implIS3_PlPS5_mZN2at6native12_GLOBAL__N_124unique_dim_cuda_templateIiEESt5tupleIJNSA_6TensorESF_SF_EERKSF_lbbbEUlllE_EE10hipError_tT0_T1_T2_jT3_P12ihipStream_tbPNSt15iterator_traitsISL_E10value_typeEPNSR_ISM_E10value_typeEPSN_NS1_7vsmem_tEENKUlT_SL_SM_SN_E_clIS8_S8_S9_S9_EESK_S10_SL_SM_SN_EUlS10_E_NS1_11comp_targetILNS1_3genE3ELNS1_11target_archE908ELNS1_3gpuE7ELNS1_3repE0EEENS1_48merge_mergepath_partition_config_static_selectorELNS0_4arch9wavefront6targetE1EEEvSM_
; %bb.0:
	.section	.rodata,"a",@progbits
	.p2align	6, 0x0
	.amdhsa_kernel _ZN7rocprim17ROCPRIM_400000_NS6detail17trampoline_kernelINS0_14default_configENS1_38merge_sort_block_merge_config_selectorIlNS0_10empty_typeEEEZZNS1_27merge_sort_block_merge_implIS3_PlPS5_mZN2at6native12_GLOBAL__N_124unique_dim_cuda_templateIiEESt5tupleIJNSA_6TensorESF_SF_EERKSF_lbbbEUlllE_EE10hipError_tT0_T1_T2_jT3_P12ihipStream_tbPNSt15iterator_traitsISL_E10value_typeEPNSR_ISM_E10value_typeEPSN_NS1_7vsmem_tEENKUlT_SL_SM_SN_E_clIS8_S8_S9_S9_EESK_S10_SL_SM_SN_EUlS10_E_NS1_11comp_targetILNS1_3genE3ELNS1_11target_archE908ELNS1_3gpuE7ELNS1_3repE0EEENS1_48merge_mergepath_partition_config_static_selectorELNS0_4arch9wavefront6targetE1EEEvSM_
		.amdhsa_group_segment_fixed_size 0
		.amdhsa_private_segment_fixed_size 0
		.amdhsa_kernarg_size 56
		.amdhsa_user_sgpr_count 6
		.amdhsa_user_sgpr_private_segment_buffer 1
		.amdhsa_user_sgpr_dispatch_ptr 0
		.amdhsa_user_sgpr_queue_ptr 0
		.amdhsa_user_sgpr_kernarg_segment_ptr 1
		.amdhsa_user_sgpr_dispatch_id 0
		.amdhsa_user_sgpr_flat_scratch_init 0
		.amdhsa_user_sgpr_kernarg_preload_length 0
		.amdhsa_user_sgpr_kernarg_preload_offset 0
		.amdhsa_user_sgpr_private_segment_size 0
		.amdhsa_uses_dynamic_stack 0
		.amdhsa_system_sgpr_private_segment_wavefront_offset 0
		.amdhsa_system_sgpr_workgroup_id_x 1
		.amdhsa_system_sgpr_workgroup_id_y 0
		.amdhsa_system_sgpr_workgroup_id_z 0
		.amdhsa_system_sgpr_workgroup_info 0
		.amdhsa_system_vgpr_workitem_id 0
		.amdhsa_next_free_vgpr 1
		.amdhsa_next_free_sgpr 0
		.amdhsa_accum_offset 4
		.amdhsa_reserve_vcc 0
		.amdhsa_reserve_flat_scratch 0
		.amdhsa_float_round_mode_32 0
		.amdhsa_float_round_mode_16_64 0
		.amdhsa_float_denorm_mode_32 3
		.amdhsa_float_denorm_mode_16_64 3
		.amdhsa_dx10_clamp 1
		.amdhsa_ieee_mode 1
		.amdhsa_fp16_overflow 0
		.amdhsa_tg_split 0
		.amdhsa_exception_fp_ieee_invalid_op 0
		.amdhsa_exception_fp_denorm_src 0
		.amdhsa_exception_fp_ieee_div_zero 0
		.amdhsa_exception_fp_ieee_overflow 0
		.amdhsa_exception_fp_ieee_underflow 0
		.amdhsa_exception_fp_ieee_inexact 0
		.amdhsa_exception_int_div_zero 0
	.end_amdhsa_kernel
	.section	.text._ZN7rocprim17ROCPRIM_400000_NS6detail17trampoline_kernelINS0_14default_configENS1_38merge_sort_block_merge_config_selectorIlNS0_10empty_typeEEEZZNS1_27merge_sort_block_merge_implIS3_PlPS5_mZN2at6native12_GLOBAL__N_124unique_dim_cuda_templateIiEESt5tupleIJNSA_6TensorESF_SF_EERKSF_lbbbEUlllE_EE10hipError_tT0_T1_T2_jT3_P12ihipStream_tbPNSt15iterator_traitsISL_E10value_typeEPNSR_ISM_E10value_typeEPSN_NS1_7vsmem_tEENKUlT_SL_SM_SN_E_clIS8_S8_S9_S9_EESK_S10_SL_SM_SN_EUlS10_E_NS1_11comp_targetILNS1_3genE3ELNS1_11target_archE908ELNS1_3gpuE7ELNS1_3repE0EEENS1_48merge_mergepath_partition_config_static_selectorELNS0_4arch9wavefront6targetE1EEEvSM_,"axG",@progbits,_ZN7rocprim17ROCPRIM_400000_NS6detail17trampoline_kernelINS0_14default_configENS1_38merge_sort_block_merge_config_selectorIlNS0_10empty_typeEEEZZNS1_27merge_sort_block_merge_implIS3_PlPS5_mZN2at6native12_GLOBAL__N_124unique_dim_cuda_templateIiEESt5tupleIJNSA_6TensorESF_SF_EERKSF_lbbbEUlllE_EE10hipError_tT0_T1_T2_jT3_P12ihipStream_tbPNSt15iterator_traitsISL_E10value_typeEPNSR_ISM_E10value_typeEPSN_NS1_7vsmem_tEENKUlT_SL_SM_SN_E_clIS8_S8_S9_S9_EESK_S10_SL_SM_SN_EUlS10_E_NS1_11comp_targetILNS1_3genE3ELNS1_11target_archE908ELNS1_3gpuE7ELNS1_3repE0EEENS1_48merge_mergepath_partition_config_static_selectorELNS0_4arch9wavefront6targetE1EEEvSM_,comdat
.Lfunc_end396:
	.size	_ZN7rocprim17ROCPRIM_400000_NS6detail17trampoline_kernelINS0_14default_configENS1_38merge_sort_block_merge_config_selectorIlNS0_10empty_typeEEEZZNS1_27merge_sort_block_merge_implIS3_PlPS5_mZN2at6native12_GLOBAL__N_124unique_dim_cuda_templateIiEESt5tupleIJNSA_6TensorESF_SF_EERKSF_lbbbEUlllE_EE10hipError_tT0_T1_T2_jT3_P12ihipStream_tbPNSt15iterator_traitsISL_E10value_typeEPNSR_ISM_E10value_typeEPSN_NS1_7vsmem_tEENKUlT_SL_SM_SN_E_clIS8_S8_S9_S9_EESK_S10_SL_SM_SN_EUlS10_E_NS1_11comp_targetILNS1_3genE3ELNS1_11target_archE908ELNS1_3gpuE7ELNS1_3repE0EEENS1_48merge_mergepath_partition_config_static_selectorELNS0_4arch9wavefront6targetE1EEEvSM_, .Lfunc_end396-_ZN7rocprim17ROCPRIM_400000_NS6detail17trampoline_kernelINS0_14default_configENS1_38merge_sort_block_merge_config_selectorIlNS0_10empty_typeEEEZZNS1_27merge_sort_block_merge_implIS3_PlPS5_mZN2at6native12_GLOBAL__N_124unique_dim_cuda_templateIiEESt5tupleIJNSA_6TensorESF_SF_EERKSF_lbbbEUlllE_EE10hipError_tT0_T1_T2_jT3_P12ihipStream_tbPNSt15iterator_traitsISL_E10value_typeEPNSR_ISM_E10value_typeEPSN_NS1_7vsmem_tEENKUlT_SL_SM_SN_E_clIS8_S8_S9_S9_EESK_S10_SL_SM_SN_EUlS10_E_NS1_11comp_targetILNS1_3genE3ELNS1_11target_archE908ELNS1_3gpuE7ELNS1_3repE0EEENS1_48merge_mergepath_partition_config_static_selectorELNS0_4arch9wavefront6targetE1EEEvSM_
                                        ; -- End function
	.section	.AMDGPU.csdata,"",@progbits
; Kernel info:
; codeLenInByte = 0
; NumSgprs: 4
; NumVgprs: 0
; NumAgprs: 0
; TotalNumVgprs: 0
; ScratchSize: 0
; MemoryBound: 0
; FloatMode: 240
; IeeeMode: 1
; LDSByteSize: 0 bytes/workgroup (compile time only)
; SGPRBlocks: 0
; VGPRBlocks: 0
; NumSGPRsForWavesPerEU: 4
; NumVGPRsForWavesPerEU: 1
; AccumOffset: 4
; Occupancy: 8
; WaveLimiterHint : 0
; COMPUTE_PGM_RSRC2:SCRATCH_EN: 0
; COMPUTE_PGM_RSRC2:USER_SGPR: 6
; COMPUTE_PGM_RSRC2:TRAP_HANDLER: 0
; COMPUTE_PGM_RSRC2:TGID_X_EN: 1
; COMPUTE_PGM_RSRC2:TGID_Y_EN: 0
; COMPUTE_PGM_RSRC2:TGID_Z_EN: 0
; COMPUTE_PGM_RSRC2:TIDIG_COMP_CNT: 0
; COMPUTE_PGM_RSRC3_GFX90A:ACCUM_OFFSET: 0
; COMPUTE_PGM_RSRC3_GFX90A:TG_SPLIT: 0
	.section	.text._ZN7rocprim17ROCPRIM_400000_NS6detail17trampoline_kernelINS0_14default_configENS1_38merge_sort_block_merge_config_selectorIlNS0_10empty_typeEEEZZNS1_27merge_sort_block_merge_implIS3_PlPS5_mZN2at6native12_GLOBAL__N_124unique_dim_cuda_templateIiEESt5tupleIJNSA_6TensorESF_SF_EERKSF_lbbbEUlllE_EE10hipError_tT0_T1_T2_jT3_P12ihipStream_tbPNSt15iterator_traitsISL_E10value_typeEPNSR_ISM_E10value_typeEPSN_NS1_7vsmem_tEENKUlT_SL_SM_SN_E_clIS8_S8_S9_S9_EESK_S10_SL_SM_SN_EUlS10_E_NS1_11comp_targetILNS1_3genE2ELNS1_11target_archE906ELNS1_3gpuE6ELNS1_3repE0EEENS1_48merge_mergepath_partition_config_static_selectorELNS0_4arch9wavefront6targetE1EEEvSM_,"axG",@progbits,_ZN7rocprim17ROCPRIM_400000_NS6detail17trampoline_kernelINS0_14default_configENS1_38merge_sort_block_merge_config_selectorIlNS0_10empty_typeEEEZZNS1_27merge_sort_block_merge_implIS3_PlPS5_mZN2at6native12_GLOBAL__N_124unique_dim_cuda_templateIiEESt5tupleIJNSA_6TensorESF_SF_EERKSF_lbbbEUlllE_EE10hipError_tT0_T1_T2_jT3_P12ihipStream_tbPNSt15iterator_traitsISL_E10value_typeEPNSR_ISM_E10value_typeEPSN_NS1_7vsmem_tEENKUlT_SL_SM_SN_E_clIS8_S8_S9_S9_EESK_S10_SL_SM_SN_EUlS10_E_NS1_11comp_targetILNS1_3genE2ELNS1_11target_archE906ELNS1_3gpuE6ELNS1_3repE0EEENS1_48merge_mergepath_partition_config_static_selectorELNS0_4arch9wavefront6targetE1EEEvSM_,comdat
	.globl	_ZN7rocprim17ROCPRIM_400000_NS6detail17trampoline_kernelINS0_14default_configENS1_38merge_sort_block_merge_config_selectorIlNS0_10empty_typeEEEZZNS1_27merge_sort_block_merge_implIS3_PlPS5_mZN2at6native12_GLOBAL__N_124unique_dim_cuda_templateIiEESt5tupleIJNSA_6TensorESF_SF_EERKSF_lbbbEUlllE_EE10hipError_tT0_T1_T2_jT3_P12ihipStream_tbPNSt15iterator_traitsISL_E10value_typeEPNSR_ISM_E10value_typeEPSN_NS1_7vsmem_tEENKUlT_SL_SM_SN_E_clIS8_S8_S9_S9_EESK_S10_SL_SM_SN_EUlS10_E_NS1_11comp_targetILNS1_3genE2ELNS1_11target_archE906ELNS1_3gpuE6ELNS1_3repE0EEENS1_48merge_mergepath_partition_config_static_selectorELNS0_4arch9wavefront6targetE1EEEvSM_ ; -- Begin function _ZN7rocprim17ROCPRIM_400000_NS6detail17trampoline_kernelINS0_14default_configENS1_38merge_sort_block_merge_config_selectorIlNS0_10empty_typeEEEZZNS1_27merge_sort_block_merge_implIS3_PlPS5_mZN2at6native12_GLOBAL__N_124unique_dim_cuda_templateIiEESt5tupleIJNSA_6TensorESF_SF_EERKSF_lbbbEUlllE_EE10hipError_tT0_T1_T2_jT3_P12ihipStream_tbPNSt15iterator_traitsISL_E10value_typeEPNSR_ISM_E10value_typeEPSN_NS1_7vsmem_tEENKUlT_SL_SM_SN_E_clIS8_S8_S9_S9_EESK_S10_SL_SM_SN_EUlS10_E_NS1_11comp_targetILNS1_3genE2ELNS1_11target_archE906ELNS1_3gpuE6ELNS1_3repE0EEENS1_48merge_mergepath_partition_config_static_selectorELNS0_4arch9wavefront6targetE1EEEvSM_
	.p2align	8
	.type	_ZN7rocprim17ROCPRIM_400000_NS6detail17trampoline_kernelINS0_14default_configENS1_38merge_sort_block_merge_config_selectorIlNS0_10empty_typeEEEZZNS1_27merge_sort_block_merge_implIS3_PlPS5_mZN2at6native12_GLOBAL__N_124unique_dim_cuda_templateIiEESt5tupleIJNSA_6TensorESF_SF_EERKSF_lbbbEUlllE_EE10hipError_tT0_T1_T2_jT3_P12ihipStream_tbPNSt15iterator_traitsISL_E10value_typeEPNSR_ISM_E10value_typeEPSN_NS1_7vsmem_tEENKUlT_SL_SM_SN_E_clIS8_S8_S9_S9_EESK_S10_SL_SM_SN_EUlS10_E_NS1_11comp_targetILNS1_3genE2ELNS1_11target_archE906ELNS1_3gpuE6ELNS1_3repE0EEENS1_48merge_mergepath_partition_config_static_selectorELNS0_4arch9wavefront6targetE1EEEvSM_,@function
_ZN7rocprim17ROCPRIM_400000_NS6detail17trampoline_kernelINS0_14default_configENS1_38merge_sort_block_merge_config_selectorIlNS0_10empty_typeEEEZZNS1_27merge_sort_block_merge_implIS3_PlPS5_mZN2at6native12_GLOBAL__N_124unique_dim_cuda_templateIiEESt5tupleIJNSA_6TensorESF_SF_EERKSF_lbbbEUlllE_EE10hipError_tT0_T1_T2_jT3_P12ihipStream_tbPNSt15iterator_traitsISL_E10value_typeEPNSR_ISM_E10value_typeEPSN_NS1_7vsmem_tEENKUlT_SL_SM_SN_E_clIS8_S8_S9_S9_EESK_S10_SL_SM_SN_EUlS10_E_NS1_11comp_targetILNS1_3genE2ELNS1_11target_archE906ELNS1_3gpuE6ELNS1_3repE0EEENS1_48merge_mergepath_partition_config_static_selectorELNS0_4arch9wavefront6targetE1EEEvSM_: ; @_ZN7rocprim17ROCPRIM_400000_NS6detail17trampoline_kernelINS0_14default_configENS1_38merge_sort_block_merge_config_selectorIlNS0_10empty_typeEEEZZNS1_27merge_sort_block_merge_implIS3_PlPS5_mZN2at6native12_GLOBAL__N_124unique_dim_cuda_templateIiEESt5tupleIJNSA_6TensorESF_SF_EERKSF_lbbbEUlllE_EE10hipError_tT0_T1_T2_jT3_P12ihipStream_tbPNSt15iterator_traitsISL_E10value_typeEPNSR_ISM_E10value_typeEPSN_NS1_7vsmem_tEENKUlT_SL_SM_SN_E_clIS8_S8_S9_S9_EESK_S10_SL_SM_SN_EUlS10_E_NS1_11comp_targetILNS1_3genE2ELNS1_11target_archE906ELNS1_3gpuE6ELNS1_3repE0EEENS1_48merge_mergepath_partition_config_static_selectorELNS0_4arch9wavefront6targetE1EEEvSM_
; %bb.0:
	.section	.rodata,"a",@progbits
	.p2align	6, 0x0
	.amdhsa_kernel _ZN7rocprim17ROCPRIM_400000_NS6detail17trampoline_kernelINS0_14default_configENS1_38merge_sort_block_merge_config_selectorIlNS0_10empty_typeEEEZZNS1_27merge_sort_block_merge_implIS3_PlPS5_mZN2at6native12_GLOBAL__N_124unique_dim_cuda_templateIiEESt5tupleIJNSA_6TensorESF_SF_EERKSF_lbbbEUlllE_EE10hipError_tT0_T1_T2_jT3_P12ihipStream_tbPNSt15iterator_traitsISL_E10value_typeEPNSR_ISM_E10value_typeEPSN_NS1_7vsmem_tEENKUlT_SL_SM_SN_E_clIS8_S8_S9_S9_EESK_S10_SL_SM_SN_EUlS10_E_NS1_11comp_targetILNS1_3genE2ELNS1_11target_archE906ELNS1_3gpuE6ELNS1_3repE0EEENS1_48merge_mergepath_partition_config_static_selectorELNS0_4arch9wavefront6targetE1EEEvSM_
		.amdhsa_group_segment_fixed_size 0
		.amdhsa_private_segment_fixed_size 0
		.amdhsa_kernarg_size 56
		.amdhsa_user_sgpr_count 6
		.amdhsa_user_sgpr_private_segment_buffer 1
		.amdhsa_user_sgpr_dispatch_ptr 0
		.amdhsa_user_sgpr_queue_ptr 0
		.amdhsa_user_sgpr_kernarg_segment_ptr 1
		.amdhsa_user_sgpr_dispatch_id 0
		.amdhsa_user_sgpr_flat_scratch_init 0
		.amdhsa_user_sgpr_kernarg_preload_length 0
		.amdhsa_user_sgpr_kernarg_preload_offset 0
		.amdhsa_user_sgpr_private_segment_size 0
		.amdhsa_uses_dynamic_stack 0
		.amdhsa_system_sgpr_private_segment_wavefront_offset 0
		.amdhsa_system_sgpr_workgroup_id_x 1
		.amdhsa_system_sgpr_workgroup_id_y 0
		.amdhsa_system_sgpr_workgroup_id_z 0
		.amdhsa_system_sgpr_workgroup_info 0
		.amdhsa_system_vgpr_workitem_id 0
		.amdhsa_next_free_vgpr 1
		.amdhsa_next_free_sgpr 0
		.amdhsa_accum_offset 4
		.amdhsa_reserve_vcc 0
		.amdhsa_reserve_flat_scratch 0
		.amdhsa_float_round_mode_32 0
		.amdhsa_float_round_mode_16_64 0
		.amdhsa_float_denorm_mode_32 3
		.amdhsa_float_denorm_mode_16_64 3
		.amdhsa_dx10_clamp 1
		.amdhsa_ieee_mode 1
		.amdhsa_fp16_overflow 0
		.amdhsa_tg_split 0
		.amdhsa_exception_fp_ieee_invalid_op 0
		.amdhsa_exception_fp_denorm_src 0
		.amdhsa_exception_fp_ieee_div_zero 0
		.amdhsa_exception_fp_ieee_overflow 0
		.amdhsa_exception_fp_ieee_underflow 0
		.amdhsa_exception_fp_ieee_inexact 0
		.amdhsa_exception_int_div_zero 0
	.end_amdhsa_kernel
	.section	.text._ZN7rocprim17ROCPRIM_400000_NS6detail17trampoline_kernelINS0_14default_configENS1_38merge_sort_block_merge_config_selectorIlNS0_10empty_typeEEEZZNS1_27merge_sort_block_merge_implIS3_PlPS5_mZN2at6native12_GLOBAL__N_124unique_dim_cuda_templateIiEESt5tupleIJNSA_6TensorESF_SF_EERKSF_lbbbEUlllE_EE10hipError_tT0_T1_T2_jT3_P12ihipStream_tbPNSt15iterator_traitsISL_E10value_typeEPNSR_ISM_E10value_typeEPSN_NS1_7vsmem_tEENKUlT_SL_SM_SN_E_clIS8_S8_S9_S9_EESK_S10_SL_SM_SN_EUlS10_E_NS1_11comp_targetILNS1_3genE2ELNS1_11target_archE906ELNS1_3gpuE6ELNS1_3repE0EEENS1_48merge_mergepath_partition_config_static_selectorELNS0_4arch9wavefront6targetE1EEEvSM_,"axG",@progbits,_ZN7rocprim17ROCPRIM_400000_NS6detail17trampoline_kernelINS0_14default_configENS1_38merge_sort_block_merge_config_selectorIlNS0_10empty_typeEEEZZNS1_27merge_sort_block_merge_implIS3_PlPS5_mZN2at6native12_GLOBAL__N_124unique_dim_cuda_templateIiEESt5tupleIJNSA_6TensorESF_SF_EERKSF_lbbbEUlllE_EE10hipError_tT0_T1_T2_jT3_P12ihipStream_tbPNSt15iterator_traitsISL_E10value_typeEPNSR_ISM_E10value_typeEPSN_NS1_7vsmem_tEENKUlT_SL_SM_SN_E_clIS8_S8_S9_S9_EESK_S10_SL_SM_SN_EUlS10_E_NS1_11comp_targetILNS1_3genE2ELNS1_11target_archE906ELNS1_3gpuE6ELNS1_3repE0EEENS1_48merge_mergepath_partition_config_static_selectorELNS0_4arch9wavefront6targetE1EEEvSM_,comdat
.Lfunc_end397:
	.size	_ZN7rocprim17ROCPRIM_400000_NS6detail17trampoline_kernelINS0_14default_configENS1_38merge_sort_block_merge_config_selectorIlNS0_10empty_typeEEEZZNS1_27merge_sort_block_merge_implIS3_PlPS5_mZN2at6native12_GLOBAL__N_124unique_dim_cuda_templateIiEESt5tupleIJNSA_6TensorESF_SF_EERKSF_lbbbEUlllE_EE10hipError_tT0_T1_T2_jT3_P12ihipStream_tbPNSt15iterator_traitsISL_E10value_typeEPNSR_ISM_E10value_typeEPSN_NS1_7vsmem_tEENKUlT_SL_SM_SN_E_clIS8_S8_S9_S9_EESK_S10_SL_SM_SN_EUlS10_E_NS1_11comp_targetILNS1_3genE2ELNS1_11target_archE906ELNS1_3gpuE6ELNS1_3repE0EEENS1_48merge_mergepath_partition_config_static_selectorELNS0_4arch9wavefront6targetE1EEEvSM_, .Lfunc_end397-_ZN7rocprim17ROCPRIM_400000_NS6detail17trampoline_kernelINS0_14default_configENS1_38merge_sort_block_merge_config_selectorIlNS0_10empty_typeEEEZZNS1_27merge_sort_block_merge_implIS3_PlPS5_mZN2at6native12_GLOBAL__N_124unique_dim_cuda_templateIiEESt5tupleIJNSA_6TensorESF_SF_EERKSF_lbbbEUlllE_EE10hipError_tT0_T1_T2_jT3_P12ihipStream_tbPNSt15iterator_traitsISL_E10value_typeEPNSR_ISM_E10value_typeEPSN_NS1_7vsmem_tEENKUlT_SL_SM_SN_E_clIS8_S8_S9_S9_EESK_S10_SL_SM_SN_EUlS10_E_NS1_11comp_targetILNS1_3genE2ELNS1_11target_archE906ELNS1_3gpuE6ELNS1_3repE0EEENS1_48merge_mergepath_partition_config_static_selectorELNS0_4arch9wavefront6targetE1EEEvSM_
                                        ; -- End function
	.section	.AMDGPU.csdata,"",@progbits
; Kernel info:
; codeLenInByte = 0
; NumSgprs: 4
; NumVgprs: 0
; NumAgprs: 0
; TotalNumVgprs: 0
; ScratchSize: 0
; MemoryBound: 0
; FloatMode: 240
; IeeeMode: 1
; LDSByteSize: 0 bytes/workgroup (compile time only)
; SGPRBlocks: 0
; VGPRBlocks: 0
; NumSGPRsForWavesPerEU: 4
; NumVGPRsForWavesPerEU: 1
; AccumOffset: 4
; Occupancy: 8
; WaveLimiterHint : 0
; COMPUTE_PGM_RSRC2:SCRATCH_EN: 0
; COMPUTE_PGM_RSRC2:USER_SGPR: 6
; COMPUTE_PGM_RSRC2:TRAP_HANDLER: 0
; COMPUTE_PGM_RSRC2:TGID_X_EN: 1
; COMPUTE_PGM_RSRC2:TGID_Y_EN: 0
; COMPUTE_PGM_RSRC2:TGID_Z_EN: 0
; COMPUTE_PGM_RSRC2:TIDIG_COMP_CNT: 0
; COMPUTE_PGM_RSRC3_GFX90A:ACCUM_OFFSET: 0
; COMPUTE_PGM_RSRC3_GFX90A:TG_SPLIT: 0
	.section	.text._ZN7rocprim17ROCPRIM_400000_NS6detail17trampoline_kernelINS0_14default_configENS1_38merge_sort_block_merge_config_selectorIlNS0_10empty_typeEEEZZNS1_27merge_sort_block_merge_implIS3_PlPS5_mZN2at6native12_GLOBAL__N_124unique_dim_cuda_templateIiEESt5tupleIJNSA_6TensorESF_SF_EERKSF_lbbbEUlllE_EE10hipError_tT0_T1_T2_jT3_P12ihipStream_tbPNSt15iterator_traitsISL_E10value_typeEPNSR_ISM_E10value_typeEPSN_NS1_7vsmem_tEENKUlT_SL_SM_SN_E_clIS8_S8_S9_S9_EESK_S10_SL_SM_SN_EUlS10_E_NS1_11comp_targetILNS1_3genE9ELNS1_11target_archE1100ELNS1_3gpuE3ELNS1_3repE0EEENS1_48merge_mergepath_partition_config_static_selectorELNS0_4arch9wavefront6targetE1EEEvSM_,"axG",@progbits,_ZN7rocprim17ROCPRIM_400000_NS6detail17trampoline_kernelINS0_14default_configENS1_38merge_sort_block_merge_config_selectorIlNS0_10empty_typeEEEZZNS1_27merge_sort_block_merge_implIS3_PlPS5_mZN2at6native12_GLOBAL__N_124unique_dim_cuda_templateIiEESt5tupleIJNSA_6TensorESF_SF_EERKSF_lbbbEUlllE_EE10hipError_tT0_T1_T2_jT3_P12ihipStream_tbPNSt15iterator_traitsISL_E10value_typeEPNSR_ISM_E10value_typeEPSN_NS1_7vsmem_tEENKUlT_SL_SM_SN_E_clIS8_S8_S9_S9_EESK_S10_SL_SM_SN_EUlS10_E_NS1_11comp_targetILNS1_3genE9ELNS1_11target_archE1100ELNS1_3gpuE3ELNS1_3repE0EEENS1_48merge_mergepath_partition_config_static_selectorELNS0_4arch9wavefront6targetE1EEEvSM_,comdat
	.globl	_ZN7rocprim17ROCPRIM_400000_NS6detail17trampoline_kernelINS0_14default_configENS1_38merge_sort_block_merge_config_selectorIlNS0_10empty_typeEEEZZNS1_27merge_sort_block_merge_implIS3_PlPS5_mZN2at6native12_GLOBAL__N_124unique_dim_cuda_templateIiEESt5tupleIJNSA_6TensorESF_SF_EERKSF_lbbbEUlllE_EE10hipError_tT0_T1_T2_jT3_P12ihipStream_tbPNSt15iterator_traitsISL_E10value_typeEPNSR_ISM_E10value_typeEPSN_NS1_7vsmem_tEENKUlT_SL_SM_SN_E_clIS8_S8_S9_S9_EESK_S10_SL_SM_SN_EUlS10_E_NS1_11comp_targetILNS1_3genE9ELNS1_11target_archE1100ELNS1_3gpuE3ELNS1_3repE0EEENS1_48merge_mergepath_partition_config_static_selectorELNS0_4arch9wavefront6targetE1EEEvSM_ ; -- Begin function _ZN7rocprim17ROCPRIM_400000_NS6detail17trampoline_kernelINS0_14default_configENS1_38merge_sort_block_merge_config_selectorIlNS0_10empty_typeEEEZZNS1_27merge_sort_block_merge_implIS3_PlPS5_mZN2at6native12_GLOBAL__N_124unique_dim_cuda_templateIiEESt5tupleIJNSA_6TensorESF_SF_EERKSF_lbbbEUlllE_EE10hipError_tT0_T1_T2_jT3_P12ihipStream_tbPNSt15iterator_traitsISL_E10value_typeEPNSR_ISM_E10value_typeEPSN_NS1_7vsmem_tEENKUlT_SL_SM_SN_E_clIS8_S8_S9_S9_EESK_S10_SL_SM_SN_EUlS10_E_NS1_11comp_targetILNS1_3genE9ELNS1_11target_archE1100ELNS1_3gpuE3ELNS1_3repE0EEENS1_48merge_mergepath_partition_config_static_selectorELNS0_4arch9wavefront6targetE1EEEvSM_
	.p2align	8
	.type	_ZN7rocprim17ROCPRIM_400000_NS6detail17trampoline_kernelINS0_14default_configENS1_38merge_sort_block_merge_config_selectorIlNS0_10empty_typeEEEZZNS1_27merge_sort_block_merge_implIS3_PlPS5_mZN2at6native12_GLOBAL__N_124unique_dim_cuda_templateIiEESt5tupleIJNSA_6TensorESF_SF_EERKSF_lbbbEUlllE_EE10hipError_tT0_T1_T2_jT3_P12ihipStream_tbPNSt15iterator_traitsISL_E10value_typeEPNSR_ISM_E10value_typeEPSN_NS1_7vsmem_tEENKUlT_SL_SM_SN_E_clIS8_S8_S9_S9_EESK_S10_SL_SM_SN_EUlS10_E_NS1_11comp_targetILNS1_3genE9ELNS1_11target_archE1100ELNS1_3gpuE3ELNS1_3repE0EEENS1_48merge_mergepath_partition_config_static_selectorELNS0_4arch9wavefront6targetE1EEEvSM_,@function
_ZN7rocprim17ROCPRIM_400000_NS6detail17trampoline_kernelINS0_14default_configENS1_38merge_sort_block_merge_config_selectorIlNS0_10empty_typeEEEZZNS1_27merge_sort_block_merge_implIS3_PlPS5_mZN2at6native12_GLOBAL__N_124unique_dim_cuda_templateIiEESt5tupleIJNSA_6TensorESF_SF_EERKSF_lbbbEUlllE_EE10hipError_tT0_T1_T2_jT3_P12ihipStream_tbPNSt15iterator_traitsISL_E10value_typeEPNSR_ISM_E10value_typeEPSN_NS1_7vsmem_tEENKUlT_SL_SM_SN_E_clIS8_S8_S9_S9_EESK_S10_SL_SM_SN_EUlS10_E_NS1_11comp_targetILNS1_3genE9ELNS1_11target_archE1100ELNS1_3gpuE3ELNS1_3repE0EEENS1_48merge_mergepath_partition_config_static_selectorELNS0_4arch9wavefront6targetE1EEEvSM_: ; @_ZN7rocprim17ROCPRIM_400000_NS6detail17trampoline_kernelINS0_14default_configENS1_38merge_sort_block_merge_config_selectorIlNS0_10empty_typeEEEZZNS1_27merge_sort_block_merge_implIS3_PlPS5_mZN2at6native12_GLOBAL__N_124unique_dim_cuda_templateIiEESt5tupleIJNSA_6TensorESF_SF_EERKSF_lbbbEUlllE_EE10hipError_tT0_T1_T2_jT3_P12ihipStream_tbPNSt15iterator_traitsISL_E10value_typeEPNSR_ISM_E10value_typeEPSN_NS1_7vsmem_tEENKUlT_SL_SM_SN_E_clIS8_S8_S9_S9_EESK_S10_SL_SM_SN_EUlS10_E_NS1_11comp_targetILNS1_3genE9ELNS1_11target_archE1100ELNS1_3gpuE3ELNS1_3repE0EEENS1_48merge_mergepath_partition_config_static_selectorELNS0_4arch9wavefront6targetE1EEEvSM_
; %bb.0:
	.section	.rodata,"a",@progbits
	.p2align	6, 0x0
	.amdhsa_kernel _ZN7rocprim17ROCPRIM_400000_NS6detail17trampoline_kernelINS0_14default_configENS1_38merge_sort_block_merge_config_selectorIlNS0_10empty_typeEEEZZNS1_27merge_sort_block_merge_implIS3_PlPS5_mZN2at6native12_GLOBAL__N_124unique_dim_cuda_templateIiEESt5tupleIJNSA_6TensorESF_SF_EERKSF_lbbbEUlllE_EE10hipError_tT0_T1_T2_jT3_P12ihipStream_tbPNSt15iterator_traitsISL_E10value_typeEPNSR_ISM_E10value_typeEPSN_NS1_7vsmem_tEENKUlT_SL_SM_SN_E_clIS8_S8_S9_S9_EESK_S10_SL_SM_SN_EUlS10_E_NS1_11comp_targetILNS1_3genE9ELNS1_11target_archE1100ELNS1_3gpuE3ELNS1_3repE0EEENS1_48merge_mergepath_partition_config_static_selectorELNS0_4arch9wavefront6targetE1EEEvSM_
		.amdhsa_group_segment_fixed_size 0
		.amdhsa_private_segment_fixed_size 0
		.amdhsa_kernarg_size 56
		.amdhsa_user_sgpr_count 6
		.amdhsa_user_sgpr_private_segment_buffer 1
		.amdhsa_user_sgpr_dispatch_ptr 0
		.amdhsa_user_sgpr_queue_ptr 0
		.amdhsa_user_sgpr_kernarg_segment_ptr 1
		.amdhsa_user_sgpr_dispatch_id 0
		.amdhsa_user_sgpr_flat_scratch_init 0
		.amdhsa_user_sgpr_kernarg_preload_length 0
		.amdhsa_user_sgpr_kernarg_preload_offset 0
		.amdhsa_user_sgpr_private_segment_size 0
		.amdhsa_uses_dynamic_stack 0
		.amdhsa_system_sgpr_private_segment_wavefront_offset 0
		.amdhsa_system_sgpr_workgroup_id_x 1
		.amdhsa_system_sgpr_workgroup_id_y 0
		.amdhsa_system_sgpr_workgroup_id_z 0
		.amdhsa_system_sgpr_workgroup_info 0
		.amdhsa_system_vgpr_workitem_id 0
		.amdhsa_next_free_vgpr 1
		.amdhsa_next_free_sgpr 0
		.amdhsa_accum_offset 4
		.amdhsa_reserve_vcc 0
		.amdhsa_reserve_flat_scratch 0
		.amdhsa_float_round_mode_32 0
		.amdhsa_float_round_mode_16_64 0
		.amdhsa_float_denorm_mode_32 3
		.amdhsa_float_denorm_mode_16_64 3
		.amdhsa_dx10_clamp 1
		.amdhsa_ieee_mode 1
		.amdhsa_fp16_overflow 0
		.amdhsa_tg_split 0
		.amdhsa_exception_fp_ieee_invalid_op 0
		.amdhsa_exception_fp_denorm_src 0
		.amdhsa_exception_fp_ieee_div_zero 0
		.amdhsa_exception_fp_ieee_overflow 0
		.amdhsa_exception_fp_ieee_underflow 0
		.amdhsa_exception_fp_ieee_inexact 0
		.amdhsa_exception_int_div_zero 0
	.end_amdhsa_kernel
	.section	.text._ZN7rocprim17ROCPRIM_400000_NS6detail17trampoline_kernelINS0_14default_configENS1_38merge_sort_block_merge_config_selectorIlNS0_10empty_typeEEEZZNS1_27merge_sort_block_merge_implIS3_PlPS5_mZN2at6native12_GLOBAL__N_124unique_dim_cuda_templateIiEESt5tupleIJNSA_6TensorESF_SF_EERKSF_lbbbEUlllE_EE10hipError_tT0_T1_T2_jT3_P12ihipStream_tbPNSt15iterator_traitsISL_E10value_typeEPNSR_ISM_E10value_typeEPSN_NS1_7vsmem_tEENKUlT_SL_SM_SN_E_clIS8_S8_S9_S9_EESK_S10_SL_SM_SN_EUlS10_E_NS1_11comp_targetILNS1_3genE9ELNS1_11target_archE1100ELNS1_3gpuE3ELNS1_3repE0EEENS1_48merge_mergepath_partition_config_static_selectorELNS0_4arch9wavefront6targetE1EEEvSM_,"axG",@progbits,_ZN7rocprim17ROCPRIM_400000_NS6detail17trampoline_kernelINS0_14default_configENS1_38merge_sort_block_merge_config_selectorIlNS0_10empty_typeEEEZZNS1_27merge_sort_block_merge_implIS3_PlPS5_mZN2at6native12_GLOBAL__N_124unique_dim_cuda_templateIiEESt5tupleIJNSA_6TensorESF_SF_EERKSF_lbbbEUlllE_EE10hipError_tT0_T1_T2_jT3_P12ihipStream_tbPNSt15iterator_traitsISL_E10value_typeEPNSR_ISM_E10value_typeEPSN_NS1_7vsmem_tEENKUlT_SL_SM_SN_E_clIS8_S8_S9_S9_EESK_S10_SL_SM_SN_EUlS10_E_NS1_11comp_targetILNS1_3genE9ELNS1_11target_archE1100ELNS1_3gpuE3ELNS1_3repE0EEENS1_48merge_mergepath_partition_config_static_selectorELNS0_4arch9wavefront6targetE1EEEvSM_,comdat
.Lfunc_end398:
	.size	_ZN7rocprim17ROCPRIM_400000_NS6detail17trampoline_kernelINS0_14default_configENS1_38merge_sort_block_merge_config_selectorIlNS0_10empty_typeEEEZZNS1_27merge_sort_block_merge_implIS3_PlPS5_mZN2at6native12_GLOBAL__N_124unique_dim_cuda_templateIiEESt5tupleIJNSA_6TensorESF_SF_EERKSF_lbbbEUlllE_EE10hipError_tT0_T1_T2_jT3_P12ihipStream_tbPNSt15iterator_traitsISL_E10value_typeEPNSR_ISM_E10value_typeEPSN_NS1_7vsmem_tEENKUlT_SL_SM_SN_E_clIS8_S8_S9_S9_EESK_S10_SL_SM_SN_EUlS10_E_NS1_11comp_targetILNS1_3genE9ELNS1_11target_archE1100ELNS1_3gpuE3ELNS1_3repE0EEENS1_48merge_mergepath_partition_config_static_selectorELNS0_4arch9wavefront6targetE1EEEvSM_, .Lfunc_end398-_ZN7rocprim17ROCPRIM_400000_NS6detail17trampoline_kernelINS0_14default_configENS1_38merge_sort_block_merge_config_selectorIlNS0_10empty_typeEEEZZNS1_27merge_sort_block_merge_implIS3_PlPS5_mZN2at6native12_GLOBAL__N_124unique_dim_cuda_templateIiEESt5tupleIJNSA_6TensorESF_SF_EERKSF_lbbbEUlllE_EE10hipError_tT0_T1_T2_jT3_P12ihipStream_tbPNSt15iterator_traitsISL_E10value_typeEPNSR_ISM_E10value_typeEPSN_NS1_7vsmem_tEENKUlT_SL_SM_SN_E_clIS8_S8_S9_S9_EESK_S10_SL_SM_SN_EUlS10_E_NS1_11comp_targetILNS1_3genE9ELNS1_11target_archE1100ELNS1_3gpuE3ELNS1_3repE0EEENS1_48merge_mergepath_partition_config_static_selectorELNS0_4arch9wavefront6targetE1EEEvSM_
                                        ; -- End function
	.section	.AMDGPU.csdata,"",@progbits
; Kernel info:
; codeLenInByte = 0
; NumSgprs: 4
; NumVgprs: 0
; NumAgprs: 0
; TotalNumVgprs: 0
; ScratchSize: 0
; MemoryBound: 0
; FloatMode: 240
; IeeeMode: 1
; LDSByteSize: 0 bytes/workgroup (compile time only)
; SGPRBlocks: 0
; VGPRBlocks: 0
; NumSGPRsForWavesPerEU: 4
; NumVGPRsForWavesPerEU: 1
; AccumOffset: 4
; Occupancy: 8
; WaveLimiterHint : 0
; COMPUTE_PGM_RSRC2:SCRATCH_EN: 0
; COMPUTE_PGM_RSRC2:USER_SGPR: 6
; COMPUTE_PGM_RSRC2:TRAP_HANDLER: 0
; COMPUTE_PGM_RSRC2:TGID_X_EN: 1
; COMPUTE_PGM_RSRC2:TGID_Y_EN: 0
; COMPUTE_PGM_RSRC2:TGID_Z_EN: 0
; COMPUTE_PGM_RSRC2:TIDIG_COMP_CNT: 0
; COMPUTE_PGM_RSRC3_GFX90A:ACCUM_OFFSET: 0
; COMPUTE_PGM_RSRC3_GFX90A:TG_SPLIT: 0
	.section	.text._ZN7rocprim17ROCPRIM_400000_NS6detail17trampoline_kernelINS0_14default_configENS1_38merge_sort_block_merge_config_selectorIlNS0_10empty_typeEEEZZNS1_27merge_sort_block_merge_implIS3_PlPS5_mZN2at6native12_GLOBAL__N_124unique_dim_cuda_templateIiEESt5tupleIJNSA_6TensorESF_SF_EERKSF_lbbbEUlllE_EE10hipError_tT0_T1_T2_jT3_P12ihipStream_tbPNSt15iterator_traitsISL_E10value_typeEPNSR_ISM_E10value_typeEPSN_NS1_7vsmem_tEENKUlT_SL_SM_SN_E_clIS8_S8_S9_S9_EESK_S10_SL_SM_SN_EUlS10_E_NS1_11comp_targetILNS1_3genE8ELNS1_11target_archE1030ELNS1_3gpuE2ELNS1_3repE0EEENS1_48merge_mergepath_partition_config_static_selectorELNS0_4arch9wavefront6targetE1EEEvSM_,"axG",@progbits,_ZN7rocprim17ROCPRIM_400000_NS6detail17trampoline_kernelINS0_14default_configENS1_38merge_sort_block_merge_config_selectorIlNS0_10empty_typeEEEZZNS1_27merge_sort_block_merge_implIS3_PlPS5_mZN2at6native12_GLOBAL__N_124unique_dim_cuda_templateIiEESt5tupleIJNSA_6TensorESF_SF_EERKSF_lbbbEUlllE_EE10hipError_tT0_T1_T2_jT3_P12ihipStream_tbPNSt15iterator_traitsISL_E10value_typeEPNSR_ISM_E10value_typeEPSN_NS1_7vsmem_tEENKUlT_SL_SM_SN_E_clIS8_S8_S9_S9_EESK_S10_SL_SM_SN_EUlS10_E_NS1_11comp_targetILNS1_3genE8ELNS1_11target_archE1030ELNS1_3gpuE2ELNS1_3repE0EEENS1_48merge_mergepath_partition_config_static_selectorELNS0_4arch9wavefront6targetE1EEEvSM_,comdat
	.globl	_ZN7rocprim17ROCPRIM_400000_NS6detail17trampoline_kernelINS0_14default_configENS1_38merge_sort_block_merge_config_selectorIlNS0_10empty_typeEEEZZNS1_27merge_sort_block_merge_implIS3_PlPS5_mZN2at6native12_GLOBAL__N_124unique_dim_cuda_templateIiEESt5tupleIJNSA_6TensorESF_SF_EERKSF_lbbbEUlllE_EE10hipError_tT0_T1_T2_jT3_P12ihipStream_tbPNSt15iterator_traitsISL_E10value_typeEPNSR_ISM_E10value_typeEPSN_NS1_7vsmem_tEENKUlT_SL_SM_SN_E_clIS8_S8_S9_S9_EESK_S10_SL_SM_SN_EUlS10_E_NS1_11comp_targetILNS1_3genE8ELNS1_11target_archE1030ELNS1_3gpuE2ELNS1_3repE0EEENS1_48merge_mergepath_partition_config_static_selectorELNS0_4arch9wavefront6targetE1EEEvSM_ ; -- Begin function _ZN7rocprim17ROCPRIM_400000_NS6detail17trampoline_kernelINS0_14default_configENS1_38merge_sort_block_merge_config_selectorIlNS0_10empty_typeEEEZZNS1_27merge_sort_block_merge_implIS3_PlPS5_mZN2at6native12_GLOBAL__N_124unique_dim_cuda_templateIiEESt5tupleIJNSA_6TensorESF_SF_EERKSF_lbbbEUlllE_EE10hipError_tT0_T1_T2_jT3_P12ihipStream_tbPNSt15iterator_traitsISL_E10value_typeEPNSR_ISM_E10value_typeEPSN_NS1_7vsmem_tEENKUlT_SL_SM_SN_E_clIS8_S8_S9_S9_EESK_S10_SL_SM_SN_EUlS10_E_NS1_11comp_targetILNS1_3genE8ELNS1_11target_archE1030ELNS1_3gpuE2ELNS1_3repE0EEENS1_48merge_mergepath_partition_config_static_selectorELNS0_4arch9wavefront6targetE1EEEvSM_
	.p2align	8
	.type	_ZN7rocprim17ROCPRIM_400000_NS6detail17trampoline_kernelINS0_14default_configENS1_38merge_sort_block_merge_config_selectorIlNS0_10empty_typeEEEZZNS1_27merge_sort_block_merge_implIS3_PlPS5_mZN2at6native12_GLOBAL__N_124unique_dim_cuda_templateIiEESt5tupleIJNSA_6TensorESF_SF_EERKSF_lbbbEUlllE_EE10hipError_tT0_T1_T2_jT3_P12ihipStream_tbPNSt15iterator_traitsISL_E10value_typeEPNSR_ISM_E10value_typeEPSN_NS1_7vsmem_tEENKUlT_SL_SM_SN_E_clIS8_S8_S9_S9_EESK_S10_SL_SM_SN_EUlS10_E_NS1_11comp_targetILNS1_3genE8ELNS1_11target_archE1030ELNS1_3gpuE2ELNS1_3repE0EEENS1_48merge_mergepath_partition_config_static_selectorELNS0_4arch9wavefront6targetE1EEEvSM_,@function
_ZN7rocprim17ROCPRIM_400000_NS6detail17trampoline_kernelINS0_14default_configENS1_38merge_sort_block_merge_config_selectorIlNS0_10empty_typeEEEZZNS1_27merge_sort_block_merge_implIS3_PlPS5_mZN2at6native12_GLOBAL__N_124unique_dim_cuda_templateIiEESt5tupleIJNSA_6TensorESF_SF_EERKSF_lbbbEUlllE_EE10hipError_tT0_T1_T2_jT3_P12ihipStream_tbPNSt15iterator_traitsISL_E10value_typeEPNSR_ISM_E10value_typeEPSN_NS1_7vsmem_tEENKUlT_SL_SM_SN_E_clIS8_S8_S9_S9_EESK_S10_SL_SM_SN_EUlS10_E_NS1_11comp_targetILNS1_3genE8ELNS1_11target_archE1030ELNS1_3gpuE2ELNS1_3repE0EEENS1_48merge_mergepath_partition_config_static_selectorELNS0_4arch9wavefront6targetE1EEEvSM_: ; @_ZN7rocprim17ROCPRIM_400000_NS6detail17trampoline_kernelINS0_14default_configENS1_38merge_sort_block_merge_config_selectorIlNS0_10empty_typeEEEZZNS1_27merge_sort_block_merge_implIS3_PlPS5_mZN2at6native12_GLOBAL__N_124unique_dim_cuda_templateIiEESt5tupleIJNSA_6TensorESF_SF_EERKSF_lbbbEUlllE_EE10hipError_tT0_T1_T2_jT3_P12ihipStream_tbPNSt15iterator_traitsISL_E10value_typeEPNSR_ISM_E10value_typeEPSN_NS1_7vsmem_tEENKUlT_SL_SM_SN_E_clIS8_S8_S9_S9_EESK_S10_SL_SM_SN_EUlS10_E_NS1_11comp_targetILNS1_3genE8ELNS1_11target_archE1030ELNS1_3gpuE2ELNS1_3repE0EEENS1_48merge_mergepath_partition_config_static_selectorELNS0_4arch9wavefront6targetE1EEEvSM_
; %bb.0:
	.section	.rodata,"a",@progbits
	.p2align	6, 0x0
	.amdhsa_kernel _ZN7rocprim17ROCPRIM_400000_NS6detail17trampoline_kernelINS0_14default_configENS1_38merge_sort_block_merge_config_selectorIlNS0_10empty_typeEEEZZNS1_27merge_sort_block_merge_implIS3_PlPS5_mZN2at6native12_GLOBAL__N_124unique_dim_cuda_templateIiEESt5tupleIJNSA_6TensorESF_SF_EERKSF_lbbbEUlllE_EE10hipError_tT0_T1_T2_jT3_P12ihipStream_tbPNSt15iterator_traitsISL_E10value_typeEPNSR_ISM_E10value_typeEPSN_NS1_7vsmem_tEENKUlT_SL_SM_SN_E_clIS8_S8_S9_S9_EESK_S10_SL_SM_SN_EUlS10_E_NS1_11comp_targetILNS1_3genE8ELNS1_11target_archE1030ELNS1_3gpuE2ELNS1_3repE0EEENS1_48merge_mergepath_partition_config_static_selectorELNS0_4arch9wavefront6targetE1EEEvSM_
		.amdhsa_group_segment_fixed_size 0
		.amdhsa_private_segment_fixed_size 0
		.amdhsa_kernarg_size 56
		.amdhsa_user_sgpr_count 6
		.amdhsa_user_sgpr_private_segment_buffer 1
		.amdhsa_user_sgpr_dispatch_ptr 0
		.amdhsa_user_sgpr_queue_ptr 0
		.amdhsa_user_sgpr_kernarg_segment_ptr 1
		.amdhsa_user_sgpr_dispatch_id 0
		.amdhsa_user_sgpr_flat_scratch_init 0
		.amdhsa_user_sgpr_kernarg_preload_length 0
		.amdhsa_user_sgpr_kernarg_preload_offset 0
		.amdhsa_user_sgpr_private_segment_size 0
		.amdhsa_uses_dynamic_stack 0
		.amdhsa_system_sgpr_private_segment_wavefront_offset 0
		.amdhsa_system_sgpr_workgroup_id_x 1
		.amdhsa_system_sgpr_workgroup_id_y 0
		.amdhsa_system_sgpr_workgroup_id_z 0
		.amdhsa_system_sgpr_workgroup_info 0
		.amdhsa_system_vgpr_workitem_id 0
		.amdhsa_next_free_vgpr 1
		.amdhsa_next_free_sgpr 0
		.amdhsa_accum_offset 4
		.amdhsa_reserve_vcc 0
		.amdhsa_reserve_flat_scratch 0
		.amdhsa_float_round_mode_32 0
		.amdhsa_float_round_mode_16_64 0
		.amdhsa_float_denorm_mode_32 3
		.amdhsa_float_denorm_mode_16_64 3
		.amdhsa_dx10_clamp 1
		.amdhsa_ieee_mode 1
		.amdhsa_fp16_overflow 0
		.amdhsa_tg_split 0
		.amdhsa_exception_fp_ieee_invalid_op 0
		.amdhsa_exception_fp_denorm_src 0
		.amdhsa_exception_fp_ieee_div_zero 0
		.amdhsa_exception_fp_ieee_overflow 0
		.amdhsa_exception_fp_ieee_underflow 0
		.amdhsa_exception_fp_ieee_inexact 0
		.amdhsa_exception_int_div_zero 0
	.end_amdhsa_kernel
	.section	.text._ZN7rocprim17ROCPRIM_400000_NS6detail17trampoline_kernelINS0_14default_configENS1_38merge_sort_block_merge_config_selectorIlNS0_10empty_typeEEEZZNS1_27merge_sort_block_merge_implIS3_PlPS5_mZN2at6native12_GLOBAL__N_124unique_dim_cuda_templateIiEESt5tupleIJNSA_6TensorESF_SF_EERKSF_lbbbEUlllE_EE10hipError_tT0_T1_T2_jT3_P12ihipStream_tbPNSt15iterator_traitsISL_E10value_typeEPNSR_ISM_E10value_typeEPSN_NS1_7vsmem_tEENKUlT_SL_SM_SN_E_clIS8_S8_S9_S9_EESK_S10_SL_SM_SN_EUlS10_E_NS1_11comp_targetILNS1_3genE8ELNS1_11target_archE1030ELNS1_3gpuE2ELNS1_3repE0EEENS1_48merge_mergepath_partition_config_static_selectorELNS0_4arch9wavefront6targetE1EEEvSM_,"axG",@progbits,_ZN7rocprim17ROCPRIM_400000_NS6detail17trampoline_kernelINS0_14default_configENS1_38merge_sort_block_merge_config_selectorIlNS0_10empty_typeEEEZZNS1_27merge_sort_block_merge_implIS3_PlPS5_mZN2at6native12_GLOBAL__N_124unique_dim_cuda_templateIiEESt5tupleIJNSA_6TensorESF_SF_EERKSF_lbbbEUlllE_EE10hipError_tT0_T1_T2_jT3_P12ihipStream_tbPNSt15iterator_traitsISL_E10value_typeEPNSR_ISM_E10value_typeEPSN_NS1_7vsmem_tEENKUlT_SL_SM_SN_E_clIS8_S8_S9_S9_EESK_S10_SL_SM_SN_EUlS10_E_NS1_11comp_targetILNS1_3genE8ELNS1_11target_archE1030ELNS1_3gpuE2ELNS1_3repE0EEENS1_48merge_mergepath_partition_config_static_selectorELNS0_4arch9wavefront6targetE1EEEvSM_,comdat
.Lfunc_end399:
	.size	_ZN7rocprim17ROCPRIM_400000_NS6detail17trampoline_kernelINS0_14default_configENS1_38merge_sort_block_merge_config_selectorIlNS0_10empty_typeEEEZZNS1_27merge_sort_block_merge_implIS3_PlPS5_mZN2at6native12_GLOBAL__N_124unique_dim_cuda_templateIiEESt5tupleIJNSA_6TensorESF_SF_EERKSF_lbbbEUlllE_EE10hipError_tT0_T1_T2_jT3_P12ihipStream_tbPNSt15iterator_traitsISL_E10value_typeEPNSR_ISM_E10value_typeEPSN_NS1_7vsmem_tEENKUlT_SL_SM_SN_E_clIS8_S8_S9_S9_EESK_S10_SL_SM_SN_EUlS10_E_NS1_11comp_targetILNS1_3genE8ELNS1_11target_archE1030ELNS1_3gpuE2ELNS1_3repE0EEENS1_48merge_mergepath_partition_config_static_selectorELNS0_4arch9wavefront6targetE1EEEvSM_, .Lfunc_end399-_ZN7rocprim17ROCPRIM_400000_NS6detail17trampoline_kernelINS0_14default_configENS1_38merge_sort_block_merge_config_selectorIlNS0_10empty_typeEEEZZNS1_27merge_sort_block_merge_implIS3_PlPS5_mZN2at6native12_GLOBAL__N_124unique_dim_cuda_templateIiEESt5tupleIJNSA_6TensorESF_SF_EERKSF_lbbbEUlllE_EE10hipError_tT0_T1_T2_jT3_P12ihipStream_tbPNSt15iterator_traitsISL_E10value_typeEPNSR_ISM_E10value_typeEPSN_NS1_7vsmem_tEENKUlT_SL_SM_SN_E_clIS8_S8_S9_S9_EESK_S10_SL_SM_SN_EUlS10_E_NS1_11comp_targetILNS1_3genE8ELNS1_11target_archE1030ELNS1_3gpuE2ELNS1_3repE0EEENS1_48merge_mergepath_partition_config_static_selectorELNS0_4arch9wavefront6targetE1EEEvSM_
                                        ; -- End function
	.section	.AMDGPU.csdata,"",@progbits
; Kernel info:
; codeLenInByte = 0
; NumSgprs: 4
; NumVgprs: 0
; NumAgprs: 0
; TotalNumVgprs: 0
; ScratchSize: 0
; MemoryBound: 0
; FloatMode: 240
; IeeeMode: 1
; LDSByteSize: 0 bytes/workgroup (compile time only)
; SGPRBlocks: 0
; VGPRBlocks: 0
; NumSGPRsForWavesPerEU: 4
; NumVGPRsForWavesPerEU: 1
; AccumOffset: 4
; Occupancy: 8
; WaveLimiterHint : 0
; COMPUTE_PGM_RSRC2:SCRATCH_EN: 0
; COMPUTE_PGM_RSRC2:USER_SGPR: 6
; COMPUTE_PGM_RSRC2:TRAP_HANDLER: 0
; COMPUTE_PGM_RSRC2:TGID_X_EN: 1
; COMPUTE_PGM_RSRC2:TGID_Y_EN: 0
; COMPUTE_PGM_RSRC2:TGID_Z_EN: 0
; COMPUTE_PGM_RSRC2:TIDIG_COMP_CNT: 0
; COMPUTE_PGM_RSRC3_GFX90A:ACCUM_OFFSET: 0
; COMPUTE_PGM_RSRC3_GFX90A:TG_SPLIT: 0
	.section	.text._ZN7rocprim17ROCPRIM_400000_NS6detail17trampoline_kernelINS0_14default_configENS1_38merge_sort_block_merge_config_selectorIlNS0_10empty_typeEEEZZNS1_27merge_sort_block_merge_implIS3_PlPS5_mZN2at6native12_GLOBAL__N_124unique_dim_cuda_templateIiEESt5tupleIJNSA_6TensorESF_SF_EERKSF_lbbbEUlllE_EE10hipError_tT0_T1_T2_jT3_P12ihipStream_tbPNSt15iterator_traitsISL_E10value_typeEPNSR_ISM_E10value_typeEPSN_NS1_7vsmem_tEENKUlT_SL_SM_SN_E_clIS8_S8_S9_S9_EESK_S10_SL_SM_SN_EUlS10_E0_NS1_11comp_targetILNS1_3genE0ELNS1_11target_archE4294967295ELNS1_3gpuE0ELNS1_3repE0EEENS1_38merge_mergepath_config_static_selectorELNS0_4arch9wavefront6targetE1EEEvSM_,"axG",@progbits,_ZN7rocprim17ROCPRIM_400000_NS6detail17trampoline_kernelINS0_14default_configENS1_38merge_sort_block_merge_config_selectorIlNS0_10empty_typeEEEZZNS1_27merge_sort_block_merge_implIS3_PlPS5_mZN2at6native12_GLOBAL__N_124unique_dim_cuda_templateIiEESt5tupleIJNSA_6TensorESF_SF_EERKSF_lbbbEUlllE_EE10hipError_tT0_T1_T2_jT3_P12ihipStream_tbPNSt15iterator_traitsISL_E10value_typeEPNSR_ISM_E10value_typeEPSN_NS1_7vsmem_tEENKUlT_SL_SM_SN_E_clIS8_S8_S9_S9_EESK_S10_SL_SM_SN_EUlS10_E0_NS1_11comp_targetILNS1_3genE0ELNS1_11target_archE4294967295ELNS1_3gpuE0ELNS1_3repE0EEENS1_38merge_mergepath_config_static_selectorELNS0_4arch9wavefront6targetE1EEEvSM_,comdat
	.globl	_ZN7rocprim17ROCPRIM_400000_NS6detail17trampoline_kernelINS0_14default_configENS1_38merge_sort_block_merge_config_selectorIlNS0_10empty_typeEEEZZNS1_27merge_sort_block_merge_implIS3_PlPS5_mZN2at6native12_GLOBAL__N_124unique_dim_cuda_templateIiEESt5tupleIJNSA_6TensorESF_SF_EERKSF_lbbbEUlllE_EE10hipError_tT0_T1_T2_jT3_P12ihipStream_tbPNSt15iterator_traitsISL_E10value_typeEPNSR_ISM_E10value_typeEPSN_NS1_7vsmem_tEENKUlT_SL_SM_SN_E_clIS8_S8_S9_S9_EESK_S10_SL_SM_SN_EUlS10_E0_NS1_11comp_targetILNS1_3genE0ELNS1_11target_archE4294967295ELNS1_3gpuE0ELNS1_3repE0EEENS1_38merge_mergepath_config_static_selectorELNS0_4arch9wavefront6targetE1EEEvSM_ ; -- Begin function _ZN7rocprim17ROCPRIM_400000_NS6detail17trampoline_kernelINS0_14default_configENS1_38merge_sort_block_merge_config_selectorIlNS0_10empty_typeEEEZZNS1_27merge_sort_block_merge_implIS3_PlPS5_mZN2at6native12_GLOBAL__N_124unique_dim_cuda_templateIiEESt5tupleIJNSA_6TensorESF_SF_EERKSF_lbbbEUlllE_EE10hipError_tT0_T1_T2_jT3_P12ihipStream_tbPNSt15iterator_traitsISL_E10value_typeEPNSR_ISM_E10value_typeEPSN_NS1_7vsmem_tEENKUlT_SL_SM_SN_E_clIS8_S8_S9_S9_EESK_S10_SL_SM_SN_EUlS10_E0_NS1_11comp_targetILNS1_3genE0ELNS1_11target_archE4294967295ELNS1_3gpuE0ELNS1_3repE0EEENS1_38merge_mergepath_config_static_selectorELNS0_4arch9wavefront6targetE1EEEvSM_
	.p2align	8
	.type	_ZN7rocprim17ROCPRIM_400000_NS6detail17trampoline_kernelINS0_14default_configENS1_38merge_sort_block_merge_config_selectorIlNS0_10empty_typeEEEZZNS1_27merge_sort_block_merge_implIS3_PlPS5_mZN2at6native12_GLOBAL__N_124unique_dim_cuda_templateIiEESt5tupleIJNSA_6TensorESF_SF_EERKSF_lbbbEUlllE_EE10hipError_tT0_T1_T2_jT3_P12ihipStream_tbPNSt15iterator_traitsISL_E10value_typeEPNSR_ISM_E10value_typeEPSN_NS1_7vsmem_tEENKUlT_SL_SM_SN_E_clIS8_S8_S9_S9_EESK_S10_SL_SM_SN_EUlS10_E0_NS1_11comp_targetILNS1_3genE0ELNS1_11target_archE4294967295ELNS1_3gpuE0ELNS1_3repE0EEENS1_38merge_mergepath_config_static_selectorELNS0_4arch9wavefront6targetE1EEEvSM_,@function
_ZN7rocprim17ROCPRIM_400000_NS6detail17trampoline_kernelINS0_14default_configENS1_38merge_sort_block_merge_config_selectorIlNS0_10empty_typeEEEZZNS1_27merge_sort_block_merge_implIS3_PlPS5_mZN2at6native12_GLOBAL__N_124unique_dim_cuda_templateIiEESt5tupleIJNSA_6TensorESF_SF_EERKSF_lbbbEUlllE_EE10hipError_tT0_T1_T2_jT3_P12ihipStream_tbPNSt15iterator_traitsISL_E10value_typeEPNSR_ISM_E10value_typeEPSN_NS1_7vsmem_tEENKUlT_SL_SM_SN_E_clIS8_S8_S9_S9_EESK_S10_SL_SM_SN_EUlS10_E0_NS1_11comp_targetILNS1_3genE0ELNS1_11target_archE4294967295ELNS1_3gpuE0ELNS1_3repE0EEENS1_38merge_mergepath_config_static_selectorELNS0_4arch9wavefront6targetE1EEEvSM_: ; @_ZN7rocprim17ROCPRIM_400000_NS6detail17trampoline_kernelINS0_14default_configENS1_38merge_sort_block_merge_config_selectorIlNS0_10empty_typeEEEZZNS1_27merge_sort_block_merge_implIS3_PlPS5_mZN2at6native12_GLOBAL__N_124unique_dim_cuda_templateIiEESt5tupleIJNSA_6TensorESF_SF_EERKSF_lbbbEUlllE_EE10hipError_tT0_T1_T2_jT3_P12ihipStream_tbPNSt15iterator_traitsISL_E10value_typeEPNSR_ISM_E10value_typeEPSN_NS1_7vsmem_tEENKUlT_SL_SM_SN_E_clIS8_S8_S9_S9_EESK_S10_SL_SM_SN_EUlS10_E0_NS1_11comp_targetILNS1_3genE0ELNS1_11target_archE4294967295ELNS1_3gpuE0ELNS1_3repE0EEENS1_38merge_mergepath_config_static_selectorELNS0_4arch9wavefront6targetE1EEEvSM_
; %bb.0:
	.section	.rodata,"a",@progbits
	.p2align	6, 0x0
	.amdhsa_kernel _ZN7rocprim17ROCPRIM_400000_NS6detail17trampoline_kernelINS0_14default_configENS1_38merge_sort_block_merge_config_selectorIlNS0_10empty_typeEEEZZNS1_27merge_sort_block_merge_implIS3_PlPS5_mZN2at6native12_GLOBAL__N_124unique_dim_cuda_templateIiEESt5tupleIJNSA_6TensorESF_SF_EERKSF_lbbbEUlllE_EE10hipError_tT0_T1_T2_jT3_P12ihipStream_tbPNSt15iterator_traitsISL_E10value_typeEPNSR_ISM_E10value_typeEPSN_NS1_7vsmem_tEENKUlT_SL_SM_SN_E_clIS8_S8_S9_S9_EESK_S10_SL_SM_SN_EUlS10_E0_NS1_11comp_targetILNS1_3genE0ELNS1_11target_archE4294967295ELNS1_3gpuE0ELNS1_3repE0EEENS1_38merge_mergepath_config_static_selectorELNS0_4arch9wavefront6targetE1EEEvSM_
		.amdhsa_group_segment_fixed_size 0
		.amdhsa_private_segment_fixed_size 0
		.amdhsa_kernarg_size 88
		.amdhsa_user_sgpr_count 6
		.amdhsa_user_sgpr_private_segment_buffer 1
		.amdhsa_user_sgpr_dispatch_ptr 0
		.amdhsa_user_sgpr_queue_ptr 0
		.amdhsa_user_sgpr_kernarg_segment_ptr 1
		.amdhsa_user_sgpr_dispatch_id 0
		.amdhsa_user_sgpr_flat_scratch_init 0
		.amdhsa_user_sgpr_kernarg_preload_length 0
		.amdhsa_user_sgpr_kernarg_preload_offset 0
		.amdhsa_user_sgpr_private_segment_size 0
		.amdhsa_uses_dynamic_stack 0
		.amdhsa_system_sgpr_private_segment_wavefront_offset 0
		.amdhsa_system_sgpr_workgroup_id_x 1
		.amdhsa_system_sgpr_workgroup_id_y 0
		.amdhsa_system_sgpr_workgroup_id_z 0
		.amdhsa_system_sgpr_workgroup_info 0
		.amdhsa_system_vgpr_workitem_id 0
		.amdhsa_next_free_vgpr 1
		.amdhsa_next_free_sgpr 0
		.amdhsa_accum_offset 4
		.amdhsa_reserve_vcc 0
		.amdhsa_reserve_flat_scratch 0
		.amdhsa_float_round_mode_32 0
		.amdhsa_float_round_mode_16_64 0
		.amdhsa_float_denorm_mode_32 3
		.amdhsa_float_denorm_mode_16_64 3
		.amdhsa_dx10_clamp 1
		.amdhsa_ieee_mode 1
		.amdhsa_fp16_overflow 0
		.amdhsa_tg_split 0
		.amdhsa_exception_fp_ieee_invalid_op 0
		.amdhsa_exception_fp_denorm_src 0
		.amdhsa_exception_fp_ieee_div_zero 0
		.amdhsa_exception_fp_ieee_overflow 0
		.amdhsa_exception_fp_ieee_underflow 0
		.amdhsa_exception_fp_ieee_inexact 0
		.amdhsa_exception_int_div_zero 0
	.end_amdhsa_kernel
	.section	.text._ZN7rocprim17ROCPRIM_400000_NS6detail17trampoline_kernelINS0_14default_configENS1_38merge_sort_block_merge_config_selectorIlNS0_10empty_typeEEEZZNS1_27merge_sort_block_merge_implIS3_PlPS5_mZN2at6native12_GLOBAL__N_124unique_dim_cuda_templateIiEESt5tupleIJNSA_6TensorESF_SF_EERKSF_lbbbEUlllE_EE10hipError_tT0_T1_T2_jT3_P12ihipStream_tbPNSt15iterator_traitsISL_E10value_typeEPNSR_ISM_E10value_typeEPSN_NS1_7vsmem_tEENKUlT_SL_SM_SN_E_clIS8_S8_S9_S9_EESK_S10_SL_SM_SN_EUlS10_E0_NS1_11comp_targetILNS1_3genE0ELNS1_11target_archE4294967295ELNS1_3gpuE0ELNS1_3repE0EEENS1_38merge_mergepath_config_static_selectorELNS0_4arch9wavefront6targetE1EEEvSM_,"axG",@progbits,_ZN7rocprim17ROCPRIM_400000_NS6detail17trampoline_kernelINS0_14default_configENS1_38merge_sort_block_merge_config_selectorIlNS0_10empty_typeEEEZZNS1_27merge_sort_block_merge_implIS3_PlPS5_mZN2at6native12_GLOBAL__N_124unique_dim_cuda_templateIiEESt5tupleIJNSA_6TensorESF_SF_EERKSF_lbbbEUlllE_EE10hipError_tT0_T1_T2_jT3_P12ihipStream_tbPNSt15iterator_traitsISL_E10value_typeEPNSR_ISM_E10value_typeEPSN_NS1_7vsmem_tEENKUlT_SL_SM_SN_E_clIS8_S8_S9_S9_EESK_S10_SL_SM_SN_EUlS10_E0_NS1_11comp_targetILNS1_3genE0ELNS1_11target_archE4294967295ELNS1_3gpuE0ELNS1_3repE0EEENS1_38merge_mergepath_config_static_selectorELNS0_4arch9wavefront6targetE1EEEvSM_,comdat
.Lfunc_end400:
	.size	_ZN7rocprim17ROCPRIM_400000_NS6detail17trampoline_kernelINS0_14default_configENS1_38merge_sort_block_merge_config_selectorIlNS0_10empty_typeEEEZZNS1_27merge_sort_block_merge_implIS3_PlPS5_mZN2at6native12_GLOBAL__N_124unique_dim_cuda_templateIiEESt5tupleIJNSA_6TensorESF_SF_EERKSF_lbbbEUlllE_EE10hipError_tT0_T1_T2_jT3_P12ihipStream_tbPNSt15iterator_traitsISL_E10value_typeEPNSR_ISM_E10value_typeEPSN_NS1_7vsmem_tEENKUlT_SL_SM_SN_E_clIS8_S8_S9_S9_EESK_S10_SL_SM_SN_EUlS10_E0_NS1_11comp_targetILNS1_3genE0ELNS1_11target_archE4294967295ELNS1_3gpuE0ELNS1_3repE0EEENS1_38merge_mergepath_config_static_selectorELNS0_4arch9wavefront6targetE1EEEvSM_, .Lfunc_end400-_ZN7rocprim17ROCPRIM_400000_NS6detail17trampoline_kernelINS0_14default_configENS1_38merge_sort_block_merge_config_selectorIlNS0_10empty_typeEEEZZNS1_27merge_sort_block_merge_implIS3_PlPS5_mZN2at6native12_GLOBAL__N_124unique_dim_cuda_templateIiEESt5tupleIJNSA_6TensorESF_SF_EERKSF_lbbbEUlllE_EE10hipError_tT0_T1_T2_jT3_P12ihipStream_tbPNSt15iterator_traitsISL_E10value_typeEPNSR_ISM_E10value_typeEPSN_NS1_7vsmem_tEENKUlT_SL_SM_SN_E_clIS8_S8_S9_S9_EESK_S10_SL_SM_SN_EUlS10_E0_NS1_11comp_targetILNS1_3genE0ELNS1_11target_archE4294967295ELNS1_3gpuE0ELNS1_3repE0EEENS1_38merge_mergepath_config_static_selectorELNS0_4arch9wavefront6targetE1EEEvSM_
                                        ; -- End function
	.section	.AMDGPU.csdata,"",@progbits
; Kernel info:
; codeLenInByte = 0
; NumSgprs: 4
; NumVgprs: 0
; NumAgprs: 0
; TotalNumVgprs: 0
; ScratchSize: 0
; MemoryBound: 0
; FloatMode: 240
; IeeeMode: 1
; LDSByteSize: 0 bytes/workgroup (compile time only)
; SGPRBlocks: 0
; VGPRBlocks: 0
; NumSGPRsForWavesPerEU: 4
; NumVGPRsForWavesPerEU: 1
; AccumOffset: 4
; Occupancy: 8
; WaveLimiterHint : 0
; COMPUTE_PGM_RSRC2:SCRATCH_EN: 0
; COMPUTE_PGM_RSRC2:USER_SGPR: 6
; COMPUTE_PGM_RSRC2:TRAP_HANDLER: 0
; COMPUTE_PGM_RSRC2:TGID_X_EN: 1
; COMPUTE_PGM_RSRC2:TGID_Y_EN: 0
; COMPUTE_PGM_RSRC2:TGID_Z_EN: 0
; COMPUTE_PGM_RSRC2:TIDIG_COMP_CNT: 0
; COMPUTE_PGM_RSRC3_GFX90A:ACCUM_OFFSET: 0
; COMPUTE_PGM_RSRC3_GFX90A:TG_SPLIT: 0
	.section	.text._ZN7rocprim17ROCPRIM_400000_NS6detail17trampoline_kernelINS0_14default_configENS1_38merge_sort_block_merge_config_selectorIlNS0_10empty_typeEEEZZNS1_27merge_sort_block_merge_implIS3_PlPS5_mZN2at6native12_GLOBAL__N_124unique_dim_cuda_templateIiEESt5tupleIJNSA_6TensorESF_SF_EERKSF_lbbbEUlllE_EE10hipError_tT0_T1_T2_jT3_P12ihipStream_tbPNSt15iterator_traitsISL_E10value_typeEPNSR_ISM_E10value_typeEPSN_NS1_7vsmem_tEENKUlT_SL_SM_SN_E_clIS8_S8_S9_S9_EESK_S10_SL_SM_SN_EUlS10_E0_NS1_11comp_targetILNS1_3genE10ELNS1_11target_archE1201ELNS1_3gpuE5ELNS1_3repE0EEENS1_38merge_mergepath_config_static_selectorELNS0_4arch9wavefront6targetE1EEEvSM_,"axG",@progbits,_ZN7rocprim17ROCPRIM_400000_NS6detail17trampoline_kernelINS0_14default_configENS1_38merge_sort_block_merge_config_selectorIlNS0_10empty_typeEEEZZNS1_27merge_sort_block_merge_implIS3_PlPS5_mZN2at6native12_GLOBAL__N_124unique_dim_cuda_templateIiEESt5tupleIJNSA_6TensorESF_SF_EERKSF_lbbbEUlllE_EE10hipError_tT0_T1_T2_jT3_P12ihipStream_tbPNSt15iterator_traitsISL_E10value_typeEPNSR_ISM_E10value_typeEPSN_NS1_7vsmem_tEENKUlT_SL_SM_SN_E_clIS8_S8_S9_S9_EESK_S10_SL_SM_SN_EUlS10_E0_NS1_11comp_targetILNS1_3genE10ELNS1_11target_archE1201ELNS1_3gpuE5ELNS1_3repE0EEENS1_38merge_mergepath_config_static_selectorELNS0_4arch9wavefront6targetE1EEEvSM_,comdat
	.globl	_ZN7rocprim17ROCPRIM_400000_NS6detail17trampoline_kernelINS0_14default_configENS1_38merge_sort_block_merge_config_selectorIlNS0_10empty_typeEEEZZNS1_27merge_sort_block_merge_implIS3_PlPS5_mZN2at6native12_GLOBAL__N_124unique_dim_cuda_templateIiEESt5tupleIJNSA_6TensorESF_SF_EERKSF_lbbbEUlllE_EE10hipError_tT0_T1_T2_jT3_P12ihipStream_tbPNSt15iterator_traitsISL_E10value_typeEPNSR_ISM_E10value_typeEPSN_NS1_7vsmem_tEENKUlT_SL_SM_SN_E_clIS8_S8_S9_S9_EESK_S10_SL_SM_SN_EUlS10_E0_NS1_11comp_targetILNS1_3genE10ELNS1_11target_archE1201ELNS1_3gpuE5ELNS1_3repE0EEENS1_38merge_mergepath_config_static_selectorELNS0_4arch9wavefront6targetE1EEEvSM_ ; -- Begin function _ZN7rocprim17ROCPRIM_400000_NS6detail17trampoline_kernelINS0_14default_configENS1_38merge_sort_block_merge_config_selectorIlNS0_10empty_typeEEEZZNS1_27merge_sort_block_merge_implIS3_PlPS5_mZN2at6native12_GLOBAL__N_124unique_dim_cuda_templateIiEESt5tupleIJNSA_6TensorESF_SF_EERKSF_lbbbEUlllE_EE10hipError_tT0_T1_T2_jT3_P12ihipStream_tbPNSt15iterator_traitsISL_E10value_typeEPNSR_ISM_E10value_typeEPSN_NS1_7vsmem_tEENKUlT_SL_SM_SN_E_clIS8_S8_S9_S9_EESK_S10_SL_SM_SN_EUlS10_E0_NS1_11comp_targetILNS1_3genE10ELNS1_11target_archE1201ELNS1_3gpuE5ELNS1_3repE0EEENS1_38merge_mergepath_config_static_selectorELNS0_4arch9wavefront6targetE1EEEvSM_
	.p2align	8
	.type	_ZN7rocprim17ROCPRIM_400000_NS6detail17trampoline_kernelINS0_14default_configENS1_38merge_sort_block_merge_config_selectorIlNS0_10empty_typeEEEZZNS1_27merge_sort_block_merge_implIS3_PlPS5_mZN2at6native12_GLOBAL__N_124unique_dim_cuda_templateIiEESt5tupleIJNSA_6TensorESF_SF_EERKSF_lbbbEUlllE_EE10hipError_tT0_T1_T2_jT3_P12ihipStream_tbPNSt15iterator_traitsISL_E10value_typeEPNSR_ISM_E10value_typeEPSN_NS1_7vsmem_tEENKUlT_SL_SM_SN_E_clIS8_S8_S9_S9_EESK_S10_SL_SM_SN_EUlS10_E0_NS1_11comp_targetILNS1_3genE10ELNS1_11target_archE1201ELNS1_3gpuE5ELNS1_3repE0EEENS1_38merge_mergepath_config_static_selectorELNS0_4arch9wavefront6targetE1EEEvSM_,@function
_ZN7rocprim17ROCPRIM_400000_NS6detail17trampoline_kernelINS0_14default_configENS1_38merge_sort_block_merge_config_selectorIlNS0_10empty_typeEEEZZNS1_27merge_sort_block_merge_implIS3_PlPS5_mZN2at6native12_GLOBAL__N_124unique_dim_cuda_templateIiEESt5tupleIJNSA_6TensorESF_SF_EERKSF_lbbbEUlllE_EE10hipError_tT0_T1_T2_jT3_P12ihipStream_tbPNSt15iterator_traitsISL_E10value_typeEPNSR_ISM_E10value_typeEPSN_NS1_7vsmem_tEENKUlT_SL_SM_SN_E_clIS8_S8_S9_S9_EESK_S10_SL_SM_SN_EUlS10_E0_NS1_11comp_targetILNS1_3genE10ELNS1_11target_archE1201ELNS1_3gpuE5ELNS1_3repE0EEENS1_38merge_mergepath_config_static_selectorELNS0_4arch9wavefront6targetE1EEEvSM_: ; @_ZN7rocprim17ROCPRIM_400000_NS6detail17trampoline_kernelINS0_14default_configENS1_38merge_sort_block_merge_config_selectorIlNS0_10empty_typeEEEZZNS1_27merge_sort_block_merge_implIS3_PlPS5_mZN2at6native12_GLOBAL__N_124unique_dim_cuda_templateIiEESt5tupleIJNSA_6TensorESF_SF_EERKSF_lbbbEUlllE_EE10hipError_tT0_T1_T2_jT3_P12ihipStream_tbPNSt15iterator_traitsISL_E10value_typeEPNSR_ISM_E10value_typeEPSN_NS1_7vsmem_tEENKUlT_SL_SM_SN_E_clIS8_S8_S9_S9_EESK_S10_SL_SM_SN_EUlS10_E0_NS1_11comp_targetILNS1_3genE10ELNS1_11target_archE1201ELNS1_3gpuE5ELNS1_3repE0EEENS1_38merge_mergepath_config_static_selectorELNS0_4arch9wavefront6targetE1EEEvSM_
; %bb.0:
	.section	.rodata,"a",@progbits
	.p2align	6, 0x0
	.amdhsa_kernel _ZN7rocprim17ROCPRIM_400000_NS6detail17trampoline_kernelINS0_14default_configENS1_38merge_sort_block_merge_config_selectorIlNS0_10empty_typeEEEZZNS1_27merge_sort_block_merge_implIS3_PlPS5_mZN2at6native12_GLOBAL__N_124unique_dim_cuda_templateIiEESt5tupleIJNSA_6TensorESF_SF_EERKSF_lbbbEUlllE_EE10hipError_tT0_T1_T2_jT3_P12ihipStream_tbPNSt15iterator_traitsISL_E10value_typeEPNSR_ISM_E10value_typeEPSN_NS1_7vsmem_tEENKUlT_SL_SM_SN_E_clIS8_S8_S9_S9_EESK_S10_SL_SM_SN_EUlS10_E0_NS1_11comp_targetILNS1_3genE10ELNS1_11target_archE1201ELNS1_3gpuE5ELNS1_3repE0EEENS1_38merge_mergepath_config_static_selectorELNS0_4arch9wavefront6targetE1EEEvSM_
		.amdhsa_group_segment_fixed_size 0
		.amdhsa_private_segment_fixed_size 0
		.amdhsa_kernarg_size 88
		.amdhsa_user_sgpr_count 6
		.amdhsa_user_sgpr_private_segment_buffer 1
		.amdhsa_user_sgpr_dispatch_ptr 0
		.amdhsa_user_sgpr_queue_ptr 0
		.amdhsa_user_sgpr_kernarg_segment_ptr 1
		.amdhsa_user_sgpr_dispatch_id 0
		.amdhsa_user_sgpr_flat_scratch_init 0
		.amdhsa_user_sgpr_kernarg_preload_length 0
		.amdhsa_user_sgpr_kernarg_preload_offset 0
		.amdhsa_user_sgpr_private_segment_size 0
		.amdhsa_uses_dynamic_stack 0
		.amdhsa_system_sgpr_private_segment_wavefront_offset 0
		.amdhsa_system_sgpr_workgroup_id_x 1
		.amdhsa_system_sgpr_workgroup_id_y 0
		.amdhsa_system_sgpr_workgroup_id_z 0
		.amdhsa_system_sgpr_workgroup_info 0
		.amdhsa_system_vgpr_workitem_id 0
		.amdhsa_next_free_vgpr 1
		.amdhsa_next_free_sgpr 0
		.amdhsa_accum_offset 4
		.amdhsa_reserve_vcc 0
		.amdhsa_reserve_flat_scratch 0
		.amdhsa_float_round_mode_32 0
		.amdhsa_float_round_mode_16_64 0
		.amdhsa_float_denorm_mode_32 3
		.amdhsa_float_denorm_mode_16_64 3
		.amdhsa_dx10_clamp 1
		.amdhsa_ieee_mode 1
		.amdhsa_fp16_overflow 0
		.amdhsa_tg_split 0
		.amdhsa_exception_fp_ieee_invalid_op 0
		.amdhsa_exception_fp_denorm_src 0
		.amdhsa_exception_fp_ieee_div_zero 0
		.amdhsa_exception_fp_ieee_overflow 0
		.amdhsa_exception_fp_ieee_underflow 0
		.amdhsa_exception_fp_ieee_inexact 0
		.amdhsa_exception_int_div_zero 0
	.end_amdhsa_kernel
	.section	.text._ZN7rocprim17ROCPRIM_400000_NS6detail17trampoline_kernelINS0_14default_configENS1_38merge_sort_block_merge_config_selectorIlNS0_10empty_typeEEEZZNS1_27merge_sort_block_merge_implIS3_PlPS5_mZN2at6native12_GLOBAL__N_124unique_dim_cuda_templateIiEESt5tupleIJNSA_6TensorESF_SF_EERKSF_lbbbEUlllE_EE10hipError_tT0_T1_T2_jT3_P12ihipStream_tbPNSt15iterator_traitsISL_E10value_typeEPNSR_ISM_E10value_typeEPSN_NS1_7vsmem_tEENKUlT_SL_SM_SN_E_clIS8_S8_S9_S9_EESK_S10_SL_SM_SN_EUlS10_E0_NS1_11comp_targetILNS1_3genE10ELNS1_11target_archE1201ELNS1_3gpuE5ELNS1_3repE0EEENS1_38merge_mergepath_config_static_selectorELNS0_4arch9wavefront6targetE1EEEvSM_,"axG",@progbits,_ZN7rocprim17ROCPRIM_400000_NS6detail17trampoline_kernelINS0_14default_configENS1_38merge_sort_block_merge_config_selectorIlNS0_10empty_typeEEEZZNS1_27merge_sort_block_merge_implIS3_PlPS5_mZN2at6native12_GLOBAL__N_124unique_dim_cuda_templateIiEESt5tupleIJNSA_6TensorESF_SF_EERKSF_lbbbEUlllE_EE10hipError_tT0_T1_T2_jT3_P12ihipStream_tbPNSt15iterator_traitsISL_E10value_typeEPNSR_ISM_E10value_typeEPSN_NS1_7vsmem_tEENKUlT_SL_SM_SN_E_clIS8_S8_S9_S9_EESK_S10_SL_SM_SN_EUlS10_E0_NS1_11comp_targetILNS1_3genE10ELNS1_11target_archE1201ELNS1_3gpuE5ELNS1_3repE0EEENS1_38merge_mergepath_config_static_selectorELNS0_4arch9wavefront6targetE1EEEvSM_,comdat
.Lfunc_end401:
	.size	_ZN7rocprim17ROCPRIM_400000_NS6detail17trampoline_kernelINS0_14default_configENS1_38merge_sort_block_merge_config_selectorIlNS0_10empty_typeEEEZZNS1_27merge_sort_block_merge_implIS3_PlPS5_mZN2at6native12_GLOBAL__N_124unique_dim_cuda_templateIiEESt5tupleIJNSA_6TensorESF_SF_EERKSF_lbbbEUlllE_EE10hipError_tT0_T1_T2_jT3_P12ihipStream_tbPNSt15iterator_traitsISL_E10value_typeEPNSR_ISM_E10value_typeEPSN_NS1_7vsmem_tEENKUlT_SL_SM_SN_E_clIS8_S8_S9_S9_EESK_S10_SL_SM_SN_EUlS10_E0_NS1_11comp_targetILNS1_3genE10ELNS1_11target_archE1201ELNS1_3gpuE5ELNS1_3repE0EEENS1_38merge_mergepath_config_static_selectorELNS0_4arch9wavefront6targetE1EEEvSM_, .Lfunc_end401-_ZN7rocprim17ROCPRIM_400000_NS6detail17trampoline_kernelINS0_14default_configENS1_38merge_sort_block_merge_config_selectorIlNS0_10empty_typeEEEZZNS1_27merge_sort_block_merge_implIS3_PlPS5_mZN2at6native12_GLOBAL__N_124unique_dim_cuda_templateIiEESt5tupleIJNSA_6TensorESF_SF_EERKSF_lbbbEUlllE_EE10hipError_tT0_T1_T2_jT3_P12ihipStream_tbPNSt15iterator_traitsISL_E10value_typeEPNSR_ISM_E10value_typeEPSN_NS1_7vsmem_tEENKUlT_SL_SM_SN_E_clIS8_S8_S9_S9_EESK_S10_SL_SM_SN_EUlS10_E0_NS1_11comp_targetILNS1_3genE10ELNS1_11target_archE1201ELNS1_3gpuE5ELNS1_3repE0EEENS1_38merge_mergepath_config_static_selectorELNS0_4arch9wavefront6targetE1EEEvSM_
                                        ; -- End function
	.section	.AMDGPU.csdata,"",@progbits
; Kernel info:
; codeLenInByte = 0
; NumSgprs: 4
; NumVgprs: 0
; NumAgprs: 0
; TotalNumVgprs: 0
; ScratchSize: 0
; MemoryBound: 0
; FloatMode: 240
; IeeeMode: 1
; LDSByteSize: 0 bytes/workgroup (compile time only)
; SGPRBlocks: 0
; VGPRBlocks: 0
; NumSGPRsForWavesPerEU: 4
; NumVGPRsForWavesPerEU: 1
; AccumOffset: 4
; Occupancy: 8
; WaveLimiterHint : 0
; COMPUTE_PGM_RSRC2:SCRATCH_EN: 0
; COMPUTE_PGM_RSRC2:USER_SGPR: 6
; COMPUTE_PGM_RSRC2:TRAP_HANDLER: 0
; COMPUTE_PGM_RSRC2:TGID_X_EN: 1
; COMPUTE_PGM_RSRC2:TGID_Y_EN: 0
; COMPUTE_PGM_RSRC2:TGID_Z_EN: 0
; COMPUTE_PGM_RSRC2:TIDIG_COMP_CNT: 0
; COMPUTE_PGM_RSRC3_GFX90A:ACCUM_OFFSET: 0
; COMPUTE_PGM_RSRC3_GFX90A:TG_SPLIT: 0
	.section	.text._ZN7rocprim17ROCPRIM_400000_NS6detail17trampoline_kernelINS0_14default_configENS1_38merge_sort_block_merge_config_selectorIlNS0_10empty_typeEEEZZNS1_27merge_sort_block_merge_implIS3_PlPS5_mZN2at6native12_GLOBAL__N_124unique_dim_cuda_templateIiEESt5tupleIJNSA_6TensorESF_SF_EERKSF_lbbbEUlllE_EE10hipError_tT0_T1_T2_jT3_P12ihipStream_tbPNSt15iterator_traitsISL_E10value_typeEPNSR_ISM_E10value_typeEPSN_NS1_7vsmem_tEENKUlT_SL_SM_SN_E_clIS8_S8_S9_S9_EESK_S10_SL_SM_SN_EUlS10_E0_NS1_11comp_targetILNS1_3genE5ELNS1_11target_archE942ELNS1_3gpuE9ELNS1_3repE0EEENS1_38merge_mergepath_config_static_selectorELNS0_4arch9wavefront6targetE1EEEvSM_,"axG",@progbits,_ZN7rocprim17ROCPRIM_400000_NS6detail17trampoline_kernelINS0_14default_configENS1_38merge_sort_block_merge_config_selectorIlNS0_10empty_typeEEEZZNS1_27merge_sort_block_merge_implIS3_PlPS5_mZN2at6native12_GLOBAL__N_124unique_dim_cuda_templateIiEESt5tupleIJNSA_6TensorESF_SF_EERKSF_lbbbEUlllE_EE10hipError_tT0_T1_T2_jT3_P12ihipStream_tbPNSt15iterator_traitsISL_E10value_typeEPNSR_ISM_E10value_typeEPSN_NS1_7vsmem_tEENKUlT_SL_SM_SN_E_clIS8_S8_S9_S9_EESK_S10_SL_SM_SN_EUlS10_E0_NS1_11comp_targetILNS1_3genE5ELNS1_11target_archE942ELNS1_3gpuE9ELNS1_3repE0EEENS1_38merge_mergepath_config_static_selectorELNS0_4arch9wavefront6targetE1EEEvSM_,comdat
	.globl	_ZN7rocprim17ROCPRIM_400000_NS6detail17trampoline_kernelINS0_14default_configENS1_38merge_sort_block_merge_config_selectorIlNS0_10empty_typeEEEZZNS1_27merge_sort_block_merge_implIS3_PlPS5_mZN2at6native12_GLOBAL__N_124unique_dim_cuda_templateIiEESt5tupleIJNSA_6TensorESF_SF_EERKSF_lbbbEUlllE_EE10hipError_tT0_T1_T2_jT3_P12ihipStream_tbPNSt15iterator_traitsISL_E10value_typeEPNSR_ISM_E10value_typeEPSN_NS1_7vsmem_tEENKUlT_SL_SM_SN_E_clIS8_S8_S9_S9_EESK_S10_SL_SM_SN_EUlS10_E0_NS1_11comp_targetILNS1_3genE5ELNS1_11target_archE942ELNS1_3gpuE9ELNS1_3repE0EEENS1_38merge_mergepath_config_static_selectorELNS0_4arch9wavefront6targetE1EEEvSM_ ; -- Begin function _ZN7rocprim17ROCPRIM_400000_NS6detail17trampoline_kernelINS0_14default_configENS1_38merge_sort_block_merge_config_selectorIlNS0_10empty_typeEEEZZNS1_27merge_sort_block_merge_implIS3_PlPS5_mZN2at6native12_GLOBAL__N_124unique_dim_cuda_templateIiEESt5tupleIJNSA_6TensorESF_SF_EERKSF_lbbbEUlllE_EE10hipError_tT0_T1_T2_jT3_P12ihipStream_tbPNSt15iterator_traitsISL_E10value_typeEPNSR_ISM_E10value_typeEPSN_NS1_7vsmem_tEENKUlT_SL_SM_SN_E_clIS8_S8_S9_S9_EESK_S10_SL_SM_SN_EUlS10_E0_NS1_11comp_targetILNS1_3genE5ELNS1_11target_archE942ELNS1_3gpuE9ELNS1_3repE0EEENS1_38merge_mergepath_config_static_selectorELNS0_4arch9wavefront6targetE1EEEvSM_
	.p2align	8
	.type	_ZN7rocprim17ROCPRIM_400000_NS6detail17trampoline_kernelINS0_14default_configENS1_38merge_sort_block_merge_config_selectorIlNS0_10empty_typeEEEZZNS1_27merge_sort_block_merge_implIS3_PlPS5_mZN2at6native12_GLOBAL__N_124unique_dim_cuda_templateIiEESt5tupleIJNSA_6TensorESF_SF_EERKSF_lbbbEUlllE_EE10hipError_tT0_T1_T2_jT3_P12ihipStream_tbPNSt15iterator_traitsISL_E10value_typeEPNSR_ISM_E10value_typeEPSN_NS1_7vsmem_tEENKUlT_SL_SM_SN_E_clIS8_S8_S9_S9_EESK_S10_SL_SM_SN_EUlS10_E0_NS1_11comp_targetILNS1_3genE5ELNS1_11target_archE942ELNS1_3gpuE9ELNS1_3repE0EEENS1_38merge_mergepath_config_static_selectorELNS0_4arch9wavefront6targetE1EEEvSM_,@function
_ZN7rocprim17ROCPRIM_400000_NS6detail17trampoline_kernelINS0_14default_configENS1_38merge_sort_block_merge_config_selectorIlNS0_10empty_typeEEEZZNS1_27merge_sort_block_merge_implIS3_PlPS5_mZN2at6native12_GLOBAL__N_124unique_dim_cuda_templateIiEESt5tupleIJNSA_6TensorESF_SF_EERKSF_lbbbEUlllE_EE10hipError_tT0_T1_T2_jT3_P12ihipStream_tbPNSt15iterator_traitsISL_E10value_typeEPNSR_ISM_E10value_typeEPSN_NS1_7vsmem_tEENKUlT_SL_SM_SN_E_clIS8_S8_S9_S9_EESK_S10_SL_SM_SN_EUlS10_E0_NS1_11comp_targetILNS1_3genE5ELNS1_11target_archE942ELNS1_3gpuE9ELNS1_3repE0EEENS1_38merge_mergepath_config_static_selectorELNS0_4arch9wavefront6targetE1EEEvSM_: ; @_ZN7rocprim17ROCPRIM_400000_NS6detail17trampoline_kernelINS0_14default_configENS1_38merge_sort_block_merge_config_selectorIlNS0_10empty_typeEEEZZNS1_27merge_sort_block_merge_implIS3_PlPS5_mZN2at6native12_GLOBAL__N_124unique_dim_cuda_templateIiEESt5tupleIJNSA_6TensorESF_SF_EERKSF_lbbbEUlllE_EE10hipError_tT0_T1_T2_jT3_P12ihipStream_tbPNSt15iterator_traitsISL_E10value_typeEPNSR_ISM_E10value_typeEPSN_NS1_7vsmem_tEENKUlT_SL_SM_SN_E_clIS8_S8_S9_S9_EESK_S10_SL_SM_SN_EUlS10_E0_NS1_11comp_targetILNS1_3genE5ELNS1_11target_archE942ELNS1_3gpuE9ELNS1_3repE0EEENS1_38merge_mergepath_config_static_selectorELNS0_4arch9wavefront6targetE1EEEvSM_
; %bb.0:
	.section	.rodata,"a",@progbits
	.p2align	6, 0x0
	.amdhsa_kernel _ZN7rocprim17ROCPRIM_400000_NS6detail17trampoline_kernelINS0_14default_configENS1_38merge_sort_block_merge_config_selectorIlNS0_10empty_typeEEEZZNS1_27merge_sort_block_merge_implIS3_PlPS5_mZN2at6native12_GLOBAL__N_124unique_dim_cuda_templateIiEESt5tupleIJNSA_6TensorESF_SF_EERKSF_lbbbEUlllE_EE10hipError_tT0_T1_T2_jT3_P12ihipStream_tbPNSt15iterator_traitsISL_E10value_typeEPNSR_ISM_E10value_typeEPSN_NS1_7vsmem_tEENKUlT_SL_SM_SN_E_clIS8_S8_S9_S9_EESK_S10_SL_SM_SN_EUlS10_E0_NS1_11comp_targetILNS1_3genE5ELNS1_11target_archE942ELNS1_3gpuE9ELNS1_3repE0EEENS1_38merge_mergepath_config_static_selectorELNS0_4arch9wavefront6targetE1EEEvSM_
		.amdhsa_group_segment_fixed_size 0
		.amdhsa_private_segment_fixed_size 0
		.amdhsa_kernarg_size 88
		.amdhsa_user_sgpr_count 6
		.amdhsa_user_sgpr_private_segment_buffer 1
		.amdhsa_user_sgpr_dispatch_ptr 0
		.amdhsa_user_sgpr_queue_ptr 0
		.amdhsa_user_sgpr_kernarg_segment_ptr 1
		.amdhsa_user_sgpr_dispatch_id 0
		.amdhsa_user_sgpr_flat_scratch_init 0
		.amdhsa_user_sgpr_kernarg_preload_length 0
		.amdhsa_user_sgpr_kernarg_preload_offset 0
		.amdhsa_user_sgpr_private_segment_size 0
		.amdhsa_uses_dynamic_stack 0
		.amdhsa_system_sgpr_private_segment_wavefront_offset 0
		.amdhsa_system_sgpr_workgroup_id_x 1
		.amdhsa_system_sgpr_workgroup_id_y 0
		.amdhsa_system_sgpr_workgroup_id_z 0
		.amdhsa_system_sgpr_workgroup_info 0
		.amdhsa_system_vgpr_workitem_id 0
		.amdhsa_next_free_vgpr 1
		.amdhsa_next_free_sgpr 0
		.amdhsa_accum_offset 4
		.amdhsa_reserve_vcc 0
		.amdhsa_reserve_flat_scratch 0
		.amdhsa_float_round_mode_32 0
		.amdhsa_float_round_mode_16_64 0
		.amdhsa_float_denorm_mode_32 3
		.amdhsa_float_denorm_mode_16_64 3
		.amdhsa_dx10_clamp 1
		.amdhsa_ieee_mode 1
		.amdhsa_fp16_overflow 0
		.amdhsa_tg_split 0
		.amdhsa_exception_fp_ieee_invalid_op 0
		.amdhsa_exception_fp_denorm_src 0
		.amdhsa_exception_fp_ieee_div_zero 0
		.amdhsa_exception_fp_ieee_overflow 0
		.amdhsa_exception_fp_ieee_underflow 0
		.amdhsa_exception_fp_ieee_inexact 0
		.amdhsa_exception_int_div_zero 0
	.end_amdhsa_kernel
	.section	.text._ZN7rocprim17ROCPRIM_400000_NS6detail17trampoline_kernelINS0_14default_configENS1_38merge_sort_block_merge_config_selectorIlNS0_10empty_typeEEEZZNS1_27merge_sort_block_merge_implIS3_PlPS5_mZN2at6native12_GLOBAL__N_124unique_dim_cuda_templateIiEESt5tupleIJNSA_6TensorESF_SF_EERKSF_lbbbEUlllE_EE10hipError_tT0_T1_T2_jT3_P12ihipStream_tbPNSt15iterator_traitsISL_E10value_typeEPNSR_ISM_E10value_typeEPSN_NS1_7vsmem_tEENKUlT_SL_SM_SN_E_clIS8_S8_S9_S9_EESK_S10_SL_SM_SN_EUlS10_E0_NS1_11comp_targetILNS1_3genE5ELNS1_11target_archE942ELNS1_3gpuE9ELNS1_3repE0EEENS1_38merge_mergepath_config_static_selectorELNS0_4arch9wavefront6targetE1EEEvSM_,"axG",@progbits,_ZN7rocprim17ROCPRIM_400000_NS6detail17trampoline_kernelINS0_14default_configENS1_38merge_sort_block_merge_config_selectorIlNS0_10empty_typeEEEZZNS1_27merge_sort_block_merge_implIS3_PlPS5_mZN2at6native12_GLOBAL__N_124unique_dim_cuda_templateIiEESt5tupleIJNSA_6TensorESF_SF_EERKSF_lbbbEUlllE_EE10hipError_tT0_T1_T2_jT3_P12ihipStream_tbPNSt15iterator_traitsISL_E10value_typeEPNSR_ISM_E10value_typeEPSN_NS1_7vsmem_tEENKUlT_SL_SM_SN_E_clIS8_S8_S9_S9_EESK_S10_SL_SM_SN_EUlS10_E0_NS1_11comp_targetILNS1_3genE5ELNS1_11target_archE942ELNS1_3gpuE9ELNS1_3repE0EEENS1_38merge_mergepath_config_static_selectorELNS0_4arch9wavefront6targetE1EEEvSM_,comdat
.Lfunc_end402:
	.size	_ZN7rocprim17ROCPRIM_400000_NS6detail17trampoline_kernelINS0_14default_configENS1_38merge_sort_block_merge_config_selectorIlNS0_10empty_typeEEEZZNS1_27merge_sort_block_merge_implIS3_PlPS5_mZN2at6native12_GLOBAL__N_124unique_dim_cuda_templateIiEESt5tupleIJNSA_6TensorESF_SF_EERKSF_lbbbEUlllE_EE10hipError_tT0_T1_T2_jT3_P12ihipStream_tbPNSt15iterator_traitsISL_E10value_typeEPNSR_ISM_E10value_typeEPSN_NS1_7vsmem_tEENKUlT_SL_SM_SN_E_clIS8_S8_S9_S9_EESK_S10_SL_SM_SN_EUlS10_E0_NS1_11comp_targetILNS1_3genE5ELNS1_11target_archE942ELNS1_3gpuE9ELNS1_3repE0EEENS1_38merge_mergepath_config_static_selectorELNS0_4arch9wavefront6targetE1EEEvSM_, .Lfunc_end402-_ZN7rocprim17ROCPRIM_400000_NS6detail17trampoline_kernelINS0_14default_configENS1_38merge_sort_block_merge_config_selectorIlNS0_10empty_typeEEEZZNS1_27merge_sort_block_merge_implIS3_PlPS5_mZN2at6native12_GLOBAL__N_124unique_dim_cuda_templateIiEESt5tupleIJNSA_6TensorESF_SF_EERKSF_lbbbEUlllE_EE10hipError_tT0_T1_T2_jT3_P12ihipStream_tbPNSt15iterator_traitsISL_E10value_typeEPNSR_ISM_E10value_typeEPSN_NS1_7vsmem_tEENKUlT_SL_SM_SN_E_clIS8_S8_S9_S9_EESK_S10_SL_SM_SN_EUlS10_E0_NS1_11comp_targetILNS1_3genE5ELNS1_11target_archE942ELNS1_3gpuE9ELNS1_3repE0EEENS1_38merge_mergepath_config_static_selectorELNS0_4arch9wavefront6targetE1EEEvSM_
                                        ; -- End function
	.section	.AMDGPU.csdata,"",@progbits
; Kernel info:
; codeLenInByte = 0
; NumSgprs: 4
; NumVgprs: 0
; NumAgprs: 0
; TotalNumVgprs: 0
; ScratchSize: 0
; MemoryBound: 0
; FloatMode: 240
; IeeeMode: 1
; LDSByteSize: 0 bytes/workgroup (compile time only)
; SGPRBlocks: 0
; VGPRBlocks: 0
; NumSGPRsForWavesPerEU: 4
; NumVGPRsForWavesPerEU: 1
; AccumOffset: 4
; Occupancy: 8
; WaveLimiterHint : 0
; COMPUTE_PGM_RSRC2:SCRATCH_EN: 0
; COMPUTE_PGM_RSRC2:USER_SGPR: 6
; COMPUTE_PGM_RSRC2:TRAP_HANDLER: 0
; COMPUTE_PGM_RSRC2:TGID_X_EN: 1
; COMPUTE_PGM_RSRC2:TGID_Y_EN: 0
; COMPUTE_PGM_RSRC2:TGID_Z_EN: 0
; COMPUTE_PGM_RSRC2:TIDIG_COMP_CNT: 0
; COMPUTE_PGM_RSRC3_GFX90A:ACCUM_OFFSET: 0
; COMPUTE_PGM_RSRC3_GFX90A:TG_SPLIT: 0
	.section	.text._ZN7rocprim17ROCPRIM_400000_NS6detail17trampoline_kernelINS0_14default_configENS1_38merge_sort_block_merge_config_selectorIlNS0_10empty_typeEEEZZNS1_27merge_sort_block_merge_implIS3_PlPS5_mZN2at6native12_GLOBAL__N_124unique_dim_cuda_templateIiEESt5tupleIJNSA_6TensorESF_SF_EERKSF_lbbbEUlllE_EE10hipError_tT0_T1_T2_jT3_P12ihipStream_tbPNSt15iterator_traitsISL_E10value_typeEPNSR_ISM_E10value_typeEPSN_NS1_7vsmem_tEENKUlT_SL_SM_SN_E_clIS8_S8_S9_S9_EESK_S10_SL_SM_SN_EUlS10_E0_NS1_11comp_targetILNS1_3genE4ELNS1_11target_archE910ELNS1_3gpuE8ELNS1_3repE0EEENS1_38merge_mergepath_config_static_selectorELNS0_4arch9wavefront6targetE1EEEvSM_,"axG",@progbits,_ZN7rocprim17ROCPRIM_400000_NS6detail17trampoline_kernelINS0_14default_configENS1_38merge_sort_block_merge_config_selectorIlNS0_10empty_typeEEEZZNS1_27merge_sort_block_merge_implIS3_PlPS5_mZN2at6native12_GLOBAL__N_124unique_dim_cuda_templateIiEESt5tupleIJNSA_6TensorESF_SF_EERKSF_lbbbEUlllE_EE10hipError_tT0_T1_T2_jT3_P12ihipStream_tbPNSt15iterator_traitsISL_E10value_typeEPNSR_ISM_E10value_typeEPSN_NS1_7vsmem_tEENKUlT_SL_SM_SN_E_clIS8_S8_S9_S9_EESK_S10_SL_SM_SN_EUlS10_E0_NS1_11comp_targetILNS1_3genE4ELNS1_11target_archE910ELNS1_3gpuE8ELNS1_3repE0EEENS1_38merge_mergepath_config_static_selectorELNS0_4arch9wavefront6targetE1EEEvSM_,comdat
	.globl	_ZN7rocprim17ROCPRIM_400000_NS6detail17trampoline_kernelINS0_14default_configENS1_38merge_sort_block_merge_config_selectorIlNS0_10empty_typeEEEZZNS1_27merge_sort_block_merge_implIS3_PlPS5_mZN2at6native12_GLOBAL__N_124unique_dim_cuda_templateIiEESt5tupleIJNSA_6TensorESF_SF_EERKSF_lbbbEUlllE_EE10hipError_tT0_T1_T2_jT3_P12ihipStream_tbPNSt15iterator_traitsISL_E10value_typeEPNSR_ISM_E10value_typeEPSN_NS1_7vsmem_tEENKUlT_SL_SM_SN_E_clIS8_S8_S9_S9_EESK_S10_SL_SM_SN_EUlS10_E0_NS1_11comp_targetILNS1_3genE4ELNS1_11target_archE910ELNS1_3gpuE8ELNS1_3repE0EEENS1_38merge_mergepath_config_static_selectorELNS0_4arch9wavefront6targetE1EEEvSM_ ; -- Begin function _ZN7rocprim17ROCPRIM_400000_NS6detail17trampoline_kernelINS0_14default_configENS1_38merge_sort_block_merge_config_selectorIlNS0_10empty_typeEEEZZNS1_27merge_sort_block_merge_implIS3_PlPS5_mZN2at6native12_GLOBAL__N_124unique_dim_cuda_templateIiEESt5tupleIJNSA_6TensorESF_SF_EERKSF_lbbbEUlllE_EE10hipError_tT0_T1_T2_jT3_P12ihipStream_tbPNSt15iterator_traitsISL_E10value_typeEPNSR_ISM_E10value_typeEPSN_NS1_7vsmem_tEENKUlT_SL_SM_SN_E_clIS8_S8_S9_S9_EESK_S10_SL_SM_SN_EUlS10_E0_NS1_11comp_targetILNS1_3genE4ELNS1_11target_archE910ELNS1_3gpuE8ELNS1_3repE0EEENS1_38merge_mergepath_config_static_selectorELNS0_4arch9wavefront6targetE1EEEvSM_
	.p2align	8
	.type	_ZN7rocprim17ROCPRIM_400000_NS6detail17trampoline_kernelINS0_14default_configENS1_38merge_sort_block_merge_config_selectorIlNS0_10empty_typeEEEZZNS1_27merge_sort_block_merge_implIS3_PlPS5_mZN2at6native12_GLOBAL__N_124unique_dim_cuda_templateIiEESt5tupleIJNSA_6TensorESF_SF_EERKSF_lbbbEUlllE_EE10hipError_tT0_T1_T2_jT3_P12ihipStream_tbPNSt15iterator_traitsISL_E10value_typeEPNSR_ISM_E10value_typeEPSN_NS1_7vsmem_tEENKUlT_SL_SM_SN_E_clIS8_S8_S9_S9_EESK_S10_SL_SM_SN_EUlS10_E0_NS1_11comp_targetILNS1_3genE4ELNS1_11target_archE910ELNS1_3gpuE8ELNS1_3repE0EEENS1_38merge_mergepath_config_static_selectorELNS0_4arch9wavefront6targetE1EEEvSM_,@function
_ZN7rocprim17ROCPRIM_400000_NS6detail17trampoline_kernelINS0_14default_configENS1_38merge_sort_block_merge_config_selectorIlNS0_10empty_typeEEEZZNS1_27merge_sort_block_merge_implIS3_PlPS5_mZN2at6native12_GLOBAL__N_124unique_dim_cuda_templateIiEESt5tupleIJNSA_6TensorESF_SF_EERKSF_lbbbEUlllE_EE10hipError_tT0_T1_T2_jT3_P12ihipStream_tbPNSt15iterator_traitsISL_E10value_typeEPNSR_ISM_E10value_typeEPSN_NS1_7vsmem_tEENKUlT_SL_SM_SN_E_clIS8_S8_S9_S9_EESK_S10_SL_SM_SN_EUlS10_E0_NS1_11comp_targetILNS1_3genE4ELNS1_11target_archE910ELNS1_3gpuE8ELNS1_3repE0EEENS1_38merge_mergepath_config_static_selectorELNS0_4arch9wavefront6targetE1EEEvSM_: ; @_ZN7rocprim17ROCPRIM_400000_NS6detail17trampoline_kernelINS0_14default_configENS1_38merge_sort_block_merge_config_selectorIlNS0_10empty_typeEEEZZNS1_27merge_sort_block_merge_implIS3_PlPS5_mZN2at6native12_GLOBAL__N_124unique_dim_cuda_templateIiEESt5tupleIJNSA_6TensorESF_SF_EERKSF_lbbbEUlllE_EE10hipError_tT0_T1_T2_jT3_P12ihipStream_tbPNSt15iterator_traitsISL_E10value_typeEPNSR_ISM_E10value_typeEPSN_NS1_7vsmem_tEENKUlT_SL_SM_SN_E_clIS8_S8_S9_S9_EESK_S10_SL_SM_SN_EUlS10_E0_NS1_11comp_targetILNS1_3genE4ELNS1_11target_archE910ELNS1_3gpuE8ELNS1_3repE0EEENS1_38merge_mergepath_config_static_selectorELNS0_4arch9wavefront6targetE1EEEvSM_
; %bb.0:
	s_load_dwordx2 s[22:23], s[4:5], 0x58
	s_load_dword s0, s[4:5], 0x38
	s_add_u32 s16, s4, 0x58
	s_addc_u32 s17, s5, 0
	s_waitcnt lgkmcnt(0)
	s_mul_i32 s1, s23, s8
	s_add_i32 s1, s1, s7
	s_mul_i32 s1, s1, s22
	s_add_i32 s18, s1, s6
	s_cmp_ge_u32 s18, s0
	s_cbranch_scc1 .LBB403_82
; %bb.1:
	s_load_dwordx2 s[0:1], s[4:5], 0x50
	s_load_dwordx4 s[12:15], s[4:5], 0x8
	s_load_dwordx4 s[8:11], s[4:5], 0x28
	s_mov_b32 s19, 0
	s_lshl_b64 s[2:3], s[18:19], 3
	s_waitcnt lgkmcnt(0)
	s_add_u32 s0, s0, s2
	s_addc_u32 s1, s1, s3
	v_mov_b32_e32 v1, s10
	v_alignbit_b32 v1, s11, v1, 9
	v_readfirstlane_b32 s7, v1
	s_and_b32 s7, s7, -2
	s_sub_i32 s33, 0, s7
	s_and_b32 s26, s18, s33
	s_mov_b32 s27, s19
	s_lshl_b64 s[24:25], s[26:27], 10
	s_lshl_b64 s[20:21], s[18:19], 10
	s_sub_u32 s7, s20, s24
	s_load_dwordx4 s[0:3], s[0:1], 0x0
	s_subb_u32 s23, s21, s25
	s_lshl_b64 s[26:27], s[26:27], 11
	s_add_u32 s26, s26, s10
	s_addc_u32 s27, s27, s11
	s_add_u32 s7, s26, s7
	s_addc_u32 s23, s27, s23
	s_waitcnt lgkmcnt(0)
	s_sub_u32 s28, s7, s2
	s_subb_u32 s3, s23, s3
	s_add_u32 s28, s28, 0x400
	s_addc_u32 s29, s3, 0
	v_pk_mov_b32 v[2:3], s[28:29], s[28:29] op_sel:[0,1]
	v_cmp_lt_u64_e32 vcc, s[8:9], v[2:3]
	s_and_b64 s[30:31], vcc, exec
	s_cselect_b32 s3, s8, s28
	s_or_b32 s28, s18, s33
	s_cmp_lg_u32 s28, -1
	s_cbranch_scc1 .LBB403_3
; %bb.2:
	s_sub_u32 s24, s26, s24
	s_subb_u32 s25, s27, s25
	v_pk_mov_b32 v[2:3], s[24:25], s[24:25] op_sel:[0,1]
	v_cmp_lt_u64_e32 vcc, s[8:9], v[2:3]
	s_and_b64 s[2:3], vcc, exec
	s_cselect_b32 s2, s8, s24
	s_add_u32 s10, s24, s10
	s_addc_u32 s11, s25, s11
	v_pk_mov_b32 v[2:3], s[10:11], s[10:11] op_sel:[0,1]
	v_cmp_lt_u64_e32 vcc, s[8:9], v[2:3]
	s_and_b64 s[24:25], vcc, exec
	s_cselect_b32 s3, s8, s10
.LBB403_3:
	s_lshr_b64 s[26:27], s[8:9], 10
	s_cmp_lg_u64 s[26:27], s[18:19]
	s_cselect_b64 s[10:11], -1, 0
	s_sub_u32 s24, s7, s0
	s_subb_u32 s25, s23, s1
	v_pk_mov_b32 v[2:3], s[24:25], s[24:25] op_sel:[0,1]
	v_cmp_lt_u64_e32 vcc, s[8:9], v[2:3]
	s_and_b64 s[28:29], vcc, exec
	s_cselect_b32 s28, s8, s24
	s_cselect_b32 s29, s9, s25
	s_sub_i32 s9, s2, s0
	s_sub_i32 s7, s3, s28
	s_lshl_b64 s[0:1], s[0:1], 3
	s_add_u32 s23, s12, s0
	s_addc_u32 s24, s13, s1
	s_lshl_b64 s[0:1], s[28:29], 3
	s_add_u32 s12, s12, s0
	s_addc_u32 s13, s13, s1
	s_cmp_lt_u32 s6, s22
	v_mov_b32_e32 v9, 0
	s_cselect_b32 s0, 12, 18
	global_load_dword v1, v9, s[16:17] offset:14
	s_add_u32 s0, s16, s0
	s_addc_u32 s1, s17, 0
	global_load_ushort v2, v9, s[0:1]
	s_cmp_eq_u64 s[26:27], s[18:19]
	s_waitcnt vmcnt(1)
	v_lshrrev_b32_e32 v3, 16, v1
	v_and_b32_e32 v1, 0xffff, v1
	v_mul_lo_u32 v1, v1, v3
	s_waitcnt vmcnt(0)
	v_mul_lo_u32 v12, v1, v2
	v_lshlrev_b32_e32 v1, 3, v0
	s_cbranch_scc1 .LBB403_5
; %bb.4:
	v_mov_b32_e32 v2, s24
	v_add_co_u32_e32 v4, vcc, s23, v1
	v_subrev_u32_e32 v8, s9, v0
	v_addc_co_u32_e32 v5, vcc, 0, v2, vcc
	v_lshlrev_b64 v[2:3], 3, v[8:9]
	v_mov_b32_e32 v6, s13
	v_add_co_u32_e32 v2, vcc, s12, v2
	v_addc_co_u32_e32 v3, vcc, v6, v3, vcc
	v_cmp_gt_u32_e32 vcc, s9, v0
	v_add_u32_e32 v8, v12, v0
	v_cndmask_b32_e32 v3, v3, v5, vcc
	v_cndmask_b32_e32 v2, v2, v4, vcc
	v_lshlrev_b64 v[4:5], 3, v[8:9]
	v_mov_b32_e32 v6, s24
	v_add_co_u32_e32 v7, vcc, s23, v4
	v_addc_co_u32_e32 v6, vcc, v6, v5, vcc
	v_subrev_u32_e32 v4, s9, v8
	v_mov_b32_e32 v5, v9
	v_lshlrev_b64 v[4:5], 3, v[4:5]
	v_mov_b32_e32 v10, s13
	v_add_co_u32_e32 v4, vcc, s12, v4
	v_addc_co_u32_e32 v5, vcc, v10, v5, vcc
	v_cmp_gt_u32_e32 vcc, s9, v8
	v_add_u32_e32 v8, v8, v12
	v_cndmask_b32_e32 v5, v5, v6, vcc
	v_cndmask_b32_e32 v4, v4, v7, vcc
	v_lshlrev_b64 v[6:7], 3, v[8:9]
	v_mov_b32_e32 v10, s24
	v_add_co_u32_e32 v11, vcc, s23, v6
	v_addc_co_u32_e32 v10, vcc, v10, v7, vcc
	v_subrev_u32_e32 v6, s9, v8
	v_mov_b32_e32 v7, v9
	v_lshlrev_b64 v[6:7], 3, v[6:7]
	v_mov_b32_e32 v13, s13
	v_add_co_u32_e32 v6, vcc, s12, v6
	v_addc_co_u32_e32 v7, vcc, v13, v7, vcc
	v_cmp_gt_u32_e32 vcc, s9, v8
	v_add_u32_e32 v8, v8, v12
	v_cndmask_b32_e32 v7, v7, v10, vcc
	v_cndmask_b32_e32 v6, v6, v11, vcc
	v_lshlrev_b64 v[10:11], 3, v[8:9]
	v_mov_b32_e32 v13, s24
	v_add_co_u32_e32 v10, vcc, s23, v10
	v_addc_co_u32_e32 v11, vcc, v13, v11, vcc
	v_cmp_gt_u32_e32 vcc, s9, v8
	v_subrev_u32_e32 v8, s9, v8
	v_lshlrev_b64 v[8:9], 3, v[8:9]
	v_mov_b32_e32 v13, s13
	v_add_co_u32_e64 v8, s[0:1], s12, v8
	v_addc_co_u32_e64 v9, s[0:1], v13, v9, s[0:1]
	v_cndmask_b32_e32 v9, v9, v11, vcc
	v_cndmask_b32_e32 v8, v8, v10, vcc
	global_load_dwordx2 v[2:3], v[2:3], off
	s_add_i32 s33, s9, s7
	global_load_dwordx2 v[4:5], v[4:5], off
	s_nop 0
	global_load_dwordx2 v[6:7], v[6:7], off
	s_nop 0
	global_load_dwordx2 v[8:9], v[8:9], off
	s_cbranch_execz .LBB403_6
	s_branch .LBB403_15
.LBB403_5:
                                        ; implicit-def: $vgpr2_vgpr3_vgpr4_vgpr5_vgpr6_vgpr7_vgpr8_vgpr9
                                        ; implicit-def: $sgpr33
.LBB403_6:
	s_add_i32 s33, s9, s7
	v_cmp_gt_u32_e32 vcc, s33, v0
                                        ; implicit-def: $vgpr2_vgpr3_vgpr4_vgpr5_vgpr6_vgpr7_vgpr8_vgpr9
	s_and_saveexec_b64 s[0:1], vcc
	s_cbranch_execz .LBB403_8
; %bb.7:
	s_waitcnt vmcnt(3)
	v_mov_b32_e32 v2, s24
	s_waitcnt vmcnt(2)
	v_add_co_u32_e32 v4, vcc, s23, v1
	v_mov_b32_e32 v3, 0
	v_addc_co_u32_e32 v5, vcc, 0, v2, vcc
	v_subrev_u32_e32 v2, s9, v0
	v_lshlrev_b64 v[2:3], 3, v[2:3]
	s_waitcnt vmcnt(1)
	v_mov_b32_e32 v6, s13
	v_add_co_u32_e32 v2, vcc, s12, v2
	v_addc_co_u32_e32 v3, vcc, v6, v3, vcc
	v_cmp_gt_u32_e32 vcc, s9, v0
	v_cndmask_b32_e32 v3, v3, v5, vcc
	v_cndmask_b32_e32 v2, v2, v4, vcc
	global_load_dwordx2 v[2:3], v[2:3], off
.LBB403_8:
	s_or_b64 exec, exec, s[0:1]
	v_add_u32_e32 v10, v12, v0
	v_cmp_gt_u32_e32 vcc, s33, v10
	s_and_saveexec_b64 s[0:1], vcc
	s_cbranch_execz .LBB403_10
; %bb.9:
	v_mov_b32_e32 v11, 0
	s_waitcnt vmcnt(2)
	v_lshlrev_b64 v[4:5], 3, v[10:11]
	v_mov_b32_e32 v13, s24
	v_add_co_u32_e32 v14, vcc, s23, v4
	v_addc_co_u32_e32 v13, vcc, v13, v5, vcc
	v_subrev_u32_e32 v4, s9, v10
	v_mov_b32_e32 v5, v11
	v_lshlrev_b64 v[4:5], 3, v[4:5]
	v_mov_b32_e32 v11, s13
	v_add_co_u32_e32 v4, vcc, s12, v4
	v_addc_co_u32_e32 v5, vcc, v11, v5, vcc
	v_cmp_gt_u32_e32 vcc, s9, v10
	v_cndmask_b32_e32 v5, v5, v13, vcc
	v_cndmask_b32_e32 v4, v4, v14, vcc
	global_load_dwordx2 v[4:5], v[4:5], off
.LBB403_10:
	s_or_b64 exec, exec, s[0:1]
	v_add_u32_e32 v10, v10, v12
	v_cmp_gt_u32_e32 vcc, s33, v10
	s_and_saveexec_b64 s[0:1], vcc
	s_cbranch_execz .LBB403_12
; %bb.11:
	v_mov_b32_e32 v11, 0
	s_waitcnt vmcnt(1)
	v_lshlrev_b64 v[6:7], 3, v[10:11]
	v_mov_b32_e32 v13, s24
	v_add_co_u32_e32 v14, vcc, s23, v6
	v_addc_co_u32_e32 v13, vcc, v13, v7, vcc
	v_subrev_u32_e32 v6, s9, v10
	v_mov_b32_e32 v7, v11
	v_lshlrev_b64 v[6:7], 3, v[6:7]
	v_mov_b32_e32 v11, s13
	v_add_co_u32_e32 v6, vcc, s12, v6
	v_addc_co_u32_e32 v7, vcc, v11, v7, vcc
	v_cmp_gt_u32_e32 vcc, s9, v10
	v_cndmask_b32_e32 v7, v7, v13, vcc
	v_cndmask_b32_e32 v6, v6, v14, vcc
	global_load_dwordx2 v[6:7], v[6:7], off
.LBB403_12:
	s_or_b64 exec, exec, s[0:1]
	v_add_u32_e32 v10, v10, v12
	v_cmp_gt_u32_e32 vcc, s33, v10
	s_and_saveexec_b64 s[2:3], vcc
	s_cbranch_execz .LBB403_14
; %bb.13:
	v_mov_b32_e32 v11, 0
	s_waitcnt vmcnt(0)
	v_lshlrev_b64 v[8:9], 3, v[10:11]
	v_mov_b32_e32 v12, s24
	v_add_co_u32_e32 v13, vcc, s23, v8
	v_addc_co_u32_e32 v12, vcc, v12, v9, vcc
	v_cmp_gt_u32_e32 vcc, s9, v10
	v_subrev_u32_e32 v10, s9, v10
	v_lshlrev_b64 v[8:9], 3, v[10:11]
	v_mov_b32_e32 v10, s13
	v_add_co_u32_e64 v8, s[0:1], s12, v8
	v_addc_co_u32_e64 v9, s[0:1], v10, v9, s[0:1]
	v_cndmask_b32_e32 v9, v9, v12, vcc
	v_cndmask_b32_e32 v8, v8, v13, vcc
	global_load_dwordx2 v[8:9], v[8:9], off
.LBB403_14:
	s_or_b64 exec, exec, s[2:3]
.LBB403_15:
	s_load_dwordx4 s[16:19], s[4:5], 0x40
	v_lshlrev_b32_e32 v16, 2, v0
	v_min_u32_e32 v15, s33, v16
	v_sub_u32_e64 v14, v15, s7 clamp
	v_min_u32_e32 v17, s9, v15
	v_cmp_lt_u32_e32 vcc, v14, v17
	s_waitcnt vmcnt(0)
	ds_write2st64_b64 v1, v[2:3], v[4:5] offset1:4
	ds_write2st64_b64 v1, v[6:7], v[8:9] offset0:8 offset1:12
	s_waitcnt lgkmcnt(0)
	s_barrier
	s_and_saveexec_b64 s[6:7], vcc
	s_cbranch_execz .LBB403_25
; %bb.16:
	v_lshlrev_b32_e32 v10, 3, v15
	v_cmp_gt_i64_e64 s[0:1], s[16:17], 0
	v_lshl_add_u32 v18, s9, 3, v10
	v_cndmask_b32_e64 v10, 0, 1, s[0:1]
	s_mov_b64 s[12:13], 0
	s_lshl_b64 s[22:23], s[16:17], 2
	v_cmp_ne_u32_e64 s[0:1], 1, v10
	s_branch .LBB403_19
.LBB403_17:                             ;   in Loop: Header=BB403_19 Depth=1
	s_or_b64 exec, exec, s[26:27]
.LBB403_18:                             ;   in Loop: Header=BB403_19 Depth=1
	v_add_u32_e32 v10, 1, v19
	v_cndmask_b32_e64 v17, v17, v19, s[24:25]
	v_cndmask_b32_e64 v14, v10, v14, s[24:25]
	v_cmp_ge_u32_e32 vcc, v14, v17
	s_or_b64 s[12:13], vcc, s[12:13]
	s_andn2_b64 exec, exec, s[12:13]
	s_cbranch_execz .LBB403_24
.LBB403_19:                             ; =>This Loop Header: Depth=1
                                        ;     Child Loop BB403_22 Depth 2
	v_add_u32_e32 v10, v17, v14
	v_lshrrev_b32_e32 v19, 1, v10
	s_and_b64 vcc, exec, s[0:1]
	s_mov_b64 s[24:25], 0
	s_cbranch_vccnz .LBB403_18
; %bb.20:                               ;   in Loop: Header=BB403_19 Depth=1
	v_not_b32_e32 v10, v19
	v_lshl_add_u32 v10, v10, 3, v18
	ds_read_b64 v[10:11], v10
	v_lshlrev_b32_e32 v20, 3, v19
	ds_read_b64 v[20:21], v20
	v_pk_mov_b32 v[12:13], s[18:19], s[18:19] op_sel:[0,1]
	s_mov_b64 s[26:27], 0
	s_waitcnt lgkmcnt(1)
	v_mul_lo_u32 v22, s22, v11
	v_mul_lo_u32 v23, s23, v10
	v_mad_u64_u32 v[10:11], s[2:3], s22, v10, v[12:13]
	v_add3_u32 v11, v23, v11, v22
	s_waitcnt lgkmcnt(0)
	v_mul_lo_u32 v21, s22, v21
	v_mul_lo_u32 v22, s23, v20
	v_mad_u64_u32 v[12:13], s[2:3], s22, v20, v[12:13]
	v_add3_u32 v13, v22, v13, v21
	s_mov_b64 s[34:35], s[16:17]
                                        ; implicit-def: $sgpr24_sgpr25
                                        ; implicit-def: $sgpr28_sgpr29
                                        ; implicit-def: $sgpr30_sgpr31
                                        ; implicit-def: $sgpr2_sgpr3
                                        ; implicit-def: $sgpr36_sgpr37
	s_branch .LBB403_22
.LBB403_21:                             ;   in Loop: Header=BB403_22 Depth=2
	s_or_b64 exec, exec, s[38:39]
	s_and_b64 s[4:5], exec, s[28:29]
	s_or_b64 s[26:27], s[4:5], s[26:27]
	s_andn2_b64 s[4:5], s[36:37], exec
	s_and_b64 s[36:37], s[30:31], exec
	s_or_b64 s[36:37], s[4:5], s[36:37]
	s_andn2_b64 s[4:5], s[24:25], exec
	s_and_b64 s[24:25], s[2:3], exec
	s_or_b64 s[24:25], s[4:5], s[24:25]
	s_andn2_b64 exec, exec, s[26:27]
	s_cbranch_execz .LBB403_17
.LBB403_22:                             ;   Parent Loop BB403_19 Depth=1
                                        ; =>  This Inner Loop Header: Depth=2
	global_load_dword v20, v[10:11], off
	global_load_dword v21, v[12:13], off
	s_andn2_b64 s[38:39], s[2:3], exec
	s_andn2_b64 s[30:31], s[30:31], exec
	s_or_b64 s[28:29], s[28:29], exec
	s_waitcnt vmcnt(0)
	v_cmp_le_i32_e64 s[2:3], v20, v21
	v_cmp_lt_i32_e32 vcc, v20, v21
	s_and_b64 s[2:3], s[2:3], s[36:37]
	s_or_b64 s[40:41], vcc, s[2:3]
	s_and_b64 s[2:3], s[40:41], exec
	v_cmp_eq_u32_e64 s[4:5], v20, v21
	s_or_b64 s[2:3], s[38:39], s[2:3]
	s_and_saveexec_b64 s[38:39], s[4:5]
	s_cbranch_execz .LBB403_21
; %bb.23:                               ;   in Loop: Header=BB403_22 Depth=2
	s_add_u32 s34, s34, -1
	s_addc_u32 s35, s35, -1
	v_add_co_u32_e32 v10, vcc, 4, v10
	s_cmp_eq_u64 s[34:35], 0
	v_addc_co_u32_e32 v11, vcc, 0, v11, vcc
	s_cselect_b64 s[4:5], -1, 0
	v_add_co_u32_e32 v12, vcc, 4, v12
	s_andn2_b64 s[30:31], s[30:31], exec
	s_and_b64 s[36:37], s[40:41], exec
	s_andn2_b64 s[28:29], s[28:29], exec
	s_and_b64 s[4:5], s[4:5], exec
	v_addc_co_u32_e32 v13, vcc, 0, v13, vcc
	s_andn2_b64 s[2:3], s[2:3], exec
	s_or_b64 s[30:31], s[30:31], s[36:37]
	s_or_b64 s[28:29], s[28:29], s[4:5]
                                        ; implicit-def: $sgpr36_sgpr37
	s_branch .LBB403_21
.LBB403_24:
	s_or_b64 exec, exec, s[12:13]
.LBB403_25:
	s_or_b64 exec, exec, s[6:7]
	v_sub_u32_e32 v10, v15, v14
	v_add_u32_e32 v15, s9, v10
	v_cmp_ge_u32_e32 vcc, s9, v14
	v_cmp_ge_u32_e64 s[0:1], s33, v15
	s_or_b64 s[0:1], vcc, s[0:1]
	s_and_saveexec_b64 s[4:5], s[0:1]
	s_cbranch_execz .LBB403_72
; %bb.26:
	v_cmp_le_u32_e32 vcc, s9, v14
	v_cmp_gt_u32_e64 s[0:1], s9, v14
                                        ; implicit-def: $vgpr2_vgpr3
	s_and_saveexec_b64 s[2:3], s[0:1]
	s_cbranch_execz .LBB403_28
; %bb.27:
	v_lshlrev_b32_e32 v2, 3, v14
	ds_read_b64 v[2:3], v2
.LBB403_28:
	s_or_b64 exec, exec, s[2:3]
	v_cmp_le_u32_e64 s[12:13], s33, v15
	v_cmp_gt_u32_e64 s[0:1], s33, v15
                                        ; implicit-def: $vgpr6_vgpr7
	s_and_saveexec_b64 s[2:3], s[0:1]
	s_cbranch_execz .LBB403_30
; %bb.29:
	v_lshlrev_b32_e32 v4, 3, v15
	ds_read_b64 v[6:7], v4
.LBB403_30:
	s_or_b64 exec, exec, s[2:3]
	s_or_b64 s[0:1], vcc, s[12:13]
	v_cmp_gt_i64_e64 s[6:7], s[16:17], 0
	s_mov_b64 s[22:23], -1
	s_xor_b64 s[0:1], s[0:1], -1
	s_and_saveexec_b64 s[24:25], s[0:1]
	s_cbranch_execz .LBB403_39
; %bb.31:
	s_andn2_b64 vcc, exec, s[6:7]
	s_cbranch_vccnz .LBB403_37
; %bb.32:
	s_waitcnt lgkmcnt(0)
	v_mul_lo_u32 v8, v7, s16
	v_mul_lo_u32 v9, v6, s17
	v_mad_u64_u32 v[4:5], s[0:1], v6, s16, 0
	v_add3_u32 v5, v5, v9, v8
	v_lshlrev_b64 v[4:5], 2, v[4:5]
	v_mov_b32_e32 v8, s19
	v_add_co_u32_e32 v4, vcc, s18, v4
	v_addc_co_u32_e32 v5, vcc, v8, v5, vcc
	v_mul_lo_u32 v10, v3, s16
	v_mul_lo_u32 v11, v2, s17
	v_mad_u64_u32 v[8:9], s[0:1], v2, s16, 0
	v_add3_u32 v9, v9, v11, v10
	v_lshlrev_b64 v[8:9], 2, v[8:9]
	v_mov_b32_e32 v10, s19
	v_add_co_u32_e32 v8, vcc, s18, v8
	v_addc_co_u32_e32 v9, vcc, v10, v9, vcc
	s_mov_b64 s[26:27], 0
	s_mov_b64 s[36:37], s[16:17]
                                        ; implicit-def: $sgpr28_sgpr29
                                        ; implicit-def: $sgpr30_sgpr31
                                        ; implicit-def: $sgpr0_sgpr1
                                        ; implicit-def: $sgpr34_sgpr35
                                        ; implicit-def: $sgpr38_sgpr39
	s_branch .LBB403_34
.LBB403_33:                             ;   in Loop: Header=BB403_34 Depth=1
	s_or_b64 exec, exec, s[40:41]
	s_and_b64 s[2:3], exec, s[30:31]
	s_or_b64 s[26:27], s[2:3], s[26:27]
	s_andn2_b64 s[2:3], s[38:39], exec
	s_and_b64 s[38:39], s[34:35], exec
	s_or_b64 s[38:39], s[2:3], s[38:39]
	s_andn2_b64 s[2:3], s[28:29], exec
	s_and_b64 s[28:29], s[0:1], exec
	s_or_b64 s[28:29], s[2:3], s[28:29]
	s_andn2_b64 exec, exec, s[26:27]
	s_cbranch_execz .LBB403_36
.LBB403_34:                             ; =>This Inner Loop Header: Depth=1
	global_load_dword v10, v[4:5], off
	global_load_dword v11, v[8:9], off
	s_andn2_b64 s[40:41], s[0:1], exec
	s_andn2_b64 s[34:35], s[34:35], exec
	s_or_b64 s[30:31], s[30:31], exec
	s_waitcnt vmcnt(0)
	v_cmp_le_i32_e64 s[0:1], v10, v11
	v_cmp_lt_i32_e32 vcc, v10, v11
	s_and_b64 s[0:1], s[0:1], s[38:39]
	s_or_b64 s[42:43], vcc, s[0:1]
	s_and_b64 s[0:1], s[42:43], exec
	v_cmp_eq_u32_e64 s[2:3], v10, v11
	s_or_b64 s[0:1], s[40:41], s[0:1]
	s_and_saveexec_b64 s[40:41], s[2:3]
	s_cbranch_execz .LBB403_33
; %bb.35:                               ;   in Loop: Header=BB403_34 Depth=1
	s_add_u32 s36, s36, -1
	s_addc_u32 s37, s37, -1
	v_add_co_u32_e32 v4, vcc, 4, v4
	s_cmp_eq_u64 s[36:37], 0
	v_addc_co_u32_e32 v5, vcc, 0, v5, vcc
	s_cselect_b64 s[2:3], -1, 0
	v_add_co_u32_e32 v8, vcc, 4, v8
	s_andn2_b64 s[34:35], s[34:35], exec
	s_and_b64 s[38:39], s[42:43], exec
	s_andn2_b64 s[30:31], s[30:31], exec
	s_and_b64 s[2:3], s[2:3], exec
	v_addc_co_u32_e32 v9, vcc, 0, v9, vcc
	s_or_b64 s[34:35], s[34:35], s[38:39]
	s_andn2_b64 s[0:1], s[0:1], exec
	s_or_b64 s[30:31], s[30:31], s[2:3]
                                        ; implicit-def: $sgpr38_sgpr39
	s_branch .LBB403_33
.LBB403_36:
	s_or_b64 exec, exec, s[26:27]
	s_xor_b64 s[0:1], s[28:29], -1
	s_branch .LBB403_38
.LBB403_37:
	s_mov_b64 s[0:1], -1
.LBB403_38:
	s_andn2_b64 s[2:3], s[12:13], exec
	s_and_b64 s[0:1], s[0:1], exec
	s_or_b64 s[12:13], s[2:3], s[0:1]
.LBB403_39:
	s_or_b64 exec, exec, s[24:25]
	v_mov_b32_e32 v5, s33
	v_mov_b32_e32 v8, s9
	v_cndmask_b32_e64 v4, v15, v14, s[12:13]
	v_cndmask_b32_e64 v5, v5, v8, s[12:13]
	v_add_u32_e32 v8, 1, v4
	v_add_u32_e32 v4, -1, v5
	v_min_u32_e32 v4, v8, v4
	v_lshlrev_b32_e32 v4, 3, v4
	ds_read_b64 v[4:5], v4
	v_cndmask_b32_e64 v17, v8, v15, s[12:13]
	v_cndmask_b32_e64 v21, v14, v8, s[12:13]
	v_cmp_gt_u32_e32 vcc, s33, v17
	s_waitcnt lgkmcnt(0)
	v_cndmask_b32_e64 v10, v5, v7, s[12:13]
	v_cndmask_b32_e64 v11, v4, v6, s[12:13]
	;; [unrolled: 1-line block ×4, first 2 shown]
	s_and_saveexec_b64 s[24:25], vcc
	s_cbranch_execz .LBB403_50
; %bb.40:
	v_cmp_gt_u32_e32 vcc, s9, v21
	s_mov_b64 s[0:1], 0
	s_and_saveexec_b64 s[22:23], vcc
	s_cbranch_execz .LBB403_49
; %bb.41:
	s_andn2_b64 vcc, exec, s[6:7]
	s_cbranch_vccnz .LBB403_47
; %bb.42:
	v_mul_lo_u32 v8, v10, s16
	v_mul_lo_u32 v9, v11, s17
	v_mad_u64_u32 v[4:5], s[0:1], v11, s16, 0
	v_add3_u32 v5, v5, v9, v8
	v_lshlrev_b64 v[4:5], 2, v[4:5]
	v_mov_b32_e32 v8, s19
	v_add_co_u32_e32 v4, vcc, s18, v4
	v_addc_co_u32_e32 v5, vcc, v8, v5, vcc
	v_mul_lo_u32 v14, v12, s16
	v_mul_lo_u32 v15, v13, s17
	v_mad_u64_u32 v[8:9], s[0:1], v13, s16, 0
	v_add3_u32 v9, v9, v15, v14
	v_lshlrev_b64 v[8:9], 2, v[8:9]
	v_mov_b32_e32 v14, s19
	v_add_co_u32_e32 v8, vcc, s18, v8
	v_addc_co_u32_e32 v9, vcc, v14, v9, vcc
	s_mov_b64 s[26:27], 0
	s_mov_b64 s[36:37], s[16:17]
                                        ; implicit-def: $sgpr28_sgpr29
                                        ; implicit-def: $sgpr30_sgpr31
                                        ; implicit-def: $sgpr0_sgpr1
                                        ; implicit-def: $sgpr34_sgpr35
                                        ; implicit-def: $sgpr38_sgpr39
	s_branch .LBB403_44
.LBB403_43:                             ;   in Loop: Header=BB403_44 Depth=1
	s_or_b64 exec, exec, s[40:41]
	s_and_b64 s[2:3], exec, s[30:31]
	s_or_b64 s[26:27], s[2:3], s[26:27]
	s_andn2_b64 s[2:3], s[38:39], exec
	s_and_b64 s[38:39], s[34:35], exec
	s_or_b64 s[38:39], s[2:3], s[38:39]
	s_andn2_b64 s[2:3], s[28:29], exec
	s_and_b64 s[28:29], s[0:1], exec
	s_or_b64 s[28:29], s[2:3], s[28:29]
	s_andn2_b64 exec, exec, s[26:27]
	s_cbranch_execz .LBB403_46
.LBB403_44:                             ; =>This Inner Loop Header: Depth=1
	global_load_dword v14, v[4:5], off
	global_load_dword v15, v[8:9], off
	s_andn2_b64 s[40:41], s[0:1], exec
	s_andn2_b64 s[34:35], s[34:35], exec
	s_or_b64 s[30:31], s[30:31], exec
	s_waitcnt vmcnt(0)
	v_cmp_le_i32_e64 s[0:1], v14, v15
	v_cmp_lt_i32_e32 vcc, v14, v15
	s_and_b64 s[0:1], s[0:1], s[38:39]
	s_or_b64 s[42:43], vcc, s[0:1]
	s_and_b64 s[0:1], s[42:43], exec
	v_cmp_eq_u32_e64 s[2:3], v14, v15
	s_or_b64 s[0:1], s[40:41], s[0:1]
	s_and_saveexec_b64 s[40:41], s[2:3]
	s_cbranch_execz .LBB403_43
; %bb.45:                               ;   in Loop: Header=BB403_44 Depth=1
	s_add_u32 s36, s36, -1
	s_addc_u32 s37, s37, -1
	v_add_co_u32_e32 v4, vcc, 4, v4
	s_cmp_eq_u64 s[36:37], 0
	v_addc_co_u32_e32 v5, vcc, 0, v5, vcc
	s_cselect_b64 s[2:3], -1, 0
	v_add_co_u32_e32 v8, vcc, 4, v8
	s_andn2_b64 s[34:35], s[34:35], exec
	s_and_b64 s[38:39], s[42:43], exec
	s_andn2_b64 s[30:31], s[30:31], exec
	s_and_b64 s[2:3], s[2:3], exec
	v_addc_co_u32_e32 v9, vcc, 0, v9, vcc
	s_or_b64 s[34:35], s[34:35], s[38:39]
	s_andn2_b64 s[0:1], s[0:1], exec
	s_or_b64 s[30:31], s[30:31], s[2:3]
                                        ; implicit-def: $sgpr38_sgpr39
	s_branch .LBB403_43
.LBB403_46:
	s_or_b64 exec, exec, s[26:27]
	s_xor_b64 s[0:1], s[28:29], -1
	s_branch .LBB403_48
.LBB403_47:
	s_mov_b64 s[0:1], -1
.LBB403_48:
	s_and_b64 s[0:1], s[0:1], exec
.LBB403_49:
	s_or_b64 exec, exec, s[22:23]
	s_orn2_b64 s[22:23], s[0:1], exec
.LBB403_50:
	s_or_b64 exec, exec, s[24:25]
	v_mov_b32_e32 v5, s33
	v_mov_b32_e32 v8, s9
	v_cndmask_b32_e64 v4, v17, v21, s[22:23]
	v_cndmask_b32_e64 v5, v5, v8, s[22:23]
	v_add_u32_e32 v8, 1, v4
	v_add_u32_e32 v4, -1, v5
	v_min_u32_e32 v4, v8, v4
	v_lshlrev_b32_e32 v4, 3, v4
	ds_read_b64 v[4:5], v4
	v_cndmask_b32_e64 v18, v8, v17, s[22:23]
	v_cndmask_b32_e64 v17, v21, v8, s[22:23]
	v_cmp_gt_u32_e32 vcc, s33, v18
	s_mov_b64 s[0:1], -1
	s_waitcnt lgkmcnt(0)
	v_cndmask_b32_e64 v14, v5, v10, s[22:23]
	v_cndmask_b32_e64 v15, v4, v11, s[22:23]
	;; [unrolled: 1-line block ×4, first 2 shown]
	s_and_saveexec_b64 s[24:25], vcc
	s_cbranch_execz .LBB403_61
; %bb.51:
	v_cmp_gt_u32_e32 vcc, s9, v17
	s_mov_b64 s[0:1], 0
	s_and_saveexec_b64 s[26:27], vcc
	s_cbranch_execz .LBB403_60
; %bb.52:
	s_andn2_b64 vcc, exec, s[6:7]
	s_cbranch_vccnz .LBB403_58
; %bb.53:
	v_mul_lo_u32 v8, v14, s16
	v_mul_lo_u32 v9, v15, s17
	v_mad_u64_u32 v[4:5], s[0:1], v15, s16, 0
	v_add3_u32 v5, v5, v9, v8
	v_lshlrev_b64 v[4:5], 2, v[4:5]
	v_mov_b32_e32 v8, s19
	v_add_co_u32_e32 v4, vcc, s18, v4
	v_addc_co_u32_e32 v5, vcc, v8, v5, vcc
	v_mul_lo_u32 v21, v19, s16
	v_mul_lo_u32 v22, v20, s17
	v_mad_u64_u32 v[8:9], s[0:1], v20, s16, 0
	v_add3_u32 v9, v9, v22, v21
	v_lshlrev_b64 v[8:9], 2, v[8:9]
	v_mov_b32_e32 v21, s19
	v_add_co_u32_e32 v8, vcc, s18, v8
	v_addc_co_u32_e32 v9, vcc, v21, v9, vcc
	s_mov_b64 s[28:29], 0
	s_mov_b64 s[38:39], s[16:17]
                                        ; implicit-def: $sgpr30_sgpr31
                                        ; implicit-def: $sgpr34_sgpr35
                                        ; implicit-def: $sgpr0_sgpr1
                                        ; implicit-def: $sgpr36_sgpr37
                                        ; implicit-def: $sgpr40_sgpr41
	s_branch .LBB403_55
.LBB403_54:                             ;   in Loop: Header=BB403_55 Depth=1
	s_or_b64 exec, exec, s[42:43]
	s_and_b64 s[2:3], exec, s[34:35]
	s_or_b64 s[28:29], s[2:3], s[28:29]
	s_andn2_b64 s[2:3], s[40:41], exec
	s_and_b64 s[40:41], s[36:37], exec
	s_or_b64 s[40:41], s[2:3], s[40:41]
	s_andn2_b64 s[2:3], s[30:31], exec
	s_and_b64 s[30:31], s[0:1], exec
	s_or_b64 s[30:31], s[2:3], s[30:31]
	s_andn2_b64 exec, exec, s[28:29]
	s_cbranch_execz .LBB403_57
.LBB403_55:                             ; =>This Inner Loop Header: Depth=1
	global_load_dword v21, v[4:5], off
	global_load_dword v22, v[8:9], off
	s_andn2_b64 s[42:43], s[0:1], exec
	s_andn2_b64 s[36:37], s[36:37], exec
	s_or_b64 s[34:35], s[34:35], exec
	s_waitcnt vmcnt(0)
	v_cmp_le_i32_e64 s[0:1], v21, v22
	v_cmp_lt_i32_e32 vcc, v21, v22
	s_and_b64 s[0:1], s[0:1], s[40:41]
	s_or_b64 s[44:45], vcc, s[0:1]
	s_and_b64 s[0:1], s[44:45], exec
	v_cmp_eq_u32_e64 s[2:3], v21, v22
	s_or_b64 s[0:1], s[42:43], s[0:1]
	s_and_saveexec_b64 s[42:43], s[2:3]
	s_cbranch_execz .LBB403_54
; %bb.56:                               ;   in Loop: Header=BB403_55 Depth=1
	s_add_u32 s38, s38, -1
	s_addc_u32 s39, s39, -1
	v_add_co_u32_e32 v4, vcc, 4, v4
	s_cmp_eq_u64 s[38:39], 0
	v_addc_co_u32_e32 v5, vcc, 0, v5, vcc
	s_cselect_b64 s[2:3], -1, 0
	v_add_co_u32_e32 v8, vcc, 4, v8
	s_andn2_b64 s[36:37], s[36:37], exec
	s_and_b64 s[40:41], s[44:45], exec
	s_andn2_b64 s[34:35], s[34:35], exec
	s_and_b64 s[2:3], s[2:3], exec
	v_addc_co_u32_e32 v9, vcc, 0, v9, vcc
	s_or_b64 s[36:37], s[36:37], s[40:41]
	s_andn2_b64 s[0:1], s[0:1], exec
	s_or_b64 s[34:35], s[34:35], s[2:3]
                                        ; implicit-def: $sgpr40_sgpr41
	s_branch .LBB403_54
.LBB403_57:
	s_or_b64 exec, exec, s[28:29]
	s_xor_b64 s[0:1], s[30:31], -1
	s_branch .LBB403_59
.LBB403_58:
	s_mov_b64 s[0:1], -1
.LBB403_59:
	s_and_b64 s[0:1], s[0:1], exec
.LBB403_60:
	s_or_b64 exec, exec, s[26:27]
	s_orn2_b64 s[0:1], s[0:1], exec
.LBB403_61:
	s_or_b64 exec, exec, s[24:25]
	v_cndmask_b32_e64 v5, v10, v12, s[22:23]
	v_mov_b32_e32 v9, s33
	v_mov_b32_e32 v10, s9
	v_cndmask_b32_e64 v8, v18, v17, s[0:1]
	v_cndmask_b32_e64 v9, v9, v10, s[0:1]
	v_add_u32_e32 v12, 1, v8
	v_add_u32_e32 v8, -1, v9
	v_min_u32_e32 v8, v12, v8
	v_lshlrev_b32_e32 v8, 3, v8
	v_cndmask_b32_e64 v4, v11, v13, s[22:23]
	ds_read_b64 v[10:11], v8
	v_cndmask_b32_e64 v13, v12, v18, s[0:1]
	v_cndmask_b32_e64 v3, v7, v3, s[12:13]
	;; [unrolled: 1-line block ×5, first 2 shown]
	s_waitcnt lgkmcnt(0)
	v_cndmask_b32_e64 v9, v19, v11, s[0:1]
	v_cndmask_b32_e64 v8, v20, v10, s[0:1]
	v_cmp_gt_u32_e32 vcc, s33, v13
	s_and_saveexec_b64 s[12:13], vcc
	s_cbranch_execz .LBB403_71
; %bb.62:
	v_cndmask_b32_e64 v12, v17, v12, s[0:1]
	v_cndmask_b32_e64 v11, v11, v14, s[0:1]
	;; [unrolled: 1-line block ×3, first 2 shown]
	v_cmp_gt_u32_e32 vcc, s9, v12
	s_and_saveexec_b64 s[22:23], vcc
	s_cbranch_execz .LBB403_70
; %bb.63:
	s_andn2_b64 vcc, exec, s[6:7]
	s_cbranch_vccnz .LBB403_69
; %bb.64:
	v_mul_lo_u32 v14, v11, s16
	v_mul_lo_u32 v15, v10, s17
	v_mad_u64_u32 v[12:13], s[0:1], v10, s16, 0
	v_add3_u32 v13, v13, v15, v14
	v_lshlrev_b64 v[12:13], 2, v[12:13]
	v_mov_b32_e32 v14, s19
	v_add_co_u32_e32 v12, vcc, s18, v12
	v_addc_co_u32_e32 v13, vcc, v14, v13, vcc
	v_mul_lo_u32 v17, v9, s16
	v_mul_lo_u32 v18, v8, s17
	v_mad_u64_u32 v[14:15], s[0:1], v8, s16, 0
	v_add3_u32 v15, v15, v18, v17
	v_lshlrev_b64 v[14:15], 2, v[14:15]
	v_mov_b32_e32 v17, s19
	v_add_co_u32_e32 v14, vcc, s18, v14
	v_addc_co_u32_e32 v15, vcc, v17, v15, vcc
	s_mov_b64 s[6:7], 0
                                        ; implicit-def: $sgpr18_sgpr19
                                        ; implicit-def: $sgpr24_sgpr25
                                        ; implicit-def: $sgpr0_sgpr1
                                        ; implicit-def: $sgpr26_sgpr27
                                        ; implicit-def: $sgpr28_sgpr29
	s_branch .LBB403_66
.LBB403_65:                             ;   in Loop: Header=BB403_66 Depth=1
	s_or_b64 exec, exec, s[30:31]
	s_and_b64 s[2:3], exec, s[24:25]
	s_or_b64 s[6:7], s[2:3], s[6:7]
	s_andn2_b64 s[2:3], s[28:29], exec
	s_and_b64 s[28:29], s[26:27], exec
	s_or_b64 s[28:29], s[2:3], s[28:29]
	s_andn2_b64 s[2:3], s[18:19], exec
	s_and_b64 s[18:19], s[0:1], exec
	s_or_b64 s[18:19], s[2:3], s[18:19]
	s_andn2_b64 exec, exec, s[6:7]
	s_cbranch_execz .LBB403_68
.LBB403_66:                             ; =>This Inner Loop Header: Depth=1
	global_load_dword v17, v[12:13], off
	global_load_dword v18, v[14:15], off
	s_andn2_b64 s[30:31], s[0:1], exec
	s_andn2_b64 s[26:27], s[26:27], exec
	s_or_b64 s[24:25], s[24:25], exec
	s_waitcnt vmcnt(0)
	v_cmp_le_i32_e64 s[0:1], v17, v18
	v_cmp_lt_i32_e32 vcc, v17, v18
	s_and_b64 s[0:1], s[0:1], s[28:29]
	s_or_b64 s[34:35], vcc, s[0:1]
	s_and_b64 s[0:1], s[34:35], exec
	v_cmp_eq_u32_e64 s[2:3], v17, v18
	s_or_b64 s[0:1], s[30:31], s[0:1]
	s_and_saveexec_b64 s[30:31], s[2:3]
	s_cbranch_execz .LBB403_65
; %bb.67:                               ;   in Loop: Header=BB403_66 Depth=1
	s_add_u32 s16, s16, -1
	s_addc_u32 s17, s17, -1
	v_add_co_u32_e32 v12, vcc, 4, v12
	s_cmp_eq_u64 s[16:17], 0
	v_addc_co_u32_e32 v13, vcc, 0, v13, vcc
	s_cselect_b64 s[2:3], -1, 0
	v_add_co_u32_e32 v14, vcc, 4, v14
	s_andn2_b64 s[26:27], s[26:27], exec
	s_and_b64 s[28:29], s[34:35], exec
	s_andn2_b64 s[24:25], s[24:25], exec
	s_and_b64 s[2:3], s[2:3], exec
	v_addc_co_u32_e32 v15, vcc, 0, v15, vcc
	s_or_b64 s[26:27], s[26:27], s[28:29]
	s_andn2_b64 s[0:1], s[0:1], exec
	s_or_b64 s[24:25], s[24:25], s[2:3]
                                        ; implicit-def: $sgpr28_sgpr29
	s_branch .LBB403_65
.LBB403_68:
	s_or_b64 exec, exec, s[6:7]
	v_cndmask_b32_e64 v9, v9, v11, s[18:19]
	v_cndmask_b32_e64 v8, v8, v10, s[18:19]
.LBB403_69:
	v_pk_mov_b32 v[10:11], v[8:9], v[8:9] op_sel:[0,1]
.LBB403_70:
	s_or_b64 exec, exec, s[22:23]
	v_pk_mov_b32 v[8:9], v[10:11], v[10:11] op_sel:[0,1]
.LBB403_71:
	s_or_b64 exec, exec, s[12:13]
.LBB403_72:
	s_or_b64 exec, exec, s[4:5]
	v_and_b32_e32 v10, 0xf8, v0
	v_lshl_add_u32 v10, v16, 3, v10
	s_barrier
	s_barrier
	ds_write2_b64 v10, v[2:3], v[4:5] offset1:1
	ds_write2_b64 v10, v[6:7], v[8:9] offset0:2 offset1:3
	v_lshrrev_b32_e32 v2, 2, v0
	v_and_b32_e32 v2, 56, v2
	v_or_b32_e32 v12, 0x100, v0
	v_add_u32_e32 v13, v1, v2
	v_lshrrev_b32_e32 v2, 2, v12
	v_and_b32_e32 v2, 0x78, v2
	v_or_b32_e32 v11, 0x200, v0
	v_add_u32_e32 v6, v1, v2
	v_lshrrev_b32_e32 v2, 2, v11
	s_lshl_b64 s[0:1], s[20:21], 3
	v_and_b32_e32 v2, 0xb8, v2
	v_or_b32_e32 v10, 0x300, v0
	s_add_u32 s0, s14, s0
	v_add_u32_e32 v7, v1, v2
	v_lshrrev_b32_e32 v2, 2, v10
	s_addc_u32 s1, s15, s1
	v_and_b32_e32 v2, 0xf8, v2
	v_add_u32_e32 v14, v1, v2
	v_mov_b32_e32 v3, s1
	v_add_co_u32_e32 v2, vcc, s0, v1
	v_addc_co_u32_e32 v3, vcc, 0, v3, vcc
	s_and_b64 vcc, exec, s[10:11]
	s_waitcnt lgkmcnt(0)
	s_cbranch_vccz .LBB403_74
; %bb.73:
	s_barrier
	ds_read_b64 v[8:9], v13
	ds_read_b64 v[16:17], v6 offset:2048
	ds_read_b64 v[18:19], v7 offset:4096
	;; [unrolled: 1-line block ×3, first 2 shown]
	s_waitcnt lgkmcnt(3)
	global_store_dwordx2 v[2:3], v[8:9], off
	s_waitcnt lgkmcnt(2)
	global_store_dwordx2 v[2:3], v[16:17], off offset:2048
	v_add_co_u32_e32 v8, vcc, 0x1000, v2
	v_addc_co_u32_e32 v9, vcc, 0, v3, vcc
	s_waitcnt lgkmcnt(1)
	global_store_dwordx2 v[8:9], v[18:19], off
	s_mov_b64 s[0:1], -1
	s_cbranch_execz .LBB403_75
	s_branch .LBB403_80
.LBB403_74:
	s_mov_b64 s[0:1], 0
                                        ; implicit-def: $vgpr4_vgpr5
.LBB403_75:
	s_barrier
	s_waitcnt lgkmcnt(0)
	ds_read_b64 v[8:9], v6 offset:2048
	ds_read_b64 v[6:7], v7 offset:4096
	;; [unrolled: 1-line block ×3, first 2 shown]
	s_sub_i32 s2, s8, s20
	v_cmp_gt_u32_e32 vcc, s2, v0
	s_and_saveexec_b64 s[0:1], vcc
	s_cbranch_execnz .LBB403_83
; %bb.76:
	s_or_b64 exec, exec, s[0:1]
	v_cmp_gt_u32_e32 vcc, s2, v12
	s_and_saveexec_b64 s[0:1], vcc
	s_cbranch_execnz .LBB403_84
.LBB403_77:
	s_or_b64 exec, exec, s[0:1]
	v_cmp_gt_u32_e32 vcc, s2, v11
	s_and_saveexec_b64 s[0:1], vcc
	s_cbranch_execz .LBB403_79
.LBB403_78:
	v_add_co_u32_e32 v0, vcc, 0x1000, v2
	v_addc_co_u32_e32 v1, vcc, 0, v3, vcc
	s_waitcnt lgkmcnt(1)
	global_store_dwordx2 v[0:1], v[6:7], off
.LBB403_79:
	s_or_b64 exec, exec, s[0:1]
	v_cmp_gt_u32_e64 s[0:1], s2, v10
.LBB403_80:
	s_and_saveexec_b64 s[2:3], s[0:1]
	s_cbranch_execz .LBB403_82
; %bb.81:
	v_add_co_u32_e32 v0, vcc, 0x1000, v2
	v_addc_co_u32_e32 v1, vcc, 0, v3, vcc
	s_waitcnt lgkmcnt(0)
	global_store_dwordx2 v[0:1], v[4:5], off offset:2048
.LBB403_82:
	s_endpgm
.LBB403_83:
	ds_read_b64 v[0:1], v13
	s_waitcnt lgkmcnt(0)
	global_store_dwordx2 v[2:3], v[0:1], off
	s_or_b64 exec, exec, s[0:1]
	v_cmp_gt_u32_e32 vcc, s2, v12
	s_and_saveexec_b64 s[0:1], vcc
	s_cbranch_execz .LBB403_77
.LBB403_84:
	s_waitcnt lgkmcnt(2)
	global_store_dwordx2 v[2:3], v[8:9], off offset:2048
	s_or_b64 exec, exec, s[0:1]
	v_cmp_gt_u32_e32 vcc, s2, v11
	s_and_saveexec_b64 s[0:1], vcc
	s_cbranch_execnz .LBB403_78
	s_branch .LBB403_79
	.section	.rodata,"a",@progbits
	.p2align	6, 0x0
	.amdhsa_kernel _ZN7rocprim17ROCPRIM_400000_NS6detail17trampoline_kernelINS0_14default_configENS1_38merge_sort_block_merge_config_selectorIlNS0_10empty_typeEEEZZNS1_27merge_sort_block_merge_implIS3_PlPS5_mZN2at6native12_GLOBAL__N_124unique_dim_cuda_templateIiEESt5tupleIJNSA_6TensorESF_SF_EERKSF_lbbbEUlllE_EE10hipError_tT0_T1_T2_jT3_P12ihipStream_tbPNSt15iterator_traitsISL_E10value_typeEPNSR_ISM_E10value_typeEPSN_NS1_7vsmem_tEENKUlT_SL_SM_SN_E_clIS8_S8_S9_S9_EESK_S10_SL_SM_SN_EUlS10_E0_NS1_11comp_targetILNS1_3genE4ELNS1_11target_archE910ELNS1_3gpuE8ELNS1_3repE0EEENS1_38merge_mergepath_config_static_selectorELNS0_4arch9wavefront6targetE1EEEvSM_
		.amdhsa_group_segment_fixed_size 8448
		.amdhsa_private_segment_fixed_size 0
		.amdhsa_kernarg_size 344
		.amdhsa_user_sgpr_count 6
		.amdhsa_user_sgpr_private_segment_buffer 1
		.amdhsa_user_sgpr_dispatch_ptr 0
		.amdhsa_user_sgpr_queue_ptr 0
		.amdhsa_user_sgpr_kernarg_segment_ptr 1
		.amdhsa_user_sgpr_dispatch_id 0
		.amdhsa_user_sgpr_flat_scratch_init 0
		.amdhsa_user_sgpr_kernarg_preload_length 0
		.amdhsa_user_sgpr_kernarg_preload_offset 0
		.amdhsa_user_sgpr_private_segment_size 0
		.amdhsa_uses_dynamic_stack 0
		.amdhsa_system_sgpr_private_segment_wavefront_offset 0
		.amdhsa_system_sgpr_workgroup_id_x 1
		.amdhsa_system_sgpr_workgroup_id_y 1
		.amdhsa_system_sgpr_workgroup_id_z 1
		.amdhsa_system_sgpr_workgroup_info 0
		.amdhsa_system_vgpr_workitem_id 0
		.amdhsa_next_free_vgpr 24
		.amdhsa_next_free_sgpr 46
		.amdhsa_accum_offset 24
		.amdhsa_reserve_vcc 1
		.amdhsa_reserve_flat_scratch 0
		.amdhsa_float_round_mode_32 0
		.amdhsa_float_round_mode_16_64 0
		.amdhsa_float_denorm_mode_32 3
		.amdhsa_float_denorm_mode_16_64 3
		.amdhsa_dx10_clamp 1
		.amdhsa_ieee_mode 1
		.amdhsa_fp16_overflow 0
		.amdhsa_tg_split 0
		.amdhsa_exception_fp_ieee_invalid_op 0
		.amdhsa_exception_fp_denorm_src 0
		.amdhsa_exception_fp_ieee_div_zero 0
		.amdhsa_exception_fp_ieee_overflow 0
		.amdhsa_exception_fp_ieee_underflow 0
		.amdhsa_exception_fp_ieee_inexact 0
		.amdhsa_exception_int_div_zero 0
	.end_amdhsa_kernel
	.section	.text._ZN7rocprim17ROCPRIM_400000_NS6detail17trampoline_kernelINS0_14default_configENS1_38merge_sort_block_merge_config_selectorIlNS0_10empty_typeEEEZZNS1_27merge_sort_block_merge_implIS3_PlPS5_mZN2at6native12_GLOBAL__N_124unique_dim_cuda_templateIiEESt5tupleIJNSA_6TensorESF_SF_EERKSF_lbbbEUlllE_EE10hipError_tT0_T1_T2_jT3_P12ihipStream_tbPNSt15iterator_traitsISL_E10value_typeEPNSR_ISM_E10value_typeEPSN_NS1_7vsmem_tEENKUlT_SL_SM_SN_E_clIS8_S8_S9_S9_EESK_S10_SL_SM_SN_EUlS10_E0_NS1_11comp_targetILNS1_3genE4ELNS1_11target_archE910ELNS1_3gpuE8ELNS1_3repE0EEENS1_38merge_mergepath_config_static_selectorELNS0_4arch9wavefront6targetE1EEEvSM_,"axG",@progbits,_ZN7rocprim17ROCPRIM_400000_NS6detail17trampoline_kernelINS0_14default_configENS1_38merge_sort_block_merge_config_selectorIlNS0_10empty_typeEEEZZNS1_27merge_sort_block_merge_implIS3_PlPS5_mZN2at6native12_GLOBAL__N_124unique_dim_cuda_templateIiEESt5tupleIJNSA_6TensorESF_SF_EERKSF_lbbbEUlllE_EE10hipError_tT0_T1_T2_jT3_P12ihipStream_tbPNSt15iterator_traitsISL_E10value_typeEPNSR_ISM_E10value_typeEPSN_NS1_7vsmem_tEENKUlT_SL_SM_SN_E_clIS8_S8_S9_S9_EESK_S10_SL_SM_SN_EUlS10_E0_NS1_11comp_targetILNS1_3genE4ELNS1_11target_archE910ELNS1_3gpuE8ELNS1_3repE0EEENS1_38merge_mergepath_config_static_selectorELNS0_4arch9wavefront6targetE1EEEvSM_,comdat
.Lfunc_end403:
	.size	_ZN7rocprim17ROCPRIM_400000_NS6detail17trampoline_kernelINS0_14default_configENS1_38merge_sort_block_merge_config_selectorIlNS0_10empty_typeEEEZZNS1_27merge_sort_block_merge_implIS3_PlPS5_mZN2at6native12_GLOBAL__N_124unique_dim_cuda_templateIiEESt5tupleIJNSA_6TensorESF_SF_EERKSF_lbbbEUlllE_EE10hipError_tT0_T1_T2_jT3_P12ihipStream_tbPNSt15iterator_traitsISL_E10value_typeEPNSR_ISM_E10value_typeEPSN_NS1_7vsmem_tEENKUlT_SL_SM_SN_E_clIS8_S8_S9_S9_EESK_S10_SL_SM_SN_EUlS10_E0_NS1_11comp_targetILNS1_3genE4ELNS1_11target_archE910ELNS1_3gpuE8ELNS1_3repE0EEENS1_38merge_mergepath_config_static_selectorELNS0_4arch9wavefront6targetE1EEEvSM_, .Lfunc_end403-_ZN7rocprim17ROCPRIM_400000_NS6detail17trampoline_kernelINS0_14default_configENS1_38merge_sort_block_merge_config_selectorIlNS0_10empty_typeEEEZZNS1_27merge_sort_block_merge_implIS3_PlPS5_mZN2at6native12_GLOBAL__N_124unique_dim_cuda_templateIiEESt5tupleIJNSA_6TensorESF_SF_EERKSF_lbbbEUlllE_EE10hipError_tT0_T1_T2_jT3_P12ihipStream_tbPNSt15iterator_traitsISL_E10value_typeEPNSR_ISM_E10value_typeEPSN_NS1_7vsmem_tEENKUlT_SL_SM_SN_E_clIS8_S8_S9_S9_EESK_S10_SL_SM_SN_EUlS10_E0_NS1_11comp_targetILNS1_3genE4ELNS1_11target_archE910ELNS1_3gpuE8ELNS1_3repE0EEENS1_38merge_mergepath_config_static_selectorELNS0_4arch9wavefront6targetE1EEEvSM_
                                        ; -- End function
	.section	.AMDGPU.csdata,"",@progbits
; Kernel info:
; codeLenInByte = 4044
; NumSgprs: 50
; NumVgprs: 24
; NumAgprs: 0
; TotalNumVgprs: 24
; ScratchSize: 0
; MemoryBound: 0
; FloatMode: 240
; IeeeMode: 1
; LDSByteSize: 8448 bytes/workgroup (compile time only)
; SGPRBlocks: 6
; VGPRBlocks: 2
; NumSGPRsForWavesPerEU: 50
; NumVGPRsForWavesPerEU: 24
; AccumOffset: 24
; Occupancy: 7
; WaveLimiterHint : 1
; COMPUTE_PGM_RSRC2:SCRATCH_EN: 0
; COMPUTE_PGM_RSRC2:USER_SGPR: 6
; COMPUTE_PGM_RSRC2:TRAP_HANDLER: 0
; COMPUTE_PGM_RSRC2:TGID_X_EN: 1
; COMPUTE_PGM_RSRC2:TGID_Y_EN: 1
; COMPUTE_PGM_RSRC2:TGID_Z_EN: 1
; COMPUTE_PGM_RSRC2:TIDIG_COMP_CNT: 0
; COMPUTE_PGM_RSRC3_GFX90A:ACCUM_OFFSET: 5
; COMPUTE_PGM_RSRC3_GFX90A:TG_SPLIT: 0
	.section	.text._ZN7rocprim17ROCPRIM_400000_NS6detail17trampoline_kernelINS0_14default_configENS1_38merge_sort_block_merge_config_selectorIlNS0_10empty_typeEEEZZNS1_27merge_sort_block_merge_implIS3_PlPS5_mZN2at6native12_GLOBAL__N_124unique_dim_cuda_templateIiEESt5tupleIJNSA_6TensorESF_SF_EERKSF_lbbbEUlllE_EE10hipError_tT0_T1_T2_jT3_P12ihipStream_tbPNSt15iterator_traitsISL_E10value_typeEPNSR_ISM_E10value_typeEPSN_NS1_7vsmem_tEENKUlT_SL_SM_SN_E_clIS8_S8_S9_S9_EESK_S10_SL_SM_SN_EUlS10_E0_NS1_11comp_targetILNS1_3genE3ELNS1_11target_archE908ELNS1_3gpuE7ELNS1_3repE0EEENS1_38merge_mergepath_config_static_selectorELNS0_4arch9wavefront6targetE1EEEvSM_,"axG",@progbits,_ZN7rocprim17ROCPRIM_400000_NS6detail17trampoline_kernelINS0_14default_configENS1_38merge_sort_block_merge_config_selectorIlNS0_10empty_typeEEEZZNS1_27merge_sort_block_merge_implIS3_PlPS5_mZN2at6native12_GLOBAL__N_124unique_dim_cuda_templateIiEESt5tupleIJNSA_6TensorESF_SF_EERKSF_lbbbEUlllE_EE10hipError_tT0_T1_T2_jT3_P12ihipStream_tbPNSt15iterator_traitsISL_E10value_typeEPNSR_ISM_E10value_typeEPSN_NS1_7vsmem_tEENKUlT_SL_SM_SN_E_clIS8_S8_S9_S9_EESK_S10_SL_SM_SN_EUlS10_E0_NS1_11comp_targetILNS1_3genE3ELNS1_11target_archE908ELNS1_3gpuE7ELNS1_3repE0EEENS1_38merge_mergepath_config_static_selectorELNS0_4arch9wavefront6targetE1EEEvSM_,comdat
	.globl	_ZN7rocprim17ROCPRIM_400000_NS6detail17trampoline_kernelINS0_14default_configENS1_38merge_sort_block_merge_config_selectorIlNS0_10empty_typeEEEZZNS1_27merge_sort_block_merge_implIS3_PlPS5_mZN2at6native12_GLOBAL__N_124unique_dim_cuda_templateIiEESt5tupleIJNSA_6TensorESF_SF_EERKSF_lbbbEUlllE_EE10hipError_tT0_T1_T2_jT3_P12ihipStream_tbPNSt15iterator_traitsISL_E10value_typeEPNSR_ISM_E10value_typeEPSN_NS1_7vsmem_tEENKUlT_SL_SM_SN_E_clIS8_S8_S9_S9_EESK_S10_SL_SM_SN_EUlS10_E0_NS1_11comp_targetILNS1_3genE3ELNS1_11target_archE908ELNS1_3gpuE7ELNS1_3repE0EEENS1_38merge_mergepath_config_static_selectorELNS0_4arch9wavefront6targetE1EEEvSM_ ; -- Begin function _ZN7rocprim17ROCPRIM_400000_NS6detail17trampoline_kernelINS0_14default_configENS1_38merge_sort_block_merge_config_selectorIlNS0_10empty_typeEEEZZNS1_27merge_sort_block_merge_implIS3_PlPS5_mZN2at6native12_GLOBAL__N_124unique_dim_cuda_templateIiEESt5tupleIJNSA_6TensorESF_SF_EERKSF_lbbbEUlllE_EE10hipError_tT0_T1_T2_jT3_P12ihipStream_tbPNSt15iterator_traitsISL_E10value_typeEPNSR_ISM_E10value_typeEPSN_NS1_7vsmem_tEENKUlT_SL_SM_SN_E_clIS8_S8_S9_S9_EESK_S10_SL_SM_SN_EUlS10_E0_NS1_11comp_targetILNS1_3genE3ELNS1_11target_archE908ELNS1_3gpuE7ELNS1_3repE0EEENS1_38merge_mergepath_config_static_selectorELNS0_4arch9wavefront6targetE1EEEvSM_
	.p2align	8
	.type	_ZN7rocprim17ROCPRIM_400000_NS6detail17trampoline_kernelINS0_14default_configENS1_38merge_sort_block_merge_config_selectorIlNS0_10empty_typeEEEZZNS1_27merge_sort_block_merge_implIS3_PlPS5_mZN2at6native12_GLOBAL__N_124unique_dim_cuda_templateIiEESt5tupleIJNSA_6TensorESF_SF_EERKSF_lbbbEUlllE_EE10hipError_tT0_T1_T2_jT3_P12ihipStream_tbPNSt15iterator_traitsISL_E10value_typeEPNSR_ISM_E10value_typeEPSN_NS1_7vsmem_tEENKUlT_SL_SM_SN_E_clIS8_S8_S9_S9_EESK_S10_SL_SM_SN_EUlS10_E0_NS1_11comp_targetILNS1_3genE3ELNS1_11target_archE908ELNS1_3gpuE7ELNS1_3repE0EEENS1_38merge_mergepath_config_static_selectorELNS0_4arch9wavefront6targetE1EEEvSM_,@function
_ZN7rocprim17ROCPRIM_400000_NS6detail17trampoline_kernelINS0_14default_configENS1_38merge_sort_block_merge_config_selectorIlNS0_10empty_typeEEEZZNS1_27merge_sort_block_merge_implIS3_PlPS5_mZN2at6native12_GLOBAL__N_124unique_dim_cuda_templateIiEESt5tupleIJNSA_6TensorESF_SF_EERKSF_lbbbEUlllE_EE10hipError_tT0_T1_T2_jT3_P12ihipStream_tbPNSt15iterator_traitsISL_E10value_typeEPNSR_ISM_E10value_typeEPSN_NS1_7vsmem_tEENKUlT_SL_SM_SN_E_clIS8_S8_S9_S9_EESK_S10_SL_SM_SN_EUlS10_E0_NS1_11comp_targetILNS1_3genE3ELNS1_11target_archE908ELNS1_3gpuE7ELNS1_3repE0EEENS1_38merge_mergepath_config_static_selectorELNS0_4arch9wavefront6targetE1EEEvSM_: ; @_ZN7rocprim17ROCPRIM_400000_NS6detail17trampoline_kernelINS0_14default_configENS1_38merge_sort_block_merge_config_selectorIlNS0_10empty_typeEEEZZNS1_27merge_sort_block_merge_implIS3_PlPS5_mZN2at6native12_GLOBAL__N_124unique_dim_cuda_templateIiEESt5tupleIJNSA_6TensorESF_SF_EERKSF_lbbbEUlllE_EE10hipError_tT0_T1_T2_jT3_P12ihipStream_tbPNSt15iterator_traitsISL_E10value_typeEPNSR_ISM_E10value_typeEPSN_NS1_7vsmem_tEENKUlT_SL_SM_SN_E_clIS8_S8_S9_S9_EESK_S10_SL_SM_SN_EUlS10_E0_NS1_11comp_targetILNS1_3genE3ELNS1_11target_archE908ELNS1_3gpuE7ELNS1_3repE0EEENS1_38merge_mergepath_config_static_selectorELNS0_4arch9wavefront6targetE1EEEvSM_
; %bb.0:
	.section	.rodata,"a",@progbits
	.p2align	6, 0x0
	.amdhsa_kernel _ZN7rocprim17ROCPRIM_400000_NS6detail17trampoline_kernelINS0_14default_configENS1_38merge_sort_block_merge_config_selectorIlNS0_10empty_typeEEEZZNS1_27merge_sort_block_merge_implIS3_PlPS5_mZN2at6native12_GLOBAL__N_124unique_dim_cuda_templateIiEESt5tupleIJNSA_6TensorESF_SF_EERKSF_lbbbEUlllE_EE10hipError_tT0_T1_T2_jT3_P12ihipStream_tbPNSt15iterator_traitsISL_E10value_typeEPNSR_ISM_E10value_typeEPSN_NS1_7vsmem_tEENKUlT_SL_SM_SN_E_clIS8_S8_S9_S9_EESK_S10_SL_SM_SN_EUlS10_E0_NS1_11comp_targetILNS1_3genE3ELNS1_11target_archE908ELNS1_3gpuE7ELNS1_3repE0EEENS1_38merge_mergepath_config_static_selectorELNS0_4arch9wavefront6targetE1EEEvSM_
		.amdhsa_group_segment_fixed_size 0
		.amdhsa_private_segment_fixed_size 0
		.amdhsa_kernarg_size 88
		.amdhsa_user_sgpr_count 6
		.amdhsa_user_sgpr_private_segment_buffer 1
		.amdhsa_user_sgpr_dispatch_ptr 0
		.amdhsa_user_sgpr_queue_ptr 0
		.amdhsa_user_sgpr_kernarg_segment_ptr 1
		.amdhsa_user_sgpr_dispatch_id 0
		.amdhsa_user_sgpr_flat_scratch_init 0
		.amdhsa_user_sgpr_kernarg_preload_length 0
		.amdhsa_user_sgpr_kernarg_preload_offset 0
		.amdhsa_user_sgpr_private_segment_size 0
		.amdhsa_uses_dynamic_stack 0
		.amdhsa_system_sgpr_private_segment_wavefront_offset 0
		.amdhsa_system_sgpr_workgroup_id_x 1
		.amdhsa_system_sgpr_workgroup_id_y 0
		.amdhsa_system_sgpr_workgroup_id_z 0
		.amdhsa_system_sgpr_workgroup_info 0
		.amdhsa_system_vgpr_workitem_id 0
		.amdhsa_next_free_vgpr 1
		.amdhsa_next_free_sgpr 0
		.amdhsa_accum_offset 4
		.amdhsa_reserve_vcc 0
		.amdhsa_reserve_flat_scratch 0
		.amdhsa_float_round_mode_32 0
		.amdhsa_float_round_mode_16_64 0
		.amdhsa_float_denorm_mode_32 3
		.amdhsa_float_denorm_mode_16_64 3
		.amdhsa_dx10_clamp 1
		.amdhsa_ieee_mode 1
		.amdhsa_fp16_overflow 0
		.amdhsa_tg_split 0
		.amdhsa_exception_fp_ieee_invalid_op 0
		.amdhsa_exception_fp_denorm_src 0
		.amdhsa_exception_fp_ieee_div_zero 0
		.amdhsa_exception_fp_ieee_overflow 0
		.amdhsa_exception_fp_ieee_underflow 0
		.amdhsa_exception_fp_ieee_inexact 0
		.amdhsa_exception_int_div_zero 0
	.end_amdhsa_kernel
	.section	.text._ZN7rocprim17ROCPRIM_400000_NS6detail17trampoline_kernelINS0_14default_configENS1_38merge_sort_block_merge_config_selectorIlNS0_10empty_typeEEEZZNS1_27merge_sort_block_merge_implIS3_PlPS5_mZN2at6native12_GLOBAL__N_124unique_dim_cuda_templateIiEESt5tupleIJNSA_6TensorESF_SF_EERKSF_lbbbEUlllE_EE10hipError_tT0_T1_T2_jT3_P12ihipStream_tbPNSt15iterator_traitsISL_E10value_typeEPNSR_ISM_E10value_typeEPSN_NS1_7vsmem_tEENKUlT_SL_SM_SN_E_clIS8_S8_S9_S9_EESK_S10_SL_SM_SN_EUlS10_E0_NS1_11comp_targetILNS1_3genE3ELNS1_11target_archE908ELNS1_3gpuE7ELNS1_3repE0EEENS1_38merge_mergepath_config_static_selectorELNS0_4arch9wavefront6targetE1EEEvSM_,"axG",@progbits,_ZN7rocprim17ROCPRIM_400000_NS6detail17trampoline_kernelINS0_14default_configENS1_38merge_sort_block_merge_config_selectorIlNS0_10empty_typeEEEZZNS1_27merge_sort_block_merge_implIS3_PlPS5_mZN2at6native12_GLOBAL__N_124unique_dim_cuda_templateIiEESt5tupleIJNSA_6TensorESF_SF_EERKSF_lbbbEUlllE_EE10hipError_tT0_T1_T2_jT3_P12ihipStream_tbPNSt15iterator_traitsISL_E10value_typeEPNSR_ISM_E10value_typeEPSN_NS1_7vsmem_tEENKUlT_SL_SM_SN_E_clIS8_S8_S9_S9_EESK_S10_SL_SM_SN_EUlS10_E0_NS1_11comp_targetILNS1_3genE3ELNS1_11target_archE908ELNS1_3gpuE7ELNS1_3repE0EEENS1_38merge_mergepath_config_static_selectorELNS0_4arch9wavefront6targetE1EEEvSM_,comdat
.Lfunc_end404:
	.size	_ZN7rocprim17ROCPRIM_400000_NS6detail17trampoline_kernelINS0_14default_configENS1_38merge_sort_block_merge_config_selectorIlNS0_10empty_typeEEEZZNS1_27merge_sort_block_merge_implIS3_PlPS5_mZN2at6native12_GLOBAL__N_124unique_dim_cuda_templateIiEESt5tupleIJNSA_6TensorESF_SF_EERKSF_lbbbEUlllE_EE10hipError_tT0_T1_T2_jT3_P12ihipStream_tbPNSt15iterator_traitsISL_E10value_typeEPNSR_ISM_E10value_typeEPSN_NS1_7vsmem_tEENKUlT_SL_SM_SN_E_clIS8_S8_S9_S9_EESK_S10_SL_SM_SN_EUlS10_E0_NS1_11comp_targetILNS1_3genE3ELNS1_11target_archE908ELNS1_3gpuE7ELNS1_3repE0EEENS1_38merge_mergepath_config_static_selectorELNS0_4arch9wavefront6targetE1EEEvSM_, .Lfunc_end404-_ZN7rocprim17ROCPRIM_400000_NS6detail17trampoline_kernelINS0_14default_configENS1_38merge_sort_block_merge_config_selectorIlNS0_10empty_typeEEEZZNS1_27merge_sort_block_merge_implIS3_PlPS5_mZN2at6native12_GLOBAL__N_124unique_dim_cuda_templateIiEESt5tupleIJNSA_6TensorESF_SF_EERKSF_lbbbEUlllE_EE10hipError_tT0_T1_T2_jT3_P12ihipStream_tbPNSt15iterator_traitsISL_E10value_typeEPNSR_ISM_E10value_typeEPSN_NS1_7vsmem_tEENKUlT_SL_SM_SN_E_clIS8_S8_S9_S9_EESK_S10_SL_SM_SN_EUlS10_E0_NS1_11comp_targetILNS1_3genE3ELNS1_11target_archE908ELNS1_3gpuE7ELNS1_3repE0EEENS1_38merge_mergepath_config_static_selectorELNS0_4arch9wavefront6targetE1EEEvSM_
                                        ; -- End function
	.section	.AMDGPU.csdata,"",@progbits
; Kernel info:
; codeLenInByte = 0
; NumSgprs: 4
; NumVgprs: 0
; NumAgprs: 0
; TotalNumVgprs: 0
; ScratchSize: 0
; MemoryBound: 0
; FloatMode: 240
; IeeeMode: 1
; LDSByteSize: 0 bytes/workgroup (compile time only)
; SGPRBlocks: 0
; VGPRBlocks: 0
; NumSGPRsForWavesPerEU: 4
; NumVGPRsForWavesPerEU: 1
; AccumOffset: 4
; Occupancy: 8
; WaveLimiterHint : 0
; COMPUTE_PGM_RSRC2:SCRATCH_EN: 0
; COMPUTE_PGM_RSRC2:USER_SGPR: 6
; COMPUTE_PGM_RSRC2:TRAP_HANDLER: 0
; COMPUTE_PGM_RSRC2:TGID_X_EN: 1
; COMPUTE_PGM_RSRC2:TGID_Y_EN: 0
; COMPUTE_PGM_RSRC2:TGID_Z_EN: 0
; COMPUTE_PGM_RSRC2:TIDIG_COMP_CNT: 0
; COMPUTE_PGM_RSRC3_GFX90A:ACCUM_OFFSET: 0
; COMPUTE_PGM_RSRC3_GFX90A:TG_SPLIT: 0
	.section	.text._ZN7rocprim17ROCPRIM_400000_NS6detail17trampoline_kernelINS0_14default_configENS1_38merge_sort_block_merge_config_selectorIlNS0_10empty_typeEEEZZNS1_27merge_sort_block_merge_implIS3_PlPS5_mZN2at6native12_GLOBAL__N_124unique_dim_cuda_templateIiEESt5tupleIJNSA_6TensorESF_SF_EERKSF_lbbbEUlllE_EE10hipError_tT0_T1_T2_jT3_P12ihipStream_tbPNSt15iterator_traitsISL_E10value_typeEPNSR_ISM_E10value_typeEPSN_NS1_7vsmem_tEENKUlT_SL_SM_SN_E_clIS8_S8_S9_S9_EESK_S10_SL_SM_SN_EUlS10_E0_NS1_11comp_targetILNS1_3genE2ELNS1_11target_archE906ELNS1_3gpuE6ELNS1_3repE0EEENS1_38merge_mergepath_config_static_selectorELNS0_4arch9wavefront6targetE1EEEvSM_,"axG",@progbits,_ZN7rocprim17ROCPRIM_400000_NS6detail17trampoline_kernelINS0_14default_configENS1_38merge_sort_block_merge_config_selectorIlNS0_10empty_typeEEEZZNS1_27merge_sort_block_merge_implIS3_PlPS5_mZN2at6native12_GLOBAL__N_124unique_dim_cuda_templateIiEESt5tupleIJNSA_6TensorESF_SF_EERKSF_lbbbEUlllE_EE10hipError_tT0_T1_T2_jT3_P12ihipStream_tbPNSt15iterator_traitsISL_E10value_typeEPNSR_ISM_E10value_typeEPSN_NS1_7vsmem_tEENKUlT_SL_SM_SN_E_clIS8_S8_S9_S9_EESK_S10_SL_SM_SN_EUlS10_E0_NS1_11comp_targetILNS1_3genE2ELNS1_11target_archE906ELNS1_3gpuE6ELNS1_3repE0EEENS1_38merge_mergepath_config_static_selectorELNS0_4arch9wavefront6targetE1EEEvSM_,comdat
	.globl	_ZN7rocprim17ROCPRIM_400000_NS6detail17trampoline_kernelINS0_14default_configENS1_38merge_sort_block_merge_config_selectorIlNS0_10empty_typeEEEZZNS1_27merge_sort_block_merge_implIS3_PlPS5_mZN2at6native12_GLOBAL__N_124unique_dim_cuda_templateIiEESt5tupleIJNSA_6TensorESF_SF_EERKSF_lbbbEUlllE_EE10hipError_tT0_T1_T2_jT3_P12ihipStream_tbPNSt15iterator_traitsISL_E10value_typeEPNSR_ISM_E10value_typeEPSN_NS1_7vsmem_tEENKUlT_SL_SM_SN_E_clIS8_S8_S9_S9_EESK_S10_SL_SM_SN_EUlS10_E0_NS1_11comp_targetILNS1_3genE2ELNS1_11target_archE906ELNS1_3gpuE6ELNS1_3repE0EEENS1_38merge_mergepath_config_static_selectorELNS0_4arch9wavefront6targetE1EEEvSM_ ; -- Begin function _ZN7rocprim17ROCPRIM_400000_NS6detail17trampoline_kernelINS0_14default_configENS1_38merge_sort_block_merge_config_selectorIlNS0_10empty_typeEEEZZNS1_27merge_sort_block_merge_implIS3_PlPS5_mZN2at6native12_GLOBAL__N_124unique_dim_cuda_templateIiEESt5tupleIJNSA_6TensorESF_SF_EERKSF_lbbbEUlllE_EE10hipError_tT0_T1_T2_jT3_P12ihipStream_tbPNSt15iterator_traitsISL_E10value_typeEPNSR_ISM_E10value_typeEPSN_NS1_7vsmem_tEENKUlT_SL_SM_SN_E_clIS8_S8_S9_S9_EESK_S10_SL_SM_SN_EUlS10_E0_NS1_11comp_targetILNS1_3genE2ELNS1_11target_archE906ELNS1_3gpuE6ELNS1_3repE0EEENS1_38merge_mergepath_config_static_selectorELNS0_4arch9wavefront6targetE1EEEvSM_
	.p2align	8
	.type	_ZN7rocprim17ROCPRIM_400000_NS6detail17trampoline_kernelINS0_14default_configENS1_38merge_sort_block_merge_config_selectorIlNS0_10empty_typeEEEZZNS1_27merge_sort_block_merge_implIS3_PlPS5_mZN2at6native12_GLOBAL__N_124unique_dim_cuda_templateIiEESt5tupleIJNSA_6TensorESF_SF_EERKSF_lbbbEUlllE_EE10hipError_tT0_T1_T2_jT3_P12ihipStream_tbPNSt15iterator_traitsISL_E10value_typeEPNSR_ISM_E10value_typeEPSN_NS1_7vsmem_tEENKUlT_SL_SM_SN_E_clIS8_S8_S9_S9_EESK_S10_SL_SM_SN_EUlS10_E0_NS1_11comp_targetILNS1_3genE2ELNS1_11target_archE906ELNS1_3gpuE6ELNS1_3repE0EEENS1_38merge_mergepath_config_static_selectorELNS0_4arch9wavefront6targetE1EEEvSM_,@function
_ZN7rocprim17ROCPRIM_400000_NS6detail17trampoline_kernelINS0_14default_configENS1_38merge_sort_block_merge_config_selectorIlNS0_10empty_typeEEEZZNS1_27merge_sort_block_merge_implIS3_PlPS5_mZN2at6native12_GLOBAL__N_124unique_dim_cuda_templateIiEESt5tupleIJNSA_6TensorESF_SF_EERKSF_lbbbEUlllE_EE10hipError_tT0_T1_T2_jT3_P12ihipStream_tbPNSt15iterator_traitsISL_E10value_typeEPNSR_ISM_E10value_typeEPSN_NS1_7vsmem_tEENKUlT_SL_SM_SN_E_clIS8_S8_S9_S9_EESK_S10_SL_SM_SN_EUlS10_E0_NS1_11comp_targetILNS1_3genE2ELNS1_11target_archE906ELNS1_3gpuE6ELNS1_3repE0EEENS1_38merge_mergepath_config_static_selectorELNS0_4arch9wavefront6targetE1EEEvSM_: ; @_ZN7rocprim17ROCPRIM_400000_NS6detail17trampoline_kernelINS0_14default_configENS1_38merge_sort_block_merge_config_selectorIlNS0_10empty_typeEEEZZNS1_27merge_sort_block_merge_implIS3_PlPS5_mZN2at6native12_GLOBAL__N_124unique_dim_cuda_templateIiEESt5tupleIJNSA_6TensorESF_SF_EERKSF_lbbbEUlllE_EE10hipError_tT0_T1_T2_jT3_P12ihipStream_tbPNSt15iterator_traitsISL_E10value_typeEPNSR_ISM_E10value_typeEPSN_NS1_7vsmem_tEENKUlT_SL_SM_SN_E_clIS8_S8_S9_S9_EESK_S10_SL_SM_SN_EUlS10_E0_NS1_11comp_targetILNS1_3genE2ELNS1_11target_archE906ELNS1_3gpuE6ELNS1_3repE0EEENS1_38merge_mergepath_config_static_selectorELNS0_4arch9wavefront6targetE1EEEvSM_
; %bb.0:
	.section	.rodata,"a",@progbits
	.p2align	6, 0x0
	.amdhsa_kernel _ZN7rocprim17ROCPRIM_400000_NS6detail17trampoline_kernelINS0_14default_configENS1_38merge_sort_block_merge_config_selectorIlNS0_10empty_typeEEEZZNS1_27merge_sort_block_merge_implIS3_PlPS5_mZN2at6native12_GLOBAL__N_124unique_dim_cuda_templateIiEESt5tupleIJNSA_6TensorESF_SF_EERKSF_lbbbEUlllE_EE10hipError_tT0_T1_T2_jT3_P12ihipStream_tbPNSt15iterator_traitsISL_E10value_typeEPNSR_ISM_E10value_typeEPSN_NS1_7vsmem_tEENKUlT_SL_SM_SN_E_clIS8_S8_S9_S9_EESK_S10_SL_SM_SN_EUlS10_E0_NS1_11comp_targetILNS1_3genE2ELNS1_11target_archE906ELNS1_3gpuE6ELNS1_3repE0EEENS1_38merge_mergepath_config_static_selectorELNS0_4arch9wavefront6targetE1EEEvSM_
		.amdhsa_group_segment_fixed_size 0
		.amdhsa_private_segment_fixed_size 0
		.amdhsa_kernarg_size 88
		.amdhsa_user_sgpr_count 6
		.amdhsa_user_sgpr_private_segment_buffer 1
		.amdhsa_user_sgpr_dispatch_ptr 0
		.amdhsa_user_sgpr_queue_ptr 0
		.amdhsa_user_sgpr_kernarg_segment_ptr 1
		.amdhsa_user_sgpr_dispatch_id 0
		.amdhsa_user_sgpr_flat_scratch_init 0
		.amdhsa_user_sgpr_kernarg_preload_length 0
		.amdhsa_user_sgpr_kernarg_preload_offset 0
		.amdhsa_user_sgpr_private_segment_size 0
		.amdhsa_uses_dynamic_stack 0
		.amdhsa_system_sgpr_private_segment_wavefront_offset 0
		.amdhsa_system_sgpr_workgroup_id_x 1
		.amdhsa_system_sgpr_workgroup_id_y 0
		.amdhsa_system_sgpr_workgroup_id_z 0
		.amdhsa_system_sgpr_workgroup_info 0
		.amdhsa_system_vgpr_workitem_id 0
		.amdhsa_next_free_vgpr 1
		.amdhsa_next_free_sgpr 0
		.amdhsa_accum_offset 4
		.amdhsa_reserve_vcc 0
		.amdhsa_reserve_flat_scratch 0
		.amdhsa_float_round_mode_32 0
		.amdhsa_float_round_mode_16_64 0
		.amdhsa_float_denorm_mode_32 3
		.amdhsa_float_denorm_mode_16_64 3
		.amdhsa_dx10_clamp 1
		.amdhsa_ieee_mode 1
		.amdhsa_fp16_overflow 0
		.amdhsa_tg_split 0
		.amdhsa_exception_fp_ieee_invalid_op 0
		.amdhsa_exception_fp_denorm_src 0
		.amdhsa_exception_fp_ieee_div_zero 0
		.amdhsa_exception_fp_ieee_overflow 0
		.amdhsa_exception_fp_ieee_underflow 0
		.amdhsa_exception_fp_ieee_inexact 0
		.amdhsa_exception_int_div_zero 0
	.end_amdhsa_kernel
	.section	.text._ZN7rocprim17ROCPRIM_400000_NS6detail17trampoline_kernelINS0_14default_configENS1_38merge_sort_block_merge_config_selectorIlNS0_10empty_typeEEEZZNS1_27merge_sort_block_merge_implIS3_PlPS5_mZN2at6native12_GLOBAL__N_124unique_dim_cuda_templateIiEESt5tupleIJNSA_6TensorESF_SF_EERKSF_lbbbEUlllE_EE10hipError_tT0_T1_T2_jT3_P12ihipStream_tbPNSt15iterator_traitsISL_E10value_typeEPNSR_ISM_E10value_typeEPSN_NS1_7vsmem_tEENKUlT_SL_SM_SN_E_clIS8_S8_S9_S9_EESK_S10_SL_SM_SN_EUlS10_E0_NS1_11comp_targetILNS1_3genE2ELNS1_11target_archE906ELNS1_3gpuE6ELNS1_3repE0EEENS1_38merge_mergepath_config_static_selectorELNS0_4arch9wavefront6targetE1EEEvSM_,"axG",@progbits,_ZN7rocprim17ROCPRIM_400000_NS6detail17trampoline_kernelINS0_14default_configENS1_38merge_sort_block_merge_config_selectorIlNS0_10empty_typeEEEZZNS1_27merge_sort_block_merge_implIS3_PlPS5_mZN2at6native12_GLOBAL__N_124unique_dim_cuda_templateIiEESt5tupleIJNSA_6TensorESF_SF_EERKSF_lbbbEUlllE_EE10hipError_tT0_T1_T2_jT3_P12ihipStream_tbPNSt15iterator_traitsISL_E10value_typeEPNSR_ISM_E10value_typeEPSN_NS1_7vsmem_tEENKUlT_SL_SM_SN_E_clIS8_S8_S9_S9_EESK_S10_SL_SM_SN_EUlS10_E0_NS1_11comp_targetILNS1_3genE2ELNS1_11target_archE906ELNS1_3gpuE6ELNS1_3repE0EEENS1_38merge_mergepath_config_static_selectorELNS0_4arch9wavefront6targetE1EEEvSM_,comdat
.Lfunc_end405:
	.size	_ZN7rocprim17ROCPRIM_400000_NS6detail17trampoline_kernelINS0_14default_configENS1_38merge_sort_block_merge_config_selectorIlNS0_10empty_typeEEEZZNS1_27merge_sort_block_merge_implIS3_PlPS5_mZN2at6native12_GLOBAL__N_124unique_dim_cuda_templateIiEESt5tupleIJNSA_6TensorESF_SF_EERKSF_lbbbEUlllE_EE10hipError_tT0_T1_T2_jT3_P12ihipStream_tbPNSt15iterator_traitsISL_E10value_typeEPNSR_ISM_E10value_typeEPSN_NS1_7vsmem_tEENKUlT_SL_SM_SN_E_clIS8_S8_S9_S9_EESK_S10_SL_SM_SN_EUlS10_E0_NS1_11comp_targetILNS1_3genE2ELNS1_11target_archE906ELNS1_3gpuE6ELNS1_3repE0EEENS1_38merge_mergepath_config_static_selectorELNS0_4arch9wavefront6targetE1EEEvSM_, .Lfunc_end405-_ZN7rocprim17ROCPRIM_400000_NS6detail17trampoline_kernelINS0_14default_configENS1_38merge_sort_block_merge_config_selectorIlNS0_10empty_typeEEEZZNS1_27merge_sort_block_merge_implIS3_PlPS5_mZN2at6native12_GLOBAL__N_124unique_dim_cuda_templateIiEESt5tupleIJNSA_6TensorESF_SF_EERKSF_lbbbEUlllE_EE10hipError_tT0_T1_T2_jT3_P12ihipStream_tbPNSt15iterator_traitsISL_E10value_typeEPNSR_ISM_E10value_typeEPSN_NS1_7vsmem_tEENKUlT_SL_SM_SN_E_clIS8_S8_S9_S9_EESK_S10_SL_SM_SN_EUlS10_E0_NS1_11comp_targetILNS1_3genE2ELNS1_11target_archE906ELNS1_3gpuE6ELNS1_3repE0EEENS1_38merge_mergepath_config_static_selectorELNS0_4arch9wavefront6targetE1EEEvSM_
                                        ; -- End function
	.section	.AMDGPU.csdata,"",@progbits
; Kernel info:
; codeLenInByte = 0
; NumSgprs: 4
; NumVgprs: 0
; NumAgprs: 0
; TotalNumVgprs: 0
; ScratchSize: 0
; MemoryBound: 0
; FloatMode: 240
; IeeeMode: 1
; LDSByteSize: 0 bytes/workgroup (compile time only)
; SGPRBlocks: 0
; VGPRBlocks: 0
; NumSGPRsForWavesPerEU: 4
; NumVGPRsForWavesPerEU: 1
; AccumOffset: 4
; Occupancy: 8
; WaveLimiterHint : 0
; COMPUTE_PGM_RSRC2:SCRATCH_EN: 0
; COMPUTE_PGM_RSRC2:USER_SGPR: 6
; COMPUTE_PGM_RSRC2:TRAP_HANDLER: 0
; COMPUTE_PGM_RSRC2:TGID_X_EN: 1
; COMPUTE_PGM_RSRC2:TGID_Y_EN: 0
; COMPUTE_PGM_RSRC2:TGID_Z_EN: 0
; COMPUTE_PGM_RSRC2:TIDIG_COMP_CNT: 0
; COMPUTE_PGM_RSRC3_GFX90A:ACCUM_OFFSET: 0
; COMPUTE_PGM_RSRC3_GFX90A:TG_SPLIT: 0
	.section	.text._ZN7rocprim17ROCPRIM_400000_NS6detail17trampoline_kernelINS0_14default_configENS1_38merge_sort_block_merge_config_selectorIlNS0_10empty_typeEEEZZNS1_27merge_sort_block_merge_implIS3_PlPS5_mZN2at6native12_GLOBAL__N_124unique_dim_cuda_templateIiEESt5tupleIJNSA_6TensorESF_SF_EERKSF_lbbbEUlllE_EE10hipError_tT0_T1_T2_jT3_P12ihipStream_tbPNSt15iterator_traitsISL_E10value_typeEPNSR_ISM_E10value_typeEPSN_NS1_7vsmem_tEENKUlT_SL_SM_SN_E_clIS8_S8_S9_S9_EESK_S10_SL_SM_SN_EUlS10_E0_NS1_11comp_targetILNS1_3genE9ELNS1_11target_archE1100ELNS1_3gpuE3ELNS1_3repE0EEENS1_38merge_mergepath_config_static_selectorELNS0_4arch9wavefront6targetE1EEEvSM_,"axG",@progbits,_ZN7rocprim17ROCPRIM_400000_NS6detail17trampoline_kernelINS0_14default_configENS1_38merge_sort_block_merge_config_selectorIlNS0_10empty_typeEEEZZNS1_27merge_sort_block_merge_implIS3_PlPS5_mZN2at6native12_GLOBAL__N_124unique_dim_cuda_templateIiEESt5tupleIJNSA_6TensorESF_SF_EERKSF_lbbbEUlllE_EE10hipError_tT0_T1_T2_jT3_P12ihipStream_tbPNSt15iterator_traitsISL_E10value_typeEPNSR_ISM_E10value_typeEPSN_NS1_7vsmem_tEENKUlT_SL_SM_SN_E_clIS8_S8_S9_S9_EESK_S10_SL_SM_SN_EUlS10_E0_NS1_11comp_targetILNS1_3genE9ELNS1_11target_archE1100ELNS1_3gpuE3ELNS1_3repE0EEENS1_38merge_mergepath_config_static_selectorELNS0_4arch9wavefront6targetE1EEEvSM_,comdat
	.globl	_ZN7rocprim17ROCPRIM_400000_NS6detail17trampoline_kernelINS0_14default_configENS1_38merge_sort_block_merge_config_selectorIlNS0_10empty_typeEEEZZNS1_27merge_sort_block_merge_implIS3_PlPS5_mZN2at6native12_GLOBAL__N_124unique_dim_cuda_templateIiEESt5tupleIJNSA_6TensorESF_SF_EERKSF_lbbbEUlllE_EE10hipError_tT0_T1_T2_jT3_P12ihipStream_tbPNSt15iterator_traitsISL_E10value_typeEPNSR_ISM_E10value_typeEPSN_NS1_7vsmem_tEENKUlT_SL_SM_SN_E_clIS8_S8_S9_S9_EESK_S10_SL_SM_SN_EUlS10_E0_NS1_11comp_targetILNS1_3genE9ELNS1_11target_archE1100ELNS1_3gpuE3ELNS1_3repE0EEENS1_38merge_mergepath_config_static_selectorELNS0_4arch9wavefront6targetE1EEEvSM_ ; -- Begin function _ZN7rocprim17ROCPRIM_400000_NS6detail17trampoline_kernelINS0_14default_configENS1_38merge_sort_block_merge_config_selectorIlNS0_10empty_typeEEEZZNS1_27merge_sort_block_merge_implIS3_PlPS5_mZN2at6native12_GLOBAL__N_124unique_dim_cuda_templateIiEESt5tupleIJNSA_6TensorESF_SF_EERKSF_lbbbEUlllE_EE10hipError_tT0_T1_T2_jT3_P12ihipStream_tbPNSt15iterator_traitsISL_E10value_typeEPNSR_ISM_E10value_typeEPSN_NS1_7vsmem_tEENKUlT_SL_SM_SN_E_clIS8_S8_S9_S9_EESK_S10_SL_SM_SN_EUlS10_E0_NS1_11comp_targetILNS1_3genE9ELNS1_11target_archE1100ELNS1_3gpuE3ELNS1_3repE0EEENS1_38merge_mergepath_config_static_selectorELNS0_4arch9wavefront6targetE1EEEvSM_
	.p2align	8
	.type	_ZN7rocprim17ROCPRIM_400000_NS6detail17trampoline_kernelINS0_14default_configENS1_38merge_sort_block_merge_config_selectorIlNS0_10empty_typeEEEZZNS1_27merge_sort_block_merge_implIS3_PlPS5_mZN2at6native12_GLOBAL__N_124unique_dim_cuda_templateIiEESt5tupleIJNSA_6TensorESF_SF_EERKSF_lbbbEUlllE_EE10hipError_tT0_T1_T2_jT3_P12ihipStream_tbPNSt15iterator_traitsISL_E10value_typeEPNSR_ISM_E10value_typeEPSN_NS1_7vsmem_tEENKUlT_SL_SM_SN_E_clIS8_S8_S9_S9_EESK_S10_SL_SM_SN_EUlS10_E0_NS1_11comp_targetILNS1_3genE9ELNS1_11target_archE1100ELNS1_3gpuE3ELNS1_3repE0EEENS1_38merge_mergepath_config_static_selectorELNS0_4arch9wavefront6targetE1EEEvSM_,@function
_ZN7rocprim17ROCPRIM_400000_NS6detail17trampoline_kernelINS0_14default_configENS1_38merge_sort_block_merge_config_selectorIlNS0_10empty_typeEEEZZNS1_27merge_sort_block_merge_implIS3_PlPS5_mZN2at6native12_GLOBAL__N_124unique_dim_cuda_templateIiEESt5tupleIJNSA_6TensorESF_SF_EERKSF_lbbbEUlllE_EE10hipError_tT0_T1_T2_jT3_P12ihipStream_tbPNSt15iterator_traitsISL_E10value_typeEPNSR_ISM_E10value_typeEPSN_NS1_7vsmem_tEENKUlT_SL_SM_SN_E_clIS8_S8_S9_S9_EESK_S10_SL_SM_SN_EUlS10_E0_NS1_11comp_targetILNS1_3genE9ELNS1_11target_archE1100ELNS1_3gpuE3ELNS1_3repE0EEENS1_38merge_mergepath_config_static_selectorELNS0_4arch9wavefront6targetE1EEEvSM_: ; @_ZN7rocprim17ROCPRIM_400000_NS6detail17trampoline_kernelINS0_14default_configENS1_38merge_sort_block_merge_config_selectorIlNS0_10empty_typeEEEZZNS1_27merge_sort_block_merge_implIS3_PlPS5_mZN2at6native12_GLOBAL__N_124unique_dim_cuda_templateIiEESt5tupleIJNSA_6TensorESF_SF_EERKSF_lbbbEUlllE_EE10hipError_tT0_T1_T2_jT3_P12ihipStream_tbPNSt15iterator_traitsISL_E10value_typeEPNSR_ISM_E10value_typeEPSN_NS1_7vsmem_tEENKUlT_SL_SM_SN_E_clIS8_S8_S9_S9_EESK_S10_SL_SM_SN_EUlS10_E0_NS1_11comp_targetILNS1_3genE9ELNS1_11target_archE1100ELNS1_3gpuE3ELNS1_3repE0EEENS1_38merge_mergepath_config_static_selectorELNS0_4arch9wavefront6targetE1EEEvSM_
; %bb.0:
	.section	.rodata,"a",@progbits
	.p2align	6, 0x0
	.amdhsa_kernel _ZN7rocprim17ROCPRIM_400000_NS6detail17trampoline_kernelINS0_14default_configENS1_38merge_sort_block_merge_config_selectorIlNS0_10empty_typeEEEZZNS1_27merge_sort_block_merge_implIS3_PlPS5_mZN2at6native12_GLOBAL__N_124unique_dim_cuda_templateIiEESt5tupleIJNSA_6TensorESF_SF_EERKSF_lbbbEUlllE_EE10hipError_tT0_T1_T2_jT3_P12ihipStream_tbPNSt15iterator_traitsISL_E10value_typeEPNSR_ISM_E10value_typeEPSN_NS1_7vsmem_tEENKUlT_SL_SM_SN_E_clIS8_S8_S9_S9_EESK_S10_SL_SM_SN_EUlS10_E0_NS1_11comp_targetILNS1_3genE9ELNS1_11target_archE1100ELNS1_3gpuE3ELNS1_3repE0EEENS1_38merge_mergepath_config_static_selectorELNS0_4arch9wavefront6targetE1EEEvSM_
		.amdhsa_group_segment_fixed_size 0
		.amdhsa_private_segment_fixed_size 0
		.amdhsa_kernarg_size 88
		.amdhsa_user_sgpr_count 6
		.amdhsa_user_sgpr_private_segment_buffer 1
		.amdhsa_user_sgpr_dispatch_ptr 0
		.amdhsa_user_sgpr_queue_ptr 0
		.amdhsa_user_sgpr_kernarg_segment_ptr 1
		.amdhsa_user_sgpr_dispatch_id 0
		.amdhsa_user_sgpr_flat_scratch_init 0
		.amdhsa_user_sgpr_kernarg_preload_length 0
		.amdhsa_user_sgpr_kernarg_preload_offset 0
		.amdhsa_user_sgpr_private_segment_size 0
		.amdhsa_uses_dynamic_stack 0
		.amdhsa_system_sgpr_private_segment_wavefront_offset 0
		.amdhsa_system_sgpr_workgroup_id_x 1
		.amdhsa_system_sgpr_workgroup_id_y 0
		.amdhsa_system_sgpr_workgroup_id_z 0
		.amdhsa_system_sgpr_workgroup_info 0
		.amdhsa_system_vgpr_workitem_id 0
		.amdhsa_next_free_vgpr 1
		.amdhsa_next_free_sgpr 0
		.amdhsa_accum_offset 4
		.amdhsa_reserve_vcc 0
		.amdhsa_reserve_flat_scratch 0
		.amdhsa_float_round_mode_32 0
		.amdhsa_float_round_mode_16_64 0
		.amdhsa_float_denorm_mode_32 3
		.amdhsa_float_denorm_mode_16_64 3
		.amdhsa_dx10_clamp 1
		.amdhsa_ieee_mode 1
		.amdhsa_fp16_overflow 0
		.amdhsa_tg_split 0
		.amdhsa_exception_fp_ieee_invalid_op 0
		.amdhsa_exception_fp_denorm_src 0
		.amdhsa_exception_fp_ieee_div_zero 0
		.amdhsa_exception_fp_ieee_overflow 0
		.amdhsa_exception_fp_ieee_underflow 0
		.amdhsa_exception_fp_ieee_inexact 0
		.amdhsa_exception_int_div_zero 0
	.end_amdhsa_kernel
	.section	.text._ZN7rocprim17ROCPRIM_400000_NS6detail17trampoline_kernelINS0_14default_configENS1_38merge_sort_block_merge_config_selectorIlNS0_10empty_typeEEEZZNS1_27merge_sort_block_merge_implIS3_PlPS5_mZN2at6native12_GLOBAL__N_124unique_dim_cuda_templateIiEESt5tupleIJNSA_6TensorESF_SF_EERKSF_lbbbEUlllE_EE10hipError_tT0_T1_T2_jT3_P12ihipStream_tbPNSt15iterator_traitsISL_E10value_typeEPNSR_ISM_E10value_typeEPSN_NS1_7vsmem_tEENKUlT_SL_SM_SN_E_clIS8_S8_S9_S9_EESK_S10_SL_SM_SN_EUlS10_E0_NS1_11comp_targetILNS1_3genE9ELNS1_11target_archE1100ELNS1_3gpuE3ELNS1_3repE0EEENS1_38merge_mergepath_config_static_selectorELNS0_4arch9wavefront6targetE1EEEvSM_,"axG",@progbits,_ZN7rocprim17ROCPRIM_400000_NS6detail17trampoline_kernelINS0_14default_configENS1_38merge_sort_block_merge_config_selectorIlNS0_10empty_typeEEEZZNS1_27merge_sort_block_merge_implIS3_PlPS5_mZN2at6native12_GLOBAL__N_124unique_dim_cuda_templateIiEESt5tupleIJNSA_6TensorESF_SF_EERKSF_lbbbEUlllE_EE10hipError_tT0_T1_T2_jT3_P12ihipStream_tbPNSt15iterator_traitsISL_E10value_typeEPNSR_ISM_E10value_typeEPSN_NS1_7vsmem_tEENKUlT_SL_SM_SN_E_clIS8_S8_S9_S9_EESK_S10_SL_SM_SN_EUlS10_E0_NS1_11comp_targetILNS1_3genE9ELNS1_11target_archE1100ELNS1_3gpuE3ELNS1_3repE0EEENS1_38merge_mergepath_config_static_selectorELNS0_4arch9wavefront6targetE1EEEvSM_,comdat
.Lfunc_end406:
	.size	_ZN7rocprim17ROCPRIM_400000_NS6detail17trampoline_kernelINS0_14default_configENS1_38merge_sort_block_merge_config_selectorIlNS0_10empty_typeEEEZZNS1_27merge_sort_block_merge_implIS3_PlPS5_mZN2at6native12_GLOBAL__N_124unique_dim_cuda_templateIiEESt5tupleIJNSA_6TensorESF_SF_EERKSF_lbbbEUlllE_EE10hipError_tT0_T1_T2_jT3_P12ihipStream_tbPNSt15iterator_traitsISL_E10value_typeEPNSR_ISM_E10value_typeEPSN_NS1_7vsmem_tEENKUlT_SL_SM_SN_E_clIS8_S8_S9_S9_EESK_S10_SL_SM_SN_EUlS10_E0_NS1_11comp_targetILNS1_3genE9ELNS1_11target_archE1100ELNS1_3gpuE3ELNS1_3repE0EEENS1_38merge_mergepath_config_static_selectorELNS0_4arch9wavefront6targetE1EEEvSM_, .Lfunc_end406-_ZN7rocprim17ROCPRIM_400000_NS6detail17trampoline_kernelINS0_14default_configENS1_38merge_sort_block_merge_config_selectorIlNS0_10empty_typeEEEZZNS1_27merge_sort_block_merge_implIS3_PlPS5_mZN2at6native12_GLOBAL__N_124unique_dim_cuda_templateIiEESt5tupleIJNSA_6TensorESF_SF_EERKSF_lbbbEUlllE_EE10hipError_tT0_T1_T2_jT3_P12ihipStream_tbPNSt15iterator_traitsISL_E10value_typeEPNSR_ISM_E10value_typeEPSN_NS1_7vsmem_tEENKUlT_SL_SM_SN_E_clIS8_S8_S9_S9_EESK_S10_SL_SM_SN_EUlS10_E0_NS1_11comp_targetILNS1_3genE9ELNS1_11target_archE1100ELNS1_3gpuE3ELNS1_3repE0EEENS1_38merge_mergepath_config_static_selectorELNS0_4arch9wavefront6targetE1EEEvSM_
                                        ; -- End function
	.section	.AMDGPU.csdata,"",@progbits
; Kernel info:
; codeLenInByte = 0
; NumSgprs: 4
; NumVgprs: 0
; NumAgprs: 0
; TotalNumVgprs: 0
; ScratchSize: 0
; MemoryBound: 0
; FloatMode: 240
; IeeeMode: 1
; LDSByteSize: 0 bytes/workgroup (compile time only)
; SGPRBlocks: 0
; VGPRBlocks: 0
; NumSGPRsForWavesPerEU: 4
; NumVGPRsForWavesPerEU: 1
; AccumOffset: 4
; Occupancy: 8
; WaveLimiterHint : 0
; COMPUTE_PGM_RSRC2:SCRATCH_EN: 0
; COMPUTE_PGM_RSRC2:USER_SGPR: 6
; COMPUTE_PGM_RSRC2:TRAP_HANDLER: 0
; COMPUTE_PGM_RSRC2:TGID_X_EN: 1
; COMPUTE_PGM_RSRC2:TGID_Y_EN: 0
; COMPUTE_PGM_RSRC2:TGID_Z_EN: 0
; COMPUTE_PGM_RSRC2:TIDIG_COMP_CNT: 0
; COMPUTE_PGM_RSRC3_GFX90A:ACCUM_OFFSET: 0
; COMPUTE_PGM_RSRC3_GFX90A:TG_SPLIT: 0
	.section	.text._ZN7rocprim17ROCPRIM_400000_NS6detail17trampoline_kernelINS0_14default_configENS1_38merge_sort_block_merge_config_selectorIlNS0_10empty_typeEEEZZNS1_27merge_sort_block_merge_implIS3_PlPS5_mZN2at6native12_GLOBAL__N_124unique_dim_cuda_templateIiEESt5tupleIJNSA_6TensorESF_SF_EERKSF_lbbbEUlllE_EE10hipError_tT0_T1_T2_jT3_P12ihipStream_tbPNSt15iterator_traitsISL_E10value_typeEPNSR_ISM_E10value_typeEPSN_NS1_7vsmem_tEENKUlT_SL_SM_SN_E_clIS8_S8_S9_S9_EESK_S10_SL_SM_SN_EUlS10_E0_NS1_11comp_targetILNS1_3genE8ELNS1_11target_archE1030ELNS1_3gpuE2ELNS1_3repE0EEENS1_38merge_mergepath_config_static_selectorELNS0_4arch9wavefront6targetE1EEEvSM_,"axG",@progbits,_ZN7rocprim17ROCPRIM_400000_NS6detail17trampoline_kernelINS0_14default_configENS1_38merge_sort_block_merge_config_selectorIlNS0_10empty_typeEEEZZNS1_27merge_sort_block_merge_implIS3_PlPS5_mZN2at6native12_GLOBAL__N_124unique_dim_cuda_templateIiEESt5tupleIJNSA_6TensorESF_SF_EERKSF_lbbbEUlllE_EE10hipError_tT0_T1_T2_jT3_P12ihipStream_tbPNSt15iterator_traitsISL_E10value_typeEPNSR_ISM_E10value_typeEPSN_NS1_7vsmem_tEENKUlT_SL_SM_SN_E_clIS8_S8_S9_S9_EESK_S10_SL_SM_SN_EUlS10_E0_NS1_11comp_targetILNS1_3genE8ELNS1_11target_archE1030ELNS1_3gpuE2ELNS1_3repE0EEENS1_38merge_mergepath_config_static_selectorELNS0_4arch9wavefront6targetE1EEEvSM_,comdat
	.globl	_ZN7rocprim17ROCPRIM_400000_NS6detail17trampoline_kernelINS0_14default_configENS1_38merge_sort_block_merge_config_selectorIlNS0_10empty_typeEEEZZNS1_27merge_sort_block_merge_implIS3_PlPS5_mZN2at6native12_GLOBAL__N_124unique_dim_cuda_templateIiEESt5tupleIJNSA_6TensorESF_SF_EERKSF_lbbbEUlllE_EE10hipError_tT0_T1_T2_jT3_P12ihipStream_tbPNSt15iterator_traitsISL_E10value_typeEPNSR_ISM_E10value_typeEPSN_NS1_7vsmem_tEENKUlT_SL_SM_SN_E_clIS8_S8_S9_S9_EESK_S10_SL_SM_SN_EUlS10_E0_NS1_11comp_targetILNS1_3genE8ELNS1_11target_archE1030ELNS1_3gpuE2ELNS1_3repE0EEENS1_38merge_mergepath_config_static_selectorELNS0_4arch9wavefront6targetE1EEEvSM_ ; -- Begin function _ZN7rocprim17ROCPRIM_400000_NS6detail17trampoline_kernelINS0_14default_configENS1_38merge_sort_block_merge_config_selectorIlNS0_10empty_typeEEEZZNS1_27merge_sort_block_merge_implIS3_PlPS5_mZN2at6native12_GLOBAL__N_124unique_dim_cuda_templateIiEESt5tupleIJNSA_6TensorESF_SF_EERKSF_lbbbEUlllE_EE10hipError_tT0_T1_T2_jT3_P12ihipStream_tbPNSt15iterator_traitsISL_E10value_typeEPNSR_ISM_E10value_typeEPSN_NS1_7vsmem_tEENKUlT_SL_SM_SN_E_clIS8_S8_S9_S9_EESK_S10_SL_SM_SN_EUlS10_E0_NS1_11comp_targetILNS1_3genE8ELNS1_11target_archE1030ELNS1_3gpuE2ELNS1_3repE0EEENS1_38merge_mergepath_config_static_selectorELNS0_4arch9wavefront6targetE1EEEvSM_
	.p2align	8
	.type	_ZN7rocprim17ROCPRIM_400000_NS6detail17trampoline_kernelINS0_14default_configENS1_38merge_sort_block_merge_config_selectorIlNS0_10empty_typeEEEZZNS1_27merge_sort_block_merge_implIS3_PlPS5_mZN2at6native12_GLOBAL__N_124unique_dim_cuda_templateIiEESt5tupleIJNSA_6TensorESF_SF_EERKSF_lbbbEUlllE_EE10hipError_tT0_T1_T2_jT3_P12ihipStream_tbPNSt15iterator_traitsISL_E10value_typeEPNSR_ISM_E10value_typeEPSN_NS1_7vsmem_tEENKUlT_SL_SM_SN_E_clIS8_S8_S9_S9_EESK_S10_SL_SM_SN_EUlS10_E0_NS1_11comp_targetILNS1_3genE8ELNS1_11target_archE1030ELNS1_3gpuE2ELNS1_3repE0EEENS1_38merge_mergepath_config_static_selectorELNS0_4arch9wavefront6targetE1EEEvSM_,@function
_ZN7rocprim17ROCPRIM_400000_NS6detail17trampoline_kernelINS0_14default_configENS1_38merge_sort_block_merge_config_selectorIlNS0_10empty_typeEEEZZNS1_27merge_sort_block_merge_implIS3_PlPS5_mZN2at6native12_GLOBAL__N_124unique_dim_cuda_templateIiEESt5tupleIJNSA_6TensorESF_SF_EERKSF_lbbbEUlllE_EE10hipError_tT0_T1_T2_jT3_P12ihipStream_tbPNSt15iterator_traitsISL_E10value_typeEPNSR_ISM_E10value_typeEPSN_NS1_7vsmem_tEENKUlT_SL_SM_SN_E_clIS8_S8_S9_S9_EESK_S10_SL_SM_SN_EUlS10_E0_NS1_11comp_targetILNS1_3genE8ELNS1_11target_archE1030ELNS1_3gpuE2ELNS1_3repE0EEENS1_38merge_mergepath_config_static_selectorELNS0_4arch9wavefront6targetE1EEEvSM_: ; @_ZN7rocprim17ROCPRIM_400000_NS6detail17trampoline_kernelINS0_14default_configENS1_38merge_sort_block_merge_config_selectorIlNS0_10empty_typeEEEZZNS1_27merge_sort_block_merge_implIS3_PlPS5_mZN2at6native12_GLOBAL__N_124unique_dim_cuda_templateIiEESt5tupleIJNSA_6TensorESF_SF_EERKSF_lbbbEUlllE_EE10hipError_tT0_T1_T2_jT3_P12ihipStream_tbPNSt15iterator_traitsISL_E10value_typeEPNSR_ISM_E10value_typeEPSN_NS1_7vsmem_tEENKUlT_SL_SM_SN_E_clIS8_S8_S9_S9_EESK_S10_SL_SM_SN_EUlS10_E0_NS1_11comp_targetILNS1_3genE8ELNS1_11target_archE1030ELNS1_3gpuE2ELNS1_3repE0EEENS1_38merge_mergepath_config_static_selectorELNS0_4arch9wavefront6targetE1EEEvSM_
; %bb.0:
	.section	.rodata,"a",@progbits
	.p2align	6, 0x0
	.amdhsa_kernel _ZN7rocprim17ROCPRIM_400000_NS6detail17trampoline_kernelINS0_14default_configENS1_38merge_sort_block_merge_config_selectorIlNS0_10empty_typeEEEZZNS1_27merge_sort_block_merge_implIS3_PlPS5_mZN2at6native12_GLOBAL__N_124unique_dim_cuda_templateIiEESt5tupleIJNSA_6TensorESF_SF_EERKSF_lbbbEUlllE_EE10hipError_tT0_T1_T2_jT3_P12ihipStream_tbPNSt15iterator_traitsISL_E10value_typeEPNSR_ISM_E10value_typeEPSN_NS1_7vsmem_tEENKUlT_SL_SM_SN_E_clIS8_S8_S9_S9_EESK_S10_SL_SM_SN_EUlS10_E0_NS1_11comp_targetILNS1_3genE8ELNS1_11target_archE1030ELNS1_3gpuE2ELNS1_3repE0EEENS1_38merge_mergepath_config_static_selectorELNS0_4arch9wavefront6targetE1EEEvSM_
		.amdhsa_group_segment_fixed_size 0
		.amdhsa_private_segment_fixed_size 0
		.amdhsa_kernarg_size 88
		.amdhsa_user_sgpr_count 6
		.amdhsa_user_sgpr_private_segment_buffer 1
		.amdhsa_user_sgpr_dispatch_ptr 0
		.amdhsa_user_sgpr_queue_ptr 0
		.amdhsa_user_sgpr_kernarg_segment_ptr 1
		.amdhsa_user_sgpr_dispatch_id 0
		.amdhsa_user_sgpr_flat_scratch_init 0
		.amdhsa_user_sgpr_kernarg_preload_length 0
		.amdhsa_user_sgpr_kernarg_preload_offset 0
		.amdhsa_user_sgpr_private_segment_size 0
		.amdhsa_uses_dynamic_stack 0
		.amdhsa_system_sgpr_private_segment_wavefront_offset 0
		.amdhsa_system_sgpr_workgroup_id_x 1
		.amdhsa_system_sgpr_workgroup_id_y 0
		.amdhsa_system_sgpr_workgroup_id_z 0
		.amdhsa_system_sgpr_workgroup_info 0
		.amdhsa_system_vgpr_workitem_id 0
		.amdhsa_next_free_vgpr 1
		.amdhsa_next_free_sgpr 0
		.amdhsa_accum_offset 4
		.amdhsa_reserve_vcc 0
		.amdhsa_reserve_flat_scratch 0
		.amdhsa_float_round_mode_32 0
		.amdhsa_float_round_mode_16_64 0
		.amdhsa_float_denorm_mode_32 3
		.amdhsa_float_denorm_mode_16_64 3
		.amdhsa_dx10_clamp 1
		.amdhsa_ieee_mode 1
		.amdhsa_fp16_overflow 0
		.amdhsa_tg_split 0
		.amdhsa_exception_fp_ieee_invalid_op 0
		.amdhsa_exception_fp_denorm_src 0
		.amdhsa_exception_fp_ieee_div_zero 0
		.amdhsa_exception_fp_ieee_overflow 0
		.amdhsa_exception_fp_ieee_underflow 0
		.amdhsa_exception_fp_ieee_inexact 0
		.amdhsa_exception_int_div_zero 0
	.end_amdhsa_kernel
	.section	.text._ZN7rocprim17ROCPRIM_400000_NS6detail17trampoline_kernelINS0_14default_configENS1_38merge_sort_block_merge_config_selectorIlNS0_10empty_typeEEEZZNS1_27merge_sort_block_merge_implIS3_PlPS5_mZN2at6native12_GLOBAL__N_124unique_dim_cuda_templateIiEESt5tupleIJNSA_6TensorESF_SF_EERKSF_lbbbEUlllE_EE10hipError_tT0_T1_T2_jT3_P12ihipStream_tbPNSt15iterator_traitsISL_E10value_typeEPNSR_ISM_E10value_typeEPSN_NS1_7vsmem_tEENKUlT_SL_SM_SN_E_clIS8_S8_S9_S9_EESK_S10_SL_SM_SN_EUlS10_E0_NS1_11comp_targetILNS1_3genE8ELNS1_11target_archE1030ELNS1_3gpuE2ELNS1_3repE0EEENS1_38merge_mergepath_config_static_selectorELNS0_4arch9wavefront6targetE1EEEvSM_,"axG",@progbits,_ZN7rocprim17ROCPRIM_400000_NS6detail17trampoline_kernelINS0_14default_configENS1_38merge_sort_block_merge_config_selectorIlNS0_10empty_typeEEEZZNS1_27merge_sort_block_merge_implIS3_PlPS5_mZN2at6native12_GLOBAL__N_124unique_dim_cuda_templateIiEESt5tupleIJNSA_6TensorESF_SF_EERKSF_lbbbEUlllE_EE10hipError_tT0_T1_T2_jT3_P12ihipStream_tbPNSt15iterator_traitsISL_E10value_typeEPNSR_ISM_E10value_typeEPSN_NS1_7vsmem_tEENKUlT_SL_SM_SN_E_clIS8_S8_S9_S9_EESK_S10_SL_SM_SN_EUlS10_E0_NS1_11comp_targetILNS1_3genE8ELNS1_11target_archE1030ELNS1_3gpuE2ELNS1_3repE0EEENS1_38merge_mergepath_config_static_selectorELNS0_4arch9wavefront6targetE1EEEvSM_,comdat
.Lfunc_end407:
	.size	_ZN7rocprim17ROCPRIM_400000_NS6detail17trampoline_kernelINS0_14default_configENS1_38merge_sort_block_merge_config_selectorIlNS0_10empty_typeEEEZZNS1_27merge_sort_block_merge_implIS3_PlPS5_mZN2at6native12_GLOBAL__N_124unique_dim_cuda_templateIiEESt5tupleIJNSA_6TensorESF_SF_EERKSF_lbbbEUlllE_EE10hipError_tT0_T1_T2_jT3_P12ihipStream_tbPNSt15iterator_traitsISL_E10value_typeEPNSR_ISM_E10value_typeEPSN_NS1_7vsmem_tEENKUlT_SL_SM_SN_E_clIS8_S8_S9_S9_EESK_S10_SL_SM_SN_EUlS10_E0_NS1_11comp_targetILNS1_3genE8ELNS1_11target_archE1030ELNS1_3gpuE2ELNS1_3repE0EEENS1_38merge_mergepath_config_static_selectorELNS0_4arch9wavefront6targetE1EEEvSM_, .Lfunc_end407-_ZN7rocprim17ROCPRIM_400000_NS6detail17trampoline_kernelINS0_14default_configENS1_38merge_sort_block_merge_config_selectorIlNS0_10empty_typeEEEZZNS1_27merge_sort_block_merge_implIS3_PlPS5_mZN2at6native12_GLOBAL__N_124unique_dim_cuda_templateIiEESt5tupleIJNSA_6TensorESF_SF_EERKSF_lbbbEUlllE_EE10hipError_tT0_T1_T2_jT3_P12ihipStream_tbPNSt15iterator_traitsISL_E10value_typeEPNSR_ISM_E10value_typeEPSN_NS1_7vsmem_tEENKUlT_SL_SM_SN_E_clIS8_S8_S9_S9_EESK_S10_SL_SM_SN_EUlS10_E0_NS1_11comp_targetILNS1_3genE8ELNS1_11target_archE1030ELNS1_3gpuE2ELNS1_3repE0EEENS1_38merge_mergepath_config_static_selectorELNS0_4arch9wavefront6targetE1EEEvSM_
                                        ; -- End function
	.section	.AMDGPU.csdata,"",@progbits
; Kernel info:
; codeLenInByte = 0
; NumSgprs: 4
; NumVgprs: 0
; NumAgprs: 0
; TotalNumVgprs: 0
; ScratchSize: 0
; MemoryBound: 0
; FloatMode: 240
; IeeeMode: 1
; LDSByteSize: 0 bytes/workgroup (compile time only)
; SGPRBlocks: 0
; VGPRBlocks: 0
; NumSGPRsForWavesPerEU: 4
; NumVGPRsForWavesPerEU: 1
; AccumOffset: 4
; Occupancy: 8
; WaveLimiterHint : 0
; COMPUTE_PGM_RSRC2:SCRATCH_EN: 0
; COMPUTE_PGM_RSRC2:USER_SGPR: 6
; COMPUTE_PGM_RSRC2:TRAP_HANDLER: 0
; COMPUTE_PGM_RSRC2:TGID_X_EN: 1
; COMPUTE_PGM_RSRC2:TGID_Y_EN: 0
; COMPUTE_PGM_RSRC2:TGID_Z_EN: 0
; COMPUTE_PGM_RSRC2:TIDIG_COMP_CNT: 0
; COMPUTE_PGM_RSRC3_GFX90A:ACCUM_OFFSET: 0
; COMPUTE_PGM_RSRC3_GFX90A:TG_SPLIT: 0
	.section	.text._ZN7rocprim17ROCPRIM_400000_NS6detail17trampoline_kernelINS0_14default_configENS1_38merge_sort_block_merge_config_selectorIlNS0_10empty_typeEEEZZNS1_27merge_sort_block_merge_implIS3_PlPS5_mZN2at6native12_GLOBAL__N_124unique_dim_cuda_templateIiEESt5tupleIJNSA_6TensorESF_SF_EERKSF_lbbbEUlllE_EE10hipError_tT0_T1_T2_jT3_P12ihipStream_tbPNSt15iterator_traitsISL_E10value_typeEPNSR_ISM_E10value_typeEPSN_NS1_7vsmem_tEENKUlT_SL_SM_SN_E_clIS8_S8_S9_S9_EESK_S10_SL_SM_SN_EUlS10_E1_NS1_11comp_targetILNS1_3genE0ELNS1_11target_archE4294967295ELNS1_3gpuE0ELNS1_3repE0EEENS1_36merge_oddeven_config_static_selectorELNS0_4arch9wavefront6targetE1EEEvSM_,"axG",@progbits,_ZN7rocprim17ROCPRIM_400000_NS6detail17trampoline_kernelINS0_14default_configENS1_38merge_sort_block_merge_config_selectorIlNS0_10empty_typeEEEZZNS1_27merge_sort_block_merge_implIS3_PlPS5_mZN2at6native12_GLOBAL__N_124unique_dim_cuda_templateIiEESt5tupleIJNSA_6TensorESF_SF_EERKSF_lbbbEUlllE_EE10hipError_tT0_T1_T2_jT3_P12ihipStream_tbPNSt15iterator_traitsISL_E10value_typeEPNSR_ISM_E10value_typeEPSN_NS1_7vsmem_tEENKUlT_SL_SM_SN_E_clIS8_S8_S9_S9_EESK_S10_SL_SM_SN_EUlS10_E1_NS1_11comp_targetILNS1_3genE0ELNS1_11target_archE4294967295ELNS1_3gpuE0ELNS1_3repE0EEENS1_36merge_oddeven_config_static_selectorELNS0_4arch9wavefront6targetE1EEEvSM_,comdat
	.globl	_ZN7rocprim17ROCPRIM_400000_NS6detail17trampoline_kernelINS0_14default_configENS1_38merge_sort_block_merge_config_selectorIlNS0_10empty_typeEEEZZNS1_27merge_sort_block_merge_implIS3_PlPS5_mZN2at6native12_GLOBAL__N_124unique_dim_cuda_templateIiEESt5tupleIJNSA_6TensorESF_SF_EERKSF_lbbbEUlllE_EE10hipError_tT0_T1_T2_jT3_P12ihipStream_tbPNSt15iterator_traitsISL_E10value_typeEPNSR_ISM_E10value_typeEPSN_NS1_7vsmem_tEENKUlT_SL_SM_SN_E_clIS8_S8_S9_S9_EESK_S10_SL_SM_SN_EUlS10_E1_NS1_11comp_targetILNS1_3genE0ELNS1_11target_archE4294967295ELNS1_3gpuE0ELNS1_3repE0EEENS1_36merge_oddeven_config_static_selectorELNS0_4arch9wavefront6targetE1EEEvSM_ ; -- Begin function _ZN7rocprim17ROCPRIM_400000_NS6detail17trampoline_kernelINS0_14default_configENS1_38merge_sort_block_merge_config_selectorIlNS0_10empty_typeEEEZZNS1_27merge_sort_block_merge_implIS3_PlPS5_mZN2at6native12_GLOBAL__N_124unique_dim_cuda_templateIiEESt5tupleIJNSA_6TensorESF_SF_EERKSF_lbbbEUlllE_EE10hipError_tT0_T1_T2_jT3_P12ihipStream_tbPNSt15iterator_traitsISL_E10value_typeEPNSR_ISM_E10value_typeEPSN_NS1_7vsmem_tEENKUlT_SL_SM_SN_E_clIS8_S8_S9_S9_EESK_S10_SL_SM_SN_EUlS10_E1_NS1_11comp_targetILNS1_3genE0ELNS1_11target_archE4294967295ELNS1_3gpuE0ELNS1_3repE0EEENS1_36merge_oddeven_config_static_selectorELNS0_4arch9wavefront6targetE1EEEvSM_
	.p2align	8
	.type	_ZN7rocprim17ROCPRIM_400000_NS6detail17trampoline_kernelINS0_14default_configENS1_38merge_sort_block_merge_config_selectorIlNS0_10empty_typeEEEZZNS1_27merge_sort_block_merge_implIS3_PlPS5_mZN2at6native12_GLOBAL__N_124unique_dim_cuda_templateIiEESt5tupleIJNSA_6TensorESF_SF_EERKSF_lbbbEUlllE_EE10hipError_tT0_T1_T2_jT3_P12ihipStream_tbPNSt15iterator_traitsISL_E10value_typeEPNSR_ISM_E10value_typeEPSN_NS1_7vsmem_tEENKUlT_SL_SM_SN_E_clIS8_S8_S9_S9_EESK_S10_SL_SM_SN_EUlS10_E1_NS1_11comp_targetILNS1_3genE0ELNS1_11target_archE4294967295ELNS1_3gpuE0ELNS1_3repE0EEENS1_36merge_oddeven_config_static_selectorELNS0_4arch9wavefront6targetE1EEEvSM_,@function
_ZN7rocprim17ROCPRIM_400000_NS6detail17trampoline_kernelINS0_14default_configENS1_38merge_sort_block_merge_config_selectorIlNS0_10empty_typeEEEZZNS1_27merge_sort_block_merge_implIS3_PlPS5_mZN2at6native12_GLOBAL__N_124unique_dim_cuda_templateIiEESt5tupleIJNSA_6TensorESF_SF_EERKSF_lbbbEUlllE_EE10hipError_tT0_T1_T2_jT3_P12ihipStream_tbPNSt15iterator_traitsISL_E10value_typeEPNSR_ISM_E10value_typeEPSN_NS1_7vsmem_tEENKUlT_SL_SM_SN_E_clIS8_S8_S9_S9_EESK_S10_SL_SM_SN_EUlS10_E1_NS1_11comp_targetILNS1_3genE0ELNS1_11target_archE4294967295ELNS1_3gpuE0ELNS1_3repE0EEENS1_36merge_oddeven_config_static_selectorELNS0_4arch9wavefront6targetE1EEEvSM_: ; @_ZN7rocprim17ROCPRIM_400000_NS6detail17trampoline_kernelINS0_14default_configENS1_38merge_sort_block_merge_config_selectorIlNS0_10empty_typeEEEZZNS1_27merge_sort_block_merge_implIS3_PlPS5_mZN2at6native12_GLOBAL__N_124unique_dim_cuda_templateIiEESt5tupleIJNSA_6TensorESF_SF_EERKSF_lbbbEUlllE_EE10hipError_tT0_T1_T2_jT3_P12ihipStream_tbPNSt15iterator_traitsISL_E10value_typeEPNSR_ISM_E10value_typeEPSN_NS1_7vsmem_tEENKUlT_SL_SM_SN_E_clIS8_S8_S9_S9_EESK_S10_SL_SM_SN_EUlS10_E1_NS1_11comp_targetILNS1_3genE0ELNS1_11target_archE4294967295ELNS1_3gpuE0ELNS1_3repE0EEENS1_36merge_oddeven_config_static_selectorELNS0_4arch9wavefront6targetE1EEEvSM_
; %bb.0:
	.section	.rodata,"a",@progbits
	.p2align	6, 0x0
	.amdhsa_kernel _ZN7rocprim17ROCPRIM_400000_NS6detail17trampoline_kernelINS0_14default_configENS1_38merge_sort_block_merge_config_selectorIlNS0_10empty_typeEEEZZNS1_27merge_sort_block_merge_implIS3_PlPS5_mZN2at6native12_GLOBAL__N_124unique_dim_cuda_templateIiEESt5tupleIJNSA_6TensorESF_SF_EERKSF_lbbbEUlllE_EE10hipError_tT0_T1_T2_jT3_P12ihipStream_tbPNSt15iterator_traitsISL_E10value_typeEPNSR_ISM_E10value_typeEPSN_NS1_7vsmem_tEENKUlT_SL_SM_SN_E_clIS8_S8_S9_S9_EESK_S10_SL_SM_SN_EUlS10_E1_NS1_11comp_targetILNS1_3genE0ELNS1_11target_archE4294967295ELNS1_3gpuE0ELNS1_3repE0EEENS1_36merge_oddeven_config_static_selectorELNS0_4arch9wavefront6targetE1EEEvSM_
		.amdhsa_group_segment_fixed_size 0
		.amdhsa_private_segment_fixed_size 0
		.amdhsa_kernarg_size 64
		.amdhsa_user_sgpr_count 6
		.amdhsa_user_sgpr_private_segment_buffer 1
		.amdhsa_user_sgpr_dispatch_ptr 0
		.amdhsa_user_sgpr_queue_ptr 0
		.amdhsa_user_sgpr_kernarg_segment_ptr 1
		.amdhsa_user_sgpr_dispatch_id 0
		.amdhsa_user_sgpr_flat_scratch_init 0
		.amdhsa_user_sgpr_kernarg_preload_length 0
		.amdhsa_user_sgpr_kernarg_preload_offset 0
		.amdhsa_user_sgpr_private_segment_size 0
		.amdhsa_uses_dynamic_stack 0
		.amdhsa_system_sgpr_private_segment_wavefront_offset 0
		.amdhsa_system_sgpr_workgroup_id_x 1
		.amdhsa_system_sgpr_workgroup_id_y 0
		.amdhsa_system_sgpr_workgroup_id_z 0
		.amdhsa_system_sgpr_workgroup_info 0
		.amdhsa_system_vgpr_workitem_id 0
		.amdhsa_next_free_vgpr 1
		.amdhsa_next_free_sgpr 0
		.amdhsa_accum_offset 4
		.amdhsa_reserve_vcc 0
		.amdhsa_reserve_flat_scratch 0
		.amdhsa_float_round_mode_32 0
		.amdhsa_float_round_mode_16_64 0
		.amdhsa_float_denorm_mode_32 3
		.amdhsa_float_denorm_mode_16_64 3
		.amdhsa_dx10_clamp 1
		.amdhsa_ieee_mode 1
		.amdhsa_fp16_overflow 0
		.amdhsa_tg_split 0
		.amdhsa_exception_fp_ieee_invalid_op 0
		.amdhsa_exception_fp_denorm_src 0
		.amdhsa_exception_fp_ieee_div_zero 0
		.amdhsa_exception_fp_ieee_overflow 0
		.amdhsa_exception_fp_ieee_underflow 0
		.amdhsa_exception_fp_ieee_inexact 0
		.amdhsa_exception_int_div_zero 0
	.end_amdhsa_kernel
	.section	.text._ZN7rocprim17ROCPRIM_400000_NS6detail17trampoline_kernelINS0_14default_configENS1_38merge_sort_block_merge_config_selectorIlNS0_10empty_typeEEEZZNS1_27merge_sort_block_merge_implIS3_PlPS5_mZN2at6native12_GLOBAL__N_124unique_dim_cuda_templateIiEESt5tupleIJNSA_6TensorESF_SF_EERKSF_lbbbEUlllE_EE10hipError_tT0_T1_T2_jT3_P12ihipStream_tbPNSt15iterator_traitsISL_E10value_typeEPNSR_ISM_E10value_typeEPSN_NS1_7vsmem_tEENKUlT_SL_SM_SN_E_clIS8_S8_S9_S9_EESK_S10_SL_SM_SN_EUlS10_E1_NS1_11comp_targetILNS1_3genE0ELNS1_11target_archE4294967295ELNS1_3gpuE0ELNS1_3repE0EEENS1_36merge_oddeven_config_static_selectorELNS0_4arch9wavefront6targetE1EEEvSM_,"axG",@progbits,_ZN7rocprim17ROCPRIM_400000_NS6detail17trampoline_kernelINS0_14default_configENS1_38merge_sort_block_merge_config_selectorIlNS0_10empty_typeEEEZZNS1_27merge_sort_block_merge_implIS3_PlPS5_mZN2at6native12_GLOBAL__N_124unique_dim_cuda_templateIiEESt5tupleIJNSA_6TensorESF_SF_EERKSF_lbbbEUlllE_EE10hipError_tT0_T1_T2_jT3_P12ihipStream_tbPNSt15iterator_traitsISL_E10value_typeEPNSR_ISM_E10value_typeEPSN_NS1_7vsmem_tEENKUlT_SL_SM_SN_E_clIS8_S8_S9_S9_EESK_S10_SL_SM_SN_EUlS10_E1_NS1_11comp_targetILNS1_3genE0ELNS1_11target_archE4294967295ELNS1_3gpuE0ELNS1_3repE0EEENS1_36merge_oddeven_config_static_selectorELNS0_4arch9wavefront6targetE1EEEvSM_,comdat
.Lfunc_end408:
	.size	_ZN7rocprim17ROCPRIM_400000_NS6detail17trampoline_kernelINS0_14default_configENS1_38merge_sort_block_merge_config_selectorIlNS0_10empty_typeEEEZZNS1_27merge_sort_block_merge_implIS3_PlPS5_mZN2at6native12_GLOBAL__N_124unique_dim_cuda_templateIiEESt5tupleIJNSA_6TensorESF_SF_EERKSF_lbbbEUlllE_EE10hipError_tT0_T1_T2_jT3_P12ihipStream_tbPNSt15iterator_traitsISL_E10value_typeEPNSR_ISM_E10value_typeEPSN_NS1_7vsmem_tEENKUlT_SL_SM_SN_E_clIS8_S8_S9_S9_EESK_S10_SL_SM_SN_EUlS10_E1_NS1_11comp_targetILNS1_3genE0ELNS1_11target_archE4294967295ELNS1_3gpuE0ELNS1_3repE0EEENS1_36merge_oddeven_config_static_selectorELNS0_4arch9wavefront6targetE1EEEvSM_, .Lfunc_end408-_ZN7rocprim17ROCPRIM_400000_NS6detail17trampoline_kernelINS0_14default_configENS1_38merge_sort_block_merge_config_selectorIlNS0_10empty_typeEEEZZNS1_27merge_sort_block_merge_implIS3_PlPS5_mZN2at6native12_GLOBAL__N_124unique_dim_cuda_templateIiEESt5tupleIJNSA_6TensorESF_SF_EERKSF_lbbbEUlllE_EE10hipError_tT0_T1_T2_jT3_P12ihipStream_tbPNSt15iterator_traitsISL_E10value_typeEPNSR_ISM_E10value_typeEPSN_NS1_7vsmem_tEENKUlT_SL_SM_SN_E_clIS8_S8_S9_S9_EESK_S10_SL_SM_SN_EUlS10_E1_NS1_11comp_targetILNS1_3genE0ELNS1_11target_archE4294967295ELNS1_3gpuE0ELNS1_3repE0EEENS1_36merge_oddeven_config_static_selectorELNS0_4arch9wavefront6targetE1EEEvSM_
                                        ; -- End function
	.section	.AMDGPU.csdata,"",@progbits
; Kernel info:
; codeLenInByte = 0
; NumSgprs: 4
; NumVgprs: 0
; NumAgprs: 0
; TotalNumVgprs: 0
; ScratchSize: 0
; MemoryBound: 0
; FloatMode: 240
; IeeeMode: 1
; LDSByteSize: 0 bytes/workgroup (compile time only)
; SGPRBlocks: 0
; VGPRBlocks: 0
; NumSGPRsForWavesPerEU: 4
; NumVGPRsForWavesPerEU: 1
; AccumOffset: 4
; Occupancy: 8
; WaveLimiterHint : 0
; COMPUTE_PGM_RSRC2:SCRATCH_EN: 0
; COMPUTE_PGM_RSRC2:USER_SGPR: 6
; COMPUTE_PGM_RSRC2:TRAP_HANDLER: 0
; COMPUTE_PGM_RSRC2:TGID_X_EN: 1
; COMPUTE_PGM_RSRC2:TGID_Y_EN: 0
; COMPUTE_PGM_RSRC2:TGID_Z_EN: 0
; COMPUTE_PGM_RSRC2:TIDIG_COMP_CNT: 0
; COMPUTE_PGM_RSRC3_GFX90A:ACCUM_OFFSET: 0
; COMPUTE_PGM_RSRC3_GFX90A:TG_SPLIT: 0
	.section	.text._ZN7rocprim17ROCPRIM_400000_NS6detail17trampoline_kernelINS0_14default_configENS1_38merge_sort_block_merge_config_selectorIlNS0_10empty_typeEEEZZNS1_27merge_sort_block_merge_implIS3_PlPS5_mZN2at6native12_GLOBAL__N_124unique_dim_cuda_templateIiEESt5tupleIJNSA_6TensorESF_SF_EERKSF_lbbbEUlllE_EE10hipError_tT0_T1_T2_jT3_P12ihipStream_tbPNSt15iterator_traitsISL_E10value_typeEPNSR_ISM_E10value_typeEPSN_NS1_7vsmem_tEENKUlT_SL_SM_SN_E_clIS8_S8_S9_S9_EESK_S10_SL_SM_SN_EUlS10_E1_NS1_11comp_targetILNS1_3genE10ELNS1_11target_archE1201ELNS1_3gpuE5ELNS1_3repE0EEENS1_36merge_oddeven_config_static_selectorELNS0_4arch9wavefront6targetE1EEEvSM_,"axG",@progbits,_ZN7rocprim17ROCPRIM_400000_NS6detail17trampoline_kernelINS0_14default_configENS1_38merge_sort_block_merge_config_selectorIlNS0_10empty_typeEEEZZNS1_27merge_sort_block_merge_implIS3_PlPS5_mZN2at6native12_GLOBAL__N_124unique_dim_cuda_templateIiEESt5tupleIJNSA_6TensorESF_SF_EERKSF_lbbbEUlllE_EE10hipError_tT0_T1_T2_jT3_P12ihipStream_tbPNSt15iterator_traitsISL_E10value_typeEPNSR_ISM_E10value_typeEPSN_NS1_7vsmem_tEENKUlT_SL_SM_SN_E_clIS8_S8_S9_S9_EESK_S10_SL_SM_SN_EUlS10_E1_NS1_11comp_targetILNS1_3genE10ELNS1_11target_archE1201ELNS1_3gpuE5ELNS1_3repE0EEENS1_36merge_oddeven_config_static_selectorELNS0_4arch9wavefront6targetE1EEEvSM_,comdat
	.globl	_ZN7rocprim17ROCPRIM_400000_NS6detail17trampoline_kernelINS0_14default_configENS1_38merge_sort_block_merge_config_selectorIlNS0_10empty_typeEEEZZNS1_27merge_sort_block_merge_implIS3_PlPS5_mZN2at6native12_GLOBAL__N_124unique_dim_cuda_templateIiEESt5tupleIJNSA_6TensorESF_SF_EERKSF_lbbbEUlllE_EE10hipError_tT0_T1_T2_jT3_P12ihipStream_tbPNSt15iterator_traitsISL_E10value_typeEPNSR_ISM_E10value_typeEPSN_NS1_7vsmem_tEENKUlT_SL_SM_SN_E_clIS8_S8_S9_S9_EESK_S10_SL_SM_SN_EUlS10_E1_NS1_11comp_targetILNS1_3genE10ELNS1_11target_archE1201ELNS1_3gpuE5ELNS1_3repE0EEENS1_36merge_oddeven_config_static_selectorELNS0_4arch9wavefront6targetE1EEEvSM_ ; -- Begin function _ZN7rocprim17ROCPRIM_400000_NS6detail17trampoline_kernelINS0_14default_configENS1_38merge_sort_block_merge_config_selectorIlNS0_10empty_typeEEEZZNS1_27merge_sort_block_merge_implIS3_PlPS5_mZN2at6native12_GLOBAL__N_124unique_dim_cuda_templateIiEESt5tupleIJNSA_6TensorESF_SF_EERKSF_lbbbEUlllE_EE10hipError_tT0_T1_T2_jT3_P12ihipStream_tbPNSt15iterator_traitsISL_E10value_typeEPNSR_ISM_E10value_typeEPSN_NS1_7vsmem_tEENKUlT_SL_SM_SN_E_clIS8_S8_S9_S9_EESK_S10_SL_SM_SN_EUlS10_E1_NS1_11comp_targetILNS1_3genE10ELNS1_11target_archE1201ELNS1_3gpuE5ELNS1_3repE0EEENS1_36merge_oddeven_config_static_selectorELNS0_4arch9wavefront6targetE1EEEvSM_
	.p2align	8
	.type	_ZN7rocprim17ROCPRIM_400000_NS6detail17trampoline_kernelINS0_14default_configENS1_38merge_sort_block_merge_config_selectorIlNS0_10empty_typeEEEZZNS1_27merge_sort_block_merge_implIS3_PlPS5_mZN2at6native12_GLOBAL__N_124unique_dim_cuda_templateIiEESt5tupleIJNSA_6TensorESF_SF_EERKSF_lbbbEUlllE_EE10hipError_tT0_T1_T2_jT3_P12ihipStream_tbPNSt15iterator_traitsISL_E10value_typeEPNSR_ISM_E10value_typeEPSN_NS1_7vsmem_tEENKUlT_SL_SM_SN_E_clIS8_S8_S9_S9_EESK_S10_SL_SM_SN_EUlS10_E1_NS1_11comp_targetILNS1_3genE10ELNS1_11target_archE1201ELNS1_3gpuE5ELNS1_3repE0EEENS1_36merge_oddeven_config_static_selectorELNS0_4arch9wavefront6targetE1EEEvSM_,@function
_ZN7rocprim17ROCPRIM_400000_NS6detail17trampoline_kernelINS0_14default_configENS1_38merge_sort_block_merge_config_selectorIlNS0_10empty_typeEEEZZNS1_27merge_sort_block_merge_implIS3_PlPS5_mZN2at6native12_GLOBAL__N_124unique_dim_cuda_templateIiEESt5tupleIJNSA_6TensorESF_SF_EERKSF_lbbbEUlllE_EE10hipError_tT0_T1_T2_jT3_P12ihipStream_tbPNSt15iterator_traitsISL_E10value_typeEPNSR_ISM_E10value_typeEPSN_NS1_7vsmem_tEENKUlT_SL_SM_SN_E_clIS8_S8_S9_S9_EESK_S10_SL_SM_SN_EUlS10_E1_NS1_11comp_targetILNS1_3genE10ELNS1_11target_archE1201ELNS1_3gpuE5ELNS1_3repE0EEENS1_36merge_oddeven_config_static_selectorELNS0_4arch9wavefront6targetE1EEEvSM_: ; @_ZN7rocprim17ROCPRIM_400000_NS6detail17trampoline_kernelINS0_14default_configENS1_38merge_sort_block_merge_config_selectorIlNS0_10empty_typeEEEZZNS1_27merge_sort_block_merge_implIS3_PlPS5_mZN2at6native12_GLOBAL__N_124unique_dim_cuda_templateIiEESt5tupleIJNSA_6TensorESF_SF_EERKSF_lbbbEUlllE_EE10hipError_tT0_T1_T2_jT3_P12ihipStream_tbPNSt15iterator_traitsISL_E10value_typeEPNSR_ISM_E10value_typeEPSN_NS1_7vsmem_tEENKUlT_SL_SM_SN_E_clIS8_S8_S9_S9_EESK_S10_SL_SM_SN_EUlS10_E1_NS1_11comp_targetILNS1_3genE10ELNS1_11target_archE1201ELNS1_3gpuE5ELNS1_3repE0EEENS1_36merge_oddeven_config_static_selectorELNS0_4arch9wavefront6targetE1EEEvSM_
; %bb.0:
	.section	.rodata,"a",@progbits
	.p2align	6, 0x0
	.amdhsa_kernel _ZN7rocprim17ROCPRIM_400000_NS6detail17trampoline_kernelINS0_14default_configENS1_38merge_sort_block_merge_config_selectorIlNS0_10empty_typeEEEZZNS1_27merge_sort_block_merge_implIS3_PlPS5_mZN2at6native12_GLOBAL__N_124unique_dim_cuda_templateIiEESt5tupleIJNSA_6TensorESF_SF_EERKSF_lbbbEUlllE_EE10hipError_tT0_T1_T2_jT3_P12ihipStream_tbPNSt15iterator_traitsISL_E10value_typeEPNSR_ISM_E10value_typeEPSN_NS1_7vsmem_tEENKUlT_SL_SM_SN_E_clIS8_S8_S9_S9_EESK_S10_SL_SM_SN_EUlS10_E1_NS1_11comp_targetILNS1_3genE10ELNS1_11target_archE1201ELNS1_3gpuE5ELNS1_3repE0EEENS1_36merge_oddeven_config_static_selectorELNS0_4arch9wavefront6targetE1EEEvSM_
		.amdhsa_group_segment_fixed_size 0
		.amdhsa_private_segment_fixed_size 0
		.amdhsa_kernarg_size 64
		.amdhsa_user_sgpr_count 6
		.amdhsa_user_sgpr_private_segment_buffer 1
		.amdhsa_user_sgpr_dispatch_ptr 0
		.amdhsa_user_sgpr_queue_ptr 0
		.amdhsa_user_sgpr_kernarg_segment_ptr 1
		.amdhsa_user_sgpr_dispatch_id 0
		.amdhsa_user_sgpr_flat_scratch_init 0
		.amdhsa_user_sgpr_kernarg_preload_length 0
		.amdhsa_user_sgpr_kernarg_preload_offset 0
		.amdhsa_user_sgpr_private_segment_size 0
		.amdhsa_uses_dynamic_stack 0
		.amdhsa_system_sgpr_private_segment_wavefront_offset 0
		.amdhsa_system_sgpr_workgroup_id_x 1
		.amdhsa_system_sgpr_workgroup_id_y 0
		.amdhsa_system_sgpr_workgroup_id_z 0
		.amdhsa_system_sgpr_workgroup_info 0
		.amdhsa_system_vgpr_workitem_id 0
		.amdhsa_next_free_vgpr 1
		.amdhsa_next_free_sgpr 0
		.amdhsa_accum_offset 4
		.amdhsa_reserve_vcc 0
		.amdhsa_reserve_flat_scratch 0
		.amdhsa_float_round_mode_32 0
		.amdhsa_float_round_mode_16_64 0
		.amdhsa_float_denorm_mode_32 3
		.amdhsa_float_denorm_mode_16_64 3
		.amdhsa_dx10_clamp 1
		.amdhsa_ieee_mode 1
		.amdhsa_fp16_overflow 0
		.amdhsa_tg_split 0
		.amdhsa_exception_fp_ieee_invalid_op 0
		.amdhsa_exception_fp_denorm_src 0
		.amdhsa_exception_fp_ieee_div_zero 0
		.amdhsa_exception_fp_ieee_overflow 0
		.amdhsa_exception_fp_ieee_underflow 0
		.amdhsa_exception_fp_ieee_inexact 0
		.amdhsa_exception_int_div_zero 0
	.end_amdhsa_kernel
	.section	.text._ZN7rocprim17ROCPRIM_400000_NS6detail17trampoline_kernelINS0_14default_configENS1_38merge_sort_block_merge_config_selectorIlNS0_10empty_typeEEEZZNS1_27merge_sort_block_merge_implIS3_PlPS5_mZN2at6native12_GLOBAL__N_124unique_dim_cuda_templateIiEESt5tupleIJNSA_6TensorESF_SF_EERKSF_lbbbEUlllE_EE10hipError_tT0_T1_T2_jT3_P12ihipStream_tbPNSt15iterator_traitsISL_E10value_typeEPNSR_ISM_E10value_typeEPSN_NS1_7vsmem_tEENKUlT_SL_SM_SN_E_clIS8_S8_S9_S9_EESK_S10_SL_SM_SN_EUlS10_E1_NS1_11comp_targetILNS1_3genE10ELNS1_11target_archE1201ELNS1_3gpuE5ELNS1_3repE0EEENS1_36merge_oddeven_config_static_selectorELNS0_4arch9wavefront6targetE1EEEvSM_,"axG",@progbits,_ZN7rocprim17ROCPRIM_400000_NS6detail17trampoline_kernelINS0_14default_configENS1_38merge_sort_block_merge_config_selectorIlNS0_10empty_typeEEEZZNS1_27merge_sort_block_merge_implIS3_PlPS5_mZN2at6native12_GLOBAL__N_124unique_dim_cuda_templateIiEESt5tupleIJNSA_6TensorESF_SF_EERKSF_lbbbEUlllE_EE10hipError_tT0_T1_T2_jT3_P12ihipStream_tbPNSt15iterator_traitsISL_E10value_typeEPNSR_ISM_E10value_typeEPSN_NS1_7vsmem_tEENKUlT_SL_SM_SN_E_clIS8_S8_S9_S9_EESK_S10_SL_SM_SN_EUlS10_E1_NS1_11comp_targetILNS1_3genE10ELNS1_11target_archE1201ELNS1_3gpuE5ELNS1_3repE0EEENS1_36merge_oddeven_config_static_selectorELNS0_4arch9wavefront6targetE1EEEvSM_,comdat
.Lfunc_end409:
	.size	_ZN7rocprim17ROCPRIM_400000_NS6detail17trampoline_kernelINS0_14default_configENS1_38merge_sort_block_merge_config_selectorIlNS0_10empty_typeEEEZZNS1_27merge_sort_block_merge_implIS3_PlPS5_mZN2at6native12_GLOBAL__N_124unique_dim_cuda_templateIiEESt5tupleIJNSA_6TensorESF_SF_EERKSF_lbbbEUlllE_EE10hipError_tT0_T1_T2_jT3_P12ihipStream_tbPNSt15iterator_traitsISL_E10value_typeEPNSR_ISM_E10value_typeEPSN_NS1_7vsmem_tEENKUlT_SL_SM_SN_E_clIS8_S8_S9_S9_EESK_S10_SL_SM_SN_EUlS10_E1_NS1_11comp_targetILNS1_3genE10ELNS1_11target_archE1201ELNS1_3gpuE5ELNS1_3repE0EEENS1_36merge_oddeven_config_static_selectorELNS0_4arch9wavefront6targetE1EEEvSM_, .Lfunc_end409-_ZN7rocprim17ROCPRIM_400000_NS6detail17trampoline_kernelINS0_14default_configENS1_38merge_sort_block_merge_config_selectorIlNS0_10empty_typeEEEZZNS1_27merge_sort_block_merge_implIS3_PlPS5_mZN2at6native12_GLOBAL__N_124unique_dim_cuda_templateIiEESt5tupleIJNSA_6TensorESF_SF_EERKSF_lbbbEUlllE_EE10hipError_tT0_T1_T2_jT3_P12ihipStream_tbPNSt15iterator_traitsISL_E10value_typeEPNSR_ISM_E10value_typeEPSN_NS1_7vsmem_tEENKUlT_SL_SM_SN_E_clIS8_S8_S9_S9_EESK_S10_SL_SM_SN_EUlS10_E1_NS1_11comp_targetILNS1_3genE10ELNS1_11target_archE1201ELNS1_3gpuE5ELNS1_3repE0EEENS1_36merge_oddeven_config_static_selectorELNS0_4arch9wavefront6targetE1EEEvSM_
                                        ; -- End function
	.section	.AMDGPU.csdata,"",@progbits
; Kernel info:
; codeLenInByte = 0
; NumSgprs: 4
; NumVgprs: 0
; NumAgprs: 0
; TotalNumVgprs: 0
; ScratchSize: 0
; MemoryBound: 0
; FloatMode: 240
; IeeeMode: 1
; LDSByteSize: 0 bytes/workgroup (compile time only)
; SGPRBlocks: 0
; VGPRBlocks: 0
; NumSGPRsForWavesPerEU: 4
; NumVGPRsForWavesPerEU: 1
; AccumOffset: 4
; Occupancy: 8
; WaveLimiterHint : 0
; COMPUTE_PGM_RSRC2:SCRATCH_EN: 0
; COMPUTE_PGM_RSRC2:USER_SGPR: 6
; COMPUTE_PGM_RSRC2:TRAP_HANDLER: 0
; COMPUTE_PGM_RSRC2:TGID_X_EN: 1
; COMPUTE_PGM_RSRC2:TGID_Y_EN: 0
; COMPUTE_PGM_RSRC2:TGID_Z_EN: 0
; COMPUTE_PGM_RSRC2:TIDIG_COMP_CNT: 0
; COMPUTE_PGM_RSRC3_GFX90A:ACCUM_OFFSET: 0
; COMPUTE_PGM_RSRC3_GFX90A:TG_SPLIT: 0
	.section	.text._ZN7rocprim17ROCPRIM_400000_NS6detail17trampoline_kernelINS0_14default_configENS1_38merge_sort_block_merge_config_selectorIlNS0_10empty_typeEEEZZNS1_27merge_sort_block_merge_implIS3_PlPS5_mZN2at6native12_GLOBAL__N_124unique_dim_cuda_templateIiEESt5tupleIJNSA_6TensorESF_SF_EERKSF_lbbbEUlllE_EE10hipError_tT0_T1_T2_jT3_P12ihipStream_tbPNSt15iterator_traitsISL_E10value_typeEPNSR_ISM_E10value_typeEPSN_NS1_7vsmem_tEENKUlT_SL_SM_SN_E_clIS8_S8_S9_S9_EESK_S10_SL_SM_SN_EUlS10_E1_NS1_11comp_targetILNS1_3genE5ELNS1_11target_archE942ELNS1_3gpuE9ELNS1_3repE0EEENS1_36merge_oddeven_config_static_selectorELNS0_4arch9wavefront6targetE1EEEvSM_,"axG",@progbits,_ZN7rocprim17ROCPRIM_400000_NS6detail17trampoline_kernelINS0_14default_configENS1_38merge_sort_block_merge_config_selectorIlNS0_10empty_typeEEEZZNS1_27merge_sort_block_merge_implIS3_PlPS5_mZN2at6native12_GLOBAL__N_124unique_dim_cuda_templateIiEESt5tupleIJNSA_6TensorESF_SF_EERKSF_lbbbEUlllE_EE10hipError_tT0_T1_T2_jT3_P12ihipStream_tbPNSt15iterator_traitsISL_E10value_typeEPNSR_ISM_E10value_typeEPSN_NS1_7vsmem_tEENKUlT_SL_SM_SN_E_clIS8_S8_S9_S9_EESK_S10_SL_SM_SN_EUlS10_E1_NS1_11comp_targetILNS1_3genE5ELNS1_11target_archE942ELNS1_3gpuE9ELNS1_3repE0EEENS1_36merge_oddeven_config_static_selectorELNS0_4arch9wavefront6targetE1EEEvSM_,comdat
	.globl	_ZN7rocprim17ROCPRIM_400000_NS6detail17trampoline_kernelINS0_14default_configENS1_38merge_sort_block_merge_config_selectorIlNS0_10empty_typeEEEZZNS1_27merge_sort_block_merge_implIS3_PlPS5_mZN2at6native12_GLOBAL__N_124unique_dim_cuda_templateIiEESt5tupleIJNSA_6TensorESF_SF_EERKSF_lbbbEUlllE_EE10hipError_tT0_T1_T2_jT3_P12ihipStream_tbPNSt15iterator_traitsISL_E10value_typeEPNSR_ISM_E10value_typeEPSN_NS1_7vsmem_tEENKUlT_SL_SM_SN_E_clIS8_S8_S9_S9_EESK_S10_SL_SM_SN_EUlS10_E1_NS1_11comp_targetILNS1_3genE5ELNS1_11target_archE942ELNS1_3gpuE9ELNS1_3repE0EEENS1_36merge_oddeven_config_static_selectorELNS0_4arch9wavefront6targetE1EEEvSM_ ; -- Begin function _ZN7rocprim17ROCPRIM_400000_NS6detail17trampoline_kernelINS0_14default_configENS1_38merge_sort_block_merge_config_selectorIlNS0_10empty_typeEEEZZNS1_27merge_sort_block_merge_implIS3_PlPS5_mZN2at6native12_GLOBAL__N_124unique_dim_cuda_templateIiEESt5tupleIJNSA_6TensorESF_SF_EERKSF_lbbbEUlllE_EE10hipError_tT0_T1_T2_jT3_P12ihipStream_tbPNSt15iterator_traitsISL_E10value_typeEPNSR_ISM_E10value_typeEPSN_NS1_7vsmem_tEENKUlT_SL_SM_SN_E_clIS8_S8_S9_S9_EESK_S10_SL_SM_SN_EUlS10_E1_NS1_11comp_targetILNS1_3genE5ELNS1_11target_archE942ELNS1_3gpuE9ELNS1_3repE0EEENS1_36merge_oddeven_config_static_selectorELNS0_4arch9wavefront6targetE1EEEvSM_
	.p2align	8
	.type	_ZN7rocprim17ROCPRIM_400000_NS6detail17trampoline_kernelINS0_14default_configENS1_38merge_sort_block_merge_config_selectorIlNS0_10empty_typeEEEZZNS1_27merge_sort_block_merge_implIS3_PlPS5_mZN2at6native12_GLOBAL__N_124unique_dim_cuda_templateIiEESt5tupleIJNSA_6TensorESF_SF_EERKSF_lbbbEUlllE_EE10hipError_tT0_T1_T2_jT3_P12ihipStream_tbPNSt15iterator_traitsISL_E10value_typeEPNSR_ISM_E10value_typeEPSN_NS1_7vsmem_tEENKUlT_SL_SM_SN_E_clIS8_S8_S9_S9_EESK_S10_SL_SM_SN_EUlS10_E1_NS1_11comp_targetILNS1_3genE5ELNS1_11target_archE942ELNS1_3gpuE9ELNS1_3repE0EEENS1_36merge_oddeven_config_static_selectorELNS0_4arch9wavefront6targetE1EEEvSM_,@function
_ZN7rocprim17ROCPRIM_400000_NS6detail17trampoline_kernelINS0_14default_configENS1_38merge_sort_block_merge_config_selectorIlNS0_10empty_typeEEEZZNS1_27merge_sort_block_merge_implIS3_PlPS5_mZN2at6native12_GLOBAL__N_124unique_dim_cuda_templateIiEESt5tupleIJNSA_6TensorESF_SF_EERKSF_lbbbEUlllE_EE10hipError_tT0_T1_T2_jT3_P12ihipStream_tbPNSt15iterator_traitsISL_E10value_typeEPNSR_ISM_E10value_typeEPSN_NS1_7vsmem_tEENKUlT_SL_SM_SN_E_clIS8_S8_S9_S9_EESK_S10_SL_SM_SN_EUlS10_E1_NS1_11comp_targetILNS1_3genE5ELNS1_11target_archE942ELNS1_3gpuE9ELNS1_3repE0EEENS1_36merge_oddeven_config_static_selectorELNS0_4arch9wavefront6targetE1EEEvSM_: ; @_ZN7rocprim17ROCPRIM_400000_NS6detail17trampoline_kernelINS0_14default_configENS1_38merge_sort_block_merge_config_selectorIlNS0_10empty_typeEEEZZNS1_27merge_sort_block_merge_implIS3_PlPS5_mZN2at6native12_GLOBAL__N_124unique_dim_cuda_templateIiEESt5tupleIJNSA_6TensorESF_SF_EERKSF_lbbbEUlllE_EE10hipError_tT0_T1_T2_jT3_P12ihipStream_tbPNSt15iterator_traitsISL_E10value_typeEPNSR_ISM_E10value_typeEPSN_NS1_7vsmem_tEENKUlT_SL_SM_SN_E_clIS8_S8_S9_S9_EESK_S10_SL_SM_SN_EUlS10_E1_NS1_11comp_targetILNS1_3genE5ELNS1_11target_archE942ELNS1_3gpuE9ELNS1_3repE0EEENS1_36merge_oddeven_config_static_selectorELNS0_4arch9wavefront6targetE1EEEvSM_
; %bb.0:
	.section	.rodata,"a",@progbits
	.p2align	6, 0x0
	.amdhsa_kernel _ZN7rocprim17ROCPRIM_400000_NS6detail17trampoline_kernelINS0_14default_configENS1_38merge_sort_block_merge_config_selectorIlNS0_10empty_typeEEEZZNS1_27merge_sort_block_merge_implIS3_PlPS5_mZN2at6native12_GLOBAL__N_124unique_dim_cuda_templateIiEESt5tupleIJNSA_6TensorESF_SF_EERKSF_lbbbEUlllE_EE10hipError_tT0_T1_T2_jT3_P12ihipStream_tbPNSt15iterator_traitsISL_E10value_typeEPNSR_ISM_E10value_typeEPSN_NS1_7vsmem_tEENKUlT_SL_SM_SN_E_clIS8_S8_S9_S9_EESK_S10_SL_SM_SN_EUlS10_E1_NS1_11comp_targetILNS1_3genE5ELNS1_11target_archE942ELNS1_3gpuE9ELNS1_3repE0EEENS1_36merge_oddeven_config_static_selectorELNS0_4arch9wavefront6targetE1EEEvSM_
		.amdhsa_group_segment_fixed_size 0
		.amdhsa_private_segment_fixed_size 0
		.amdhsa_kernarg_size 64
		.amdhsa_user_sgpr_count 6
		.amdhsa_user_sgpr_private_segment_buffer 1
		.amdhsa_user_sgpr_dispatch_ptr 0
		.amdhsa_user_sgpr_queue_ptr 0
		.amdhsa_user_sgpr_kernarg_segment_ptr 1
		.amdhsa_user_sgpr_dispatch_id 0
		.amdhsa_user_sgpr_flat_scratch_init 0
		.amdhsa_user_sgpr_kernarg_preload_length 0
		.amdhsa_user_sgpr_kernarg_preload_offset 0
		.amdhsa_user_sgpr_private_segment_size 0
		.amdhsa_uses_dynamic_stack 0
		.amdhsa_system_sgpr_private_segment_wavefront_offset 0
		.amdhsa_system_sgpr_workgroup_id_x 1
		.amdhsa_system_sgpr_workgroup_id_y 0
		.amdhsa_system_sgpr_workgroup_id_z 0
		.amdhsa_system_sgpr_workgroup_info 0
		.amdhsa_system_vgpr_workitem_id 0
		.amdhsa_next_free_vgpr 1
		.amdhsa_next_free_sgpr 0
		.amdhsa_accum_offset 4
		.amdhsa_reserve_vcc 0
		.amdhsa_reserve_flat_scratch 0
		.amdhsa_float_round_mode_32 0
		.amdhsa_float_round_mode_16_64 0
		.amdhsa_float_denorm_mode_32 3
		.amdhsa_float_denorm_mode_16_64 3
		.amdhsa_dx10_clamp 1
		.amdhsa_ieee_mode 1
		.amdhsa_fp16_overflow 0
		.amdhsa_tg_split 0
		.amdhsa_exception_fp_ieee_invalid_op 0
		.amdhsa_exception_fp_denorm_src 0
		.amdhsa_exception_fp_ieee_div_zero 0
		.amdhsa_exception_fp_ieee_overflow 0
		.amdhsa_exception_fp_ieee_underflow 0
		.amdhsa_exception_fp_ieee_inexact 0
		.amdhsa_exception_int_div_zero 0
	.end_amdhsa_kernel
	.section	.text._ZN7rocprim17ROCPRIM_400000_NS6detail17trampoline_kernelINS0_14default_configENS1_38merge_sort_block_merge_config_selectorIlNS0_10empty_typeEEEZZNS1_27merge_sort_block_merge_implIS3_PlPS5_mZN2at6native12_GLOBAL__N_124unique_dim_cuda_templateIiEESt5tupleIJNSA_6TensorESF_SF_EERKSF_lbbbEUlllE_EE10hipError_tT0_T1_T2_jT3_P12ihipStream_tbPNSt15iterator_traitsISL_E10value_typeEPNSR_ISM_E10value_typeEPSN_NS1_7vsmem_tEENKUlT_SL_SM_SN_E_clIS8_S8_S9_S9_EESK_S10_SL_SM_SN_EUlS10_E1_NS1_11comp_targetILNS1_3genE5ELNS1_11target_archE942ELNS1_3gpuE9ELNS1_3repE0EEENS1_36merge_oddeven_config_static_selectorELNS0_4arch9wavefront6targetE1EEEvSM_,"axG",@progbits,_ZN7rocprim17ROCPRIM_400000_NS6detail17trampoline_kernelINS0_14default_configENS1_38merge_sort_block_merge_config_selectorIlNS0_10empty_typeEEEZZNS1_27merge_sort_block_merge_implIS3_PlPS5_mZN2at6native12_GLOBAL__N_124unique_dim_cuda_templateIiEESt5tupleIJNSA_6TensorESF_SF_EERKSF_lbbbEUlllE_EE10hipError_tT0_T1_T2_jT3_P12ihipStream_tbPNSt15iterator_traitsISL_E10value_typeEPNSR_ISM_E10value_typeEPSN_NS1_7vsmem_tEENKUlT_SL_SM_SN_E_clIS8_S8_S9_S9_EESK_S10_SL_SM_SN_EUlS10_E1_NS1_11comp_targetILNS1_3genE5ELNS1_11target_archE942ELNS1_3gpuE9ELNS1_3repE0EEENS1_36merge_oddeven_config_static_selectorELNS0_4arch9wavefront6targetE1EEEvSM_,comdat
.Lfunc_end410:
	.size	_ZN7rocprim17ROCPRIM_400000_NS6detail17trampoline_kernelINS0_14default_configENS1_38merge_sort_block_merge_config_selectorIlNS0_10empty_typeEEEZZNS1_27merge_sort_block_merge_implIS3_PlPS5_mZN2at6native12_GLOBAL__N_124unique_dim_cuda_templateIiEESt5tupleIJNSA_6TensorESF_SF_EERKSF_lbbbEUlllE_EE10hipError_tT0_T1_T2_jT3_P12ihipStream_tbPNSt15iterator_traitsISL_E10value_typeEPNSR_ISM_E10value_typeEPSN_NS1_7vsmem_tEENKUlT_SL_SM_SN_E_clIS8_S8_S9_S9_EESK_S10_SL_SM_SN_EUlS10_E1_NS1_11comp_targetILNS1_3genE5ELNS1_11target_archE942ELNS1_3gpuE9ELNS1_3repE0EEENS1_36merge_oddeven_config_static_selectorELNS0_4arch9wavefront6targetE1EEEvSM_, .Lfunc_end410-_ZN7rocprim17ROCPRIM_400000_NS6detail17trampoline_kernelINS0_14default_configENS1_38merge_sort_block_merge_config_selectorIlNS0_10empty_typeEEEZZNS1_27merge_sort_block_merge_implIS3_PlPS5_mZN2at6native12_GLOBAL__N_124unique_dim_cuda_templateIiEESt5tupleIJNSA_6TensorESF_SF_EERKSF_lbbbEUlllE_EE10hipError_tT0_T1_T2_jT3_P12ihipStream_tbPNSt15iterator_traitsISL_E10value_typeEPNSR_ISM_E10value_typeEPSN_NS1_7vsmem_tEENKUlT_SL_SM_SN_E_clIS8_S8_S9_S9_EESK_S10_SL_SM_SN_EUlS10_E1_NS1_11comp_targetILNS1_3genE5ELNS1_11target_archE942ELNS1_3gpuE9ELNS1_3repE0EEENS1_36merge_oddeven_config_static_selectorELNS0_4arch9wavefront6targetE1EEEvSM_
                                        ; -- End function
	.section	.AMDGPU.csdata,"",@progbits
; Kernel info:
; codeLenInByte = 0
; NumSgprs: 4
; NumVgprs: 0
; NumAgprs: 0
; TotalNumVgprs: 0
; ScratchSize: 0
; MemoryBound: 0
; FloatMode: 240
; IeeeMode: 1
; LDSByteSize: 0 bytes/workgroup (compile time only)
; SGPRBlocks: 0
; VGPRBlocks: 0
; NumSGPRsForWavesPerEU: 4
; NumVGPRsForWavesPerEU: 1
; AccumOffset: 4
; Occupancy: 8
; WaveLimiterHint : 0
; COMPUTE_PGM_RSRC2:SCRATCH_EN: 0
; COMPUTE_PGM_RSRC2:USER_SGPR: 6
; COMPUTE_PGM_RSRC2:TRAP_HANDLER: 0
; COMPUTE_PGM_RSRC2:TGID_X_EN: 1
; COMPUTE_PGM_RSRC2:TGID_Y_EN: 0
; COMPUTE_PGM_RSRC2:TGID_Z_EN: 0
; COMPUTE_PGM_RSRC2:TIDIG_COMP_CNT: 0
; COMPUTE_PGM_RSRC3_GFX90A:ACCUM_OFFSET: 0
; COMPUTE_PGM_RSRC3_GFX90A:TG_SPLIT: 0
	.section	.text._ZN7rocprim17ROCPRIM_400000_NS6detail17trampoline_kernelINS0_14default_configENS1_38merge_sort_block_merge_config_selectorIlNS0_10empty_typeEEEZZNS1_27merge_sort_block_merge_implIS3_PlPS5_mZN2at6native12_GLOBAL__N_124unique_dim_cuda_templateIiEESt5tupleIJNSA_6TensorESF_SF_EERKSF_lbbbEUlllE_EE10hipError_tT0_T1_T2_jT3_P12ihipStream_tbPNSt15iterator_traitsISL_E10value_typeEPNSR_ISM_E10value_typeEPSN_NS1_7vsmem_tEENKUlT_SL_SM_SN_E_clIS8_S8_S9_S9_EESK_S10_SL_SM_SN_EUlS10_E1_NS1_11comp_targetILNS1_3genE4ELNS1_11target_archE910ELNS1_3gpuE8ELNS1_3repE0EEENS1_36merge_oddeven_config_static_selectorELNS0_4arch9wavefront6targetE1EEEvSM_,"axG",@progbits,_ZN7rocprim17ROCPRIM_400000_NS6detail17trampoline_kernelINS0_14default_configENS1_38merge_sort_block_merge_config_selectorIlNS0_10empty_typeEEEZZNS1_27merge_sort_block_merge_implIS3_PlPS5_mZN2at6native12_GLOBAL__N_124unique_dim_cuda_templateIiEESt5tupleIJNSA_6TensorESF_SF_EERKSF_lbbbEUlllE_EE10hipError_tT0_T1_T2_jT3_P12ihipStream_tbPNSt15iterator_traitsISL_E10value_typeEPNSR_ISM_E10value_typeEPSN_NS1_7vsmem_tEENKUlT_SL_SM_SN_E_clIS8_S8_S9_S9_EESK_S10_SL_SM_SN_EUlS10_E1_NS1_11comp_targetILNS1_3genE4ELNS1_11target_archE910ELNS1_3gpuE8ELNS1_3repE0EEENS1_36merge_oddeven_config_static_selectorELNS0_4arch9wavefront6targetE1EEEvSM_,comdat
	.globl	_ZN7rocprim17ROCPRIM_400000_NS6detail17trampoline_kernelINS0_14default_configENS1_38merge_sort_block_merge_config_selectorIlNS0_10empty_typeEEEZZNS1_27merge_sort_block_merge_implIS3_PlPS5_mZN2at6native12_GLOBAL__N_124unique_dim_cuda_templateIiEESt5tupleIJNSA_6TensorESF_SF_EERKSF_lbbbEUlllE_EE10hipError_tT0_T1_T2_jT3_P12ihipStream_tbPNSt15iterator_traitsISL_E10value_typeEPNSR_ISM_E10value_typeEPSN_NS1_7vsmem_tEENKUlT_SL_SM_SN_E_clIS8_S8_S9_S9_EESK_S10_SL_SM_SN_EUlS10_E1_NS1_11comp_targetILNS1_3genE4ELNS1_11target_archE910ELNS1_3gpuE8ELNS1_3repE0EEENS1_36merge_oddeven_config_static_selectorELNS0_4arch9wavefront6targetE1EEEvSM_ ; -- Begin function _ZN7rocprim17ROCPRIM_400000_NS6detail17trampoline_kernelINS0_14default_configENS1_38merge_sort_block_merge_config_selectorIlNS0_10empty_typeEEEZZNS1_27merge_sort_block_merge_implIS3_PlPS5_mZN2at6native12_GLOBAL__N_124unique_dim_cuda_templateIiEESt5tupleIJNSA_6TensorESF_SF_EERKSF_lbbbEUlllE_EE10hipError_tT0_T1_T2_jT3_P12ihipStream_tbPNSt15iterator_traitsISL_E10value_typeEPNSR_ISM_E10value_typeEPSN_NS1_7vsmem_tEENKUlT_SL_SM_SN_E_clIS8_S8_S9_S9_EESK_S10_SL_SM_SN_EUlS10_E1_NS1_11comp_targetILNS1_3genE4ELNS1_11target_archE910ELNS1_3gpuE8ELNS1_3repE0EEENS1_36merge_oddeven_config_static_selectorELNS0_4arch9wavefront6targetE1EEEvSM_
	.p2align	8
	.type	_ZN7rocprim17ROCPRIM_400000_NS6detail17trampoline_kernelINS0_14default_configENS1_38merge_sort_block_merge_config_selectorIlNS0_10empty_typeEEEZZNS1_27merge_sort_block_merge_implIS3_PlPS5_mZN2at6native12_GLOBAL__N_124unique_dim_cuda_templateIiEESt5tupleIJNSA_6TensorESF_SF_EERKSF_lbbbEUlllE_EE10hipError_tT0_T1_T2_jT3_P12ihipStream_tbPNSt15iterator_traitsISL_E10value_typeEPNSR_ISM_E10value_typeEPSN_NS1_7vsmem_tEENKUlT_SL_SM_SN_E_clIS8_S8_S9_S9_EESK_S10_SL_SM_SN_EUlS10_E1_NS1_11comp_targetILNS1_3genE4ELNS1_11target_archE910ELNS1_3gpuE8ELNS1_3repE0EEENS1_36merge_oddeven_config_static_selectorELNS0_4arch9wavefront6targetE1EEEvSM_,@function
_ZN7rocprim17ROCPRIM_400000_NS6detail17trampoline_kernelINS0_14default_configENS1_38merge_sort_block_merge_config_selectorIlNS0_10empty_typeEEEZZNS1_27merge_sort_block_merge_implIS3_PlPS5_mZN2at6native12_GLOBAL__N_124unique_dim_cuda_templateIiEESt5tupleIJNSA_6TensorESF_SF_EERKSF_lbbbEUlllE_EE10hipError_tT0_T1_T2_jT3_P12ihipStream_tbPNSt15iterator_traitsISL_E10value_typeEPNSR_ISM_E10value_typeEPSN_NS1_7vsmem_tEENKUlT_SL_SM_SN_E_clIS8_S8_S9_S9_EESK_S10_SL_SM_SN_EUlS10_E1_NS1_11comp_targetILNS1_3genE4ELNS1_11target_archE910ELNS1_3gpuE8ELNS1_3repE0EEENS1_36merge_oddeven_config_static_selectorELNS0_4arch9wavefront6targetE1EEEvSM_: ; @_ZN7rocprim17ROCPRIM_400000_NS6detail17trampoline_kernelINS0_14default_configENS1_38merge_sort_block_merge_config_selectorIlNS0_10empty_typeEEEZZNS1_27merge_sort_block_merge_implIS3_PlPS5_mZN2at6native12_GLOBAL__N_124unique_dim_cuda_templateIiEESt5tupleIJNSA_6TensorESF_SF_EERKSF_lbbbEUlllE_EE10hipError_tT0_T1_T2_jT3_P12ihipStream_tbPNSt15iterator_traitsISL_E10value_typeEPNSR_ISM_E10value_typeEPSN_NS1_7vsmem_tEENKUlT_SL_SM_SN_E_clIS8_S8_S9_S9_EESK_S10_SL_SM_SN_EUlS10_E1_NS1_11comp_targetILNS1_3genE4ELNS1_11target_archE910ELNS1_3gpuE8ELNS1_3repE0EEENS1_36merge_oddeven_config_static_selectorELNS0_4arch9wavefront6targetE1EEEvSM_
; %bb.0:
	s_load_dword s22, s[4:5], 0x20
	s_waitcnt lgkmcnt(0)
	s_lshr_b32 s0, s22, 8
	s_cmp_lg_u32 s6, s0
	s_cselect_b64 s[12:13], -1, 0
	s_cmp_eq_u32 s6, s0
	s_cselect_b64 s[2:3], -1, 0
	s_lshl_b32 s20, s6, 8
	s_sub_i32 s0, s22, s20
	v_cmp_gt_u32_e64 s[0:1], s0, v0
	s_or_b64 s[8:9], s[12:13], s[0:1]
	s_and_saveexec_b64 s[10:11], s[8:9]
	s_cbranch_execz .LBB411_54
; %bb.1:
	s_load_dwordx4 s[8:11], s[4:5], 0x0
	s_load_dword s23, s[4:5], 0x28
	s_mov_b32 s21, 0
	s_lshl_b64 s[14:15], s[20:21], 3
	v_lshlrev_b32_e32 v1, 3, v0
	s_waitcnt lgkmcnt(0)
	s_add_u32 s14, s8, s14
	s_addc_u32 s15, s9, s15
	global_load_dwordx2 v[2:3], v1, s[14:15]
	s_lshr_b32 s7, s23, 8
	s_sub_i32 s14, 0, s7
	s_and_b32 s6, s6, s14
	s_and_b32 s7, s6, s7
	s_cmp_lg_u32 s7, 0
	s_cselect_b64 s[16:17], -1, 0
	s_lshl_b32 s21, s6, 8
	s_sub_i32 s6, 0, s23
	s_cmp_eq_u32 s7, 0
	s_cselect_b32 s33, s23, s6
	s_add_i32 s33, s33, s21
	s_cmp_lt_u32 s33, s22
	s_cbranch_scc1 .LBB411_3
; %bb.2:
	v_add_u32_e32 v4, s20, v0
	v_cmp_gt_u32_e32 vcc, s22, v4
	s_or_b64 s[12:13], vcc, s[12:13]
	s_and_b64 s[18:19], s[12:13], exec
	s_cbranch_execz .LBB411_4
	s_branch .LBB411_52
.LBB411_3:
	s_mov_b64 s[18:19], 0
                                        ; implicit-def: $vgpr4
.LBB411_4:
	s_load_dwordx4 s[12:15], s[4:5], 0x30
	s_min_u32 s44, s33, s22
	s_add_i32 s4, s44, s23
	s_min_u32 s45, s4, s22
	s_min_u32 s4, s21, s44
	v_add_u32_e32 v0, s20, v0
	s_add_i32 s21, s21, s44
	v_subrev_u32_e32 v0, s21, v0
	v_add_u32_e32 v12, s4, v0
	s_and_b64 vcc, exec, s[2:3]
	s_cbranch_vccz .LBB411_26
; %bb.5:
                                        ; implicit-def: $vgpr4
	s_and_saveexec_b64 s[20:21], s[0:1]
	s_cbranch_execz .LBB411_29
; %bb.6:
	s_cmp_ge_u32 s33, s45
	v_mov_b32_e32 v13, s44
	s_cbranch_scc1 .LBB411_28
; %bb.7:
	s_waitcnt vmcnt(0) lgkmcnt(0)
	v_mul_lo_u32 v4, v3, s12
	v_mul_lo_u32 v5, v2, s13
	v_mad_u64_u32 v[0:1], s[0:1], v2, s12, 0
	v_add3_u32 v1, v1, v5, v4
	v_lshlrev_b64 v[0:1], 2, v[0:1]
	v_mov_b32_e32 v4, s15
	v_add_co_u32_e32 v0, vcc, s14, v0
	v_addc_co_u32_e32 v1, vcc, v4, v1, vcc
	v_cndmask_b32_e64 v4, 0, 1, s[16:17]
	v_cmp_gt_i64_e64 s[2:3], s[12:13], 0
	v_cmp_ne_u32_e64 s[0:1], 1, v4
	v_cndmask_b32_e64 v4, 0, 1, s[2:3]
	s_mov_b64 s[22:23], 0
	s_lshl_b64 s[24:25], s[12:13], 2
	v_mov_b32_e32 v14, s45
	v_mov_b32_e32 v13, s44
	;; [unrolled: 1-line block ×4, first 2 shown]
	v_cmp_ne_u32_e64 s[2:3], 1, v4
	s_branch .LBB411_10
.LBB411_8:                              ;   in Loop: Header=BB411_10 Depth=1
	s_or_b64 exec, exec, s[28:29]
.LBB411_9:                              ;   in Loop: Header=BB411_10 Depth=1
	s_waitcnt vmcnt(0)
	v_add_u32_e32 v6, 1, v4
	v_cndmask_b32_e64 v14, v4, v14, s[26:27]
	v_cndmask_b32_e64 v13, v13, v6, s[26:27]
	v_cmp_ge_u32_e32 vcc, v13, v14
	s_or_b64 s[22:23], vcc, s[22:23]
	s_andn2_b64 exec, exec, s[22:23]
	s_cbranch_execz .LBB411_27
.LBB411_10:                             ; =>This Loop Header: Depth=1
                                        ;     Child Loop BB411_14 Depth 2
                                        ;     Child Loop BB411_23 Depth 2
	v_add_u32_e32 v4, v13, v14
	v_lshrrev_b32_e32 v4, 1, v4
	v_lshlrev_b64 v[6:7], 3, v[4:5]
	v_add_co_u32_e32 v6, vcc, s8, v6
	v_addc_co_u32_e32 v7, vcc, v15, v7, vcc
	global_load_dwordx2 v[6:7], v[6:7], off
	s_and_b64 vcc, exec, s[0:1]
	s_mov_b64 s[4:5], -1
                                        ; implicit-def: $sgpr26_sgpr27
	s_cbranch_vccnz .LBB411_19
; %bb.11:                               ;   in Loop: Header=BB411_10 Depth=1
	s_and_b64 vcc, exec, s[2:3]
	s_cbranch_vccnz .LBB411_17
; %bb.12:                               ;   in Loop: Header=BB411_10 Depth=1
	v_pk_mov_b32 v[8:9], s[14:15], s[14:15] op_sel:[0,1]
	s_waitcnt vmcnt(0)
	v_mad_u64_u32 v[8:9], s[4:5], s24, v6, v[8:9]
	v_mul_lo_u32 v10, s24, v7
	v_mul_lo_u32 v11, s25, v6
	v_add3_u32 v9, v11, v9, v10
	s_mov_b64 s[28:29], 0
	s_mov_b64 s[36:37], s[12:13]
	v_pk_mov_b32 v[10:11], v[0:1], v[0:1] op_sel:[0,1]
                                        ; implicit-def: $sgpr26_sgpr27
                                        ; implicit-def: $sgpr30_sgpr31
                                        ; implicit-def: $sgpr34_sgpr35
                                        ; implicit-def: $sgpr4_sgpr5
                                        ; implicit-def: $sgpr38_sgpr39
	s_branch .LBB411_14
.LBB411_13:                             ;   in Loop: Header=BB411_14 Depth=2
	s_or_b64 exec, exec, s[40:41]
	s_and_b64 s[6:7], exec, s[30:31]
	s_or_b64 s[28:29], s[6:7], s[28:29]
	s_andn2_b64 s[6:7], s[38:39], exec
	s_and_b64 s[38:39], s[34:35], exec
	s_or_b64 s[38:39], s[6:7], s[38:39]
	s_andn2_b64 s[6:7], s[26:27], exec
	s_and_b64 s[26:27], s[4:5], exec
	s_or_b64 s[26:27], s[6:7], s[26:27]
	s_andn2_b64 exec, exec, s[28:29]
	s_cbranch_execz .LBB411_16
.LBB411_14:                             ;   Parent Loop BB411_10 Depth=1
                                        ; =>  This Inner Loop Header: Depth=2
	global_load_dword v16, v[10:11], off
	global_load_dword v17, v[8:9], off
	s_andn2_b64 s[40:41], s[4:5], exec
	s_andn2_b64 s[34:35], s[34:35], exec
	s_or_b64 s[30:31], s[30:31], exec
	s_waitcnt vmcnt(0)
	v_cmp_le_i32_e64 s[4:5], v16, v17
	v_cmp_lt_i32_e32 vcc, v16, v17
	s_and_b64 s[4:5], s[4:5], s[38:39]
	s_or_b64 s[42:43], vcc, s[4:5]
	s_and_b64 s[4:5], s[42:43], exec
	v_cmp_eq_u32_e64 s[6:7], v16, v17
	s_or_b64 s[4:5], s[40:41], s[4:5]
	s_and_saveexec_b64 s[40:41], s[6:7]
	s_cbranch_execz .LBB411_13
; %bb.15:                               ;   in Loop: Header=BB411_14 Depth=2
	s_add_u32 s36, s36, -1
	s_addc_u32 s37, s37, -1
	v_add_co_u32_e32 v10, vcc, 4, v10
	s_cmp_eq_u64 s[36:37], 0
	v_addc_co_u32_e32 v11, vcc, 0, v11, vcc
	s_cselect_b64 s[6:7], -1, 0
	v_add_co_u32_e32 v8, vcc, 4, v8
	s_andn2_b64 s[34:35], s[34:35], exec
	s_and_b64 s[38:39], s[42:43], exec
	s_andn2_b64 s[30:31], s[30:31], exec
	s_and_b64 s[6:7], s[6:7], exec
	v_addc_co_u32_e32 v9, vcc, 0, v9, vcc
	s_andn2_b64 s[4:5], s[4:5], exec
	s_or_b64 s[34:35], s[34:35], s[38:39]
	s_or_b64 s[30:31], s[30:31], s[6:7]
                                        ; implicit-def: $sgpr38_sgpr39
	s_branch .LBB411_13
.LBB411_16:                             ;   in Loop: Header=BB411_10 Depth=1
	s_or_b64 exec, exec, s[28:29]
	s_branch .LBB411_18
.LBB411_17:                             ;   in Loop: Header=BB411_10 Depth=1
	s_mov_b64 s[26:27], 0
.LBB411_18:                             ;   in Loop: Header=BB411_10 Depth=1
	s_xor_b64 s[26:27], s[26:27], -1
	s_mov_b64 s[4:5], 0
.LBB411_19:                             ;   in Loop: Header=BB411_10 Depth=1
	s_and_b64 vcc, exec, s[4:5]
	s_cbranch_vccz .LBB411_9
; %bb.20:                               ;   in Loop: Header=BB411_10 Depth=1
	s_and_b64 vcc, exec, s[2:3]
	s_cbranch_vccnz .LBB411_25
; %bb.21:                               ;   in Loop: Header=BB411_10 Depth=1
	v_pk_mov_b32 v[8:9], s[14:15], s[14:15] op_sel:[0,1]
	s_waitcnt vmcnt(0)
	v_mad_u64_u32 v[8:9], s[4:5], s24, v6, v[8:9]
	v_mul_lo_u32 v7, s24, v7
	v_mul_lo_u32 v6, s25, v6
	v_add3_u32 v9, v6, v9, v7
	s_mov_b64 s[28:29], 0
	s_mov_b64 s[36:37], s[12:13]
	v_pk_mov_b32 v[6:7], v[0:1], v[0:1] op_sel:[0,1]
                                        ; implicit-def: $sgpr26_sgpr27
                                        ; implicit-def: $sgpr30_sgpr31
                                        ; implicit-def: $sgpr34_sgpr35
                                        ; implicit-def: $sgpr4_sgpr5
                                        ; implicit-def: $sgpr38_sgpr39
	s_branch .LBB411_23
.LBB411_22:                             ;   in Loop: Header=BB411_23 Depth=2
	s_or_b64 exec, exec, s[40:41]
	s_and_b64 s[6:7], exec, s[30:31]
	s_or_b64 s[28:29], s[6:7], s[28:29]
	s_andn2_b64 s[6:7], s[38:39], exec
	s_and_b64 s[38:39], s[34:35], exec
	s_or_b64 s[38:39], s[6:7], s[38:39]
	s_andn2_b64 s[6:7], s[26:27], exec
	s_and_b64 s[26:27], s[4:5], exec
	s_or_b64 s[26:27], s[6:7], s[26:27]
	s_andn2_b64 exec, exec, s[28:29]
	s_cbranch_execz .LBB411_8
.LBB411_23:                             ;   Parent Loop BB411_10 Depth=1
                                        ; =>  This Inner Loop Header: Depth=2
	global_load_dword v10, v[8:9], off
	global_load_dword v11, v[6:7], off
	s_andn2_b64 s[40:41], s[4:5], exec
	s_andn2_b64 s[34:35], s[34:35], exec
	s_or_b64 s[30:31], s[30:31], exec
	s_waitcnt vmcnt(0)
	v_cmp_le_i32_e64 s[4:5], v10, v11
	v_cmp_lt_i32_e32 vcc, v10, v11
	s_and_b64 s[4:5], s[4:5], s[38:39]
	s_or_b64 s[42:43], vcc, s[4:5]
	s_and_b64 s[4:5], s[42:43], exec
	v_cmp_eq_u32_e64 s[6:7], v10, v11
	s_or_b64 s[4:5], s[40:41], s[4:5]
	s_and_saveexec_b64 s[40:41], s[6:7]
	s_cbranch_execz .LBB411_22
; %bb.24:                               ;   in Loop: Header=BB411_23 Depth=2
	s_add_u32 s36, s36, -1
	s_addc_u32 s37, s37, -1
	v_add_co_u32_e32 v8, vcc, 4, v8
	s_cmp_eq_u64 s[36:37], 0
	v_addc_co_u32_e32 v9, vcc, 0, v9, vcc
	s_cselect_b64 s[6:7], -1, 0
	v_add_co_u32_e32 v6, vcc, 4, v6
	s_andn2_b64 s[34:35], s[34:35], exec
	s_and_b64 s[38:39], s[42:43], exec
	s_andn2_b64 s[30:31], s[30:31], exec
	s_and_b64 s[6:7], s[6:7], exec
	v_addc_co_u32_e32 v7, vcc, 0, v7, vcc
	s_andn2_b64 s[4:5], s[4:5], exec
	s_or_b64 s[34:35], s[34:35], s[38:39]
	s_or_b64 s[30:31], s[30:31], s[6:7]
                                        ; implicit-def: $sgpr38_sgpr39
	s_branch .LBB411_22
.LBB411_25:                             ;   in Loop: Header=BB411_10 Depth=1
	s_mov_b64 s[26:27], 0
	s_branch .LBB411_9
.LBB411_26:
                                        ; implicit-def: $vgpr4
	s_cbranch_execnz .LBB411_30
	s_branch .LBB411_52
.LBB411_27:
	s_or_b64 exec, exec, s[22:23]
.LBB411_28:
	v_add_u32_e32 v4, v13, v12
	s_or_b64 s[18:19], s[18:19], exec
.LBB411_29:
	s_or_b64 exec, exec, s[20:21]
	s_branch .LBB411_52
.LBB411_30:
	s_cmp_ge_u32 s33, s45
	v_mov_b32_e32 v13, s44
	s_cbranch_scc1 .LBB411_51
; %bb.31:
	s_waitcnt vmcnt(0) lgkmcnt(0)
	v_mul_lo_u32 v4, v3, s12
	v_mul_lo_u32 v5, v2, s13
	v_mad_u64_u32 v[0:1], s[0:1], v2, s12, 0
	v_add3_u32 v1, v1, v5, v4
	v_lshlrev_b64 v[0:1], 2, v[0:1]
	v_mov_b32_e32 v4, s15
	v_add_co_u32_e32 v0, vcc, s14, v0
	v_addc_co_u32_e32 v1, vcc, v4, v1, vcc
	v_cndmask_b32_e64 v4, 0, 1, s[16:17]
	v_cmp_gt_i64_e64 s[2:3], s[12:13], 0
	v_cmp_ne_u32_e64 s[0:1], 1, v4
	v_cndmask_b32_e64 v4, 0, 1, s[2:3]
	s_mov_b64 s[18:19], 0
	s_lshl_b64 s[20:21], s[12:13], 2
	v_mov_b32_e32 v14, s45
	v_mov_b32_e32 v13, s44
	;; [unrolled: 1-line block ×4, first 2 shown]
	v_cmp_ne_u32_e64 s[2:3], 1, v4
	s_branch .LBB411_34
.LBB411_32:                             ;   in Loop: Header=BB411_34 Depth=1
	s_or_b64 exec, exec, s[22:23]
.LBB411_33:                             ;   in Loop: Header=BB411_34 Depth=1
	s_waitcnt vmcnt(0)
	v_add_u32_e32 v6, 1, v4
	v_cndmask_b32_e64 v14, v4, v14, s[16:17]
	v_cndmask_b32_e64 v13, v13, v6, s[16:17]
	v_cmp_ge_u32_e32 vcc, v13, v14
	s_or_b64 s[18:19], vcc, s[18:19]
	s_andn2_b64 exec, exec, s[18:19]
	s_cbranch_execz .LBB411_50
.LBB411_34:                             ; =>This Loop Header: Depth=1
                                        ;     Child Loop BB411_38 Depth 2
                                        ;     Child Loop BB411_47 Depth 2
	v_add_u32_e32 v4, v13, v14
	v_lshrrev_b32_e32 v4, 1, v4
	v_lshlrev_b64 v[6:7], 3, v[4:5]
	v_add_co_u32_e32 v6, vcc, s8, v6
	v_addc_co_u32_e32 v7, vcc, v15, v7, vcc
	global_load_dwordx2 v[6:7], v[6:7], off
	s_and_b64 vcc, exec, s[0:1]
	s_mov_b64 s[4:5], -1
                                        ; implicit-def: $sgpr16_sgpr17
	s_cbranch_vccnz .LBB411_43
; %bb.35:                               ;   in Loop: Header=BB411_34 Depth=1
	s_and_b64 vcc, exec, s[2:3]
	s_cbranch_vccnz .LBB411_41
; %bb.36:                               ;   in Loop: Header=BB411_34 Depth=1
	v_pk_mov_b32 v[8:9], s[14:15], s[14:15] op_sel:[0,1]
	s_waitcnt vmcnt(0)
	v_mad_u64_u32 v[8:9], s[4:5], s20, v6, v[8:9]
	v_mul_lo_u32 v10, s20, v7
	v_mul_lo_u32 v11, s21, v6
	v_add3_u32 v9, v11, v9, v10
	s_mov_b64 s[22:23], 0
	s_mov_b64 s[28:29], s[12:13]
	v_pk_mov_b32 v[10:11], v[0:1], v[0:1] op_sel:[0,1]
                                        ; implicit-def: $sgpr16_sgpr17
                                        ; implicit-def: $sgpr24_sgpr25
                                        ; implicit-def: $sgpr26_sgpr27
                                        ; implicit-def: $sgpr4_sgpr5
                                        ; implicit-def: $sgpr30_sgpr31
	s_branch .LBB411_38
.LBB411_37:                             ;   in Loop: Header=BB411_38 Depth=2
	s_or_b64 exec, exec, s[34:35]
	s_and_b64 s[6:7], exec, s[24:25]
	s_or_b64 s[22:23], s[6:7], s[22:23]
	s_andn2_b64 s[6:7], s[30:31], exec
	s_and_b64 s[30:31], s[26:27], exec
	s_or_b64 s[30:31], s[6:7], s[30:31]
	s_andn2_b64 s[6:7], s[16:17], exec
	s_and_b64 s[16:17], s[4:5], exec
	s_or_b64 s[16:17], s[6:7], s[16:17]
	s_andn2_b64 exec, exec, s[22:23]
	s_cbranch_execz .LBB411_40
.LBB411_38:                             ;   Parent Loop BB411_34 Depth=1
                                        ; =>  This Inner Loop Header: Depth=2
	global_load_dword v16, v[10:11], off
	global_load_dword v17, v[8:9], off
	s_andn2_b64 s[34:35], s[4:5], exec
	s_andn2_b64 s[26:27], s[26:27], exec
	s_or_b64 s[24:25], s[24:25], exec
	s_waitcnt vmcnt(0)
	v_cmp_le_i32_e64 s[4:5], v16, v17
	v_cmp_lt_i32_e32 vcc, v16, v17
	s_and_b64 s[4:5], s[4:5], s[30:31]
	s_or_b64 s[36:37], vcc, s[4:5]
	s_and_b64 s[4:5], s[36:37], exec
	v_cmp_eq_u32_e64 s[6:7], v16, v17
	s_or_b64 s[4:5], s[34:35], s[4:5]
	s_and_saveexec_b64 s[34:35], s[6:7]
	s_cbranch_execz .LBB411_37
; %bb.39:                               ;   in Loop: Header=BB411_38 Depth=2
	s_add_u32 s28, s28, -1
	s_addc_u32 s29, s29, -1
	v_add_co_u32_e32 v10, vcc, 4, v10
	s_cmp_eq_u64 s[28:29], 0
	v_addc_co_u32_e32 v11, vcc, 0, v11, vcc
	s_cselect_b64 s[6:7], -1, 0
	v_add_co_u32_e32 v8, vcc, 4, v8
	s_andn2_b64 s[26:27], s[26:27], exec
	s_and_b64 s[30:31], s[36:37], exec
	s_andn2_b64 s[24:25], s[24:25], exec
	s_and_b64 s[6:7], s[6:7], exec
	v_addc_co_u32_e32 v9, vcc, 0, v9, vcc
	s_andn2_b64 s[4:5], s[4:5], exec
	s_or_b64 s[26:27], s[26:27], s[30:31]
	s_or_b64 s[24:25], s[24:25], s[6:7]
                                        ; implicit-def: $sgpr30_sgpr31
	s_branch .LBB411_37
.LBB411_40:                             ;   in Loop: Header=BB411_34 Depth=1
	s_or_b64 exec, exec, s[22:23]
	s_branch .LBB411_42
.LBB411_41:                             ;   in Loop: Header=BB411_34 Depth=1
	s_mov_b64 s[16:17], 0
.LBB411_42:                             ;   in Loop: Header=BB411_34 Depth=1
	s_xor_b64 s[16:17], s[16:17], -1
	s_mov_b64 s[4:5], 0
.LBB411_43:                             ;   in Loop: Header=BB411_34 Depth=1
	s_and_b64 vcc, exec, s[4:5]
	s_cbranch_vccz .LBB411_33
; %bb.44:                               ;   in Loop: Header=BB411_34 Depth=1
	s_and_b64 vcc, exec, s[2:3]
	s_cbranch_vccnz .LBB411_49
; %bb.45:                               ;   in Loop: Header=BB411_34 Depth=1
	v_pk_mov_b32 v[8:9], s[14:15], s[14:15] op_sel:[0,1]
	s_waitcnt vmcnt(0)
	v_mad_u64_u32 v[8:9], s[4:5], s20, v6, v[8:9]
	v_mul_lo_u32 v7, s20, v7
	v_mul_lo_u32 v6, s21, v6
	v_add3_u32 v9, v6, v9, v7
	s_mov_b64 s[22:23], 0
	s_mov_b64 s[28:29], s[12:13]
	v_pk_mov_b32 v[6:7], v[0:1], v[0:1] op_sel:[0,1]
                                        ; implicit-def: $sgpr16_sgpr17
                                        ; implicit-def: $sgpr24_sgpr25
                                        ; implicit-def: $sgpr26_sgpr27
                                        ; implicit-def: $sgpr4_sgpr5
                                        ; implicit-def: $sgpr30_sgpr31
	s_branch .LBB411_47
.LBB411_46:                             ;   in Loop: Header=BB411_47 Depth=2
	s_or_b64 exec, exec, s[34:35]
	s_and_b64 s[6:7], exec, s[24:25]
	s_or_b64 s[22:23], s[6:7], s[22:23]
	s_andn2_b64 s[6:7], s[30:31], exec
	s_and_b64 s[30:31], s[26:27], exec
	s_or_b64 s[30:31], s[6:7], s[30:31]
	s_andn2_b64 s[6:7], s[16:17], exec
	s_and_b64 s[16:17], s[4:5], exec
	s_or_b64 s[16:17], s[6:7], s[16:17]
	s_andn2_b64 exec, exec, s[22:23]
	s_cbranch_execz .LBB411_32
.LBB411_47:                             ;   Parent Loop BB411_34 Depth=1
                                        ; =>  This Inner Loop Header: Depth=2
	global_load_dword v10, v[8:9], off
	global_load_dword v11, v[6:7], off
	s_andn2_b64 s[34:35], s[4:5], exec
	s_andn2_b64 s[26:27], s[26:27], exec
	s_or_b64 s[24:25], s[24:25], exec
	s_waitcnt vmcnt(0)
	v_cmp_le_i32_e64 s[4:5], v10, v11
	v_cmp_lt_i32_e32 vcc, v10, v11
	s_and_b64 s[4:5], s[4:5], s[30:31]
	s_or_b64 s[36:37], vcc, s[4:5]
	s_and_b64 s[4:5], s[36:37], exec
	v_cmp_eq_u32_e64 s[6:7], v10, v11
	s_or_b64 s[4:5], s[34:35], s[4:5]
	s_and_saveexec_b64 s[34:35], s[6:7]
	s_cbranch_execz .LBB411_46
; %bb.48:                               ;   in Loop: Header=BB411_47 Depth=2
	s_add_u32 s28, s28, -1
	s_addc_u32 s29, s29, -1
	v_add_co_u32_e32 v8, vcc, 4, v8
	s_cmp_eq_u64 s[28:29], 0
	v_addc_co_u32_e32 v9, vcc, 0, v9, vcc
	s_cselect_b64 s[6:7], -1, 0
	v_add_co_u32_e32 v6, vcc, 4, v6
	s_andn2_b64 s[26:27], s[26:27], exec
	s_and_b64 s[30:31], s[36:37], exec
	s_andn2_b64 s[24:25], s[24:25], exec
	s_and_b64 s[6:7], s[6:7], exec
	v_addc_co_u32_e32 v7, vcc, 0, v7, vcc
	s_andn2_b64 s[4:5], s[4:5], exec
	s_or_b64 s[26:27], s[26:27], s[30:31]
	s_or_b64 s[24:25], s[24:25], s[6:7]
                                        ; implicit-def: $sgpr30_sgpr31
	s_branch .LBB411_46
.LBB411_49:                             ;   in Loop: Header=BB411_34 Depth=1
	s_mov_b64 s[16:17], 0
	s_branch .LBB411_33
.LBB411_50:
	s_or_b64 exec, exec, s[18:19]
.LBB411_51:
	v_add_u32_e32 v4, v13, v12
	s_mov_b64 s[18:19], -1
.LBB411_52:
	s_and_b64 exec, exec, s[18:19]
	s_cbranch_execz .LBB411_54
; %bb.53:
	v_mov_b32_e32 v5, 0
	v_lshlrev_b64 v[0:1], 3, v[4:5]
	v_mov_b32_e32 v4, s11
	v_add_co_u32_e32 v0, vcc, s10, v0
	v_addc_co_u32_e32 v1, vcc, v4, v1, vcc
	s_waitcnt vmcnt(0)
	global_store_dwordx2 v[0:1], v[2:3], off
.LBB411_54:
	s_endpgm
	.section	.rodata,"a",@progbits
	.p2align	6, 0x0
	.amdhsa_kernel _ZN7rocprim17ROCPRIM_400000_NS6detail17trampoline_kernelINS0_14default_configENS1_38merge_sort_block_merge_config_selectorIlNS0_10empty_typeEEEZZNS1_27merge_sort_block_merge_implIS3_PlPS5_mZN2at6native12_GLOBAL__N_124unique_dim_cuda_templateIiEESt5tupleIJNSA_6TensorESF_SF_EERKSF_lbbbEUlllE_EE10hipError_tT0_T1_T2_jT3_P12ihipStream_tbPNSt15iterator_traitsISL_E10value_typeEPNSR_ISM_E10value_typeEPSN_NS1_7vsmem_tEENKUlT_SL_SM_SN_E_clIS8_S8_S9_S9_EESK_S10_SL_SM_SN_EUlS10_E1_NS1_11comp_targetILNS1_3genE4ELNS1_11target_archE910ELNS1_3gpuE8ELNS1_3repE0EEENS1_36merge_oddeven_config_static_selectorELNS0_4arch9wavefront6targetE1EEEvSM_
		.amdhsa_group_segment_fixed_size 0
		.amdhsa_private_segment_fixed_size 0
		.amdhsa_kernarg_size 64
		.amdhsa_user_sgpr_count 6
		.amdhsa_user_sgpr_private_segment_buffer 1
		.amdhsa_user_sgpr_dispatch_ptr 0
		.amdhsa_user_sgpr_queue_ptr 0
		.amdhsa_user_sgpr_kernarg_segment_ptr 1
		.amdhsa_user_sgpr_dispatch_id 0
		.amdhsa_user_sgpr_flat_scratch_init 0
		.amdhsa_user_sgpr_kernarg_preload_length 0
		.amdhsa_user_sgpr_kernarg_preload_offset 0
		.amdhsa_user_sgpr_private_segment_size 0
		.amdhsa_uses_dynamic_stack 0
		.amdhsa_system_sgpr_private_segment_wavefront_offset 0
		.amdhsa_system_sgpr_workgroup_id_x 1
		.amdhsa_system_sgpr_workgroup_id_y 0
		.amdhsa_system_sgpr_workgroup_id_z 0
		.amdhsa_system_sgpr_workgroup_info 0
		.amdhsa_system_vgpr_workitem_id 0
		.amdhsa_next_free_vgpr 18
		.amdhsa_next_free_sgpr 46
		.amdhsa_accum_offset 20
		.amdhsa_reserve_vcc 1
		.amdhsa_reserve_flat_scratch 0
		.amdhsa_float_round_mode_32 0
		.amdhsa_float_round_mode_16_64 0
		.amdhsa_float_denorm_mode_32 3
		.amdhsa_float_denorm_mode_16_64 3
		.amdhsa_dx10_clamp 1
		.amdhsa_ieee_mode 1
		.amdhsa_fp16_overflow 0
		.amdhsa_tg_split 0
		.amdhsa_exception_fp_ieee_invalid_op 0
		.amdhsa_exception_fp_denorm_src 0
		.amdhsa_exception_fp_ieee_div_zero 0
		.amdhsa_exception_fp_ieee_overflow 0
		.amdhsa_exception_fp_ieee_underflow 0
		.amdhsa_exception_fp_ieee_inexact 0
		.amdhsa_exception_int_div_zero 0
	.end_amdhsa_kernel
	.section	.text._ZN7rocprim17ROCPRIM_400000_NS6detail17trampoline_kernelINS0_14default_configENS1_38merge_sort_block_merge_config_selectorIlNS0_10empty_typeEEEZZNS1_27merge_sort_block_merge_implIS3_PlPS5_mZN2at6native12_GLOBAL__N_124unique_dim_cuda_templateIiEESt5tupleIJNSA_6TensorESF_SF_EERKSF_lbbbEUlllE_EE10hipError_tT0_T1_T2_jT3_P12ihipStream_tbPNSt15iterator_traitsISL_E10value_typeEPNSR_ISM_E10value_typeEPSN_NS1_7vsmem_tEENKUlT_SL_SM_SN_E_clIS8_S8_S9_S9_EESK_S10_SL_SM_SN_EUlS10_E1_NS1_11comp_targetILNS1_3genE4ELNS1_11target_archE910ELNS1_3gpuE8ELNS1_3repE0EEENS1_36merge_oddeven_config_static_selectorELNS0_4arch9wavefront6targetE1EEEvSM_,"axG",@progbits,_ZN7rocprim17ROCPRIM_400000_NS6detail17trampoline_kernelINS0_14default_configENS1_38merge_sort_block_merge_config_selectorIlNS0_10empty_typeEEEZZNS1_27merge_sort_block_merge_implIS3_PlPS5_mZN2at6native12_GLOBAL__N_124unique_dim_cuda_templateIiEESt5tupleIJNSA_6TensorESF_SF_EERKSF_lbbbEUlllE_EE10hipError_tT0_T1_T2_jT3_P12ihipStream_tbPNSt15iterator_traitsISL_E10value_typeEPNSR_ISM_E10value_typeEPSN_NS1_7vsmem_tEENKUlT_SL_SM_SN_E_clIS8_S8_S9_S9_EESK_S10_SL_SM_SN_EUlS10_E1_NS1_11comp_targetILNS1_3genE4ELNS1_11target_archE910ELNS1_3gpuE8ELNS1_3repE0EEENS1_36merge_oddeven_config_static_selectorELNS0_4arch9wavefront6targetE1EEEvSM_,comdat
.Lfunc_end411:
	.size	_ZN7rocprim17ROCPRIM_400000_NS6detail17trampoline_kernelINS0_14default_configENS1_38merge_sort_block_merge_config_selectorIlNS0_10empty_typeEEEZZNS1_27merge_sort_block_merge_implIS3_PlPS5_mZN2at6native12_GLOBAL__N_124unique_dim_cuda_templateIiEESt5tupleIJNSA_6TensorESF_SF_EERKSF_lbbbEUlllE_EE10hipError_tT0_T1_T2_jT3_P12ihipStream_tbPNSt15iterator_traitsISL_E10value_typeEPNSR_ISM_E10value_typeEPSN_NS1_7vsmem_tEENKUlT_SL_SM_SN_E_clIS8_S8_S9_S9_EESK_S10_SL_SM_SN_EUlS10_E1_NS1_11comp_targetILNS1_3genE4ELNS1_11target_archE910ELNS1_3gpuE8ELNS1_3repE0EEENS1_36merge_oddeven_config_static_selectorELNS0_4arch9wavefront6targetE1EEEvSM_, .Lfunc_end411-_ZN7rocprim17ROCPRIM_400000_NS6detail17trampoline_kernelINS0_14default_configENS1_38merge_sort_block_merge_config_selectorIlNS0_10empty_typeEEEZZNS1_27merge_sort_block_merge_implIS3_PlPS5_mZN2at6native12_GLOBAL__N_124unique_dim_cuda_templateIiEESt5tupleIJNSA_6TensorESF_SF_EERKSF_lbbbEUlllE_EE10hipError_tT0_T1_T2_jT3_P12ihipStream_tbPNSt15iterator_traitsISL_E10value_typeEPNSR_ISM_E10value_typeEPSN_NS1_7vsmem_tEENKUlT_SL_SM_SN_E_clIS8_S8_S9_S9_EESK_S10_SL_SM_SN_EUlS10_E1_NS1_11comp_targetILNS1_3genE4ELNS1_11target_archE910ELNS1_3gpuE8ELNS1_3repE0EEENS1_36merge_oddeven_config_static_selectorELNS0_4arch9wavefront6targetE1EEEvSM_
                                        ; -- End function
	.section	.AMDGPU.csdata,"",@progbits
; Kernel info:
; codeLenInByte = 1876
; NumSgprs: 50
; NumVgprs: 18
; NumAgprs: 0
; TotalNumVgprs: 18
; ScratchSize: 0
; MemoryBound: 0
; FloatMode: 240
; IeeeMode: 1
; LDSByteSize: 0 bytes/workgroup (compile time only)
; SGPRBlocks: 6
; VGPRBlocks: 2
; NumSGPRsForWavesPerEU: 50
; NumVGPRsForWavesPerEU: 18
; AccumOffset: 20
; Occupancy: 8
; WaveLimiterHint : 0
; COMPUTE_PGM_RSRC2:SCRATCH_EN: 0
; COMPUTE_PGM_RSRC2:USER_SGPR: 6
; COMPUTE_PGM_RSRC2:TRAP_HANDLER: 0
; COMPUTE_PGM_RSRC2:TGID_X_EN: 1
; COMPUTE_PGM_RSRC2:TGID_Y_EN: 0
; COMPUTE_PGM_RSRC2:TGID_Z_EN: 0
; COMPUTE_PGM_RSRC2:TIDIG_COMP_CNT: 0
; COMPUTE_PGM_RSRC3_GFX90A:ACCUM_OFFSET: 4
; COMPUTE_PGM_RSRC3_GFX90A:TG_SPLIT: 0
	.section	.text._ZN7rocprim17ROCPRIM_400000_NS6detail17trampoline_kernelINS0_14default_configENS1_38merge_sort_block_merge_config_selectorIlNS0_10empty_typeEEEZZNS1_27merge_sort_block_merge_implIS3_PlPS5_mZN2at6native12_GLOBAL__N_124unique_dim_cuda_templateIiEESt5tupleIJNSA_6TensorESF_SF_EERKSF_lbbbEUlllE_EE10hipError_tT0_T1_T2_jT3_P12ihipStream_tbPNSt15iterator_traitsISL_E10value_typeEPNSR_ISM_E10value_typeEPSN_NS1_7vsmem_tEENKUlT_SL_SM_SN_E_clIS8_S8_S9_S9_EESK_S10_SL_SM_SN_EUlS10_E1_NS1_11comp_targetILNS1_3genE3ELNS1_11target_archE908ELNS1_3gpuE7ELNS1_3repE0EEENS1_36merge_oddeven_config_static_selectorELNS0_4arch9wavefront6targetE1EEEvSM_,"axG",@progbits,_ZN7rocprim17ROCPRIM_400000_NS6detail17trampoline_kernelINS0_14default_configENS1_38merge_sort_block_merge_config_selectorIlNS0_10empty_typeEEEZZNS1_27merge_sort_block_merge_implIS3_PlPS5_mZN2at6native12_GLOBAL__N_124unique_dim_cuda_templateIiEESt5tupleIJNSA_6TensorESF_SF_EERKSF_lbbbEUlllE_EE10hipError_tT0_T1_T2_jT3_P12ihipStream_tbPNSt15iterator_traitsISL_E10value_typeEPNSR_ISM_E10value_typeEPSN_NS1_7vsmem_tEENKUlT_SL_SM_SN_E_clIS8_S8_S9_S9_EESK_S10_SL_SM_SN_EUlS10_E1_NS1_11comp_targetILNS1_3genE3ELNS1_11target_archE908ELNS1_3gpuE7ELNS1_3repE0EEENS1_36merge_oddeven_config_static_selectorELNS0_4arch9wavefront6targetE1EEEvSM_,comdat
	.globl	_ZN7rocprim17ROCPRIM_400000_NS6detail17trampoline_kernelINS0_14default_configENS1_38merge_sort_block_merge_config_selectorIlNS0_10empty_typeEEEZZNS1_27merge_sort_block_merge_implIS3_PlPS5_mZN2at6native12_GLOBAL__N_124unique_dim_cuda_templateIiEESt5tupleIJNSA_6TensorESF_SF_EERKSF_lbbbEUlllE_EE10hipError_tT0_T1_T2_jT3_P12ihipStream_tbPNSt15iterator_traitsISL_E10value_typeEPNSR_ISM_E10value_typeEPSN_NS1_7vsmem_tEENKUlT_SL_SM_SN_E_clIS8_S8_S9_S9_EESK_S10_SL_SM_SN_EUlS10_E1_NS1_11comp_targetILNS1_3genE3ELNS1_11target_archE908ELNS1_3gpuE7ELNS1_3repE0EEENS1_36merge_oddeven_config_static_selectorELNS0_4arch9wavefront6targetE1EEEvSM_ ; -- Begin function _ZN7rocprim17ROCPRIM_400000_NS6detail17trampoline_kernelINS0_14default_configENS1_38merge_sort_block_merge_config_selectorIlNS0_10empty_typeEEEZZNS1_27merge_sort_block_merge_implIS3_PlPS5_mZN2at6native12_GLOBAL__N_124unique_dim_cuda_templateIiEESt5tupleIJNSA_6TensorESF_SF_EERKSF_lbbbEUlllE_EE10hipError_tT0_T1_T2_jT3_P12ihipStream_tbPNSt15iterator_traitsISL_E10value_typeEPNSR_ISM_E10value_typeEPSN_NS1_7vsmem_tEENKUlT_SL_SM_SN_E_clIS8_S8_S9_S9_EESK_S10_SL_SM_SN_EUlS10_E1_NS1_11comp_targetILNS1_3genE3ELNS1_11target_archE908ELNS1_3gpuE7ELNS1_3repE0EEENS1_36merge_oddeven_config_static_selectorELNS0_4arch9wavefront6targetE1EEEvSM_
	.p2align	8
	.type	_ZN7rocprim17ROCPRIM_400000_NS6detail17trampoline_kernelINS0_14default_configENS1_38merge_sort_block_merge_config_selectorIlNS0_10empty_typeEEEZZNS1_27merge_sort_block_merge_implIS3_PlPS5_mZN2at6native12_GLOBAL__N_124unique_dim_cuda_templateIiEESt5tupleIJNSA_6TensorESF_SF_EERKSF_lbbbEUlllE_EE10hipError_tT0_T1_T2_jT3_P12ihipStream_tbPNSt15iterator_traitsISL_E10value_typeEPNSR_ISM_E10value_typeEPSN_NS1_7vsmem_tEENKUlT_SL_SM_SN_E_clIS8_S8_S9_S9_EESK_S10_SL_SM_SN_EUlS10_E1_NS1_11comp_targetILNS1_3genE3ELNS1_11target_archE908ELNS1_3gpuE7ELNS1_3repE0EEENS1_36merge_oddeven_config_static_selectorELNS0_4arch9wavefront6targetE1EEEvSM_,@function
_ZN7rocprim17ROCPRIM_400000_NS6detail17trampoline_kernelINS0_14default_configENS1_38merge_sort_block_merge_config_selectorIlNS0_10empty_typeEEEZZNS1_27merge_sort_block_merge_implIS3_PlPS5_mZN2at6native12_GLOBAL__N_124unique_dim_cuda_templateIiEESt5tupleIJNSA_6TensorESF_SF_EERKSF_lbbbEUlllE_EE10hipError_tT0_T1_T2_jT3_P12ihipStream_tbPNSt15iterator_traitsISL_E10value_typeEPNSR_ISM_E10value_typeEPSN_NS1_7vsmem_tEENKUlT_SL_SM_SN_E_clIS8_S8_S9_S9_EESK_S10_SL_SM_SN_EUlS10_E1_NS1_11comp_targetILNS1_3genE3ELNS1_11target_archE908ELNS1_3gpuE7ELNS1_3repE0EEENS1_36merge_oddeven_config_static_selectorELNS0_4arch9wavefront6targetE1EEEvSM_: ; @_ZN7rocprim17ROCPRIM_400000_NS6detail17trampoline_kernelINS0_14default_configENS1_38merge_sort_block_merge_config_selectorIlNS0_10empty_typeEEEZZNS1_27merge_sort_block_merge_implIS3_PlPS5_mZN2at6native12_GLOBAL__N_124unique_dim_cuda_templateIiEESt5tupleIJNSA_6TensorESF_SF_EERKSF_lbbbEUlllE_EE10hipError_tT0_T1_T2_jT3_P12ihipStream_tbPNSt15iterator_traitsISL_E10value_typeEPNSR_ISM_E10value_typeEPSN_NS1_7vsmem_tEENKUlT_SL_SM_SN_E_clIS8_S8_S9_S9_EESK_S10_SL_SM_SN_EUlS10_E1_NS1_11comp_targetILNS1_3genE3ELNS1_11target_archE908ELNS1_3gpuE7ELNS1_3repE0EEENS1_36merge_oddeven_config_static_selectorELNS0_4arch9wavefront6targetE1EEEvSM_
; %bb.0:
	.section	.rodata,"a",@progbits
	.p2align	6, 0x0
	.amdhsa_kernel _ZN7rocprim17ROCPRIM_400000_NS6detail17trampoline_kernelINS0_14default_configENS1_38merge_sort_block_merge_config_selectorIlNS0_10empty_typeEEEZZNS1_27merge_sort_block_merge_implIS3_PlPS5_mZN2at6native12_GLOBAL__N_124unique_dim_cuda_templateIiEESt5tupleIJNSA_6TensorESF_SF_EERKSF_lbbbEUlllE_EE10hipError_tT0_T1_T2_jT3_P12ihipStream_tbPNSt15iterator_traitsISL_E10value_typeEPNSR_ISM_E10value_typeEPSN_NS1_7vsmem_tEENKUlT_SL_SM_SN_E_clIS8_S8_S9_S9_EESK_S10_SL_SM_SN_EUlS10_E1_NS1_11comp_targetILNS1_3genE3ELNS1_11target_archE908ELNS1_3gpuE7ELNS1_3repE0EEENS1_36merge_oddeven_config_static_selectorELNS0_4arch9wavefront6targetE1EEEvSM_
		.amdhsa_group_segment_fixed_size 0
		.amdhsa_private_segment_fixed_size 0
		.amdhsa_kernarg_size 64
		.amdhsa_user_sgpr_count 6
		.amdhsa_user_sgpr_private_segment_buffer 1
		.amdhsa_user_sgpr_dispatch_ptr 0
		.amdhsa_user_sgpr_queue_ptr 0
		.amdhsa_user_sgpr_kernarg_segment_ptr 1
		.amdhsa_user_sgpr_dispatch_id 0
		.amdhsa_user_sgpr_flat_scratch_init 0
		.amdhsa_user_sgpr_kernarg_preload_length 0
		.amdhsa_user_sgpr_kernarg_preload_offset 0
		.amdhsa_user_sgpr_private_segment_size 0
		.amdhsa_uses_dynamic_stack 0
		.amdhsa_system_sgpr_private_segment_wavefront_offset 0
		.amdhsa_system_sgpr_workgroup_id_x 1
		.amdhsa_system_sgpr_workgroup_id_y 0
		.amdhsa_system_sgpr_workgroup_id_z 0
		.amdhsa_system_sgpr_workgroup_info 0
		.amdhsa_system_vgpr_workitem_id 0
		.amdhsa_next_free_vgpr 1
		.amdhsa_next_free_sgpr 0
		.amdhsa_accum_offset 4
		.amdhsa_reserve_vcc 0
		.amdhsa_reserve_flat_scratch 0
		.amdhsa_float_round_mode_32 0
		.amdhsa_float_round_mode_16_64 0
		.amdhsa_float_denorm_mode_32 3
		.amdhsa_float_denorm_mode_16_64 3
		.amdhsa_dx10_clamp 1
		.amdhsa_ieee_mode 1
		.amdhsa_fp16_overflow 0
		.amdhsa_tg_split 0
		.amdhsa_exception_fp_ieee_invalid_op 0
		.amdhsa_exception_fp_denorm_src 0
		.amdhsa_exception_fp_ieee_div_zero 0
		.amdhsa_exception_fp_ieee_overflow 0
		.amdhsa_exception_fp_ieee_underflow 0
		.amdhsa_exception_fp_ieee_inexact 0
		.amdhsa_exception_int_div_zero 0
	.end_amdhsa_kernel
	.section	.text._ZN7rocprim17ROCPRIM_400000_NS6detail17trampoline_kernelINS0_14default_configENS1_38merge_sort_block_merge_config_selectorIlNS0_10empty_typeEEEZZNS1_27merge_sort_block_merge_implIS3_PlPS5_mZN2at6native12_GLOBAL__N_124unique_dim_cuda_templateIiEESt5tupleIJNSA_6TensorESF_SF_EERKSF_lbbbEUlllE_EE10hipError_tT0_T1_T2_jT3_P12ihipStream_tbPNSt15iterator_traitsISL_E10value_typeEPNSR_ISM_E10value_typeEPSN_NS1_7vsmem_tEENKUlT_SL_SM_SN_E_clIS8_S8_S9_S9_EESK_S10_SL_SM_SN_EUlS10_E1_NS1_11comp_targetILNS1_3genE3ELNS1_11target_archE908ELNS1_3gpuE7ELNS1_3repE0EEENS1_36merge_oddeven_config_static_selectorELNS0_4arch9wavefront6targetE1EEEvSM_,"axG",@progbits,_ZN7rocprim17ROCPRIM_400000_NS6detail17trampoline_kernelINS0_14default_configENS1_38merge_sort_block_merge_config_selectorIlNS0_10empty_typeEEEZZNS1_27merge_sort_block_merge_implIS3_PlPS5_mZN2at6native12_GLOBAL__N_124unique_dim_cuda_templateIiEESt5tupleIJNSA_6TensorESF_SF_EERKSF_lbbbEUlllE_EE10hipError_tT0_T1_T2_jT3_P12ihipStream_tbPNSt15iterator_traitsISL_E10value_typeEPNSR_ISM_E10value_typeEPSN_NS1_7vsmem_tEENKUlT_SL_SM_SN_E_clIS8_S8_S9_S9_EESK_S10_SL_SM_SN_EUlS10_E1_NS1_11comp_targetILNS1_3genE3ELNS1_11target_archE908ELNS1_3gpuE7ELNS1_3repE0EEENS1_36merge_oddeven_config_static_selectorELNS0_4arch9wavefront6targetE1EEEvSM_,comdat
.Lfunc_end412:
	.size	_ZN7rocprim17ROCPRIM_400000_NS6detail17trampoline_kernelINS0_14default_configENS1_38merge_sort_block_merge_config_selectorIlNS0_10empty_typeEEEZZNS1_27merge_sort_block_merge_implIS3_PlPS5_mZN2at6native12_GLOBAL__N_124unique_dim_cuda_templateIiEESt5tupleIJNSA_6TensorESF_SF_EERKSF_lbbbEUlllE_EE10hipError_tT0_T1_T2_jT3_P12ihipStream_tbPNSt15iterator_traitsISL_E10value_typeEPNSR_ISM_E10value_typeEPSN_NS1_7vsmem_tEENKUlT_SL_SM_SN_E_clIS8_S8_S9_S9_EESK_S10_SL_SM_SN_EUlS10_E1_NS1_11comp_targetILNS1_3genE3ELNS1_11target_archE908ELNS1_3gpuE7ELNS1_3repE0EEENS1_36merge_oddeven_config_static_selectorELNS0_4arch9wavefront6targetE1EEEvSM_, .Lfunc_end412-_ZN7rocprim17ROCPRIM_400000_NS6detail17trampoline_kernelINS0_14default_configENS1_38merge_sort_block_merge_config_selectorIlNS0_10empty_typeEEEZZNS1_27merge_sort_block_merge_implIS3_PlPS5_mZN2at6native12_GLOBAL__N_124unique_dim_cuda_templateIiEESt5tupleIJNSA_6TensorESF_SF_EERKSF_lbbbEUlllE_EE10hipError_tT0_T1_T2_jT3_P12ihipStream_tbPNSt15iterator_traitsISL_E10value_typeEPNSR_ISM_E10value_typeEPSN_NS1_7vsmem_tEENKUlT_SL_SM_SN_E_clIS8_S8_S9_S9_EESK_S10_SL_SM_SN_EUlS10_E1_NS1_11comp_targetILNS1_3genE3ELNS1_11target_archE908ELNS1_3gpuE7ELNS1_3repE0EEENS1_36merge_oddeven_config_static_selectorELNS0_4arch9wavefront6targetE1EEEvSM_
                                        ; -- End function
	.section	.AMDGPU.csdata,"",@progbits
; Kernel info:
; codeLenInByte = 0
; NumSgprs: 4
; NumVgprs: 0
; NumAgprs: 0
; TotalNumVgprs: 0
; ScratchSize: 0
; MemoryBound: 0
; FloatMode: 240
; IeeeMode: 1
; LDSByteSize: 0 bytes/workgroup (compile time only)
; SGPRBlocks: 0
; VGPRBlocks: 0
; NumSGPRsForWavesPerEU: 4
; NumVGPRsForWavesPerEU: 1
; AccumOffset: 4
; Occupancy: 8
; WaveLimiterHint : 0
; COMPUTE_PGM_RSRC2:SCRATCH_EN: 0
; COMPUTE_PGM_RSRC2:USER_SGPR: 6
; COMPUTE_PGM_RSRC2:TRAP_HANDLER: 0
; COMPUTE_PGM_RSRC2:TGID_X_EN: 1
; COMPUTE_PGM_RSRC2:TGID_Y_EN: 0
; COMPUTE_PGM_RSRC2:TGID_Z_EN: 0
; COMPUTE_PGM_RSRC2:TIDIG_COMP_CNT: 0
; COMPUTE_PGM_RSRC3_GFX90A:ACCUM_OFFSET: 0
; COMPUTE_PGM_RSRC3_GFX90A:TG_SPLIT: 0
	.section	.text._ZN7rocprim17ROCPRIM_400000_NS6detail17trampoline_kernelINS0_14default_configENS1_38merge_sort_block_merge_config_selectorIlNS0_10empty_typeEEEZZNS1_27merge_sort_block_merge_implIS3_PlPS5_mZN2at6native12_GLOBAL__N_124unique_dim_cuda_templateIiEESt5tupleIJNSA_6TensorESF_SF_EERKSF_lbbbEUlllE_EE10hipError_tT0_T1_T2_jT3_P12ihipStream_tbPNSt15iterator_traitsISL_E10value_typeEPNSR_ISM_E10value_typeEPSN_NS1_7vsmem_tEENKUlT_SL_SM_SN_E_clIS8_S8_S9_S9_EESK_S10_SL_SM_SN_EUlS10_E1_NS1_11comp_targetILNS1_3genE2ELNS1_11target_archE906ELNS1_3gpuE6ELNS1_3repE0EEENS1_36merge_oddeven_config_static_selectorELNS0_4arch9wavefront6targetE1EEEvSM_,"axG",@progbits,_ZN7rocprim17ROCPRIM_400000_NS6detail17trampoline_kernelINS0_14default_configENS1_38merge_sort_block_merge_config_selectorIlNS0_10empty_typeEEEZZNS1_27merge_sort_block_merge_implIS3_PlPS5_mZN2at6native12_GLOBAL__N_124unique_dim_cuda_templateIiEESt5tupleIJNSA_6TensorESF_SF_EERKSF_lbbbEUlllE_EE10hipError_tT0_T1_T2_jT3_P12ihipStream_tbPNSt15iterator_traitsISL_E10value_typeEPNSR_ISM_E10value_typeEPSN_NS1_7vsmem_tEENKUlT_SL_SM_SN_E_clIS8_S8_S9_S9_EESK_S10_SL_SM_SN_EUlS10_E1_NS1_11comp_targetILNS1_3genE2ELNS1_11target_archE906ELNS1_3gpuE6ELNS1_3repE0EEENS1_36merge_oddeven_config_static_selectorELNS0_4arch9wavefront6targetE1EEEvSM_,comdat
	.globl	_ZN7rocprim17ROCPRIM_400000_NS6detail17trampoline_kernelINS0_14default_configENS1_38merge_sort_block_merge_config_selectorIlNS0_10empty_typeEEEZZNS1_27merge_sort_block_merge_implIS3_PlPS5_mZN2at6native12_GLOBAL__N_124unique_dim_cuda_templateIiEESt5tupleIJNSA_6TensorESF_SF_EERKSF_lbbbEUlllE_EE10hipError_tT0_T1_T2_jT3_P12ihipStream_tbPNSt15iterator_traitsISL_E10value_typeEPNSR_ISM_E10value_typeEPSN_NS1_7vsmem_tEENKUlT_SL_SM_SN_E_clIS8_S8_S9_S9_EESK_S10_SL_SM_SN_EUlS10_E1_NS1_11comp_targetILNS1_3genE2ELNS1_11target_archE906ELNS1_3gpuE6ELNS1_3repE0EEENS1_36merge_oddeven_config_static_selectorELNS0_4arch9wavefront6targetE1EEEvSM_ ; -- Begin function _ZN7rocprim17ROCPRIM_400000_NS6detail17trampoline_kernelINS0_14default_configENS1_38merge_sort_block_merge_config_selectorIlNS0_10empty_typeEEEZZNS1_27merge_sort_block_merge_implIS3_PlPS5_mZN2at6native12_GLOBAL__N_124unique_dim_cuda_templateIiEESt5tupleIJNSA_6TensorESF_SF_EERKSF_lbbbEUlllE_EE10hipError_tT0_T1_T2_jT3_P12ihipStream_tbPNSt15iterator_traitsISL_E10value_typeEPNSR_ISM_E10value_typeEPSN_NS1_7vsmem_tEENKUlT_SL_SM_SN_E_clIS8_S8_S9_S9_EESK_S10_SL_SM_SN_EUlS10_E1_NS1_11comp_targetILNS1_3genE2ELNS1_11target_archE906ELNS1_3gpuE6ELNS1_3repE0EEENS1_36merge_oddeven_config_static_selectorELNS0_4arch9wavefront6targetE1EEEvSM_
	.p2align	8
	.type	_ZN7rocprim17ROCPRIM_400000_NS6detail17trampoline_kernelINS0_14default_configENS1_38merge_sort_block_merge_config_selectorIlNS0_10empty_typeEEEZZNS1_27merge_sort_block_merge_implIS3_PlPS5_mZN2at6native12_GLOBAL__N_124unique_dim_cuda_templateIiEESt5tupleIJNSA_6TensorESF_SF_EERKSF_lbbbEUlllE_EE10hipError_tT0_T1_T2_jT3_P12ihipStream_tbPNSt15iterator_traitsISL_E10value_typeEPNSR_ISM_E10value_typeEPSN_NS1_7vsmem_tEENKUlT_SL_SM_SN_E_clIS8_S8_S9_S9_EESK_S10_SL_SM_SN_EUlS10_E1_NS1_11comp_targetILNS1_3genE2ELNS1_11target_archE906ELNS1_3gpuE6ELNS1_3repE0EEENS1_36merge_oddeven_config_static_selectorELNS0_4arch9wavefront6targetE1EEEvSM_,@function
_ZN7rocprim17ROCPRIM_400000_NS6detail17trampoline_kernelINS0_14default_configENS1_38merge_sort_block_merge_config_selectorIlNS0_10empty_typeEEEZZNS1_27merge_sort_block_merge_implIS3_PlPS5_mZN2at6native12_GLOBAL__N_124unique_dim_cuda_templateIiEESt5tupleIJNSA_6TensorESF_SF_EERKSF_lbbbEUlllE_EE10hipError_tT0_T1_T2_jT3_P12ihipStream_tbPNSt15iterator_traitsISL_E10value_typeEPNSR_ISM_E10value_typeEPSN_NS1_7vsmem_tEENKUlT_SL_SM_SN_E_clIS8_S8_S9_S9_EESK_S10_SL_SM_SN_EUlS10_E1_NS1_11comp_targetILNS1_3genE2ELNS1_11target_archE906ELNS1_3gpuE6ELNS1_3repE0EEENS1_36merge_oddeven_config_static_selectorELNS0_4arch9wavefront6targetE1EEEvSM_: ; @_ZN7rocprim17ROCPRIM_400000_NS6detail17trampoline_kernelINS0_14default_configENS1_38merge_sort_block_merge_config_selectorIlNS0_10empty_typeEEEZZNS1_27merge_sort_block_merge_implIS3_PlPS5_mZN2at6native12_GLOBAL__N_124unique_dim_cuda_templateIiEESt5tupleIJNSA_6TensorESF_SF_EERKSF_lbbbEUlllE_EE10hipError_tT0_T1_T2_jT3_P12ihipStream_tbPNSt15iterator_traitsISL_E10value_typeEPNSR_ISM_E10value_typeEPSN_NS1_7vsmem_tEENKUlT_SL_SM_SN_E_clIS8_S8_S9_S9_EESK_S10_SL_SM_SN_EUlS10_E1_NS1_11comp_targetILNS1_3genE2ELNS1_11target_archE906ELNS1_3gpuE6ELNS1_3repE0EEENS1_36merge_oddeven_config_static_selectorELNS0_4arch9wavefront6targetE1EEEvSM_
; %bb.0:
	.section	.rodata,"a",@progbits
	.p2align	6, 0x0
	.amdhsa_kernel _ZN7rocprim17ROCPRIM_400000_NS6detail17trampoline_kernelINS0_14default_configENS1_38merge_sort_block_merge_config_selectorIlNS0_10empty_typeEEEZZNS1_27merge_sort_block_merge_implIS3_PlPS5_mZN2at6native12_GLOBAL__N_124unique_dim_cuda_templateIiEESt5tupleIJNSA_6TensorESF_SF_EERKSF_lbbbEUlllE_EE10hipError_tT0_T1_T2_jT3_P12ihipStream_tbPNSt15iterator_traitsISL_E10value_typeEPNSR_ISM_E10value_typeEPSN_NS1_7vsmem_tEENKUlT_SL_SM_SN_E_clIS8_S8_S9_S9_EESK_S10_SL_SM_SN_EUlS10_E1_NS1_11comp_targetILNS1_3genE2ELNS1_11target_archE906ELNS1_3gpuE6ELNS1_3repE0EEENS1_36merge_oddeven_config_static_selectorELNS0_4arch9wavefront6targetE1EEEvSM_
		.amdhsa_group_segment_fixed_size 0
		.amdhsa_private_segment_fixed_size 0
		.amdhsa_kernarg_size 64
		.amdhsa_user_sgpr_count 6
		.amdhsa_user_sgpr_private_segment_buffer 1
		.amdhsa_user_sgpr_dispatch_ptr 0
		.amdhsa_user_sgpr_queue_ptr 0
		.amdhsa_user_sgpr_kernarg_segment_ptr 1
		.amdhsa_user_sgpr_dispatch_id 0
		.amdhsa_user_sgpr_flat_scratch_init 0
		.amdhsa_user_sgpr_kernarg_preload_length 0
		.amdhsa_user_sgpr_kernarg_preload_offset 0
		.amdhsa_user_sgpr_private_segment_size 0
		.amdhsa_uses_dynamic_stack 0
		.amdhsa_system_sgpr_private_segment_wavefront_offset 0
		.amdhsa_system_sgpr_workgroup_id_x 1
		.amdhsa_system_sgpr_workgroup_id_y 0
		.amdhsa_system_sgpr_workgroup_id_z 0
		.amdhsa_system_sgpr_workgroup_info 0
		.amdhsa_system_vgpr_workitem_id 0
		.amdhsa_next_free_vgpr 1
		.amdhsa_next_free_sgpr 0
		.amdhsa_accum_offset 4
		.amdhsa_reserve_vcc 0
		.amdhsa_reserve_flat_scratch 0
		.amdhsa_float_round_mode_32 0
		.amdhsa_float_round_mode_16_64 0
		.amdhsa_float_denorm_mode_32 3
		.amdhsa_float_denorm_mode_16_64 3
		.amdhsa_dx10_clamp 1
		.amdhsa_ieee_mode 1
		.amdhsa_fp16_overflow 0
		.amdhsa_tg_split 0
		.amdhsa_exception_fp_ieee_invalid_op 0
		.amdhsa_exception_fp_denorm_src 0
		.amdhsa_exception_fp_ieee_div_zero 0
		.amdhsa_exception_fp_ieee_overflow 0
		.amdhsa_exception_fp_ieee_underflow 0
		.amdhsa_exception_fp_ieee_inexact 0
		.amdhsa_exception_int_div_zero 0
	.end_amdhsa_kernel
	.section	.text._ZN7rocprim17ROCPRIM_400000_NS6detail17trampoline_kernelINS0_14default_configENS1_38merge_sort_block_merge_config_selectorIlNS0_10empty_typeEEEZZNS1_27merge_sort_block_merge_implIS3_PlPS5_mZN2at6native12_GLOBAL__N_124unique_dim_cuda_templateIiEESt5tupleIJNSA_6TensorESF_SF_EERKSF_lbbbEUlllE_EE10hipError_tT0_T1_T2_jT3_P12ihipStream_tbPNSt15iterator_traitsISL_E10value_typeEPNSR_ISM_E10value_typeEPSN_NS1_7vsmem_tEENKUlT_SL_SM_SN_E_clIS8_S8_S9_S9_EESK_S10_SL_SM_SN_EUlS10_E1_NS1_11comp_targetILNS1_3genE2ELNS1_11target_archE906ELNS1_3gpuE6ELNS1_3repE0EEENS1_36merge_oddeven_config_static_selectorELNS0_4arch9wavefront6targetE1EEEvSM_,"axG",@progbits,_ZN7rocprim17ROCPRIM_400000_NS6detail17trampoline_kernelINS0_14default_configENS1_38merge_sort_block_merge_config_selectorIlNS0_10empty_typeEEEZZNS1_27merge_sort_block_merge_implIS3_PlPS5_mZN2at6native12_GLOBAL__N_124unique_dim_cuda_templateIiEESt5tupleIJNSA_6TensorESF_SF_EERKSF_lbbbEUlllE_EE10hipError_tT0_T1_T2_jT3_P12ihipStream_tbPNSt15iterator_traitsISL_E10value_typeEPNSR_ISM_E10value_typeEPSN_NS1_7vsmem_tEENKUlT_SL_SM_SN_E_clIS8_S8_S9_S9_EESK_S10_SL_SM_SN_EUlS10_E1_NS1_11comp_targetILNS1_3genE2ELNS1_11target_archE906ELNS1_3gpuE6ELNS1_3repE0EEENS1_36merge_oddeven_config_static_selectorELNS0_4arch9wavefront6targetE1EEEvSM_,comdat
.Lfunc_end413:
	.size	_ZN7rocprim17ROCPRIM_400000_NS6detail17trampoline_kernelINS0_14default_configENS1_38merge_sort_block_merge_config_selectorIlNS0_10empty_typeEEEZZNS1_27merge_sort_block_merge_implIS3_PlPS5_mZN2at6native12_GLOBAL__N_124unique_dim_cuda_templateIiEESt5tupleIJNSA_6TensorESF_SF_EERKSF_lbbbEUlllE_EE10hipError_tT0_T1_T2_jT3_P12ihipStream_tbPNSt15iterator_traitsISL_E10value_typeEPNSR_ISM_E10value_typeEPSN_NS1_7vsmem_tEENKUlT_SL_SM_SN_E_clIS8_S8_S9_S9_EESK_S10_SL_SM_SN_EUlS10_E1_NS1_11comp_targetILNS1_3genE2ELNS1_11target_archE906ELNS1_3gpuE6ELNS1_3repE0EEENS1_36merge_oddeven_config_static_selectorELNS0_4arch9wavefront6targetE1EEEvSM_, .Lfunc_end413-_ZN7rocprim17ROCPRIM_400000_NS6detail17trampoline_kernelINS0_14default_configENS1_38merge_sort_block_merge_config_selectorIlNS0_10empty_typeEEEZZNS1_27merge_sort_block_merge_implIS3_PlPS5_mZN2at6native12_GLOBAL__N_124unique_dim_cuda_templateIiEESt5tupleIJNSA_6TensorESF_SF_EERKSF_lbbbEUlllE_EE10hipError_tT0_T1_T2_jT3_P12ihipStream_tbPNSt15iterator_traitsISL_E10value_typeEPNSR_ISM_E10value_typeEPSN_NS1_7vsmem_tEENKUlT_SL_SM_SN_E_clIS8_S8_S9_S9_EESK_S10_SL_SM_SN_EUlS10_E1_NS1_11comp_targetILNS1_3genE2ELNS1_11target_archE906ELNS1_3gpuE6ELNS1_3repE0EEENS1_36merge_oddeven_config_static_selectorELNS0_4arch9wavefront6targetE1EEEvSM_
                                        ; -- End function
	.section	.AMDGPU.csdata,"",@progbits
; Kernel info:
; codeLenInByte = 0
; NumSgprs: 4
; NumVgprs: 0
; NumAgprs: 0
; TotalNumVgprs: 0
; ScratchSize: 0
; MemoryBound: 0
; FloatMode: 240
; IeeeMode: 1
; LDSByteSize: 0 bytes/workgroup (compile time only)
; SGPRBlocks: 0
; VGPRBlocks: 0
; NumSGPRsForWavesPerEU: 4
; NumVGPRsForWavesPerEU: 1
; AccumOffset: 4
; Occupancy: 8
; WaveLimiterHint : 0
; COMPUTE_PGM_RSRC2:SCRATCH_EN: 0
; COMPUTE_PGM_RSRC2:USER_SGPR: 6
; COMPUTE_PGM_RSRC2:TRAP_HANDLER: 0
; COMPUTE_PGM_RSRC2:TGID_X_EN: 1
; COMPUTE_PGM_RSRC2:TGID_Y_EN: 0
; COMPUTE_PGM_RSRC2:TGID_Z_EN: 0
; COMPUTE_PGM_RSRC2:TIDIG_COMP_CNT: 0
; COMPUTE_PGM_RSRC3_GFX90A:ACCUM_OFFSET: 0
; COMPUTE_PGM_RSRC3_GFX90A:TG_SPLIT: 0
	.section	.text._ZN7rocprim17ROCPRIM_400000_NS6detail17trampoline_kernelINS0_14default_configENS1_38merge_sort_block_merge_config_selectorIlNS0_10empty_typeEEEZZNS1_27merge_sort_block_merge_implIS3_PlPS5_mZN2at6native12_GLOBAL__N_124unique_dim_cuda_templateIiEESt5tupleIJNSA_6TensorESF_SF_EERKSF_lbbbEUlllE_EE10hipError_tT0_T1_T2_jT3_P12ihipStream_tbPNSt15iterator_traitsISL_E10value_typeEPNSR_ISM_E10value_typeEPSN_NS1_7vsmem_tEENKUlT_SL_SM_SN_E_clIS8_S8_S9_S9_EESK_S10_SL_SM_SN_EUlS10_E1_NS1_11comp_targetILNS1_3genE9ELNS1_11target_archE1100ELNS1_3gpuE3ELNS1_3repE0EEENS1_36merge_oddeven_config_static_selectorELNS0_4arch9wavefront6targetE1EEEvSM_,"axG",@progbits,_ZN7rocprim17ROCPRIM_400000_NS6detail17trampoline_kernelINS0_14default_configENS1_38merge_sort_block_merge_config_selectorIlNS0_10empty_typeEEEZZNS1_27merge_sort_block_merge_implIS3_PlPS5_mZN2at6native12_GLOBAL__N_124unique_dim_cuda_templateIiEESt5tupleIJNSA_6TensorESF_SF_EERKSF_lbbbEUlllE_EE10hipError_tT0_T1_T2_jT3_P12ihipStream_tbPNSt15iterator_traitsISL_E10value_typeEPNSR_ISM_E10value_typeEPSN_NS1_7vsmem_tEENKUlT_SL_SM_SN_E_clIS8_S8_S9_S9_EESK_S10_SL_SM_SN_EUlS10_E1_NS1_11comp_targetILNS1_3genE9ELNS1_11target_archE1100ELNS1_3gpuE3ELNS1_3repE0EEENS1_36merge_oddeven_config_static_selectorELNS0_4arch9wavefront6targetE1EEEvSM_,comdat
	.globl	_ZN7rocprim17ROCPRIM_400000_NS6detail17trampoline_kernelINS0_14default_configENS1_38merge_sort_block_merge_config_selectorIlNS0_10empty_typeEEEZZNS1_27merge_sort_block_merge_implIS3_PlPS5_mZN2at6native12_GLOBAL__N_124unique_dim_cuda_templateIiEESt5tupleIJNSA_6TensorESF_SF_EERKSF_lbbbEUlllE_EE10hipError_tT0_T1_T2_jT3_P12ihipStream_tbPNSt15iterator_traitsISL_E10value_typeEPNSR_ISM_E10value_typeEPSN_NS1_7vsmem_tEENKUlT_SL_SM_SN_E_clIS8_S8_S9_S9_EESK_S10_SL_SM_SN_EUlS10_E1_NS1_11comp_targetILNS1_3genE9ELNS1_11target_archE1100ELNS1_3gpuE3ELNS1_3repE0EEENS1_36merge_oddeven_config_static_selectorELNS0_4arch9wavefront6targetE1EEEvSM_ ; -- Begin function _ZN7rocprim17ROCPRIM_400000_NS6detail17trampoline_kernelINS0_14default_configENS1_38merge_sort_block_merge_config_selectorIlNS0_10empty_typeEEEZZNS1_27merge_sort_block_merge_implIS3_PlPS5_mZN2at6native12_GLOBAL__N_124unique_dim_cuda_templateIiEESt5tupleIJNSA_6TensorESF_SF_EERKSF_lbbbEUlllE_EE10hipError_tT0_T1_T2_jT3_P12ihipStream_tbPNSt15iterator_traitsISL_E10value_typeEPNSR_ISM_E10value_typeEPSN_NS1_7vsmem_tEENKUlT_SL_SM_SN_E_clIS8_S8_S9_S9_EESK_S10_SL_SM_SN_EUlS10_E1_NS1_11comp_targetILNS1_3genE9ELNS1_11target_archE1100ELNS1_3gpuE3ELNS1_3repE0EEENS1_36merge_oddeven_config_static_selectorELNS0_4arch9wavefront6targetE1EEEvSM_
	.p2align	8
	.type	_ZN7rocprim17ROCPRIM_400000_NS6detail17trampoline_kernelINS0_14default_configENS1_38merge_sort_block_merge_config_selectorIlNS0_10empty_typeEEEZZNS1_27merge_sort_block_merge_implIS3_PlPS5_mZN2at6native12_GLOBAL__N_124unique_dim_cuda_templateIiEESt5tupleIJNSA_6TensorESF_SF_EERKSF_lbbbEUlllE_EE10hipError_tT0_T1_T2_jT3_P12ihipStream_tbPNSt15iterator_traitsISL_E10value_typeEPNSR_ISM_E10value_typeEPSN_NS1_7vsmem_tEENKUlT_SL_SM_SN_E_clIS8_S8_S9_S9_EESK_S10_SL_SM_SN_EUlS10_E1_NS1_11comp_targetILNS1_3genE9ELNS1_11target_archE1100ELNS1_3gpuE3ELNS1_3repE0EEENS1_36merge_oddeven_config_static_selectorELNS0_4arch9wavefront6targetE1EEEvSM_,@function
_ZN7rocprim17ROCPRIM_400000_NS6detail17trampoline_kernelINS0_14default_configENS1_38merge_sort_block_merge_config_selectorIlNS0_10empty_typeEEEZZNS1_27merge_sort_block_merge_implIS3_PlPS5_mZN2at6native12_GLOBAL__N_124unique_dim_cuda_templateIiEESt5tupleIJNSA_6TensorESF_SF_EERKSF_lbbbEUlllE_EE10hipError_tT0_T1_T2_jT3_P12ihipStream_tbPNSt15iterator_traitsISL_E10value_typeEPNSR_ISM_E10value_typeEPSN_NS1_7vsmem_tEENKUlT_SL_SM_SN_E_clIS8_S8_S9_S9_EESK_S10_SL_SM_SN_EUlS10_E1_NS1_11comp_targetILNS1_3genE9ELNS1_11target_archE1100ELNS1_3gpuE3ELNS1_3repE0EEENS1_36merge_oddeven_config_static_selectorELNS0_4arch9wavefront6targetE1EEEvSM_: ; @_ZN7rocprim17ROCPRIM_400000_NS6detail17trampoline_kernelINS0_14default_configENS1_38merge_sort_block_merge_config_selectorIlNS0_10empty_typeEEEZZNS1_27merge_sort_block_merge_implIS3_PlPS5_mZN2at6native12_GLOBAL__N_124unique_dim_cuda_templateIiEESt5tupleIJNSA_6TensorESF_SF_EERKSF_lbbbEUlllE_EE10hipError_tT0_T1_T2_jT3_P12ihipStream_tbPNSt15iterator_traitsISL_E10value_typeEPNSR_ISM_E10value_typeEPSN_NS1_7vsmem_tEENKUlT_SL_SM_SN_E_clIS8_S8_S9_S9_EESK_S10_SL_SM_SN_EUlS10_E1_NS1_11comp_targetILNS1_3genE9ELNS1_11target_archE1100ELNS1_3gpuE3ELNS1_3repE0EEENS1_36merge_oddeven_config_static_selectorELNS0_4arch9wavefront6targetE1EEEvSM_
; %bb.0:
	.section	.rodata,"a",@progbits
	.p2align	6, 0x0
	.amdhsa_kernel _ZN7rocprim17ROCPRIM_400000_NS6detail17trampoline_kernelINS0_14default_configENS1_38merge_sort_block_merge_config_selectorIlNS0_10empty_typeEEEZZNS1_27merge_sort_block_merge_implIS3_PlPS5_mZN2at6native12_GLOBAL__N_124unique_dim_cuda_templateIiEESt5tupleIJNSA_6TensorESF_SF_EERKSF_lbbbEUlllE_EE10hipError_tT0_T1_T2_jT3_P12ihipStream_tbPNSt15iterator_traitsISL_E10value_typeEPNSR_ISM_E10value_typeEPSN_NS1_7vsmem_tEENKUlT_SL_SM_SN_E_clIS8_S8_S9_S9_EESK_S10_SL_SM_SN_EUlS10_E1_NS1_11comp_targetILNS1_3genE9ELNS1_11target_archE1100ELNS1_3gpuE3ELNS1_3repE0EEENS1_36merge_oddeven_config_static_selectorELNS0_4arch9wavefront6targetE1EEEvSM_
		.amdhsa_group_segment_fixed_size 0
		.amdhsa_private_segment_fixed_size 0
		.amdhsa_kernarg_size 64
		.amdhsa_user_sgpr_count 6
		.amdhsa_user_sgpr_private_segment_buffer 1
		.amdhsa_user_sgpr_dispatch_ptr 0
		.amdhsa_user_sgpr_queue_ptr 0
		.amdhsa_user_sgpr_kernarg_segment_ptr 1
		.amdhsa_user_sgpr_dispatch_id 0
		.amdhsa_user_sgpr_flat_scratch_init 0
		.amdhsa_user_sgpr_kernarg_preload_length 0
		.amdhsa_user_sgpr_kernarg_preload_offset 0
		.amdhsa_user_sgpr_private_segment_size 0
		.amdhsa_uses_dynamic_stack 0
		.amdhsa_system_sgpr_private_segment_wavefront_offset 0
		.amdhsa_system_sgpr_workgroup_id_x 1
		.amdhsa_system_sgpr_workgroup_id_y 0
		.amdhsa_system_sgpr_workgroup_id_z 0
		.amdhsa_system_sgpr_workgroup_info 0
		.amdhsa_system_vgpr_workitem_id 0
		.amdhsa_next_free_vgpr 1
		.amdhsa_next_free_sgpr 0
		.amdhsa_accum_offset 4
		.amdhsa_reserve_vcc 0
		.amdhsa_reserve_flat_scratch 0
		.amdhsa_float_round_mode_32 0
		.amdhsa_float_round_mode_16_64 0
		.amdhsa_float_denorm_mode_32 3
		.amdhsa_float_denorm_mode_16_64 3
		.amdhsa_dx10_clamp 1
		.amdhsa_ieee_mode 1
		.amdhsa_fp16_overflow 0
		.amdhsa_tg_split 0
		.amdhsa_exception_fp_ieee_invalid_op 0
		.amdhsa_exception_fp_denorm_src 0
		.amdhsa_exception_fp_ieee_div_zero 0
		.amdhsa_exception_fp_ieee_overflow 0
		.amdhsa_exception_fp_ieee_underflow 0
		.amdhsa_exception_fp_ieee_inexact 0
		.amdhsa_exception_int_div_zero 0
	.end_amdhsa_kernel
	.section	.text._ZN7rocprim17ROCPRIM_400000_NS6detail17trampoline_kernelINS0_14default_configENS1_38merge_sort_block_merge_config_selectorIlNS0_10empty_typeEEEZZNS1_27merge_sort_block_merge_implIS3_PlPS5_mZN2at6native12_GLOBAL__N_124unique_dim_cuda_templateIiEESt5tupleIJNSA_6TensorESF_SF_EERKSF_lbbbEUlllE_EE10hipError_tT0_T1_T2_jT3_P12ihipStream_tbPNSt15iterator_traitsISL_E10value_typeEPNSR_ISM_E10value_typeEPSN_NS1_7vsmem_tEENKUlT_SL_SM_SN_E_clIS8_S8_S9_S9_EESK_S10_SL_SM_SN_EUlS10_E1_NS1_11comp_targetILNS1_3genE9ELNS1_11target_archE1100ELNS1_3gpuE3ELNS1_3repE0EEENS1_36merge_oddeven_config_static_selectorELNS0_4arch9wavefront6targetE1EEEvSM_,"axG",@progbits,_ZN7rocprim17ROCPRIM_400000_NS6detail17trampoline_kernelINS0_14default_configENS1_38merge_sort_block_merge_config_selectorIlNS0_10empty_typeEEEZZNS1_27merge_sort_block_merge_implIS3_PlPS5_mZN2at6native12_GLOBAL__N_124unique_dim_cuda_templateIiEESt5tupleIJNSA_6TensorESF_SF_EERKSF_lbbbEUlllE_EE10hipError_tT0_T1_T2_jT3_P12ihipStream_tbPNSt15iterator_traitsISL_E10value_typeEPNSR_ISM_E10value_typeEPSN_NS1_7vsmem_tEENKUlT_SL_SM_SN_E_clIS8_S8_S9_S9_EESK_S10_SL_SM_SN_EUlS10_E1_NS1_11comp_targetILNS1_3genE9ELNS1_11target_archE1100ELNS1_3gpuE3ELNS1_3repE0EEENS1_36merge_oddeven_config_static_selectorELNS0_4arch9wavefront6targetE1EEEvSM_,comdat
.Lfunc_end414:
	.size	_ZN7rocprim17ROCPRIM_400000_NS6detail17trampoline_kernelINS0_14default_configENS1_38merge_sort_block_merge_config_selectorIlNS0_10empty_typeEEEZZNS1_27merge_sort_block_merge_implIS3_PlPS5_mZN2at6native12_GLOBAL__N_124unique_dim_cuda_templateIiEESt5tupleIJNSA_6TensorESF_SF_EERKSF_lbbbEUlllE_EE10hipError_tT0_T1_T2_jT3_P12ihipStream_tbPNSt15iterator_traitsISL_E10value_typeEPNSR_ISM_E10value_typeEPSN_NS1_7vsmem_tEENKUlT_SL_SM_SN_E_clIS8_S8_S9_S9_EESK_S10_SL_SM_SN_EUlS10_E1_NS1_11comp_targetILNS1_3genE9ELNS1_11target_archE1100ELNS1_3gpuE3ELNS1_3repE0EEENS1_36merge_oddeven_config_static_selectorELNS0_4arch9wavefront6targetE1EEEvSM_, .Lfunc_end414-_ZN7rocprim17ROCPRIM_400000_NS6detail17trampoline_kernelINS0_14default_configENS1_38merge_sort_block_merge_config_selectorIlNS0_10empty_typeEEEZZNS1_27merge_sort_block_merge_implIS3_PlPS5_mZN2at6native12_GLOBAL__N_124unique_dim_cuda_templateIiEESt5tupleIJNSA_6TensorESF_SF_EERKSF_lbbbEUlllE_EE10hipError_tT0_T1_T2_jT3_P12ihipStream_tbPNSt15iterator_traitsISL_E10value_typeEPNSR_ISM_E10value_typeEPSN_NS1_7vsmem_tEENKUlT_SL_SM_SN_E_clIS8_S8_S9_S9_EESK_S10_SL_SM_SN_EUlS10_E1_NS1_11comp_targetILNS1_3genE9ELNS1_11target_archE1100ELNS1_3gpuE3ELNS1_3repE0EEENS1_36merge_oddeven_config_static_selectorELNS0_4arch9wavefront6targetE1EEEvSM_
                                        ; -- End function
	.section	.AMDGPU.csdata,"",@progbits
; Kernel info:
; codeLenInByte = 0
; NumSgprs: 4
; NumVgprs: 0
; NumAgprs: 0
; TotalNumVgprs: 0
; ScratchSize: 0
; MemoryBound: 0
; FloatMode: 240
; IeeeMode: 1
; LDSByteSize: 0 bytes/workgroup (compile time only)
; SGPRBlocks: 0
; VGPRBlocks: 0
; NumSGPRsForWavesPerEU: 4
; NumVGPRsForWavesPerEU: 1
; AccumOffset: 4
; Occupancy: 8
; WaveLimiterHint : 0
; COMPUTE_PGM_RSRC2:SCRATCH_EN: 0
; COMPUTE_PGM_RSRC2:USER_SGPR: 6
; COMPUTE_PGM_RSRC2:TRAP_HANDLER: 0
; COMPUTE_PGM_RSRC2:TGID_X_EN: 1
; COMPUTE_PGM_RSRC2:TGID_Y_EN: 0
; COMPUTE_PGM_RSRC2:TGID_Z_EN: 0
; COMPUTE_PGM_RSRC2:TIDIG_COMP_CNT: 0
; COMPUTE_PGM_RSRC3_GFX90A:ACCUM_OFFSET: 0
; COMPUTE_PGM_RSRC3_GFX90A:TG_SPLIT: 0
	.section	.text._ZN7rocprim17ROCPRIM_400000_NS6detail17trampoline_kernelINS0_14default_configENS1_38merge_sort_block_merge_config_selectorIlNS0_10empty_typeEEEZZNS1_27merge_sort_block_merge_implIS3_PlPS5_mZN2at6native12_GLOBAL__N_124unique_dim_cuda_templateIiEESt5tupleIJNSA_6TensorESF_SF_EERKSF_lbbbEUlllE_EE10hipError_tT0_T1_T2_jT3_P12ihipStream_tbPNSt15iterator_traitsISL_E10value_typeEPNSR_ISM_E10value_typeEPSN_NS1_7vsmem_tEENKUlT_SL_SM_SN_E_clIS8_S8_S9_S9_EESK_S10_SL_SM_SN_EUlS10_E1_NS1_11comp_targetILNS1_3genE8ELNS1_11target_archE1030ELNS1_3gpuE2ELNS1_3repE0EEENS1_36merge_oddeven_config_static_selectorELNS0_4arch9wavefront6targetE1EEEvSM_,"axG",@progbits,_ZN7rocprim17ROCPRIM_400000_NS6detail17trampoline_kernelINS0_14default_configENS1_38merge_sort_block_merge_config_selectorIlNS0_10empty_typeEEEZZNS1_27merge_sort_block_merge_implIS3_PlPS5_mZN2at6native12_GLOBAL__N_124unique_dim_cuda_templateIiEESt5tupleIJNSA_6TensorESF_SF_EERKSF_lbbbEUlllE_EE10hipError_tT0_T1_T2_jT3_P12ihipStream_tbPNSt15iterator_traitsISL_E10value_typeEPNSR_ISM_E10value_typeEPSN_NS1_7vsmem_tEENKUlT_SL_SM_SN_E_clIS8_S8_S9_S9_EESK_S10_SL_SM_SN_EUlS10_E1_NS1_11comp_targetILNS1_3genE8ELNS1_11target_archE1030ELNS1_3gpuE2ELNS1_3repE0EEENS1_36merge_oddeven_config_static_selectorELNS0_4arch9wavefront6targetE1EEEvSM_,comdat
	.globl	_ZN7rocprim17ROCPRIM_400000_NS6detail17trampoline_kernelINS0_14default_configENS1_38merge_sort_block_merge_config_selectorIlNS0_10empty_typeEEEZZNS1_27merge_sort_block_merge_implIS3_PlPS5_mZN2at6native12_GLOBAL__N_124unique_dim_cuda_templateIiEESt5tupleIJNSA_6TensorESF_SF_EERKSF_lbbbEUlllE_EE10hipError_tT0_T1_T2_jT3_P12ihipStream_tbPNSt15iterator_traitsISL_E10value_typeEPNSR_ISM_E10value_typeEPSN_NS1_7vsmem_tEENKUlT_SL_SM_SN_E_clIS8_S8_S9_S9_EESK_S10_SL_SM_SN_EUlS10_E1_NS1_11comp_targetILNS1_3genE8ELNS1_11target_archE1030ELNS1_3gpuE2ELNS1_3repE0EEENS1_36merge_oddeven_config_static_selectorELNS0_4arch9wavefront6targetE1EEEvSM_ ; -- Begin function _ZN7rocprim17ROCPRIM_400000_NS6detail17trampoline_kernelINS0_14default_configENS1_38merge_sort_block_merge_config_selectorIlNS0_10empty_typeEEEZZNS1_27merge_sort_block_merge_implIS3_PlPS5_mZN2at6native12_GLOBAL__N_124unique_dim_cuda_templateIiEESt5tupleIJNSA_6TensorESF_SF_EERKSF_lbbbEUlllE_EE10hipError_tT0_T1_T2_jT3_P12ihipStream_tbPNSt15iterator_traitsISL_E10value_typeEPNSR_ISM_E10value_typeEPSN_NS1_7vsmem_tEENKUlT_SL_SM_SN_E_clIS8_S8_S9_S9_EESK_S10_SL_SM_SN_EUlS10_E1_NS1_11comp_targetILNS1_3genE8ELNS1_11target_archE1030ELNS1_3gpuE2ELNS1_3repE0EEENS1_36merge_oddeven_config_static_selectorELNS0_4arch9wavefront6targetE1EEEvSM_
	.p2align	8
	.type	_ZN7rocprim17ROCPRIM_400000_NS6detail17trampoline_kernelINS0_14default_configENS1_38merge_sort_block_merge_config_selectorIlNS0_10empty_typeEEEZZNS1_27merge_sort_block_merge_implIS3_PlPS5_mZN2at6native12_GLOBAL__N_124unique_dim_cuda_templateIiEESt5tupleIJNSA_6TensorESF_SF_EERKSF_lbbbEUlllE_EE10hipError_tT0_T1_T2_jT3_P12ihipStream_tbPNSt15iterator_traitsISL_E10value_typeEPNSR_ISM_E10value_typeEPSN_NS1_7vsmem_tEENKUlT_SL_SM_SN_E_clIS8_S8_S9_S9_EESK_S10_SL_SM_SN_EUlS10_E1_NS1_11comp_targetILNS1_3genE8ELNS1_11target_archE1030ELNS1_3gpuE2ELNS1_3repE0EEENS1_36merge_oddeven_config_static_selectorELNS0_4arch9wavefront6targetE1EEEvSM_,@function
_ZN7rocprim17ROCPRIM_400000_NS6detail17trampoline_kernelINS0_14default_configENS1_38merge_sort_block_merge_config_selectorIlNS0_10empty_typeEEEZZNS1_27merge_sort_block_merge_implIS3_PlPS5_mZN2at6native12_GLOBAL__N_124unique_dim_cuda_templateIiEESt5tupleIJNSA_6TensorESF_SF_EERKSF_lbbbEUlllE_EE10hipError_tT0_T1_T2_jT3_P12ihipStream_tbPNSt15iterator_traitsISL_E10value_typeEPNSR_ISM_E10value_typeEPSN_NS1_7vsmem_tEENKUlT_SL_SM_SN_E_clIS8_S8_S9_S9_EESK_S10_SL_SM_SN_EUlS10_E1_NS1_11comp_targetILNS1_3genE8ELNS1_11target_archE1030ELNS1_3gpuE2ELNS1_3repE0EEENS1_36merge_oddeven_config_static_selectorELNS0_4arch9wavefront6targetE1EEEvSM_: ; @_ZN7rocprim17ROCPRIM_400000_NS6detail17trampoline_kernelINS0_14default_configENS1_38merge_sort_block_merge_config_selectorIlNS0_10empty_typeEEEZZNS1_27merge_sort_block_merge_implIS3_PlPS5_mZN2at6native12_GLOBAL__N_124unique_dim_cuda_templateIiEESt5tupleIJNSA_6TensorESF_SF_EERKSF_lbbbEUlllE_EE10hipError_tT0_T1_T2_jT3_P12ihipStream_tbPNSt15iterator_traitsISL_E10value_typeEPNSR_ISM_E10value_typeEPSN_NS1_7vsmem_tEENKUlT_SL_SM_SN_E_clIS8_S8_S9_S9_EESK_S10_SL_SM_SN_EUlS10_E1_NS1_11comp_targetILNS1_3genE8ELNS1_11target_archE1030ELNS1_3gpuE2ELNS1_3repE0EEENS1_36merge_oddeven_config_static_selectorELNS0_4arch9wavefront6targetE1EEEvSM_
; %bb.0:
	.section	.rodata,"a",@progbits
	.p2align	6, 0x0
	.amdhsa_kernel _ZN7rocprim17ROCPRIM_400000_NS6detail17trampoline_kernelINS0_14default_configENS1_38merge_sort_block_merge_config_selectorIlNS0_10empty_typeEEEZZNS1_27merge_sort_block_merge_implIS3_PlPS5_mZN2at6native12_GLOBAL__N_124unique_dim_cuda_templateIiEESt5tupleIJNSA_6TensorESF_SF_EERKSF_lbbbEUlllE_EE10hipError_tT0_T1_T2_jT3_P12ihipStream_tbPNSt15iterator_traitsISL_E10value_typeEPNSR_ISM_E10value_typeEPSN_NS1_7vsmem_tEENKUlT_SL_SM_SN_E_clIS8_S8_S9_S9_EESK_S10_SL_SM_SN_EUlS10_E1_NS1_11comp_targetILNS1_3genE8ELNS1_11target_archE1030ELNS1_3gpuE2ELNS1_3repE0EEENS1_36merge_oddeven_config_static_selectorELNS0_4arch9wavefront6targetE1EEEvSM_
		.amdhsa_group_segment_fixed_size 0
		.amdhsa_private_segment_fixed_size 0
		.amdhsa_kernarg_size 64
		.amdhsa_user_sgpr_count 6
		.amdhsa_user_sgpr_private_segment_buffer 1
		.amdhsa_user_sgpr_dispatch_ptr 0
		.amdhsa_user_sgpr_queue_ptr 0
		.amdhsa_user_sgpr_kernarg_segment_ptr 1
		.amdhsa_user_sgpr_dispatch_id 0
		.amdhsa_user_sgpr_flat_scratch_init 0
		.amdhsa_user_sgpr_kernarg_preload_length 0
		.amdhsa_user_sgpr_kernarg_preload_offset 0
		.amdhsa_user_sgpr_private_segment_size 0
		.amdhsa_uses_dynamic_stack 0
		.amdhsa_system_sgpr_private_segment_wavefront_offset 0
		.amdhsa_system_sgpr_workgroup_id_x 1
		.amdhsa_system_sgpr_workgroup_id_y 0
		.amdhsa_system_sgpr_workgroup_id_z 0
		.amdhsa_system_sgpr_workgroup_info 0
		.amdhsa_system_vgpr_workitem_id 0
		.amdhsa_next_free_vgpr 1
		.amdhsa_next_free_sgpr 0
		.amdhsa_accum_offset 4
		.amdhsa_reserve_vcc 0
		.amdhsa_reserve_flat_scratch 0
		.amdhsa_float_round_mode_32 0
		.amdhsa_float_round_mode_16_64 0
		.amdhsa_float_denorm_mode_32 3
		.amdhsa_float_denorm_mode_16_64 3
		.amdhsa_dx10_clamp 1
		.amdhsa_ieee_mode 1
		.amdhsa_fp16_overflow 0
		.amdhsa_tg_split 0
		.amdhsa_exception_fp_ieee_invalid_op 0
		.amdhsa_exception_fp_denorm_src 0
		.amdhsa_exception_fp_ieee_div_zero 0
		.amdhsa_exception_fp_ieee_overflow 0
		.amdhsa_exception_fp_ieee_underflow 0
		.amdhsa_exception_fp_ieee_inexact 0
		.amdhsa_exception_int_div_zero 0
	.end_amdhsa_kernel
	.section	.text._ZN7rocprim17ROCPRIM_400000_NS6detail17trampoline_kernelINS0_14default_configENS1_38merge_sort_block_merge_config_selectorIlNS0_10empty_typeEEEZZNS1_27merge_sort_block_merge_implIS3_PlPS5_mZN2at6native12_GLOBAL__N_124unique_dim_cuda_templateIiEESt5tupleIJNSA_6TensorESF_SF_EERKSF_lbbbEUlllE_EE10hipError_tT0_T1_T2_jT3_P12ihipStream_tbPNSt15iterator_traitsISL_E10value_typeEPNSR_ISM_E10value_typeEPSN_NS1_7vsmem_tEENKUlT_SL_SM_SN_E_clIS8_S8_S9_S9_EESK_S10_SL_SM_SN_EUlS10_E1_NS1_11comp_targetILNS1_3genE8ELNS1_11target_archE1030ELNS1_3gpuE2ELNS1_3repE0EEENS1_36merge_oddeven_config_static_selectorELNS0_4arch9wavefront6targetE1EEEvSM_,"axG",@progbits,_ZN7rocprim17ROCPRIM_400000_NS6detail17trampoline_kernelINS0_14default_configENS1_38merge_sort_block_merge_config_selectorIlNS0_10empty_typeEEEZZNS1_27merge_sort_block_merge_implIS3_PlPS5_mZN2at6native12_GLOBAL__N_124unique_dim_cuda_templateIiEESt5tupleIJNSA_6TensorESF_SF_EERKSF_lbbbEUlllE_EE10hipError_tT0_T1_T2_jT3_P12ihipStream_tbPNSt15iterator_traitsISL_E10value_typeEPNSR_ISM_E10value_typeEPSN_NS1_7vsmem_tEENKUlT_SL_SM_SN_E_clIS8_S8_S9_S9_EESK_S10_SL_SM_SN_EUlS10_E1_NS1_11comp_targetILNS1_3genE8ELNS1_11target_archE1030ELNS1_3gpuE2ELNS1_3repE0EEENS1_36merge_oddeven_config_static_selectorELNS0_4arch9wavefront6targetE1EEEvSM_,comdat
.Lfunc_end415:
	.size	_ZN7rocprim17ROCPRIM_400000_NS6detail17trampoline_kernelINS0_14default_configENS1_38merge_sort_block_merge_config_selectorIlNS0_10empty_typeEEEZZNS1_27merge_sort_block_merge_implIS3_PlPS5_mZN2at6native12_GLOBAL__N_124unique_dim_cuda_templateIiEESt5tupleIJNSA_6TensorESF_SF_EERKSF_lbbbEUlllE_EE10hipError_tT0_T1_T2_jT3_P12ihipStream_tbPNSt15iterator_traitsISL_E10value_typeEPNSR_ISM_E10value_typeEPSN_NS1_7vsmem_tEENKUlT_SL_SM_SN_E_clIS8_S8_S9_S9_EESK_S10_SL_SM_SN_EUlS10_E1_NS1_11comp_targetILNS1_3genE8ELNS1_11target_archE1030ELNS1_3gpuE2ELNS1_3repE0EEENS1_36merge_oddeven_config_static_selectorELNS0_4arch9wavefront6targetE1EEEvSM_, .Lfunc_end415-_ZN7rocprim17ROCPRIM_400000_NS6detail17trampoline_kernelINS0_14default_configENS1_38merge_sort_block_merge_config_selectorIlNS0_10empty_typeEEEZZNS1_27merge_sort_block_merge_implIS3_PlPS5_mZN2at6native12_GLOBAL__N_124unique_dim_cuda_templateIiEESt5tupleIJNSA_6TensorESF_SF_EERKSF_lbbbEUlllE_EE10hipError_tT0_T1_T2_jT3_P12ihipStream_tbPNSt15iterator_traitsISL_E10value_typeEPNSR_ISM_E10value_typeEPSN_NS1_7vsmem_tEENKUlT_SL_SM_SN_E_clIS8_S8_S9_S9_EESK_S10_SL_SM_SN_EUlS10_E1_NS1_11comp_targetILNS1_3genE8ELNS1_11target_archE1030ELNS1_3gpuE2ELNS1_3repE0EEENS1_36merge_oddeven_config_static_selectorELNS0_4arch9wavefront6targetE1EEEvSM_
                                        ; -- End function
	.section	.AMDGPU.csdata,"",@progbits
; Kernel info:
; codeLenInByte = 0
; NumSgprs: 4
; NumVgprs: 0
; NumAgprs: 0
; TotalNumVgprs: 0
; ScratchSize: 0
; MemoryBound: 0
; FloatMode: 240
; IeeeMode: 1
; LDSByteSize: 0 bytes/workgroup (compile time only)
; SGPRBlocks: 0
; VGPRBlocks: 0
; NumSGPRsForWavesPerEU: 4
; NumVGPRsForWavesPerEU: 1
; AccumOffset: 4
; Occupancy: 8
; WaveLimiterHint : 0
; COMPUTE_PGM_RSRC2:SCRATCH_EN: 0
; COMPUTE_PGM_RSRC2:USER_SGPR: 6
; COMPUTE_PGM_RSRC2:TRAP_HANDLER: 0
; COMPUTE_PGM_RSRC2:TGID_X_EN: 1
; COMPUTE_PGM_RSRC2:TGID_Y_EN: 0
; COMPUTE_PGM_RSRC2:TGID_Z_EN: 0
; COMPUTE_PGM_RSRC2:TIDIG_COMP_CNT: 0
; COMPUTE_PGM_RSRC3_GFX90A:ACCUM_OFFSET: 0
; COMPUTE_PGM_RSRC3_GFX90A:TG_SPLIT: 0
	.section	.text._ZN7rocprim17ROCPRIM_400000_NS6detail17trampoline_kernelINS0_14default_configENS1_35adjacent_difference_config_selectorILb0ElEEZNS1_24adjacent_difference_implIS3_Lb0ELb0EPlS7_ZN2at6native12_GLOBAL__N_124unique_dim_cuda_templateIiEESt5tupleIJNS8_6TensorESD_SD_EERKSD_lbbbEUlllE1_EE10hipError_tPvRmT2_T3_mT4_P12ihipStream_tbEUlT_E_NS1_11comp_targetILNS1_3genE0ELNS1_11target_archE4294967295ELNS1_3gpuE0ELNS1_3repE0EEENS1_30default_config_static_selectorELNS0_4arch9wavefront6targetE1EEEvT1_,"axG",@progbits,_ZN7rocprim17ROCPRIM_400000_NS6detail17trampoline_kernelINS0_14default_configENS1_35adjacent_difference_config_selectorILb0ElEEZNS1_24adjacent_difference_implIS3_Lb0ELb0EPlS7_ZN2at6native12_GLOBAL__N_124unique_dim_cuda_templateIiEESt5tupleIJNS8_6TensorESD_SD_EERKSD_lbbbEUlllE1_EE10hipError_tPvRmT2_T3_mT4_P12ihipStream_tbEUlT_E_NS1_11comp_targetILNS1_3genE0ELNS1_11target_archE4294967295ELNS1_3gpuE0ELNS1_3repE0EEENS1_30default_config_static_selectorELNS0_4arch9wavefront6targetE1EEEvT1_,comdat
	.globl	_ZN7rocprim17ROCPRIM_400000_NS6detail17trampoline_kernelINS0_14default_configENS1_35adjacent_difference_config_selectorILb0ElEEZNS1_24adjacent_difference_implIS3_Lb0ELb0EPlS7_ZN2at6native12_GLOBAL__N_124unique_dim_cuda_templateIiEESt5tupleIJNS8_6TensorESD_SD_EERKSD_lbbbEUlllE1_EE10hipError_tPvRmT2_T3_mT4_P12ihipStream_tbEUlT_E_NS1_11comp_targetILNS1_3genE0ELNS1_11target_archE4294967295ELNS1_3gpuE0ELNS1_3repE0EEENS1_30default_config_static_selectorELNS0_4arch9wavefront6targetE1EEEvT1_ ; -- Begin function _ZN7rocprim17ROCPRIM_400000_NS6detail17trampoline_kernelINS0_14default_configENS1_35adjacent_difference_config_selectorILb0ElEEZNS1_24adjacent_difference_implIS3_Lb0ELb0EPlS7_ZN2at6native12_GLOBAL__N_124unique_dim_cuda_templateIiEESt5tupleIJNS8_6TensorESD_SD_EERKSD_lbbbEUlllE1_EE10hipError_tPvRmT2_T3_mT4_P12ihipStream_tbEUlT_E_NS1_11comp_targetILNS1_3genE0ELNS1_11target_archE4294967295ELNS1_3gpuE0ELNS1_3repE0EEENS1_30default_config_static_selectorELNS0_4arch9wavefront6targetE1EEEvT1_
	.p2align	8
	.type	_ZN7rocprim17ROCPRIM_400000_NS6detail17trampoline_kernelINS0_14default_configENS1_35adjacent_difference_config_selectorILb0ElEEZNS1_24adjacent_difference_implIS3_Lb0ELb0EPlS7_ZN2at6native12_GLOBAL__N_124unique_dim_cuda_templateIiEESt5tupleIJNS8_6TensorESD_SD_EERKSD_lbbbEUlllE1_EE10hipError_tPvRmT2_T3_mT4_P12ihipStream_tbEUlT_E_NS1_11comp_targetILNS1_3genE0ELNS1_11target_archE4294967295ELNS1_3gpuE0ELNS1_3repE0EEENS1_30default_config_static_selectorELNS0_4arch9wavefront6targetE1EEEvT1_,@function
_ZN7rocprim17ROCPRIM_400000_NS6detail17trampoline_kernelINS0_14default_configENS1_35adjacent_difference_config_selectorILb0ElEEZNS1_24adjacent_difference_implIS3_Lb0ELb0EPlS7_ZN2at6native12_GLOBAL__N_124unique_dim_cuda_templateIiEESt5tupleIJNS8_6TensorESD_SD_EERKSD_lbbbEUlllE1_EE10hipError_tPvRmT2_T3_mT4_P12ihipStream_tbEUlT_E_NS1_11comp_targetILNS1_3genE0ELNS1_11target_archE4294967295ELNS1_3gpuE0ELNS1_3repE0EEENS1_30default_config_static_selectorELNS0_4arch9wavefront6targetE1EEEvT1_: ; @_ZN7rocprim17ROCPRIM_400000_NS6detail17trampoline_kernelINS0_14default_configENS1_35adjacent_difference_config_selectorILb0ElEEZNS1_24adjacent_difference_implIS3_Lb0ELb0EPlS7_ZN2at6native12_GLOBAL__N_124unique_dim_cuda_templateIiEESt5tupleIJNS8_6TensorESD_SD_EERKSD_lbbbEUlllE1_EE10hipError_tPvRmT2_T3_mT4_P12ihipStream_tbEUlT_E_NS1_11comp_targetILNS1_3genE0ELNS1_11target_archE4294967295ELNS1_3gpuE0ELNS1_3repE0EEENS1_30default_config_static_selectorELNS0_4arch9wavefront6targetE1EEEvT1_
; %bb.0:
	.section	.rodata,"a",@progbits
	.p2align	6, 0x0
	.amdhsa_kernel _ZN7rocprim17ROCPRIM_400000_NS6detail17trampoline_kernelINS0_14default_configENS1_35adjacent_difference_config_selectorILb0ElEEZNS1_24adjacent_difference_implIS3_Lb0ELb0EPlS7_ZN2at6native12_GLOBAL__N_124unique_dim_cuda_templateIiEESt5tupleIJNS8_6TensorESD_SD_EERKSD_lbbbEUlllE1_EE10hipError_tPvRmT2_T3_mT4_P12ihipStream_tbEUlT_E_NS1_11comp_targetILNS1_3genE0ELNS1_11target_archE4294967295ELNS1_3gpuE0ELNS1_3repE0EEENS1_30default_config_static_selectorELNS0_4arch9wavefront6targetE1EEEvT1_
		.amdhsa_group_segment_fixed_size 0
		.amdhsa_private_segment_fixed_size 0
		.amdhsa_kernarg_size 64
		.amdhsa_user_sgpr_count 6
		.amdhsa_user_sgpr_private_segment_buffer 1
		.amdhsa_user_sgpr_dispatch_ptr 0
		.amdhsa_user_sgpr_queue_ptr 0
		.amdhsa_user_sgpr_kernarg_segment_ptr 1
		.amdhsa_user_sgpr_dispatch_id 0
		.amdhsa_user_sgpr_flat_scratch_init 0
		.amdhsa_user_sgpr_kernarg_preload_length 0
		.amdhsa_user_sgpr_kernarg_preload_offset 0
		.amdhsa_user_sgpr_private_segment_size 0
		.amdhsa_uses_dynamic_stack 0
		.amdhsa_system_sgpr_private_segment_wavefront_offset 0
		.amdhsa_system_sgpr_workgroup_id_x 1
		.amdhsa_system_sgpr_workgroup_id_y 0
		.amdhsa_system_sgpr_workgroup_id_z 0
		.amdhsa_system_sgpr_workgroup_info 0
		.amdhsa_system_vgpr_workitem_id 0
		.amdhsa_next_free_vgpr 1
		.amdhsa_next_free_sgpr 0
		.amdhsa_accum_offset 4
		.amdhsa_reserve_vcc 0
		.amdhsa_reserve_flat_scratch 0
		.amdhsa_float_round_mode_32 0
		.amdhsa_float_round_mode_16_64 0
		.amdhsa_float_denorm_mode_32 3
		.amdhsa_float_denorm_mode_16_64 3
		.amdhsa_dx10_clamp 1
		.amdhsa_ieee_mode 1
		.amdhsa_fp16_overflow 0
		.amdhsa_tg_split 0
		.amdhsa_exception_fp_ieee_invalid_op 0
		.amdhsa_exception_fp_denorm_src 0
		.amdhsa_exception_fp_ieee_div_zero 0
		.amdhsa_exception_fp_ieee_overflow 0
		.amdhsa_exception_fp_ieee_underflow 0
		.amdhsa_exception_fp_ieee_inexact 0
		.amdhsa_exception_int_div_zero 0
	.end_amdhsa_kernel
	.section	.text._ZN7rocprim17ROCPRIM_400000_NS6detail17trampoline_kernelINS0_14default_configENS1_35adjacent_difference_config_selectorILb0ElEEZNS1_24adjacent_difference_implIS3_Lb0ELb0EPlS7_ZN2at6native12_GLOBAL__N_124unique_dim_cuda_templateIiEESt5tupleIJNS8_6TensorESD_SD_EERKSD_lbbbEUlllE1_EE10hipError_tPvRmT2_T3_mT4_P12ihipStream_tbEUlT_E_NS1_11comp_targetILNS1_3genE0ELNS1_11target_archE4294967295ELNS1_3gpuE0ELNS1_3repE0EEENS1_30default_config_static_selectorELNS0_4arch9wavefront6targetE1EEEvT1_,"axG",@progbits,_ZN7rocprim17ROCPRIM_400000_NS6detail17trampoline_kernelINS0_14default_configENS1_35adjacent_difference_config_selectorILb0ElEEZNS1_24adjacent_difference_implIS3_Lb0ELb0EPlS7_ZN2at6native12_GLOBAL__N_124unique_dim_cuda_templateIiEESt5tupleIJNS8_6TensorESD_SD_EERKSD_lbbbEUlllE1_EE10hipError_tPvRmT2_T3_mT4_P12ihipStream_tbEUlT_E_NS1_11comp_targetILNS1_3genE0ELNS1_11target_archE4294967295ELNS1_3gpuE0ELNS1_3repE0EEENS1_30default_config_static_selectorELNS0_4arch9wavefront6targetE1EEEvT1_,comdat
.Lfunc_end416:
	.size	_ZN7rocprim17ROCPRIM_400000_NS6detail17trampoline_kernelINS0_14default_configENS1_35adjacent_difference_config_selectorILb0ElEEZNS1_24adjacent_difference_implIS3_Lb0ELb0EPlS7_ZN2at6native12_GLOBAL__N_124unique_dim_cuda_templateIiEESt5tupleIJNS8_6TensorESD_SD_EERKSD_lbbbEUlllE1_EE10hipError_tPvRmT2_T3_mT4_P12ihipStream_tbEUlT_E_NS1_11comp_targetILNS1_3genE0ELNS1_11target_archE4294967295ELNS1_3gpuE0ELNS1_3repE0EEENS1_30default_config_static_selectorELNS0_4arch9wavefront6targetE1EEEvT1_, .Lfunc_end416-_ZN7rocprim17ROCPRIM_400000_NS6detail17trampoline_kernelINS0_14default_configENS1_35adjacent_difference_config_selectorILb0ElEEZNS1_24adjacent_difference_implIS3_Lb0ELb0EPlS7_ZN2at6native12_GLOBAL__N_124unique_dim_cuda_templateIiEESt5tupleIJNS8_6TensorESD_SD_EERKSD_lbbbEUlllE1_EE10hipError_tPvRmT2_T3_mT4_P12ihipStream_tbEUlT_E_NS1_11comp_targetILNS1_3genE0ELNS1_11target_archE4294967295ELNS1_3gpuE0ELNS1_3repE0EEENS1_30default_config_static_selectorELNS0_4arch9wavefront6targetE1EEEvT1_
                                        ; -- End function
	.section	.AMDGPU.csdata,"",@progbits
; Kernel info:
; codeLenInByte = 0
; NumSgprs: 4
; NumVgprs: 0
; NumAgprs: 0
; TotalNumVgprs: 0
; ScratchSize: 0
; MemoryBound: 0
; FloatMode: 240
; IeeeMode: 1
; LDSByteSize: 0 bytes/workgroup (compile time only)
; SGPRBlocks: 0
; VGPRBlocks: 0
; NumSGPRsForWavesPerEU: 4
; NumVGPRsForWavesPerEU: 1
; AccumOffset: 4
; Occupancy: 8
; WaveLimiterHint : 0
; COMPUTE_PGM_RSRC2:SCRATCH_EN: 0
; COMPUTE_PGM_RSRC2:USER_SGPR: 6
; COMPUTE_PGM_RSRC2:TRAP_HANDLER: 0
; COMPUTE_PGM_RSRC2:TGID_X_EN: 1
; COMPUTE_PGM_RSRC2:TGID_Y_EN: 0
; COMPUTE_PGM_RSRC2:TGID_Z_EN: 0
; COMPUTE_PGM_RSRC2:TIDIG_COMP_CNT: 0
; COMPUTE_PGM_RSRC3_GFX90A:ACCUM_OFFSET: 0
; COMPUTE_PGM_RSRC3_GFX90A:TG_SPLIT: 0
	.section	.text._ZN7rocprim17ROCPRIM_400000_NS6detail17trampoline_kernelINS0_14default_configENS1_35adjacent_difference_config_selectorILb0ElEEZNS1_24adjacent_difference_implIS3_Lb0ELb0EPlS7_ZN2at6native12_GLOBAL__N_124unique_dim_cuda_templateIiEESt5tupleIJNS8_6TensorESD_SD_EERKSD_lbbbEUlllE1_EE10hipError_tPvRmT2_T3_mT4_P12ihipStream_tbEUlT_E_NS1_11comp_targetILNS1_3genE10ELNS1_11target_archE1201ELNS1_3gpuE5ELNS1_3repE0EEENS1_30default_config_static_selectorELNS0_4arch9wavefront6targetE1EEEvT1_,"axG",@progbits,_ZN7rocprim17ROCPRIM_400000_NS6detail17trampoline_kernelINS0_14default_configENS1_35adjacent_difference_config_selectorILb0ElEEZNS1_24adjacent_difference_implIS3_Lb0ELb0EPlS7_ZN2at6native12_GLOBAL__N_124unique_dim_cuda_templateIiEESt5tupleIJNS8_6TensorESD_SD_EERKSD_lbbbEUlllE1_EE10hipError_tPvRmT2_T3_mT4_P12ihipStream_tbEUlT_E_NS1_11comp_targetILNS1_3genE10ELNS1_11target_archE1201ELNS1_3gpuE5ELNS1_3repE0EEENS1_30default_config_static_selectorELNS0_4arch9wavefront6targetE1EEEvT1_,comdat
	.globl	_ZN7rocprim17ROCPRIM_400000_NS6detail17trampoline_kernelINS0_14default_configENS1_35adjacent_difference_config_selectorILb0ElEEZNS1_24adjacent_difference_implIS3_Lb0ELb0EPlS7_ZN2at6native12_GLOBAL__N_124unique_dim_cuda_templateIiEESt5tupleIJNS8_6TensorESD_SD_EERKSD_lbbbEUlllE1_EE10hipError_tPvRmT2_T3_mT4_P12ihipStream_tbEUlT_E_NS1_11comp_targetILNS1_3genE10ELNS1_11target_archE1201ELNS1_3gpuE5ELNS1_3repE0EEENS1_30default_config_static_selectorELNS0_4arch9wavefront6targetE1EEEvT1_ ; -- Begin function _ZN7rocprim17ROCPRIM_400000_NS6detail17trampoline_kernelINS0_14default_configENS1_35adjacent_difference_config_selectorILb0ElEEZNS1_24adjacent_difference_implIS3_Lb0ELb0EPlS7_ZN2at6native12_GLOBAL__N_124unique_dim_cuda_templateIiEESt5tupleIJNS8_6TensorESD_SD_EERKSD_lbbbEUlllE1_EE10hipError_tPvRmT2_T3_mT4_P12ihipStream_tbEUlT_E_NS1_11comp_targetILNS1_3genE10ELNS1_11target_archE1201ELNS1_3gpuE5ELNS1_3repE0EEENS1_30default_config_static_selectorELNS0_4arch9wavefront6targetE1EEEvT1_
	.p2align	8
	.type	_ZN7rocprim17ROCPRIM_400000_NS6detail17trampoline_kernelINS0_14default_configENS1_35adjacent_difference_config_selectorILb0ElEEZNS1_24adjacent_difference_implIS3_Lb0ELb0EPlS7_ZN2at6native12_GLOBAL__N_124unique_dim_cuda_templateIiEESt5tupleIJNS8_6TensorESD_SD_EERKSD_lbbbEUlllE1_EE10hipError_tPvRmT2_T3_mT4_P12ihipStream_tbEUlT_E_NS1_11comp_targetILNS1_3genE10ELNS1_11target_archE1201ELNS1_3gpuE5ELNS1_3repE0EEENS1_30default_config_static_selectorELNS0_4arch9wavefront6targetE1EEEvT1_,@function
_ZN7rocprim17ROCPRIM_400000_NS6detail17trampoline_kernelINS0_14default_configENS1_35adjacent_difference_config_selectorILb0ElEEZNS1_24adjacent_difference_implIS3_Lb0ELb0EPlS7_ZN2at6native12_GLOBAL__N_124unique_dim_cuda_templateIiEESt5tupleIJNS8_6TensorESD_SD_EERKSD_lbbbEUlllE1_EE10hipError_tPvRmT2_T3_mT4_P12ihipStream_tbEUlT_E_NS1_11comp_targetILNS1_3genE10ELNS1_11target_archE1201ELNS1_3gpuE5ELNS1_3repE0EEENS1_30default_config_static_selectorELNS0_4arch9wavefront6targetE1EEEvT1_: ; @_ZN7rocprim17ROCPRIM_400000_NS6detail17trampoline_kernelINS0_14default_configENS1_35adjacent_difference_config_selectorILb0ElEEZNS1_24adjacent_difference_implIS3_Lb0ELb0EPlS7_ZN2at6native12_GLOBAL__N_124unique_dim_cuda_templateIiEESt5tupleIJNS8_6TensorESD_SD_EERKSD_lbbbEUlllE1_EE10hipError_tPvRmT2_T3_mT4_P12ihipStream_tbEUlT_E_NS1_11comp_targetILNS1_3genE10ELNS1_11target_archE1201ELNS1_3gpuE5ELNS1_3repE0EEENS1_30default_config_static_selectorELNS0_4arch9wavefront6targetE1EEEvT1_
; %bb.0:
	.section	.rodata,"a",@progbits
	.p2align	6, 0x0
	.amdhsa_kernel _ZN7rocprim17ROCPRIM_400000_NS6detail17trampoline_kernelINS0_14default_configENS1_35adjacent_difference_config_selectorILb0ElEEZNS1_24adjacent_difference_implIS3_Lb0ELb0EPlS7_ZN2at6native12_GLOBAL__N_124unique_dim_cuda_templateIiEESt5tupleIJNS8_6TensorESD_SD_EERKSD_lbbbEUlllE1_EE10hipError_tPvRmT2_T3_mT4_P12ihipStream_tbEUlT_E_NS1_11comp_targetILNS1_3genE10ELNS1_11target_archE1201ELNS1_3gpuE5ELNS1_3repE0EEENS1_30default_config_static_selectorELNS0_4arch9wavefront6targetE1EEEvT1_
		.amdhsa_group_segment_fixed_size 0
		.amdhsa_private_segment_fixed_size 0
		.amdhsa_kernarg_size 64
		.amdhsa_user_sgpr_count 6
		.amdhsa_user_sgpr_private_segment_buffer 1
		.amdhsa_user_sgpr_dispatch_ptr 0
		.amdhsa_user_sgpr_queue_ptr 0
		.amdhsa_user_sgpr_kernarg_segment_ptr 1
		.amdhsa_user_sgpr_dispatch_id 0
		.amdhsa_user_sgpr_flat_scratch_init 0
		.amdhsa_user_sgpr_kernarg_preload_length 0
		.amdhsa_user_sgpr_kernarg_preload_offset 0
		.amdhsa_user_sgpr_private_segment_size 0
		.amdhsa_uses_dynamic_stack 0
		.amdhsa_system_sgpr_private_segment_wavefront_offset 0
		.amdhsa_system_sgpr_workgroup_id_x 1
		.amdhsa_system_sgpr_workgroup_id_y 0
		.amdhsa_system_sgpr_workgroup_id_z 0
		.amdhsa_system_sgpr_workgroup_info 0
		.amdhsa_system_vgpr_workitem_id 0
		.amdhsa_next_free_vgpr 1
		.amdhsa_next_free_sgpr 0
		.amdhsa_accum_offset 4
		.amdhsa_reserve_vcc 0
		.amdhsa_reserve_flat_scratch 0
		.amdhsa_float_round_mode_32 0
		.amdhsa_float_round_mode_16_64 0
		.amdhsa_float_denorm_mode_32 3
		.amdhsa_float_denorm_mode_16_64 3
		.amdhsa_dx10_clamp 1
		.amdhsa_ieee_mode 1
		.amdhsa_fp16_overflow 0
		.amdhsa_tg_split 0
		.amdhsa_exception_fp_ieee_invalid_op 0
		.amdhsa_exception_fp_denorm_src 0
		.amdhsa_exception_fp_ieee_div_zero 0
		.amdhsa_exception_fp_ieee_overflow 0
		.amdhsa_exception_fp_ieee_underflow 0
		.amdhsa_exception_fp_ieee_inexact 0
		.amdhsa_exception_int_div_zero 0
	.end_amdhsa_kernel
	.section	.text._ZN7rocprim17ROCPRIM_400000_NS6detail17trampoline_kernelINS0_14default_configENS1_35adjacent_difference_config_selectorILb0ElEEZNS1_24adjacent_difference_implIS3_Lb0ELb0EPlS7_ZN2at6native12_GLOBAL__N_124unique_dim_cuda_templateIiEESt5tupleIJNS8_6TensorESD_SD_EERKSD_lbbbEUlllE1_EE10hipError_tPvRmT2_T3_mT4_P12ihipStream_tbEUlT_E_NS1_11comp_targetILNS1_3genE10ELNS1_11target_archE1201ELNS1_3gpuE5ELNS1_3repE0EEENS1_30default_config_static_selectorELNS0_4arch9wavefront6targetE1EEEvT1_,"axG",@progbits,_ZN7rocprim17ROCPRIM_400000_NS6detail17trampoline_kernelINS0_14default_configENS1_35adjacent_difference_config_selectorILb0ElEEZNS1_24adjacent_difference_implIS3_Lb0ELb0EPlS7_ZN2at6native12_GLOBAL__N_124unique_dim_cuda_templateIiEESt5tupleIJNS8_6TensorESD_SD_EERKSD_lbbbEUlllE1_EE10hipError_tPvRmT2_T3_mT4_P12ihipStream_tbEUlT_E_NS1_11comp_targetILNS1_3genE10ELNS1_11target_archE1201ELNS1_3gpuE5ELNS1_3repE0EEENS1_30default_config_static_selectorELNS0_4arch9wavefront6targetE1EEEvT1_,comdat
.Lfunc_end417:
	.size	_ZN7rocprim17ROCPRIM_400000_NS6detail17trampoline_kernelINS0_14default_configENS1_35adjacent_difference_config_selectorILb0ElEEZNS1_24adjacent_difference_implIS3_Lb0ELb0EPlS7_ZN2at6native12_GLOBAL__N_124unique_dim_cuda_templateIiEESt5tupleIJNS8_6TensorESD_SD_EERKSD_lbbbEUlllE1_EE10hipError_tPvRmT2_T3_mT4_P12ihipStream_tbEUlT_E_NS1_11comp_targetILNS1_3genE10ELNS1_11target_archE1201ELNS1_3gpuE5ELNS1_3repE0EEENS1_30default_config_static_selectorELNS0_4arch9wavefront6targetE1EEEvT1_, .Lfunc_end417-_ZN7rocprim17ROCPRIM_400000_NS6detail17trampoline_kernelINS0_14default_configENS1_35adjacent_difference_config_selectorILb0ElEEZNS1_24adjacent_difference_implIS3_Lb0ELb0EPlS7_ZN2at6native12_GLOBAL__N_124unique_dim_cuda_templateIiEESt5tupleIJNS8_6TensorESD_SD_EERKSD_lbbbEUlllE1_EE10hipError_tPvRmT2_T3_mT4_P12ihipStream_tbEUlT_E_NS1_11comp_targetILNS1_3genE10ELNS1_11target_archE1201ELNS1_3gpuE5ELNS1_3repE0EEENS1_30default_config_static_selectorELNS0_4arch9wavefront6targetE1EEEvT1_
                                        ; -- End function
	.section	.AMDGPU.csdata,"",@progbits
; Kernel info:
; codeLenInByte = 0
; NumSgprs: 4
; NumVgprs: 0
; NumAgprs: 0
; TotalNumVgprs: 0
; ScratchSize: 0
; MemoryBound: 0
; FloatMode: 240
; IeeeMode: 1
; LDSByteSize: 0 bytes/workgroup (compile time only)
; SGPRBlocks: 0
; VGPRBlocks: 0
; NumSGPRsForWavesPerEU: 4
; NumVGPRsForWavesPerEU: 1
; AccumOffset: 4
; Occupancy: 8
; WaveLimiterHint : 0
; COMPUTE_PGM_RSRC2:SCRATCH_EN: 0
; COMPUTE_PGM_RSRC2:USER_SGPR: 6
; COMPUTE_PGM_RSRC2:TRAP_HANDLER: 0
; COMPUTE_PGM_RSRC2:TGID_X_EN: 1
; COMPUTE_PGM_RSRC2:TGID_Y_EN: 0
; COMPUTE_PGM_RSRC2:TGID_Z_EN: 0
; COMPUTE_PGM_RSRC2:TIDIG_COMP_CNT: 0
; COMPUTE_PGM_RSRC3_GFX90A:ACCUM_OFFSET: 0
; COMPUTE_PGM_RSRC3_GFX90A:TG_SPLIT: 0
	.section	.text._ZN7rocprim17ROCPRIM_400000_NS6detail17trampoline_kernelINS0_14default_configENS1_35adjacent_difference_config_selectorILb0ElEEZNS1_24adjacent_difference_implIS3_Lb0ELb0EPlS7_ZN2at6native12_GLOBAL__N_124unique_dim_cuda_templateIiEESt5tupleIJNS8_6TensorESD_SD_EERKSD_lbbbEUlllE1_EE10hipError_tPvRmT2_T3_mT4_P12ihipStream_tbEUlT_E_NS1_11comp_targetILNS1_3genE5ELNS1_11target_archE942ELNS1_3gpuE9ELNS1_3repE0EEENS1_30default_config_static_selectorELNS0_4arch9wavefront6targetE1EEEvT1_,"axG",@progbits,_ZN7rocprim17ROCPRIM_400000_NS6detail17trampoline_kernelINS0_14default_configENS1_35adjacent_difference_config_selectorILb0ElEEZNS1_24adjacent_difference_implIS3_Lb0ELb0EPlS7_ZN2at6native12_GLOBAL__N_124unique_dim_cuda_templateIiEESt5tupleIJNS8_6TensorESD_SD_EERKSD_lbbbEUlllE1_EE10hipError_tPvRmT2_T3_mT4_P12ihipStream_tbEUlT_E_NS1_11comp_targetILNS1_3genE5ELNS1_11target_archE942ELNS1_3gpuE9ELNS1_3repE0EEENS1_30default_config_static_selectorELNS0_4arch9wavefront6targetE1EEEvT1_,comdat
	.globl	_ZN7rocprim17ROCPRIM_400000_NS6detail17trampoline_kernelINS0_14default_configENS1_35adjacent_difference_config_selectorILb0ElEEZNS1_24adjacent_difference_implIS3_Lb0ELb0EPlS7_ZN2at6native12_GLOBAL__N_124unique_dim_cuda_templateIiEESt5tupleIJNS8_6TensorESD_SD_EERKSD_lbbbEUlllE1_EE10hipError_tPvRmT2_T3_mT4_P12ihipStream_tbEUlT_E_NS1_11comp_targetILNS1_3genE5ELNS1_11target_archE942ELNS1_3gpuE9ELNS1_3repE0EEENS1_30default_config_static_selectorELNS0_4arch9wavefront6targetE1EEEvT1_ ; -- Begin function _ZN7rocprim17ROCPRIM_400000_NS6detail17trampoline_kernelINS0_14default_configENS1_35adjacent_difference_config_selectorILb0ElEEZNS1_24adjacent_difference_implIS3_Lb0ELb0EPlS7_ZN2at6native12_GLOBAL__N_124unique_dim_cuda_templateIiEESt5tupleIJNS8_6TensorESD_SD_EERKSD_lbbbEUlllE1_EE10hipError_tPvRmT2_T3_mT4_P12ihipStream_tbEUlT_E_NS1_11comp_targetILNS1_3genE5ELNS1_11target_archE942ELNS1_3gpuE9ELNS1_3repE0EEENS1_30default_config_static_selectorELNS0_4arch9wavefront6targetE1EEEvT1_
	.p2align	8
	.type	_ZN7rocprim17ROCPRIM_400000_NS6detail17trampoline_kernelINS0_14default_configENS1_35adjacent_difference_config_selectorILb0ElEEZNS1_24adjacent_difference_implIS3_Lb0ELb0EPlS7_ZN2at6native12_GLOBAL__N_124unique_dim_cuda_templateIiEESt5tupleIJNS8_6TensorESD_SD_EERKSD_lbbbEUlllE1_EE10hipError_tPvRmT2_T3_mT4_P12ihipStream_tbEUlT_E_NS1_11comp_targetILNS1_3genE5ELNS1_11target_archE942ELNS1_3gpuE9ELNS1_3repE0EEENS1_30default_config_static_selectorELNS0_4arch9wavefront6targetE1EEEvT1_,@function
_ZN7rocprim17ROCPRIM_400000_NS6detail17trampoline_kernelINS0_14default_configENS1_35adjacent_difference_config_selectorILb0ElEEZNS1_24adjacent_difference_implIS3_Lb0ELb0EPlS7_ZN2at6native12_GLOBAL__N_124unique_dim_cuda_templateIiEESt5tupleIJNS8_6TensorESD_SD_EERKSD_lbbbEUlllE1_EE10hipError_tPvRmT2_T3_mT4_P12ihipStream_tbEUlT_E_NS1_11comp_targetILNS1_3genE5ELNS1_11target_archE942ELNS1_3gpuE9ELNS1_3repE0EEENS1_30default_config_static_selectorELNS0_4arch9wavefront6targetE1EEEvT1_: ; @_ZN7rocprim17ROCPRIM_400000_NS6detail17trampoline_kernelINS0_14default_configENS1_35adjacent_difference_config_selectorILb0ElEEZNS1_24adjacent_difference_implIS3_Lb0ELb0EPlS7_ZN2at6native12_GLOBAL__N_124unique_dim_cuda_templateIiEESt5tupleIJNS8_6TensorESD_SD_EERKSD_lbbbEUlllE1_EE10hipError_tPvRmT2_T3_mT4_P12ihipStream_tbEUlT_E_NS1_11comp_targetILNS1_3genE5ELNS1_11target_archE942ELNS1_3gpuE9ELNS1_3repE0EEENS1_30default_config_static_selectorELNS0_4arch9wavefront6targetE1EEEvT1_
; %bb.0:
	.section	.rodata,"a",@progbits
	.p2align	6, 0x0
	.amdhsa_kernel _ZN7rocprim17ROCPRIM_400000_NS6detail17trampoline_kernelINS0_14default_configENS1_35adjacent_difference_config_selectorILb0ElEEZNS1_24adjacent_difference_implIS3_Lb0ELb0EPlS7_ZN2at6native12_GLOBAL__N_124unique_dim_cuda_templateIiEESt5tupleIJNS8_6TensorESD_SD_EERKSD_lbbbEUlllE1_EE10hipError_tPvRmT2_T3_mT4_P12ihipStream_tbEUlT_E_NS1_11comp_targetILNS1_3genE5ELNS1_11target_archE942ELNS1_3gpuE9ELNS1_3repE0EEENS1_30default_config_static_selectorELNS0_4arch9wavefront6targetE1EEEvT1_
		.amdhsa_group_segment_fixed_size 0
		.amdhsa_private_segment_fixed_size 0
		.amdhsa_kernarg_size 64
		.amdhsa_user_sgpr_count 6
		.amdhsa_user_sgpr_private_segment_buffer 1
		.amdhsa_user_sgpr_dispatch_ptr 0
		.amdhsa_user_sgpr_queue_ptr 0
		.amdhsa_user_sgpr_kernarg_segment_ptr 1
		.amdhsa_user_sgpr_dispatch_id 0
		.amdhsa_user_sgpr_flat_scratch_init 0
		.amdhsa_user_sgpr_kernarg_preload_length 0
		.amdhsa_user_sgpr_kernarg_preload_offset 0
		.amdhsa_user_sgpr_private_segment_size 0
		.amdhsa_uses_dynamic_stack 0
		.amdhsa_system_sgpr_private_segment_wavefront_offset 0
		.amdhsa_system_sgpr_workgroup_id_x 1
		.amdhsa_system_sgpr_workgroup_id_y 0
		.amdhsa_system_sgpr_workgroup_id_z 0
		.amdhsa_system_sgpr_workgroup_info 0
		.amdhsa_system_vgpr_workitem_id 0
		.amdhsa_next_free_vgpr 1
		.amdhsa_next_free_sgpr 0
		.amdhsa_accum_offset 4
		.amdhsa_reserve_vcc 0
		.amdhsa_reserve_flat_scratch 0
		.amdhsa_float_round_mode_32 0
		.amdhsa_float_round_mode_16_64 0
		.amdhsa_float_denorm_mode_32 3
		.amdhsa_float_denorm_mode_16_64 3
		.amdhsa_dx10_clamp 1
		.amdhsa_ieee_mode 1
		.amdhsa_fp16_overflow 0
		.amdhsa_tg_split 0
		.amdhsa_exception_fp_ieee_invalid_op 0
		.amdhsa_exception_fp_denorm_src 0
		.amdhsa_exception_fp_ieee_div_zero 0
		.amdhsa_exception_fp_ieee_overflow 0
		.amdhsa_exception_fp_ieee_underflow 0
		.amdhsa_exception_fp_ieee_inexact 0
		.amdhsa_exception_int_div_zero 0
	.end_amdhsa_kernel
	.section	.text._ZN7rocprim17ROCPRIM_400000_NS6detail17trampoline_kernelINS0_14default_configENS1_35adjacent_difference_config_selectorILb0ElEEZNS1_24adjacent_difference_implIS3_Lb0ELb0EPlS7_ZN2at6native12_GLOBAL__N_124unique_dim_cuda_templateIiEESt5tupleIJNS8_6TensorESD_SD_EERKSD_lbbbEUlllE1_EE10hipError_tPvRmT2_T3_mT4_P12ihipStream_tbEUlT_E_NS1_11comp_targetILNS1_3genE5ELNS1_11target_archE942ELNS1_3gpuE9ELNS1_3repE0EEENS1_30default_config_static_selectorELNS0_4arch9wavefront6targetE1EEEvT1_,"axG",@progbits,_ZN7rocprim17ROCPRIM_400000_NS6detail17trampoline_kernelINS0_14default_configENS1_35adjacent_difference_config_selectorILb0ElEEZNS1_24adjacent_difference_implIS3_Lb0ELb0EPlS7_ZN2at6native12_GLOBAL__N_124unique_dim_cuda_templateIiEESt5tupleIJNS8_6TensorESD_SD_EERKSD_lbbbEUlllE1_EE10hipError_tPvRmT2_T3_mT4_P12ihipStream_tbEUlT_E_NS1_11comp_targetILNS1_3genE5ELNS1_11target_archE942ELNS1_3gpuE9ELNS1_3repE0EEENS1_30default_config_static_selectorELNS0_4arch9wavefront6targetE1EEEvT1_,comdat
.Lfunc_end418:
	.size	_ZN7rocprim17ROCPRIM_400000_NS6detail17trampoline_kernelINS0_14default_configENS1_35adjacent_difference_config_selectorILb0ElEEZNS1_24adjacent_difference_implIS3_Lb0ELb0EPlS7_ZN2at6native12_GLOBAL__N_124unique_dim_cuda_templateIiEESt5tupleIJNS8_6TensorESD_SD_EERKSD_lbbbEUlllE1_EE10hipError_tPvRmT2_T3_mT4_P12ihipStream_tbEUlT_E_NS1_11comp_targetILNS1_3genE5ELNS1_11target_archE942ELNS1_3gpuE9ELNS1_3repE0EEENS1_30default_config_static_selectorELNS0_4arch9wavefront6targetE1EEEvT1_, .Lfunc_end418-_ZN7rocprim17ROCPRIM_400000_NS6detail17trampoline_kernelINS0_14default_configENS1_35adjacent_difference_config_selectorILb0ElEEZNS1_24adjacent_difference_implIS3_Lb0ELb0EPlS7_ZN2at6native12_GLOBAL__N_124unique_dim_cuda_templateIiEESt5tupleIJNS8_6TensorESD_SD_EERKSD_lbbbEUlllE1_EE10hipError_tPvRmT2_T3_mT4_P12ihipStream_tbEUlT_E_NS1_11comp_targetILNS1_3genE5ELNS1_11target_archE942ELNS1_3gpuE9ELNS1_3repE0EEENS1_30default_config_static_selectorELNS0_4arch9wavefront6targetE1EEEvT1_
                                        ; -- End function
	.section	.AMDGPU.csdata,"",@progbits
; Kernel info:
; codeLenInByte = 0
; NumSgprs: 4
; NumVgprs: 0
; NumAgprs: 0
; TotalNumVgprs: 0
; ScratchSize: 0
; MemoryBound: 0
; FloatMode: 240
; IeeeMode: 1
; LDSByteSize: 0 bytes/workgroup (compile time only)
; SGPRBlocks: 0
; VGPRBlocks: 0
; NumSGPRsForWavesPerEU: 4
; NumVGPRsForWavesPerEU: 1
; AccumOffset: 4
; Occupancy: 8
; WaveLimiterHint : 0
; COMPUTE_PGM_RSRC2:SCRATCH_EN: 0
; COMPUTE_PGM_RSRC2:USER_SGPR: 6
; COMPUTE_PGM_RSRC2:TRAP_HANDLER: 0
; COMPUTE_PGM_RSRC2:TGID_X_EN: 1
; COMPUTE_PGM_RSRC2:TGID_Y_EN: 0
; COMPUTE_PGM_RSRC2:TGID_Z_EN: 0
; COMPUTE_PGM_RSRC2:TIDIG_COMP_CNT: 0
; COMPUTE_PGM_RSRC3_GFX90A:ACCUM_OFFSET: 0
; COMPUTE_PGM_RSRC3_GFX90A:TG_SPLIT: 0
	.section	.text._ZN7rocprim17ROCPRIM_400000_NS6detail17trampoline_kernelINS0_14default_configENS1_35adjacent_difference_config_selectorILb0ElEEZNS1_24adjacent_difference_implIS3_Lb0ELb0EPlS7_ZN2at6native12_GLOBAL__N_124unique_dim_cuda_templateIiEESt5tupleIJNS8_6TensorESD_SD_EERKSD_lbbbEUlllE1_EE10hipError_tPvRmT2_T3_mT4_P12ihipStream_tbEUlT_E_NS1_11comp_targetILNS1_3genE4ELNS1_11target_archE910ELNS1_3gpuE8ELNS1_3repE0EEENS1_30default_config_static_selectorELNS0_4arch9wavefront6targetE1EEEvT1_,"axG",@progbits,_ZN7rocprim17ROCPRIM_400000_NS6detail17trampoline_kernelINS0_14default_configENS1_35adjacent_difference_config_selectorILb0ElEEZNS1_24adjacent_difference_implIS3_Lb0ELb0EPlS7_ZN2at6native12_GLOBAL__N_124unique_dim_cuda_templateIiEESt5tupleIJNS8_6TensorESD_SD_EERKSD_lbbbEUlllE1_EE10hipError_tPvRmT2_T3_mT4_P12ihipStream_tbEUlT_E_NS1_11comp_targetILNS1_3genE4ELNS1_11target_archE910ELNS1_3gpuE8ELNS1_3repE0EEENS1_30default_config_static_selectorELNS0_4arch9wavefront6targetE1EEEvT1_,comdat
	.globl	_ZN7rocprim17ROCPRIM_400000_NS6detail17trampoline_kernelINS0_14default_configENS1_35adjacent_difference_config_selectorILb0ElEEZNS1_24adjacent_difference_implIS3_Lb0ELb0EPlS7_ZN2at6native12_GLOBAL__N_124unique_dim_cuda_templateIiEESt5tupleIJNS8_6TensorESD_SD_EERKSD_lbbbEUlllE1_EE10hipError_tPvRmT2_T3_mT4_P12ihipStream_tbEUlT_E_NS1_11comp_targetILNS1_3genE4ELNS1_11target_archE910ELNS1_3gpuE8ELNS1_3repE0EEENS1_30default_config_static_selectorELNS0_4arch9wavefront6targetE1EEEvT1_ ; -- Begin function _ZN7rocprim17ROCPRIM_400000_NS6detail17trampoline_kernelINS0_14default_configENS1_35adjacent_difference_config_selectorILb0ElEEZNS1_24adjacent_difference_implIS3_Lb0ELb0EPlS7_ZN2at6native12_GLOBAL__N_124unique_dim_cuda_templateIiEESt5tupleIJNS8_6TensorESD_SD_EERKSD_lbbbEUlllE1_EE10hipError_tPvRmT2_T3_mT4_P12ihipStream_tbEUlT_E_NS1_11comp_targetILNS1_3genE4ELNS1_11target_archE910ELNS1_3gpuE8ELNS1_3repE0EEENS1_30default_config_static_selectorELNS0_4arch9wavefront6targetE1EEEvT1_
	.p2align	8
	.type	_ZN7rocprim17ROCPRIM_400000_NS6detail17trampoline_kernelINS0_14default_configENS1_35adjacent_difference_config_selectorILb0ElEEZNS1_24adjacent_difference_implIS3_Lb0ELb0EPlS7_ZN2at6native12_GLOBAL__N_124unique_dim_cuda_templateIiEESt5tupleIJNS8_6TensorESD_SD_EERKSD_lbbbEUlllE1_EE10hipError_tPvRmT2_T3_mT4_P12ihipStream_tbEUlT_E_NS1_11comp_targetILNS1_3genE4ELNS1_11target_archE910ELNS1_3gpuE8ELNS1_3repE0EEENS1_30default_config_static_selectorELNS0_4arch9wavefront6targetE1EEEvT1_,@function
_ZN7rocprim17ROCPRIM_400000_NS6detail17trampoline_kernelINS0_14default_configENS1_35adjacent_difference_config_selectorILb0ElEEZNS1_24adjacent_difference_implIS3_Lb0ELb0EPlS7_ZN2at6native12_GLOBAL__N_124unique_dim_cuda_templateIiEESt5tupleIJNS8_6TensorESD_SD_EERKSD_lbbbEUlllE1_EE10hipError_tPvRmT2_T3_mT4_P12ihipStream_tbEUlT_E_NS1_11comp_targetILNS1_3genE4ELNS1_11target_archE910ELNS1_3gpuE8ELNS1_3repE0EEENS1_30default_config_static_selectorELNS0_4arch9wavefront6targetE1EEEvT1_: ; @_ZN7rocprim17ROCPRIM_400000_NS6detail17trampoline_kernelINS0_14default_configENS1_35adjacent_difference_config_selectorILb0ElEEZNS1_24adjacent_difference_implIS3_Lb0ELb0EPlS7_ZN2at6native12_GLOBAL__N_124unique_dim_cuda_templateIiEESt5tupleIJNS8_6TensorESD_SD_EERKSD_lbbbEUlllE1_EE10hipError_tPvRmT2_T3_mT4_P12ihipStream_tbEUlT_E_NS1_11comp_targetILNS1_3genE4ELNS1_11target_archE910ELNS1_3gpuE8ELNS1_3repE0EEENS1_30default_config_static_selectorELNS0_4arch9wavefront6targetE1EEEvT1_
; %bb.0:
	s_load_dwordx8 s[8:15], s[4:5], 0x0
	s_load_dwordx4 s[16:19], s[4:5], 0x20
	s_load_dwordx2 s[0:1], s[4:5], 0x38
	s_waitcnt lgkmcnt(0)
	s_lshl_b64 s[10:11], s[10:11], 3
	s_add_u32 s24, s8, s10
	s_addc_u32 s25, s9, s11
	s_mov_b32 s9, 0
	s_lshl_b32 s8, s6, 9
	s_lshr_b64 s[2:3], s[14:15], 9
	s_and_b32 s4, s14, 0x1ff
	s_mov_b32 s5, s9
	s_cmp_lg_u64 s[4:5], 0
	s_cselect_b64 s[4:5], -1, 0
	v_cndmask_b32_e64 v1, 0, 1, s[4:5]
	v_readfirstlane_b32 s4, v1
	s_add_u32 s22, s2, s4
	s_addc_u32 s23, s3, 0
	s_add_u32 s26, s0, s6
	s_addc_u32 s27, s1, 0
	s_add_u32 s6, s22, -1
	s_addc_u32 s7, s23, -1
	v_pk_mov_b32 v[2:3], s[6:7], s[6:7] op_sel:[0,1]
	v_cmp_ge_u64_e64 s[0:1], s[26:27], v[2:3]
	s_mov_b64 s[2:3], -1
	s_and_b64 vcc, exec, s[0:1]
	s_cbranch_vccz .LBB419_6
; %bb.1:
	s_lshl_b32 s2, s6, 9
	s_sub_i32 s15, s14, s2
	s_lshl_b64 s[2:3], s[8:9], 3
	s_add_u32 s2, s24, s2
	s_addc_u32 s3, s25, s3
	v_cmp_gt_u32_e32 vcc, s15, v0
                                        ; implicit-def: $vgpr2_vgpr3_vgpr4_vgpr5
	s_and_saveexec_b64 s[4:5], vcc
	s_cbranch_execz .LBB419_3
; %bb.2:
	v_lshlrev_b32_e32 v1, 3, v0
	global_load_dwordx2 v[2:3], v1, s[2:3]
.LBB419_3:
	s_or_b64 exec, exec, s[4:5]
	v_or_b32_e32 v1, 0x100, v0
	v_cmp_gt_u32_e32 vcc, s15, v1
	s_and_saveexec_b64 s[4:5], vcc
	s_cbranch_execz .LBB419_5
; %bb.4:
	v_lshlrev_b32_e32 v4, 3, v0
	global_load_dwordx2 v[4:5], v4, s[2:3] offset:2048
.LBB419_5:
	s_or_b64 exec, exec, s[4:5]
	v_lshrrev_b32_e32 v6, 2, v0
	v_lshrrev_b32_e32 v1, 2, v1
	v_and_b32_e32 v6, 56, v6
	v_lshlrev_b32_e32 v7, 3, v0
	v_and_b32_e32 v1, 0x78, v1
	v_add_u32_e32 v6, v6, v7
	v_add_u32_e32 v1, v1, v7
	s_mov_b64 s[2:3], 0
	s_waitcnt vmcnt(0)
	ds_write_b64 v6, v[2:3]
	ds_write_b64 v1, v[4:5] offset:2048
	s_waitcnt lgkmcnt(0)
	s_barrier
.LBB419_6:
	s_and_b64 vcc, exec, s[2:3]
	v_lshlrev_b32_e32 v1, 3, v0
	s_cbranch_vccz .LBB419_8
; %bb.7:
	s_lshl_b64 s[2:3], s[8:9], 3
	s_add_u32 s2, s24, s2
	s_addc_u32 s3, s25, s3
	global_load_dwordx2 v[2:3], v1, s[2:3]
	global_load_dwordx2 v[4:5], v1, s[2:3] offset:2048
	v_lshrrev_b32_e32 v6, 2, v0
	v_or_b32_e32 v7, 0x100, v0
	v_and_b32_e32 v6, 56, v6
	v_lshrrev_b32_e32 v7, 2, v7
	v_add_u32_e32 v6, v6, v1
	v_and_b32_e32 v7, 0x78, v7
	v_add_u32_e32 v7, v7, v1
	s_waitcnt vmcnt(1)
	ds_write_b64 v6, v[2:3]
	s_waitcnt vmcnt(0)
	ds_write_b64 v7, v[4:5] offset:2048
	s_waitcnt lgkmcnt(0)
	s_barrier
.LBB419_8:
	v_lshlrev_b32_e32 v2, 1, v0
	v_lshrrev_b32_e32 v3, 4, v0
	v_add_lshl_u32 v2, v3, v2, 3
	ds_read2_b64 v[2:5], v2 offset1:1
	s_cmp_eq_u64 s[26:27], 0
	s_mov_b64 s[20:21], 0
	s_waitcnt lgkmcnt(0)
	s_barrier
	s_cbranch_scc1 .LBB419_17
; %bb.9:
	s_lshl_b64 s[2:3], s[8:9], 3
	s_add_u32 s2, s24, s2
	s_addc_u32 s3, s25, s3
	s_add_u32 s2, s2, -8
	s_addc_u32 s3, s3, -1
	s_load_dwordx2 s[24:25], s[2:3], 0x0
	s_cmp_lg_u64 s[26:27], s[6:7]
	s_cbranch_scc0 .LBB419_18
; %bb.10:
	v_cmp_lt_i64_e64 s[2:3], s[16:17], 1
	v_pk_mov_b32 v[8:9], 0, 0
	v_cmp_gt_i64_e64 s[20:21], s[16:17], 0
	s_and_b64 vcc, exec, s[2:3]
	ds_write_b64 v1, v[4:5]
	s_cbranch_vccnz .LBB419_21
; %bb.11:
	v_mul_lo_u32 v8, v5, s16
	v_mul_lo_u32 v9, v4, s17
	v_mad_u64_u32 v[6:7], s[2:3], v4, s16, 0
	v_add3_u32 v7, v7, v9, v8
	v_mul_lo_u32 v10, v3, s16
	v_mul_lo_u32 v11, v2, s17
	v_mad_u64_u32 v[8:9], s[2:3], v2, s16, 0
	v_add3_u32 v9, v9, v11, v10
	v_lshlrev_b64 v[10:11], 2, v[6:7]
	v_mov_b32_e32 v6, s19
	v_add_co_u32_e32 v12, vcc, s18, v10
	v_addc_co_u32_e64 v13, s[2:3], v6, v11, vcc
	v_lshlrev_b64 v[6:7], 2, v[8:9]
	v_mov_b32_e32 v8, s19
	v_add_co_u32_e64 v14, s[2:3], s18, v6
	v_addc_co_u32_e64 v15, s[4:5], v8, v7, s[2:3]
	global_load_dword v6, v[12:13], off
	global_load_dword v8, v[14:15], off
	s_waitcnt vmcnt(0)
	v_cmp_eq_u32_e64 s[4:5], v6, v8
	v_mov_b32_e32 v8, 1
	v_mov_b32_e32 v9, 0
	s_and_saveexec_b64 s[28:29], s[4:5]
	s_cbranch_execz .LBB419_20
; %bb.12:
	v_mov_b32_e32 v6, s19
	v_addc_co_u32_e64 v7, s[2:3], v7, v6, s[2:3]
	v_add_co_u32_e64 v6, s[2:3], 4, v14
	v_mov_b32_e32 v8, s19
	v_addc_co_u32_e64 v7, s[2:3], 0, v7, s[2:3]
	v_addc_co_u32_e32 v9, vcc, v11, v8, vcc
	v_add_co_u32_e32 v8, vcc, 4, v12
	s_add_u32 s2, s16, -1
	v_addc_co_u32_e32 v9, vcc, 0, v9, vcc
	s_addc_u32 s3, s17, -1
	s_mov_b64 s[4:5], 0
	s_mov_b64 s[34:35], 0
                                        ; implicit-def: $sgpr30_sgpr31
	s_branch .LBB419_15
.LBB419_13:                             ;   in Loop: Header=BB419_15 Depth=1
	global_load_dword v10, v[8:9], off
	global_load_dword v11, v[6:7], off
	v_add_co_u32_e32 v6, vcc, 4, v6
	v_addc_co_u32_e32 v7, vcc, 0, v7, vcc
	v_add_co_u32_e32 v8, vcc, 4, v8
	v_addc_co_u32_e32 v9, vcc, 0, v9, vcc
	s_add_u32 s34, s34, 1
	s_addc_u32 s35, s35, 0
	s_andn2_b64 s[30:31], s[30:31], exec
	s_waitcnt vmcnt(0)
	v_cmp_ne_u32_e32 vcc, v10, v11
	s_and_b64 s[36:37], vcc, exec
	s_or_b64 s[30:31], s[30:31], s[36:37]
.LBB419_14:                             ;   in Loop: Header=BB419_15 Depth=1
	s_and_b64 s[36:37], exec, s[30:31]
	s_or_b64 s[4:5], s[36:37], s[4:5]
	v_pk_mov_b32 v[10:11], s[34:35], s[34:35] op_sel:[0,1]
	s_andn2_b64 exec, exec, s[4:5]
	s_cbranch_execz .LBB419_19
.LBB419_15:                             ; =>This Inner Loop Header: Depth=1
	s_or_b64 s[30:31], s[30:31], exec
	s_cmp_eq_u64 s[2:3], s[34:35]
	s_cbranch_scc0 .LBB419_13
; %bb.16:                               ;   in Loop: Header=BB419_15 Depth=1
                                        ; implicit-def: $vgpr6_vgpr7
                                        ; implicit-def: $vgpr8_vgpr9
	s_mov_b64 s[34:35], s[16:17]
	s_branch .LBB419_14
.LBB419_17:
                                        ; implicit-def: $sgpr28_sgpr29
                                        ; implicit-def: $vgpr8_vgpr9
	s_cbranch_execnz .LBB419_60
	s_branch .LBB419_108
.LBB419_18:
                                        ; implicit-def: $sgpr28_sgpr29
                                        ; implicit-def: $vgpr8_vgpr9
	s_cbranch_execnz .LBB419_33
	s_branch .LBB419_59
.LBB419_19:
	s_or_b64 exec, exec, s[4:5]
	v_cmp_gt_i64_e32 vcc, s[16:17], v[10:11]
	s_mov_b32 s2, 0
	v_cndmask_b32_e64 v8, 0, 1, vcc
	v_mov_b32_e32 v9, s2
.LBB419_20:
	s_or_b64 exec, exec, s[28:29]
.LBB419_21:
	v_cmp_ne_u32_e32 vcc, 0, v0
	s_waitcnt lgkmcnt(0)
	v_pk_mov_b32 v[6:7], s[24:25], s[24:25] op_sel:[0,1]
	s_barrier
	s_and_saveexec_b64 s[2:3], vcc
	s_cbranch_execz .LBB419_23
; %bb.22:
	v_add_u32_e32 v6, -8, v1
	ds_read_b64 v[6:7], v6
.LBB419_23:
	s_or_b64 exec, exec, s[2:3]
	s_mov_b64 s[30:31], 0
	s_andn2_b64 vcc, exec, s[20:21]
	s_mov_b64 s[28:29], 0
	s_cbranch_vccnz .LBB419_32
; %bb.24:
	v_mul_lo_u32 v12, v3, s16
	v_mul_lo_u32 v13, v2, s17
	v_mad_u64_u32 v[10:11], s[2:3], v2, s16, 0
	v_add3_u32 v11, v11, v13, v12
	s_waitcnt lgkmcnt(0)
	v_mul_lo_u32 v12, v7, s16
	v_mul_lo_u32 v13, v6, s17
	v_mad_u64_u32 v[6:7], s[2:3], v6, s16, 0
	v_lshlrev_b64 v[10:11], 2, v[10:11]
	v_add3_u32 v7, v7, v13, v12
	v_mov_b32_e32 v13, s19
	v_add_co_u32_e32 v12, vcc, s18, v10
	v_addc_co_u32_e64 v13, s[2:3], v13, v11, vcc
	v_lshlrev_b64 v[6:7], 2, v[6:7]
	v_mov_b32_e32 v10, s19
	v_add_co_u32_e64 v14, s[2:3], s18, v6
	v_addc_co_u32_e64 v15, s[4:5], v10, v7, s[2:3]
	global_load_dword v6, v[12:13], off
	global_load_dword v10, v[14:15], off
	s_mov_b64 s[28:29], -1
	s_waitcnt vmcnt(0)
	v_cmp_eq_u32_e64 s[4:5], v6, v10
	s_and_saveexec_b64 s[20:21], s[4:5]
	s_cbranch_execz .LBB419_31
; %bb.25:
	v_mov_b32_e32 v6, s19
	v_addc_co_u32_e64 v7, s[2:3], v7, v6, s[2:3]
	v_add_co_u32_e64 v6, s[2:3], 4, v14
	v_mov_b32_e32 v10, s19
	v_addc_co_u32_e64 v7, s[2:3], 0, v7, s[2:3]
	v_addc_co_u32_e32 v11, vcc, v11, v10, vcc
	v_add_co_u32_e32 v10, vcc, 4, v12
	s_add_u32 s2, s16, -1
	v_addc_co_u32_e32 v11, vcc, 0, v11, vcc
	s_addc_u32 s3, s17, -1
	s_mov_b64 s[4:5], 0
	s_mov_b64 s[34:35], 0
                                        ; implicit-def: $sgpr28_sgpr29
	s_branch .LBB419_28
.LBB419_26:                             ;   in Loop: Header=BB419_28 Depth=1
	global_load_dword v12, v[10:11], off
	global_load_dword v13, v[6:7], off
	v_add_co_u32_e32 v6, vcc, 4, v6
	v_addc_co_u32_e32 v7, vcc, 0, v7, vcc
	v_add_co_u32_e32 v10, vcc, 4, v10
	v_addc_co_u32_e32 v11, vcc, 0, v11, vcc
	s_add_u32 s34, s34, 1
	s_addc_u32 s35, s35, 0
	s_andn2_b64 s[28:29], s[28:29], exec
	s_waitcnt vmcnt(0)
	v_cmp_ne_u32_e32 vcc, v12, v13
	s_and_b64 s[36:37], vcc, exec
	s_or_b64 s[28:29], s[28:29], s[36:37]
.LBB419_27:                             ;   in Loop: Header=BB419_28 Depth=1
	s_and_b64 s[36:37], exec, s[28:29]
	s_or_b64 s[4:5], s[36:37], s[4:5]
	v_pk_mov_b32 v[12:13], s[34:35], s[34:35] op_sel:[0,1]
	s_andn2_b64 exec, exec, s[4:5]
	s_cbranch_execz .LBB419_30
.LBB419_28:                             ; =>This Inner Loop Header: Depth=1
	s_or_b64 s[28:29], s[28:29], exec
	s_cmp_eq_u64 s[2:3], s[34:35]
	s_cbranch_scc0 .LBB419_26
; %bb.29:                               ;   in Loop: Header=BB419_28 Depth=1
                                        ; implicit-def: $vgpr6_vgpr7
                                        ; implicit-def: $vgpr10_vgpr11
	s_mov_b64 s[34:35], s[16:17]
	s_branch .LBB419_27
.LBB419_30:
	s_or_b64 exec, exec, s[4:5]
	v_cmp_gt_i64_e32 vcc, s[16:17], v[12:13]
	s_orn2_b64 s[28:29], vcc, exec
.LBB419_31:
	s_or_b64 exec, exec, s[20:21]
.LBB419_32:
	s_mov_b64 s[20:21], -1
	s_and_b64 vcc, exec, s[30:31]
	s_cbranch_vccz .LBB419_59
.LBB419_33:
	s_lshl_b32 s2, s26, 9
	v_lshlrev_b32_e32 v16, 1, v0
	s_sub_i32 s7, s14, s2
	s_waitcnt lgkmcnt(0)
	v_or_b32_e32 v6, 1, v16
	v_cmp_gt_u32_e32 vcc, s7, v6
	v_pk_mov_b32 v[8:9], v[4:5], v[4:5] op_sel:[0,1]
	ds_write_b64 v1, v[4:5]
	v_pk_mov_b32 v[6:7], v[2:3], v[2:3] op_sel:[0,1]
	s_and_saveexec_b64 s[26:27], vcc
	s_cbranch_execz .LBB419_44
; %bb.34:
	v_cmp_lt_i64_e64 s[2:3], s[16:17], 1
	s_and_b64 vcc, exec, s[2:3]
	s_cbranch_vccnz .LBB419_41
; %bb.35:
	v_mul_lo_u32 v8, v5, s16
	v_mul_lo_u32 v9, v4, s17
	v_mad_u64_u32 v[6:7], s[2:3], v4, s16, 0
	v_add3_u32 v7, v7, v9, v8
	v_mul_lo_u32 v10, v3, s16
	v_mul_lo_u32 v11, v2, s17
	v_mad_u64_u32 v[8:9], s[2:3], v2, s16, 0
	v_add3_u32 v9, v9, v11, v10
	v_lshlrev_b64 v[10:11], 2, v[6:7]
	v_mov_b32_e32 v6, s19
	v_add_co_u32_e32 v12, vcc, s18, v10
	v_addc_co_u32_e64 v13, s[2:3], v6, v11, vcc
	v_lshlrev_b64 v[6:7], 2, v[8:9]
	v_mov_b32_e32 v8, s19
	v_add_co_u32_e64 v14, s[2:3], s18, v6
	v_addc_co_u32_e64 v15, s[4:5], v8, v7, s[2:3]
	global_load_dword v6, v[12:13], off
	global_load_dword v8, v[14:15], off
	s_waitcnt vmcnt(0)
	v_cmp_eq_u32_e64 s[4:5], v6, v8
	v_mov_b32_e32 v8, 1
	v_mov_b32_e32 v9, 0
	s_and_saveexec_b64 s[28:29], s[4:5]
	s_cbranch_execz .LBB419_43
; %bb.36:
	v_mov_b32_e32 v6, s19
	v_addc_co_u32_e64 v7, s[2:3], v7, v6, s[2:3]
	v_add_co_u32_e64 v6, s[2:3], 4, v14
	v_mov_b32_e32 v8, s19
	v_addc_co_u32_e64 v7, s[2:3], 0, v7, s[2:3]
	v_addc_co_u32_e32 v9, vcc, v11, v8, vcc
	v_add_co_u32_e32 v8, vcc, 4, v12
	s_add_u32 s2, s16, -1
	v_addc_co_u32_e32 v9, vcc, 0, v9, vcc
	s_addc_u32 s3, s17, -1
	s_mov_b64 s[4:5], 0
	s_mov_b64 s[34:35], 0
                                        ; implicit-def: $sgpr30_sgpr31
	s_branch .LBB419_39
.LBB419_37:                             ;   in Loop: Header=BB419_39 Depth=1
	global_load_dword v10, v[8:9], off
	global_load_dword v11, v[6:7], off
	v_add_co_u32_e32 v6, vcc, 4, v6
	v_addc_co_u32_e32 v7, vcc, 0, v7, vcc
	v_add_co_u32_e32 v8, vcc, 4, v8
	v_addc_co_u32_e32 v9, vcc, 0, v9, vcc
	s_add_u32 s34, s34, 1
	s_addc_u32 s35, s35, 0
	s_andn2_b64 s[30:31], s[30:31], exec
	s_waitcnt vmcnt(0)
	v_cmp_ne_u32_e32 vcc, v10, v11
	s_and_b64 s[36:37], vcc, exec
	s_or_b64 s[30:31], s[30:31], s[36:37]
.LBB419_38:                             ;   in Loop: Header=BB419_39 Depth=1
	s_and_b64 s[36:37], exec, s[30:31]
	s_or_b64 s[4:5], s[36:37], s[4:5]
	v_pk_mov_b32 v[10:11], s[34:35], s[34:35] op_sel:[0,1]
	s_andn2_b64 exec, exec, s[4:5]
	s_cbranch_execz .LBB419_42
.LBB419_39:                             ; =>This Inner Loop Header: Depth=1
	s_or_b64 s[30:31], s[30:31], exec
	s_cmp_eq_u64 s[2:3], s[34:35]
	s_cbranch_scc0 .LBB419_37
; %bb.40:                               ;   in Loop: Header=BB419_39 Depth=1
                                        ; implicit-def: $vgpr6_vgpr7
                                        ; implicit-def: $vgpr8_vgpr9
	s_mov_b64 s[34:35], s[16:17]
	s_branch .LBB419_38
.LBB419_41:
	v_pk_mov_b32 v[8:9], 0, 0
	s_branch .LBB419_44
.LBB419_42:
	s_or_b64 exec, exec, s[4:5]
	v_cmp_gt_i64_e32 vcc, s[16:17], v[10:11]
	s_mov_b32 s2, 0
	v_cndmask_b32_e64 v8, 0, 1, vcc
	v_mov_b32_e32 v9, s2
.LBB419_43:
	s_or_b64 exec, exec, s[28:29]
.LBB419_44:
	s_or_b64 exec, exec, s[26:27]
	v_cmp_ne_u32_e32 vcc, 0, v0
	v_pk_mov_b32 v[6:7], s[24:25], s[24:25] op_sel:[0,1]
	s_waitcnt lgkmcnt(0)
	s_barrier
	s_and_saveexec_b64 s[2:3], vcc
	s_cbranch_execz .LBB419_46
; %bb.45:
	v_add_u32_e32 v6, -8, v1
	ds_read_b64 v[6:7], v6
.LBB419_46:
	s_or_b64 exec, exec, s[2:3]
	v_cmp_gt_u32_e32 vcc, s7, v16
                                        ; implicit-def: $sgpr28_sgpr29
	s_and_saveexec_b64 s[24:25], vcc
	s_cbranch_execz .LBB419_58
; %bb.47:
	v_cmp_lt_i64_e64 s[2:3], s[16:17], 1
	s_and_b64 vcc, exec, s[2:3]
	s_cbranch_vccnz .LBB419_54
; %bb.48:
	v_mul_lo_u32 v12, v3, s16
	v_mul_lo_u32 v13, v2, s17
	v_mad_u64_u32 v[10:11], s[2:3], v2, s16, 0
	v_add3_u32 v11, v11, v13, v12
	s_waitcnt lgkmcnt(0)
	v_mul_lo_u32 v12, v7, s16
	v_mul_lo_u32 v13, v6, s17
	v_mad_u64_u32 v[6:7], s[2:3], v6, s16, 0
	v_lshlrev_b64 v[10:11], 2, v[10:11]
	v_add3_u32 v7, v7, v13, v12
	v_mov_b32_e32 v13, s19
	v_add_co_u32_e32 v12, vcc, s18, v10
	v_addc_co_u32_e64 v13, s[2:3], v13, v11, vcc
	v_lshlrev_b64 v[6:7], 2, v[6:7]
	v_mov_b32_e32 v10, s19
	v_add_co_u32_e64 v14, s[2:3], s18, v6
	v_addc_co_u32_e64 v15, s[4:5], v10, v7, s[2:3]
	global_load_dword v6, v[12:13], off
	global_load_dword v10, v[14:15], off
	s_mov_b64 s[28:29], -1
	s_waitcnt vmcnt(0)
	v_cmp_eq_u32_e64 s[4:5], v6, v10
	s_and_saveexec_b64 s[26:27], s[4:5]
	s_cbranch_execz .LBB419_56
; %bb.49:
	v_mov_b32_e32 v6, s19
	v_addc_co_u32_e64 v7, s[2:3], v7, v6, s[2:3]
	v_add_co_u32_e64 v6, s[2:3], 4, v14
	v_mov_b32_e32 v10, s19
	v_addc_co_u32_e64 v7, s[2:3], 0, v7, s[2:3]
	v_addc_co_u32_e32 v11, vcc, v11, v10, vcc
	v_add_co_u32_e32 v10, vcc, 4, v12
	s_add_u32 s2, s16, -1
	v_addc_co_u32_e32 v11, vcc, 0, v11, vcc
	s_addc_u32 s3, s17, -1
	s_mov_b64 s[4:5], 0
	s_mov_b64 s[30:31], 0
                                        ; implicit-def: $sgpr28_sgpr29
	s_branch .LBB419_52
.LBB419_50:                             ;   in Loop: Header=BB419_52 Depth=1
	global_load_dword v12, v[10:11], off
	global_load_dword v13, v[6:7], off
	v_add_co_u32_e32 v6, vcc, 4, v6
	v_addc_co_u32_e32 v7, vcc, 0, v7, vcc
	v_add_co_u32_e32 v10, vcc, 4, v10
	v_addc_co_u32_e32 v11, vcc, 0, v11, vcc
	s_add_u32 s30, s30, 1
	s_addc_u32 s31, s31, 0
	s_andn2_b64 s[28:29], s[28:29], exec
	s_waitcnt vmcnt(0)
	v_cmp_ne_u32_e32 vcc, v12, v13
	s_and_b64 s[34:35], vcc, exec
	s_or_b64 s[28:29], s[28:29], s[34:35]
.LBB419_51:                             ;   in Loop: Header=BB419_52 Depth=1
	s_and_b64 s[34:35], exec, s[28:29]
	s_or_b64 s[4:5], s[34:35], s[4:5]
	v_pk_mov_b32 v[12:13], s[30:31], s[30:31] op_sel:[0,1]
	s_andn2_b64 exec, exec, s[4:5]
	s_cbranch_execz .LBB419_55
.LBB419_52:                             ; =>This Inner Loop Header: Depth=1
	s_or_b64 s[28:29], s[28:29], exec
	s_cmp_eq_u64 s[2:3], s[30:31]
	s_cbranch_scc0 .LBB419_50
; %bb.53:                               ;   in Loop: Header=BB419_52 Depth=1
                                        ; implicit-def: $vgpr6_vgpr7
                                        ; implicit-def: $vgpr10_vgpr11
	s_mov_b64 s[30:31], s[16:17]
	s_branch .LBB419_51
.LBB419_54:
	s_mov_b64 s[28:29], 0
	s_branch .LBB419_57
.LBB419_55:
	s_or_b64 exec, exec, s[4:5]
	v_cmp_gt_i64_e32 vcc, s[16:17], v[12:13]
	s_orn2_b64 s[28:29], vcc, exec
.LBB419_56:
	s_or_b64 exec, exec, s[26:27]
.LBB419_57:
	s_and_b64 s[28:29], s[28:29], exec
	s_or_b64 s[20:21], s[20:21], exec
.LBB419_58:
	s_or_b64 exec, exec, s[24:25]
.LBB419_59:
	s_branch .LBB419_108
.LBB419_60:
	s_cmp_lg_u64 s[22:23], 1
	s_cbranch_scc0 .LBB419_68
; %bb.61:
	v_cmp_lt_i64_e64 s[2:3], s[16:17], 1
	v_pk_mov_b32 v[8:9], 0, 0
	s_waitcnt lgkmcnt(0)
	v_cmp_gt_i64_e64 s[24:25], s[16:17], 0
	s_and_b64 vcc, exec, s[2:3]
	ds_write_b64 v1, v[4:5]
	s_cbranch_vccnz .LBB419_71
; %bb.62:
	v_mul_lo_u32 v8, v5, s16
	v_mul_lo_u32 v9, v4, s17
	v_mad_u64_u32 v[6:7], s[2:3], v4, s16, 0
	v_add3_u32 v7, v7, v9, v8
	v_mul_lo_u32 v10, v3, s16
	v_mul_lo_u32 v11, v2, s17
	v_mad_u64_u32 v[8:9], s[2:3], v2, s16, 0
	v_add3_u32 v9, v9, v11, v10
	v_lshlrev_b64 v[10:11], 2, v[6:7]
	v_mov_b32_e32 v6, s19
	v_add_co_u32_e32 v12, vcc, s18, v10
	v_addc_co_u32_e64 v13, s[2:3], v6, v11, vcc
	v_lshlrev_b64 v[6:7], 2, v[8:9]
	v_mov_b32_e32 v8, s19
	v_add_co_u32_e64 v14, s[2:3], s18, v6
	v_addc_co_u32_e64 v15, s[4:5], v8, v7, s[2:3]
	global_load_dword v6, v[12:13], off
	global_load_dword v8, v[14:15], off
	s_waitcnt vmcnt(0)
	v_cmp_eq_u32_e64 s[4:5], v6, v8
	v_mov_b32_e32 v8, 1
	v_mov_b32_e32 v9, 0
	s_and_saveexec_b64 s[22:23], s[4:5]
	s_cbranch_execz .LBB419_70
; %bb.63:
	v_mov_b32_e32 v6, s19
	v_addc_co_u32_e64 v7, s[2:3], v7, v6, s[2:3]
	v_add_co_u32_e64 v6, s[2:3], 4, v14
	v_mov_b32_e32 v8, s19
	v_addc_co_u32_e64 v7, s[2:3], 0, v7, s[2:3]
	v_addc_co_u32_e32 v9, vcc, v11, v8, vcc
	v_add_co_u32_e32 v8, vcc, 4, v12
	s_add_u32 s2, s16, -1
	v_addc_co_u32_e32 v9, vcc, 0, v9, vcc
	s_addc_u32 s3, s17, -1
	s_mov_b64 s[4:5], 0
	s_mov_b64 s[28:29], 0
                                        ; implicit-def: $sgpr26_sgpr27
	s_branch .LBB419_66
.LBB419_64:                             ;   in Loop: Header=BB419_66 Depth=1
	global_load_dword v10, v[8:9], off
	global_load_dword v11, v[6:7], off
	v_add_co_u32_e32 v6, vcc, 4, v6
	v_addc_co_u32_e32 v7, vcc, 0, v7, vcc
	v_add_co_u32_e32 v8, vcc, 4, v8
	v_addc_co_u32_e32 v9, vcc, 0, v9, vcc
	s_add_u32 s28, s28, 1
	s_addc_u32 s29, s29, 0
	s_andn2_b64 s[26:27], s[26:27], exec
	s_waitcnt vmcnt(0)
	v_cmp_ne_u32_e32 vcc, v10, v11
	s_and_b64 s[30:31], vcc, exec
	s_or_b64 s[26:27], s[26:27], s[30:31]
.LBB419_65:                             ;   in Loop: Header=BB419_66 Depth=1
	s_and_b64 s[30:31], exec, s[26:27]
	s_or_b64 s[4:5], s[30:31], s[4:5]
	v_pk_mov_b32 v[10:11], s[28:29], s[28:29] op_sel:[0,1]
	s_andn2_b64 exec, exec, s[4:5]
	s_cbranch_execz .LBB419_69
.LBB419_66:                             ; =>This Inner Loop Header: Depth=1
	s_or_b64 s[26:27], s[26:27], exec
	s_cmp_eq_u64 s[2:3], s[28:29]
	s_cbranch_scc0 .LBB419_64
; %bb.67:                               ;   in Loop: Header=BB419_66 Depth=1
                                        ; implicit-def: $vgpr6_vgpr7
                                        ; implicit-def: $vgpr8_vgpr9
	s_mov_b64 s[28:29], s[16:17]
	s_branch .LBB419_65
.LBB419_68:
                                        ; implicit-def: $sgpr28_sgpr29
                                        ; implicit-def: $vgpr8_vgpr9
	s_cbranch_execnz .LBB419_84
	s_branch .LBB419_108
.LBB419_69:
	s_or_b64 exec, exec, s[4:5]
	v_cmp_gt_i64_e32 vcc, s[16:17], v[10:11]
	s_mov_b32 s2, 0
	v_cndmask_b32_e64 v8, 0, 1, vcc
	v_mov_b32_e32 v9, s2
.LBB419_70:
	s_or_b64 exec, exec, s[22:23]
.LBB419_71:
	v_cmp_ne_u32_e32 vcc, 0, v0
	s_waitcnt lgkmcnt(0)
	s_barrier
	s_waitcnt lgkmcnt(0)
                                        ; implicit-def: $sgpr28_sgpr29
	s_and_saveexec_b64 s[22:23], vcc
	s_cbranch_execz .LBB419_83
; %bb.72:
	s_andn2_b64 vcc, exec, s[24:25]
	s_cbranch_vccnz .LBB419_79
; %bb.73:
	v_add_u32_e32 v6, -8, v1
	ds_read_b64 v[6:7], v6
	v_mul_lo_u32 v12, v3, s16
	v_mul_lo_u32 v13, v2, s17
	v_mad_u64_u32 v[10:11], s[2:3], v2, s16, 0
	v_add3_u32 v11, v11, v13, v12
	s_waitcnt lgkmcnt(0)
	v_mul_lo_u32 v12, v7, s16
	v_mul_lo_u32 v13, v6, s17
	v_mad_u64_u32 v[6:7], s[2:3], v6, s16, 0
	v_lshlrev_b64 v[10:11], 2, v[10:11]
	v_add3_u32 v7, v7, v13, v12
	v_mov_b32_e32 v13, s19
	v_add_co_u32_e32 v12, vcc, s18, v10
	v_addc_co_u32_e64 v13, s[2:3], v13, v11, vcc
	v_lshlrev_b64 v[6:7], 2, v[6:7]
	v_mov_b32_e32 v10, s19
	v_add_co_u32_e64 v14, s[2:3], s18, v6
	v_addc_co_u32_e64 v15, s[4:5], v10, v7, s[2:3]
	global_load_dword v6, v[12:13], off
	global_load_dword v10, v[14:15], off
	s_mov_b64 s[26:27], -1
	s_waitcnt vmcnt(0)
	v_cmp_eq_u32_e64 s[4:5], v6, v10
	s_and_saveexec_b64 s[24:25], s[4:5]
	s_cbranch_execz .LBB419_81
; %bb.74:
	v_mov_b32_e32 v6, s19
	v_addc_co_u32_e64 v7, s[2:3], v7, v6, s[2:3]
	v_add_co_u32_e64 v6, s[2:3], 4, v14
	v_mov_b32_e32 v10, s19
	v_addc_co_u32_e64 v7, s[2:3], 0, v7, s[2:3]
	v_addc_co_u32_e32 v11, vcc, v11, v10, vcc
	v_add_co_u32_e32 v10, vcc, 4, v12
	s_add_u32 s2, s16, -1
	v_addc_co_u32_e32 v11, vcc, 0, v11, vcc
	s_addc_u32 s3, s17, -1
	s_mov_b64 s[4:5], 0
	s_mov_b64 s[28:29], 0
                                        ; implicit-def: $sgpr26_sgpr27
	s_branch .LBB419_77
.LBB419_75:                             ;   in Loop: Header=BB419_77 Depth=1
	global_load_dword v12, v[10:11], off
	global_load_dword v13, v[6:7], off
	v_add_co_u32_e32 v6, vcc, 4, v6
	v_addc_co_u32_e32 v7, vcc, 0, v7, vcc
	v_add_co_u32_e32 v10, vcc, 4, v10
	v_addc_co_u32_e32 v11, vcc, 0, v11, vcc
	s_add_u32 s28, s28, 1
	s_addc_u32 s29, s29, 0
	s_andn2_b64 s[26:27], s[26:27], exec
	s_waitcnt vmcnt(0)
	v_cmp_ne_u32_e32 vcc, v12, v13
	s_and_b64 s[30:31], vcc, exec
	s_or_b64 s[26:27], s[26:27], s[30:31]
.LBB419_76:                             ;   in Loop: Header=BB419_77 Depth=1
	s_and_b64 s[30:31], exec, s[26:27]
	s_or_b64 s[4:5], s[30:31], s[4:5]
	v_pk_mov_b32 v[12:13], s[28:29], s[28:29] op_sel:[0,1]
	s_andn2_b64 exec, exec, s[4:5]
	s_cbranch_execz .LBB419_80
.LBB419_77:                             ; =>This Inner Loop Header: Depth=1
	s_or_b64 s[26:27], s[26:27], exec
	s_cmp_eq_u64 s[2:3], s[28:29]
	s_cbranch_scc0 .LBB419_75
; %bb.78:                               ;   in Loop: Header=BB419_77 Depth=1
                                        ; implicit-def: $vgpr6_vgpr7
                                        ; implicit-def: $vgpr10_vgpr11
	s_mov_b64 s[28:29], s[16:17]
	s_branch .LBB419_76
.LBB419_79:
	s_mov_b64 s[26:27], 0
	s_branch .LBB419_82
.LBB419_80:
	s_or_b64 exec, exec, s[4:5]
	v_cmp_gt_i64_e32 vcc, s[16:17], v[12:13]
	s_orn2_b64 s[26:27], vcc, exec
.LBB419_81:
	s_or_b64 exec, exec, s[24:25]
.LBB419_82:
	s_and_b64 s[28:29], s[26:27], exec
	s_or_b64 s[20:21], s[20:21], exec
.LBB419_83:
	s_or_b64 exec, exec, s[22:23]
	s_branch .LBB419_108
.LBB419_84:
	v_lshlrev_b32_e32 v14, 1, v0
	s_waitcnt lgkmcnt(0)
	v_or_b32_e32 v6, 1, v14
	v_cmp_gt_u32_e32 vcc, s14, v6
	v_cmp_lt_i64_e64 s[22:23], s[16:17], 1
	v_pk_mov_b32 v[8:9], v[4:5], v[4:5] op_sel:[0,1]
	ds_write_b64 v1, v[4:5]
	v_pk_mov_b32 v[6:7], v[2:3], v[2:3] op_sel:[0,1]
	s_and_saveexec_b64 s[24:25], vcc
	s_cbranch_execz .LBB419_95
; %bb.85:
	s_and_b64 vcc, exec, s[22:23]
	s_cbranch_vccnz .LBB419_92
; %bb.86:
	v_mul_lo_u32 v6, v5, s16
	v_mul_lo_u32 v7, v4, s17
	v_mad_u64_u32 v[4:5], s[2:3], v4, s16, 0
	v_add3_u32 v5, v5, v7, v6
	v_mul_lo_u32 v6, v3, s16
	v_mul_lo_u32 v7, v2, s17
	v_mad_u64_u32 v[8:9], s[2:3], v2, s16, 0
	v_add3_u32 v9, v9, v7, v6
	v_lshlrev_b64 v[6:7], 2, v[4:5]
	v_mov_b32_e32 v4, s19
	v_add_co_u32_e32 v10, vcc, s18, v6
	v_addc_co_u32_e64 v11, s[2:3], v4, v7, vcc
	v_lshlrev_b64 v[4:5], 2, v[8:9]
	v_mov_b32_e32 v6, s19
	v_add_co_u32_e64 v12, s[2:3], s18, v4
	v_addc_co_u32_e64 v13, s[4:5], v6, v5, s[2:3]
	global_load_dword v4, v[10:11], off
	global_load_dword v6, v[12:13], off
	v_mov_b32_e32 v8, 1
	v_mov_b32_e32 v9, 0
	s_waitcnt vmcnt(0)
	v_cmp_eq_u32_e64 s[4:5], v4, v6
	s_and_saveexec_b64 s[26:27], s[4:5]
	s_cbranch_execz .LBB419_94
; %bb.87:
	v_mov_b32_e32 v4, s19
	v_addc_co_u32_e64 v5, s[2:3], v5, v4, s[2:3]
	v_add_co_u32_e64 v4, s[2:3], 4, v12
	v_mov_b32_e32 v6, s19
	v_addc_co_u32_e64 v5, s[2:3], 0, v5, s[2:3]
	v_addc_co_u32_e32 v7, vcc, v7, v6, vcc
	v_add_co_u32_e32 v6, vcc, 4, v10
	s_add_u32 s2, s16, -1
	v_addc_co_u32_e32 v7, vcc, 0, v7, vcc
	s_addc_u32 s3, s17, -1
	s_mov_b64 s[4:5], 0
	s_mov_b64 s[30:31], 0
                                        ; implicit-def: $sgpr28_sgpr29
	s_branch .LBB419_90
.LBB419_88:                             ;   in Loop: Header=BB419_90 Depth=1
	global_load_dword v8, v[6:7], off
	global_load_dword v9, v[4:5], off
	v_add_co_u32_e32 v4, vcc, 4, v4
	v_addc_co_u32_e32 v5, vcc, 0, v5, vcc
	v_add_co_u32_e32 v6, vcc, 4, v6
	v_addc_co_u32_e32 v7, vcc, 0, v7, vcc
	s_add_u32 s30, s30, 1
	s_addc_u32 s31, s31, 0
	s_andn2_b64 s[28:29], s[28:29], exec
	s_waitcnt vmcnt(0)
	v_cmp_ne_u32_e32 vcc, v8, v9
	s_and_b64 s[34:35], vcc, exec
	s_or_b64 s[28:29], s[28:29], s[34:35]
.LBB419_89:                             ;   in Loop: Header=BB419_90 Depth=1
	s_and_b64 s[34:35], exec, s[28:29]
	s_or_b64 s[4:5], s[34:35], s[4:5]
	v_pk_mov_b32 v[8:9], s[30:31], s[30:31] op_sel:[0,1]
	s_andn2_b64 exec, exec, s[4:5]
	s_cbranch_execz .LBB419_93
.LBB419_90:                             ; =>This Inner Loop Header: Depth=1
	s_or_b64 s[28:29], s[28:29], exec
	s_cmp_eq_u64 s[2:3], s[30:31]
	s_cbranch_scc0 .LBB419_88
; %bb.91:                               ;   in Loop: Header=BB419_90 Depth=1
                                        ; implicit-def: $vgpr4_vgpr5
                                        ; implicit-def: $vgpr6_vgpr7
	s_mov_b64 s[30:31], s[16:17]
	s_branch .LBB419_89
.LBB419_92:
	v_pk_mov_b32 v[8:9], 0, 0
	s_branch .LBB419_95
.LBB419_93:
	s_or_b64 exec, exec, s[4:5]
	v_cmp_gt_i64_e32 vcc, s[16:17], v[8:9]
	s_mov_b32 s2, 0
	v_cndmask_b32_e64 v8, 0, 1, vcc
	v_mov_b32_e32 v9, s2
.LBB419_94:
	s_or_b64 exec, exec, s[26:27]
.LBB419_95:
	s_or_b64 exec, exec, s[24:25]
	v_cmp_ne_u32_e32 vcc, 0, v0
	v_cmp_gt_u32_e64 s[2:3], s14, v14
	s_and_b64 s[2:3], vcc, s[2:3]
	s_waitcnt lgkmcnt(0)
	s_barrier
	s_waitcnt lgkmcnt(0)
                                        ; implicit-def: $sgpr28_sgpr29
	s_and_saveexec_b64 s[24:25], s[2:3]
	s_cbranch_execz .LBB419_107
; %bb.96:
	s_and_b64 vcc, exec, s[22:23]
	s_cbranch_vccnz .LBB419_103
; %bb.97:
	v_mul_lo_u32 v6, v3, s16
	v_add_u32_e32 v3, -8, v1
	ds_read_b64 v[4:5], v3
	v_mul_lo_u32 v7, v2, s17
	v_mad_u64_u32 v[2:3], s[2:3], v2, s16, 0
	v_add3_u32 v3, v3, v7, v6
	s_waitcnt lgkmcnt(0)
	v_mul_lo_u32 v5, v5, s16
	v_mul_lo_u32 v6, v4, s17
	v_mad_u64_u32 v[10:11], s[2:3], v4, s16, 0
	v_add3_u32 v11, v11, v6, v5
	v_lshlrev_b64 v[4:5], 2, v[2:3]
	v_mov_b32_e32 v2, s19
	v_add_co_u32_e32 v6, vcc, s18, v4
	v_addc_co_u32_e64 v7, s[2:3], v2, v5, vcc
	v_lshlrev_b64 v[2:3], 2, v[10:11]
	v_mov_b32_e32 v4, s19
	v_add_co_u32_e64 v10, s[2:3], s18, v2
	v_addc_co_u32_e64 v11, s[4:5], v4, v3, s[2:3]
	global_load_dword v2, v[6:7], off
	global_load_dword v4, v[10:11], off
	s_mov_b64 s[26:27], -1
	s_waitcnt vmcnt(0)
	v_cmp_eq_u32_e64 s[4:5], v2, v4
	s_and_saveexec_b64 s[22:23], s[4:5]
	s_cbranch_execz .LBB419_105
; %bb.98:
	v_mov_b32_e32 v2, s19
	v_addc_co_u32_e64 v3, s[2:3], v3, v2, s[2:3]
	v_add_co_u32_e64 v2, s[2:3], 4, v10
	v_mov_b32_e32 v4, s19
	v_addc_co_u32_e64 v3, s[2:3], 0, v3, s[2:3]
	v_addc_co_u32_e32 v5, vcc, v5, v4, vcc
	v_add_co_u32_e32 v4, vcc, 4, v6
	s_add_u32 s2, s16, -1
	v_addc_co_u32_e32 v5, vcc, 0, v5, vcc
	s_addc_u32 s3, s17, -1
	s_mov_b64 s[4:5], 0
	s_mov_b64 s[26:27], 0
                                        ; implicit-def: $sgpr18_sgpr19
	s_branch .LBB419_101
.LBB419_99:                             ;   in Loop: Header=BB419_101 Depth=1
	global_load_dword v6, v[4:5], off
	global_load_dword v7, v[2:3], off
	v_add_co_u32_e32 v2, vcc, 4, v2
	v_addc_co_u32_e32 v3, vcc, 0, v3, vcc
	v_add_co_u32_e32 v4, vcc, 4, v4
	v_addc_co_u32_e32 v5, vcc, 0, v5, vcc
	s_add_u32 s26, s26, 1
	s_addc_u32 s27, s27, 0
	s_andn2_b64 s[18:19], s[18:19], exec
	s_waitcnt vmcnt(0)
	v_cmp_ne_u32_e32 vcc, v6, v7
	s_and_b64 s[28:29], vcc, exec
	s_or_b64 s[18:19], s[18:19], s[28:29]
.LBB419_100:                            ;   in Loop: Header=BB419_101 Depth=1
	s_and_b64 s[28:29], exec, s[18:19]
	s_or_b64 s[4:5], s[28:29], s[4:5]
	v_pk_mov_b32 v[6:7], s[26:27], s[26:27] op_sel:[0,1]
	s_andn2_b64 exec, exec, s[4:5]
	s_cbranch_execz .LBB419_104
.LBB419_101:                            ; =>This Inner Loop Header: Depth=1
	s_or_b64 s[18:19], s[18:19], exec
	s_cmp_eq_u64 s[2:3], s[26:27]
	s_cbranch_scc0 .LBB419_99
; %bb.102:                              ;   in Loop: Header=BB419_101 Depth=1
                                        ; implicit-def: $vgpr2_vgpr3
                                        ; implicit-def: $vgpr4_vgpr5
	s_mov_b64 s[26:27], s[16:17]
	s_branch .LBB419_100
.LBB419_103:
	s_mov_b64 s[26:27], 0
	s_branch .LBB419_106
.LBB419_104:
	s_or_b64 exec, exec, s[4:5]
	v_cmp_gt_i64_e32 vcc, s[16:17], v[6:7]
	s_orn2_b64 s[26:27], vcc, exec
.LBB419_105:
	s_or_b64 exec, exec, s[22:23]
.LBB419_106:
	s_and_b64 s[28:29], s[26:27], exec
	s_or_b64 s[20:21], s[20:21], exec
                                        ; implicit-def: $vgpr2_vgpr3
.LBB419_107:
	s_or_b64 exec, exec, s[24:25]
.LBB419_108:
	s_and_saveexec_b64 s[2:3], s[20:21]
; %bb.109:
	s_mov_b32 s4, 0
	v_cndmask_b32_e64 v2, 0, 1, s[28:29]
	v_mov_b32_e32 v3, s4
; %bb.110:
	s_or_b64 exec, exec, s[2:3]
	s_add_u32 s4, s12, s10
	s_addc_u32 s5, s13, s11
	s_and_b64 vcc, exec, s[0:1]
	v_lshrrev_b32_e32 v10, 1, v0
	s_waitcnt lgkmcnt(0)
	s_barrier
	s_cbranch_vccz .LBB419_114
; %bb.111:
	v_and_b32_e32 v4, 0x78, v10
	v_lshl_add_u32 v6, v0, 4, v4
	v_mov_b32_e32 v4, v8
	v_mov_b32_e32 v5, v9
	v_or_b32_e32 v11, 0x100, v0
	s_lshl_b32 s0, s6, 9
	s_mov_b32 s9, 0
	ds_write2_b64 v6, v[2:3], v[4:5] offset1:1
	v_lshrrev_b32_e32 v4, 5, v11
	s_sub_i32 s2, s14, s0
	s_lshl_b64 s[0:1], s[8:9], 3
	v_add_lshl_u32 v4, v4, v0, 3
	s_add_u32 s0, s4, s0
	s_waitcnt lgkmcnt(0)
	s_barrier
	ds_read_b64 v[4:5], v4 offset:2048
	s_addc_u32 s1, s5, s1
	v_mov_b32_e32 v7, s1
	v_add_co_u32_e32 v6, vcc, s0, v1
	v_addc_co_u32_e32 v7, vcc, 0, v7, vcc
	v_cmp_gt_u32_e32 vcc, s2, v0
	s_and_saveexec_b64 s[0:1], vcc
	s_cbranch_execz .LBB419_113
; %bb.112:
	v_lshrrev_b32_e32 v12, 5, v0
	v_add_lshl_u32 v12, v12, v0, 3
	ds_read_b64 v[12:13], v12
	s_waitcnt lgkmcnt(0)
	global_store_dwordx2 v[6:7], v[12:13], off
.LBB419_113:
	s_or_b64 exec, exec, s[0:1]
	v_cmp_gt_u32_e64 s[0:1], s2, v11
	s_branch .LBB419_116
.LBB419_114:
	s_mov_b64 s[0:1], 0
                                        ; implicit-def: $vgpr4_vgpr5
                                        ; implicit-def: $vgpr6_vgpr7
	s_cbranch_execz .LBB419_116
; %bb.115:
	s_waitcnt lgkmcnt(0)
	v_and_b32_e32 v4, 0x78, v10
	v_lshl_add_u32 v6, v0, 4, v4
	v_mov_b32_e32 v4, v8
	v_mov_b32_e32 v5, v9
	s_mov_b32 s9, 0
	ds_write2_b64 v6, v[2:3], v[4:5] offset1:1
	v_lshrrev_b32_e32 v2, 5, v0
	v_or_b32_e32 v3, 0x100, v0
	s_lshl_b64 s[2:3], s[8:9], 3
	v_add_lshl_u32 v2, v2, v0, 3
	v_lshrrev_b32_e32 v3, 5, v3
	s_add_u32 s2, s4, s2
	s_waitcnt lgkmcnt(0)
	s_barrier
	v_add_lshl_u32 v0, v3, v0, 3
	ds_read_b64 v[2:3], v2
	ds_read_b64 v[4:5], v0 offset:2048
	s_addc_u32 s3, s5, s3
	v_mov_b32_e32 v0, s3
	v_add_co_u32_e32 v6, vcc, s2, v1
	v_addc_co_u32_e32 v7, vcc, 0, v0, vcc
	s_or_b64 s[0:1], s[0:1], exec
	s_waitcnt lgkmcnt(1)
	global_store_dwordx2 v1, v[2:3], s[2:3]
.LBB419_116:
	s_and_saveexec_b64 s[2:3], s[0:1]
	s_cbranch_execnz .LBB419_118
; %bb.117:
	s_endpgm
.LBB419_118:
	s_waitcnt lgkmcnt(0)
	global_store_dwordx2 v[6:7], v[4:5], off offset:2048
	s_endpgm
	.section	.rodata,"a",@progbits
	.p2align	6, 0x0
	.amdhsa_kernel _ZN7rocprim17ROCPRIM_400000_NS6detail17trampoline_kernelINS0_14default_configENS1_35adjacent_difference_config_selectorILb0ElEEZNS1_24adjacent_difference_implIS3_Lb0ELb0EPlS7_ZN2at6native12_GLOBAL__N_124unique_dim_cuda_templateIiEESt5tupleIJNS8_6TensorESD_SD_EERKSD_lbbbEUlllE1_EE10hipError_tPvRmT2_T3_mT4_P12ihipStream_tbEUlT_E_NS1_11comp_targetILNS1_3genE4ELNS1_11target_archE910ELNS1_3gpuE8ELNS1_3repE0EEENS1_30default_config_static_selectorELNS0_4arch9wavefront6targetE1EEEvT1_
		.amdhsa_group_segment_fixed_size 4224
		.amdhsa_private_segment_fixed_size 0
		.amdhsa_kernarg_size 64
		.amdhsa_user_sgpr_count 6
		.amdhsa_user_sgpr_private_segment_buffer 1
		.amdhsa_user_sgpr_dispatch_ptr 0
		.amdhsa_user_sgpr_queue_ptr 0
		.amdhsa_user_sgpr_kernarg_segment_ptr 1
		.amdhsa_user_sgpr_dispatch_id 0
		.amdhsa_user_sgpr_flat_scratch_init 0
		.amdhsa_user_sgpr_kernarg_preload_length 0
		.amdhsa_user_sgpr_kernarg_preload_offset 0
		.amdhsa_user_sgpr_private_segment_size 0
		.amdhsa_uses_dynamic_stack 0
		.amdhsa_system_sgpr_private_segment_wavefront_offset 0
		.amdhsa_system_sgpr_workgroup_id_x 1
		.amdhsa_system_sgpr_workgroup_id_y 0
		.amdhsa_system_sgpr_workgroup_id_z 0
		.amdhsa_system_sgpr_workgroup_info 0
		.amdhsa_system_vgpr_workitem_id 0
		.amdhsa_next_free_vgpr 17
		.amdhsa_next_free_sgpr 38
		.amdhsa_accum_offset 20
		.amdhsa_reserve_vcc 1
		.amdhsa_reserve_flat_scratch 0
		.amdhsa_float_round_mode_32 0
		.amdhsa_float_round_mode_16_64 0
		.amdhsa_float_denorm_mode_32 3
		.amdhsa_float_denorm_mode_16_64 3
		.amdhsa_dx10_clamp 1
		.amdhsa_ieee_mode 1
		.amdhsa_fp16_overflow 0
		.amdhsa_tg_split 0
		.amdhsa_exception_fp_ieee_invalid_op 0
		.amdhsa_exception_fp_denorm_src 0
		.amdhsa_exception_fp_ieee_div_zero 0
		.amdhsa_exception_fp_ieee_overflow 0
		.amdhsa_exception_fp_ieee_underflow 0
		.amdhsa_exception_fp_ieee_inexact 0
		.amdhsa_exception_int_div_zero 0
	.end_amdhsa_kernel
	.section	.text._ZN7rocprim17ROCPRIM_400000_NS6detail17trampoline_kernelINS0_14default_configENS1_35adjacent_difference_config_selectorILb0ElEEZNS1_24adjacent_difference_implIS3_Lb0ELb0EPlS7_ZN2at6native12_GLOBAL__N_124unique_dim_cuda_templateIiEESt5tupleIJNS8_6TensorESD_SD_EERKSD_lbbbEUlllE1_EE10hipError_tPvRmT2_T3_mT4_P12ihipStream_tbEUlT_E_NS1_11comp_targetILNS1_3genE4ELNS1_11target_archE910ELNS1_3gpuE8ELNS1_3repE0EEENS1_30default_config_static_selectorELNS0_4arch9wavefront6targetE1EEEvT1_,"axG",@progbits,_ZN7rocprim17ROCPRIM_400000_NS6detail17trampoline_kernelINS0_14default_configENS1_35adjacent_difference_config_selectorILb0ElEEZNS1_24adjacent_difference_implIS3_Lb0ELb0EPlS7_ZN2at6native12_GLOBAL__N_124unique_dim_cuda_templateIiEESt5tupleIJNS8_6TensorESD_SD_EERKSD_lbbbEUlllE1_EE10hipError_tPvRmT2_T3_mT4_P12ihipStream_tbEUlT_E_NS1_11comp_targetILNS1_3genE4ELNS1_11target_archE910ELNS1_3gpuE8ELNS1_3repE0EEENS1_30default_config_static_selectorELNS0_4arch9wavefront6targetE1EEEvT1_,comdat
.Lfunc_end419:
	.size	_ZN7rocprim17ROCPRIM_400000_NS6detail17trampoline_kernelINS0_14default_configENS1_35adjacent_difference_config_selectorILb0ElEEZNS1_24adjacent_difference_implIS3_Lb0ELb0EPlS7_ZN2at6native12_GLOBAL__N_124unique_dim_cuda_templateIiEESt5tupleIJNS8_6TensorESD_SD_EERKSD_lbbbEUlllE1_EE10hipError_tPvRmT2_T3_mT4_P12ihipStream_tbEUlT_E_NS1_11comp_targetILNS1_3genE4ELNS1_11target_archE910ELNS1_3gpuE8ELNS1_3repE0EEENS1_30default_config_static_selectorELNS0_4arch9wavefront6targetE1EEEvT1_, .Lfunc_end419-_ZN7rocprim17ROCPRIM_400000_NS6detail17trampoline_kernelINS0_14default_configENS1_35adjacent_difference_config_selectorILb0ElEEZNS1_24adjacent_difference_implIS3_Lb0ELb0EPlS7_ZN2at6native12_GLOBAL__N_124unique_dim_cuda_templateIiEESt5tupleIJNS8_6TensorESD_SD_EERKSD_lbbbEUlllE1_EE10hipError_tPvRmT2_T3_mT4_P12ihipStream_tbEUlT_E_NS1_11comp_targetILNS1_3genE4ELNS1_11target_archE910ELNS1_3gpuE8ELNS1_3repE0EEENS1_30default_config_static_selectorELNS0_4arch9wavefront6targetE1EEEvT1_
                                        ; -- End function
	.section	.AMDGPU.csdata,"",@progbits
; Kernel info:
; codeLenInByte = 4256
; NumSgprs: 42
; NumVgprs: 17
; NumAgprs: 0
; TotalNumVgprs: 17
; ScratchSize: 0
; MemoryBound: 0
; FloatMode: 240
; IeeeMode: 1
; LDSByteSize: 4224 bytes/workgroup (compile time only)
; SGPRBlocks: 5
; VGPRBlocks: 2
; NumSGPRsForWavesPerEU: 42
; NumVGPRsForWavesPerEU: 17
; AccumOffset: 20
; Occupancy: 8
; WaveLimiterHint : 1
; COMPUTE_PGM_RSRC2:SCRATCH_EN: 0
; COMPUTE_PGM_RSRC2:USER_SGPR: 6
; COMPUTE_PGM_RSRC2:TRAP_HANDLER: 0
; COMPUTE_PGM_RSRC2:TGID_X_EN: 1
; COMPUTE_PGM_RSRC2:TGID_Y_EN: 0
; COMPUTE_PGM_RSRC2:TGID_Z_EN: 0
; COMPUTE_PGM_RSRC2:TIDIG_COMP_CNT: 0
; COMPUTE_PGM_RSRC3_GFX90A:ACCUM_OFFSET: 4
; COMPUTE_PGM_RSRC3_GFX90A:TG_SPLIT: 0
	.section	.text._ZN7rocprim17ROCPRIM_400000_NS6detail17trampoline_kernelINS0_14default_configENS1_35adjacent_difference_config_selectorILb0ElEEZNS1_24adjacent_difference_implIS3_Lb0ELb0EPlS7_ZN2at6native12_GLOBAL__N_124unique_dim_cuda_templateIiEESt5tupleIJNS8_6TensorESD_SD_EERKSD_lbbbEUlllE1_EE10hipError_tPvRmT2_T3_mT4_P12ihipStream_tbEUlT_E_NS1_11comp_targetILNS1_3genE3ELNS1_11target_archE908ELNS1_3gpuE7ELNS1_3repE0EEENS1_30default_config_static_selectorELNS0_4arch9wavefront6targetE1EEEvT1_,"axG",@progbits,_ZN7rocprim17ROCPRIM_400000_NS6detail17trampoline_kernelINS0_14default_configENS1_35adjacent_difference_config_selectorILb0ElEEZNS1_24adjacent_difference_implIS3_Lb0ELb0EPlS7_ZN2at6native12_GLOBAL__N_124unique_dim_cuda_templateIiEESt5tupleIJNS8_6TensorESD_SD_EERKSD_lbbbEUlllE1_EE10hipError_tPvRmT2_T3_mT4_P12ihipStream_tbEUlT_E_NS1_11comp_targetILNS1_3genE3ELNS1_11target_archE908ELNS1_3gpuE7ELNS1_3repE0EEENS1_30default_config_static_selectorELNS0_4arch9wavefront6targetE1EEEvT1_,comdat
	.globl	_ZN7rocprim17ROCPRIM_400000_NS6detail17trampoline_kernelINS0_14default_configENS1_35adjacent_difference_config_selectorILb0ElEEZNS1_24adjacent_difference_implIS3_Lb0ELb0EPlS7_ZN2at6native12_GLOBAL__N_124unique_dim_cuda_templateIiEESt5tupleIJNS8_6TensorESD_SD_EERKSD_lbbbEUlllE1_EE10hipError_tPvRmT2_T3_mT4_P12ihipStream_tbEUlT_E_NS1_11comp_targetILNS1_3genE3ELNS1_11target_archE908ELNS1_3gpuE7ELNS1_3repE0EEENS1_30default_config_static_selectorELNS0_4arch9wavefront6targetE1EEEvT1_ ; -- Begin function _ZN7rocprim17ROCPRIM_400000_NS6detail17trampoline_kernelINS0_14default_configENS1_35adjacent_difference_config_selectorILb0ElEEZNS1_24adjacent_difference_implIS3_Lb0ELb0EPlS7_ZN2at6native12_GLOBAL__N_124unique_dim_cuda_templateIiEESt5tupleIJNS8_6TensorESD_SD_EERKSD_lbbbEUlllE1_EE10hipError_tPvRmT2_T3_mT4_P12ihipStream_tbEUlT_E_NS1_11comp_targetILNS1_3genE3ELNS1_11target_archE908ELNS1_3gpuE7ELNS1_3repE0EEENS1_30default_config_static_selectorELNS0_4arch9wavefront6targetE1EEEvT1_
	.p2align	8
	.type	_ZN7rocprim17ROCPRIM_400000_NS6detail17trampoline_kernelINS0_14default_configENS1_35adjacent_difference_config_selectorILb0ElEEZNS1_24adjacent_difference_implIS3_Lb0ELb0EPlS7_ZN2at6native12_GLOBAL__N_124unique_dim_cuda_templateIiEESt5tupleIJNS8_6TensorESD_SD_EERKSD_lbbbEUlllE1_EE10hipError_tPvRmT2_T3_mT4_P12ihipStream_tbEUlT_E_NS1_11comp_targetILNS1_3genE3ELNS1_11target_archE908ELNS1_3gpuE7ELNS1_3repE0EEENS1_30default_config_static_selectorELNS0_4arch9wavefront6targetE1EEEvT1_,@function
_ZN7rocprim17ROCPRIM_400000_NS6detail17trampoline_kernelINS0_14default_configENS1_35adjacent_difference_config_selectorILb0ElEEZNS1_24adjacent_difference_implIS3_Lb0ELb0EPlS7_ZN2at6native12_GLOBAL__N_124unique_dim_cuda_templateIiEESt5tupleIJNS8_6TensorESD_SD_EERKSD_lbbbEUlllE1_EE10hipError_tPvRmT2_T3_mT4_P12ihipStream_tbEUlT_E_NS1_11comp_targetILNS1_3genE3ELNS1_11target_archE908ELNS1_3gpuE7ELNS1_3repE0EEENS1_30default_config_static_selectorELNS0_4arch9wavefront6targetE1EEEvT1_: ; @_ZN7rocprim17ROCPRIM_400000_NS6detail17trampoline_kernelINS0_14default_configENS1_35adjacent_difference_config_selectorILb0ElEEZNS1_24adjacent_difference_implIS3_Lb0ELb0EPlS7_ZN2at6native12_GLOBAL__N_124unique_dim_cuda_templateIiEESt5tupleIJNS8_6TensorESD_SD_EERKSD_lbbbEUlllE1_EE10hipError_tPvRmT2_T3_mT4_P12ihipStream_tbEUlT_E_NS1_11comp_targetILNS1_3genE3ELNS1_11target_archE908ELNS1_3gpuE7ELNS1_3repE0EEENS1_30default_config_static_selectorELNS0_4arch9wavefront6targetE1EEEvT1_
; %bb.0:
	.section	.rodata,"a",@progbits
	.p2align	6, 0x0
	.amdhsa_kernel _ZN7rocprim17ROCPRIM_400000_NS6detail17trampoline_kernelINS0_14default_configENS1_35adjacent_difference_config_selectorILb0ElEEZNS1_24adjacent_difference_implIS3_Lb0ELb0EPlS7_ZN2at6native12_GLOBAL__N_124unique_dim_cuda_templateIiEESt5tupleIJNS8_6TensorESD_SD_EERKSD_lbbbEUlllE1_EE10hipError_tPvRmT2_T3_mT4_P12ihipStream_tbEUlT_E_NS1_11comp_targetILNS1_3genE3ELNS1_11target_archE908ELNS1_3gpuE7ELNS1_3repE0EEENS1_30default_config_static_selectorELNS0_4arch9wavefront6targetE1EEEvT1_
		.amdhsa_group_segment_fixed_size 0
		.amdhsa_private_segment_fixed_size 0
		.amdhsa_kernarg_size 64
		.amdhsa_user_sgpr_count 6
		.amdhsa_user_sgpr_private_segment_buffer 1
		.amdhsa_user_sgpr_dispatch_ptr 0
		.amdhsa_user_sgpr_queue_ptr 0
		.amdhsa_user_sgpr_kernarg_segment_ptr 1
		.amdhsa_user_sgpr_dispatch_id 0
		.amdhsa_user_sgpr_flat_scratch_init 0
		.amdhsa_user_sgpr_kernarg_preload_length 0
		.amdhsa_user_sgpr_kernarg_preload_offset 0
		.amdhsa_user_sgpr_private_segment_size 0
		.amdhsa_uses_dynamic_stack 0
		.amdhsa_system_sgpr_private_segment_wavefront_offset 0
		.amdhsa_system_sgpr_workgroup_id_x 1
		.amdhsa_system_sgpr_workgroup_id_y 0
		.amdhsa_system_sgpr_workgroup_id_z 0
		.amdhsa_system_sgpr_workgroup_info 0
		.amdhsa_system_vgpr_workitem_id 0
		.amdhsa_next_free_vgpr 1
		.amdhsa_next_free_sgpr 0
		.amdhsa_accum_offset 4
		.amdhsa_reserve_vcc 0
		.amdhsa_reserve_flat_scratch 0
		.amdhsa_float_round_mode_32 0
		.amdhsa_float_round_mode_16_64 0
		.amdhsa_float_denorm_mode_32 3
		.amdhsa_float_denorm_mode_16_64 3
		.amdhsa_dx10_clamp 1
		.amdhsa_ieee_mode 1
		.amdhsa_fp16_overflow 0
		.amdhsa_tg_split 0
		.amdhsa_exception_fp_ieee_invalid_op 0
		.amdhsa_exception_fp_denorm_src 0
		.amdhsa_exception_fp_ieee_div_zero 0
		.amdhsa_exception_fp_ieee_overflow 0
		.amdhsa_exception_fp_ieee_underflow 0
		.amdhsa_exception_fp_ieee_inexact 0
		.amdhsa_exception_int_div_zero 0
	.end_amdhsa_kernel
	.section	.text._ZN7rocprim17ROCPRIM_400000_NS6detail17trampoline_kernelINS0_14default_configENS1_35adjacent_difference_config_selectorILb0ElEEZNS1_24adjacent_difference_implIS3_Lb0ELb0EPlS7_ZN2at6native12_GLOBAL__N_124unique_dim_cuda_templateIiEESt5tupleIJNS8_6TensorESD_SD_EERKSD_lbbbEUlllE1_EE10hipError_tPvRmT2_T3_mT4_P12ihipStream_tbEUlT_E_NS1_11comp_targetILNS1_3genE3ELNS1_11target_archE908ELNS1_3gpuE7ELNS1_3repE0EEENS1_30default_config_static_selectorELNS0_4arch9wavefront6targetE1EEEvT1_,"axG",@progbits,_ZN7rocprim17ROCPRIM_400000_NS6detail17trampoline_kernelINS0_14default_configENS1_35adjacent_difference_config_selectorILb0ElEEZNS1_24adjacent_difference_implIS3_Lb0ELb0EPlS7_ZN2at6native12_GLOBAL__N_124unique_dim_cuda_templateIiEESt5tupleIJNS8_6TensorESD_SD_EERKSD_lbbbEUlllE1_EE10hipError_tPvRmT2_T3_mT4_P12ihipStream_tbEUlT_E_NS1_11comp_targetILNS1_3genE3ELNS1_11target_archE908ELNS1_3gpuE7ELNS1_3repE0EEENS1_30default_config_static_selectorELNS0_4arch9wavefront6targetE1EEEvT1_,comdat
.Lfunc_end420:
	.size	_ZN7rocprim17ROCPRIM_400000_NS6detail17trampoline_kernelINS0_14default_configENS1_35adjacent_difference_config_selectorILb0ElEEZNS1_24adjacent_difference_implIS3_Lb0ELb0EPlS7_ZN2at6native12_GLOBAL__N_124unique_dim_cuda_templateIiEESt5tupleIJNS8_6TensorESD_SD_EERKSD_lbbbEUlllE1_EE10hipError_tPvRmT2_T3_mT4_P12ihipStream_tbEUlT_E_NS1_11comp_targetILNS1_3genE3ELNS1_11target_archE908ELNS1_3gpuE7ELNS1_3repE0EEENS1_30default_config_static_selectorELNS0_4arch9wavefront6targetE1EEEvT1_, .Lfunc_end420-_ZN7rocprim17ROCPRIM_400000_NS6detail17trampoline_kernelINS0_14default_configENS1_35adjacent_difference_config_selectorILb0ElEEZNS1_24adjacent_difference_implIS3_Lb0ELb0EPlS7_ZN2at6native12_GLOBAL__N_124unique_dim_cuda_templateIiEESt5tupleIJNS8_6TensorESD_SD_EERKSD_lbbbEUlllE1_EE10hipError_tPvRmT2_T3_mT4_P12ihipStream_tbEUlT_E_NS1_11comp_targetILNS1_3genE3ELNS1_11target_archE908ELNS1_3gpuE7ELNS1_3repE0EEENS1_30default_config_static_selectorELNS0_4arch9wavefront6targetE1EEEvT1_
                                        ; -- End function
	.section	.AMDGPU.csdata,"",@progbits
; Kernel info:
; codeLenInByte = 0
; NumSgprs: 4
; NumVgprs: 0
; NumAgprs: 0
; TotalNumVgprs: 0
; ScratchSize: 0
; MemoryBound: 0
; FloatMode: 240
; IeeeMode: 1
; LDSByteSize: 0 bytes/workgroup (compile time only)
; SGPRBlocks: 0
; VGPRBlocks: 0
; NumSGPRsForWavesPerEU: 4
; NumVGPRsForWavesPerEU: 1
; AccumOffset: 4
; Occupancy: 8
; WaveLimiterHint : 0
; COMPUTE_PGM_RSRC2:SCRATCH_EN: 0
; COMPUTE_PGM_RSRC2:USER_SGPR: 6
; COMPUTE_PGM_RSRC2:TRAP_HANDLER: 0
; COMPUTE_PGM_RSRC2:TGID_X_EN: 1
; COMPUTE_PGM_RSRC2:TGID_Y_EN: 0
; COMPUTE_PGM_RSRC2:TGID_Z_EN: 0
; COMPUTE_PGM_RSRC2:TIDIG_COMP_CNT: 0
; COMPUTE_PGM_RSRC3_GFX90A:ACCUM_OFFSET: 0
; COMPUTE_PGM_RSRC3_GFX90A:TG_SPLIT: 0
	.section	.text._ZN7rocprim17ROCPRIM_400000_NS6detail17trampoline_kernelINS0_14default_configENS1_35adjacent_difference_config_selectorILb0ElEEZNS1_24adjacent_difference_implIS3_Lb0ELb0EPlS7_ZN2at6native12_GLOBAL__N_124unique_dim_cuda_templateIiEESt5tupleIJNS8_6TensorESD_SD_EERKSD_lbbbEUlllE1_EE10hipError_tPvRmT2_T3_mT4_P12ihipStream_tbEUlT_E_NS1_11comp_targetILNS1_3genE2ELNS1_11target_archE906ELNS1_3gpuE6ELNS1_3repE0EEENS1_30default_config_static_selectorELNS0_4arch9wavefront6targetE1EEEvT1_,"axG",@progbits,_ZN7rocprim17ROCPRIM_400000_NS6detail17trampoline_kernelINS0_14default_configENS1_35adjacent_difference_config_selectorILb0ElEEZNS1_24adjacent_difference_implIS3_Lb0ELb0EPlS7_ZN2at6native12_GLOBAL__N_124unique_dim_cuda_templateIiEESt5tupleIJNS8_6TensorESD_SD_EERKSD_lbbbEUlllE1_EE10hipError_tPvRmT2_T3_mT4_P12ihipStream_tbEUlT_E_NS1_11comp_targetILNS1_3genE2ELNS1_11target_archE906ELNS1_3gpuE6ELNS1_3repE0EEENS1_30default_config_static_selectorELNS0_4arch9wavefront6targetE1EEEvT1_,comdat
	.globl	_ZN7rocprim17ROCPRIM_400000_NS6detail17trampoline_kernelINS0_14default_configENS1_35adjacent_difference_config_selectorILb0ElEEZNS1_24adjacent_difference_implIS3_Lb0ELb0EPlS7_ZN2at6native12_GLOBAL__N_124unique_dim_cuda_templateIiEESt5tupleIJNS8_6TensorESD_SD_EERKSD_lbbbEUlllE1_EE10hipError_tPvRmT2_T3_mT4_P12ihipStream_tbEUlT_E_NS1_11comp_targetILNS1_3genE2ELNS1_11target_archE906ELNS1_3gpuE6ELNS1_3repE0EEENS1_30default_config_static_selectorELNS0_4arch9wavefront6targetE1EEEvT1_ ; -- Begin function _ZN7rocprim17ROCPRIM_400000_NS6detail17trampoline_kernelINS0_14default_configENS1_35adjacent_difference_config_selectorILb0ElEEZNS1_24adjacent_difference_implIS3_Lb0ELb0EPlS7_ZN2at6native12_GLOBAL__N_124unique_dim_cuda_templateIiEESt5tupleIJNS8_6TensorESD_SD_EERKSD_lbbbEUlllE1_EE10hipError_tPvRmT2_T3_mT4_P12ihipStream_tbEUlT_E_NS1_11comp_targetILNS1_3genE2ELNS1_11target_archE906ELNS1_3gpuE6ELNS1_3repE0EEENS1_30default_config_static_selectorELNS0_4arch9wavefront6targetE1EEEvT1_
	.p2align	8
	.type	_ZN7rocprim17ROCPRIM_400000_NS6detail17trampoline_kernelINS0_14default_configENS1_35adjacent_difference_config_selectorILb0ElEEZNS1_24adjacent_difference_implIS3_Lb0ELb0EPlS7_ZN2at6native12_GLOBAL__N_124unique_dim_cuda_templateIiEESt5tupleIJNS8_6TensorESD_SD_EERKSD_lbbbEUlllE1_EE10hipError_tPvRmT2_T3_mT4_P12ihipStream_tbEUlT_E_NS1_11comp_targetILNS1_3genE2ELNS1_11target_archE906ELNS1_3gpuE6ELNS1_3repE0EEENS1_30default_config_static_selectorELNS0_4arch9wavefront6targetE1EEEvT1_,@function
_ZN7rocprim17ROCPRIM_400000_NS6detail17trampoline_kernelINS0_14default_configENS1_35adjacent_difference_config_selectorILb0ElEEZNS1_24adjacent_difference_implIS3_Lb0ELb0EPlS7_ZN2at6native12_GLOBAL__N_124unique_dim_cuda_templateIiEESt5tupleIJNS8_6TensorESD_SD_EERKSD_lbbbEUlllE1_EE10hipError_tPvRmT2_T3_mT4_P12ihipStream_tbEUlT_E_NS1_11comp_targetILNS1_3genE2ELNS1_11target_archE906ELNS1_3gpuE6ELNS1_3repE0EEENS1_30default_config_static_selectorELNS0_4arch9wavefront6targetE1EEEvT1_: ; @_ZN7rocprim17ROCPRIM_400000_NS6detail17trampoline_kernelINS0_14default_configENS1_35adjacent_difference_config_selectorILb0ElEEZNS1_24adjacent_difference_implIS3_Lb0ELb0EPlS7_ZN2at6native12_GLOBAL__N_124unique_dim_cuda_templateIiEESt5tupleIJNS8_6TensorESD_SD_EERKSD_lbbbEUlllE1_EE10hipError_tPvRmT2_T3_mT4_P12ihipStream_tbEUlT_E_NS1_11comp_targetILNS1_3genE2ELNS1_11target_archE906ELNS1_3gpuE6ELNS1_3repE0EEENS1_30default_config_static_selectorELNS0_4arch9wavefront6targetE1EEEvT1_
; %bb.0:
	.section	.rodata,"a",@progbits
	.p2align	6, 0x0
	.amdhsa_kernel _ZN7rocprim17ROCPRIM_400000_NS6detail17trampoline_kernelINS0_14default_configENS1_35adjacent_difference_config_selectorILb0ElEEZNS1_24adjacent_difference_implIS3_Lb0ELb0EPlS7_ZN2at6native12_GLOBAL__N_124unique_dim_cuda_templateIiEESt5tupleIJNS8_6TensorESD_SD_EERKSD_lbbbEUlllE1_EE10hipError_tPvRmT2_T3_mT4_P12ihipStream_tbEUlT_E_NS1_11comp_targetILNS1_3genE2ELNS1_11target_archE906ELNS1_3gpuE6ELNS1_3repE0EEENS1_30default_config_static_selectorELNS0_4arch9wavefront6targetE1EEEvT1_
		.amdhsa_group_segment_fixed_size 0
		.amdhsa_private_segment_fixed_size 0
		.amdhsa_kernarg_size 64
		.amdhsa_user_sgpr_count 6
		.amdhsa_user_sgpr_private_segment_buffer 1
		.amdhsa_user_sgpr_dispatch_ptr 0
		.amdhsa_user_sgpr_queue_ptr 0
		.amdhsa_user_sgpr_kernarg_segment_ptr 1
		.amdhsa_user_sgpr_dispatch_id 0
		.amdhsa_user_sgpr_flat_scratch_init 0
		.amdhsa_user_sgpr_kernarg_preload_length 0
		.amdhsa_user_sgpr_kernarg_preload_offset 0
		.amdhsa_user_sgpr_private_segment_size 0
		.amdhsa_uses_dynamic_stack 0
		.amdhsa_system_sgpr_private_segment_wavefront_offset 0
		.amdhsa_system_sgpr_workgroup_id_x 1
		.amdhsa_system_sgpr_workgroup_id_y 0
		.amdhsa_system_sgpr_workgroup_id_z 0
		.amdhsa_system_sgpr_workgroup_info 0
		.amdhsa_system_vgpr_workitem_id 0
		.amdhsa_next_free_vgpr 1
		.amdhsa_next_free_sgpr 0
		.amdhsa_accum_offset 4
		.amdhsa_reserve_vcc 0
		.amdhsa_reserve_flat_scratch 0
		.amdhsa_float_round_mode_32 0
		.amdhsa_float_round_mode_16_64 0
		.amdhsa_float_denorm_mode_32 3
		.amdhsa_float_denorm_mode_16_64 3
		.amdhsa_dx10_clamp 1
		.amdhsa_ieee_mode 1
		.amdhsa_fp16_overflow 0
		.amdhsa_tg_split 0
		.amdhsa_exception_fp_ieee_invalid_op 0
		.amdhsa_exception_fp_denorm_src 0
		.amdhsa_exception_fp_ieee_div_zero 0
		.amdhsa_exception_fp_ieee_overflow 0
		.amdhsa_exception_fp_ieee_underflow 0
		.amdhsa_exception_fp_ieee_inexact 0
		.amdhsa_exception_int_div_zero 0
	.end_amdhsa_kernel
	.section	.text._ZN7rocprim17ROCPRIM_400000_NS6detail17trampoline_kernelINS0_14default_configENS1_35adjacent_difference_config_selectorILb0ElEEZNS1_24adjacent_difference_implIS3_Lb0ELb0EPlS7_ZN2at6native12_GLOBAL__N_124unique_dim_cuda_templateIiEESt5tupleIJNS8_6TensorESD_SD_EERKSD_lbbbEUlllE1_EE10hipError_tPvRmT2_T3_mT4_P12ihipStream_tbEUlT_E_NS1_11comp_targetILNS1_3genE2ELNS1_11target_archE906ELNS1_3gpuE6ELNS1_3repE0EEENS1_30default_config_static_selectorELNS0_4arch9wavefront6targetE1EEEvT1_,"axG",@progbits,_ZN7rocprim17ROCPRIM_400000_NS6detail17trampoline_kernelINS0_14default_configENS1_35adjacent_difference_config_selectorILb0ElEEZNS1_24adjacent_difference_implIS3_Lb0ELb0EPlS7_ZN2at6native12_GLOBAL__N_124unique_dim_cuda_templateIiEESt5tupleIJNS8_6TensorESD_SD_EERKSD_lbbbEUlllE1_EE10hipError_tPvRmT2_T3_mT4_P12ihipStream_tbEUlT_E_NS1_11comp_targetILNS1_3genE2ELNS1_11target_archE906ELNS1_3gpuE6ELNS1_3repE0EEENS1_30default_config_static_selectorELNS0_4arch9wavefront6targetE1EEEvT1_,comdat
.Lfunc_end421:
	.size	_ZN7rocprim17ROCPRIM_400000_NS6detail17trampoline_kernelINS0_14default_configENS1_35adjacent_difference_config_selectorILb0ElEEZNS1_24adjacent_difference_implIS3_Lb0ELb0EPlS7_ZN2at6native12_GLOBAL__N_124unique_dim_cuda_templateIiEESt5tupleIJNS8_6TensorESD_SD_EERKSD_lbbbEUlllE1_EE10hipError_tPvRmT2_T3_mT4_P12ihipStream_tbEUlT_E_NS1_11comp_targetILNS1_3genE2ELNS1_11target_archE906ELNS1_3gpuE6ELNS1_3repE0EEENS1_30default_config_static_selectorELNS0_4arch9wavefront6targetE1EEEvT1_, .Lfunc_end421-_ZN7rocprim17ROCPRIM_400000_NS6detail17trampoline_kernelINS0_14default_configENS1_35adjacent_difference_config_selectorILb0ElEEZNS1_24adjacent_difference_implIS3_Lb0ELb0EPlS7_ZN2at6native12_GLOBAL__N_124unique_dim_cuda_templateIiEESt5tupleIJNS8_6TensorESD_SD_EERKSD_lbbbEUlllE1_EE10hipError_tPvRmT2_T3_mT4_P12ihipStream_tbEUlT_E_NS1_11comp_targetILNS1_3genE2ELNS1_11target_archE906ELNS1_3gpuE6ELNS1_3repE0EEENS1_30default_config_static_selectorELNS0_4arch9wavefront6targetE1EEEvT1_
                                        ; -- End function
	.section	.AMDGPU.csdata,"",@progbits
; Kernel info:
; codeLenInByte = 0
; NumSgprs: 4
; NumVgprs: 0
; NumAgprs: 0
; TotalNumVgprs: 0
; ScratchSize: 0
; MemoryBound: 0
; FloatMode: 240
; IeeeMode: 1
; LDSByteSize: 0 bytes/workgroup (compile time only)
; SGPRBlocks: 0
; VGPRBlocks: 0
; NumSGPRsForWavesPerEU: 4
; NumVGPRsForWavesPerEU: 1
; AccumOffset: 4
; Occupancy: 8
; WaveLimiterHint : 0
; COMPUTE_PGM_RSRC2:SCRATCH_EN: 0
; COMPUTE_PGM_RSRC2:USER_SGPR: 6
; COMPUTE_PGM_RSRC2:TRAP_HANDLER: 0
; COMPUTE_PGM_RSRC2:TGID_X_EN: 1
; COMPUTE_PGM_RSRC2:TGID_Y_EN: 0
; COMPUTE_PGM_RSRC2:TGID_Z_EN: 0
; COMPUTE_PGM_RSRC2:TIDIG_COMP_CNT: 0
; COMPUTE_PGM_RSRC3_GFX90A:ACCUM_OFFSET: 0
; COMPUTE_PGM_RSRC3_GFX90A:TG_SPLIT: 0
	.section	.text._ZN7rocprim17ROCPRIM_400000_NS6detail17trampoline_kernelINS0_14default_configENS1_35adjacent_difference_config_selectorILb0ElEEZNS1_24adjacent_difference_implIS3_Lb0ELb0EPlS7_ZN2at6native12_GLOBAL__N_124unique_dim_cuda_templateIiEESt5tupleIJNS8_6TensorESD_SD_EERKSD_lbbbEUlllE1_EE10hipError_tPvRmT2_T3_mT4_P12ihipStream_tbEUlT_E_NS1_11comp_targetILNS1_3genE9ELNS1_11target_archE1100ELNS1_3gpuE3ELNS1_3repE0EEENS1_30default_config_static_selectorELNS0_4arch9wavefront6targetE1EEEvT1_,"axG",@progbits,_ZN7rocprim17ROCPRIM_400000_NS6detail17trampoline_kernelINS0_14default_configENS1_35adjacent_difference_config_selectorILb0ElEEZNS1_24adjacent_difference_implIS3_Lb0ELb0EPlS7_ZN2at6native12_GLOBAL__N_124unique_dim_cuda_templateIiEESt5tupleIJNS8_6TensorESD_SD_EERKSD_lbbbEUlllE1_EE10hipError_tPvRmT2_T3_mT4_P12ihipStream_tbEUlT_E_NS1_11comp_targetILNS1_3genE9ELNS1_11target_archE1100ELNS1_3gpuE3ELNS1_3repE0EEENS1_30default_config_static_selectorELNS0_4arch9wavefront6targetE1EEEvT1_,comdat
	.globl	_ZN7rocprim17ROCPRIM_400000_NS6detail17trampoline_kernelINS0_14default_configENS1_35adjacent_difference_config_selectorILb0ElEEZNS1_24adjacent_difference_implIS3_Lb0ELb0EPlS7_ZN2at6native12_GLOBAL__N_124unique_dim_cuda_templateIiEESt5tupleIJNS8_6TensorESD_SD_EERKSD_lbbbEUlllE1_EE10hipError_tPvRmT2_T3_mT4_P12ihipStream_tbEUlT_E_NS1_11comp_targetILNS1_3genE9ELNS1_11target_archE1100ELNS1_3gpuE3ELNS1_3repE0EEENS1_30default_config_static_selectorELNS0_4arch9wavefront6targetE1EEEvT1_ ; -- Begin function _ZN7rocprim17ROCPRIM_400000_NS6detail17trampoline_kernelINS0_14default_configENS1_35adjacent_difference_config_selectorILb0ElEEZNS1_24adjacent_difference_implIS3_Lb0ELb0EPlS7_ZN2at6native12_GLOBAL__N_124unique_dim_cuda_templateIiEESt5tupleIJNS8_6TensorESD_SD_EERKSD_lbbbEUlllE1_EE10hipError_tPvRmT2_T3_mT4_P12ihipStream_tbEUlT_E_NS1_11comp_targetILNS1_3genE9ELNS1_11target_archE1100ELNS1_3gpuE3ELNS1_3repE0EEENS1_30default_config_static_selectorELNS0_4arch9wavefront6targetE1EEEvT1_
	.p2align	8
	.type	_ZN7rocprim17ROCPRIM_400000_NS6detail17trampoline_kernelINS0_14default_configENS1_35adjacent_difference_config_selectorILb0ElEEZNS1_24adjacent_difference_implIS3_Lb0ELb0EPlS7_ZN2at6native12_GLOBAL__N_124unique_dim_cuda_templateIiEESt5tupleIJNS8_6TensorESD_SD_EERKSD_lbbbEUlllE1_EE10hipError_tPvRmT2_T3_mT4_P12ihipStream_tbEUlT_E_NS1_11comp_targetILNS1_3genE9ELNS1_11target_archE1100ELNS1_3gpuE3ELNS1_3repE0EEENS1_30default_config_static_selectorELNS0_4arch9wavefront6targetE1EEEvT1_,@function
_ZN7rocprim17ROCPRIM_400000_NS6detail17trampoline_kernelINS0_14default_configENS1_35adjacent_difference_config_selectorILb0ElEEZNS1_24adjacent_difference_implIS3_Lb0ELb0EPlS7_ZN2at6native12_GLOBAL__N_124unique_dim_cuda_templateIiEESt5tupleIJNS8_6TensorESD_SD_EERKSD_lbbbEUlllE1_EE10hipError_tPvRmT2_T3_mT4_P12ihipStream_tbEUlT_E_NS1_11comp_targetILNS1_3genE9ELNS1_11target_archE1100ELNS1_3gpuE3ELNS1_3repE0EEENS1_30default_config_static_selectorELNS0_4arch9wavefront6targetE1EEEvT1_: ; @_ZN7rocprim17ROCPRIM_400000_NS6detail17trampoline_kernelINS0_14default_configENS1_35adjacent_difference_config_selectorILb0ElEEZNS1_24adjacent_difference_implIS3_Lb0ELb0EPlS7_ZN2at6native12_GLOBAL__N_124unique_dim_cuda_templateIiEESt5tupleIJNS8_6TensorESD_SD_EERKSD_lbbbEUlllE1_EE10hipError_tPvRmT2_T3_mT4_P12ihipStream_tbEUlT_E_NS1_11comp_targetILNS1_3genE9ELNS1_11target_archE1100ELNS1_3gpuE3ELNS1_3repE0EEENS1_30default_config_static_selectorELNS0_4arch9wavefront6targetE1EEEvT1_
; %bb.0:
	.section	.rodata,"a",@progbits
	.p2align	6, 0x0
	.amdhsa_kernel _ZN7rocprim17ROCPRIM_400000_NS6detail17trampoline_kernelINS0_14default_configENS1_35adjacent_difference_config_selectorILb0ElEEZNS1_24adjacent_difference_implIS3_Lb0ELb0EPlS7_ZN2at6native12_GLOBAL__N_124unique_dim_cuda_templateIiEESt5tupleIJNS8_6TensorESD_SD_EERKSD_lbbbEUlllE1_EE10hipError_tPvRmT2_T3_mT4_P12ihipStream_tbEUlT_E_NS1_11comp_targetILNS1_3genE9ELNS1_11target_archE1100ELNS1_3gpuE3ELNS1_3repE0EEENS1_30default_config_static_selectorELNS0_4arch9wavefront6targetE1EEEvT1_
		.amdhsa_group_segment_fixed_size 0
		.amdhsa_private_segment_fixed_size 0
		.amdhsa_kernarg_size 64
		.amdhsa_user_sgpr_count 6
		.amdhsa_user_sgpr_private_segment_buffer 1
		.amdhsa_user_sgpr_dispatch_ptr 0
		.amdhsa_user_sgpr_queue_ptr 0
		.amdhsa_user_sgpr_kernarg_segment_ptr 1
		.amdhsa_user_sgpr_dispatch_id 0
		.amdhsa_user_sgpr_flat_scratch_init 0
		.amdhsa_user_sgpr_kernarg_preload_length 0
		.amdhsa_user_sgpr_kernarg_preload_offset 0
		.amdhsa_user_sgpr_private_segment_size 0
		.amdhsa_uses_dynamic_stack 0
		.amdhsa_system_sgpr_private_segment_wavefront_offset 0
		.amdhsa_system_sgpr_workgroup_id_x 1
		.amdhsa_system_sgpr_workgroup_id_y 0
		.amdhsa_system_sgpr_workgroup_id_z 0
		.amdhsa_system_sgpr_workgroup_info 0
		.amdhsa_system_vgpr_workitem_id 0
		.amdhsa_next_free_vgpr 1
		.amdhsa_next_free_sgpr 0
		.amdhsa_accum_offset 4
		.amdhsa_reserve_vcc 0
		.amdhsa_reserve_flat_scratch 0
		.amdhsa_float_round_mode_32 0
		.amdhsa_float_round_mode_16_64 0
		.amdhsa_float_denorm_mode_32 3
		.amdhsa_float_denorm_mode_16_64 3
		.amdhsa_dx10_clamp 1
		.amdhsa_ieee_mode 1
		.amdhsa_fp16_overflow 0
		.amdhsa_tg_split 0
		.amdhsa_exception_fp_ieee_invalid_op 0
		.amdhsa_exception_fp_denorm_src 0
		.amdhsa_exception_fp_ieee_div_zero 0
		.amdhsa_exception_fp_ieee_overflow 0
		.amdhsa_exception_fp_ieee_underflow 0
		.amdhsa_exception_fp_ieee_inexact 0
		.amdhsa_exception_int_div_zero 0
	.end_amdhsa_kernel
	.section	.text._ZN7rocprim17ROCPRIM_400000_NS6detail17trampoline_kernelINS0_14default_configENS1_35adjacent_difference_config_selectorILb0ElEEZNS1_24adjacent_difference_implIS3_Lb0ELb0EPlS7_ZN2at6native12_GLOBAL__N_124unique_dim_cuda_templateIiEESt5tupleIJNS8_6TensorESD_SD_EERKSD_lbbbEUlllE1_EE10hipError_tPvRmT2_T3_mT4_P12ihipStream_tbEUlT_E_NS1_11comp_targetILNS1_3genE9ELNS1_11target_archE1100ELNS1_3gpuE3ELNS1_3repE0EEENS1_30default_config_static_selectorELNS0_4arch9wavefront6targetE1EEEvT1_,"axG",@progbits,_ZN7rocprim17ROCPRIM_400000_NS6detail17trampoline_kernelINS0_14default_configENS1_35adjacent_difference_config_selectorILb0ElEEZNS1_24adjacent_difference_implIS3_Lb0ELb0EPlS7_ZN2at6native12_GLOBAL__N_124unique_dim_cuda_templateIiEESt5tupleIJNS8_6TensorESD_SD_EERKSD_lbbbEUlllE1_EE10hipError_tPvRmT2_T3_mT4_P12ihipStream_tbEUlT_E_NS1_11comp_targetILNS1_3genE9ELNS1_11target_archE1100ELNS1_3gpuE3ELNS1_3repE0EEENS1_30default_config_static_selectorELNS0_4arch9wavefront6targetE1EEEvT1_,comdat
.Lfunc_end422:
	.size	_ZN7rocprim17ROCPRIM_400000_NS6detail17trampoline_kernelINS0_14default_configENS1_35adjacent_difference_config_selectorILb0ElEEZNS1_24adjacent_difference_implIS3_Lb0ELb0EPlS7_ZN2at6native12_GLOBAL__N_124unique_dim_cuda_templateIiEESt5tupleIJNS8_6TensorESD_SD_EERKSD_lbbbEUlllE1_EE10hipError_tPvRmT2_T3_mT4_P12ihipStream_tbEUlT_E_NS1_11comp_targetILNS1_3genE9ELNS1_11target_archE1100ELNS1_3gpuE3ELNS1_3repE0EEENS1_30default_config_static_selectorELNS0_4arch9wavefront6targetE1EEEvT1_, .Lfunc_end422-_ZN7rocprim17ROCPRIM_400000_NS6detail17trampoline_kernelINS0_14default_configENS1_35adjacent_difference_config_selectorILb0ElEEZNS1_24adjacent_difference_implIS3_Lb0ELb0EPlS7_ZN2at6native12_GLOBAL__N_124unique_dim_cuda_templateIiEESt5tupleIJNS8_6TensorESD_SD_EERKSD_lbbbEUlllE1_EE10hipError_tPvRmT2_T3_mT4_P12ihipStream_tbEUlT_E_NS1_11comp_targetILNS1_3genE9ELNS1_11target_archE1100ELNS1_3gpuE3ELNS1_3repE0EEENS1_30default_config_static_selectorELNS0_4arch9wavefront6targetE1EEEvT1_
                                        ; -- End function
	.section	.AMDGPU.csdata,"",@progbits
; Kernel info:
; codeLenInByte = 0
; NumSgprs: 4
; NumVgprs: 0
; NumAgprs: 0
; TotalNumVgprs: 0
; ScratchSize: 0
; MemoryBound: 0
; FloatMode: 240
; IeeeMode: 1
; LDSByteSize: 0 bytes/workgroup (compile time only)
; SGPRBlocks: 0
; VGPRBlocks: 0
; NumSGPRsForWavesPerEU: 4
; NumVGPRsForWavesPerEU: 1
; AccumOffset: 4
; Occupancy: 8
; WaveLimiterHint : 0
; COMPUTE_PGM_RSRC2:SCRATCH_EN: 0
; COMPUTE_PGM_RSRC2:USER_SGPR: 6
; COMPUTE_PGM_RSRC2:TRAP_HANDLER: 0
; COMPUTE_PGM_RSRC2:TGID_X_EN: 1
; COMPUTE_PGM_RSRC2:TGID_Y_EN: 0
; COMPUTE_PGM_RSRC2:TGID_Z_EN: 0
; COMPUTE_PGM_RSRC2:TIDIG_COMP_CNT: 0
; COMPUTE_PGM_RSRC3_GFX90A:ACCUM_OFFSET: 0
; COMPUTE_PGM_RSRC3_GFX90A:TG_SPLIT: 0
	.section	.text._ZN7rocprim17ROCPRIM_400000_NS6detail17trampoline_kernelINS0_14default_configENS1_35adjacent_difference_config_selectorILb0ElEEZNS1_24adjacent_difference_implIS3_Lb0ELb0EPlS7_ZN2at6native12_GLOBAL__N_124unique_dim_cuda_templateIiEESt5tupleIJNS8_6TensorESD_SD_EERKSD_lbbbEUlllE1_EE10hipError_tPvRmT2_T3_mT4_P12ihipStream_tbEUlT_E_NS1_11comp_targetILNS1_3genE8ELNS1_11target_archE1030ELNS1_3gpuE2ELNS1_3repE0EEENS1_30default_config_static_selectorELNS0_4arch9wavefront6targetE1EEEvT1_,"axG",@progbits,_ZN7rocprim17ROCPRIM_400000_NS6detail17trampoline_kernelINS0_14default_configENS1_35adjacent_difference_config_selectorILb0ElEEZNS1_24adjacent_difference_implIS3_Lb0ELb0EPlS7_ZN2at6native12_GLOBAL__N_124unique_dim_cuda_templateIiEESt5tupleIJNS8_6TensorESD_SD_EERKSD_lbbbEUlllE1_EE10hipError_tPvRmT2_T3_mT4_P12ihipStream_tbEUlT_E_NS1_11comp_targetILNS1_3genE8ELNS1_11target_archE1030ELNS1_3gpuE2ELNS1_3repE0EEENS1_30default_config_static_selectorELNS0_4arch9wavefront6targetE1EEEvT1_,comdat
	.globl	_ZN7rocprim17ROCPRIM_400000_NS6detail17trampoline_kernelINS0_14default_configENS1_35adjacent_difference_config_selectorILb0ElEEZNS1_24adjacent_difference_implIS3_Lb0ELb0EPlS7_ZN2at6native12_GLOBAL__N_124unique_dim_cuda_templateIiEESt5tupleIJNS8_6TensorESD_SD_EERKSD_lbbbEUlllE1_EE10hipError_tPvRmT2_T3_mT4_P12ihipStream_tbEUlT_E_NS1_11comp_targetILNS1_3genE8ELNS1_11target_archE1030ELNS1_3gpuE2ELNS1_3repE0EEENS1_30default_config_static_selectorELNS0_4arch9wavefront6targetE1EEEvT1_ ; -- Begin function _ZN7rocprim17ROCPRIM_400000_NS6detail17trampoline_kernelINS0_14default_configENS1_35adjacent_difference_config_selectorILb0ElEEZNS1_24adjacent_difference_implIS3_Lb0ELb0EPlS7_ZN2at6native12_GLOBAL__N_124unique_dim_cuda_templateIiEESt5tupleIJNS8_6TensorESD_SD_EERKSD_lbbbEUlllE1_EE10hipError_tPvRmT2_T3_mT4_P12ihipStream_tbEUlT_E_NS1_11comp_targetILNS1_3genE8ELNS1_11target_archE1030ELNS1_3gpuE2ELNS1_3repE0EEENS1_30default_config_static_selectorELNS0_4arch9wavefront6targetE1EEEvT1_
	.p2align	8
	.type	_ZN7rocprim17ROCPRIM_400000_NS6detail17trampoline_kernelINS0_14default_configENS1_35adjacent_difference_config_selectorILb0ElEEZNS1_24adjacent_difference_implIS3_Lb0ELb0EPlS7_ZN2at6native12_GLOBAL__N_124unique_dim_cuda_templateIiEESt5tupleIJNS8_6TensorESD_SD_EERKSD_lbbbEUlllE1_EE10hipError_tPvRmT2_T3_mT4_P12ihipStream_tbEUlT_E_NS1_11comp_targetILNS1_3genE8ELNS1_11target_archE1030ELNS1_3gpuE2ELNS1_3repE0EEENS1_30default_config_static_selectorELNS0_4arch9wavefront6targetE1EEEvT1_,@function
_ZN7rocprim17ROCPRIM_400000_NS6detail17trampoline_kernelINS0_14default_configENS1_35adjacent_difference_config_selectorILb0ElEEZNS1_24adjacent_difference_implIS3_Lb0ELb0EPlS7_ZN2at6native12_GLOBAL__N_124unique_dim_cuda_templateIiEESt5tupleIJNS8_6TensorESD_SD_EERKSD_lbbbEUlllE1_EE10hipError_tPvRmT2_T3_mT4_P12ihipStream_tbEUlT_E_NS1_11comp_targetILNS1_3genE8ELNS1_11target_archE1030ELNS1_3gpuE2ELNS1_3repE0EEENS1_30default_config_static_selectorELNS0_4arch9wavefront6targetE1EEEvT1_: ; @_ZN7rocprim17ROCPRIM_400000_NS6detail17trampoline_kernelINS0_14default_configENS1_35adjacent_difference_config_selectorILb0ElEEZNS1_24adjacent_difference_implIS3_Lb0ELb0EPlS7_ZN2at6native12_GLOBAL__N_124unique_dim_cuda_templateIiEESt5tupleIJNS8_6TensorESD_SD_EERKSD_lbbbEUlllE1_EE10hipError_tPvRmT2_T3_mT4_P12ihipStream_tbEUlT_E_NS1_11comp_targetILNS1_3genE8ELNS1_11target_archE1030ELNS1_3gpuE2ELNS1_3repE0EEENS1_30default_config_static_selectorELNS0_4arch9wavefront6targetE1EEEvT1_
; %bb.0:
	.section	.rodata,"a",@progbits
	.p2align	6, 0x0
	.amdhsa_kernel _ZN7rocprim17ROCPRIM_400000_NS6detail17trampoline_kernelINS0_14default_configENS1_35adjacent_difference_config_selectorILb0ElEEZNS1_24adjacent_difference_implIS3_Lb0ELb0EPlS7_ZN2at6native12_GLOBAL__N_124unique_dim_cuda_templateIiEESt5tupleIJNS8_6TensorESD_SD_EERKSD_lbbbEUlllE1_EE10hipError_tPvRmT2_T3_mT4_P12ihipStream_tbEUlT_E_NS1_11comp_targetILNS1_3genE8ELNS1_11target_archE1030ELNS1_3gpuE2ELNS1_3repE0EEENS1_30default_config_static_selectorELNS0_4arch9wavefront6targetE1EEEvT1_
		.amdhsa_group_segment_fixed_size 0
		.amdhsa_private_segment_fixed_size 0
		.amdhsa_kernarg_size 64
		.amdhsa_user_sgpr_count 6
		.amdhsa_user_sgpr_private_segment_buffer 1
		.amdhsa_user_sgpr_dispatch_ptr 0
		.amdhsa_user_sgpr_queue_ptr 0
		.amdhsa_user_sgpr_kernarg_segment_ptr 1
		.amdhsa_user_sgpr_dispatch_id 0
		.amdhsa_user_sgpr_flat_scratch_init 0
		.amdhsa_user_sgpr_kernarg_preload_length 0
		.amdhsa_user_sgpr_kernarg_preload_offset 0
		.amdhsa_user_sgpr_private_segment_size 0
		.amdhsa_uses_dynamic_stack 0
		.amdhsa_system_sgpr_private_segment_wavefront_offset 0
		.amdhsa_system_sgpr_workgroup_id_x 1
		.amdhsa_system_sgpr_workgroup_id_y 0
		.amdhsa_system_sgpr_workgroup_id_z 0
		.amdhsa_system_sgpr_workgroup_info 0
		.amdhsa_system_vgpr_workitem_id 0
		.amdhsa_next_free_vgpr 1
		.amdhsa_next_free_sgpr 0
		.amdhsa_accum_offset 4
		.amdhsa_reserve_vcc 0
		.amdhsa_reserve_flat_scratch 0
		.amdhsa_float_round_mode_32 0
		.amdhsa_float_round_mode_16_64 0
		.amdhsa_float_denorm_mode_32 3
		.amdhsa_float_denorm_mode_16_64 3
		.amdhsa_dx10_clamp 1
		.amdhsa_ieee_mode 1
		.amdhsa_fp16_overflow 0
		.amdhsa_tg_split 0
		.amdhsa_exception_fp_ieee_invalid_op 0
		.amdhsa_exception_fp_denorm_src 0
		.amdhsa_exception_fp_ieee_div_zero 0
		.amdhsa_exception_fp_ieee_overflow 0
		.amdhsa_exception_fp_ieee_underflow 0
		.amdhsa_exception_fp_ieee_inexact 0
		.amdhsa_exception_int_div_zero 0
	.end_amdhsa_kernel
	.section	.text._ZN7rocprim17ROCPRIM_400000_NS6detail17trampoline_kernelINS0_14default_configENS1_35adjacent_difference_config_selectorILb0ElEEZNS1_24adjacent_difference_implIS3_Lb0ELb0EPlS7_ZN2at6native12_GLOBAL__N_124unique_dim_cuda_templateIiEESt5tupleIJNS8_6TensorESD_SD_EERKSD_lbbbEUlllE1_EE10hipError_tPvRmT2_T3_mT4_P12ihipStream_tbEUlT_E_NS1_11comp_targetILNS1_3genE8ELNS1_11target_archE1030ELNS1_3gpuE2ELNS1_3repE0EEENS1_30default_config_static_selectorELNS0_4arch9wavefront6targetE1EEEvT1_,"axG",@progbits,_ZN7rocprim17ROCPRIM_400000_NS6detail17trampoline_kernelINS0_14default_configENS1_35adjacent_difference_config_selectorILb0ElEEZNS1_24adjacent_difference_implIS3_Lb0ELb0EPlS7_ZN2at6native12_GLOBAL__N_124unique_dim_cuda_templateIiEESt5tupleIJNS8_6TensorESD_SD_EERKSD_lbbbEUlllE1_EE10hipError_tPvRmT2_T3_mT4_P12ihipStream_tbEUlT_E_NS1_11comp_targetILNS1_3genE8ELNS1_11target_archE1030ELNS1_3gpuE2ELNS1_3repE0EEENS1_30default_config_static_selectorELNS0_4arch9wavefront6targetE1EEEvT1_,comdat
.Lfunc_end423:
	.size	_ZN7rocprim17ROCPRIM_400000_NS6detail17trampoline_kernelINS0_14default_configENS1_35adjacent_difference_config_selectorILb0ElEEZNS1_24adjacent_difference_implIS3_Lb0ELb0EPlS7_ZN2at6native12_GLOBAL__N_124unique_dim_cuda_templateIiEESt5tupleIJNS8_6TensorESD_SD_EERKSD_lbbbEUlllE1_EE10hipError_tPvRmT2_T3_mT4_P12ihipStream_tbEUlT_E_NS1_11comp_targetILNS1_3genE8ELNS1_11target_archE1030ELNS1_3gpuE2ELNS1_3repE0EEENS1_30default_config_static_selectorELNS0_4arch9wavefront6targetE1EEEvT1_, .Lfunc_end423-_ZN7rocprim17ROCPRIM_400000_NS6detail17trampoline_kernelINS0_14default_configENS1_35adjacent_difference_config_selectorILb0ElEEZNS1_24adjacent_difference_implIS3_Lb0ELb0EPlS7_ZN2at6native12_GLOBAL__N_124unique_dim_cuda_templateIiEESt5tupleIJNS8_6TensorESD_SD_EERKSD_lbbbEUlllE1_EE10hipError_tPvRmT2_T3_mT4_P12ihipStream_tbEUlT_E_NS1_11comp_targetILNS1_3genE8ELNS1_11target_archE1030ELNS1_3gpuE2ELNS1_3repE0EEENS1_30default_config_static_selectorELNS0_4arch9wavefront6targetE1EEEvT1_
                                        ; -- End function
	.section	.AMDGPU.csdata,"",@progbits
; Kernel info:
; codeLenInByte = 0
; NumSgprs: 4
; NumVgprs: 0
; NumAgprs: 0
; TotalNumVgprs: 0
; ScratchSize: 0
; MemoryBound: 0
; FloatMode: 240
; IeeeMode: 1
; LDSByteSize: 0 bytes/workgroup (compile time only)
; SGPRBlocks: 0
; VGPRBlocks: 0
; NumSGPRsForWavesPerEU: 4
; NumVGPRsForWavesPerEU: 1
; AccumOffset: 4
; Occupancy: 8
; WaveLimiterHint : 0
; COMPUTE_PGM_RSRC2:SCRATCH_EN: 0
; COMPUTE_PGM_RSRC2:USER_SGPR: 6
; COMPUTE_PGM_RSRC2:TRAP_HANDLER: 0
; COMPUTE_PGM_RSRC2:TGID_X_EN: 1
; COMPUTE_PGM_RSRC2:TGID_Y_EN: 0
; COMPUTE_PGM_RSRC2:TGID_Z_EN: 0
; COMPUTE_PGM_RSRC2:TIDIG_COMP_CNT: 0
; COMPUTE_PGM_RSRC3_GFX90A:ACCUM_OFFSET: 0
; COMPUTE_PGM_RSRC3_GFX90A:TG_SPLIT: 0
	.section	.text._ZN7rocprim17ROCPRIM_400000_NS6detail17trampoline_kernelINS0_14default_configENS1_25transform_config_selectorIlLb0EEEZNS1_14transform_implILb0ES3_S5_NS0_18transform_iteratorINS0_17counting_iteratorImlEEZNS1_24adjacent_difference_implIS3_Lb1ELb0EPlSB_ZN2at6native12_GLOBAL__N_124unique_dim_cuda_templateIiEESt5tupleIJNSC_6TensorESH_SH_EERKSH_lbbbEUlllE1_EE10hipError_tPvRmT2_T3_mT4_P12ihipStream_tbEUlmE_lEESB_NS0_8identityIvEEEESM_SP_SQ_mSR_ST_bEUlT_E_NS1_11comp_targetILNS1_3genE0ELNS1_11target_archE4294967295ELNS1_3gpuE0ELNS1_3repE0EEENS1_30default_config_static_selectorELNS0_4arch9wavefront6targetE1EEEvT1_,"axG",@progbits,_ZN7rocprim17ROCPRIM_400000_NS6detail17trampoline_kernelINS0_14default_configENS1_25transform_config_selectorIlLb0EEEZNS1_14transform_implILb0ES3_S5_NS0_18transform_iteratorINS0_17counting_iteratorImlEEZNS1_24adjacent_difference_implIS3_Lb1ELb0EPlSB_ZN2at6native12_GLOBAL__N_124unique_dim_cuda_templateIiEESt5tupleIJNSC_6TensorESH_SH_EERKSH_lbbbEUlllE1_EE10hipError_tPvRmT2_T3_mT4_P12ihipStream_tbEUlmE_lEESB_NS0_8identityIvEEEESM_SP_SQ_mSR_ST_bEUlT_E_NS1_11comp_targetILNS1_3genE0ELNS1_11target_archE4294967295ELNS1_3gpuE0ELNS1_3repE0EEENS1_30default_config_static_selectorELNS0_4arch9wavefront6targetE1EEEvT1_,comdat
	.globl	_ZN7rocprim17ROCPRIM_400000_NS6detail17trampoline_kernelINS0_14default_configENS1_25transform_config_selectorIlLb0EEEZNS1_14transform_implILb0ES3_S5_NS0_18transform_iteratorINS0_17counting_iteratorImlEEZNS1_24adjacent_difference_implIS3_Lb1ELb0EPlSB_ZN2at6native12_GLOBAL__N_124unique_dim_cuda_templateIiEESt5tupleIJNSC_6TensorESH_SH_EERKSH_lbbbEUlllE1_EE10hipError_tPvRmT2_T3_mT4_P12ihipStream_tbEUlmE_lEESB_NS0_8identityIvEEEESM_SP_SQ_mSR_ST_bEUlT_E_NS1_11comp_targetILNS1_3genE0ELNS1_11target_archE4294967295ELNS1_3gpuE0ELNS1_3repE0EEENS1_30default_config_static_selectorELNS0_4arch9wavefront6targetE1EEEvT1_ ; -- Begin function _ZN7rocprim17ROCPRIM_400000_NS6detail17trampoline_kernelINS0_14default_configENS1_25transform_config_selectorIlLb0EEEZNS1_14transform_implILb0ES3_S5_NS0_18transform_iteratorINS0_17counting_iteratorImlEEZNS1_24adjacent_difference_implIS3_Lb1ELb0EPlSB_ZN2at6native12_GLOBAL__N_124unique_dim_cuda_templateIiEESt5tupleIJNSC_6TensorESH_SH_EERKSH_lbbbEUlllE1_EE10hipError_tPvRmT2_T3_mT4_P12ihipStream_tbEUlmE_lEESB_NS0_8identityIvEEEESM_SP_SQ_mSR_ST_bEUlT_E_NS1_11comp_targetILNS1_3genE0ELNS1_11target_archE4294967295ELNS1_3gpuE0ELNS1_3repE0EEENS1_30default_config_static_selectorELNS0_4arch9wavefront6targetE1EEEvT1_
	.p2align	8
	.type	_ZN7rocprim17ROCPRIM_400000_NS6detail17trampoline_kernelINS0_14default_configENS1_25transform_config_selectorIlLb0EEEZNS1_14transform_implILb0ES3_S5_NS0_18transform_iteratorINS0_17counting_iteratorImlEEZNS1_24adjacent_difference_implIS3_Lb1ELb0EPlSB_ZN2at6native12_GLOBAL__N_124unique_dim_cuda_templateIiEESt5tupleIJNSC_6TensorESH_SH_EERKSH_lbbbEUlllE1_EE10hipError_tPvRmT2_T3_mT4_P12ihipStream_tbEUlmE_lEESB_NS0_8identityIvEEEESM_SP_SQ_mSR_ST_bEUlT_E_NS1_11comp_targetILNS1_3genE0ELNS1_11target_archE4294967295ELNS1_3gpuE0ELNS1_3repE0EEENS1_30default_config_static_selectorELNS0_4arch9wavefront6targetE1EEEvT1_,@function
_ZN7rocprim17ROCPRIM_400000_NS6detail17trampoline_kernelINS0_14default_configENS1_25transform_config_selectorIlLb0EEEZNS1_14transform_implILb0ES3_S5_NS0_18transform_iteratorINS0_17counting_iteratorImlEEZNS1_24adjacent_difference_implIS3_Lb1ELb0EPlSB_ZN2at6native12_GLOBAL__N_124unique_dim_cuda_templateIiEESt5tupleIJNSC_6TensorESH_SH_EERKSH_lbbbEUlllE1_EE10hipError_tPvRmT2_T3_mT4_P12ihipStream_tbEUlmE_lEESB_NS0_8identityIvEEEESM_SP_SQ_mSR_ST_bEUlT_E_NS1_11comp_targetILNS1_3genE0ELNS1_11target_archE4294967295ELNS1_3gpuE0ELNS1_3repE0EEENS1_30default_config_static_selectorELNS0_4arch9wavefront6targetE1EEEvT1_: ; @_ZN7rocprim17ROCPRIM_400000_NS6detail17trampoline_kernelINS0_14default_configENS1_25transform_config_selectorIlLb0EEEZNS1_14transform_implILb0ES3_S5_NS0_18transform_iteratorINS0_17counting_iteratorImlEEZNS1_24adjacent_difference_implIS3_Lb1ELb0EPlSB_ZN2at6native12_GLOBAL__N_124unique_dim_cuda_templateIiEESt5tupleIJNSC_6TensorESH_SH_EERKSH_lbbbEUlllE1_EE10hipError_tPvRmT2_T3_mT4_P12ihipStream_tbEUlmE_lEESB_NS0_8identityIvEEEESM_SP_SQ_mSR_ST_bEUlT_E_NS1_11comp_targetILNS1_3genE0ELNS1_11target_archE4294967295ELNS1_3gpuE0ELNS1_3repE0EEENS1_30default_config_static_selectorELNS0_4arch9wavefront6targetE1EEEvT1_
; %bb.0:
	.section	.rodata,"a",@progbits
	.p2align	6, 0x0
	.amdhsa_kernel _ZN7rocprim17ROCPRIM_400000_NS6detail17trampoline_kernelINS0_14default_configENS1_25transform_config_selectorIlLb0EEEZNS1_14transform_implILb0ES3_S5_NS0_18transform_iteratorINS0_17counting_iteratorImlEEZNS1_24adjacent_difference_implIS3_Lb1ELb0EPlSB_ZN2at6native12_GLOBAL__N_124unique_dim_cuda_templateIiEESt5tupleIJNSC_6TensorESH_SH_EERKSH_lbbbEUlllE1_EE10hipError_tPvRmT2_T3_mT4_P12ihipStream_tbEUlmE_lEESB_NS0_8identityIvEEEESM_SP_SQ_mSR_ST_bEUlT_E_NS1_11comp_targetILNS1_3genE0ELNS1_11target_archE4294967295ELNS1_3gpuE0ELNS1_3repE0EEENS1_30default_config_static_selectorELNS0_4arch9wavefront6targetE1EEEvT1_
		.amdhsa_group_segment_fixed_size 0
		.amdhsa_private_segment_fixed_size 0
		.amdhsa_kernarg_size 56
		.amdhsa_user_sgpr_count 6
		.amdhsa_user_sgpr_private_segment_buffer 1
		.amdhsa_user_sgpr_dispatch_ptr 0
		.amdhsa_user_sgpr_queue_ptr 0
		.amdhsa_user_sgpr_kernarg_segment_ptr 1
		.amdhsa_user_sgpr_dispatch_id 0
		.amdhsa_user_sgpr_flat_scratch_init 0
		.amdhsa_user_sgpr_kernarg_preload_length 0
		.amdhsa_user_sgpr_kernarg_preload_offset 0
		.amdhsa_user_sgpr_private_segment_size 0
		.amdhsa_uses_dynamic_stack 0
		.amdhsa_system_sgpr_private_segment_wavefront_offset 0
		.amdhsa_system_sgpr_workgroup_id_x 1
		.amdhsa_system_sgpr_workgroup_id_y 0
		.amdhsa_system_sgpr_workgroup_id_z 0
		.amdhsa_system_sgpr_workgroup_info 0
		.amdhsa_system_vgpr_workitem_id 0
		.amdhsa_next_free_vgpr 1
		.amdhsa_next_free_sgpr 0
		.amdhsa_accum_offset 4
		.amdhsa_reserve_vcc 0
		.amdhsa_reserve_flat_scratch 0
		.amdhsa_float_round_mode_32 0
		.amdhsa_float_round_mode_16_64 0
		.amdhsa_float_denorm_mode_32 3
		.amdhsa_float_denorm_mode_16_64 3
		.amdhsa_dx10_clamp 1
		.amdhsa_ieee_mode 1
		.amdhsa_fp16_overflow 0
		.amdhsa_tg_split 0
		.amdhsa_exception_fp_ieee_invalid_op 0
		.amdhsa_exception_fp_denorm_src 0
		.amdhsa_exception_fp_ieee_div_zero 0
		.amdhsa_exception_fp_ieee_overflow 0
		.amdhsa_exception_fp_ieee_underflow 0
		.amdhsa_exception_fp_ieee_inexact 0
		.amdhsa_exception_int_div_zero 0
	.end_amdhsa_kernel
	.section	.text._ZN7rocprim17ROCPRIM_400000_NS6detail17trampoline_kernelINS0_14default_configENS1_25transform_config_selectorIlLb0EEEZNS1_14transform_implILb0ES3_S5_NS0_18transform_iteratorINS0_17counting_iteratorImlEEZNS1_24adjacent_difference_implIS3_Lb1ELb0EPlSB_ZN2at6native12_GLOBAL__N_124unique_dim_cuda_templateIiEESt5tupleIJNSC_6TensorESH_SH_EERKSH_lbbbEUlllE1_EE10hipError_tPvRmT2_T3_mT4_P12ihipStream_tbEUlmE_lEESB_NS0_8identityIvEEEESM_SP_SQ_mSR_ST_bEUlT_E_NS1_11comp_targetILNS1_3genE0ELNS1_11target_archE4294967295ELNS1_3gpuE0ELNS1_3repE0EEENS1_30default_config_static_selectorELNS0_4arch9wavefront6targetE1EEEvT1_,"axG",@progbits,_ZN7rocprim17ROCPRIM_400000_NS6detail17trampoline_kernelINS0_14default_configENS1_25transform_config_selectorIlLb0EEEZNS1_14transform_implILb0ES3_S5_NS0_18transform_iteratorINS0_17counting_iteratorImlEEZNS1_24adjacent_difference_implIS3_Lb1ELb0EPlSB_ZN2at6native12_GLOBAL__N_124unique_dim_cuda_templateIiEESt5tupleIJNSC_6TensorESH_SH_EERKSH_lbbbEUlllE1_EE10hipError_tPvRmT2_T3_mT4_P12ihipStream_tbEUlmE_lEESB_NS0_8identityIvEEEESM_SP_SQ_mSR_ST_bEUlT_E_NS1_11comp_targetILNS1_3genE0ELNS1_11target_archE4294967295ELNS1_3gpuE0ELNS1_3repE0EEENS1_30default_config_static_selectorELNS0_4arch9wavefront6targetE1EEEvT1_,comdat
.Lfunc_end424:
	.size	_ZN7rocprim17ROCPRIM_400000_NS6detail17trampoline_kernelINS0_14default_configENS1_25transform_config_selectorIlLb0EEEZNS1_14transform_implILb0ES3_S5_NS0_18transform_iteratorINS0_17counting_iteratorImlEEZNS1_24adjacent_difference_implIS3_Lb1ELb0EPlSB_ZN2at6native12_GLOBAL__N_124unique_dim_cuda_templateIiEESt5tupleIJNSC_6TensorESH_SH_EERKSH_lbbbEUlllE1_EE10hipError_tPvRmT2_T3_mT4_P12ihipStream_tbEUlmE_lEESB_NS0_8identityIvEEEESM_SP_SQ_mSR_ST_bEUlT_E_NS1_11comp_targetILNS1_3genE0ELNS1_11target_archE4294967295ELNS1_3gpuE0ELNS1_3repE0EEENS1_30default_config_static_selectorELNS0_4arch9wavefront6targetE1EEEvT1_, .Lfunc_end424-_ZN7rocprim17ROCPRIM_400000_NS6detail17trampoline_kernelINS0_14default_configENS1_25transform_config_selectorIlLb0EEEZNS1_14transform_implILb0ES3_S5_NS0_18transform_iteratorINS0_17counting_iteratorImlEEZNS1_24adjacent_difference_implIS3_Lb1ELb0EPlSB_ZN2at6native12_GLOBAL__N_124unique_dim_cuda_templateIiEESt5tupleIJNSC_6TensorESH_SH_EERKSH_lbbbEUlllE1_EE10hipError_tPvRmT2_T3_mT4_P12ihipStream_tbEUlmE_lEESB_NS0_8identityIvEEEESM_SP_SQ_mSR_ST_bEUlT_E_NS1_11comp_targetILNS1_3genE0ELNS1_11target_archE4294967295ELNS1_3gpuE0ELNS1_3repE0EEENS1_30default_config_static_selectorELNS0_4arch9wavefront6targetE1EEEvT1_
                                        ; -- End function
	.section	.AMDGPU.csdata,"",@progbits
; Kernel info:
; codeLenInByte = 0
; NumSgprs: 4
; NumVgprs: 0
; NumAgprs: 0
; TotalNumVgprs: 0
; ScratchSize: 0
; MemoryBound: 0
; FloatMode: 240
; IeeeMode: 1
; LDSByteSize: 0 bytes/workgroup (compile time only)
; SGPRBlocks: 0
; VGPRBlocks: 0
; NumSGPRsForWavesPerEU: 4
; NumVGPRsForWavesPerEU: 1
; AccumOffset: 4
; Occupancy: 8
; WaveLimiterHint : 0
; COMPUTE_PGM_RSRC2:SCRATCH_EN: 0
; COMPUTE_PGM_RSRC2:USER_SGPR: 6
; COMPUTE_PGM_RSRC2:TRAP_HANDLER: 0
; COMPUTE_PGM_RSRC2:TGID_X_EN: 1
; COMPUTE_PGM_RSRC2:TGID_Y_EN: 0
; COMPUTE_PGM_RSRC2:TGID_Z_EN: 0
; COMPUTE_PGM_RSRC2:TIDIG_COMP_CNT: 0
; COMPUTE_PGM_RSRC3_GFX90A:ACCUM_OFFSET: 0
; COMPUTE_PGM_RSRC3_GFX90A:TG_SPLIT: 0
	.section	.text._ZN7rocprim17ROCPRIM_400000_NS6detail17trampoline_kernelINS0_14default_configENS1_25transform_config_selectorIlLb0EEEZNS1_14transform_implILb0ES3_S5_NS0_18transform_iteratorINS0_17counting_iteratorImlEEZNS1_24adjacent_difference_implIS3_Lb1ELb0EPlSB_ZN2at6native12_GLOBAL__N_124unique_dim_cuda_templateIiEESt5tupleIJNSC_6TensorESH_SH_EERKSH_lbbbEUlllE1_EE10hipError_tPvRmT2_T3_mT4_P12ihipStream_tbEUlmE_lEESB_NS0_8identityIvEEEESM_SP_SQ_mSR_ST_bEUlT_E_NS1_11comp_targetILNS1_3genE5ELNS1_11target_archE942ELNS1_3gpuE9ELNS1_3repE0EEENS1_30default_config_static_selectorELNS0_4arch9wavefront6targetE1EEEvT1_,"axG",@progbits,_ZN7rocprim17ROCPRIM_400000_NS6detail17trampoline_kernelINS0_14default_configENS1_25transform_config_selectorIlLb0EEEZNS1_14transform_implILb0ES3_S5_NS0_18transform_iteratorINS0_17counting_iteratorImlEEZNS1_24adjacent_difference_implIS3_Lb1ELb0EPlSB_ZN2at6native12_GLOBAL__N_124unique_dim_cuda_templateIiEESt5tupleIJNSC_6TensorESH_SH_EERKSH_lbbbEUlllE1_EE10hipError_tPvRmT2_T3_mT4_P12ihipStream_tbEUlmE_lEESB_NS0_8identityIvEEEESM_SP_SQ_mSR_ST_bEUlT_E_NS1_11comp_targetILNS1_3genE5ELNS1_11target_archE942ELNS1_3gpuE9ELNS1_3repE0EEENS1_30default_config_static_selectorELNS0_4arch9wavefront6targetE1EEEvT1_,comdat
	.globl	_ZN7rocprim17ROCPRIM_400000_NS6detail17trampoline_kernelINS0_14default_configENS1_25transform_config_selectorIlLb0EEEZNS1_14transform_implILb0ES3_S5_NS0_18transform_iteratorINS0_17counting_iteratorImlEEZNS1_24adjacent_difference_implIS3_Lb1ELb0EPlSB_ZN2at6native12_GLOBAL__N_124unique_dim_cuda_templateIiEESt5tupleIJNSC_6TensorESH_SH_EERKSH_lbbbEUlllE1_EE10hipError_tPvRmT2_T3_mT4_P12ihipStream_tbEUlmE_lEESB_NS0_8identityIvEEEESM_SP_SQ_mSR_ST_bEUlT_E_NS1_11comp_targetILNS1_3genE5ELNS1_11target_archE942ELNS1_3gpuE9ELNS1_3repE0EEENS1_30default_config_static_selectorELNS0_4arch9wavefront6targetE1EEEvT1_ ; -- Begin function _ZN7rocprim17ROCPRIM_400000_NS6detail17trampoline_kernelINS0_14default_configENS1_25transform_config_selectorIlLb0EEEZNS1_14transform_implILb0ES3_S5_NS0_18transform_iteratorINS0_17counting_iteratorImlEEZNS1_24adjacent_difference_implIS3_Lb1ELb0EPlSB_ZN2at6native12_GLOBAL__N_124unique_dim_cuda_templateIiEESt5tupleIJNSC_6TensorESH_SH_EERKSH_lbbbEUlllE1_EE10hipError_tPvRmT2_T3_mT4_P12ihipStream_tbEUlmE_lEESB_NS0_8identityIvEEEESM_SP_SQ_mSR_ST_bEUlT_E_NS1_11comp_targetILNS1_3genE5ELNS1_11target_archE942ELNS1_3gpuE9ELNS1_3repE0EEENS1_30default_config_static_selectorELNS0_4arch9wavefront6targetE1EEEvT1_
	.p2align	8
	.type	_ZN7rocprim17ROCPRIM_400000_NS6detail17trampoline_kernelINS0_14default_configENS1_25transform_config_selectorIlLb0EEEZNS1_14transform_implILb0ES3_S5_NS0_18transform_iteratorINS0_17counting_iteratorImlEEZNS1_24adjacent_difference_implIS3_Lb1ELb0EPlSB_ZN2at6native12_GLOBAL__N_124unique_dim_cuda_templateIiEESt5tupleIJNSC_6TensorESH_SH_EERKSH_lbbbEUlllE1_EE10hipError_tPvRmT2_T3_mT4_P12ihipStream_tbEUlmE_lEESB_NS0_8identityIvEEEESM_SP_SQ_mSR_ST_bEUlT_E_NS1_11comp_targetILNS1_3genE5ELNS1_11target_archE942ELNS1_3gpuE9ELNS1_3repE0EEENS1_30default_config_static_selectorELNS0_4arch9wavefront6targetE1EEEvT1_,@function
_ZN7rocprim17ROCPRIM_400000_NS6detail17trampoline_kernelINS0_14default_configENS1_25transform_config_selectorIlLb0EEEZNS1_14transform_implILb0ES3_S5_NS0_18transform_iteratorINS0_17counting_iteratorImlEEZNS1_24adjacent_difference_implIS3_Lb1ELb0EPlSB_ZN2at6native12_GLOBAL__N_124unique_dim_cuda_templateIiEESt5tupleIJNSC_6TensorESH_SH_EERKSH_lbbbEUlllE1_EE10hipError_tPvRmT2_T3_mT4_P12ihipStream_tbEUlmE_lEESB_NS0_8identityIvEEEESM_SP_SQ_mSR_ST_bEUlT_E_NS1_11comp_targetILNS1_3genE5ELNS1_11target_archE942ELNS1_3gpuE9ELNS1_3repE0EEENS1_30default_config_static_selectorELNS0_4arch9wavefront6targetE1EEEvT1_: ; @_ZN7rocprim17ROCPRIM_400000_NS6detail17trampoline_kernelINS0_14default_configENS1_25transform_config_selectorIlLb0EEEZNS1_14transform_implILb0ES3_S5_NS0_18transform_iteratorINS0_17counting_iteratorImlEEZNS1_24adjacent_difference_implIS3_Lb1ELb0EPlSB_ZN2at6native12_GLOBAL__N_124unique_dim_cuda_templateIiEESt5tupleIJNSC_6TensorESH_SH_EERKSH_lbbbEUlllE1_EE10hipError_tPvRmT2_T3_mT4_P12ihipStream_tbEUlmE_lEESB_NS0_8identityIvEEEESM_SP_SQ_mSR_ST_bEUlT_E_NS1_11comp_targetILNS1_3genE5ELNS1_11target_archE942ELNS1_3gpuE9ELNS1_3repE0EEENS1_30default_config_static_selectorELNS0_4arch9wavefront6targetE1EEEvT1_
; %bb.0:
	.section	.rodata,"a",@progbits
	.p2align	6, 0x0
	.amdhsa_kernel _ZN7rocprim17ROCPRIM_400000_NS6detail17trampoline_kernelINS0_14default_configENS1_25transform_config_selectorIlLb0EEEZNS1_14transform_implILb0ES3_S5_NS0_18transform_iteratorINS0_17counting_iteratorImlEEZNS1_24adjacent_difference_implIS3_Lb1ELb0EPlSB_ZN2at6native12_GLOBAL__N_124unique_dim_cuda_templateIiEESt5tupleIJNSC_6TensorESH_SH_EERKSH_lbbbEUlllE1_EE10hipError_tPvRmT2_T3_mT4_P12ihipStream_tbEUlmE_lEESB_NS0_8identityIvEEEESM_SP_SQ_mSR_ST_bEUlT_E_NS1_11comp_targetILNS1_3genE5ELNS1_11target_archE942ELNS1_3gpuE9ELNS1_3repE0EEENS1_30default_config_static_selectorELNS0_4arch9wavefront6targetE1EEEvT1_
		.amdhsa_group_segment_fixed_size 0
		.amdhsa_private_segment_fixed_size 0
		.amdhsa_kernarg_size 56
		.amdhsa_user_sgpr_count 6
		.amdhsa_user_sgpr_private_segment_buffer 1
		.amdhsa_user_sgpr_dispatch_ptr 0
		.amdhsa_user_sgpr_queue_ptr 0
		.amdhsa_user_sgpr_kernarg_segment_ptr 1
		.amdhsa_user_sgpr_dispatch_id 0
		.amdhsa_user_sgpr_flat_scratch_init 0
		.amdhsa_user_sgpr_kernarg_preload_length 0
		.amdhsa_user_sgpr_kernarg_preload_offset 0
		.amdhsa_user_sgpr_private_segment_size 0
		.amdhsa_uses_dynamic_stack 0
		.amdhsa_system_sgpr_private_segment_wavefront_offset 0
		.amdhsa_system_sgpr_workgroup_id_x 1
		.amdhsa_system_sgpr_workgroup_id_y 0
		.amdhsa_system_sgpr_workgroup_id_z 0
		.amdhsa_system_sgpr_workgroup_info 0
		.amdhsa_system_vgpr_workitem_id 0
		.amdhsa_next_free_vgpr 1
		.amdhsa_next_free_sgpr 0
		.amdhsa_accum_offset 4
		.amdhsa_reserve_vcc 0
		.amdhsa_reserve_flat_scratch 0
		.amdhsa_float_round_mode_32 0
		.amdhsa_float_round_mode_16_64 0
		.amdhsa_float_denorm_mode_32 3
		.amdhsa_float_denorm_mode_16_64 3
		.amdhsa_dx10_clamp 1
		.amdhsa_ieee_mode 1
		.amdhsa_fp16_overflow 0
		.amdhsa_tg_split 0
		.amdhsa_exception_fp_ieee_invalid_op 0
		.amdhsa_exception_fp_denorm_src 0
		.amdhsa_exception_fp_ieee_div_zero 0
		.amdhsa_exception_fp_ieee_overflow 0
		.amdhsa_exception_fp_ieee_underflow 0
		.amdhsa_exception_fp_ieee_inexact 0
		.amdhsa_exception_int_div_zero 0
	.end_amdhsa_kernel
	.section	.text._ZN7rocprim17ROCPRIM_400000_NS6detail17trampoline_kernelINS0_14default_configENS1_25transform_config_selectorIlLb0EEEZNS1_14transform_implILb0ES3_S5_NS0_18transform_iteratorINS0_17counting_iteratorImlEEZNS1_24adjacent_difference_implIS3_Lb1ELb0EPlSB_ZN2at6native12_GLOBAL__N_124unique_dim_cuda_templateIiEESt5tupleIJNSC_6TensorESH_SH_EERKSH_lbbbEUlllE1_EE10hipError_tPvRmT2_T3_mT4_P12ihipStream_tbEUlmE_lEESB_NS0_8identityIvEEEESM_SP_SQ_mSR_ST_bEUlT_E_NS1_11comp_targetILNS1_3genE5ELNS1_11target_archE942ELNS1_3gpuE9ELNS1_3repE0EEENS1_30default_config_static_selectorELNS0_4arch9wavefront6targetE1EEEvT1_,"axG",@progbits,_ZN7rocprim17ROCPRIM_400000_NS6detail17trampoline_kernelINS0_14default_configENS1_25transform_config_selectorIlLb0EEEZNS1_14transform_implILb0ES3_S5_NS0_18transform_iteratorINS0_17counting_iteratorImlEEZNS1_24adjacent_difference_implIS3_Lb1ELb0EPlSB_ZN2at6native12_GLOBAL__N_124unique_dim_cuda_templateIiEESt5tupleIJNSC_6TensorESH_SH_EERKSH_lbbbEUlllE1_EE10hipError_tPvRmT2_T3_mT4_P12ihipStream_tbEUlmE_lEESB_NS0_8identityIvEEEESM_SP_SQ_mSR_ST_bEUlT_E_NS1_11comp_targetILNS1_3genE5ELNS1_11target_archE942ELNS1_3gpuE9ELNS1_3repE0EEENS1_30default_config_static_selectorELNS0_4arch9wavefront6targetE1EEEvT1_,comdat
.Lfunc_end425:
	.size	_ZN7rocprim17ROCPRIM_400000_NS6detail17trampoline_kernelINS0_14default_configENS1_25transform_config_selectorIlLb0EEEZNS1_14transform_implILb0ES3_S5_NS0_18transform_iteratorINS0_17counting_iteratorImlEEZNS1_24adjacent_difference_implIS3_Lb1ELb0EPlSB_ZN2at6native12_GLOBAL__N_124unique_dim_cuda_templateIiEESt5tupleIJNSC_6TensorESH_SH_EERKSH_lbbbEUlllE1_EE10hipError_tPvRmT2_T3_mT4_P12ihipStream_tbEUlmE_lEESB_NS0_8identityIvEEEESM_SP_SQ_mSR_ST_bEUlT_E_NS1_11comp_targetILNS1_3genE5ELNS1_11target_archE942ELNS1_3gpuE9ELNS1_3repE0EEENS1_30default_config_static_selectorELNS0_4arch9wavefront6targetE1EEEvT1_, .Lfunc_end425-_ZN7rocprim17ROCPRIM_400000_NS6detail17trampoline_kernelINS0_14default_configENS1_25transform_config_selectorIlLb0EEEZNS1_14transform_implILb0ES3_S5_NS0_18transform_iteratorINS0_17counting_iteratorImlEEZNS1_24adjacent_difference_implIS3_Lb1ELb0EPlSB_ZN2at6native12_GLOBAL__N_124unique_dim_cuda_templateIiEESt5tupleIJNSC_6TensorESH_SH_EERKSH_lbbbEUlllE1_EE10hipError_tPvRmT2_T3_mT4_P12ihipStream_tbEUlmE_lEESB_NS0_8identityIvEEEESM_SP_SQ_mSR_ST_bEUlT_E_NS1_11comp_targetILNS1_3genE5ELNS1_11target_archE942ELNS1_3gpuE9ELNS1_3repE0EEENS1_30default_config_static_selectorELNS0_4arch9wavefront6targetE1EEEvT1_
                                        ; -- End function
	.section	.AMDGPU.csdata,"",@progbits
; Kernel info:
; codeLenInByte = 0
; NumSgprs: 4
; NumVgprs: 0
; NumAgprs: 0
; TotalNumVgprs: 0
; ScratchSize: 0
; MemoryBound: 0
; FloatMode: 240
; IeeeMode: 1
; LDSByteSize: 0 bytes/workgroup (compile time only)
; SGPRBlocks: 0
; VGPRBlocks: 0
; NumSGPRsForWavesPerEU: 4
; NumVGPRsForWavesPerEU: 1
; AccumOffset: 4
; Occupancy: 8
; WaveLimiterHint : 0
; COMPUTE_PGM_RSRC2:SCRATCH_EN: 0
; COMPUTE_PGM_RSRC2:USER_SGPR: 6
; COMPUTE_PGM_RSRC2:TRAP_HANDLER: 0
; COMPUTE_PGM_RSRC2:TGID_X_EN: 1
; COMPUTE_PGM_RSRC2:TGID_Y_EN: 0
; COMPUTE_PGM_RSRC2:TGID_Z_EN: 0
; COMPUTE_PGM_RSRC2:TIDIG_COMP_CNT: 0
; COMPUTE_PGM_RSRC3_GFX90A:ACCUM_OFFSET: 0
; COMPUTE_PGM_RSRC3_GFX90A:TG_SPLIT: 0
	.section	.text._ZN7rocprim17ROCPRIM_400000_NS6detail17trampoline_kernelINS0_14default_configENS1_25transform_config_selectorIlLb0EEEZNS1_14transform_implILb0ES3_S5_NS0_18transform_iteratorINS0_17counting_iteratorImlEEZNS1_24adjacent_difference_implIS3_Lb1ELb0EPlSB_ZN2at6native12_GLOBAL__N_124unique_dim_cuda_templateIiEESt5tupleIJNSC_6TensorESH_SH_EERKSH_lbbbEUlllE1_EE10hipError_tPvRmT2_T3_mT4_P12ihipStream_tbEUlmE_lEESB_NS0_8identityIvEEEESM_SP_SQ_mSR_ST_bEUlT_E_NS1_11comp_targetILNS1_3genE4ELNS1_11target_archE910ELNS1_3gpuE8ELNS1_3repE0EEENS1_30default_config_static_selectorELNS0_4arch9wavefront6targetE1EEEvT1_,"axG",@progbits,_ZN7rocprim17ROCPRIM_400000_NS6detail17trampoline_kernelINS0_14default_configENS1_25transform_config_selectorIlLb0EEEZNS1_14transform_implILb0ES3_S5_NS0_18transform_iteratorINS0_17counting_iteratorImlEEZNS1_24adjacent_difference_implIS3_Lb1ELb0EPlSB_ZN2at6native12_GLOBAL__N_124unique_dim_cuda_templateIiEESt5tupleIJNSC_6TensorESH_SH_EERKSH_lbbbEUlllE1_EE10hipError_tPvRmT2_T3_mT4_P12ihipStream_tbEUlmE_lEESB_NS0_8identityIvEEEESM_SP_SQ_mSR_ST_bEUlT_E_NS1_11comp_targetILNS1_3genE4ELNS1_11target_archE910ELNS1_3gpuE8ELNS1_3repE0EEENS1_30default_config_static_selectorELNS0_4arch9wavefront6targetE1EEEvT1_,comdat
	.globl	_ZN7rocprim17ROCPRIM_400000_NS6detail17trampoline_kernelINS0_14default_configENS1_25transform_config_selectorIlLb0EEEZNS1_14transform_implILb0ES3_S5_NS0_18transform_iteratorINS0_17counting_iteratorImlEEZNS1_24adjacent_difference_implIS3_Lb1ELb0EPlSB_ZN2at6native12_GLOBAL__N_124unique_dim_cuda_templateIiEESt5tupleIJNSC_6TensorESH_SH_EERKSH_lbbbEUlllE1_EE10hipError_tPvRmT2_T3_mT4_P12ihipStream_tbEUlmE_lEESB_NS0_8identityIvEEEESM_SP_SQ_mSR_ST_bEUlT_E_NS1_11comp_targetILNS1_3genE4ELNS1_11target_archE910ELNS1_3gpuE8ELNS1_3repE0EEENS1_30default_config_static_selectorELNS0_4arch9wavefront6targetE1EEEvT1_ ; -- Begin function _ZN7rocprim17ROCPRIM_400000_NS6detail17trampoline_kernelINS0_14default_configENS1_25transform_config_selectorIlLb0EEEZNS1_14transform_implILb0ES3_S5_NS0_18transform_iteratorINS0_17counting_iteratorImlEEZNS1_24adjacent_difference_implIS3_Lb1ELb0EPlSB_ZN2at6native12_GLOBAL__N_124unique_dim_cuda_templateIiEESt5tupleIJNSC_6TensorESH_SH_EERKSH_lbbbEUlllE1_EE10hipError_tPvRmT2_T3_mT4_P12ihipStream_tbEUlmE_lEESB_NS0_8identityIvEEEESM_SP_SQ_mSR_ST_bEUlT_E_NS1_11comp_targetILNS1_3genE4ELNS1_11target_archE910ELNS1_3gpuE8ELNS1_3repE0EEENS1_30default_config_static_selectorELNS0_4arch9wavefront6targetE1EEEvT1_
	.p2align	8
	.type	_ZN7rocprim17ROCPRIM_400000_NS6detail17trampoline_kernelINS0_14default_configENS1_25transform_config_selectorIlLb0EEEZNS1_14transform_implILb0ES3_S5_NS0_18transform_iteratorINS0_17counting_iteratorImlEEZNS1_24adjacent_difference_implIS3_Lb1ELb0EPlSB_ZN2at6native12_GLOBAL__N_124unique_dim_cuda_templateIiEESt5tupleIJNSC_6TensorESH_SH_EERKSH_lbbbEUlllE1_EE10hipError_tPvRmT2_T3_mT4_P12ihipStream_tbEUlmE_lEESB_NS0_8identityIvEEEESM_SP_SQ_mSR_ST_bEUlT_E_NS1_11comp_targetILNS1_3genE4ELNS1_11target_archE910ELNS1_3gpuE8ELNS1_3repE0EEENS1_30default_config_static_selectorELNS0_4arch9wavefront6targetE1EEEvT1_,@function
_ZN7rocprim17ROCPRIM_400000_NS6detail17trampoline_kernelINS0_14default_configENS1_25transform_config_selectorIlLb0EEEZNS1_14transform_implILb0ES3_S5_NS0_18transform_iteratorINS0_17counting_iteratorImlEEZNS1_24adjacent_difference_implIS3_Lb1ELb0EPlSB_ZN2at6native12_GLOBAL__N_124unique_dim_cuda_templateIiEESt5tupleIJNSC_6TensorESH_SH_EERKSH_lbbbEUlllE1_EE10hipError_tPvRmT2_T3_mT4_P12ihipStream_tbEUlmE_lEESB_NS0_8identityIvEEEESM_SP_SQ_mSR_ST_bEUlT_E_NS1_11comp_targetILNS1_3genE4ELNS1_11target_archE910ELNS1_3gpuE8ELNS1_3repE0EEENS1_30default_config_static_selectorELNS0_4arch9wavefront6targetE1EEEvT1_: ; @_ZN7rocprim17ROCPRIM_400000_NS6detail17trampoline_kernelINS0_14default_configENS1_25transform_config_selectorIlLb0EEEZNS1_14transform_implILb0ES3_S5_NS0_18transform_iteratorINS0_17counting_iteratorImlEEZNS1_24adjacent_difference_implIS3_Lb1ELb0EPlSB_ZN2at6native12_GLOBAL__N_124unique_dim_cuda_templateIiEESt5tupleIJNSC_6TensorESH_SH_EERKSH_lbbbEUlllE1_EE10hipError_tPvRmT2_T3_mT4_P12ihipStream_tbEUlmE_lEESB_NS0_8identityIvEEEESM_SP_SQ_mSR_ST_bEUlT_E_NS1_11comp_targetILNS1_3genE4ELNS1_11target_archE910ELNS1_3gpuE8ELNS1_3repE0EEENS1_30default_config_static_selectorELNS0_4arch9wavefront6targetE1EEEvT1_
; %bb.0:
	s_load_dwordx4 s[0:3], s[4:5], 0x18
	s_load_dwordx2 s[14:15], s[4:5], 0x28
	s_load_dwordx4 s[8:11], s[4:5], 0x0
	s_load_dword s12, s[4:5], 0x10
	s_waitcnt lgkmcnt(0)
	s_load_dword s3, s[4:5], 0x38
                                        ; kill: killed $sgpr4_sgpr5
	s_lshl_b64 s[4:5], s[0:1], 3
	s_add_u32 s14, s14, s4
	s_addc_u32 s15, s15, s5
	s_lshl_b32 s4, s6, 9
	s_waitcnt lgkmcnt(0)
	s_add_i32 s3, s3, -1
	s_add_u32 s7, s8, s4
	s_addc_u32 s8, s9, 0
	s_add_u32 s16, s7, s0
	s_addc_u32 s17, s8, s1
	s_mov_b32 s5, 0
	s_cmp_lg_u32 s6, s3
	v_lshlrev_b32_e32 v1, 3, v0
	s_cbranch_scc0 .LBB426_2
; %bb.1:
	v_mov_b32_e32 v2, s17
	v_add_co_u32_e32 v3, vcc, s16, v0
	v_addc_co_u32_e32 v5, vcc, 0, v2, vcc
	v_mad_u64_u32 v[2:3], s[0:1], v3, s12, 0
	v_mov_b32_e32 v4, v3
	v_mad_u64_u32 v[4:5], s[0:1], v5, s12, v[4:5]
	v_mov_b32_e32 v3, v4
	v_lshlrev_b64 v[2:3], 3, v[2:3]
	s_mov_b32 s13, s5
	v_mov_b32_e32 v4, s11
	v_add_co_u32_e32 v2, vcc, s10, v2
	v_addc_co_u32_e32 v3, vcc, v4, v3, vcc
	s_lshl_b64 s[0:1], s[12:13], 11
	global_load_dwordx2 v[8:9], v[2:3], off
	v_mov_b32_e32 v4, s1
	v_add_co_u32_e32 v2, vcc, s0, v2
	v_addc_co_u32_e32 v3, vcc, v3, v4, vcc
	global_load_dwordx2 v[4:5], v[2:3], off
	s_lshl_b64 s[6:7], s[4:5], 3
	s_add_u32 s6, s14, s6
	s_addc_u32 s7, s15, s7
	v_mov_b32_e32 v2, s7
	v_add_co_u32_e32 v6, vcc, s6, v1
	v_addc_co_u32_e32 v7, vcc, 0, v2, vcc
	s_waitcnt vmcnt(1)
	global_store_dwordx2 v1, v[8:9], s[6:7]
	s_mov_b64 s[6:7], -1
	s_cbranch_execz .LBB426_3
	s_branch .LBB426_12
.LBB426_2:
	s_mov_b64 s[6:7], 0
                                        ; implicit-def: $vgpr4_vgpr5
                                        ; implicit-def: $vgpr6_vgpr7
.LBB426_3:
	s_sub_i32 s8, s2, s4
	v_cmp_gt_u32_e32 vcc, s8, v0
                                        ; implicit-def: $vgpr2_vgpr3_vgpr4_vgpr5
	s_and_saveexec_b64 s[2:3], vcc
	s_cbranch_execz .LBB426_5
; %bb.4:
	v_mov_b32_e32 v2, s17
	v_add_co_u32_e64 v3, s[0:1], s16, v0
	s_waitcnt vmcnt(1)
	v_addc_co_u32_e64 v5, s[0:1], 0, v2, s[0:1]
	v_mad_u64_u32 v[2:3], s[0:1], v3, s12, 0
	v_mov_b32_e32 v4, v3
	v_mad_u64_u32 v[4:5], s[0:1], v5, s12, v[4:5]
	v_mov_b32_e32 v3, v4
	v_lshlrev_b64 v[2:3], 3, v[2:3]
	v_mov_b32_e32 v4, s11
	v_add_co_u32_e64 v2, s[0:1], s10, v2
	v_addc_co_u32_e64 v3, s[0:1], v4, v3, s[0:1]
	global_load_dwordx2 v[2:3], v[2:3], off
.LBB426_5:
	s_or_b64 exec, exec, s[2:3]
	v_or_b32_e32 v0, 0x100, v0
	v_cmp_gt_u32_e64 s[0:1], s8, v0
	s_and_saveexec_b64 s[8:9], s[0:1]
	s_cbranch_execz .LBB426_7
; %bb.6:
	s_waitcnt vmcnt(1)
	v_mov_b32_e32 v4, s17
	v_add_co_u32_e64 v0, s[2:3], s16, v0
	v_addc_co_u32_e64 v6, s[2:3], 0, v4, s[2:3]
	v_mad_u64_u32 v[4:5], s[2:3], v0, s12, 0
	v_mov_b32_e32 v0, v5
	v_mad_u64_u32 v[6:7], s[2:3], v6, s12, v[0:1]
	v_mov_b32_e32 v5, v6
	v_lshlrev_b64 v[4:5], 3, v[4:5]
	v_mov_b32_e32 v0, s11
	v_add_co_u32_e64 v4, s[2:3], s10, v4
	v_addc_co_u32_e64 v5, s[2:3], v0, v5, s[2:3]
	global_load_dwordx2 v[4:5], v[4:5], off
.LBB426_7:
	s_or_b64 exec, exec, s[8:9]
	s_lshl_b64 s[2:3], s[4:5], 3
	s_add_u32 s2, s14, s2
	s_addc_u32 s3, s15, s3
	v_mov_b32_e32 v0, s3
	v_add_co_u32_e64 v6, s[2:3], s2, v1
	v_addc_co_u32_e64 v7, s[2:3], 0, v0, s[2:3]
	s_and_saveexec_b64 s[2:3], vcc
	s_cbranch_execz .LBB426_9
; %bb.8:
	s_waitcnt vmcnt(0)
	global_store_dwordx2 v[6:7], v[2:3], off
.LBB426_9:
	s_or_b64 exec, exec, s[2:3]
	s_and_saveexec_b64 s[2:3], s[0:1]
; %bb.10:
	s_or_b64 s[6:7], s[6:7], exec
; %bb.11:
	s_or_b64 exec, exec, s[2:3]
.LBB426_12:
	s_and_saveexec_b64 s[0:1], s[6:7]
	s_cbranch_execnz .LBB426_14
; %bb.13:
	s_endpgm
.LBB426_14:
	s_waitcnt vmcnt(0)
	global_store_dwordx2 v[6:7], v[4:5], off offset:2048
	s_endpgm
	.section	.rodata,"a",@progbits
	.p2align	6, 0x0
	.amdhsa_kernel _ZN7rocprim17ROCPRIM_400000_NS6detail17trampoline_kernelINS0_14default_configENS1_25transform_config_selectorIlLb0EEEZNS1_14transform_implILb0ES3_S5_NS0_18transform_iteratorINS0_17counting_iteratorImlEEZNS1_24adjacent_difference_implIS3_Lb1ELb0EPlSB_ZN2at6native12_GLOBAL__N_124unique_dim_cuda_templateIiEESt5tupleIJNSC_6TensorESH_SH_EERKSH_lbbbEUlllE1_EE10hipError_tPvRmT2_T3_mT4_P12ihipStream_tbEUlmE_lEESB_NS0_8identityIvEEEESM_SP_SQ_mSR_ST_bEUlT_E_NS1_11comp_targetILNS1_3genE4ELNS1_11target_archE910ELNS1_3gpuE8ELNS1_3repE0EEENS1_30default_config_static_selectorELNS0_4arch9wavefront6targetE1EEEvT1_
		.amdhsa_group_segment_fixed_size 0
		.amdhsa_private_segment_fixed_size 0
		.amdhsa_kernarg_size 312
		.amdhsa_user_sgpr_count 6
		.amdhsa_user_sgpr_private_segment_buffer 1
		.amdhsa_user_sgpr_dispatch_ptr 0
		.amdhsa_user_sgpr_queue_ptr 0
		.amdhsa_user_sgpr_kernarg_segment_ptr 1
		.amdhsa_user_sgpr_dispatch_id 0
		.amdhsa_user_sgpr_flat_scratch_init 0
		.amdhsa_user_sgpr_kernarg_preload_length 0
		.amdhsa_user_sgpr_kernarg_preload_offset 0
		.amdhsa_user_sgpr_private_segment_size 0
		.amdhsa_uses_dynamic_stack 0
		.amdhsa_system_sgpr_private_segment_wavefront_offset 0
		.amdhsa_system_sgpr_workgroup_id_x 1
		.amdhsa_system_sgpr_workgroup_id_y 0
		.amdhsa_system_sgpr_workgroup_id_z 0
		.amdhsa_system_sgpr_workgroup_info 0
		.amdhsa_system_vgpr_workitem_id 0
		.amdhsa_next_free_vgpr 10
		.amdhsa_next_free_sgpr 18
		.amdhsa_accum_offset 12
		.amdhsa_reserve_vcc 1
		.amdhsa_reserve_flat_scratch 0
		.amdhsa_float_round_mode_32 0
		.amdhsa_float_round_mode_16_64 0
		.amdhsa_float_denorm_mode_32 3
		.amdhsa_float_denorm_mode_16_64 3
		.amdhsa_dx10_clamp 1
		.amdhsa_ieee_mode 1
		.amdhsa_fp16_overflow 0
		.amdhsa_tg_split 0
		.amdhsa_exception_fp_ieee_invalid_op 0
		.amdhsa_exception_fp_denorm_src 0
		.amdhsa_exception_fp_ieee_div_zero 0
		.amdhsa_exception_fp_ieee_overflow 0
		.amdhsa_exception_fp_ieee_underflow 0
		.amdhsa_exception_fp_ieee_inexact 0
		.amdhsa_exception_int_div_zero 0
	.end_amdhsa_kernel
	.section	.text._ZN7rocprim17ROCPRIM_400000_NS6detail17trampoline_kernelINS0_14default_configENS1_25transform_config_selectorIlLb0EEEZNS1_14transform_implILb0ES3_S5_NS0_18transform_iteratorINS0_17counting_iteratorImlEEZNS1_24adjacent_difference_implIS3_Lb1ELb0EPlSB_ZN2at6native12_GLOBAL__N_124unique_dim_cuda_templateIiEESt5tupleIJNSC_6TensorESH_SH_EERKSH_lbbbEUlllE1_EE10hipError_tPvRmT2_T3_mT4_P12ihipStream_tbEUlmE_lEESB_NS0_8identityIvEEEESM_SP_SQ_mSR_ST_bEUlT_E_NS1_11comp_targetILNS1_3genE4ELNS1_11target_archE910ELNS1_3gpuE8ELNS1_3repE0EEENS1_30default_config_static_selectorELNS0_4arch9wavefront6targetE1EEEvT1_,"axG",@progbits,_ZN7rocprim17ROCPRIM_400000_NS6detail17trampoline_kernelINS0_14default_configENS1_25transform_config_selectorIlLb0EEEZNS1_14transform_implILb0ES3_S5_NS0_18transform_iteratorINS0_17counting_iteratorImlEEZNS1_24adjacent_difference_implIS3_Lb1ELb0EPlSB_ZN2at6native12_GLOBAL__N_124unique_dim_cuda_templateIiEESt5tupleIJNSC_6TensorESH_SH_EERKSH_lbbbEUlllE1_EE10hipError_tPvRmT2_T3_mT4_P12ihipStream_tbEUlmE_lEESB_NS0_8identityIvEEEESM_SP_SQ_mSR_ST_bEUlT_E_NS1_11comp_targetILNS1_3genE4ELNS1_11target_archE910ELNS1_3gpuE8ELNS1_3repE0EEENS1_30default_config_static_selectorELNS0_4arch9wavefront6targetE1EEEvT1_,comdat
.Lfunc_end426:
	.size	_ZN7rocprim17ROCPRIM_400000_NS6detail17trampoline_kernelINS0_14default_configENS1_25transform_config_selectorIlLb0EEEZNS1_14transform_implILb0ES3_S5_NS0_18transform_iteratorINS0_17counting_iteratorImlEEZNS1_24adjacent_difference_implIS3_Lb1ELb0EPlSB_ZN2at6native12_GLOBAL__N_124unique_dim_cuda_templateIiEESt5tupleIJNSC_6TensorESH_SH_EERKSH_lbbbEUlllE1_EE10hipError_tPvRmT2_T3_mT4_P12ihipStream_tbEUlmE_lEESB_NS0_8identityIvEEEESM_SP_SQ_mSR_ST_bEUlT_E_NS1_11comp_targetILNS1_3genE4ELNS1_11target_archE910ELNS1_3gpuE8ELNS1_3repE0EEENS1_30default_config_static_selectorELNS0_4arch9wavefront6targetE1EEEvT1_, .Lfunc_end426-_ZN7rocprim17ROCPRIM_400000_NS6detail17trampoline_kernelINS0_14default_configENS1_25transform_config_selectorIlLb0EEEZNS1_14transform_implILb0ES3_S5_NS0_18transform_iteratorINS0_17counting_iteratorImlEEZNS1_24adjacent_difference_implIS3_Lb1ELb0EPlSB_ZN2at6native12_GLOBAL__N_124unique_dim_cuda_templateIiEESt5tupleIJNSC_6TensorESH_SH_EERKSH_lbbbEUlllE1_EE10hipError_tPvRmT2_T3_mT4_P12ihipStream_tbEUlmE_lEESB_NS0_8identityIvEEEESM_SP_SQ_mSR_ST_bEUlT_E_NS1_11comp_targetILNS1_3genE4ELNS1_11target_archE910ELNS1_3gpuE8ELNS1_3repE0EEENS1_30default_config_static_selectorELNS0_4arch9wavefront6targetE1EEEvT1_
                                        ; -- End function
	.section	.AMDGPU.csdata,"",@progbits
; Kernel info:
; codeLenInByte = 556
; NumSgprs: 22
; NumVgprs: 10
; NumAgprs: 0
; TotalNumVgprs: 10
; ScratchSize: 0
; MemoryBound: 0
; FloatMode: 240
; IeeeMode: 1
; LDSByteSize: 0 bytes/workgroup (compile time only)
; SGPRBlocks: 2
; VGPRBlocks: 1
; NumSGPRsForWavesPerEU: 22
; NumVGPRsForWavesPerEU: 10
; AccumOffset: 12
; Occupancy: 8
; WaveLimiterHint : 0
; COMPUTE_PGM_RSRC2:SCRATCH_EN: 0
; COMPUTE_PGM_RSRC2:USER_SGPR: 6
; COMPUTE_PGM_RSRC2:TRAP_HANDLER: 0
; COMPUTE_PGM_RSRC2:TGID_X_EN: 1
; COMPUTE_PGM_RSRC2:TGID_Y_EN: 0
; COMPUTE_PGM_RSRC2:TGID_Z_EN: 0
; COMPUTE_PGM_RSRC2:TIDIG_COMP_CNT: 0
; COMPUTE_PGM_RSRC3_GFX90A:ACCUM_OFFSET: 2
; COMPUTE_PGM_RSRC3_GFX90A:TG_SPLIT: 0
	.section	.text._ZN7rocprim17ROCPRIM_400000_NS6detail17trampoline_kernelINS0_14default_configENS1_25transform_config_selectorIlLb0EEEZNS1_14transform_implILb0ES3_S5_NS0_18transform_iteratorINS0_17counting_iteratorImlEEZNS1_24adjacent_difference_implIS3_Lb1ELb0EPlSB_ZN2at6native12_GLOBAL__N_124unique_dim_cuda_templateIiEESt5tupleIJNSC_6TensorESH_SH_EERKSH_lbbbEUlllE1_EE10hipError_tPvRmT2_T3_mT4_P12ihipStream_tbEUlmE_lEESB_NS0_8identityIvEEEESM_SP_SQ_mSR_ST_bEUlT_E_NS1_11comp_targetILNS1_3genE3ELNS1_11target_archE908ELNS1_3gpuE7ELNS1_3repE0EEENS1_30default_config_static_selectorELNS0_4arch9wavefront6targetE1EEEvT1_,"axG",@progbits,_ZN7rocprim17ROCPRIM_400000_NS6detail17trampoline_kernelINS0_14default_configENS1_25transform_config_selectorIlLb0EEEZNS1_14transform_implILb0ES3_S5_NS0_18transform_iteratorINS0_17counting_iteratorImlEEZNS1_24adjacent_difference_implIS3_Lb1ELb0EPlSB_ZN2at6native12_GLOBAL__N_124unique_dim_cuda_templateIiEESt5tupleIJNSC_6TensorESH_SH_EERKSH_lbbbEUlllE1_EE10hipError_tPvRmT2_T3_mT4_P12ihipStream_tbEUlmE_lEESB_NS0_8identityIvEEEESM_SP_SQ_mSR_ST_bEUlT_E_NS1_11comp_targetILNS1_3genE3ELNS1_11target_archE908ELNS1_3gpuE7ELNS1_3repE0EEENS1_30default_config_static_selectorELNS0_4arch9wavefront6targetE1EEEvT1_,comdat
	.globl	_ZN7rocprim17ROCPRIM_400000_NS6detail17trampoline_kernelINS0_14default_configENS1_25transform_config_selectorIlLb0EEEZNS1_14transform_implILb0ES3_S5_NS0_18transform_iteratorINS0_17counting_iteratorImlEEZNS1_24adjacent_difference_implIS3_Lb1ELb0EPlSB_ZN2at6native12_GLOBAL__N_124unique_dim_cuda_templateIiEESt5tupleIJNSC_6TensorESH_SH_EERKSH_lbbbEUlllE1_EE10hipError_tPvRmT2_T3_mT4_P12ihipStream_tbEUlmE_lEESB_NS0_8identityIvEEEESM_SP_SQ_mSR_ST_bEUlT_E_NS1_11comp_targetILNS1_3genE3ELNS1_11target_archE908ELNS1_3gpuE7ELNS1_3repE0EEENS1_30default_config_static_selectorELNS0_4arch9wavefront6targetE1EEEvT1_ ; -- Begin function _ZN7rocprim17ROCPRIM_400000_NS6detail17trampoline_kernelINS0_14default_configENS1_25transform_config_selectorIlLb0EEEZNS1_14transform_implILb0ES3_S5_NS0_18transform_iteratorINS0_17counting_iteratorImlEEZNS1_24adjacent_difference_implIS3_Lb1ELb0EPlSB_ZN2at6native12_GLOBAL__N_124unique_dim_cuda_templateIiEESt5tupleIJNSC_6TensorESH_SH_EERKSH_lbbbEUlllE1_EE10hipError_tPvRmT2_T3_mT4_P12ihipStream_tbEUlmE_lEESB_NS0_8identityIvEEEESM_SP_SQ_mSR_ST_bEUlT_E_NS1_11comp_targetILNS1_3genE3ELNS1_11target_archE908ELNS1_3gpuE7ELNS1_3repE0EEENS1_30default_config_static_selectorELNS0_4arch9wavefront6targetE1EEEvT1_
	.p2align	8
	.type	_ZN7rocprim17ROCPRIM_400000_NS6detail17trampoline_kernelINS0_14default_configENS1_25transform_config_selectorIlLb0EEEZNS1_14transform_implILb0ES3_S5_NS0_18transform_iteratorINS0_17counting_iteratorImlEEZNS1_24adjacent_difference_implIS3_Lb1ELb0EPlSB_ZN2at6native12_GLOBAL__N_124unique_dim_cuda_templateIiEESt5tupleIJNSC_6TensorESH_SH_EERKSH_lbbbEUlllE1_EE10hipError_tPvRmT2_T3_mT4_P12ihipStream_tbEUlmE_lEESB_NS0_8identityIvEEEESM_SP_SQ_mSR_ST_bEUlT_E_NS1_11comp_targetILNS1_3genE3ELNS1_11target_archE908ELNS1_3gpuE7ELNS1_3repE0EEENS1_30default_config_static_selectorELNS0_4arch9wavefront6targetE1EEEvT1_,@function
_ZN7rocprim17ROCPRIM_400000_NS6detail17trampoline_kernelINS0_14default_configENS1_25transform_config_selectorIlLb0EEEZNS1_14transform_implILb0ES3_S5_NS0_18transform_iteratorINS0_17counting_iteratorImlEEZNS1_24adjacent_difference_implIS3_Lb1ELb0EPlSB_ZN2at6native12_GLOBAL__N_124unique_dim_cuda_templateIiEESt5tupleIJNSC_6TensorESH_SH_EERKSH_lbbbEUlllE1_EE10hipError_tPvRmT2_T3_mT4_P12ihipStream_tbEUlmE_lEESB_NS0_8identityIvEEEESM_SP_SQ_mSR_ST_bEUlT_E_NS1_11comp_targetILNS1_3genE3ELNS1_11target_archE908ELNS1_3gpuE7ELNS1_3repE0EEENS1_30default_config_static_selectorELNS0_4arch9wavefront6targetE1EEEvT1_: ; @_ZN7rocprim17ROCPRIM_400000_NS6detail17trampoline_kernelINS0_14default_configENS1_25transform_config_selectorIlLb0EEEZNS1_14transform_implILb0ES3_S5_NS0_18transform_iteratorINS0_17counting_iteratorImlEEZNS1_24adjacent_difference_implIS3_Lb1ELb0EPlSB_ZN2at6native12_GLOBAL__N_124unique_dim_cuda_templateIiEESt5tupleIJNSC_6TensorESH_SH_EERKSH_lbbbEUlllE1_EE10hipError_tPvRmT2_T3_mT4_P12ihipStream_tbEUlmE_lEESB_NS0_8identityIvEEEESM_SP_SQ_mSR_ST_bEUlT_E_NS1_11comp_targetILNS1_3genE3ELNS1_11target_archE908ELNS1_3gpuE7ELNS1_3repE0EEENS1_30default_config_static_selectorELNS0_4arch9wavefront6targetE1EEEvT1_
; %bb.0:
	.section	.rodata,"a",@progbits
	.p2align	6, 0x0
	.amdhsa_kernel _ZN7rocprim17ROCPRIM_400000_NS6detail17trampoline_kernelINS0_14default_configENS1_25transform_config_selectorIlLb0EEEZNS1_14transform_implILb0ES3_S5_NS0_18transform_iteratorINS0_17counting_iteratorImlEEZNS1_24adjacent_difference_implIS3_Lb1ELb0EPlSB_ZN2at6native12_GLOBAL__N_124unique_dim_cuda_templateIiEESt5tupleIJNSC_6TensorESH_SH_EERKSH_lbbbEUlllE1_EE10hipError_tPvRmT2_T3_mT4_P12ihipStream_tbEUlmE_lEESB_NS0_8identityIvEEEESM_SP_SQ_mSR_ST_bEUlT_E_NS1_11comp_targetILNS1_3genE3ELNS1_11target_archE908ELNS1_3gpuE7ELNS1_3repE0EEENS1_30default_config_static_selectorELNS0_4arch9wavefront6targetE1EEEvT1_
		.amdhsa_group_segment_fixed_size 0
		.amdhsa_private_segment_fixed_size 0
		.amdhsa_kernarg_size 56
		.amdhsa_user_sgpr_count 6
		.amdhsa_user_sgpr_private_segment_buffer 1
		.amdhsa_user_sgpr_dispatch_ptr 0
		.amdhsa_user_sgpr_queue_ptr 0
		.amdhsa_user_sgpr_kernarg_segment_ptr 1
		.amdhsa_user_sgpr_dispatch_id 0
		.amdhsa_user_sgpr_flat_scratch_init 0
		.amdhsa_user_sgpr_kernarg_preload_length 0
		.amdhsa_user_sgpr_kernarg_preload_offset 0
		.amdhsa_user_sgpr_private_segment_size 0
		.amdhsa_uses_dynamic_stack 0
		.amdhsa_system_sgpr_private_segment_wavefront_offset 0
		.amdhsa_system_sgpr_workgroup_id_x 1
		.amdhsa_system_sgpr_workgroup_id_y 0
		.amdhsa_system_sgpr_workgroup_id_z 0
		.amdhsa_system_sgpr_workgroup_info 0
		.amdhsa_system_vgpr_workitem_id 0
		.amdhsa_next_free_vgpr 1
		.amdhsa_next_free_sgpr 0
		.amdhsa_accum_offset 4
		.amdhsa_reserve_vcc 0
		.amdhsa_reserve_flat_scratch 0
		.amdhsa_float_round_mode_32 0
		.amdhsa_float_round_mode_16_64 0
		.amdhsa_float_denorm_mode_32 3
		.amdhsa_float_denorm_mode_16_64 3
		.amdhsa_dx10_clamp 1
		.amdhsa_ieee_mode 1
		.amdhsa_fp16_overflow 0
		.amdhsa_tg_split 0
		.amdhsa_exception_fp_ieee_invalid_op 0
		.amdhsa_exception_fp_denorm_src 0
		.amdhsa_exception_fp_ieee_div_zero 0
		.amdhsa_exception_fp_ieee_overflow 0
		.amdhsa_exception_fp_ieee_underflow 0
		.amdhsa_exception_fp_ieee_inexact 0
		.amdhsa_exception_int_div_zero 0
	.end_amdhsa_kernel
	.section	.text._ZN7rocprim17ROCPRIM_400000_NS6detail17trampoline_kernelINS0_14default_configENS1_25transform_config_selectorIlLb0EEEZNS1_14transform_implILb0ES3_S5_NS0_18transform_iteratorINS0_17counting_iteratorImlEEZNS1_24adjacent_difference_implIS3_Lb1ELb0EPlSB_ZN2at6native12_GLOBAL__N_124unique_dim_cuda_templateIiEESt5tupleIJNSC_6TensorESH_SH_EERKSH_lbbbEUlllE1_EE10hipError_tPvRmT2_T3_mT4_P12ihipStream_tbEUlmE_lEESB_NS0_8identityIvEEEESM_SP_SQ_mSR_ST_bEUlT_E_NS1_11comp_targetILNS1_3genE3ELNS1_11target_archE908ELNS1_3gpuE7ELNS1_3repE0EEENS1_30default_config_static_selectorELNS0_4arch9wavefront6targetE1EEEvT1_,"axG",@progbits,_ZN7rocprim17ROCPRIM_400000_NS6detail17trampoline_kernelINS0_14default_configENS1_25transform_config_selectorIlLb0EEEZNS1_14transform_implILb0ES3_S5_NS0_18transform_iteratorINS0_17counting_iteratorImlEEZNS1_24adjacent_difference_implIS3_Lb1ELb0EPlSB_ZN2at6native12_GLOBAL__N_124unique_dim_cuda_templateIiEESt5tupleIJNSC_6TensorESH_SH_EERKSH_lbbbEUlllE1_EE10hipError_tPvRmT2_T3_mT4_P12ihipStream_tbEUlmE_lEESB_NS0_8identityIvEEEESM_SP_SQ_mSR_ST_bEUlT_E_NS1_11comp_targetILNS1_3genE3ELNS1_11target_archE908ELNS1_3gpuE7ELNS1_3repE0EEENS1_30default_config_static_selectorELNS0_4arch9wavefront6targetE1EEEvT1_,comdat
.Lfunc_end427:
	.size	_ZN7rocprim17ROCPRIM_400000_NS6detail17trampoline_kernelINS0_14default_configENS1_25transform_config_selectorIlLb0EEEZNS1_14transform_implILb0ES3_S5_NS0_18transform_iteratorINS0_17counting_iteratorImlEEZNS1_24adjacent_difference_implIS3_Lb1ELb0EPlSB_ZN2at6native12_GLOBAL__N_124unique_dim_cuda_templateIiEESt5tupleIJNSC_6TensorESH_SH_EERKSH_lbbbEUlllE1_EE10hipError_tPvRmT2_T3_mT4_P12ihipStream_tbEUlmE_lEESB_NS0_8identityIvEEEESM_SP_SQ_mSR_ST_bEUlT_E_NS1_11comp_targetILNS1_3genE3ELNS1_11target_archE908ELNS1_3gpuE7ELNS1_3repE0EEENS1_30default_config_static_selectorELNS0_4arch9wavefront6targetE1EEEvT1_, .Lfunc_end427-_ZN7rocprim17ROCPRIM_400000_NS6detail17trampoline_kernelINS0_14default_configENS1_25transform_config_selectorIlLb0EEEZNS1_14transform_implILb0ES3_S5_NS0_18transform_iteratorINS0_17counting_iteratorImlEEZNS1_24adjacent_difference_implIS3_Lb1ELb0EPlSB_ZN2at6native12_GLOBAL__N_124unique_dim_cuda_templateIiEESt5tupleIJNSC_6TensorESH_SH_EERKSH_lbbbEUlllE1_EE10hipError_tPvRmT2_T3_mT4_P12ihipStream_tbEUlmE_lEESB_NS0_8identityIvEEEESM_SP_SQ_mSR_ST_bEUlT_E_NS1_11comp_targetILNS1_3genE3ELNS1_11target_archE908ELNS1_3gpuE7ELNS1_3repE0EEENS1_30default_config_static_selectorELNS0_4arch9wavefront6targetE1EEEvT1_
                                        ; -- End function
	.section	.AMDGPU.csdata,"",@progbits
; Kernel info:
; codeLenInByte = 0
; NumSgprs: 4
; NumVgprs: 0
; NumAgprs: 0
; TotalNumVgprs: 0
; ScratchSize: 0
; MemoryBound: 0
; FloatMode: 240
; IeeeMode: 1
; LDSByteSize: 0 bytes/workgroup (compile time only)
; SGPRBlocks: 0
; VGPRBlocks: 0
; NumSGPRsForWavesPerEU: 4
; NumVGPRsForWavesPerEU: 1
; AccumOffset: 4
; Occupancy: 8
; WaveLimiterHint : 0
; COMPUTE_PGM_RSRC2:SCRATCH_EN: 0
; COMPUTE_PGM_RSRC2:USER_SGPR: 6
; COMPUTE_PGM_RSRC2:TRAP_HANDLER: 0
; COMPUTE_PGM_RSRC2:TGID_X_EN: 1
; COMPUTE_PGM_RSRC2:TGID_Y_EN: 0
; COMPUTE_PGM_RSRC2:TGID_Z_EN: 0
; COMPUTE_PGM_RSRC2:TIDIG_COMP_CNT: 0
; COMPUTE_PGM_RSRC3_GFX90A:ACCUM_OFFSET: 0
; COMPUTE_PGM_RSRC3_GFX90A:TG_SPLIT: 0
	.section	.text._ZN7rocprim17ROCPRIM_400000_NS6detail17trampoline_kernelINS0_14default_configENS1_25transform_config_selectorIlLb0EEEZNS1_14transform_implILb0ES3_S5_NS0_18transform_iteratorINS0_17counting_iteratorImlEEZNS1_24adjacent_difference_implIS3_Lb1ELb0EPlSB_ZN2at6native12_GLOBAL__N_124unique_dim_cuda_templateIiEESt5tupleIJNSC_6TensorESH_SH_EERKSH_lbbbEUlllE1_EE10hipError_tPvRmT2_T3_mT4_P12ihipStream_tbEUlmE_lEESB_NS0_8identityIvEEEESM_SP_SQ_mSR_ST_bEUlT_E_NS1_11comp_targetILNS1_3genE2ELNS1_11target_archE906ELNS1_3gpuE6ELNS1_3repE0EEENS1_30default_config_static_selectorELNS0_4arch9wavefront6targetE1EEEvT1_,"axG",@progbits,_ZN7rocprim17ROCPRIM_400000_NS6detail17trampoline_kernelINS0_14default_configENS1_25transform_config_selectorIlLb0EEEZNS1_14transform_implILb0ES3_S5_NS0_18transform_iteratorINS0_17counting_iteratorImlEEZNS1_24adjacent_difference_implIS3_Lb1ELb0EPlSB_ZN2at6native12_GLOBAL__N_124unique_dim_cuda_templateIiEESt5tupleIJNSC_6TensorESH_SH_EERKSH_lbbbEUlllE1_EE10hipError_tPvRmT2_T3_mT4_P12ihipStream_tbEUlmE_lEESB_NS0_8identityIvEEEESM_SP_SQ_mSR_ST_bEUlT_E_NS1_11comp_targetILNS1_3genE2ELNS1_11target_archE906ELNS1_3gpuE6ELNS1_3repE0EEENS1_30default_config_static_selectorELNS0_4arch9wavefront6targetE1EEEvT1_,comdat
	.globl	_ZN7rocprim17ROCPRIM_400000_NS6detail17trampoline_kernelINS0_14default_configENS1_25transform_config_selectorIlLb0EEEZNS1_14transform_implILb0ES3_S5_NS0_18transform_iteratorINS0_17counting_iteratorImlEEZNS1_24adjacent_difference_implIS3_Lb1ELb0EPlSB_ZN2at6native12_GLOBAL__N_124unique_dim_cuda_templateIiEESt5tupleIJNSC_6TensorESH_SH_EERKSH_lbbbEUlllE1_EE10hipError_tPvRmT2_T3_mT4_P12ihipStream_tbEUlmE_lEESB_NS0_8identityIvEEEESM_SP_SQ_mSR_ST_bEUlT_E_NS1_11comp_targetILNS1_3genE2ELNS1_11target_archE906ELNS1_3gpuE6ELNS1_3repE0EEENS1_30default_config_static_selectorELNS0_4arch9wavefront6targetE1EEEvT1_ ; -- Begin function _ZN7rocprim17ROCPRIM_400000_NS6detail17trampoline_kernelINS0_14default_configENS1_25transform_config_selectorIlLb0EEEZNS1_14transform_implILb0ES3_S5_NS0_18transform_iteratorINS0_17counting_iteratorImlEEZNS1_24adjacent_difference_implIS3_Lb1ELb0EPlSB_ZN2at6native12_GLOBAL__N_124unique_dim_cuda_templateIiEESt5tupleIJNSC_6TensorESH_SH_EERKSH_lbbbEUlllE1_EE10hipError_tPvRmT2_T3_mT4_P12ihipStream_tbEUlmE_lEESB_NS0_8identityIvEEEESM_SP_SQ_mSR_ST_bEUlT_E_NS1_11comp_targetILNS1_3genE2ELNS1_11target_archE906ELNS1_3gpuE6ELNS1_3repE0EEENS1_30default_config_static_selectorELNS0_4arch9wavefront6targetE1EEEvT1_
	.p2align	8
	.type	_ZN7rocprim17ROCPRIM_400000_NS6detail17trampoline_kernelINS0_14default_configENS1_25transform_config_selectorIlLb0EEEZNS1_14transform_implILb0ES3_S5_NS0_18transform_iteratorINS0_17counting_iteratorImlEEZNS1_24adjacent_difference_implIS3_Lb1ELb0EPlSB_ZN2at6native12_GLOBAL__N_124unique_dim_cuda_templateIiEESt5tupleIJNSC_6TensorESH_SH_EERKSH_lbbbEUlllE1_EE10hipError_tPvRmT2_T3_mT4_P12ihipStream_tbEUlmE_lEESB_NS0_8identityIvEEEESM_SP_SQ_mSR_ST_bEUlT_E_NS1_11comp_targetILNS1_3genE2ELNS1_11target_archE906ELNS1_3gpuE6ELNS1_3repE0EEENS1_30default_config_static_selectorELNS0_4arch9wavefront6targetE1EEEvT1_,@function
_ZN7rocprim17ROCPRIM_400000_NS6detail17trampoline_kernelINS0_14default_configENS1_25transform_config_selectorIlLb0EEEZNS1_14transform_implILb0ES3_S5_NS0_18transform_iteratorINS0_17counting_iteratorImlEEZNS1_24adjacent_difference_implIS3_Lb1ELb0EPlSB_ZN2at6native12_GLOBAL__N_124unique_dim_cuda_templateIiEESt5tupleIJNSC_6TensorESH_SH_EERKSH_lbbbEUlllE1_EE10hipError_tPvRmT2_T3_mT4_P12ihipStream_tbEUlmE_lEESB_NS0_8identityIvEEEESM_SP_SQ_mSR_ST_bEUlT_E_NS1_11comp_targetILNS1_3genE2ELNS1_11target_archE906ELNS1_3gpuE6ELNS1_3repE0EEENS1_30default_config_static_selectorELNS0_4arch9wavefront6targetE1EEEvT1_: ; @_ZN7rocprim17ROCPRIM_400000_NS6detail17trampoline_kernelINS0_14default_configENS1_25transform_config_selectorIlLb0EEEZNS1_14transform_implILb0ES3_S5_NS0_18transform_iteratorINS0_17counting_iteratorImlEEZNS1_24adjacent_difference_implIS3_Lb1ELb0EPlSB_ZN2at6native12_GLOBAL__N_124unique_dim_cuda_templateIiEESt5tupleIJNSC_6TensorESH_SH_EERKSH_lbbbEUlllE1_EE10hipError_tPvRmT2_T3_mT4_P12ihipStream_tbEUlmE_lEESB_NS0_8identityIvEEEESM_SP_SQ_mSR_ST_bEUlT_E_NS1_11comp_targetILNS1_3genE2ELNS1_11target_archE906ELNS1_3gpuE6ELNS1_3repE0EEENS1_30default_config_static_selectorELNS0_4arch9wavefront6targetE1EEEvT1_
; %bb.0:
	.section	.rodata,"a",@progbits
	.p2align	6, 0x0
	.amdhsa_kernel _ZN7rocprim17ROCPRIM_400000_NS6detail17trampoline_kernelINS0_14default_configENS1_25transform_config_selectorIlLb0EEEZNS1_14transform_implILb0ES3_S5_NS0_18transform_iteratorINS0_17counting_iteratorImlEEZNS1_24adjacent_difference_implIS3_Lb1ELb0EPlSB_ZN2at6native12_GLOBAL__N_124unique_dim_cuda_templateIiEESt5tupleIJNSC_6TensorESH_SH_EERKSH_lbbbEUlllE1_EE10hipError_tPvRmT2_T3_mT4_P12ihipStream_tbEUlmE_lEESB_NS0_8identityIvEEEESM_SP_SQ_mSR_ST_bEUlT_E_NS1_11comp_targetILNS1_3genE2ELNS1_11target_archE906ELNS1_3gpuE6ELNS1_3repE0EEENS1_30default_config_static_selectorELNS0_4arch9wavefront6targetE1EEEvT1_
		.amdhsa_group_segment_fixed_size 0
		.amdhsa_private_segment_fixed_size 0
		.amdhsa_kernarg_size 56
		.amdhsa_user_sgpr_count 6
		.amdhsa_user_sgpr_private_segment_buffer 1
		.amdhsa_user_sgpr_dispatch_ptr 0
		.amdhsa_user_sgpr_queue_ptr 0
		.amdhsa_user_sgpr_kernarg_segment_ptr 1
		.amdhsa_user_sgpr_dispatch_id 0
		.amdhsa_user_sgpr_flat_scratch_init 0
		.amdhsa_user_sgpr_kernarg_preload_length 0
		.amdhsa_user_sgpr_kernarg_preload_offset 0
		.amdhsa_user_sgpr_private_segment_size 0
		.amdhsa_uses_dynamic_stack 0
		.amdhsa_system_sgpr_private_segment_wavefront_offset 0
		.amdhsa_system_sgpr_workgroup_id_x 1
		.amdhsa_system_sgpr_workgroup_id_y 0
		.amdhsa_system_sgpr_workgroup_id_z 0
		.amdhsa_system_sgpr_workgroup_info 0
		.amdhsa_system_vgpr_workitem_id 0
		.amdhsa_next_free_vgpr 1
		.amdhsa_next_free_sgpr 0
		.amdhsa_accum_offset 4
		.amdhsa_reserve_vcc 0
		.amdhsa_reserve_flat_scratch 0
		.amdhsa_float_round_mode_32 0
		.amdhsa_float_round_mode_16_64 0
		.amdhsa_float_denorm_mode_32 3
		.amdhsa_float_denorm_mode_16_64 3
		.amdhsa_dx10_clamp 1
		.amdhsa_ieee_mode 1
		.amdhsa_fp16_overflow 0
		.amdhsa_tg_split 0
		.amdhsa_exception_fp_ieee_invalid_op 0
		.amdhsa_exception_fp_denorm_src 0
		.amdhsa_exception_fp_ieee_div_zero 0
		.amdhsa_exception_fp_ieee_overflow 0
		.amdhsa_exception_fp_ieee_underflow 0
		.amdhsa_exception_fp_ieee_inexact 0
		.amdhsa_exception_int_div_zero 0
	.end_amdhsa_kernel
	.section	.text._ZN7rocprim17ROCPRIM_400000_NS6detail17trampoline_kernelINS0_14default_configENS1_25transform_config_selectorIlLb0EEEZNS1_14transform_implILb0ES3_S5_NS0_18transform_iteratorINS0_17counting_iteratorImlEEZNS1_24adjacent_difference_implIS3_Lb1ELb0EPlSB_ZN2at6native12_GLOBAL__N_124unique_dim_cuda_templateIiEESt5tupleIJNSC_6TensorESH_SH_EERKSH_lbbbEUlllE1_EE10hipError_tPvRmT2_T3_mT4_P12ihipStream_tbEUlmE_lEESB_NS0_8identityIvEEEESM_SP_SQ_mSR_ST_bEUlT_E_NS1_11comp_targetILNS1_3genE2ELNS1_11target_archE906ELNS1_3gpuE6ELNS1_3repE0EEENS1_30default_config_static_selectorELNS0_4arch9wavefront6targetE1EEEvT1_,"axG",@progbits,_ZN7rocprim17ROCPRIM_400000_NS6detail17trampoline_kernelINS0_14default_configENS1_25transform_config_selectorIlLb0EEEZNS1_14transform_implILb0ES3_S5_NS0_18transform_iteratorINS0_17counting_iteratorImlEEZNS1_24adjacent_difference_implIS3_Lb1ELb0EPlSB_ZN2at6native12_GLOBAL__N_124unique_dim_cuda_templateIiEESt5tupleIJNSC_6TensorESH_SH_EERKSH_lbbbEUlllE1_EE10hipError_tPvRmT2_T3_mT4_P12ihipStream_tbEUlmE_lEESB_NS0_8identityIvEEEESM_SP_SQ_mSR_ST_bEUlT_E_NS1_11comp_targetILNS1_3genE2ELNS1_11target_archE906ELNS1_3gpuE6ELNS1_3repE0EEENS1_30default_config_static_selectorELNS0_4arch9wavefront6targetE1EEEvT1_,comdat
.Lfunc_end428:
	.size	_ZN7rocprim17ROCPRIM_400000_NS6detail17trampoline_kernelINS0_14default_configENS1_25transform_config_selectorIlLb0EEEZNS1_14transform_implILb0ES3_S5_NS0_18transform_iteratorINS0_17counting_iteratorImlEEZNS1_24adjacent_difference_implIS3_Lb1ELb0EPlSB_ZN2at6native12_GLOBAL__N_124unique_dim_cuda_templateIiEESt5tupleIJNSC_6TensorESH_SH_EERKSH_lbbbEUlllE1_EE10hipError_tPvRmT2_T3_mT4_P12ihipStream_tbEUlmE_lEESB_NS0_8identityIvEEEESM_SP_SQ_mSR_ST_bEUlT_E_NS1_11comp_targetILNS1_3genE2ELNS1_11target_archE906ELNS1_3gpuE6ELNS1_3repE0EEENS1_30default_config_static_selectorELNS0_4arch9wavefront6targetE1EEEvT1_, .Lfunc_end428-_ZN7rocprim17ROCPRIM_400000_NS6detail17trampoline_kernelINS0_14default_configENS1_25transform_config_selectorIlLb0EEEZNS1_14transform_implILb0ES3_S5_NS0_18transform_iteratorINS0_17counting_iteratorImlEEZNS1_24adjacent_difference_implIS3_Lb1ELb0EPlSB_ZN2at6native12_GLOBAL__N_124unique_dim_cuda_templateIiEESt5tupleIJNSC_6TensorESH_SH_EERKSH_lbbbEUlllE1_EE10hipError_tPvRmT2_T3_mT4_P12ihipStream_tbEUlmE_lEESB_NS0_8identityIvEEEESM_SP_SQ_mSR_ST_bEUlT_E_NS1_11comp_targetILNS1_3genE2ELNS1_11target_archE906ELNS1_3gpuE6ELNS1_3repE0EEENS1_30default_config_static_selectorELNS0_4arch9wavefront6targetE1EEEvT1_
                                        ; -- End function
	.section	.AMDGPU.csdata,"",@progbits
; Kernel info:
; codeLenInByte = 0
; NumSgprs: 4
; NumVgprs: 0
; NumAgprs: 0
; TotalNumVgprs: 0
; ScratchSize: 0
; MemoryBound: 0
; FloatMode: 240
; IeeeMode: 1
; LDSByteSize: 0 bytes/workgroup (compile time only)
; SGPRBlocks: 0
; VGPRBlocks: 0
; NumSGPRsForWavesPerEU: 4
; NumVGPRsForWavesPerEU: 1
; AccumOffset: 4
; Occupancy: 8
; WaveLimiterHint : 0
; COMPUTE_PGM_RSRC2:SCRATCH_EN: 0
; COMPUTE_PGM_RSRC2:USER_SGPR: 6
; COMPUTE_PGM_RSRC2:TRAP_HANDLER: 0
; COMPUTE_PGM_RSRC2:TGID_X_EN: 1
; COMPUTE_PGM_RSRC2:TGID_Y_EN: 0
; COMPUTE_PGM_RSRC2:TGID_Z_EN: 0
; COMPUTE_PGM_RSRC2:TIDIG_COMP_CNT: 0
; COMPUTE_PGM_RSRC3_GFX90A:ACCUM_OFFSET: 0
; COMPUTE_PGM_RSRC3_GFX90A:TG_SPLIT: 0
	.section	.text._ZN7rocprim17ROCPRIM_400000_NS6detail17trampoline_kernelINS0_14default_configENS1_25transform_config_selectorIlLb0EEEZNS1_14transform_implILb0ES3_S5_NS0_18transform_iteratorINS0_17counting_iteratorImlEEZNS1_24adjacent_difference_implIS3_Lb1ELb0EPlSB_ZN2at6native12_GLOBAL__N_124unique_dim_cuda_templateIiEESt5tupleIJNSC_6TensorESH_SH_EERKSH_lbbbEUlllE1_EE10hipError_tPvRmT2_T3_mT4_P12ihipStream_tbEUlmE_lEESB_NS0_8identityIvEEEESM_SP_SQ_mSR_ST_bEUlT_E_NS1_11comp_targetILNS1_3genE10ELNS1_11target_archE1201ELNS1_3gpuE5ELNS1_3repE0EEENS1_30default_config_static_selectorELNS0_4arch9wavefront6targetE1EEEvT1_,"axG",@progbits,_ZN7rocprim17ROCPRIM_400000_NS6detail17trampoline_kernelINS0_14default_configENS1_25transform_config_selectorIlLb0EEEZNS1_14transform_implILb0ES3_S5_NS0_18transform_iteratorINS0_17counting_iteratorImlEEZNS1_24adjacent_difference_implIS3_Lb1ELb0EPlSB_ZN2at6native12_GLOBAL__N_124unique_dim_cuda_templateIiEESt5tupleIJNSC_6TensorESH_SH_EERKSH_lbbbEUlllE1_EE10hipError_tPvRmT2_T3_mT4_P12ihipStream_tbEUlmE_lEESB_NS0_8identityIvEEEESM_SP_SQ_mSR_ST_bEUlT_E_NS1_11comp_targetILNS1_3genE10ELNS1_11target_archE1201ELNS1_3gpuE5ELNS1_3repE0EEENS1_30default_config_static_selectorELNS0_4arch9wavefront6targetE1EEEvT1_,comdat
	.globl	_ZN7rocprim17ROCPRIM_400000_NS6detail17trampoline_kernelINS0_14default_configENS1_25transform_config_selectorIlLb0EEEZNS1_14transform_implILb0ES3_S5_NS0_18transform_iteratorINS0_17counting_iteratorImlEEZNS1_24adjacent_difference_implIS3_Lb1ELb0EPlSB_ZN2at6native12_GLOBAL__N_124unique_dim_cuda_templateIiEESt5tupleIJNSC_6TensorESH_SH_EERKSH_lbbbEUlllE1_EE10hipError_tPvRmT2_T3_mT4_P12ihipStream_tbEUlmE_lEESB_NS0_8identityIvEEEESM_SP_SQ_mSR_ST_bEUlT_E_NS1_11comp_targetILNS1_3genE10ELNS1_11target_archE1201ELNS1_3gpuE5ELNS1_3repE0EEENS1_30default_config_static_selectorELNS0_4arch9wavefront6targetE1EEEvT1_ ; -- Begin function _ZN7rocprim17ROCPRIM_400000_NS6detail17trampoline_kernelINS0_14default_configENS1_25transform_config_selectorIlLb0EEEZNS1_14transform_implILb0ES3_S5_NS0_18transform_iteratorINS0_17counting_iteratorImlEEZNS1_24adjacent_difference_implIS3_Lb1ELb0EPlSB_ZN2at6native12_GLOBAL__N_124unique_dim_cuda_templateIiEESt5tupleIJNSC_6TensorESH_SH_EERKSH_lbbbEUlllE1_EE10hipError_tPvRmT2_T3_mT4_P12ihipStream_tbEUlmE_lEESB_NS0_8identityIvEEEESM_SP_SQ_mSR_ST_bEUlT_E_NS1_11comp_targetILNS1_3genE10ELNS1_11target_archE1201ELNS1_3gpuE5ELNS1_3repE0EEENS1_30default_config_static_selectorELNS0_4arch9wavefront6targetE1EEEvT1_
	.p2align	8
	.type	_ZN7rocprim17ROCPRIM_400000_NS6detail17trampoline_kernelINS0_14default_configENS1_25transform_config_selectorIlLb0EEEZNS1_14transform_implILb0ES3_S5_NS0_18transform_iteratorINS0_17counting_iteratorImlEEZNS1_24adjacent_difference_implIS3_Lb1ELb0EPlSB_ZN2at6native12_GLOBAL__N_124unique_dim_cuda_templateIiEESt5tupleIJNSC_6TensorESH_SH_EERKSH_lbbbEUlllE1_EE10hipError_tPvRmT2_T3_mT4_P12ihipStream_tbEUlmE_lEESB_NS0_8identityIvEEEESM_SP_SQ_mSR_ST_bEUlT_E_NS1_11comp_targetILNS1_3genE10ELNS1_11target_archE1201ELNS1_3gpuE5ELNS1_3repE0EEENS1_30default_config_static_selectorELNS0_4arch9wavefront6targetE1EEEvT1_,@function
_ZN7rocprim17ROCPRIM_400000_NS6detail17trampoline_kernelINS0_14default_configENS1_25transform_config_selectorIlLb0EEEZNS1_14transform_implILb0ES3_S5_NS0_18transform_iteratorINS0_17counting_iteratorImlEEZNS1_24adjacent_difference_implIS3_Lb1ELb0EPlSB_ZN2at6native12_GLOBAL__N_124unique_dim_cuda_templateIiEESt5tupleIJNSC_6TensorESH_SH_EERKSH_lbbbEUlllE1_EE10hipError_tPvRmT2_T3_mT4_P12ihipStream_tbEUlmE_lEESB_NS0_8identityIvEEEESM_SP_SQ_mSR_ST_bEUlT_E_NS1_11comp_targetILNS1_3genE10ELNS1_11target_archE1201ELNS1_3gpuE5ELNS1_3repE0EEENS1_30default_config_static_selectorELNS0_4arch9wavefront6targetE1EEEvT1_: ; @_ZN7rocprim17ROCPRIM_400000_NS6detail17trampoline_kernelINS0_14default_configENS1_25transform_config_selectorIlLb0EEEZNS1_14transform_implILb0ES3_S5_NS0_18transform_iteratorINS0_17counting_iteratorImlEEZNS1_24adjacent_difference_implIS3_Lb1ELb0EPlSB_ZN2at6native12_GLOBAL__N_124unique_dim_cuda_templateIiEESt5tupleIJNSC_6TensorESH_SH_EERKSH_lbbbEUlllE1_EE10hipError_tPvRmT2_T3_mT4_P12ihipStream_tbEUlmE_lEESB_NS0_8identityIvEEEESM_SP_SQ_mSR_ST_bEUlT_E_NS1_11comp_targetILNS1_3genE10ELNS1_11target_archE1201ELNS1_3gpuE5ELNS1_3repE0EEENS1_30default_config_static_selectorELNS0_4arch9wavefront6targetE1EEEvT1_
; %bb.0:
	.section	.rodata,"a",@progbits
	.p2align	6, 0x0
	.amdhsa_kernel _ZN7rocprim17ROCPRIM_400000_NS6detail17trampoline_kernelINS0_14default_configENS1_25transform_config_selectorIlLb0EEEZNS1_14transform_implILb0ES3_S5_NS0_18transform_iteratorINS0_17counting_iteratorImlEEZNS1_24adjacent_difference_implIS3_Lb1ELb0EPlSB_ZN2at6native12_GLOBAL__N_124unique_dim_cuda_templateIiEESt5tupleIJNSC_6TensorESH_SH_EERKSH_lbbbEUlllE1_EE10hipError_tPvRmT2_T3_mT4_P12ihipStream_tbEUlmE_lEESB_NS0_8identityIvEEEESM_SP_SQ_mSR_ST_bEUlT_E_NS1_11comp_targetILNS1_3genE10ELNS1_11target_archE1201ELNS1_3gpuE5ELNS1_3repE0EEENS1_30default_config_static_selectorELNS0_4arch9wavefront6targetE1EEEvT1_
		.amdhsa_group_segment_fixed_size 0
		.amdhsa_private_segment_fixed_size 0
		.amdhsa_kernarg_size 56
		.amdhsa_user_sgpr_count 6
		.amdhsa_user_sgpr_private_segment_buffer 1
		.amdhsa_user_sgpr_dispatch_ptr 0
		.amdhsa_user_sgpr_queue_ptr 0
		.amdhsa_user_sgpr_kernarg_segment_ptr 1
		.amdhsa_user_sgpr_dispatch_id 0
		.amdhsa_user_sgpr_flat_scratch_init 0
		.amdhsa_user_sgpr_kernarg_preload_length 0
		.amdhsa_user_sgpr_kernarg_preload_offset 0
		.amdhsa_user_sgpr_private_segment_size 0
		.amdhsa_uses_dynamic_stack 0
		.amdhsa_system_sgpr_private_segment_wavefront_offset 0
		.amdhsa_system_sgpr_workgroup_id_x 1
		.amdhsa_system_sgpr_workgroup_id_y 0
		.amdhsa_system_sgpr_workgroup_id_z 0
		.amdhsa_system_sgpr_workgroup_info 0
		.amdhsa_system_vgpr_workitem_id 0
		.amdhsa_next_free_vgpr 1
		.amdhsa_next_free_sgpr 0
		.amdhsa_accum_offset 4
		.amdhsa_reserve_vcc 0
		.amdhsa_reserve_flat_scratch 0
		.amdhsa_float_round_mode_32 0
		.amdhsa_float_round_mode_16_64 0
		.amdhsa_float_denorm_mode_32 3
		.amdhsa_float_denorm_mode_16_64 3
		.amdhsa_dx10_clamp 1
		.amdhsa_ieee_mode 1
		.amdhsa_fp16_overflow 0
		.amdhsa_tg_split 0
		.amdhsa_exception_fp_ieee_invalid_op 0
		.amdhsa_exception_fp_denorm_src 0
		.amdhsa_exception_fp_ieee_div_zero 0
		.amdhsa_exception_fp_ieee_overflow 0
		.amdhsa_exception_fp_ieee_underflow 0
		.amdhsa_exception_fp_ieee_inexact 0
		.amdhsa_exception_int_div_zero 0
	.end_amdhsa_kernel
	.section	.text._ZN7rocprim17ROCPRIM_400000_NS6detail17trampoline_kernelINS0_14default_configENS1_25transform_config_selectorIlLb0EEEZNS1_14transform_implILb0ES3_S5_NS0_18transform_iteratorINS0_17counting_iteratorImlEEZNS1_24adjacent_difference_implIS3_Lb1ELb0EPlSB_ZN2at6native12_GLOBAL__N_124unique_dim_cuda_templateIiEESt5tupleIJNSC_6TensorESH_SH_EERKSH_lbbbEUlllE1_EE10hipError_tPvRmT2_T3_mT4_P12ihipStream_tbEUlmE_lEESB_NS0_8identityIvEEEESM_SP_SQ_mSR_ST_bEUlT_E_NS1_11comp_targetILNS1_3genE10ELNS1_11target_archE1201ELNS1_3gpuE5ELNS1_3repE0EEENS1_30default_config_static_selectorELNS0_4arch9wavefront6targetE1EEEvT1_,"axG",@progbits,_ZN7rocprim17ROCPRIM_400000_NS6detail17trampoline_kernelINS0_14default_configENS1_25transform_config_selectorIlLb0EEEZNS1_14transform_implILb0ES3_S5_NS0_18transform_iteratorINS0_17counting_iteratorImlEEZNS1_24adjacent_difference_implIS3_Lb1ELb0EPlSB_ZN2at6native12_GLOBAL__N_124unique_dim_cuda_templateIiEESt5tupleIJNSC_6TensorESH_SH_EERKSH_lbbbEUlllE1_EE10hipError_tPvRmT2_T3_mT4_P12ihipStream_tbEUlmE_lEESB_NS0_8identityIvEEEESM_SP_SQ_mSR_ST_bEUlT_E_NS1_11comp_targetILNS1_3genE10ELNS1_11target_archE1201ELNS1_3gpuE5ELNS1_3repE0EEENS1_30default_config_static_selectorELNS0_4arch9wavefront6targetE1EEEvT1_,comdat
.Lfunc_end429:
	.size	_ZN7rocprim17ROCPRIM_400000_NS6detail17trampoline_kernelINS0_14default_configENS1_25transform_config_selectorIlLb0EEEZNS1_14transform_implILb0ES3_S5_NS0_18transform_iteratorINS0_17counting_iteratorImlEEZNS1_24adjacent_difference_implIS3_Lb1ELb0EPlSB_ZN2at6native12_GLOBAL__N_124unique_dim_cuda_templateIiEESt5tupleIJNSC_6TensorESH_SH_EERKSH_lbbbEUlllE1_EE10hipError_tPvRmT2_T3_mT4_P12ihipStream_tbEUlmE_lEESB_NS0_8identityIvEEEESM_SP_SQ_mSR_ST_bEUlT_E_NS1_11comp_targetILNS1_3genE10ELNS1_11target_archE1201ELNS1_3gpuE5ELNS1_3repE0EEENS1_30default_config_static_selectorELNS0_4arch9wavefront6targetE1EEEvT1_, .Lfunc_end429-_ZN7rocprim17ROCPRIM_400000_NS6detail17trampoline_kernelINS0_14default_configENS1_25transform_config_selectorIlLb0EEEZNS1_14transform_implILb0ES3_S5_NS0_18transform_iteratorINS0_17counting_iteratorImlEEZNS1_24adjacent_difference_implIS3_Lb1ELb0EPlSB_ZN2at6native12_GLOBAL__N_124unique_dim_cuda_templateIiEESt5tupleIJNSC_6TensorESH_SH_EERKSH_lbbbEUlllE1_EE10hipError_tPvRmT2_T3_mT4_P12ihipStream_tbEUlmE_lEESB_NS0_8identityIvEEEESM_SP_SQ_mSR_ST_bEUlT_E_NS1_11comp_targetILNS1_3genE10ELNS1_11target_archE1201ELNS1_3gpuE5ELNS1_3repE0EEENS1_30default_config_static_selectorELNS0_4arch9wavefront6targetE1EEEvT1_
                                        ; -- End function
	.section	.AMDGPU.csdata,"",@progbits
; Kernel info:
; codeLenInByte = 0
; NumSgprs: 4
; NumVgprs: 0
; NumAgprs: 0
; TotalNumVgprs: 0
; ScratchSize: 0
; MemoryBound: 0
; FloatMode: 240
; IeeeMode: 1
; LDSByteSize: 0 bytes/workgroup (compile time only)
; SGPRBlocks: 0
; VGPRBlocks: 0
; NumSGPRsForWavesPerEU: 4
; NumVGPRsForWavesPerEU: 1
; AccumOffset: 4
; Occupancy: 8
; WaveLimiterHint : 0
; COMPUTE_PGM_RSRC2:SCRATCH_EN: 0
; COMPUTE_PGM_RSRC2:USER_SGPR: 6
; COMPUTE_PGM_RSRC2:TRAP_HANDLER: 0
; COMPUTE_PGM_RSRC2:TGID_X_EN: 1
; COMPUTE_PGM_RSRC2:TGID_Y_EN: 0
; COMPUTE_PGM_RSRC2:TGID_Z_EN: 0
; COMPUTE_PGM_RSRC2:TIDIG_COMP_CNT: 0
; COMPUTE_PGM_RSRC3_GFX90A:ACCUM_OFFSET: 0
; COMPUTE_PGM_RSRC3_GFX90A:TG_SPLIT: 0
	.section	.text._ZN7rocprim17ROCPRIM_400000_NS6detail17trampoline_kernelINS0_14default_configENS1_25transform_config_selectorIlLb0EEEZNS1_14transform_implILb0ES3_S5_NS0_18transform_iteratorINS0_17counting_iteratorImlEEZNS1_24adjacent_difference_implIS3_Lb1ELb0EPlSB_ZN2at6native12_GLOBAL__N_124unique_dim_cuda_templateIiEESt5tupleIJNSC_6TensorESH_SH_EERKSH_lbbbEUlllE1_EE10hipError_tPvRmT2_T3_mT4_P12ihipStream_tbEUlmE_lEESB_NS0_8identityIvEEEESM_SP_SQ_mSR_ST_bEUlT_E_NS1_11comp_targetILNS1_3genE10ELNS1_11target_archE1200ELNS1_3gpuE4ELNS1_3repE0EEENS1_30default_config_static_selectorELNS0_4arch9wavefront6targetE1EEEvT1_,"axG",@progbits,_ZN7rocprim17ROCPRIM_400000_NS6detail17trampoline_kernelINS0_14default_configENS1_25transform_config_selectorIlLb0EEEZNS1_14transform_implILb0ES3_S5_NS0_18transform_iteratorINS0_17counting_iteratorImlEEZNS1_24adjacent_difference_implIS3_Lb1ELb0EPlSB_ZN2at6native12_GLOBAL__N_124unique_dim_cuda_templateIiEESt5tupleIJNSC_6TensorESH_SH_EERKSH_lbbbEUlllE1_EE10hipError_tPvRmT2_T3_mT4_P12ihipStream_tbEUlmE_lEESB_NS0_8identityIvEEEESM_SP_SQ_mSR_ST_bEUlT_E_NS1_11comp_targetILNS1_3genE10ELNS1_11target_archE1200ELNS1_3gpuE4ELNS1_3repE0EEENS1_30default_config_static_selectorELNS0_4arch9wavefront6targetE1EEEvT1_,comdat
	.globl	_ZN7rocprim17ROCPRIM_400000_NS6detail17trampoline_kernelINS0_14default_configENS1_25transform_config_selectorIlLb0EEEZNS1_14transform_implILb0ES3_S5_NS0_18transform_iteratorINS0_17counting_iteratorImlEEZNS1_24adjacent_difference_implIS3_Lb1ELb0EPlSB_ZN2at6native12_GLOBAL__N_124unique_dim_cuda_templateIiEESt5tupleIJNSC_6TensorESH_SH_EERKSH_lbbbEUlllE1_EE10hipError_tPvRmT2_T3_mT4_P12ihipStream_tbEUlmE_lEESB_NS0_8identityIvEEEESM_SP_SQ_mSR_ST_bEUlT_E_NS1_11comp_targetILNS1_3genE10ELNS1_11target_archE1200ELNS1_3gpuE4ELNS1_3repE0EEENS1_30default_config_static_selectorELNS0_4arch9wavefront6targetE1EEEvT1_ ; -- Begin function _ZN7rocprim17ROCPRIM_400000_NS6detail17trampoline_kernelINS0_14default_configENS1_25transform_config_selectorIlLb0EEEZNS1_14transform_implILb0ES3_S5_NS0_18transform_iteratorINS0_17counting_iteratorImlEEZNS1_24adjacent_difference_implIS3_Lb1ELb0EPlSB_ZN2at6native12_GLOBAL__N_124unique_dim_cuda_templateIiEESt5tupleIJNSC_6TensorESH_SH_EERKSH_lbbbEUlllE1_EE10hipError_tPvRmT2_T3_mT4_P12ihipStream_tbEUlmE_lEESB_NS0_8identityIvEEEESM_SP_SQ_mSR_ST_bEUlT_E_NS1_11comp_targetILNS1_3genE10ELNS1_11target_archE1200ELNS1_3gpuE4ELNS1_3repE0EEENS1_30default_config_static_selectorELNS0_4arch9wavefront6targetE1EEEvT1_
	.p2align	8
	.type	_ZN7rocprim17ROCPRIM_400000_NS6detail17trampoline_kernelINS0_14default_configENS1_25transform_config_selectorIlLb0EEEZNS1_14transform_implILb0ES3_S5_NS0_18transform_iteratorINS0_17counting_iteratorImlEEZNS1_24adjacent_difference_implIS3_Lb1ELb0EPlSB_ZN2at6native12_GLOBAL__N_124unique_dim_cuda_templateIiEESt5tupleIJNSC_6TensorESH_SH_EERKSH_lbbbEUlllE1_EE10hipError_tPvRmT2_T3_mT4_P12ihipStream_tbEUlmE_lEESB_NS0_8identityIvEEEESM_SP_SQ_mSR_ST_bEUlT_E_NS1_11comp_targetILNS1_3genE10ELNS1_11target_archE1200ELNS1_3gpuE4ELNS1_3repE0EEENS1_30default_config_static_selectorELNS0_4arch9wavefront6targetE1EEEvT1_,@function
_ZN7rocprim17ROCPRIM_400000_NS6detail17trampoline_kernelINS0_14default_configENS1_25transform_config_selectorIlLb0EEEZNS1_14transform_implILb0ES3_S5_NS0_18transform_iteratorINS0_17counting_iteratorImlEEZNS1_24adjacent_difference_implIS3_Lb1ELb0EPlSB_ZN2at6native12_GLOBAL__N_124unique_dim_cuda_templateIiEESt5tupleIJNSC_6TensorESH_SH_EERKSH_lbbbEUlllE1_EE10hipError_tPvRmT2_T3_mT4_P12ihipStream_tbEUlmE_lEESB_NS0_8identityIvEEEESM_SP_SQ_mSR_ST_bEUlT_E_NS1_11comp_targetILNS1_3genE10ELNS1_11target_archE1200ELNS1_3gpuE4ELNS1_3repE0EEENS1_30default_config_static_selectorELNS0_4arch9wavefront6targetE1EEEvT1_: ; @_ZN7rocprim17ROCPRIM_400000_NS6detail17trampoline_kernelINS0_14default_configENS1_25transform_config_selectorIlLb0EEEZNS1_14transform_implILb0ES3_S5_NS0_18transform_iteratorINS0_17counting_iteratorImlEEZNS1_24adjacent_difference_implIS3_Lb1ELb0EPlSB_ZN2at6native12_GLOBAL__N_124unique_dim_cuda_templateIiEESt5tupleIJNSC_6TensorESH_SH_EERKSH_lbbbEUlllE1_EE10hipError_tPvRmT2_T3_mT4_P12ihipStream_tbEUlmE_lEESB_NS0_8identityIvEEEESM_SP_SQ_mSR_ST_bEUlT_E_NS1_11comp_targetILNS1_3genE10ELNS1_11target_archE1200ELNS1_3gpuE4ELNS1_3repE0EEENS1_30default_config_static_selectorELNS0_4arch9wavefront6targetE1EEEvT1_
; %bb.0:
	.section	.rodata,"a",@progbits
	.p2align	6, 0x0
	.amdhsa_kernel _ZN7rocprim17ROCPRIM_400000_NS6detail17trampoline_kernelINS0_14default_configENS1_25transform_config_selectorIlLb0EEEZNS1_14transform_implILb0ES3_S5_NS0_18transform_iteratorINS0_17counting_iteratorImlEEZNS1_24adjacent_difference_implIS3_Lb1ELb0EPlSB_ZN2at6native12_GLOBAL__N_124unique_dim_cuda_templateIiEESt5tupleIJNSC_6TensorESH_SH_EERKSH_lbbbEUlllE1_EE10hipError_tPvRmT2_T3_mT4_P12ihipStream_tbEUlmE_lEESB_NS0_8identityIvEEEESM_SP_SQ_mSR_ST_bEUlT_E_NS1_11comp_targetILNS1_3genE10ELNS1_11target_archE1200ELNS1_3gpuE4ELNS1_3repE0EEENS1_30default_config_static_selectorELNS0_4arch9wavefront6targetE1EEEvT1_
		.amdhsa_group_segment_fixed_size 0
		.amdhsa_private_segment_fixed_size 0
		.amdhsa_kernarg_size 56
		.amdhsa_user_sgpr_count 6
		.amdhsa_user_sgpr_private_segment_buffer 1
		.amdhsa_user_sgpr_dispatch_ptr 0
		.amdhsa_user_sgpr_queue_ptr 0
		.amdhsa_user_sgpr_kernarg_segment_ptr 1
		.amdhsa_user_sgpr_dispatch_id 0
		.amdhsa_user_sgpr_flat_scratch_init 0
		.amdhsa_user_sgpr_kernarg_preload_length 0
		.amdhsa_user_sgpr_kernarg_preload_offset 0
		.amdhsa_user_sgpr_private_segment_size 0
		.amdhsa_uses_dynamic_stack 0
		.amdhsa_system_sgpr_private_segment_wavefront_offset 0
		.amdhsa_system_sgpr_workgroup_id_x 1
		.amdhsa_system_sgpr_workgroup_id_y 0
		.amdhsa_system_sgpr_workgroup_id_z 0
		.amdhsa_system_sgpr_workgroup_info 0
		.amdhsa_system_vgpr_workitem_id 0
		.amdhsa_next_free_vgpr 1
		.amdhsa_next_free_sgpr 0
		.amdhsa_accum_offset 4
		.amdhsa_reserve_vcc 0
		.amdhsa_reserve_flat_scratch 0
		.amdhsa_float_round_mode_32 0
		.amdhsa_float_round_mode_16_64 0
		.amdhsa_float_denorm_mode_32 3
		.amdhsa_float_denorm_mode_16_64 3
		.amdhsa_dx10_clamp 1
		.amdhsa_ieee_mode 1
		.amdhsa_fp16_overflow 0
		.amdhsa_tg_split 0
		.amdhsa_exception_fp_ieee_invalid_op 0
		.amdhsa_exception_fp_denorm_src 0
		.amdhsa_exception_fp_ieee_div_zero 0
		.amdhsa_exception_fp_ieee_overflow 0
		.amdhsa_exception_fp_ieee_underflow 0
		.amdhsa_exception_fp_ieee_inexact 0
		.amdhsa_exception_int_div_zero 0
	.end_amdhsa_kernel
	.section	.text._ZN7rocprim17ROCPRIM_400000_NS6detail17trampoline_kernelINS0_14default_configENS1_25transform_config_selectorIlLb0EEEZNS1_14transform_implILb0ES3_S5_NS0_18transform_iteratorINS0_17counting_iteratorImlEEZNS1_24adjacent_difference_implIS3_Lb1ELb0EPlSB_ZN2at6native12_GLOBAL__N_124unique_dim_cuda_templateIiEESt5tupleIJNSC_6TensorESH_SH_EERKSH_lbbbEUlllE1_EE10hipError_tPvRmT2_T3_mT4_P12ihipStream_tbEUlmE_lEESB_NS0_8identityIvEEEESM_SP_SQ_mSR_ST_bEUlT_E_NS1_11comp_targetILNS1_3genE10ELNS1_11target_archE1200ELNS1_3gpuE4ELNS1_3repE0EEENS1_30default_config_static_selectorELNS0_4arch9wavefront6targetE1EEEvT1_,"axG",@progbits,_ZN7rocprim17ROCPRIM_400000_NS6detail17trampoline_kernelINS0_14default_configENS1_25transform_config_selectorIlLb0EEEZNS1_14transform_implILb0ES3_S5_NS0_18transform_iteratorINS0_17counting_iteratorImlEEZNS1_24adjacent_difference_implIS3_Lb1ELb0EPlSB_ZN2at6native12_GLOBAL__N_124unique_dim_cuda_templateIiEESt5tupleIJNSC_6TensorESH_SH_EERKSH_lbbbEUlllE1_EE10hipError_tPvRmT2_T3_mT4_P12ihipStream_tbEUlmE_lEESB_NS0_8identityIvEEEESM_SP_SQ_mSR_ST_bEUlT_E_NS1_11comp_targetILNS1_3genE10ELNS1_11target_archE1200ELNS1_3gpuE4ELNS1_3repE0EEENS1_30default_config_static_selectorELNS0_4arch9wavefront6targetE1EEEvT1_,comdat
.Lfunc_end430:
	.size	_ZN7rocprim17ROCPRIM_400000_NS6detail17trampoline_kernelINS0_14default_configENS1_25transform_config_selectorIlLb0EEEZNS1_14transform_implILb0ES3_S5_NS0_18transform_iteratorINS0_17counting_iteratorImlEEZNS1_24adjacent_difference_implIS3_Lb1ELb0EPlSB_ZN2at6native12_GLOBAL__N_124unique_dim_cuda_templateIiEESt5tupleIJNSC_6TensorESH_SH_EERKSH_lbbbEUlllE1_EE10hipError_tPvRmT2_T3_mT4_P12ihipStream_tbEUlmE_lEESB_NS0_8identityIvEEEESM_SP_SQ_mSR_ST_bEUlT_E_NS1_11comp_targetILNS1_3genE10ELNS1_11target_archE1200ELNS1_3gpuE4ELNS1_3repE0EEENS1_30default_config_static_selectorELNS0_4arch9wavefront6targetE1EEEvT1_, .Lfunc_end430-_ZN7rocprim17ROCPRIM_400000_NS6detail17trampoline_kernelINS0_14default_configENS1_25transform_config_selectorIlLb0EEEZNS1_14transform_implILb0ES3_S5_NS0_18transform_iteratorINS0_17counting_iteratorImlEEZNS1_24adjacent_difference_implIS3_Lb1ELb0EPlSB_ZN2at6native12_GLOBAL__N_124unique_dim_cuda_templateIiEESt5tupleIJNSC_6TensorESH_SH_EERKSH_lbbbEUlllE1_EE10hipError_tPvRmT2_T3_mT4_P12ihipStream_tbEUlmE_lEESB_NS0_8identityIvEEEESM_SP_SQ_mSR_ST_bEUlT_E_NS1_11comp_targetILNS1_3genE10ELNS1_11target_archE1200ELNS1_3gpuE4ELNS1_3repE0EEENS1_30default_config_static_selectorELNS0_4arch9wavefront6targetE1EEEvT1_
                                        ; -- End function
	.section	.AMDGPU.csdata,"",@progbits
; Kernel info:
; codeLenInByte = 0
; NumSgprs: 4
; NumVgprs: 0
; NumAgprs: 0
; TotalNumVgprs: 0
; ScratchSize: 0
; MemoryBound: 0
; FloatMode: 240
; IeeeMode: 1
; LDSByteSize: 0 bytes/workgroup (compile time only)
; SGPRBlocks: 0
; VGPRBlocks: 0
; NumSGPRsForWavesPerEU: 4
; NumVGPRsForWavesPerEU: 1
; AccumOffset: 4
; Occupancy: 8
; WaveLimiterHint : 0
; COMPUTE_PGM_RSRC2:SCRATCH_EN: 0
; COMPUTE_PGM_RSRC2:USER_SGPR: 6
; COMPUTE_PGM_RSRC2:TRAP_HANDLER: 0
; COMPUTE_PGM_RSRC2:TGID_X_EN: 1
; COMPUTE_PGM_RSRC2:TGID_Y_EN: 0
; COMPUTE_PGM_RSRC2:TGID_Z_EN: 0
; COMPUTE_PGM_RSRC2:TIDIG_COMP_CNT: 0
; COMPUTE_PGM_RSRC3_GFX90A:ACCUM_OFFSET: 0
; COMPUTE_PGM_RSRC3_GFX90A:TG_SPLIT: 0
	.section	.text._ZN7rocprim17ROCPRIM_400000_NS6detail17trampoline_kernelINS0_14default_configENS1_25transform_config_selectorIlLb0EEEZNS1_14transform_implILb0ES3_S5_NS0_18transform_iteratorINS0_17counting_iteratorImlEEZNS1_24adjacent_difference_implIS3_Lb1ELb0EPlSB_ZN2at6native12_GLOBAL__N_124unique_dim_cuda_templateIiEESt5tupleIJNSC_6TensorESH_SH_EERKSH_lbbbEUlllE1_EE10hipError_tPvRmT2_T3_mT4_P12ihipStream_tbEUlmE_lEESB_NS0_8identityIvEEEESM_SP_SQ_mSR_ST_bEUlT_E_NS1_11comp_targetILNS1_3genE9ELNS1_11target_archE1100ELNS1_3gpuE3ELNS1_3repE0EEENS1_30default_config_static_selectorELNS0_4arch9wavefront6targetE1EEEvT1_,"axG",@progbits,_ZN7rocprim17ROCPRIM_400000_NS6detail17trampoline_kernelINS0_14default_configENS1_25transform_config_selectorIlLb0EEEZNS1_14transform_implILb0ES3_S5_NS0_18transform_iteratorINS0_17counting_iteratorImlEEZNS1_24adjacent_difference_implIS3_Lb1ELb0EPlSB_ZN2at6native12_GLOBAL__N_124unique_dim_cuda_templateIiEESt5tupleIJNSC_6TensorESH_SH_EERKSH_lbbbEUlllE1_EE10hipError_tPvRmT2_T3_mT4_P12ihipStream_tbEUlmE_lEESB_NS0_8identityIvEEEESM_SP_SQ_mSR_ST_bEUlT_E_NS1_11comp_targetILNS1_3genE9ELNS1_11target_archE1100ELNS1_3gpuE3ELNS1_3repE0EEENS1_30default_config_static_selectorELNS0_4arch9wavefront6targetE1EEEvT1_,comdat
	.globl	_ZN7rocprim17ROCPRIM_400000_NS6detail17trampoline_kernelINS0_14default_configENS1_25transform_config_selectorIlLb0EEEZNS1_14transform_implILb0ES3_S5_NS0_18transform_iteratorINS0_17counting_iteratorImlEEZNS1_24adjacent_difference_implIS3_Lb1ELb0EPlSB_ZN2at6native12_GLOBAL__N_124unique_dim_cuda_templateIiEESt5tupleIJNSC_6TensorESH_SH_EERKSH_lbbbEUlllE1_EE10hipError_tPvRmT2_T3_mT4_P12ihipStream_tbEUlmE_lEESB_NS0_8identityIvEEEESM_SP_SQ_mSR_ST_bEUlT_E_NS1_11comp_targetILNS1_3genE9ELNS1_11target_archE1100ELNS1_3gpuE3ELNS1_3repE0EEENS1_30default_config_static_selectorELNS0_4arch9wavefront6targetE1EEEvT1_ ; -- Begin function _ZN7rocprim17ROCPRIM_400000_NS6detail17trampoline_kernelINS0_14default_configENS1_25transform_config_selectorIlLb0EEEZNS1_14transform_implILb0ES3_S5_NS0_18transform_iteratorINS0_17counting_iteratorImlEEZNS1_24adjacent_difference_implIS3_Lb1ELb0EPlSB_ZN2at6native12_GLOBAL__N_124unique_dim_cuda_templateIiEESt5tupleIJNSC_6TensorESH_SH_EERKSH_lbbbEUlllE1_EE10hipError_tPvRmT2_T3_mT4_P12ihipStream_tbEUlmE_lEESB_NS0_8identityIvEEEESM_SP_SQ_mSR_ST_bEUlT_E_NS1_11comp_targetILNS1_3genE9ELNS1_11target_archE1100ELNS1_3gpuE3ELNS1_3repE0EEENS1_30default_config_static_selectorELNS0_4arch9wavefront6targetE1EEEvT1_
	.p2align	8
	.type	_ZN7rocprim17ROCPRIM_400000_NS6detail17trampoline_kernelINS0_14default_configENS1_25transform_config_selectorIlLb0EEEZNS1_14transform_implILb0ES3_S5_NS0_18transform_iteratorINS0_17counting_iteratorImlEEZNS1_24adjacent_difference_implIS3_Lb1ELb0EPlSB_ZN2at6native12_GLOBAL__N_124unique_dim_cuda_templateIiEESt5tupleIJNSC_6TensorESH_SH_EERKSH_lbbbEUlllE1_EE10hipError_tPvRmT2_T3_mT4_P12ihipStream_tbEUlmE_lEESB_NS0_8identityIvEEEESM_SP_SQ_mSR_ST_bEUlT_E_NS1_11comp_targetILNS1_3genE9ELNS1_11target_archE1100ELNS1_3gpuE3ELNS1_3repE0EEENS1_30default_config_static_selectorELNS0_4arch9wavefront6targetE1EEEvT1_,@function
_ZN7rocprim17ROCPRIM_400000_NS6detail17trampoline_kernelINS0_14default_configENS1_25transform_config_selectorIlLb0EEEZNS1_14transform_implILb0ES3_S5_NS0_18transform_iteratorINS0_17counting_iteratorImlEEZNS1_24adjacent_difference_implIS3_Lb1ELb0EPlSB_ZN2at6native12_GLOBAL__N_124unique_dim_cuda_templateIiEESt5tupleIJNSC_6TensorESH_SH_EERKSH_lbbbEUlllE1_EE10hipError_tPvRmT2_T3_mT4_P12ihipStream_tbEUlmE_lEESB_NS0_8identityIvEEEESM_SP_SQ_mSR_ST_bEUlT_E_NS1_11comp_targetILNS1_3genE9ELNS1_11target_archE1100ELNS1_3gpuE3ELNS1_3repE0EEENS1_30default_config_static_selectorELNS0_4arch9wavefront6targetE1EEEvT1_: ; @_ZN7rocprim17ROCPRIM_400000_NS6detail17trampoline_kernelINS0_14default_configENS1_25transform_config_selectorIlLb0EEEZNS1_14transform_implILb0ES3_S5_NS0_18transform_iteratorINS0_17counting_iteratorImlEEZNS1_24adjacent_difference_implIS3_Lb1ELb0EPlSB_ZN2at6native12_GLOBAL__N_124unique_dim_cuda_templateIiEESt5tupleIJNSC_6TensorESH_SH_EERKSH_lbbbEUlllE1_EE10hipError_tPvRmT2_T3_mT4_P12ihipStream_tbEUlmE_lEESB_NS0_8identityIvEEEESM_SP_SQ_mSR_ST_bEUlT_E_NS1_11comp_targetILNS1_3genE9ELNS1_11target_archE1100ELNS1_3gpuE3ELNS1_3repE0EEENS1_30default_config_static_selectorELNS0_4arch9wavefront6targetE1EEEvT1_
; %bb.0:
	.section	.rodata,"a",@progbits
	.p2align	6, 0x0
	.amdhsa_kernel _ZN7rocprim17ROCPRIM_400000_NS6detail17trampoline_kernelINS0_14default_configENS1_25transform_config_selectorIlLb0EEEZNS1_14transform_implILb0ES3_S5_NS0_18transform_iteratorINS0_17counting_iteratorImlEEZNS1_24adjacent_difference_implIS3_Lb1ELb0EPlSB_ZN2at6native12_GLOBAL__N_124unique_dim_cuda_templateIiEESt5tupleIJNSC_6TensorESH_SH_EERKSH_lbbbEUlllE1_EE10hipError_tPvRmT2_T3_mT4_P12ihipStream_tbEUlmE_lEESB_NS0_8identityIvEEEESM_SP_SQ_mSR_ST_bEUlT_E_NS1_11comp_targetILNS1_3genE9ELNS1_11target_archE1100ELNS1_3gpuE3ELNS1_3repE0EEENS1_30default_config_static_selectorELNS0_4arch9wavefront6targetE1EEEvT1_
		.amdhsa_group_segment_fixed_size 0
		.amdhsa_private_segment_fixed_size 0
		.amdhsa_kernarg_size 56
		.amdhsa_user_sgpr_count 6
		.amdhsa_user_sgpr_private_segment_buffer 1
		.amdhsa_user_sgpr_dispatch_ptr 0
		.amdhsa_user_sgpr_queue_ptr 0
		.amdhsa_user_sgpr_kernarg_segment_ptr 1
		.amdhsa_user_sgpr_dispatch_id 0
		.amdhsa_user_sgpr_flat_scratch_init 0
		.amdhsa_user_sgpr_kernarg_preload_length 0
		.amdhsa_user_sgpr_kernarg_preload_offset 0
		.amdhsa_user_sgpr_private_segment_size 0
		.amdhsa_uses_dynamic_stack 0
		.amdhsa_system_sgpr_private_segment_wavefront_offset 0
		.amdhsa_system_sgpr_workgroup_id_x 1
		.amdhsa_system_sgpr_workgroup_id_y 0
		.amdhsa_system_sgpr_workgroup_id_z 0
		.amdhsa_system_sgpr_workgroup_info 0
		.amdhsa_system_vgpr_workitem_id 0
		.amdhsa_next_free_vgpr 1
		.amdhsa_next_free_sgpr 0
		.amdhsa_accum_offset 4
		.amdhsa_reserve_vcc 0
		.amdhsa_reserve_flat_scratch 0
		.amdhsa_float_round_mode_32 0
		.amdhsa_float_round_mode_16_64 0
		.amdhsa_float_denorm_mode_32 3
		.amdhsa_float_denorm_mode_16_64 3
		.amdhsa_dx10_clamp 1
		.amdhsa_ieee_mode 1
		.amdhsa_fp16_overflow 0
		.amdhsa_tg_split 0
		.amdhsa_exception_fp_ieee_invalid_op 0
		.amdhsa_exception_fp_denorm_src 0
		.amdhsa_exception_fp_ieee_div_zero 0
		.amdhsa_exception_fp_ieee_overflow 0
		.amdhsa_exception_fp_ieee_underflow 0
		.amdhsa_exception_fp_ieee_inexact 0
		.amdhsa_exception_int_div_zero 0
	.end_amdhsa_kernel
	.section	.text._ZN7rocprim17ROCPRIM_400000_NS6detail17trampoline_kernelINS0_14default_configENS1_25transform_config_selectorIlLb0EEEZNS1_14transform_implILb0ES3_S5_NS0_18transform_iteratorINS0_17counting_iteratorImlEEZNS1_24adjacent_difference_implIS3_Lb1ELb0EPlSB_ZN2at6native12_GLOBAL__N_124unique_dim_cuda_templateIiEESt5tupleIJNSC_6TensorESH_SH_EERKSH_lbbbEUlllE1_EE10hipError_tPvRmT2_T3_mT4_P12ihipStream_tbEUlmE_lEESB_NS0_8identityIvEEEESM_SP_SQ_mSR_ST_bEUlT_E_NS1_11comp_targetILNS1_3genE9ELNS1_11target_archE1100ELNS1_3gpuE3ELNS1_3repE0EEENS1_30default_config_static_selectorELNS0_4arch9wavefront6targetE1EEEvT1_,"axG",@progbits,_ZN7rocprim17ROCPRIM_400000_NS6detail17trampoline_kernelINS0_14default_configENS1_25transform_config_selectorIlLb0EEEZNS1_14transform_implILb0ES3_S5_NS0_18transform_iteratorINS0_17counting_iteratorImlEEZNS1_24adjacent_difference_implIS3_Lb1ELb0EPlSB_ZN2at6native12_GLOBAL__N_124unique_dim_cuda_templateIiEESt5tupleIJNSC_6TensorESH_SH_EERKSH_lbbbEUlllE1_EE10hipError_tPvRmT2_T3_mT4_P12ihipStream_tbEUlmE_lEESB_NS0_8identityIvEEEESM_SP_SQ_mSR_ST_bEUlT_E_NS1_11comp_targetILNS1_3genE9ELNS1_11target_archE1100ELNS1_3gpuE3ELNS1_3repE0EEENS1_30default_config_static_selectorELNS0_4arch9wavefront6targetE1EEEvT1_,comdat
.Lfunc_end431:
	.size	_ZN7rocprim17ROCPRIM_400000_NS6detail17trampoline_kernelINS0_14default_configENS1_25transform_config_selectorIlLb0EEEZNS1_14transform_implILb0ES3_S5_NS0_18transform_iteratorINS0_17counting_iteratorImlEEZNS1_24adjacent_difference_implIS3_Lb1ELb0EPlSB_ZN2at6native12_GLOBAL__N_124unique_dim_cuda_templateIiEESt5tupleIJNSC_6TensorESH_SH_EERKSH_lbbbEUlllE1_EE10hipError_tPvRmT2_T3_mT4_P12ihipStream_tbEUlmE_lEESB_NS0_8identityIvEEEESM_SP_SQ_mSR_ST_bEUlT_E_NS1_11comp_targetILNS1_3genE9ELNS1_11target_archE1100ELNS1_3gpuE3ELNS1_3repE0EEENS1_30default_config_static_selectorELNS0_4arch9wavefront6targetE1EEEvT1_, .Lfunc_end431-_ZN7rocprim17ROCPRIM_400000_NS6detail17trampoline_kernelINS0_14default_configENS1_25transform_config_selectorIlLb0EEEZNS1_14transform_implILb0ES3_S5_NS0_18transform_iteratorINS0_17counting_iteratorImlEEZNS1_24adjacent_difference_implIS3_Lb1ELb0EPlSB_ZN2at6native12_GLOBAL__N_124unique_dim_cuda_templateIiEESt5tupleIJNSC_6TensorESH_SH_EERKSH_lbbbEUlllE1_EE10hipError_tPvRmT2_T3_mT4_P12ihipStream_tbEUlmE_lEESB_NS0_8identityIvEEEESM_SP_SQ_mSR_ST_bEUlT_E_NS1_11comp_targetILNS1_3genE9ELNS1_11target_archE1100ELNS1_3gpuE3ELNS1_3repE0EEENS1_30default_config_static_selectorELNS0_4arch9wavefront6targetE1EEEvT1_
                                        ; -- End function
	.section	.AMDGPU.csdata,"",@progbits
; Kernel info:
; codeLenInByte = 0
; NumSgprs: 4
; NumVgprs: 0
; NumAgprs: 0
; TotalNumVgprs: 0
; ScratchSize: 0
; MemoryBound: 0
; FloatMode: 240
; IeeeMode: 1
; LDSByteSize: 0 bytes/workgroup (compile time only)
; SGPRBlocks: 0
; VGPRBlocks: 0
; NumSGPRsForWavesPerEU: 4
; NumVGPRsForWavesPerEU: 1
; AccumOffset: 4
; Occupancy: 8
; WaveLimiterHint : 0
; COMPUTE_PGM_RSRC2:SCRATCH_EN: 0
; COMPUTE_PGM_RSRC2:USER_SGPR: 6
; COMPUTE_PGM_RSRC2:TRAP_HANDLER: 0
; COMPUTE_PGM_RSRC2:TGID_X_EN: 1
; COMPUTE_PGM_RSRC2:TGID_Y_EN: 0
; COMPUTE_PGM_RSRC2:TGID_Z_EN: 0
; COMPUTE_PGM_RSRC2:TIDIG_COMP_CNT: 0
; COMPUTE_PGM_RSRC3_GFX90A:ACCUM_OFFSET: 0
; COMPUTE_PGM_RSRC3_GFX90A:TG_SPLIT: 0
	.section	.text._ZN7rocprim17ROCPRIM_400000_NS6detail17trampoline_kernelINS0_14default_configENS1_25transform_config_selectorIlLb0EEEZNS1_14transform_implILb0ES3_S5_NS0_18transform_iteratorINS0_17counting_iteratorImlEEZNS1_24adjacent_difference_implIS3_Lb1ELb0EPlSB_ZN2at6native12_GLOBAL__N_124unique_dim_cuda_templateIiEESt5tupleIJNSC_6TensorESH_SH_EERKSH_lbbbEUlllE1_EE10hipError_tPvRmT2_T3_mT4_P12ihipStream_tbEUlmE_lEESB_NS0_8identityIvEEEESM_SP_SQ_mSR_ST_bEUlT_E_NS1_11comp_targetILNS1_3genE8ELNS1_11target_archE1030ELNS1_3gpuE2ELNS1_3repE0EEENS1_30default_config_static_selectorELNS0_4arch9wavefront6targetE1EEEvT1_,"axG",@progbits,_ZN7rocprim17ROCPRIM_400000_NS6detail17trampoline_kernelINS0_14default_configENS1_25transform_config_selectorIlLb0EEEZNS1_14transform_implILb0ES3_S5_NS0_18transform_iteratorINS0_17counting_iteratorImlEEZNS1_24adjacent_difference_implIS3_Lb1ELb0EPlSB_ZN2at6native12_GLOBAL__N_124unique_dim_cuda_templateIiEESt5tupleIJNSC_6TensorESH_SH_EERKSH_lbbbEUlllE1_EE10hipError_tPvRmT2_T3_mT4_P12ihipStream_tbEUlmE_lEESB_NS0_8identityIvEEEESM_SP_SQ_mSR_ST_bEUlT_E_NS1_11comp_targetILNS1_3genE8ELNS1_11target_archE1030ELNS1_3gpuE2ELNS1_3repE0EEENS1_30default_config_static_selectorELNS0_4arch9wavefront6targetE1EEEvT1_,comdat
	.globl	_ZN7rocprim17ROCPRIM_400000_NS6detail17trampoline_kernelINS0_14default_configENS1_25transform_config_selectorIlLb0EEEZNS1_14transform_implILb0ES3_S5_NS0_18transform_iteratorINS0_17counting_iteratorImlEEZNS1_24adjacent_difference_implIS3_Lb1ELb0EPlSB_ZN2at6native12_GLOBAL__N_124unique_dim_cuda_templateIiEESt5tupleIJNSC_6TensorESH_SH_EERKSH_lbbbEUlllE1_EE10hipError_tPvRmT2_T3_mT4_P12ihipStream_tbEUlmE_lEESB_NS0_8identityIvEEEESM_SP_SQ_mSR_ST_bEUlT_E_NS1_11comp_targetILNS1_3genE8ELNS1_11target_archE1030ELNS1_3gpuE2ELNS1_3repE0EEENS1_30default_config_static_selectorELNS0_4arch9wavefront6targetE1EEEvT1_ ; -- Begin function _ZN7rocprim17ROCPRIM_400000_NS6detail17trampoline_kernelINS0_14default_configENS1_25transform_config_selectorIlLb0EEEZNS1_14transform_implILb0ES3_S5_NS0_18transform_iteratorINS0_17counting_iteratorImlEEZNS1_24adjacent_difference_implIS3_Lb1ELb0EPlSB_ZN2at6native12_GLOBAL__N_124unique_dim_cuda_templateIiEESt5tupleIJNSC_6TensorESH_SH_EERKSH_lbbbEUlllE1_EE10hipError_tPvRmT2_T3_mT4_P12ihipStream_tbEUlmE_lEESB_NS0_8identityIvEEEESM_SP_SQ_mSR_ST_bEUlT_E_NS1_11comp_targetILNS1_3genE8ELNS1_11target_archE1030ELNS1_3gpuE2ELNS1_3repE0EEENS1_30default_config_static_selectorELNS0_4arch9wavefront6targetE1EEEvT1_
	.p2align	8
	.type	_ZN7rocprim17ROCPRIM_400000_NS6detail17trampoline_kernelINS0_14default_configENS1_25transform_config_selectorIlLb0EEEZNS1_14transform_implILb0ES3_S5_NS0_18transform_iteratorINS0_17counting_iteratorImlEEZNS1_24adjacent_difference_implIS3_Lb1ELb0EPlSB_ZN2at6native12_GLOBAL__N_124unique_dim_cuda_templateIiEESt5tupleIJNSC_6TensorESH_SH_EERKSH_lbbbEUlllE1_EE10hipError_tPvRmT2_T3_mT4_P12ihipStream_tbEUlmE_lEESB_NS0_8identityIvEEEESM_SP_SQ_mSR_ST_bEUlT_E_NS1_11comp_targetILNS1_3genE8ELNS1_11target_archE1030ELNS1_3gpuE2ELNS1_3repE0EEENS1_30default_config_static_selectorELNS0_4arch9wavefront6targetE1EEEvT1_,@function
_ZN7rocprim17ROCPRIM_400000_NS6detail17trampoline_kernelINS0_14default_configENS1_25transform_config_selectorIlLb0EEEZNS1_14transform_implILb0ES3_S5_NS0_18transform_iteratorINS0_17counting_iteratorImlEEZNS1_24adjacent_difference_implIS3_Lb1ELb0EPlSB_ZN2at6native12_GLOBAL__N_124unique_dim_cuda_templateIiEESt5tupleIJNSC_6TensorESH_SH_EERKSH_lbbbEUlllE1_EE10hipError_tPvRmT2_T3_mT4_P12ihipStream_tbEUlmE_lEESB_NS0_8identityIvEEEESM_SP_SQ_mSR_ST_bEUlT_E_NS1_11comp_targetILNS1_3genE8ELNS1_11target_archE1030ELNS1_3gpuE2ELNS1_3repE0EEENS1_30default_config_static_selectorELNS0_4arch9wavefront6targetE1EEEvT1_: ; @_ZN7rocprim17ROCPRIM_400000_NS6detail17trampoline_kernelINS0_14default_configENS1_25transform_config_selectorIlLb0EEEZNS1_14transform_implILb0ES3_S5_NS0_18transform_iteratorINS0_17counting_iteratorImlEEZNS1_24adjacent_difference_implIS3_Lb1ELb0EPlSB_ZN2at6native12_GLOBAL__N_124unique_dim_cuda_templateIiEESt5tupleIJNSC_6TensorESH_SH_EERKSH_lbbbEUlllE1_EE10hipError_tPvRmT2_T3_mT4_P12ihipStream_tbEUlmE_lEESB_NS0_8identityIvEEEESM_SP_SQ_mSR_ST_bEUlT_E_NS1_11comp_targetILNS1_3genE8ELNS1_11target_archE1030ELNS1_3gpuE2ELNS1_3repE0EEENS1_30default_config_static_selectorELNS0_4arch9wavefront6targetE1EEEvT1_
; %bb.0:
	.section	.rodata,"a",@progbits
	.p2align	6, 0x0
	.amdhsa_kernel _ZN7rocprim17ROCPRIM_400000_NS6detail17trampoline_kernelINS0_14default_configENS1_25transform_config_selectorIlLb0EEEZNS1_14transform_implILb0ES3_S5_NS0_18transform_iteratorINS0_17counting_iteratorImlEEZNS1_24adjacent_difference_implIS3_Lb1ELb0EPlSB_ZN2at6native12_GLOBAL__N_124unique_dim_cuda_templateIiEESt5tupleIJNSC_6TensorESH_SH_EERKSH_lbbbEUlllE1_EE10hipError_tPvRmT2_T3_mT4_P12ihipStream_tbEUlmE_lEESB_NS0_8identityIvEEEESM_SP_SQ_mSR_ST_bEUlT_E_NS1_11comp_targetILNS1_3genE8ELNS1_11target_archE1030ELNS1_3gpuE2ELNS1_3repE0EEENS1_30default_config_static_selectorELNS0_4arch9wavefront6targetE1EEEvT1_
		.amdhsa_group_segment_fixed_size 0
		.amdhsa_private_segment_fixed_size 0
		.amdhsa_kernarg_size 56
		.amdhsa_user_sgpr_count 6
		.amdhsa_user_sgpr_private_segment_buffer 1
		.amdhsa_user_sgpr_dispatch_ptr 0
		.amdhsa_user_sgpr_queue_ptr 0
		.amdhsa_user_sgpr_kernarg_segment_ptr 1
		.amdhsa_user_sgpr_dispatch_id 0
		.amdhsa_user_sgpr_flat_scratch_init 0
		.amdhsa_user_sgpr_kernarg_preload_length 0
		.amdhsa_user_sgpr_kernarg_preload_offset 0
		.amdhsa_user_sgpr_private_segment_size 0
		.amdhsa_uses_dynamic_stack 0
		.amdhsa_system_sgpr_private_segment_wavefront_offset 0
		.amdhsa_system_sgpr_workgroup_id_x 1
		.amdhsa_system_sgpr_workgroup_id_y 0
		.amdhsa_system_sgpr_workgroup_id_z 0
		.amdhsa_system_sgpr_workgroup_info 0
		.amdhsa_system_vgpr_workitem_id 0
		.amdhsa_next_free_vgpr 1
		.amdhsa_next_free_sgpr 0
		.amdhsa_accum_offset 4
		.amdhsa_reserve_vcc 0
		.amdhsa_reserve_flat_scratch 0
		.amdhsa_float_round_mode_32 0
		.amdhsa_float_round_mode_16_64 0
		.amdhsa_float_denorm_mode_32 3
		.amdhsa_float_denorm_mode_16_64 3
		.amdhsa_dx10_clamp 1
		.amdhsa_ieee_mode 1
		.amdhsa_fp16_overflow 0
		.amdhsa_tg_split 0
		.amdhsa_exception_fp_ieee_invalid_op 0
		.amdhsa_exception_fp_denorm_src 0
		.amdhsa_exception_fp_ieee_div_zero 0
		.amdhsa_exception_fp_ieee_overflow 0
		.amdhsa_exception_fp_ieee_underflow 0
		.amdhsa_exception_fp_ieee_inexact 0
		.amdhsa_exception_int_div_zero 0
	.end_amdhsa_kernel
	.section	.text._ZN7rocprim17ROCPRIM_400000_NS6detail17trampoline_kernelINS0_14default_configENS1_25transform_config_selectorIlLb0EEEZNS1_14transform_implILb0ES3_S5_NS0_18transform_iteratorINS0_17counting_iteratorImlEEZNS1_24adjacent_difference_implIS3_Lb1ELb0EPlSB_ZN2at6native12_GLOBAL__N_124unique_dim_cuda_templateIiEESt5tupleIJNSC_6TensorESH_SH_EERKSH_lbbbEUlllE1_EE10hipError_tPvRmT2_T3_mT4_P12ihipStream_tbEUlmE_lEESB_NS0_8identityIvEEEESM_SP_SQ_mSR_ST_bEUlT_E_NS1_11comp_targetILNS1_3genE8ELNS1_11target_archE1030ELNS1_3gpuE2ELNS1_3repE0EEENS1_30default_config_static_selectorELNS0_4arch9wavefront6targetE1EEEvT1_,"axG",@progbits,_ZN7rocprim17ROCPRIM_400000_NS6detail17trampoline_kernelINS0_14default_configENS1_25transform_config_selectorIlLb0EEEZNS1_14transform_implILb0ES3_S5_NS0_18transform_iteratorINS0_17counting_iteratorImlEEZNS1_24adjacent_difference_implIS3_Lb1ELb0EPlSB_ZN2at6native12_GLOBAL__N_124unique_dim_cuda_templateIiEESt5tupleIJNSC_6TensorESH_SH_EERKSH_lbbbEUlllE1_EE10hipError_tPvRmT2_T3_mT4_P12ihipStream_tbEUlmE_lEESB_NS0_8identityIvEEEESM_SP_SQ_mSR_ST_bEUlT_E_NS1_11comp_targetILNS1_3genE8ELNS1_11target_archE1030ELNS1_3gpuE2ELNS1_3repE0EEENS1_30default_config_static_selectorELNS0_4arch9wavefront6targetE1EEEvT1_,comdat
.Lfunc_end432:
	.size	_ZN7rocprim17ROCPRIM_400000_NS6detail17trampoline_kernelINS0_14default_configENS1_25transform_config_selectorIlLb0EEEZNS1_14transform_implILb0ES3_S5_NS0_18transform_iteratorINS0_17counting_iteratorImlEEZNS1_24adjacent_difference_implIS3_Lb1ELb0EPlSB_ZN2at6native12_GLOBAL__N_124unique_dim_cuda_templateIiEESt5tupleIJNSC_6TensorESH_SH_EERKSH_lbbbEUlllE1_EE10hipError_tPvRmT2_T3_mT4_P12ihipStream_tbEUlmE_lEESB_NS0_8identityIvEEEESM_SP_SQ_mSR_ST_bEUlT_E_NS1_11comp_targetILNS1_3genE8ELNS1_11target_archE1030ELNS1_3gpuE2ELNS1_3repE0EEENS1_30default_config_static_selectorELNS0_4arch9wavefront6targetE1EEEvT1_, .Lfunc_end432-_ZN7rocprim17ROCPRIM_400000_NS6detail17trampoline_kernelINS0_14default_configENS1_25transform_config_selectorIlLb0EEEZNS1_14transform_implILb0ES3_S5_NS0_18transform_iteratorINS0_17counting_iteratorImlEEZNS1_24adjacent_difference_implIS3_Lb1ELb0EPlSB_ZN2at6native12_GLOBAL__N_124unique_dim_cuda_templateIiEESt5tupleIJNSC_6TensorESH_SH_EERKSH_lbbbEUlllE1_EE10hipError_tPvRmT2_T3_mT4_P12ihipStream_tbEUlmE_lEESB_NS0_8identityIvEEEESM_SP_SQ_mSR_ST_bEUlT_E_NS1_11comp_targetILNS1_3genE8ELNS1_11target_archE1030ELNS1_3gpuE2ELNS1_3repE0EEENS1_30default_config_static_selectorELNS0_4arch9wavefront6targetE1EEEvT1_
                                        ; -- End function
	.section	.AMDGPU.csdata,"",@progbits
; Kernel info:
; codeLenInByte = 0
; NumSgprs: 4
; NumVgprs: 0
; NumAgprs: 0
; TotalNumVgprs: 0
; ScratchSize: 0
; MemoryBound: 0
; FloatMode: 240
; IeeeMode: 1
; LDSByteSize: 0 bytes/workgroup (compile time only)
; SGPRBlocks: 0
; VGPRBlocks: 0
; NumSGPRsForWavesPerEU: 4
; NumVGPRsForWavesPerEU: 1
; AccumOffset: 4
; Occupancy: 8
; WaveLimiterHint : 0
; COMPUTE_PGM_RSRC2:SCRATCH_EN: 0
; COMPUTE_PGM_RSRC2:USER_SGPR: 6
; COMPUTE_PGM_RSRC2:TRAP_HANDLER: 0
; COMPUTE_PGM_RSRC2:TGID_X_EN: 1
; COMPUTE_PGM_RSRC2:TGID_Y_EN: 0
; COMPUTE_PGM_RSRC2:TGID_Z_EN: 0
; COMPUTE_PGM_RSRC2:TIDIG_COMP_CNT: 0
; COMPUTE_PGM_RSRC3_GFX90A:ACCUM_OFFSET: 0
; COMPUTE_PGM_RSRC3_GFX90A:TG_SPLIT: 0
	.section	.text._ZN7rocprim17ROCPRIM_400000_NS6detail17trampoline_kernelINS0_14default_configENS1_35adjacent_difference_config_selectorILb1ElEEZNS1_24adjacent_difference_implIS3_Lb1ELb0EPlS7_ZN2at6native12_GLOBAL__N_124unique_dim_cuda_templateIiEESt5tupleIJNS8_6TensorESD_SD_EERKSD_lbbbEUlllE1_EE10hipError_tPvRmT2_T3_mT4_P12ihipStream_tbEUlT_E_NS1_11comp_targetILNS1_3genE0ELNS1_11target_archE4294967295ELNS1_3gpuE0ELNS1_3repE0EEENS1_30default_config_static_selectorELNS0_4arch9wavefront6targetE1EEEvT1_,"axG",@progbits,_ZN7rocprim17ROCPRIM_400000_NS6detail17trampoline_kernelINS0_14default_configENS1_35adjacent_difference_config_selectorILb1ElEEZNS1_24adjacent_difference_implIS3_Lb1ELb0EPlS7_ZN2at6native12_GLOBAL__N_124unique_dim_cuda_templateIiEESt5tupleIJNS8_6TensorESD_SD_EERKSD_lbbbEUlllE1_EE10hipError_tPvRmT2_T3_mT4_P12ihipStream_tbEUlT_E_NS1_11comp_targetILNS1_3genE0ELNS1_11target_archE4294967295ELNS1_3gpuE0ELNS1_3repE0EEENS1_30default_config_static_selectorELNS0_4arch9wavefront6targetE1EEEvT1_,comdat
	.globl	_ZN7rocprim17ROCPRIM_400000_NS6detail17trampoline_kernelINS0_14default_configENS1_35adjacent_difference_config_selectorILb1ElEEZNS1_24adjacent_difference_implIS3_Lb1ELb0EPlS7_ZN2at6native12_GLOBAL__N_124unique_dim_cuda_templateIiEESt5tupleIJNS8_6TensorESD_SD_EERKSD_lbbbEUlllE1_EE10hipError_tPvRmT2_T3_mT4_P12ihipStream_tbEUlT_E_NS1_11comp_targetILNS1_3genE0ELNS1_11target_archE4294967295ELNS1_3gpuE0ELNS1_3repE0EEENS1_30default_config_static_selectorELNS0_4arch9wavefront6targetE1EEEvT1_ ; -- Begin function _ZN7rocprim17ROCPRIM_400000_NS6detail17trampoline_kernelINS0_14default_configENS1_35adjacent_difference_config_selectorILb1ElEEZNS1_24adjacent_difference_implIS3_Lb1ELb0EPlS7_ZN2at6native12_GLOBAL__N_124unique_dim_cuda_templateIiEESt5tupleIJNS8_6TensorESD_SD_EERKSD_lbbbEUlllE1_EE10hipError_tPvRmT2_T3_mT4_P12ihipStream_tbEUlT_E_NS1_11comp_targetILNS1_3genE0ELNS1_11target_archE4294967295ELNS1_3gpuE0ELNS1_3repE0EEENS1_30default_config_static_selectorELNS0_4arch9wavefront6targetE1EEEvT1_
	.p2align	8
	.type	_ZN7rocprim17ROCPRIM_400000_NS6detail17trampoline_kernelINS0_14default_configENS1_35adjacent_difference_config_selectorILb1ElEEZNS1_24adjacent_difference_implIS3_Lb1ELb0EPlS7_ZN2at6native12_GLOBAL__N_124unique_dim_cuda_templateIiEESt5tupleIJNS8_6TensorESD_SD_EERKSD_lbbbEUlllE1_EE10hipError_tPvRmT2_T3_mT4_P12ihipStream_tbEUlT_E_NS1_11comp_targetILNS1_3genE0ELNS1_11target_archE4294967295ELNS1_3gpuE0ELNS1_3repE0EEENS1_30default_config_static_selectorELNS0_4arch9wavefront6targetE1EEEvT1_,@function
_ZN7rocprim17ROCPRIM_400000_NS6detail17trampoline_kernelINS0_14default_configENS1_35adjacent_difference_config_selectorILb1ElEEZNS1_24adjacent_difference_implIS3_Lb1ELb0EPlS7_ZN2at6native12_GLOBAL__N_124unique_dim_cuda_templateIiEESt5tupleIJNS8_6TensorESD_SD_EERKSD_lbbbEUlllE1_EE10hipError_tPvRmT2_T3_mT4_P12ihipStream_tbEUlT_E_NS1_11comp_targetILNS1_3genE0ELNS1_11target_archE4294967295ELNS1_3gpuE0ELNS1_3repE0EEENS1_30default_config_static_selectorELNS0_4arch9wavefront6targetE1EEEvT1_: ; @_ZN7rocprim17ROCPRIM_400000_NS6detail17trampoline_kernelINS0_14default_configENS1_35adjacent_difference_config_selectorILb1ElEEZNS1_24adjacent_difference_implIS3_Lb1ELb0EPlS7_ZN2at6native12_GLOBAL__N_124unique_dim_cuda_templateIiEESt5tupleIJNS8_6TensorESD_SD_EERKSD_lbbbEUlllE1_EE10hipError_tPvRmT2_T3_mT4_P12ihipStream_tbEUlT_E_NS1_11comp_targetILNS1_3genE0ELNS1_11target_archE4294967295ELNS1_3gpuE0ELNS1_3repE0EEENS1_30default_config_static_selectorELNS0_4arch9wavefront6targetE1EEEvT1_
; %bb.0:
	.section	.rodata,"a",@progbits
	.p2align	6, 0x0
	.amdhsa_kernel _ZN7rocprim17ROCPRIM_400000_NS6detail17trampoline_kernelINS0_14default_configENS1_35adjacent_difference_config_selectorILb1ElEEZNS1_24adjacent_difference_implIS3_Lb1ELb0EPlS7_ZN2at6native12_GLOBAL__N_124unique_dim_cuda_templateIiEESt5tupleIJNS8_6TensorESD_SD_EERKSD_lbbbEUlllE1_EE10hipError_tPvRmT2_T3_mT4_P12ihipStream_tbEUlT_E_NS1_11comp_targetILNS1_3genE0ELNS1_11target_archE4294967295ELNS1_3gpuE0ELNS1_3repE0EEENS1_30default_config_static_selectorELNS0_4arch9wavefront6targetE1EEEvT1_
		.amdhsa_group_segment_fixed_size 0
		.amdhsa_private_segment_fixed_size 0
		.amdhsa_kernarg_size 64
		.amdhsa_user_sgpr_count 6
		.amdhsa_user_sgpr_private_segment_buffer 1
		.amdhsa_user_sgpr_dispatch_ptr 0
		.amdhsa_user_sgpr_queue_ptr 0
		.amdhsa_user_sgpr_kernarg_segment_ptr 1
		.amdhsa_user_sgpr_dispatch_id 0
		.amdhsa_user_sgpr_flat_scratch_init 0
		.amdhsa_user_sgpr_kernarg_preload_length 0
		.amdhsa_user_sgpr_kernarg_preload_offset 0
		.amdhsa_user_sgpr_private_segment_size 0
		.amdhsa_uses_dynamic_stack 0
		.amdhsa_system_sgpr_private_segment_wavefront_offset 0
		.amdhsa_system_sgpr_workgroup_id_x 1
		.amdhsa_system_sgpr_workgroup_id_y 0
		.amdhsa_system_sgpr_workgroup_id_z 0
		.amdhsa_system_sgpr_workgroup_info 0
		.amdhsa_system_vgpr_workitem_id 0
		.amdhsa_next_free_vgpr 1
		.amdhsa_next_free_sgpr 0
		.amdhsa_accum_offset 4
		.amdhsa_reserve_vcc 0
		.amdhsa_reserve_flat_scratch 0
		.amdhsa_float_round_mode_32 0
		.amdhsa_float_round_mode_16_64 0
		.amdhsa_float_denorm_mode_32 3
		.amdhsa_float_denorm_mode_16_64 3
		.amdhsa_dx10_clamp 1
		.amdhsa_ieee_mode 1
		.amdhsa_fp16_overflow 0
		.amdhsa_tg_split 0
		.amdhsa_exception_fp_ieee_invalid_op 0
		.amdhsa_exception_fp_denorm_src 0
		.amdhsa_exception_fp_ieee_div_zero 0
		.amdhsa_exception_fp_ieee_overflow 0
		.amdhsa_exception_fp_ieee_underflow 0
		.amdhsa_exception_fp_ieee_inexact 0
		.amdhsa_exception_int_div_zero 0
	.end_amdhsa_kernel
	.section	.text._ZN7rocprim17ROCPRIM_400000_NS6detail17trampoline_kernelINS0_14default_configENS1_35adjacent_difference_config_selectorILb1ElEEZNS1_24adjacent_difference_implIS3_Lb1ELb0EPlS7_ZN2at6native12_GLOBAL__N_124unique_dim_cuda_templateIiEESt5tupleIJNS8_6TensorESD_SD_EERKSD_lbbbEUlllE1_EE10hipError_tPvRmT2_T3_mT4_P12ihipStream_tbEUlT_E_NS1_11comp_targetILNS1_3genE0ELNS1_11target_archE4294967295ELNS1_3gpuE0ELNS1_3repE0EEENS1_30default_config_static_selectorELNS0_4arch9wavefront6targetE1EEEvT1_,"axG",@progbits,_ZN7rocprim17ROCPRIM_400000_NS6detail17trampoline_kernelINS0_14default_configENS1_35adjacent_difference_config_selectorILb1ElEEZNS1_24adjacent_difference_implIS3_Lb1ELb0EPlS7_ZN2at6native12_GLOBAL__N_124unique_dim_cuda_templateIiEESt5tupleIJNS8_6TensorESD_SD_EERKSD_lbbbEUlllE1_EE10hipError_tPvRmT2_T3_mT4_P12ihipStream_tbEUlT_E_NS1_11comp_targetILNS1_3genE0ELNS1_11target_archE4294967295ELNS1_3gpuE0ELNS1_3repE0EEENS1_30default_config_static_selectorELNS0_4arch9wavefront6targetE1EEEvT1_,comdat
.Lfunc_end433:
	.size	_ZN7rocprim17ROCPRIM_400000_NS6detail17trampoline_kernelINS0_14default_configENS1_35adjacent_difference_config_selectorILb1ElEEZNS1_24adjacent_difference_implIS3_Lb1ELb0EPlS7_ZN2at6native12_GLOBAL__N_124unique_dim_cuda_templateIiEESt5tupleIJNS8_6TensorESD_SD_EERKSD_lbbbEUlllE1_EE10hipError_tPvRmT2_T3_mT4_P12ihipStream_tbEUlT_E_NS1_11comp_targetILNS1_3genE0ELNS1_11target_archE4294967295ELNS1_3gpuE0ELNS1_3repE0EEENS1_30default_config_static_selectorELNS0_4arch9wavefront6targetE1EEEvT1_, .Lfunc_end433-_ZN7rocprim17ROCPRIM_400000_NS6detail17trampoline_kernelINS0_14default_configENS1_35adjacent_difference_config_selectorILb1ElEEZNS1_24adjacent_difference_implIS3_Lb1ELb0EPlS7_ZN2at6native12_GLOBAL__N_124unique_dim_cuda_templateIiEESt5tupleIJNS8_6TensorESD_SD_EERKSD_lbbbEUlllE1_EE10hipError_tPvRmT2_T3_mT4_P12ihipStream_tbEUlT_E_NS1_11comp_targetILNS1_3genE0ELNS1_11target_archE4294967295ELNS1_3gpuE0ELNS1_3repE0EEENS1_30default_config_static_selectorELNS0_4arch9wavefront6targetE1EEEvT1_
                                        ; -- End function
	.section	.AMDGPU.csdata,"",@progbits
; Kernel info:
; codeLenInByte = 0
; NumSgprs: 4
; NumVgprs: 0
; NumAgprs: 0
; TotalNumVgprs: 0
; ScratchSize: 0
; MemoryBound: 0
; FloatMode: 240
; IeeeMode: 1
; LDSByteSize: 0 bytes/workgroup (compile time only)
; SGPRBlocks: 0
; VGPRBlocks: 0
; NumSGPRsForWavesPerEU: 4
; NumVGPRsForWavesPerEU: 1
; AccumOffset: 4
; Occupancy: 8
; WaveLimiterHint : 0
; COMPUTE_PGM_RSRC2:SCRATCH_EN: 0
; COMPUTE_PGM_RSRC2:USER_SGPR: 6
; COMPUTE_PGM_RSRC2:TRAP_HANDLER: 0
; COMPUTE_PGM_RSRC2:TGID_X_EN: 1
; COMPUTE_PGM_RSRC2:TGID_Y_EN: 0
; COMPUTE_PGM_RSRC2:TGID_Z_EN: 0
; COMPUTE_PGM_RSRC2:TIDIG_COMP_CNT: 0
; COMPUTE_PGM_RSRC3_GFX90A:ACCUM_OFFSET: 0
; COMPUTE_PGM_RSRC3_GFX90A:TG_SPLIT: 0
	.section	.text._ZN7rocprim17ROCPRIM_400000_NS6detail17trampoline_kernelINS0_14default_configENS1_35adjacent_difference_config_selectorILb1ElEEZNS1_24adjacent_difference_implIS3_Lb1ELb0EPlS7_ZN2at6native12_GLOBAL__N_124unique_dim_cuda_templateIiEESt5tupleIJNS8_6TensorESD_SD_EERKSD_lbbbEUlllE1_EE10hipError_tPvRmT2_T3_mT4_P12ihipStream_tbEUlT_E_NS1_11comp_targetILNS1_3genE10ELNS1_11target_archE1201ELNS1_3gpuE5ELNS1_3repE0EEENS1_30default_config_static_selectorELNS0_4arch9wavefront6targetE1EEEvT1_,"axG",@progbits,_ZN7rocprim17ROCPRIM_400000_NS6detail17trampoline_kernelINS0_14default_configENS1_35adjacent_difference_config_selectorILb1ElEEZNS1_24adjacent_difference_implIS3_Lb1ELb0EPlS7_ZN2at6native12_GLOBAL__N_124unique_dim_cuda_templateIiEESt5tupleIJNS8_6TensorESD_SD_EERKSD_lbbbEUlllE1_EE10hipError_tPvRmT2_T3_mT4_P12ihipStream_tbEUlT_E_NS1_11comp_targetILNS1_3genE10ELNS1_11target_archE1201ELNS1_3gpuE5ELNS1_3repE0EEENS1_30default_config_static_selectorELNS0_4arch9wavefront6targetE1EEEvT1_,comdat
	.globl	_ZN7rocprim17ROCPRIM_400000_NS6detail17trampoline_kernelINS0_14default_configENS1_35adjacent_difference_config_selectorILb1ElEEZNS1_24adjacent_difference_implIS3_Lb1ELb0EPlS7_ZN2at6native12_GLOBAL__N_124unique_dim_cuda_templateIiEESt5tupleIJNS8_6TensorESD_SD_EERKSD_lbbbEUlllE1_EE10hipError_tPvRmT2_T3_mT4_P12ihipStream_tbEUlT_E_NS1_11comp_targetILNS1_3genE10ELNS1_11target_archE1201ELNS1_3gpuE5ELNS1_3repE0EEENS1_30default_config_static_selectorELNS0_4arch9wavefront6targetE1EEEvT1_ ; -- Begin function _ZN7rocprim17ROCPRIM_400000_NS6detail17trampoline_kernelINS0_14default_configENS1_35adjacent_difference_config_selectorILb1ElEEZNS1_24adjacent_difference_implIS3_Lb1ELb0EPlS7_ZN2at6native12_GLOBAL__N_124unique_dim_cuda_templateIiEESt5tupleIJNS8_6TensorESD_SD_EERKSD_lbbbEUlllE1_EE10hipError_tPvRmT2_T3_mT4_P12ihipStream_tbEUlT_E_NS1_11comp_targetILNS1_3genE10ELNS1_11target_archE1201ELNS1_3gpuE5ELNS1_3repE0EEENS1_30default_config_static_selectorELNS0_4arch9wavefront6targetE1EEEvT1_
	.p2align	8
	.type	_ZN7rocprim17ROCPRIM_400000_NS6detail17trampoline_kernelINS0_14default_configENS1_35adjacent_difference_config_selectorILb1ElEEZNS1_24adjacent_difference_implIS3_Lb1ELb0EPlS7_ZN2at6native12_GLOBAL__N_124unique_dim_cuda_templateIiEESt5tupleIJNS8_6TensorESD_SD_EERKSD_lbbbEUlllE1_EE10hipError_tPvRmT2_T3_mT4_P12ihipStream_tbEUlT_E_NS1_11comp_targetILNS1_3genE10ELNS1_11target_archE1201ELNS1_3gpuE5ELNS1_3repE0EEENS1_30default_config_static_selectorELNS0_4arch9wavefront6targetE1EEEvT1_,@function
_ZN7rocprim17ROCPRIM_400000_NS6detail17trampoline_kernelINS0_14default_configENS1_35adjacent_difference_config_selectorILb1ElEEZNS1_24adjacent_difference_implIS3_Lb1ELb0EPlS7_ZN2at6native12_GLOBAL__N_124unique_dim_cuda_templateIiEESt5tupleIJNS8_6TensorESD_SD_EERKSD_lbbbEUlllE1_EE10hipError_tPvRmT2_T3_mT4_P12ihipStream_tbEUlT_E_NS1_11comp_targetILNS1_3genE10ELNS1_11target_archE1201ELNS1_3gpuE5ELNS1_3repE0EEENS1_30default_config_static_selectorELNS0_4arch9wavefront6targetE1EEEvT1_: ; @_ZN7rocprim17ROCPRIM_400000_NS6detail17trampoline_kernelINS0_14default_configENS1_35adjacent_difference_config_selectorILb1ElEEZNS1_24adjacent_difference_implIS3_Lb1ELb0EPlS7_ZN2at6native12_GLOBAL__N_124unique_dim_cuda_templateIiEESt5tupleIJNS8_6TensorESD_SD_EERKSD_lbbbEUlllE1_EE10hipError_tPvRmT2_T3_mT4_P12ihipStream_tbEUlT_E_NS1_11comp_targetILNS1_3genE10ELNS1_11target_archE1201ELNS1_3gpuE5ELNS1_3repE0EEENS1_30default_config_static_selectorELNS0_4arch9wavefront6targetE1EEEvT1_
; %bb.0:
	.section	.rodata,"a",@progbits
	.p2align	6, 0x0
	.amdhsa_kernel _ZN7rocprim17ROCPRIM_400000_NS6detail17trampoline_kernelINS0_14default_configENS1_35adjacent_difference_config_selectorILb1ElEEZNS1_24adjacent_difference_implIS3_Lb1ELb0EPlS7_ZN2at6native12_GLOBAL__N_124unique_dim_cuda_templateIiEESt5tupleIJNS8_6TensorESD_SD_EERKSD_lbbbEUlllE1_EE10hipError_tPvRmT2_T3_mT4_P12ihipStream_tbEUlT_E_NS1_11comp_targetILNS1_3genE10ELNS1_11target_archE1201ELNS1_3gpuE5ELNS1_3repE0EEENS1_30default_config_static_selectorELNS0_4arch9wavefront6targetE1EEEvT1_
		.amdhsa_group_segment_fixed_size 0
		.amdhsa_private_segment_fixed_size 0
		.amdhsa_kernarg_size 64
		.amdhsa_user_sgpr_count 6
		.amdhsa_user_sgpr_private_segment_buffer 1
		.amdhsa_user_sgpr_dispatch_ptr 0
		.amdhsa_user_sgpr_queue_ptr 0
		.amdhsa_user_sgpr_kernarg_segment_ptr 1
		.amdhsa_user_sgpr_dispatch_id 0
		.amdhsa_user_sgpr_flat_scratch_init 0
		.amdhsa_user_sgpr_kernarg_preload_length 0
		.amdhsa_user_sgpr_kernarg_preload_offset 0
		.amdhsa_user_sgpr_private_segment_size 0
		.amdhsa_uses_dynamic_stack 0
		.amdhsa_system_sgpr_private_segment_wavefront_offset 0
		.amdhsa_system_sgpr_workgroup_id_x 1
		.amdhsa_system_sgpr_workgroup_id_y 0
		.amdhsa_system_sgpr_workgroup_id_z 0
		.amdhsa_system_sgpr_workgroup_info 0
		.amdhsa_system_vgpr_workitem_id 0
		.amdhsa_next_free_vgpr 1
		.amdhsa_next_free_sgpr 0
		.amdhsa_accum_offset 4
		.amdhsa_reserve_vcc 0
		.amdhsa_reserve_flat_scratch 0
		.amdhsa_float_round_mode_32 0
		.amdhsa_float_round_mode_16_64 0
		.amdhsa_float_denorm_mode_32 3
		.amdhsa_float_denorm_mode_16_64 3
		.amdhsa_dx10_clamp 1
		.amdhsa_ieee_mode 1
		.amdhsa_fp16_overflow 0
		.amdhsa_tg_split 0
		.amdhsa_exception_fp_ieee_invalid_op 0
		.amdhsa_exception_fp_denorm_src 0
		.amdhsa_exception_fp_ieee_div_zero 0
		.amdhsa_exception_fp_ieee_overflow 0
		.amdhsa_exception_fp_ieee_underflow 0
		.amdhsa_exception_fp_ieee_inexact 0
		.amdhsa_exception_int_div_zero 0
	.end_amdhsa_kernel
	.section	.text._ZN7rocprim17ROCPRIM_400000_NS6detail17trampoline_kernelINS0_14default_configENS1_35adjacent_difference_config_selectorILb1ElEEZNS1_24adjacent_difference_implIS3_Lb1ELb0EPlS7_ZN2at6native12_GLOBAL__N_124unique_dim_cuda_templateIiEESt5tupleIJNS8_6TensorESD_SD_EERKSD_lbbbEUlllE1_EE10hipError_tPvRmT2_T3_mT4_P12ihipStream_tbEUlT_E_NS1_11comp_targetILNS1_3genE10ELNS1_11target_archE1201ELNS1_3gpuE5ELNS1_3repE0EEENS1_30default_config_static_selectorELNS0_4arch9wavefront6targetE1EEEvT1_,"axG",@progbits,_ZN7rocprim17ROCPRIM_400000_NS6detail17trampoline_kernelINS0_14default_configENS1_35adjacent_difference_config_selectorILb1ElEEZNS1_24adjacent_difference_implIS3_Lb1ELb0EPlS7_ZN2at6native12_GLOBAL__N_124unique_dim_cuda_templateIiEESt5tupleIJNS8_6TensorESD_SD_EERKSD_lbbbEUlllE1_EE10hipError_tPvRmT2_T3_mT4_P12ihipStream_tbEUlT_E_NS1_11comp_targetILNS1_3genE10ELNS1_11target_archE1201ELNS1_3gpuE5ELNS1_3repE0EEENS1_30default_config_static_selectorELNS0_4arch9wavefront6targetE1EEEvT1_,comdat
.Lfunc_end434:
	.size	_ZN7rocprim17ROCPRIM_400000_NS6detail17trampoline_kernelINS0_14default_configENS1_35adjacent_difference_config_selectorILb1ElEEZNS1_24adjacent_difference_implIS3_Lb1ELb0EPlS7_ZN2at6native12_GLOBAL__N_124unique_dim_cuda_templateIiEESt5tupleIJNS8_6TensorESD_SD_EERKSD_lbbbEUlllE1_EE10hipError_tPvRmT2_T3_mT4_P12ihipStream_tbEUlT_E_NS1_11comp_targetILNS1_3genE10ELNS1_11target_archE1201ELNS1_3gpuE5ELNS1_3repE0EEENS1_30default_config_static_selectorELNS0_4arch9wavefront6targetE1EEEvT1_, .Lfunc_end434-_ZN7rocprim17ROCPRIM_400000_NS6detail17trampoline_kernelINS0_14default_configENS1_35adjacent_difference_config_selectorILb1ElEEZNS1_24adjacent_difference_implIS3_Lb1ELb0EPlS7_ZN2at6native12_GLOBAL__N_124unique_dim_cuda_templateIiEESt5tupleIJNS8_6TensorESD_SD_EERKSD_lbbbEUlllE1_EE10hipError_tPvRmT2_T3_mT4_P12ihipStream_tbEUlT_E_NS1_11comp_targetILNS1_3genE10ELNS1_11target_archE1201ELNS1_3gpuE5ELNS1_3repE0EEENS1_30default_config_static_selectorELNS0_4arch9wavefront6targetE1EEEvT1_
                                        ; -- End function
	.section	.AMDGPU.csdata,"",@progbits
; Kernel info:
; codeLenInByte = 0
; NumSgprs: 4
; NumVgprs: 0
; NumAgprs: 0
; TotalNumVgprs: 0
; ScratchSize: 0
; MemoryBound: 0
; FloatMode: 240
; IeeeMode: 1
; LDSByteSize: 0 bytes/workgroup (compile time only)
; SGPRBlocks: 0
; VGPRBlocks: 0
; NumSGPRsForWavesPerEU: 4
; NumVGPRsForWavesPerEU: 1
; AccumOffset: 4
; Occupancy: 8
; WaveLimiterHint : 0
; COMPUTE_PGM_RSRC2:SCRATCH_EN: 0
; COMPUTE_PGM_RSRC2:USER_SGPR: 6
; COMPUTE_PGM_RSRC2:TRAP_HANDLER: 0
; COMPUTE_PGM_RSRC2:TGID_X_EN: 1
; COMPUTE_PGM_RSRC2:TGID_Y_EN: 0
; COMPUTE_PGM_RSRC2:TGID_Z_EN: 0
; COMPUTE_PGM_RSRC2:TIDIG_COMP_CNT: 0
; COMPUTE_PGM_RSRC3_GFX90A:ACCUM_OFFSET: 0
; COMPUTE_PGM_RSRC3_GFX90A:TG_SPLIT: 0
	.section	.text._ZN7rocprim17ROCPRIM_400000_NS6detail17trampoline_kernelINS0_14default_configENS1_35adjacent_difference_config_selectorILb1ElEEZNS1_24adjacent_difference_implIS3_Lb1ELb0EPlS7_ZN2at6native12_GLOBAL__N_124unique_dim_cuda_templateIiEESt5tupleIJNS8_6TensorESD_SD_EERKSD_lbbbEUlllE1_EE10hipError_tPvRmT2_T3_mT4_P12ihipStream_tbEUlT_E_NS1_11comp_targetILNS1_3genE5ELNS1_11target_archE942ELNS1_3gpuE9ELNS1_3repE0EEENS1_30default_config_static_selectorELNS0_4arch9wavefront6targetE1EEEvT1_,"axG",@progbits,_ZN7rocprim17ROCPRIM_400000_NS6detail17trampoline_kernelINS0_14default_configENS1_35adjacent_difference_config_selectorILb1ElEEZNS1_24adjacent_difference_implIS3_Lb1ELb0EPlS7_ZN2at6native12_GLOBAL__N_124unique_dim_cuda_templateIiEESt5tupleIJNS8_6TensorESD_SD_EERKSD_lbbbEUlllE1_EE10hipError_tPvRmT2_T3_mT4_P12ihipStream_tbEUlT_E_NS1_11comp_targetILNS1_3genE5ELNS1_11target_archE942ELNS1_3gpuE9ELNS1_3repE0EEENS1_30default_config_static_selectorELNS0_4arch9wavefront6targetE1EEEvT1_,comdat
	.globl	_ZN7rocprim17ROCPRIM_400000_NS6detail17trampoline_kernelINS0_14default_configENS1_35adjacent_difference_config_selectorILb1ElEEZNS1_24adjacent_difference_implIS3_Lb1ELb0EPlS7_ZN2at6native12_GLOBAL__N_124unique_dim_cuda_templateIiEESt5tupleIJNS8_6TensorESD_SD_EERKSD_lbbbEUlllE1_EE10hipError_tPvRmT2_T3_mT4_P12ihipStream_tbEUlT_E_NS1_11comp_targetILNS1_3genE5ELNS1_11target_archE942ELNS1_3gpuE9ELNS1_3repE0EEENS1_30default_config_static_selectorELNS0_4arch9wavefront6targetE1EEEvT1_ ; -- Begin function _ZN7rocprim17ROCPRIM_400000_NS6detail17trampoline_kernelINS0_14default_configENS1_35adjacent_difference_config_selectorILb1ElEEZNS1_24adjacent_difference_implIS3_Lb1ELb0EPlS7_ZN2at6native12_GLOBAL__N_124unique_dim_cuda_templateIiEESt5tupleIJNS8_6TensorESD_SD_EERKSD_lbbbEUlllE1_EE10hipError_tPvRmT2_T3_mT4_P12ihipStream_tbEUlT_E_NS1_11comp_targetILNS1_3genE5ELNS1_11target_archE942ELNS1_3gpuE9ELNS1_3repE0EEENS1_30default_config_static_selectorELNS0_4arch9wavefront6targetE1EEEvT1_
	.p2align	8
	.type	_ZN7rocprim17ROCPRIM_400000_NS6detail17trampoline_kernelINS0_14default_configENS1_35adjacent_difference_config_selectorILb1ElEEZNS1_24adjacent_difference_implIS3_Lb1ELb0EPlS7_ZN2at6native12_GLOBAL__N_124unique_dim_cuda_templateIiEESt5tupleIJNS8_6TensorESD_SD_EERKSD_lbbbEUlllE1_EE10hipError_tPvRmT2_T3_mT4_P12ihipStream_tbEUlT_E_NS1_11comp_targetILNS1_3genE5ELNS1_11target_archE942ELNS1_3gpuE9ELNS1_3repE0EEENS1_30default_config_static_selectorELNS0_4arch9wavefront6targetE1EEEvT1_,@function
_ZN7rocprim17ROCPRIM_400000_NS6detail17trampoline_kernelINS0_14default_configENS1_35adjacent_difference_config_selectorILb1ElEEZNS1_24adjacent_difference_implIS3_Lb1ELb0EPlS7_ZN2at6native12_GLOBAL__N_124unique_dim_cuda_templateIiEESt5tupleIJNS8_6TensorESD_SD_EERKSD_lbbbEUlllE1_EE10hipError_tPvRmT2_T3_mT4_P12ihipStream_tbEUlT_E_NS1_11comp_targetILNS1_3genE5ELNS1_11target_archE942ELNS1_3gpuE9ELNS1_3repE0EEENS1_30default_config_static_selectorELNS0_4arch9wavefront6targetE1EEEvT1_: ; @_ZN7rocprim17ROCPRIM_400000_NS6detail17trampoline_kernelINS0_14default_configENS1_35adjacent_difference_config_selectorILb1ElEEZNS1_24adjacent_difference_implIS3_Lb1ELb0EPlS7_ZN2at6native12_GLOBAL__N_124unique_dim_cuda_templateIiEESt5tupleIJNS8_6TensorESD_SD_EERKSD_lbbbEUlllE1_EE10hipError_tPvRmT2_T3_mT4_P12ihipStream_tbEUlT_E_NS1_11comp_targetILNS1_3genE5ELNS1_11target_archE942ELNS1_3gpuE9ELNS1_3repE0EEENS1_30default_config_static_selectorELNS0_4arch9wavefront6targetE1EEEvT1_
; %bb.0:
	.section	.rodata,"a",@progbits
	.p2align	6, 0x0
	.amdhsa_kernel _ZN7rocprim17ROCPRIM_400000_NS6detail17trampoline_kernelINS0_14default_configENS1_35adjacent_difference_config_selectorILb1ElEEZNS1_24adjacent_difference_implIS3_Lb1ELb0EPlS7_ZN2at6native12_GLOBAL__N_124unique_dim_cuda_templateIiEESt5tupleIJNS8_6TensorESD_SD_EERKSD_lbbbEUlllE1_EE10hipError_tPvRmT2_T3_mT4_P12ihipStream_tbEUlT_E_NS1_11comp_targetILNS1_3genE5ELNS1_11target_archE942ELNS1_3gpuE9ELNS1_3repE0EEENS1_30default_config_static_selectorELNS0_4arch9wavefront6targetE1EEEvT1_
		.amdhsa_group_segment_fixed_size 0
		.amdhsa_private_segment_fixed_size 0
		.amdhsa_kernarg_size 64
		.amdhsa_user_sgpr_count 6
		.amdhsa_user_sgpr_private_segment_buffer 1
		.amdhsa_user_sgpr_dispatch_ptr 0
		.amdhsa_user_sgpr_queue_ptr 0
		.amdhsa_user_sgpr_kernarg_segment_ptr 1
		.amdhsa_user_sgpr_dispatch_id 0
		.amdhsa_user_sgpr_flat_scratch_init 0
		.amdhsa_user_sgpr_kernarg_preload_length 0
		.amdhsa_user_sgpr_kernarg_preload_offset 0
		.amdhsa_user_sgpr_private_segment_size 0
		.amdhsa_uses_dynamic_stack 0
		.amdhsa_system_sgpr_private_segment_wavefront_offset 0
		.amdhsa_system_sgpr_workgroup_id_x 1
		.amdhsa_system_sgpr_workgroup_id_y 0
		.amdhsa_system_sgpr_workgroup_id_z 0
		.amdhsa_system_sgpr_workgroup_info 0
		.amdhsa_system_vgpr_workitem_id 0
		.amdhsa_next_free_vgpr 1
		.amdhsa_next_free_sgpr 0
		.amdhsa_accum_offset 4
		.amdhsa_reserve_vcc 0
		.amdhsa_reserve_flat_scratch 0
		.amdhsa_float_round_mode_32 0
		.amdhsa_float_round_mode_16_64 0
		.amdhsa_float_denorm_mode_32 3
		.amdhsa_float_denorm_mode_16_64 3
		.amdhsa_dx10_clamp 1
		.amdhsa_ieee_mode 1
		.amdhsa_fp16_overflow 0
		.amdhsa_tg_split 0
		.amdhsa_exception_fp_ieee_invalid_op 0
		.amdhsa_exception_fp_denorm_src 0
		.amdhsa_exception_fp_ieee_div_zero 0
		.amdhsa_exception_fp_ieee_overflow 0
		.amdhsa_exception_fp_ieee_underflow 0
		.amdhsa_exception_fp_ieee_inexact 0
		.amdhsa_exception_int_div_zero 0
	.end_amdhsa_kernel
	.section	.text._ZN7rocprim17ROCPRIM_400000_NS6detail17trampoline_kernelINS0_14default_configENS1_35adjacent_difference_config_selectorILb1ElEEZNS1_24adjacent_difference_implIS3_Lb1ELb0EPlS7_ZN2at6native12_GLOBAL__N_124unique_dim_cuda_templateIiEESt5tupleIJNS8_6TensorESD_SD_EERKSD_lbbbEUlllE1_EE10hipError_tPvRmT2_T3_mT4_P12ihipStream_tbEUlT_E_NS1_11comp_targetILNS1_3genE5ELNS1_11target_archE942ELNS1_3gpuE9ELNS1_3repE0EEENS1_30default_config_static_selectorELNS0_4arch9wavefront6targetE1EEEvT1_,"axG",@progbits,_ZN7rocprim17ROCPRIM_400000_NS6detail17trampoline_kernelINS0_14default_configENS1_35adjacent_difference_config_selectorILb1ElEEZNS1_24adjacent_difference_implIS3_Lb1ELb0EPlS7_ZN2at6native12_GLOBAL__N_124unique_dim_cuda_templateIiEESt5tupleIJNS8_6TensorESD_SD_EERKSD_lbbbEUlllE1_EE10hipError_tPvRmT2_T3_mT4_P12ihipStream_tbEUlT_E_NS1_11comp_targetILNS1_3genE5ELNS1_11target_archE942ELNS1_3gpuE9ELNS1_3repE0EEENS1_30default_config_static_selectorELNS0_4arch9wavefront6targetE1EEEvT1_,comdat
.Lfunc_end435:
	.size	_ZN7rocprim17ROCPRIM_400000_NS6detail17trampoline_kernelINS0_14default_configENS1_35adjacent_difference_config_selectorILb1ElEEZNS1_24adjacent_difference_implIS3_Lb1ELb0EPlS7_ZN2at6native12_GLOBAL__N_124unique_dim_cuda_templateIiEESt5tupleIJNS8_6TensorESD_SD_EERKSD_lbbbEUlllE1_EE10hipError_tPvRmT2_T3_mT4_P12ihipStream_tbEUlT_E_NS1_11comp_targetILNS1_3genE5ELNS1_11target_archE942ELNS1_3gpuE9ELNS1_3repE0EEENS1_30default_config_static_selectorELNS0_4arch9wavefront6targetE1EEEvT1_, .Lfunc_end435-_ZN7rocprim17ROCPRIM_400000_NS6detail17trampoline_kernelINS0_14default_configENS1_35adjacent_difference_config_selectorILb1ElEEZNS1_24adjacent_difference_implIS3_Lb1ELb0EPlS7_ZN2at6native12_GLOBAL__N_124unique_dim_cuda_templateIiEESt5tupleIJNS8_6TensorESD_SD_EERKSD_lbbbEUlllE1_EE10hipError_tPvRmT2_T3_mT4_P12ihipStream_tbEUlT_E_NS1_11comp_targetILNS1_3genE5ELNS1_11target_archE942ELNS1_3gpuE9ELNS1_3repE0EEENS1_30default_config_static_selectorELNS0_4arch9wavefront6targetE1EEEvT1_
                                        ; -- End function
	.section	.AMDGPU.csdata,"",@progbits
; Kernel info:
; codeLenInByte = 0
; NumSgprs: 4
; NumVgprs: 0
; NumAgprs: 0
; TotalNumVgprs: 0
; ScratchSize: 0
; MemoryBound: 0
; FloatMode: 240
; IeeeMode: 1
; LDSByteSize: 0 bytes/workgroup (compile time only)
; SGPRBlocks: 0
; VGPRBlocks: 0
; NumSGPRsForWavesPerEU: 4
; NumVGPRsForWavesPerEU: 1
; AccumOffset: 4
; Occupancy: 8
; WaveLimiterHint : 0
; COMPUTE_PGM_RSRC2:SCRATCH_EN: 0
; COMPUTE_PGM_RSRC2:USER_SGPR: 6
; COMPUTE_PGM_RSRC2:TRAP_HANDLER: 0
; COMPUTE_PGM_RSRC2:TGID_X_EN: 1
; COMPUTE_PGM_RSRC2:TGID_Y_EN: 0
; COMPUTE_PGM_RSRC2:TGID_Z_EN: 0
; COMPUTE_PGM_RSRC2:TIDIG_COMP_CNT: 0
; COMPUTE_PGM_RSRC3_GFX90A:ACCUM_OFFSET: 0
; COMPUTE_PGM_RSRC3_GFX90A:TG_SPLIT: 0
	.section	.text._ZN7rocprim17ROCPRIM_400000_NS6detail17trampoline_kernelINS0_14default_configENS1_35adjacent_difference_config_selectorILb1ElEEZNS1_24adjacent_difference_implIS3_Lb1ELb0EPlS7_ZN2at6native12_GLOBAL__N_124unique_dim_cuda_templateIiEESt5tupleIJNS8_6TensorESD_SD_EERKSD_lbbbEUlllE1_EE10hipError_tPvRmT2_T3_mT4_P12ihipStream_tbEUlT_E_NS1_11comp_targetILNS1_3genE4ELNS1_11target_archE910ELNS1_3gpuE8ELNS1_3repE0EEENS1_30default_config_static_selectorELNS0_4arch9wavefront6targetE1EEEvT1_,"axG",@progbits,_ZN7rocprim17ROCPRIM_400000_NS6detail17trampoline_kernelINS0_14default_configENS1_35adjacent_difference_config_selectorILb1ElEEZNS1_24adjacent_difference_implIS3_Lb1ELb0EPlS7_ZN2at6native12_GLOBAL__N_124unique_dim_cuda_templateIiEESt5tupleIJNS8_6TensorESD_SD_EERKSD_lbbbEUlllE1_EE10hipError_tPvRmT2_T3_mT4_P12ihipStream_tbEUlT_E_NS1_11comp_targetILNS1_3genE4ELNS1_11target_archE910ELNS1_3gpuE8ELNS1_3repE0EEENS1_30default_config_static_selectorELNS0_4arch9wavefront6targetE1EEEvT1_,comdat
	.globl	_ZN7rocprim17ROCPRIM_400000_NS6detail17trampoline_kernelINS0_14default_configENS1_35adjacent_difference_config_selectorILb1ElEEZNS1_24adjacent_difference_implIS3_Lb1ELb0EPlS7_ZN2at6native12_GLOBAL__N_124unique_dim_cuda_templateIiEESt5tupleIJNS8_6TensorESD_SD_EERKSD_lbbbEUlllE1_EE10hipError_tPvRmT2_T3_mT4_P12ihipStream_tbEUlT_E_NS1_11comp_targetILNS1_3genE4ELNS1_11target_archE910ELNS1_3gpuE8ELNS1_3repE0EEENS1_30default_config_static_selectorELNS0_4arch9wavefront6targetE1EEEvT1_ ; -- Begin function _ZN7rocprim17ROCPRIM_400000_NS6detail17trampoline_kernelINS0_14default_configENS1_35adjacent_difference_config_selectorILb1ElEEZNS1_24adjacent_difference_implIS3_Lb1ELb0EPlS7_ZN2at6native12_GLOBAL__N_124unique_dim_cuda_templateIiEESt5tupleIJNS8_6TensorESD_SD_EERKSD_lbbbEUlllE1_EE10hipError_tPvRmT2_T3_mT4_P12ihipStream_tbEUlT_E_NS1_11comp_targetILNS1_3genE4ELNS1_11target_archE910ELNS1_3gpuE8ELNS1_3repE0EEENS1_30default_config_static_selectorELNS0_4arch9wavefront6targetE1EEEvT1_
	.p2align	8
	.type	_ZN7rocprim17ROCPRIM_400000_NS6detail17trampoline_kernelINS0_14default_configENS1_35adjacent_difference_config_selectorILb1ElEEZNS1_24adjacent_difference_implIS3_Lb1ELb0EPlS7_ZN2at6native12_GLOBAL__N_124unique_dim_cuda_templateIiEESt5tupleIJNS8_6TensorESD_SD_EERKSD_lbbbEUlllE1_EE10hipError_tPvRmT2_T3_mT4_P12ihipStream_tbEUlT_E_NS1_11comp_targetILNS1_3genE4ELNS1_11target_archE910ELNS1_3gpuE8ELNS1_3repE0EEENS1_30default_config_static_selectorELNS0_4arch9wavefront6targetE1EEEvT1_,@function
_ZN7rocprim17ROCPRIM_400000_NS6detail17trampoline_kernelINS0_14default_configENS1_35adjacent_difference_config_selectorILb1ElEEZNS1_24adjacent_difference_implIS3_Lb1ELb0EPlS7_ZN2at6native12_GLOBAL__N_124unique_dim_cuda_templateIiEESt5tupleIJNS8_6TensorESD_SD_EERKSD_lbbbEUlllE1_EE10hipError_tPvRmT2_T3_mT4_P12ihipStream_tbEUlT_E_NS1_11comp_targetILNS1_3genE4ELNS1_11target_archE910ELNS1_3gpuE8ELNS1_3repE0EEENS1_30default_config_static_selectorELNS0_4arch9wavefront6targetE1EEEvT1_: ; @_ZN7rocprim17ROCPRIM_400000_NS6detail17trampoline_kernelINS0_14default_configENS1_35adjacent_difference_config_selectorILb1ElEEZNS1_24adjacent_difference_implIS3_Lb1ELb0EPlS7_ZN2at6native12_GLOBAL__N_124unique_dim_cuda_templateIiEESt5tupleIJNS8_6TensorESD_SD_EERKSD_lbbbEUlllE1_EE10hipError_tPvRmT2_T3_mT4_P12ihipStream_tbEUlT_E_NS1_11comp_targetILNS1_3genE4ELNS1_11target_archE910ELNS1_3gpuE8ELNS1_3repE0EEENS1_30default_config_static_selectorELNS0_4arch9wavefront6targetE1EEEvT1_
; %bb.0:
	s_load_dwordx16 s[8:23], s[4:5], 0x0
	s_mov_b32 s3, 0
	s_waitcnt lgkmcnt(0)
	s_lshl_b64 s[10:11], s[10:11], 3
	s_add_u32 s30, s8, s10
	s_addc_u32 s31, s9, s11
	s_lshl_b32 s8, s6, 10
	s_lshr_b64 s[0:1], s[14:15], 10
	s_and_b32 s2, s14, 0x3ff
	s_cmp_lg_u64 s[2:3], 0
	s_cselect_b64 s[4:5], -1, 0
	v_cndmask_b32_e64 v1, 0, 1, s[4:5]
	v_readfirstlane_b32 s2, v1
	s_add_u32 s26, s0, s2
	s_addc_u32 s27, s1, 0
	s_add_u32 s28, s22, s6
	s_addc_u32 s29, s23, 0
	s_mov_b32 s2, s6
	s_add_u32 s6, s26, -1
	s_addc_u32 s7, s27, -1
	v_pk_mov_b32 v[2:3], s[6:7], s[6:7] op_sel:[0,1]
	v_cmp_ge_u64_e64 s[0:1], s[28:29], v[2:3]
	s_mov_b64 s[4:5], -1
	s_and_b64 vcc, exec, s[0:1]
	s_cbranch_vccz .LBB436_6
; %bb.1:
	s_lshl_b32 s4, s6, 10
	s_mov_b32 s9, s3
	s_sub_i32 s15, s14, s4
	s_lshl_b64 s[4:5], s[8:9], 3
	s_add_u32 s4, s30, s4
	s_addc_u32 s5, s31, s5
	v_cmp_gt_u32_e32 vcc, s15, v0
                                        ; implicit-def: $vgpr2_vgpr3_vgpr4_vgpr5
	s_and_saveexec_b64 s[24:25], vcc
	s_cbranch_execz .LBB436_3
; %bb.2:
	v_lshlrev_b32_e32 v1, 3, v0
	global_load_dwordx2 v[2:3], v1, s[4:5]
.LBB436_3:
	s_or_b64 exec, exec, s[24:25]
	v_or_b32_e32 v1, 0x200, v0
	v_cmp_gt_u32_e32 vcc, s15, v1
	s_and_saveexec_b64 s[24:25], vcc
	s_cbranch_execz .LBB436_5
; %bb.4:
	v_lshlrev_b32_e32 v4, 3, v1
	global_load_dwordx2 v[4:5], v4, s[4:5]
.LBB436_5:
	s_or_b64 exec, exec, s[24:25]
	v_lshrrev_b32_e32 v6, 2, v0
	v_lshrrev_b32_e32 v1, 2, v1
	v_and_b32_e32 v6, 0x78, v6
	v_lshlrev_b32_e32 v7, 3, v0
	v_and_b32_e32 v1, 0xf8, v1
	v_add_u32_e32 v6, v6, v7
	v_add_u32_e32 v1, v1, v7
	s_mov_b64 s[4:5], 0
	s_waitcnt vmcnt(0)
	ds_write_b64 v6, v[2:3]
	ds_write_b64 v1, v[4:5] offset:4096
	s_waitcnt lgkmcnt(0)
	s_barrier
.LBB436_6:
	s_and_b64 vcc, exec, s[4:5]
	v_lshlrev_b32_e32 v1, 3, v0
	s_cbranch_vccz .LBB436_8
; %bb.7:
	s_mov_b32 s9, 0
	s_lshl_b64 s[4:5], s[8:9], 3
	s_add_u32 s4, s30, s4
	s_addc_u32 s5, s31, s5
	v_mov_b32_e32 v2, s5
	v_add_co_u32_e32 v3, vcc, s4, v1
	v_addc_co_u32_e32 v4, vcc, 0, v2, vcc
	v_add_co_u32_e32 v2, vcc, 0x1000, v3
	v_addc_co_u32_e32 v3, vcc, 0, v4, vcc
	global_load_dwordx2 v[4:5], v1, s[4:5]
	global_load_dwordx2 v[6:7], v[2:3], off
	v_lshrrev_b32_e32 v2, 2, v0
	v_or_b32_e32 v3, 0x200, v0
	v_and_b32_e32 v2, 0x78, v2
	v_lshrrev_b32_e32 v3, 2, v3
	v_add_u32_e32 v2, v2, v1
	v_and_b32_e32 v3, 0xf8, v3
	v_add_u32_e32 v3, v3, v1
	s_waitcnt vmcnt(1)
	ds_write_b64 v2, v[4:5]
	s_waitcnt vmcnt(0)
	ds_write_b64 v3, v[6:7] offset:4096
	s_waitcnt lgkmcnt(0)
	s_barrier
.LBB436_8:
	v_lshlrev_b32_e32 v2, 1, v0
	v_lshrrev_b32_e32 v3, 4, v0
	v_add_lshl_u32 v2, v3, v2, 3
	ds_read2_b64 v[2:5], v2 offset1:1
	s_cmp_eq_u64 s[28:29], 0
	s_mov_b64 s[24:25], 0
	s_waitcnt lgkmcnt(0)
	s_barrier
	s_cbranch_scc1 .LBB436_17
; %bb.9:
	s_lshl_b64 s[4:5], s[22:23], 3
	s_add_u32 s4, s20, s4
	s_addc_u32 s5, s21, s5
	s_lshl_b64 s[2:3], s[2:3], 3
	s_add_u32 s2, s4, s2
	s_addc_u32 s3, s5, s3
	s_add_u32 s2, s2, -8
	s_addc_u32 s3, s3, -1
	s_load_dwordx2 s[20:21], s[2:3], 0x0
	s_cmp_lg_u64 s[28:29], s[6:7]
	s_cbranch_scc0 .LBB436_18
; %bb.10:
	v_cmp_lt_i64_e64 s[2:3], s[16:17], 1
	v_pk_mov_b32 v[8:9], 0, 0
	v_cmp_gt_i64_e64 s[22:23], s[16:17], 0
	s_and_b64 vcc, exec, s[2:3]
	ds_write_b64 v1, v[4:5]
	s_cbranch_vccnz .LBB436_21
; %bb.11:
	v_mul_lo_u32 v8, v5, s16
	v_mul_lo_u32 v9, v4, s17
	v_mad_u64_u32 v[6:7], s[2:3], v4, s16, 0
	v_add3_u32 v7, v7, v9, v8
	v_mul_lo_u32 v10, v3, s16
	v_mul_lo_u32 v11, v2, s17
	v_mad_u64_u32 v[8:9], s[2:3], v2, s16, 0
	v_add3_u32 v9, v9, v11, v10
	v_lshlrev_b64 v[10:11], 2, v[6:7]
	v_mov_b32_e32 v6, s19
	v_add_co_u32_e32 v12, vcc, s18, v10
	v_addc_co_u32_e64 v13, s[2:3], v6, v11, vcc
	v_lshlrev_b64 v[6:7], 2, v[8:9]
	v_mov_b32_e32 v8, s19
	v_add_co_u32_e64 v14, s[2:3], s18, v6
	v_addc_co_u32_e64 v15, s[4:5], v8, v7, s[2:3]
	global_load_dword v6, v[12:13], off
	global_load_dword v8, v[14:15], off
	s_waitcnt vmcnt(0)
	v_cmp_eq_u32_e64 s[4:5], v6, v8
	v_mov_b32_e32 v8, 1
	v_mov_b32_e32 v9, 0
	s_and_saveexec_b64 s[24:25], s[4:5]
	s_cbranch_execz .LBB436_20
; %bb.12:
	v_mov_b32_e32 v6, s19
	v_addc_co_u32_e64 v7, s[2:3], v7, v6, s[2:3]
	v_add_co_u32_e64 v6, s[2:3], 4, v14
	v_mov_b32_e32 v8, s19
	v_addc_co_u32_e64 v7, s[2:3], 0, v7, s[2:3]
	v_addc_co_u32_e32 v9, vcc, v11, v8, vcc
	v_add_co_u32_e32 v8, vcc, 4, v12
	s_add_u32 s2, s16, -1
	v_addc_co_u32_e32 v9, vcc, 0, v9, vcc
	s_addc_u32 s3, s17, -1
	s_mov_b64 s[4:5], 0
	s_mov_b64 s[34:35], 0
                                        ; implicit-def: $sgpr30_sgpr31
	s_branch .LBB436_15
.LBB436_13:                             ;   in Loop: Header=BB436_15 Depth=1
	global_load_dword v10, v[8:9], off
	global_load_dword v11, v[6:7], off
	v_add_co_u32_e32 v6, vcc, 4, v6
	v_addc_co_u32_e32 v7, vcc, 0, v7, vcc
	v_add_co_u32_e32 v8, vcc, 4, v8
	v_addc_co_u32_e32 v9, vcc, 0, v9, vcc
	s_add_u32 s34, s34, 1
	s_addc_u32 s35, s35, 0
	s_andn2_b64 s[30:31], s[30:31], exec
	s_waitcnt vmcnt(0)
	v_cmp_ne_u32_e32 vcc, v10, v11
	s_and_b64 s[36:37], vcc, exec
	s_or_b64 s[30:31], s[30:31], s[36:37]
.LBB436_14:                             ;   in Loop: Header=BB436_15 Depth=1
	s_and_b64 s[36:37], exec, s[30:31]
	s_or_b64 s[4:5], s[36:37], s[4:5]
	v_pk_mov_b32 v[10:11], s[34:35], s[34:35] op_sel:[0,1]
	s_andn2_b64 exec, exec, s[4:5]
	s_cbranch_execz .LBB436_19
.LBB436_15:                             ; =>This Inner Loop Header: Depth=1
	s_or_b64 s[30:31], s[30:31], exec
	s_cmp_eq_u64 s[2:3], s[34:35]
	s_cbranch_scc0 .LBB436_13
; %bb.16:                               ;   in Loop: Header=BB436_15 Depth=1
                                        ; implicit-def: $vgpr6_vgpr7
                                        ; implicit-def: $vgpr8_vgpr9
	s_mov_b64 s[34:35], s[16:17]
	s_branch .LBB436_14
.LBB436_17:
                                        ; implicit-def: $sgpr22_sgpr23
                                        ; implicit-def: $vgpr8_vgpr9
	s_cbranch_execnz .LBB436_60
	s_branch .LBB436_108
.LBB436_18:
                                        ; implicit-def: $sgpr22_sgpr23
                                        ; implicit-def: $vgpr8_vgpr9
	s_cbranch_execnz .LBB436_33
	s_branch .LBB436_59
.LBB436_19:
	s_or_b64 exec, exec, s[4:5]
	v_cmp_gt_i64_e32 vcc, s[16:17], v[10:11]
	s_mov_b32 s2, 0
	v_cndmask_b32_e64 v8, 0, 1, vcc
	v_mov_b32_e32 v9, s2
.LBB436_20:
	s_or_b64 exec, exec, s[24:25]
.LBB436_21:
	v_cmp_ne_u32_e32 vcc, 0, v0
	s_waitcnt lgkmcnt(0)
	v_pk_mov_b32 v[6:7], s[20:21], s[20:21] op_sel:[0,1]
	s_barrier
	s_and_saveexec_b64 s[2:3], vcc
	s_cbranch_execz .LBB436_23
; %bb.22:
	v_add_u32_e32 v6, -8, v1
	ds_read_b64 v[6:7], v6
.LBB436_23:
	s_or_b64 exec, exec, s[2:3]
	s_mov_b64 s[30:31], 0
	s_andn2_b64 vcc, exec, s[22:23]
	s_mov_b64 s[22:23], 0
	s_cbranch_vccnz .LBB436_32
; %bb.24:
	v_mul_lo_u32 v12, v3, s16
	v_mul_lo_u32 v13, v2, s17
	v_mad_u64_u32 v[10:11], s[2:3], v2, s16, 0
	v_add3_u32 v11, v11, v13, v12
	s_waitcnt lgkmcnt(0)
	v_mul_lo_u32 v12, v7, s16
	v_mul_lo_u32 v13, v6, s17
	v_mad_u64_u32 v[6:7], s[2:3], v6, s16, 0
	v_lshlrev_b64 v[10:11], 2, v[10:11]
	v_add3_u32 v7, v7, v13, v12
	v_mov_b32_e32 v13, s19
	v_add_co_u32_e32 v12, vcc, s18, v10
	v_addc_co_u32_e64 v13, s[2:3], v13, v11, vcc
	v_lshlrev_b64 v[6:7], 2, v[6:7]
	v_mov_b32_e32 v10, s19
	v_add_co_u32_e64 v14, s[2:3], s18, v6
	v_addc_co_u32_e64 v15, s[4:5], v10, v7, s[2:3]
	global_load_dword v6, v[12:13], off
	global_load_dword v10, v[14:15], off
	s_mov_b64 s[22:23], -1
	s_waitcnt vmcnt(0)
	v_cmp_eq_u32_e64 s[4:5], v6, v10
	s_and_saveexec_b64 s[24:25], s[4:5]
	s_cbranch_execz .LBB436_31
; %bb.25:
	v_mov_b32_e32 v6, s19
	v_addc_co_u32_e64 v7, s[2:3], v7, v6, s[2:3]
	v_add_co_u32_e64 v6, s[2:3], 4, v14
	v_mov_b32_e32 v10, s19
	v_addc_co_u32_e64 v7, s[2:3], 0, v7, s[2:3]
	v_addc_co_u32_e32 v11, vcc, v11, v10, vcc
	v_add_co_u32_e32 v10, vcc, 4, v12
	s_add_u32 s2, s16, -1
	v_addc_co_u32_e32 v11, vcc, 0, v11, vcc
	s_addc_u32 s3, s17, -1
	s_mov_b64 s[4:5], 0
	s_mov_b64 s[34:35], 0
                                        ; implicit-def: $sgpr22_sgpr23
	s_branch .LBB436_28
.LBB436_26:                             ;   in Loop: Header=BB436_28 Depth=1
	global_load_dword v12, v[10:11], off
	global_load_dword v13, v[6:7], off
	v_add_co_u32_e32 v6, vcc, 4, v6
	v_addc_co_u32_e32 v7, vcc, 0, v7, vcc
	v_add_co_u32_e32 v10, vcc, 4, v10
	v_addc_co_u32_e32 v11, vcc, 0, v11, vcc
	s_add_u32 s34, s34, 1
	s_addc_u32 s35, s35, 0
	s_andn2_b64 s[22:23], s[22:23], exec
	s_waitcnt vmcnt(0)
	v_cmp_ne_u32_e32 vcc, v12, v13
	s_and_b64 s[36:37], vcc, exec
	s_or_b64 s[22:23], s[22:23], s[36:37]
.LBB436_27:                             ;   in Loop: Header=BB436_28 Depth=1
	s_and_b64 s[36:37], exec, s[22:23]
	s_or_b64 s[4:5], s[36:37], s[4:5]
	v_pk_mov_b32 v[12:13], s[34:35], s[34:35] op_sel:[0,1]
	s_andn2_b64 exec, exec, s[4:5]
	s_cbranch_execz .LBB436_30
.LBB436_28:                             ; =>This Inner Loop Header: Depth=1
	s_or_b64 s[22:23], s[22:23], exec
	s_cmp_eq_u64 s[2:3], s[34:35]
	s_cbranch_scc0 .LBB436_26
; %bb.29:                               ;   in Loop: Header=BB436_28 Depth=1
                                        ; implicit-def: $vgpr6_vgpr7
                                        ; implicit-def: $vgpr10_vgpr11
	s_mov_b64 s[34:35], s[16:17]
	s_branch .LBB436_27
.LBB436_30:
	s_or_b64 exec, exec, s[4:5]
	v_cmp_gt_i64_e32 vcc, s[16:17], v[12:13]
	s_orn2_b64 s[22:23], vcc, exec
.LBB436_31:
	s_or_b64 exec, exec, s[24:25]
.LBB436_32:
	s_mov_b64 s[24:25], -1
	s_and_b64 vcc, exec, s[30:31]
	s_cbranch_vccz .LBB436_59
.LBB436_33:
	s_lshl_b32 s2, s28, 10
	v_lshlrev_b32_e32 v16, 1, v0
	s_sub_i32 s7, s14, s2
	s_waitcnt lgkmcnt(0)
	v_or_b32_e32 v6, 1, v16
	v_cmp_gt_u32_e32 vcc, s7, v6
	v_pk_mov_b32 v[8:9], v[4:5], v[4:5] op_sel:[0,1]
	ds_write_b64 v1, v[4:5]
	v_pk_mov_b32 v[6:7], v[2:3], v[2:3] op_sel:[0,1]
	s_and_saveexec_b64 s[22:23], vcc
	s_cbranch_execz .LBB436_44
; %bb.34:
	v_cmp_lt_i64_e64 s[2:3], s[16:17], 1
	s_and_b64 vcc, exec, s[2:3]
	s_cbranch_vccnz .LBB436_41
; %bb.35:
	v_mul_lo_u32 v8, v5, s16
	v_mul_lo_u32 v9, v4, s17
	v_mad_u64_u32 v[6:7], s[2:3], v4, s16, 0
	v_add3_u32 v7, v7, v9, v8
	v_mul_lo_u32 v10, v3, s16
	v_mul_lo_u32 v11, v2, s17
	v_mad_u64_u32 v[8:9], s[2:3], v2, s16, 0
	v_add3_u32 v9, v9, v11, v10
	v_lshlrev_b64 v[10:11], 2, v[6:7]
	v_mov_b32_e32 v6, s19
	v_add_co_u32_e32 v12, vcc, s18, v10
	v_addc_co_u32_e64 v13, s[2:3], v6, v11, vcc
	v_lshlrev_b64 v[6:7], 2, v[8:9]
	v_mov_b32_e32 v8, s19
	v_add_co_u32_e64 v14, s[2:3], s18, v6
	v_addc_co_u32_e64 v15, s[4:5], v8, v7, s[2:3]
	global_load_dword v6, v[12:13], off
	global_load_dword v8, v[14:15], off
	s_waitcnt vmcnt(0)
	v_cmp_eq_u32_e64 s[4:5], v6, v8
	v_mov_b32_e32 v8, 1
	v_mov_b32_e32 v9, 0
	s_and_saveexec_b64 s[28:29], s[4:5]
	s_cbranch_execz .LBB436_43
; %bb.36:
	v_mov_b32_e32 v6, s19
	v_addc_co_u32_e64 v7, s[2:3], v7, v6, s[2:3]
	v_add_co_u32_e64 v6, s[2:3], 4, v14
	v_mov_b32_e32 v8, s19
	v_addc_co_u32_e64 v7, s[2:3], 0, v7, s[2:3]
	v_addc_co_u32_e32 v9, vcc, v11, v8, vcc
	v_add_co_u32_e32 v8, vcc, 4, v12
	s_add_u32 s2, s16, -1
	v_addc_co_u32_e32 v9, vcc, 0, v9, vcc
	s_addc_u32 s3, s17, -1
	s_mov_b64 s[4:5], 0
	s_mov_b64 s[34:35], 0
                                        ; implicit-def: $sgpr30_sgpr31
	s_branch .LBB436_39
.LBB436_37:                             ;   in Loop: Header=BB436_39 Depth=1
	global_load_dword v10, v[8:9], off
	global_load_dword v11, v[6:7], off
	v_add_co_u32_e32 v6, vcc, 4, v6
	v_addc_co_u32_e32 v7, vcc, 0, v7, vcc
	v_add_co_u32_e32 v8, vcc, 4, v8
	v_addc_co_u32_e32 v9, vcc, 0, v9, vcc
	s_add_u32 s34, s34, 1
	s_addc_u32 s35, s35, 0
	s_andn2_b64 s[30:31], s[30:31], exec
	s_waitcnt vmcnt(0)
	v_cmp_ne_u32_e32 vcc, v10, v11
	s_and_b64 s[36:37], vcc, exec
	s_or_b64 s[30:31], s[30:31], s[36:37]
.LBB436_38:                             ;   in Loop: Header=BB436_39 Depth=1
	s_and_b64 s[36:37], exec, s[30:31]
	s_or_b64 s[4:5], s[36:37], s[4:5]
	v_pk_mov_b32 v[10:11], s[34:35], s[34:35] op_sel:[0,1]
	s_andn2_b64 exec, exec, s[4:5]
	s_cbranch_execz .LBB436_42
.LBB436_39:                             ; =>This Inner Loop Header: Depth=1
	s_or_b64 s[30:31], s[30:31], exec
	s_cmp_eq_u64 s[2:3], s[34:35]
	s_cbranch_scc0 .LBB436_37
; %bb.40:                               ;   in Loop: Header=BB436_39 Depth=1
                                        ; implicit-def: $vgpr6_vgpr7
                                        ; implicit-def: $vgpr8_vgpr9
	s_mov_b64 s[34:35], s[16:17]
	s_branch .LBB436_38
.LBB436_41:
	v_pk_mov_b32 v[8:9], 0, 0
	s_branch .LBB436_44
.LBB436_42:
	s_or_b64 exec, exec, s[4:5]
	v_cmp_gt_i64_e32 vcc, s[16:17], v[10:11]
	s_mov_b32 s2, 0
	v_cndmask_b32_e64 v8, 0, 1, vcc
	v_mov_b32_e32 v9, s2
.LBB436_43:
	s_or_b64 exec, exec, s[28:29]
.LBB436_44:
	s_or_b64 exec, exec, s[22:23]
	v_cmp_ne_u32_e32 vcc, 0, v0
	v_pk_mov_b32 v[6:7], s[20:21], s[20:21] op_sel:[0,1]
	s_waitcnt lgkmcnt(0)
	s_barrier
	s_and_saveexec_b64 s[2:3], vcc
	s_cbranch_execz .LBB436_46
; %bb.45:
	v_add_u32_e32 v6, -8, v1
	ds_read_b64 v[6:7], v6
.LBB436_46:
	s_or_b64 exec, exec, s[2:3]
	v_cmp_gt_u32_e32 vcc, s7, v16
                                        ; implicit-def: $sgpr22_sgpr23
	s_and_saveexec_b64 s[20:21], vcc
	s_cbranch_execz .LBB436_58
; %bb.47:
	v_cmp_lt_i64_e64 s[2:3], s[16:17], 1
	s_and_b64 vcc, exec, s[2:3]
	s_cbranch_vccnz .LBB436_54
; %bb.48:
	v_mul_lo_u32 v12, v3, s16
	v_mul_lo_u32 v13, v2, s17
	v_mad_u64_u32 v[10:11], s[2:3], v2, s16, 0
	v_add3_u32 v11, v11, v13, v12
	s_waitcnt lgkmcnt(0)
	v_mul_lo_u32 v12, v7, s16
	v_mul_lo_u32 v13, v6, s17
	v_mad_u64_u32 v[6:7], s[2:3], v6, s16, 0
	v_lshlrev_b64 v[10:11], 2, v[10:11]
	v_add3_u32 v7, v7, v13, v12
	v_mov_b32_e32 v13, s19
	v_add_co_u32_e32 v12, vcc, s18, v10
	v_addc_co_u32_e64 v13, s[2:3], v13, v11, vcc
	v_lshlrev_b64 v[6:7], 2, v[6:7]
	v_mov_b32_e32 v10, s19
	v_add_co_u32_e64 v14, s[2:3], s18, v6
	v_addc_co_u32_e64 v15, s[4:5], v10, v7, s[2:3]
	global_load_dword v6, v[12:13], off
	global_load_dword v10, v[14:15], off
	s_mov_b64 s[28:29], -1
	s_waitcnt vmcnt(0)
	v_cmp_eq_u32_e64 s[4:5], v6, v10
	s_and_saveexec_b64 s[22:23], s[4:5]
	s_cbranch_execz .LBB436_56
; %bb.49:
	v_mov_b32_e32 v6, s19
	v_addc_co_u32_e64 v7, s[2:3], v7, v6, s[2:3]
	v_add_co_u32_e64 v6, s[2:3], 4, v14
	v_mov_b32_e32 v10, s19
	v_addc_co_u32_e64 v7, s[2:3], 0, v7, s[2:3]
	v_addc_co_u32_e32 v11, vcc, v11, v10, vcc
	v_add_co_u32_e32 v10, vcc, 4, v12
	s_add_u32 s2, s16, -1
	v_addc_co_u32_e32 v11, vcc, 0, v11, vcc
	s_addc_u32 s3, s17, -1
	s_mov_b64 s[4:5], 0
	s_mov_b64 s[30:31], 0
                                        ; implicit-def: $sgpr28_sgpr29
	s_branch .LBB436_52
.LBB436_50:                             ;   in Loop: Header=BB436_52 Depth=1
	global_load_dword v12, v[10:11], off
	global_load_dword v13, v[6:7], off
	v_add_co_u32_e32 v6, vcc, 4, v6
	v_addc_co_u32_e32 v7, vcc, 0, v7, vcc
	v_add_co_u32_e32 v10, vcc, 4, v10
	v_addc_co_u32_e32 v11, vcc, 0, v11, vcc
	s_add_u32 s30, s30, 1
	s_addc_u32 s31, s31, 0
	s_andn2_b64 s[28:29], s[28:29], exec
	s_waitcnt vmcnt(0)
	v_cmp_ne_u32_e32 vcc, v12, v13
	s_and_b64 s[34:35], vcc, exec
	s_or_b64 s[28:29], s[28:29], s[34:35]
.LBB436_51:                             ;   in Loop: Header=BB436_52 Depth=1
	s_and_b64 s[34:35], exec, s[28:29]
	s_or_b64 s[4:5], s[34:35], s[4:5]
	v_pk_mov_b32 v[12:13], s[30:31], s[30:31] op_sel:[0,1]
	s_andn2_b64 exec, exec, s[4:5]
	s_cbranch_execz .LBB436_55
.LBB436_52:                             ; =>This Inner Loop Header: Depth=1
	s_or_b64 s[28:29], s[28:29], exec
	s_cmp_eq_u64 s[2:3], s[30:31]
	s_cbranch_scc0 .LBB436_50
; %bb.53:                               ;   in Loop: Header=BB436_52 Depth=1
                                        ; implicit-def: $vgpr6_vgpr7
                                        ; implicit-def: $vgpr10_vgpr11
	s_mov_b64 s[30:31], s[16:17]
	s_branch .LBB436_51
.LBB436_54:
	s_mov_b64 s[28:29], 0
	s_branch .LBB436_57
.LBB436_55:
	s_or_b64 exec, exec, s[4:5]
	v_cmp_gt_i64_e32 vcc, s[16:17], v[12:13]
	s_orn2_b64 s[28:29], vcc, exec
.LBB436_56:
	s_or_b64 exec, exec, s[22:23]
.LBB436_57:
	s_and_b64 s[22:23], s[28:29], exec
	s_or_b64 s[24:25], s[24:25], exec
.LBB436_58:
	s_or_b64 exec, exec, s[20:21]
.LBB436_59:
	s_branch .LBB436_108
.LBB436_60:
	s_cmp_lg_u64 s[26:27], 1
	s_cbranch_scc0 .LBB436_68
; %bb.61:
	v_cmp_lt_i64_e64 s[2:3], s[16:17], 1
	v_pk_mov_b32 v[8:9], 0, 0
	v_cmp_gt_i64_e64 s[26:27], s[16:17], 0
	s_and_b64 vcc, exec, s[2:3]
	ds_write_b64 v1, v[4:5]
	s_cbranch_vccnz .LBB436_71
; %bb.62:
	v_mul_lo_u32 v8, v5, s16
	v_mul_lo_u32 v9, v4, s17
	s_waitcnt lgkmcnt(0)
	v_mad_u64_u32 v[6:7], s[2:3], v4, s16, 0
	v_add3_u32 v7, v7, v9, v8
	v_mul_lo_u32 v10, v3, s16
	v_mul_lo_u32 v11, v2, s17
	v_mad_u64_u32 v[8:9], s[2:3], v2, s16, 0
	v_add3_u32 v9, v9, v11, v10
	v_lshlrev_b64 v[10:11], 2, v[6:7]
	v_mov_b32_e32 v6, s19
	v_add_co_u32_e32 v12, vcc, s18, v10
	v_addc_co_u32_e64 v13, s[2:3], v6, v11, vcc
	v_lshlrev_b64 v[6:7], 2, v[8:9]
	v_mov_b32_e32 v8, s19
	v_add_co_u32_e64 v14, s[2:3], s18, v6
	v_addc_co_u32_e64 v15, s[4:5], v8, v7, s[2:3]
	global_load_dword v6, v[12:13], off
	global_load_dword v8, v[14:15], off
	s_waitcnt vmcnt(0)
	v_cmp_eq_u32_e64 s[4:5], v6, v8
	v_mov_b32_e32 v8, 1
	v_mov_b32_e32 v9, 0
	s_and_saveexec_b64 s[20:21], s[4:5]
	s_cbranch_execz .LBB436_70
; %bb.63:
	v_mov_b32_e32 v6, s19
	v_addc_co_u32_e64 v7, s[2:3], v7, v6, s[2:3]
	v_add_co_u32_e64 v6, s[2:3], 4, v14
	v_mov_b32_e32 v8, s19
	v_addc_co_u32_e64 v7, s[2:3], 0, v7, s[2:3]
	v_addc_co_u32_e32 v9, vcc, v11, v8, vcc
	v_add_co_u32_e32 v8, vcc, 4, v12
	s_add_u32 s2, s16, -1
	v_addc_co_u32_e32 v9, vcc, 0, v9, vcc
	s_addc_u32 s3, s17, -1
	s_mov_b64 s[4:5], 0
	s_mov_b64 s[28:29], 0
                                        ; implicit-def: $sgpr22_sgpr23
	s_branch .LBB436_66
.LBB436_64:                             ;   in Loop: Header=BB436_66 Depth=1
	global_load_dword v10, v[8:9], off
	global_load_dword v11, v[6:7], off
	v_add_co_u32_e32 v6, vcc, 4, v6
	v_addc_co_u32_e32 v7, vcc, 0, v7, vcc
	v_add_co_u32_e32 v8, vcc, 4, v8
	v_addc_co_u32_e32 v9, vcc, 0, v9, vcc
	s_add_u32 s28, s28, 1
	s_addc_u32 s29, s29, 0
	s_andn2_b64 s[22:23], s[22:23], exec
	s_waitcnt vmcnt(0)
	v_cmp_ne_u32_e32 vcc, v10, v11
	s_and_b64 s[30:31], vcc, exec
	s_or_b64 s[22:23], s[22:23], s[30:31]
.LBB436_65:                             ;   in Loop: Header=BB436_66 Depth=1
	s_and_b64 s[30:31], exec, s[22:23]
	s_or_b64 s[4:5], s[30:31], s[4:5]
	v_pk_mov_b32 v[10:11], s[28:29], s[28:29] op_sel:[0,1]
	s_andn2_b64 exec, exec, s[4:5]
	s_cbranch_execz .LBB436_69
.LBB436_66:                             ; =>This Inner Loop Header: Depth=1
	s_or_b64 s[22:23], s[22:23], exec
	s_cmp_eq_u64 s[2:3], s[28:29]
	s_cbranch_scc0 .LBB436_64
; %bb.67:                               ;   in Loop: Header=BB436_66 Depth=1
                                        ; implicit-def: $vgpr6_vgpr7
                                        ; implicit-def: $vgpr8_vgpr9
	s_mov_b64 s[28:29], s[16:17]
	s_branch .LBB436_65
.LBB436_68:
                                        ; implicit-def: $sgpr22_sgpr23
                                        ; implicit-def: $vgpr8_vgpr9
	s_cbranch_execnz .LBB436_84
	s_branch .LBB436_108
.LBB436_69:
	s_or_b64 exec, exec, s[4:5]
	v_cmp_gt_i64_e32 vcc, s[16:17], v[10:11]
	s_mov_b32 s2, 0
	v_cndmask_b32_e64 v8, 0, 1, vcc
	v_mov_b32_e32 v9, s2
.LBB436_70:
	s_or_b64 exec, exec, s[20:21]
.LBB436_71:
	v_cmp_ne_u32_e32 vcc, 0, v0
	s_waitcnt lgkmcnt(0)
	s_barrier
	s_waitcnt lgkmcnt(0)
                                        ; implicit-def: $sgpr22_sgpr23
	s_and_saveexec_b64 s[20:21], vcc
	s_cbranch_execz .LBB436_83
; %bb.72:
	s_andn2_b64 vcc, exec, s[26:27]
	s_cbranch_vccnz .LBB436_79
; %bb.73:
	v_add_u32_e32 v6, -8, v1
	ds_read_b64 v[6:7], v6
	v_mul_lo_u32 v12, v3, s16
	v_mul_lo_u32 v13, v2, s17
	v_mad_u64_u32 v[10:11], s[2:3], v2, s16, 0
	v_add3_u32 v11, v11, v13, v12
	s_waitcnt lgkmcnt(0)
	v_mul_lo_u32 v12, v7, s16
	v_mul_lo_u32 v13, v6, s17
	v_mad_u64_u32 v[6:7], s[2:3], v6, s16, 0
	v_lshlrev_b64 v[10:11], 2, v[10:11]
	v_add3_u32 v7, v7, v13, v12
	v_mov_b32_e32 v13, s19
	v_add_co_u32_e32 v12, vcc, s18, v10
	v_addc_co_u32_e64 v13, s[2:3], v13, v11, vcc
	v_lshlrev_b64 v[6:7], 2, v[6:7]
	v_mov_b32_e32 v10, s19
	v_add_co_u32_e64 v14, s[2:3], s18, v6
	v_addc_co_u32_e64 v15, s[4:5], v10, v7, s[2:3]
	global_load_dword v6, v[12:13], off
	global_load_dword v10, v[14:15], off
	s_mov_b64 s[26:27], -1
	s_waitcnt vmcnt(0)
	v_cmp_eq_u32_e64 s[4:5], v6, v10
	s_and_saveexec_b64 s[22:23], s[4:5]
	s_cbranch_execz .LBB436_81
; %bb.74:
	v_mov_b32_e32 v6, s19
	v_addc_co_u32_e64 v7, s[2:3], v7, v6, s[2:3]
	v_add_co_u32_e64 v6, s[2:3], 4, v14
	v_mov_b32_e32 v10, s19
	v_addc_co_u32_e64 v7, s[2:3], 0, v7, s[2:3]
	v_addc_co_u32_e32 v11, vcc, v11, v10, vcc
	v_add_co_u32_e32 v10, vcc, 4, v12
	s_add_u32 s2, s16, -1
	v_addc_co_u32_e32 v11, vcc, 0, v11, vcc
	s_addc_u32 s3, s17, -1
	s_mov_b64 s[4:5], 0
	s_mov_b64 s[28:29], 0
                                        ; implicit-def: $sgpr26_sgpr27
	s_branch .LBB436_77
.LBB436_75:                             ;   in Loop: Header=BB436_77 Depth=1
	global_load_dword v12, v[10:11], off
	global_load_dword v13, v[6:7], off
	v_add_co_u32_e32 v6, vcc, 4, v6
	v_addc_co_u32_e32 v7, vcc, 0, v7, vcc
	v_add_co_u32_e32 v10, vcc, 4, v10
	v_addc_co_u32_e32 v11, vcc, 0, v11, vcc
	s_add_u32 s28, s28, 1
	s_addc_u32 s29, s29, 0
	s_andn2_b64 s[26:27], s[26:27], exec
	s_waitcnt vmcnt(0)
	v_cmp_ne_u32_e32 vcc, v12, v13
	s_and_b64 s[30:31], vcc, exec
	s_or_b64 s[26:27], s[26:27], s[30:31]
.LBB436_76:                             ;   in Loop: Header=BB436_77 Depth=1
	s_and_b64 s[30:31], exec, s[26:27]
	s_or_b64 s[4:5], s[30:31], s[4:5]
	v_pk_mov_b32 v[12:13], s[28:29], s[28:29] op_sel:[0,1]
	s_andn2_b64 exec, exec, s[4:5]
	s_cbranch_execz .LBB436_80
.LBB436_77:                             ; =>This Inner Loop Header: Depth=1
	s_or_b64 s[26:27], s[26:27], exec
	s_cmp_eq_u64 s[2:3], s[28:29]
	s_cbranch_scc0 .LBB436_75
; %bb.78:                               ;   in Loop: Header=BB436_77 Depth=1
                                        ; implicit-def: $vgpr6_vgpr7
                                        ; implicit-def: $vgpr10_vgpr11
	s_mov_b64 s[28:29], s[16:17]
	s_branch .LBB436_76
.LBB436_79:
	s_mov_b64 s[26:27], 0
	s_branch .LBB436_82
.LBB436_80:
	s_or_b64 exec, exec, s[4:5]
	v_cmp_gt_i64_e32 vcc, s[16:17], v[12:13]
	s_orn2_b64 s[26:27], vcc, exec
.LBB436_81:
	s_or_b64 exec, exec, s[22:23]
.LBB436_82:
	s_and_b64 s[22:23], s[26:27], exec
	s_or_b64 s[24:25], s[24:25], exec
.LBB436_83:
	s_or_b64 exec, exec, s[20:21]
	s_branch .LBB436_108
.LBB436_84:
	v_lshlrev_b32_e32 v14, 1, v0
	s_waitcnt lgkmcnt(0)
	v_or_b32_e32 v6, 1, v14
	v_cmp_gt_u32_e32 vcc, s14, v6
	v_cmp_lt_i64_e64 s[20:21], s[16:17], 1
	v_pk_mov_b32 v[8:9], v[4:5], v[4:5] op_sel:[0,1]
	ds_write_b64 v1, v[4:5]
	v_pk_mov_b32 v[6:7], v[2:3], v[2:3] op_sel:[0,1]
	s_and_saveexec_b64 s[22:23], vcc
	s_cbranch_execz .LBB436_95
; %bb.85:
	s_and_b64 vcc, exec, s[20:21]
	s_cbranch_vccnz .LBB436_92
; %bb.86:
	v_mul_lo_u32 v6, v5, s16
	v_mul_lo_u32 v7, v4, s17
	v_mad_u64_u32 v[4:5], s[2:3], v4, s16, 0
	v_add3_u32 v5, v5, v7, v6
	v_mul_lo_u32 v6, v3, s16
	v_mul_lo_u32 v7, v2, s17
	v_mad_u64_u32 v[8:9], s[2:3], v2, s16, 0
	v_add3_u32 v9, v9, v7, v6
	v_lshlrev_b64 v[6:7], 2, v[4:5]
	v_mov_b32_e32 v4, s19
	v_add_co_u32_e32 v10, vcc, s18, v6
	v_addc_co_u32_e64 v11, s[2:3], v4, v7, vcc
	v_lshlrev_b64 v[4:5], 2, v[8:9]
	v_mov_b32_e32 v6, s19
	v_add_co_u32_e64 v12, s[2:3], s18, v4
	v_addc_co_u32_e64 v13, s[4:5], v6, v5, s[2:3]
	global_load_dword v4, v[10:11], off
	global_load_dword v6, v[12:13], off
	v_mov_b32_e32 v8, 1
	v_mov_b32_e32 v9, 0
	s_waitcnt vmcnt(0)
	v_cmp_eq_u32_e64 s[4:5], v4, v6
	s_and_saveexec_b64 s[26:27], s[4:5]
	s_cbranch_execz .LBB436_94
; %bb.87:
	v_mov_b32_e32 v4, s19
	v_addc_co_u32_e64 v5, s[2:3], v5, v4, s[2:3]
	v_add_co_u32_e64 v4, s[2:3], 4, v12
	v_mov_b32_e32 v6, s19
	v_addc_co_u32_e64 v5, s[2:3], 0, v5, s[2:3]
	v_addc_co_u32_e32 v7, vcc, v7, v6, vcc
	v_add_co_u32_e32 v6, vcc, 4, v10
	s_add_u32 s2, s16, -1
	v_addc_co_u32_e32 v7, vcc, 0, v7, vcc
	s_addc_u32 s3, s17, -1
	s_mov_b64 s[4:5], 0
	s_mov_b64 s[30:31], 0
                                        ; implicit-def: $sgpr28_sgpr29
	s_branch .LBB436_90
.LBB436_88:                             ;   in Loop: Header=BB436_90 Depth=1
	global_load_dword v8, v[6:7], off
	global_load_dword v9, v[4:5], off
	v_add_co_u32_e32 v4, vcc, 4, v4
	v_addc_co_u32_e32 v5, vcc, 0, v5, vcc
	v_add_co_u32_e32 v6, vcc, 4, v6
	v_addc_co_u32_e32 v7, vcc, 0, v7, vcc
	s_add_u32 s30, s30, 1
	s_addc_u32 s31, s31, 0
	s_andn2_b64 s[28:29], s[28:29], exec
	s_waitcnt vmcnt(0)
	v_cmp_ne_u32_e32 vcc, v8, v9
	s_and_b64 s[34:35], vcc, exec
	s_or_b64 s[28:29], s[28:29], s[34:35]
.LBB436_89:                             ;   in Loop: Header=BB436_90 Depth=1
	s_and_b64 s[34:35], exec, s[28:29]
	s_or_b64 s[4:5], s[34:35], s[4:5]
	v_pk_mov_b32 v[8:9], s[30:31], s[30:31] op_sel:[0,1]
	s_andn2_b64 exec, exec, s[4:5]
	s_cbranch_execz .LBB436_93
.LBB436_90:                             ; =>This Inner Loop Header: Depth=1
	s_or_b64 s[28:29], s[28:29], exec
	s_cmp_eq_u64 s[2:3], s[30:31]
	s_cbranch_scc0 .LBB436_88
; %bb.91:                               ;   in Loop: Header=BB436_90 Depth=1
                                        ; implicit-def: $vgpr4_vgpr5
                                        ; implicit-def: $vgpr6_vgpr7
	s_mov_b64 s[30:31], s[16:17]
	s_branch .LBB436_89
.LBB436_92:
	v_pk_mov_b32 v[8:9], 0, 0
	s_branch .LBB436_95
.LBB436_93:
	s_or_b64 exec, exec, s[4:5]
	v_cmp_gt_i64_e32 vcc, s[16:17], v[8:9]
	s_mov_b32 s2, 0
	v_cndmask_b32_e64 v8, 0, 1, vcc
	v_mov_b32_e32 v9, s2
.LBB436_94:
	s_or_b64 exec, exec, s[26:27]
.LBB436_95:
	s_or_b64 exec, exec, s[22:23]
	v_cmp_ne_u32_e32 vcc, 0, v0
	v_cmp_gt_u32_e64 s[2:3], s14, v14
	s_and_b64 s[2:3], vcc, s[2:3]
	s_waitcnt lgkmcnt(0)
	s_barrier
	s_waitcnt lgkmcnt(0)
                                        ; implicit-def: $sgpr22_sgpr23
	s_and_saveexec_b64 s[26:27], s[2:3]
	s_cbranch_execz .LBB436_107
; %bb.96:
	s_and_b64 vcc, exec, s[20:21]
	s_cbranch_vccnz .LBB436_103
; %bb.97:
	v_mul_lo_u32 v6, v3, s16
	v_add_u32_e32 v3, -8, v1
	ds_read_b64 v[4:5], v3
	v_mul_lo_u32 v7, v2, s17
	v_mad_u64_u32 v[2:3], s[2:3], v2, s16, 0
	v_add3_u32 v3, v3, v7, v6
	s_waitcnt lgkmcnt(0)
	v_mul_lo_u32 v5, v5, s16
	v_mul_lo_u32 v6, v4, s17
	v_mad_u64_u32 v[10:11], s[2:3], v4, s16, 0
	v_add3_u32 v11, v11, v6, v5
	v_lshlrev_b64 v[4:5], 2, v[2:3]
	v_mov_b32_e32 v2, s19
	v_add_co_u32_e32 v6, vcc, s18, v4
	v_addc_co_u32_e64 v7, s[2:3], v2, v5, vcc
	v_lshlrev_b64 v[2:3], 2, v[10:11]
	v_mov_b32_e32 v4, s19
	v_add_co_u32_e64 v10, s[2:3], s18, v2
	v_addc_co_u32_e64 v11, s[4:5], v4, v3, s[2:3]
	global_load_dword v2, v[6:7], off
	global_load_dword v4, v[10:11], off
	s_mov_b64 s[22:23], -1
	s_waitcnt vmcnt(0)
	v_cmp_eq_u32_e64 s[4:5], v2, v4
	s_and_saveexec_b64 s[20:21], s[4:5]
	s_cbranch_execz .LBB436_105
; %bb.98:
	v_mov_b32_e32 v2, s19
	v_addc_co_u32_e64 v3, s[2:3], v3, v2, s[2:3]
	v_add_co_u32_e64 v2, s[2:3], 4, v10
	v_mov_b32_e32 v4, s19
	v_addc_co_u32_e64 v3, s[2:3], 0, v3, s[2:3]
	v_addc_co_u32_e32 v5, vcc, v5, v4, vcc
	v_add_co_u32_e32 v4, vcc, 4, v6
	s_add_u32 s2, s16, -1
	v_addc_co_u32_e32 v5, vcc, 0, v5, vcc
	s_addc_u32 s3, s17, -1
	s_mov_b64 s[4:5], 0
	s_mov_b64 s[22:23], 0
                                        ; implicit-def: $sgpr18_sgpr19
	s_branch .LBB436_101
.LBB436_99:                             ;   in Loop: Header=BB436_101 Depth=1
	global_load_dword v6, v[4:5], off
	global_load_dword v7, v[2:3], off
	v_add_co_u32_e32 v2, vcc, 4, v2
	v_addc_co_u32_e32 v3, vcc, 0, v3, vcc
	v_add_co_u32_e32 v4, vcc, 4, v4
	v_addc_co_u32_e32 v5, vcc, 0, v5, vcc
	s_add_u32 s22, s22, 1
	s_addc_u32 s23, s23, 0
	s_andn2_b64 s[18:19], s[18:19], exec
	s_waitcnt vmcnt(0)
	v_cmp_ne_u32_e32 vcc, v6, v7
	s_and_b64 s[28:29], vcc, exec
	s_or_b64 s[18:19], s[18:19], s[28:29]
.LBB436_100:                            ;   in Loop: Header=BB436_101 Depth=1
	s_and_b64 s[28:29], exec, s[18:19]
	s_or_b64 s[4:5], s[28:29], s[4:5]
	v_pk_mov_b32 v[6:7], s[22:23], s[22:23] op_sel:[0,1]
	s_andn2_b64 exec, exec, s[4:5]
	s_cbranch_execz .LBB436_104
.LBB436_101:                            ; =>This Inner Loop Header: Depth=1
	s_or_b64 s[18:19], s[18:19], exec
	s_cmp_eq_u64 s[2:3], s[22:23]
	s_cbranch_scc0 .LBB436_99
; %bb.102:                              ;   in Loop: Header=BB436_101 Depth=1
                                        ; implicit-def: $vgpr2_vgpr3
                                        ; implicit-def: $vgpr4_vgpr5
	s_mov_b64 s[22:23], s[16:17]
	s_branch .LBB436_100
.LBB436_103:
	s_mov_b64 s[22:23], 0
	s_branch .LBB436_106
.LBB436_104:
	s_or_b64 exec, exec, s[4:5]
	v_cmp_gt_i64_e32 vcc, s[16:17], v[6:7]
	s_orn2_b64 s[22:23], vcc, exec
.LBB436_105:
	s_or_b64 exec, exec, s[20:21]
.LBB436_106:
	s_and_b64 s[22:23], s[22:23], exec
	s_or_b64 s[24:25], s[24:25], exec
                                        ; implicit-def: $vgpr2_vgpr3
.LBB436_107:
	s_or_b64 exec, exec, s[26:27]
.LBB436_108:
	s_and_saveexec_b64 s[2:3], s[24:25]
; %bb.109:
	s_mov_b32 s4, 0
	v_cndmask_b32_e64 v2, 0, 1, s[22:23]
	v_mov_b32_e32 v3, s4
; %bb.110:
	s_or_b64 exec, exec, s[2:3]
	s_add_u32 s4, s12, s10
	s_addc_u32 s5, s13, s11
	s_and_b64 vcc, exec, s[0:1]
	v_lshrrev_b32_e32 v10, 1, v0
	s_waitcnt lgkmcnt(0)
	s_barrier
	s_cbranch_vccz .LBB436_114
; %bb.111:
	v_and_b32_e32 v4, 0xf8, v10
	v_lshl_add_u32 v6, v0, 4, v4
	v_mov_b32_e32 v4, v8
	v_mov_b32_e32 v5, v9
	v_or_b32_e32 v11, 0x200, v0
	s_lshl_b32 s0, s6, 10
	s_mov_b32 s9, 0
	ds_write2_b64 v6, v[2:3], v[4:5] offset1:1
	v_lshrrev_b32_e32 v4, 5, v11
	s_sub_i32 s2, s14, s0
	s_lshl_b64 s[0:1], s[8:9], 3
	v_add_lshl_u32 v4, v4, v0, 3
	s_add_u32 s0, s4, s0
	s_waitcnt lgkmcnt(0)
	s_barrier
	ds_read_b64 v[4:5], v4 offset:4096
	s_addc_u32 s1, s5, s1
	v_mov_b32_e32 v7, s1
	v_add_co_u32_e32 v6, vcc, s0, v1
	v_addc_co_u32_e32 v7, vcc, 0, v7, vcc
	v_cmp_gt_u32_e32 vcc, s2, v0
	s_and_saveexec_b64 s[0:1], vcc
	s_cbranch_execz .LBB436_113
; %bb.112:
	v_lshrrev_b32_e32 v12, 5, v0
	v_add_lshl_u32 v12, v12, v0, 3
	ds_read_b64 v[12:13], v12
	s_waitcnt lgkmcnt(0)
	global_store_dwordx2 v[6:7], v[12:13], off
.LBB436_113:
	s_or_b64 exec, exec, s[0:1]
	v_cmp_gt_u32_e64 s[0:1], s2, v11
	s_branch .LBB436_116
.LBB436_114:
	s_mov_b64 s[0:1], 0
                                        ; implicit-def: $vgpr4_vgpr5
                                        ; implicit-def: $vgpr6_vgpr7
	s_cbranch_execz .LBB436_116
; %bb.115:
	s_waitcnt lgkmcnt(0)
	v_and_b32_e32 v4, 0xf8, v10
	v_lshl_add_u32 v6, v0, 4, v4
	v_mov_b32_e32 v4, v8
	v_mov_b32_e32 v5, v9
	s_mov_b32 s9, 0
	ds_write2_b64 v6, v[2:3], v[4:5] offset1:1
	v_lshrrev_b32_e32 v2, 5, v0
	v_or_b32_e32 v3, 0x200, v0
	s_lshl_b64 s[2:3], s[8:9], 3
	v_add_lshl_u32 v2, v2, v0, 3
	v_lshrrev_b32_e32 v3, 5, v3
	s_add_u32 s2, s4, s2
	s_waitcnt lgkmcnt(0)
	s_barrier
	v_add_lshl_u32 v0, v3, v0, 3
	ds_read_b64 v[2:3], v2
	ds_read_b64 v[4:5], v0 offset:4096
	s_addc_u32 s3, s5, s3
	v_mov_b32_e32 v0, s3
	v_add_co_u32_e32 v6, vcc, s2, v1
	v_addc_co_u32_e32 v7, vcc, 0, v0, vcc
	s_or_b64 s[0:1], s[0:1], exec
	s_waitcnt lgkmcnt(1)
	global_store_dwordx2 v1, v[2:3], s[2:3]
.LBB436_116:
	s_and_saveexec_b64 s[2:3], s[0:1]
	s_cbranch_execnz .LBB436_118
; %bb.117:
	s_endpgm
.LBB436_118:
	v_add_co_u32_e32 v0, vcc, 0x1000, v6
	v_addc_co_u32_e32 v1, vcc, 0, v7, vcc
	s_waitcnt lgkmcnt(0)
	global_store_dwordx2 v[0:1], v[4:5], off
	s_endpgm
	.section	.rodata,"a",@progbits
	.p2align	6, 0x0
	.amdhsa_kernel _ZN7rocprim17ROCPRIM_400000_NS6detail17trampoline_kernelINS0_14default_configENS1_35adjacent_difference_config_selectorILb1ElEEZNS1_24adjacent_difference_implIS3_Lb1ELb0EPlS7_ZN2at6native12_GLOBAL__N_124unique_dim_cuda_templateIiEESt5tupleIJNS8_6TensorESD_SD_EERKSD_lbbbEUlllE1_EE10hipError_tPvRmT2_T3_mT4_P12ihipStream_tbEUlT_E_NS1_11comp_targetILNS1_3genE4ELNS1_11target_archE910ELNS1_3gpuE8ELNS1_3repE0EEENS1_30default_config_static_selectorELNS0_4arch9wavefront6targetE1EEEvT1_
		.amdhsa_group_segment_fixed_size 8448
		.amdhsa_private_segment_fixed_size 0
		.amdhsa_kernarg_size 64
		.amdhsa_user_sgpr_count 6
		.amdhsa_user_sgpr_private_segment_buffer 1
		.amdhsa_user_sgpr_dispatch_ptr 0
		.amdhsa_user_sgpr_queue_ptr 0
		.amdhsa_user_sgpr_kernarg_segment_ptr 1
		.amdhsa_user_sgpr_dispatch_id 0
		.amdhsa_user_sgpr_flat_scratch_init 0
		.amdhsa_user_sgpr_kernarg_preload_length 0
		.amdhsa_user_sgpr_kernarg_preload_offset 0
		.amdhsa_user_sgpr_private_segment_size 0
		.amdhsa_uses_dynamic_stack 0
		.amdhsa_system_sgpr_private_segment_wavefront_offset 0
		.amdhsa_system_sgpr_workgroup_id_x 1
		.amdhsa_system_sgpr_workgroup_id_y 0
		.amdhsa_system_sgpr_workgroup_id_z 0
		.amdhsa_system_sgpr_workgroup_info 0
		.amdhsa_system_vgpr_workitem_id 0
		.amdhsa_next_free_vgpr 17
		.amdhsa_next_free_sgpr 38
		.amdhsa_accum_offset 20
		.amdhsa_reserve_vcc 1
		.amdhsa_reserve_flat_scratch 0
		.amdhsa_float_round_mode_32 0
		.amdhsa_float_round_mode_16_64 0
		.amdhsa_float_denorm_mode_32 3
		.amdhsa_float_denorm_mode_16_64 3
		.amdhsa_dx10_clamp 1
		.amdhsa_ieee_mode 1
		.amdhsa_fp16_overflow 0
		.amdhsa_tg_split 0
		.amdhsa_exception_fp_ieee_invalid_op 0
		.amdhsa_exception_fp_denorm_src 0
		.amdhsa_exception_fp_ieee_div_zero 0
		.amdhsa_exception_fp_ieee_overflow 0
		.amdhsa_exception_fp_ieee_underflow 0
		.amdhsa_exception_fp_ieee_inexact 0
		.amdhsa_exception_int_div_zero 0
	.end_amdhsa_kernel
	.section	.text._ZN7rocprim17ROCPRIM_400000_NS6detail17trampoline_kernelINS0_14default_configENS1_35adjacent_difference_config_selectorILb1ElEEZNS1_24adjacent_difference_implIS3_Lb1ELb0EPlS7_ZN2at6native12_GLOBAL__N_124unique_dim_cuda_templateIiEESt5tupleIJNS8_6TensorESD_SD_EERKSD_lbbbEUlllE1_EE10hipError_tPvRmT2_T3_mT4_P12ihipStream_tbEUlT_E_NS1_11comp_targetILNS1_3genE4ELNS1_11target_archE910ELNS1_3gpuE8ELNS1_3repE0EEENS1_30default_config_static_selectorELNS0_4arch9wavefront6targetE1EEEvT1_,"axG",@progbits,_ZN7rocprim17ROCPRIM_400000_NS6detail17trampoline_kernelINS0_14default_configENS1_35adjacent_difference_config_selectorILb1ElEEZNS1_24adjacent_difference_implIS3_Lb1ELb0EPlS7_ZN2at6native12_GLOBAL__N_124unique_dim_cuda_templateIiEESt5tupleIJNS8_6TensorESD_SD_EERKSD_lbbbEUlllE1_EE10hipError_tPvRmT2_T3_mT4_P12ihipStream_tbEUlT_E_NS1_11comp_targetILNS1_3genE4ELNS1_11target_archE910ELNS1_3gpuE8ELNS1_3repE0EEENS1_30default_config_static_selectorELNS0_4arch9wavefront6targetE1EEEvT1_,comdat
.Lfunc_end436:
	.size	_ZN7rocprim17ROCPRIM_400000_NS6detail17trampoline_kernelINS0_14default_configENS1_35adjacent_difference_config_selectorILb1ElEEZNS1_24adjacent_difference_implIS3_Lb1ELb0EPlS7_ZN2at6native12_GLOBAL__N_124unique_dim_cuda_templateIiEESt5tupleIJNS8_6TensorESD_SD_EERKSD_lbbbEUlllE1_EE10hipError_tPvRmT2_T3_mT4_P12ihipStream_tbEUlT_E_NS1_11comp_targetILNS1_3genE4ELNS1_11target_archE910ELNS1_3gpuE8ELNS1_3repE0EEENS1_30default_config_static_selectorELNS0_4arch9wavefront6targetE1EEEvT1_, .Lfunc_end436-_ZN7rocprim17ROCPRIM_400000_NS6detail17trampoline_kernelINS0_14default_configENS1_35adjacent_difference_config_selectorILb1ElEEZNS1_24adjacent_difference_implIS3_Lb1ELb0EPlS7_ZN2at6native12_GLOBAL__N_124unique_dim_cuda_templateIiEESt5tupleIJNS8_6TensorESD_SD_EERKSD_lbbbEUlllE1_EE10hipError_tPvRmT2_T3_mT4_P12ihipStream_tbEUlT_E_NS1_11comp_targetILNS1_3genE4ELNS1_11target_archE910ELNS1_3gpuE8ELNS1_3repE0EEENS1_30default_config_static_selectorELNS0_4arch9wavefront6targetE1EEEvT1_
                                        ; -- End function
	.section	.AMDGPU.csdata,"",@progbits
; Kernel info:
; codeLenInByte = 4304
; NumSgprs: 42
; NumVgprs: 17
; NumAgprs: 0
; TotalNumVgprs: 17
; ScratchSize: 0
; MemoryBound: 0
; FloatMode: 240
; IeeeMode: 1
; LDSByteSize: 8448 bytes/workgroup (compile time only)
; SGPRBlocks: 5
; VGPRBlocks: 2
; NumSGPRsForWavesPerEU: 42
; NumVGPRsForWavesPerEU: 17
; AccumOffset: 20
; Occupancy: 8
; WaveLimiterHint : 1
; COMPUTE_PGM_RSRC2:SCRATCH_EN: 0
; COMPUTE_PGM_RSRC2:USER_SGPR: 6
; COMPUTE_PGM_RSRC2:TRAP_HANDLER: 0
; COMPUTE_PGM_RSRC2:TGID_X_EN: 1
; COMPUTE_PGM_RSRC2:TGID_Y_EN: 0
; COMPUTE_PGM_RSRC2:TGID_Z_EN: 0
; COMPUTE_PGM_RSRC2:TIDIG_COMP_CNT: 0
; COMPUTE_PGM_RSRC3_GFX90A:ACCUM_OFFSET: 4
; COMPUTE_PGM_RSRC3_GFX90A:TG_SPLIT: 0
	.section	.text._ZN7rocprim17ROCPRIM_400000_NS6detail17trampoline_kernelINS0_14default_configENS1_35adjacent_difference_config_selectorILb1ElEEZNS1_24adjacent_difference_implIS3_Lb1ELb0EPlS7_ZN2at6native12_GLOBAL__N_124unique_dim_cuda_templateIiEESt5tupleIJNS8_6TensorESD_SD_EERKSD_lbbbEUlllE1_EE10hipError_tPvRmT2_T3_mT4_P12ihipStream_tbEUlT_E_NS1_11comp_targetILNS1_3genE3ELNS1_11target_archE908ELNS1_3gpuE7ELNS1_3repE0EEENS1_30default_config_static_selectorELNS0_4arch9wavefront6targetE1EEEvT1_,"axG",@progbits,_ZN7rocprim17ROCPRIM_400000_NS6detail17trampoline_kernelINS0_14default_configENS1_35adjacent_difference_config_selectorILb1ElEEZNS1_24adjacent_difference_implIS3_Lb1ELb0EPlS7_ZN2at6native12_GLOBAL__N_124unique_dim_cuda_templateIiEESt5tupleIJNS8_6TensorESD_SD_EERKSD_lbbbEUlllE1_EE10hipError_tPvRmT2_T3_mT4_P12ihipStream_tbEUlT_E_NS1_11comp_targetILNS1_3genE3ELNS1_11target_archE908ELNS1_3gpuE7ELNS1_3repE0EEENS1_30default_config_static_selectorELNS0_4arch9wavefront6targetE1EEEvT1_,comdat
	.globl	_ZN7rocprim17ROCPRIM_400000_NS6detail17trampoline_kernelINS0_14default_configENS1_35adjacent_difference_config_selectorILb1ElEEZNS1_24adjacent_difference_implIS3_Lb1ELb0EPlS7_ZN2at6native12_GLOBAL__N_124unique_dim_cuda_templateIiEESt5tupleIJNS8_6TensorESD_SD_EERKSD_lbbbEUlllE1_EE10hipError_tPvRmT2_T3_mT4_P12ihipStream_tbEUlT_E_NS1_11comp_targetILNS1_3genE3ELNS1_11target_archE908ELNS1_3gpuE7ELNS1_3repE0EEENS1_30default_config_static_selectorELNS0_4arch9wavefront6targetE1EEEvT1_ ; -- Begin function _ZN7rocprim17ROCPRIM_400000_NS6detail17trampoline_kernelINS0_14default_configENS1_35adjacent_difference_config_selectorILb1ElEEZNS1_24adjacent_difference_implIS3_Lb1ELb0EPlS7_ZN2at6native12_GLOBAL__N_124unique_dim_cuda_templateIiEESt5tupleIJNS8_6TensorESD_SD_EERKSD_lbbbEUlllE1_EE10hipError_tPvRmT2_T3_mT4_P12ihipStream_tbEUlT_E_NS1_11comp_targetILNS1_3genE3ELNS1_11target_archE908ELNS1_3gpuE7ELNS1_3repE0EEENS1_30default_config_static_selectorELNS0_4arch9wavefront6targetE1EEEvT1_
	.p2align	8
	.type	_ZN7rocprim17ROCPRIM_400000_NS6detail17trampoline_kernelINS0_14default_configENS1_35adjacent_difference_config_selectorILb1ElEEZNS1_24adjacent_difference_implIS3_Lb1ELb0EPlS7_ZN2at6native12_GLOBAL__N_124unique_dim_cuda_templateIiEESt5tupleIJNS8_6TensorESD_SD_EERKSD_lbbbEUlllE1_EE10hipError_tPvRmT2_T3_mT4_P12ihipStream_tbEUlT_E_NS1_11comp_targetILNS1_3genE3ELNS1_11target_archE908ELNS1_3gpuE7ELNS1_3repE0EEENS1_30default_config_static_selectorELNS0_4arch9wavefront6targetE1EEEvT1_,@function
_ZN7rocprim17ROCPRIM_400000_NS6detail17trampoline_kernelINS0_14default_configENS1_35adjacent_difference_config_selectorILb1ElEEZNS1_24adjacent_difference_implIS3_Lb1ELb0EPlS7_ZN2at6native12_GLOBAL__N_124unique_dim_cuda_templateIiEESt5tupleIJNS8_6TensorESD_SD_EERKSD_lbbbEUlllE1_EE10hipError_tPvRmT2_T3_mT4_P12ihipStream_tbEUlT_E_NS1_11comp_targetILNS1_3genE3ELNS1_11target_archE908ELNS1_3gpuE7ELNS1_3repE0EEENS1_30default_config_static_selectorELNS0_4arch9wavefront6targetE1EEEvT1_: ; @_ZN7rocprim17ROCPRIM_400000_NS6detail17trampoline_kernelINS0_14default_configENS1_35adjacent_difference_config_selectorILb1ElEEZNS1_24adjacent_difference_implIS3_Lb1ELb0EPlS7_ZN2at6native12_GLOBAL__N_124unique_dim_cuda_templateIiEESt5tupleIJNS8_6TensorESD_SD_EERKSD_lbbbEUlllE1_EE10hipError_tPvRmT2_T3_mT4_P12ihipStream_tbEUlT_E_NS1_11comp_targetILNS1_3genE3ELNS1_11target_archE908ELNS1_3gpuE7ELNS1_3repE0EEENS1_30default_config_static_selectorELNS0_4arch9wavefront6targetE1EEEvT1_
; %bb.0:
	.section	.rodata,"a",@progbits
	.p2align	6, 0x0
	.amdhsa_kernel _ZN7rocprim17ROCPRIM_400000_NS6detail17trampoline_kernelINS0_14default_configENS1_35adjacent_difference_config_selectorILb1ElEEZNS1_24adjacent_difference_implIS3_Lb1ELb0EPlS7_ZN2at6native12_GLOBAL__N_124unique_dim_cuda_templateIiEESt5tupleIJNS8_6TensorESD_SD_EERKSD_lbbbEUlllE1_EE10hipError_tPvRmT2_T3_mT4_P12ihipStream_tbEUlT_E_NS1_11comp_targetILNS1_3genE3ELNS1_11target_archE908ELNS1_3gpuE7ELNS1_3repE0EEENS1_30default_config_static_selectorELNS0_4arch9wavefront6targetE1EEEvT1_
		.amdhsa_group_segment_fixed_size 0
		.amdhsa_private_segment_fixed_size 0
		.amdhsa_kernarg_size 64
		.amdhsa_user_sgpr_count 6
		.amdhsa_user_sgpr_private_segment_buffer 1
		.amdhsa_user_sgpr_dispatch_ptr 0
		.amdhsa_user_sgpr_queue_ptr 0
		.amdhsa_user_sgpr_kernarg_segment_ptr 1
		.amdhsa_user_sgpr_dispatch_id 0
		.amdhsa_user_sgpr_flat_scratch_init 0
		.amdhsa_user_sgpr_kernarg_preload_length 0
		.amdhsa_user_sgpr_kernarg_preload_offset 0
		.amdhsa_user_sgpr_private_segment_size 0
		.amdhsa_uses_dynamic_stack 0
		.amdhsa_system_sgpr_private_segment_wavefront_offset 0
		.amdhsa_system_sgpr_workgroup_id_x 1
		.amdhsa_system_sgpr_workgroup_id_y 0
		.amdhsa_system_sgpr_workgroup_id_z 0
		.amdhsa_system_sgpr_workgroup_info 0
		.amdhsa_system_vgpr_workitem_id 0
		.amdhsa_next_free_vgpr 1
		.amdhsa_next_free_sgpr 0
		.amdhsa_accum_offset 4
		.amdhsa_reserve_vcc 0
		.amdhsa_reserve_flat_scratch 0
		.amdhsa_float_round_mode_32 0
		.amdhsa_float_round_mode_16_64 0
		.amdhsa_float_denorm_mode_32 3
		.amdhsa_float_denorm_mode_16_64 3
		.amdhsa_dx10_clamp 1
		.amdhsa_ieee_mode 1
		.amdhsa_fp16_overflow 0
		.amdhsa_tg_split 0
		.amdhsa_exception_fp_ieee_invalid_op 0
		.amdhsa_exception_fp_denorm_src 0
		.amdhsa_exception_fp_ieee_div_zero 0
		.amdhsa_exception_fp_ieee_overflow 0
		.amdhsa_exception_fp_ieee_underflow 0
		.amdhsa_exception_fp_ieee_inexact 0
		.amdhsa_exception_int_div_zero 0
	.end_amdhsa_kernel
	.section	.text._ZN7rocprim17ROCPRIM_400000_NS6detail17trampoline_kernelINS0_14default_configENS1_35adjacent_difference_config_selectorILb1ElEEZNS1_24adjacent_difference_implIS3_Lb1ELb0EPlS7_ZN2at6native12_GLOBAL__N_124unique_dim_cuda_templateIiEESt5tupleIJNS8_6TensorESD_SD_EERKSD_lbbbEUlllE1_EE10hipError_tPvRmT2_T3_mT4_P12ihipStream_tbEUlT_E_NS1_11comp_targetILNS1_3genE3ELNS1_11target_archE908ELNS1_3gpuE7ELNS1_3repE0EEENS1_30default_config_static_selectorELNS0_4arch9wavefront6targetE1EEEvT1_,"axG",@progbits,_ZN7rocprim17ROCPRIM_400000_NS6detail17trampoline_kernelINS0_14default_configENS1_35adjacent_difference_config_selectorILb1ElEEZNS1_24adjacent_difference_implIS3_Lb1ELb0EPlS7_ZN2at6native12_GLOBAL__N_124unique_dim_cuda_templateIiEESt5tupleIJNS8_6TensorESD_SD_EERKSD_lbbbEUlllE1_EE10hipError_tPvRmT2_T3_mT4_P12ihipStream_tbEUlT_E_NS1_11comp_targetILNS1_3genE3ELNS1_11target_archE908ELNS1_3gpuE7ELNS1_3repE0EEENS1_30default_config_static_selectorELNS0_4arch9wavefront6targetE1EEEvT1_,comdat
.Lfunc_end437:
	.size	_ZN7rocprim17ROCPRIM_400000_NS6detail17trampoline_kernelINS0_14default_configENS1_35adjacent_difference_config_selectorILb1ElEEZNS1_24adjacent_difference_implIS3_Lb1ELb0EPlS7_ZN2at6native12_GLOBAL__N_124unique_dim_cuda_templateIiEESt5tupleIJNS8_6TensorESD_SD_EERKSD_lbbbEUlllE1_EE10hipError_tPvRmT2_T3_mT4_P12ihipStream_tbEUlT_E_NS1_11comp_targetILNS1_3genE3ELNS1_11target_archE908ELNS1_3gpuE7ELNS1_3repE0EEENS1_30default_config_static_selectorELNS0_4arch9wavefront6targetE1EEEvT1_, .Lfunc_end437-_ZN7rocprim17ROCPRIM_400000_NS6detail17trampoline_kernelINS0_14default_configENS1_35adjacent_difference_config_selectorILb1ElEEZNS1_24adjacent_difference_implIS3_Lb1ELb0EPlS7_ZN2at6native12_GLOBAL__N_124unique_dim_cuda_templateIiEESt5tupleIJNS8_6TensorESD_SD_EERKSD_lbbbEUlllE1_EE10hipError_tPvRmT2_T3_mT4_P12ihipStream_tbEUlT_E_NS1_11comp_targetILNS1_3genE3ELNS1_11target_archE908ELNS1_3gpuE7ELNS1_3repE0EEENS1_30default_config_static_selectorELNS0_4arch9wavefront6targetE1EEEvT1_
                                        ; -- End function
	.section	.AMDGPU.csdata,"",@progbits
; Kernel info:
; codeLenInByte = 0
; NumSgprs: 4
; NumVgprs: 0
; NumAgprs: 0
; TotalNumVgprs: 0
; ScratchSize: 0
; MemoryBound: 0
; FloatMode: 240
; IeeeMode: 1
; LDSByteSize: 0 bytes/workgroup (compile time only)
; SGPRBlocks: 0
; VGPRBlocks: 0
; NumSGPRsForWavesPerEU: 4
; NumVGPRsForWavesPerEU: 1
; AccumOffset: 4
; Occupancy: 8
; WaveLimiterHint : 0
; COMPUTE_PGM_RSRC2:SCRATCH_EN: 0
; COMPUTE_PGM_RSRC2:USER_SGPR: 6
; COMPUTE_PGM_RSRC2:TRAP_HANDLER: 0
; COMPUTE_PGM_RSRC2:TGID_X_EN: 1
; COMPUTE_PGM_RSRC2:TGID_Y_EN: 0
; COMPUTE_PGM_RSRC2:TGID_Z_EN: 0
; COMPUTE_PGM_RSRC2:TIDIG_COMP_CNT: 0
; COMPUTE_PGM_RSRC3_GFX90A:ACCUM_OFFSET: 0
; COMPUTE_PGM_RSRC3_GFX90A:TG_SPLIT: 0
	.section	.text._ZN7rocprim17ROCPRIM_400000_NS6detail17trampoline_kernelINS0_14default_configENS1_35adjacent_difference_config_selectorILb1ElEEZNS1_24adjacent_difference_implIS3_Lb1ELb0EPlS7_ZN2at6native12_GLOBAL__N_124unique_dim_cuda_templateIiEESt5tupleIJNS8_6TensorESD_SD_EERKSD_lbbbEUlllE1_EE10hipError_tPvRmT2_T3_mT4_P12ihipStream_tbEUlT_E_NS1_11comp_targetILNS1_3genE2ELNS1_11target_archE906ELNS1_3gpuE6ELNS1_3repE0EEENS1_30default_config_static_selectorELNS0_4arch9wavefront6targetE1EEEvT1_,"axG",@progbits,_ZN7rocprim17ROCPRIM_400000_NS6detail17trampoline_kernelINS0_14default_configENS1_35adjacent_difference_config_selectorILb1ElEEZNS1_24adjacent_difference_implIS3_Lb1ELb0EPlS7_ZN2at6native12_GLOBAL__N_124unique_dim_cuda_templateIiEESt5tupleIJNS8_6TensorESD_SD_EERKSD_lbbbEUlllE1_EE10hipError_tPvRmT2_T3_mT4_P12ihipStream_tbEUlT_E_NS1_11comp_targetILNS1_3genE2ELNS1_11target_archE906ELNS1_3gpuE6ELNS1_3repE0EEENS1_30default_config_static_selectorELNS0_4arch9wavefront6targetE1EEEvT1_,comdat
	.globl	_ZN7rocprim17ROCPRIM_400000_NS6detail17trampoline_kernelINS0_14default_configENS1_35adjacent_difference_config_selectorILb1ElEEZNS1_24adjacent_difference_implIS3_Lb1ELb0EPlS7_ZN2at6native12_GLOBAL__N_124unique_dim_cuda_templateIiEESt5tupleIJNS8_6TensorESD_SD_EERKSD_lbbbEUlllE1_EE10hipError_tPvRmT2_T3_mT4_P12ihipStream_tbEUlT_E_NS1_11comp_targetILNS1_3genE2ELNS1_11target_archE906ELNS1_3gpuE6ELNS1_3repE0EEENS1_30default_config_static_selectorELNS0_4arch9wavefront6targetE1EEEvT1_ ; -- Begin function _ZN7rocprim17ROCPRIM_400000_NS6detail17trampoline_kernelINS0_14default_configENS1_35adjacent_difference_config_selectorILb1ElEEZNS1_24adjacent_difference_implIS3_Lb1ELb0EPlS7_ZN2at6native12_GLOBAL__N_124unique_dim_cuda_templateIiEESt5tupleIJNS8_6TensorESD_SD_EERKSD_lbbbEUlllE1_EE10hipError_tPvRmT2_T3_mT4_P12ihipStream_tbEUlT_E_NS1_11comp_targetILNS1_3genE2ELNS1_11target_archE906ELNS1_3gpuE6ELNS1_3repE0EEENS1_30default_config_static_selectorELNS0_4arch9wavefront6targetE1EEEvT1_
	.p2align	8
	.type	_ZN7rocprim17ROCPRIM_400000_NS6detail17trampoline_kernelINS0_14default_configENS1_35adjacent_difference_config_selectorILb1ElEEZNS1_24adjacent_difference_implIS3_Lb1ELb0EPlS7_ZN2at6native12_GLOBAL__N_124unique_dim_cuda_templateIiEESt5tupleIJNS8_6TensorESD_SD_EERKSD_lbbbEUlllE1_EE10hipError_tPvRmT2_T3_mT4_P12ihipStream_tbEUlT_E_NS1_11comp_targetILNS1_3genE2ELNS1_11target_archE906ELNS1_3gpuE6ELNS1_3repE0EEENS1_30default_config_static_selectorELNS0_4arch9wavefront6targetE1EEEvT1_,@function
_ZN7rocprim17ROCPRIM_400000_NS6detail17trampoline_kernelINS0_14default_configENS1_35adjacent_difference_config_selectorILb1ElEEZNS1_24adjacent_difference_implIS3_Lb1ELb0EPlS7_ZN2at6native12_GLOBAL__N_124unique_dim_cuda_templateIiEESt5tupleIJNS8_6TensorESD_SD_EERKSD_lbbbEUlllE1_EE10hipError_tPvRmT2_T3_mT4_P12ihipStream_tbEUlT_E_NS1_11comp_targetILNS1_3genE2ELNS1_11target_archE906ELNS1_3gpuE6ELNS1_3repE0EEENS1_30default_config_static_selectorELNS0_4arch9wavefront6targetE1EEEvT1_: ; @_ZN7rocprim17ROCPRIM_400000_NS6detail17trampoline_kernelINS0_14default_configENS1_35adjacent_difference_config_selectorILb1ElEEZNS1_24adjacent_difference_implIS3_Lb1ELb0EPlS7_ZN2at6native12_GLOBAL__N_124unique_dim_cuda_templateIiEESt5tupleIJNS8_6TensorESD_SD_EERKSD_lbbbEUlllE1_EE10hipError_tPvRmT2_T3_mT4_P12ihipStream_tbEUlT_E_NS1_11comp_targetILNS1_3genE2ELNS1_11target_archE906ELNS1_3gpuE6ELNS1_3repE0EEENS1_30default_config_static_selectorELNS0_4arch9wavefront6targetE1EEEvT1_
; %bb.0:
	.section	.rodata,"a",@progbits
	.p2align	6, 0x0
	.amdhsa_kernel _ZN7rocprim17ROCPRIM_400000_NS6detail17trampoline_kernelINS0_14default_configENS1_35adjacent_difference_config_selectorILb1ElEEZNS1_24adjacent_difference_implIS3_Lb1ELb0EPlS7_ZN2at6native12_GLOBAL__N_124unique_dim_cuda_templateIiEESt5tupleIJNS8_6TensorESD_SD_EERKSD_lbbbEUlllE1_EE10hipError_tPvRmT2_T3_mT4_P12ihipStream_tbEUlT_E_NS1_11comp_targetILNS1_3genE2ELNS1_11target_archE906ELNS1_3gpuE6ELNS1_3repE0EEENS1_30default_config_static_selectorELNS0_4arch9wavefront6targetE1EEEvT1_
		.amdhsa_group_segment_fixed_size 0
		.amdhsa_private_segment_fixed_size 0
		.amdhsa_kernarg_size 64
		.amdhsa_user_sgpr_count 6
		.amdhsa_user_sgpr_private_segment_buffer 1
		.amdhsa_user_sgpr_dispatch_ptr 0
		.amdhsa_user_sgpr_queue_ptr 0
		.amdhsa_user_sgpr_kernarg_segment_ptr 1
		.amdhsa_user_sgpr_dispatch_id 0
		.amdhsa_user_sgpr_flat_scratch_init 0
		.amdhsa_user_sgpr_kernarg_preload_length 0
		.amdhsa_user_sgpr_kernarg_preload_offset 0
		.amdhsa_user_sgpr_private_segment_size 0
		.amdhsa_uses_dynamic_stack 0
		.amdhsa_system_sgpr_private_segment_wavefront_offset 0
		.amdhsa_system_sgpr_workgroup_id_x 1
		.amdhsa_system_sgpr_workgroup_id_y 0
		.amdhsa_system_sgpr_workgroup_id_z 0
		.amdhsa_system_sgpr_workgroup_info 0
		.amdhsa_system_vgpr_workitem_id 0
		.amdhsa_next_free_vgpr 1
		.amdhsa_next_free_sgpr 0
		.amdhsa_accum_offset 4
		.amdhsa_reserve_vcc 0
		.amdhsa_reserve_flat_scratch 0
		.amdhsa_float_round_mode_32 0
		.amdhsa_float_round_mode_16_64 0
		.amdhsa_float_denorm_mode_32 3
		.amdhsa_float_denorm_mode_16_64 3
		.amdhsa_dx10_clamp 1
		.amdhsa_ieee_mode 1
		.amdhsa_fp16_overflow 0
		.amdhsa_tg_split 0
		.amdhsa_exception_fp_ieee_invalid_op 0
		.amdhsa_exception_fp_denorm_src 0
		.amdhsa_exception_fp_ieee_div_zero 0
		.amdhsa_exception_fp_ieee_overflow 0
		.amdhsa_exception_fp_ieee_underflow 0
		.amdhsa_exception_fp_ieee_inexact 0
		.amdhsa_exception_int_div_zero 0
	.end_amdhsa_kernel
	.section	.text._ZN7rocprim17ROCPRIM_400000_NS6detail17trampoline_kernelINS0_14default_configENS1_35adjacent_difference_config_selectorILb1ElEEZNS1_24adjacent_difference_implIS3_Lb1ELb0EPlS7_ZN2at6native12_GLOBAL__N_124unique_dim_cuda_templateIiEESt5tupleIJNS8_6TensorESD_SD_EERKSD_lbbbEUlllE1_EE10hipError_tPvRmT2_T3_mT4_P12ihipStream_tbEUlT_E_NS1_11comp_targetILNS1_3genE2ELNS1_11target_archE906ELNS1_3gpuE6ELNS1_3repE0EEENS1_30default_config_static_selectorELNS0_4arch9wavefront6targetE1EEEvT1_,"axG",@progbits,_ZN7rocprim17ROCPRIM_400000_NS6detail17trampoline_kernelINS0_14default_configENS1_35adjacent_difference_config_selectorILb1ElEEZNS1_24adjacent_difference_implIS3_Lb1ELb0EPlS7_ZN2at6native12_GLOBAL__N_124unique_dim_cuda_templateIiEESt5tupleIJNS8_6TensorESD_SD_EERKSD_lbbbEUlllE1_EE10hipError_tPvRmT2_T3_mT4_P12ihipStream_tbEUlT_E_NS1_11comp_targetILNS1_3genE2ELNS1_11target_archE906ELNS1_3gpuE6ELNS1_3repE0EEENS1_30default_config_static_selectorELNS0_4arch9wavefront6targetE1EEEvT1_,comdat
.Lfunc_end438:
	.size	_ZN7rocprim17ROCPRIM_400000_NS6detail17trampoline_kernelINS0_14default_configENS1_35adjacent_difference_config_selectorILb1ElEEZNS1_24adjacent_difference_implIS3_Lb1ELb0EPlS7_ZN2at6native12_GLOBAL__N_124unique_dim_cuda_templateIiEESt5tupleIJNS8_6TensorESD_SD_EERKSD_lbbbEUlllE1_EE10hipError_tPvRmT2_T3_mT4_P12ihipStream_tbEUlT_E_NS1_11comp_targetILNS1_3genE2ELNS1_11target_archE906ELNS1_3gpuE6ELNS1_3repE0EEENS1_30default_config_static_selectorELNS0_4arch9wavefront6targetE1EEEvT1_, .Lfunc_end438-_ZN7rocprim17ROCPRIM_400000_NS6detail17trampoline_kernelINS0_14default_configENS1_35adjacent_difference_config_selectorILb1ElEEZNS1_24adjacent_difference_implIS3_Lb1ELb0EPlS7_ZN2at6native12_GLOBAL__N_124unique_dim_cuda_templateIiEESt5tupleIJNS8_6TensorESD_SD_EERKSD_lbbbEUlllE1_EE10hipError_tPvRmT2_T3_mT4_P12ihipStream_tbEUlT_E_NS1_11comp_targetILNS1_3genE2ELNS1_11target_archE906ELNS1_3gpuE6ELNS1_3repE0EEENS1_30default_config_static_selectorELNS0_4arch9wavefront6targetE1EEEvT1_
                                        ; -- End function
	.section	.AMDGPU.csdata,"",@progbits
; Kernel info:
; codeLenInByte = 0
; NumSgprs: 4
; NumVgprs: 0
; NumAgprs: 0
; TotalNumVgprs: 0
; ScratchSize: 0
; MemoryBound: 0
; FloatMode: 240
; IeeeMode: 1
; LDSByteSize: 0 bytes/workgroup (compile time only)
; SGPRBlocks: 0
; VGPRBlocks: 0
; NumSGPRsForWavesPerEU: 4
; NumVGPRsForWavesPerEU: 1
; AccumOffset: 4
; Occupancy: 8
; WaveLimiterHint : 0
; COMPUTE_PGM_RSRC2:SCRATCH_EN: 0
; COMPUTE_PGM_RSRC2:USER_SGPR: 6
; COMPUTE_PGM_RSRC2:TRAP_HANDLER: 0
; COMPUTE_PGM_RSRC2:TGID_X_EN: 1
; COMPUTE_PGM_RSRC2:TGID_Y_EN: 0
; COMPUTE_PGM_RSRC2:TGID_Z_EN: 0
; COMPUTE_PGM_RSRC2:TIDIG_COMP_CNT: 0
; COMPUTE_PGM_RSRC3_GFX90A:ACCUM_OFFSET: 0
; COMPUTE_PGM_RSRC3_GFX90A:TG_SPLIT: 0
	.section	.text._ZN7rocprim17ROCPRIM_400000_NS6detail17trampoline_kernelINS0_14default_configENS1_35adjacent_difference_config_selectorILb1ElEEZNS1_24adjacent_difference_implIS3_Lb1ELb0EPlS7_ZN2at6native12_GLOBAL__N_124unique_dim_cuda_templateIiEESt5tupleIJNS8_6TensorESD_SD_EERKSD_lbbbEUlllE1_EE10hipError_tPvRmT2_T3_mT4_P12ihipStream_tbEUlT_E_NS1_11comp_targetILNS1_3genE9ELNS1_11target_archE1100ELNS1_3gpuE3ELNS1_3repE0EEENS1_30default_config_static_selectorELNS0_4arch9wavefront6targetE1EEEvT1_,"axG",@progbits,_ZN7rocprim17ROCPRIM_400000_NS6detail17trampoline_kernelINS0_14default_configENS1_35adjacent_difference_config_selectorILb1ElEEZNS1_24adjacent_difference_implIS3_Lb1ELb0EPlS7_ZN2at6native12_GLOBAL__N_124unique_dim_cuda_templateIiEESt5tupleIJNS8_6TensorESD_SD_EERKSD_lbbbEUlllE1_EE10hipError_tPvRmT2_T3_mT4_P12ihipStream_tbEUlT_E_NS1_11comp_targetILNS1_3genE9ELNS1_11target_archE1100ELNS1_3gpuE3ELNS1_3repE0EEENS1_30default_config_static_selectorELNS0_4arch9wavefront6targetE1EEEvT1_,comdat
	.globl	_ZN7rocprim17ROCPRIM_400000_NS6detail17trampoline_kernelINS0_14default_configENS1_35adjacent_difference_config_selectorILb1ElEEZNS1_24adjacent_difference_implIS3_Lb1ELb0EPlS7_ZN2at6native12_GLOBAL__N_124unique_dim_cuda_templateIiEESt5tupleIJNS8_6TensorESD_SD_EERKSD_lbbbEUlllE1_EE10hipError_tPvRmT2_T3_mT4_P12ihipStream_tbEUlT_E_NS1_11comp_targetILNS1_3genE9ELNS1_11target_archE1100ELNS1_3gpuE3ELNS1_3repE0EEENS1_30default_config_static_selectorELNS0_4arch9wavefront6targetE1EEEvT1_ ; -- Begin function _ZN7rocprim17ROCPRIM_400000_NS6detail17trampoline_kernelINS0_14default_configENS1_35adjacent_difference_config_selectorILb1ElEEZNS1_24adjacent_difference_implIS3_Lb1ELb0EPlS7_ZN2at6native12_GLOBAL__N_124unique_dim_cuda_templateIiEESt5tupleIJNS8_6TensorESD_SD_EERKSD_lbbbEUlllE1_EE10hipError_tPvRmT2_T3_mT4_P12ihipStream_tbEUlT_E_NS1_11comp_targetILNS1_3genE9ELNS1_11target_archE1100ELNS1_3gpuE3ELNS1_3repE0EEENS1_30default_config_static_selectorELNS0_4arch9wavefront6targetE1EEEvT1_
	.p2align	8
	.type	_ZN7rocprim17ROCPRIM_400000_NS6detail17trampoline_kernelINS0_14default_configENS1_35adjacent_difference_config_selectorILb1ElEEZNS1_24adjacent_difference_implIS3_Lb1ELb0EPlS7_ZN2at6native12_GLOBAL__N_124unique_dim_cuda_templateIiEESt5tupleIJNS8_6TensorESD_SD_EERKSD_lbbbEUlllE1_EE10hipError_tPvRmT2_T3_mT4_P12ihipStream_tbEUlT_E_NS1_11comp_targetILNS1_3genE9ELNS1_11target_archE1100ELNS1_3gpuE3ELNS1_3repE0EEENS1_30default_config_static_selectorELNS0_4arch9wavefront6targetE1EEEvT1_,@function
_ZN7rocprim17ROCPRIM_400000_NS6detail17trampoline_kernelINS0_14default_configENS1_35adjacent_difference_config_selectorILb1ElEEZNS1_24adjacent_difference_implIS3_Lb1ELb0EPlS7_ZN2at6native12_GLOBAL__N_124unique_dim_cuda_templateIiEESt5tupleIJNS8_6TensorESD_SD_EERKSD_lbbbEUlllE1_EE10hipError_tPvRmT2_T3_mT4_P12ihipStream_tbEUlT_E_NS1_11comp_targetILNS1_3genE9ELNS1_11target_archE1100ELNS1_3gpuE3ELNS1_3repE0EEENS1_30default_config_static_selectorELNS0_4arch9wavefront6targetE1EEEvT1_: ; @_ZN7rocprim17ROCPRIM_400000_NS6detail17trampoline_kernelINS0_14default_configENS1_35adjacent_difference_config_selectorILb1ElEEZNS1_24adjacent_difference_implIS3_Lb1ELb0EPlS7_ZN2at6native12_GLOBAL__N_124unique_dim_cuda_templateIiEESt5tupleIJNS8_6TensorESD_SD_EERKSD_lbbbEUlllE1_EE10hipError_tPvRmT2_T3_mT4_P12ihipStream_tbEUlT_E_NS1_11comp_targetILNS1_3genE9ELNS1_11target_archE1100ELNS1_3gpuE3ELNS1_3repE0EEENS1_30default_config_static_selectorELNS0_4arch9wavefront6targetE1EEEvT1_
; %bb.0:
	.section	.rodata,"a",@progbits
	.p2align	6, 0x0
	.amdhsa_kernel _ZN7rocprim17ROCPRIM_400000_NS6detail17trampoline_kernelINS0_14default_configENS1_35adjacent_difference_config_selectorILb1ElEEZNS1_24adjacent_difference_implIS3_Lb1ELb0EPlS7_ZN2at6native12_GLOBAL__N_124unique_dim_cuda_templateIiEESt5tupleIJNS8_6TensorESD_SD_EERKSD_lbbbEUlllE1_EE10hipError_tPvRmT2_T3_mT4_P12ihipStream_tbEUlT_E_NS1_11comp_targetILNS1_3genE9ELNS1_11target_archE1100ELNS1_3gpuE3ELNS1_3repE0EEENS1_30default_config_static_selectorELNS0_4arch9wavefront6targetE1EEEvT1_
		.amdhsa_group_segment_fixed_size 0
		.amdhsa_private_segment_fixed_size 0
		.amdhsa_kernarg_size 64
		.amdhsa_user_sgpr_count 6
		.amdhsa_user_sgpr_private_segment_buffer 1
		.amdhsa_user_sgpr_dispatch_ptr 0
		.amdhsa_user_sgpr_queue_ptr 0
		.amdhsa_user_sgpr_kernarg_segment_ptr 1
		.amdhsa_user_sgpr_dispatch_id 0
		.amdhsa_user_sgpr_flat_scratch_init 0
		.amdhsa_user_sgpr_kernarg_preload_length 0
		.amdhsa_user_sgpr_kernarg_preload_offset 0
		.amdhsa_user_sgpr_private_segment_size 0
		.amdhsa_uses_dynamic_stack 0
		.amdhsa_system_sgpr_private_segment_wavefront_offset 0
		.amdhsa_system_sgpr_workgroup_id_x 1
		.amdhsa_system_sgpr_workgroup_id_y 0
		.amdhsa_system_sgpr_workgroup_id_z 0
		.amdhsa_system_sgpr_workgroup_info 0
		.amdhsa_system_vgpr_workitem_id 0
		.amdhsa_next_free_vgpr 1
		.amdhsa_next_free_sgpr 0
		.amdhsa_accum_offset 4
		.amdhsa_reserve_vcc 0
		.amdhsa_reserve_flat_scratch 0
		.amdhsa_float_round_mode_32 0
		.amdhsa_float_round_mode_16_64 0
		.amdhsa_float_denorm_mode_32 3
		.amdhsa_float_denorm_mode_16_64 3
		.amdhsa_dx10_clamp 1
		.amdhsa_ieee_mode 1
		.amdhsa_fp16_overflow 0
		.amdhsa_tg_split 0
		.amdhsa_exception_fp_ieee_invalid_op 0
		.amdhsa_exception_fp_denorm_src 0
		.amdhsa_exception_fp_ieee_div_zero 0
		.amdhsa_exception_fp_ieee_overflow 0
		.amdhsa_exception_fp_ieee_underflow 0
		.amdhsa_exception_fp_ieee_inexact 0
		.amdhsa_exception_int_div_zero 0
	.end_amdhsa_kernel
	.section	.text._ZN7rocprim17ROCPRIM_400000_NS6detail17trampoline_kernelINS0_14default_configENS1_35adjacent_difference_config_selectorILb1ElEEZNS1_24adjacent_difference_implIS3_Lb1ELb0EPlS7_ZN2at6native12_GLOBAL__N_124unique_dim_cuda_templateIiEESt5tupleIJNS8_6TensorESD_SD_EERKSD_lbbbEUlllE1_EE10hipError_tPvRmT2_T3_mT4_P12ihipStream_tbEUlT_E_NS1_11comp_targetILNS1_3genE9ELNS1_11target_archE1100ELNS1_3gpuE3ELNS1_3repE0EEENS1_30default_config_static_selectorELNS0_4arch9wavefront6targetE1EEEvT1_,"axG",@progbits,_ZN7rocprim17ROCPRIM_400000_NS6detail17trampoline_kernelINS0_14default_configENS1_35adjacent_difference_config_selectorILb1ElEEZNS1_24adjacent_difference_implIS3_Lb1ELb0EPlS7_ZN2at6native12_GLOBAL__N_124unique_dim_cuda_templateIiEESt5tupleIJNS8_6TensorESD_SD_EERKSD_lbbbEUlllE1_EE10hipError_tPvRmT2_T3_mT4_P12ihipStream_tbEUlT_E_NS1_11comp_targetILNS1_3genE9ELNS1_11target_archE1100ELNS1_3gpuE3ELNS1_3repE0EEENS1_30default_config_static_selectorELNS0_4arch9wavefront6targetE1EEEvT1_,comdat
.Lfunc_end439:
	.size	_ZN7rocprim17ROCPRIM_400000_NS6detail17trampoline_kernelINS0_14default_configENS1_35adjacent_difference_config_selectorILb1ElEEZNS1_24adjacent_difference_implIS3_Lb1ELb0EPlS7_ZN2at6native12_GLOBAL__N_124unique_dim_cuda_templateIiEESt5tupleIJNS8_6TensorESD_SD_EERKSD_lbbbEUlllE1_EE10hipError_tPvRmT2_T3_mT4_P12ihipStream_tbEUlT_E_NS1_11comp_targetILNS1_3genE9ELNS1_11target_archE1100ELNS1_3gpuE3ELNS1_3repE0EEENS1_30default_config_static_selectorELNS0_4arch9wavefront6targetE1EEEvT1_, .Lfunc_end439-_ZN7rocprim17ROCPRIM_400000_NS6detail17trampoline_kernelINS0_14default_configENS1_35adjacent_difference_config_selectorILb1ElEEZNS1_24adjacent_difference_implIS3_Lb1ELb0EPlS7_ZN2at6native12_GLOBAL__N_124unique_dim_cuda_templateIiEESt5tupleIJNS8_6TensorESD_SD_EERKSD_lbbbEUlllE1_EE10hipError_tPvRmT2_T3_mT4_P12ihipStream_tbEUlT_E_NS1_11comp_targetILNS1_3genE9ELNS1_11target_archE1100ELNS1_3gpuE3ELNS1_3repE0EEENS1_30default_config_static_selectorELNS0_4arch9wavefront6targetE1EEEvT1_
                                        ; -- End function
	.section	.AMDGPU.csdata,"",@progbits
; Kernel info:
; codeLenInByte = 0
; NumSgprs: 4
; NumVgprs: 0
; NumAgprs: 0
; TotalNumVgprs: 0
; ScratchSize: 0
; MemoryBound: 0
; FloatMode: 240
; IeeeMode: 1
; LDSByteSize: 0 bytes/workgroup (compile time only)
; SGPRBlocks: 0
; VGPRBlocks: 0
; NumSGPRsForWavesPerEU: 4
; NumVGPRsForWavesPerEU: 1
; AccumOffset: 4
; Occupancy: 8
; WaveLimiterHint : 0
; COMPUTE_PGM_RSRC2:SCRATCH_EN: 0
; COMPUTE_PGM_RSRC2:USER_SGPR: 6
; COMPUTE_PGM_RSRC2:TRAP_HANDLER: 0
; COMPUTE_PGM_RSRC2:TGID_X_EN: 1
; COMPUTE_PGM_RSRC2:TGID_Y_EN: 0
; COMPUTE_PGM_RSRC2:TGID_Z_EN: 0
; COMPUTE_PGM_RSRC2:TIDIG_COMP_CNT: 0
; COMPUTE_PGM_RSRC3_GFX90A:ACCUM_OFFSET: 0
; COMPUTE_PGM_RSRC3_GFX90A:TG_SPLIT: 0
	.section	.text._ZN7rocprim17ROCPRIM_400000_NS6detail17trampoline_kernelINS0_14default_configENS1_35adjacent_difference_config_selectorILb1ElEEZNS1_24adjacent_difference_implIS3_Lb1ELb0EPlS7_ZN2at6native12_GLOBAL__N_124unique_dim_cuda_templateIiEESt5tupleIJNS8_6TensorESD_SD_EERKSD_lbbbEUlllE1_EE10hipError_tPvRmT2_T3_mT4_P12ihipStream_tbEUlT_E_NS1_11comp_targetILNS1_3genE8ELNS1_11target_archE1030ELNS1_3gpuE2ELNS1_3repE0EEENS1_30default_config_static_selectorELNS0_4arch9wavefront6targetE1EEEvT1_,"axG",@progbits,_ZN7rocprim17ROCPRIM_400000_NS6detail17trampoline_kernelINS0_14default_configENS1_35adjacent_difference_config_selectorILb1ElEEZNS1_24adjacent_difference_implIS3_Lb1ELb0EPlS7_ZN2at6native12_GLOBAL__N_124unique_dim_cuda_templateIiEESt5tupleIJNS8_6TensorESD_SD_EERKSD_lbbbEUlllE1_EE10hipError_tPvRmT2_T3_mT4_P12ihipStream_tbEUlT_E_NS1_11comp_targetILNS1_3genE8ELNS1_11target_archE1030ELNS1_3gpuE2ELNS1_3repE0EEENS1_30default_config_static_selectorELNS0_4arch9wavefront6targetE1EEEvT1_,comdat
	.globl	_ZN7rocprim17ROCPRIM_400000_NS6detail17trampoline_kernelINS0_14default_configENS1_35adjacent_difference_config_selectorILb1ElEEZNS1_24adjacent_difference_implIS3_Lb1ELb0EPlS7_ZN2at6native12_GLOBAL__N_124unique_dim_cuda_templateIiEESt5tupleIJNS8_6TensorESD_SD_EERKSD_lbbbEUlllE1_EE10hipError_tPvRmT2_T3_mT4_P12ihipStream_tbEUlT_E_NS1_11comp_targetILNS1_3genE8ELNS1_11target_archE1030ELNS1_3gpuE2ELNS1_3repE0EEENS1_30default_config_static_selectorELNS0_4arch9wavefront6targetE1EEEvT1_ ; -- Begin function _ZN7rocprim17ROCPRIM_400000_NS6detail17trampoline_kernelINS0_14default_configENS1_35adjacent_difference_config_selectorILb1ElEEZNS1_24adjacent_difference_implIS3_Lb1ELb0EPlS7_ZN2at6native12_GLOBAL__N_124unique_dim_cuda_templateIiEESt5tupleIJNS8_6TensorESD_SD_EERKSD_lbbbEUlllE1_EE10hipError_tPvRmT2_T3_mT4_P12ihipStream_tbEUlT_E_NS1_11comp_targetILNS1_3genE8ELNS1_11target_archE1030ELNS1_3gpuE2ELNS1_3repE0EEENS1_30default_config_static_selectorELNS0_4arch9wavefront6targetE1EEEvT1_
	.p2align	8
	.type	_ZN7rocprim17ROCPRIM_400000_NS6detail17trampoline_kernelINS0_14default_configENS1_35adjacent_difference_config_selectorILb1ElEEZNS1_24adjacent_difference_implIS3_Lb1ELb0EPlS7_ZN2at6native12_GLOBAL__N_124unique_dim_cuda_templateIiEESt5tupleIJNS8_6TensorESD_SD_EERKSD_lbbbEUlllE1_EE10hipError_tPvRmT2_T3_mT4_P12ihipStream_tbEUlT_E_NS1_11comp_targetILNS1_3genE8ELNS1_11target_archE1030ELNS1_3gpuE2ELNS1_3repE0EEENS1_30default_config_static_selectorELNS0_4arch9wavefront6targetE1EEEvT1_,@function
_ZN7rocprim17ROCPRIM_400000_NS6detail17trampoline_kernelINS0_14default_configENS1_35adjacent_difference_config_selectorILb1ElEEZNS1_24adjacent_difference_implIS3_Lb1ELb0EPlS7_ZN2at6native12_GLOBAL__N_124unique_dim_cuda_templateIiEESt5tupleIJNS8_6TensorESD_SD_EERKSD_lbbbEUlllE1_EE10hipError_tPvRmT2_T3_mT4_P12ihipStream_tbEUlT_E_NS1_11comp_targetILNS1_3genE8ELNS1_11target_archE1030ELNS1_3gpuE2ELNS1_3repE0EEENS1_30default_config_static_selectorELNS0_4arch9wavefront6targetE1EEEvT1_: ; @_ZN7rocprim17ROCPRIM_400000_NS6detail17trampoline_kernelINS0_14default_configENS1_35adjacent_difference_config_selectorILb1ElEEZNS1_24adjacent_difference_implIS3_Lb1ELb0EPlS7_ZN2at6native12_GLOBAL__N_124unique_dim_cuda_templateIiEESt5tupleIJNS8_6TensorESD_SD_EERKSD_lbbbEUlllE1_EE10hipError_tPvRmT2_T3_mT4_P12ihipStream_tbEUlT_E_NS1_11comp_targetILNS1_3genE8ELNS1_11target_archE1030ELNS1_3gpuE2ELNS1_3repE0EEENS1_30default_config_static_selectorELNS0_4arch9wavefront6targetE1EEEvT1_
; %bb.0:
	.section	.rodata,"a",@progbits
	.p2align	6, 0x0
	.amdhsa_kernel _ZN7rocprim17ROCPRIM_400000_NS6detail17trampoline_kernelINS0_14default_configENS1_35adjacent_difference_config_selectorILb1ElEEZNS1_24adjacent_difference_implIS3_Lb1ELb0EPlS7_ZN2at6native12_GLOBAL__N_124unique_dim_cuda_templateIiEESt5tupleIJNS8_6TensorESD_SD_EERKSD_lbbbEUlllE1_EE10hipError_tPvRmT2_T3_mT4_P12ihipStream_tbEUlT_E_NS1_11comp_targetILNS1_3genE8ELNS1_11target_archE1030ELNS1_3gpuE2ELNS1_3repE0EEENS1_30default_config_static_selectorELNS0_4arch9wavefront6targetE1EEEvT1_
		.amdhsa_group_segment_fixed_size 0
		.amdhsa_private_segment_fixed_size 0
		.amdhsa_kernarg_size 64
		.amdhsa_user_sgpr_count 6
		.amdhsa_user_sgpr_private_segment_buffer 1
		.amdhsa_user_sgpr_dispatch_ptr 0
		.amdhsa_user_sgpr_queue_ptr 0
		.amdhsa_user_sgpr_kernarg_segment_ptr 1
		.amdhsa_user_sgpr_dispatch_id 0
		.amdhsa_user_sgpr_flat_scratch_init 0
		.amdhsa_user_sgpr_kernarg_preload_length 0
		.amdhsa_user_sgpr_kernarg_preload_offset 0
		.amdhsa_user_sgpr_private_segment_size 0
		.amdhsa_uses_dynamic_stack 0
		.amdhsa_system_sgpr_private_segment_wavefront_offset 0
		.amdhsa_system_sgpr_workgroup_id_x 1
		.amdhsa_system_sgpr_workgroup_id_y 0
		.amdhsa_system_sgpr_workgroup_id_z 0
		.amdhsa_system_sgpr_workgroup_info 0
		.amdhsa_system_vgpr_workitem_id 0
		.amdhsa_next_free_vgpr 1
		.amdhsa_next_free_sgpr 0
		.amdhsa_accum_offset 4
		.amdhsa_reserve_vcc 0
		.amdhsa_reserve_flat_scratch 0
		.amdhsa_float_round_mode_32 0
		.amdhsa_float_round_mode_16_64 0
		.amdhsa_float_denorm_mode_32 3
		.amdhsa_float_denorm_mode_16_64 3
		.amdhsa_dx10_clamp 1
		.amdhsa_ieee_mode 1
		.amdhsa_fp16_overflow 0
		.amdhsa_tg_split 0
		.amdhsa_exception_fp_ieee_invalid_op 0
		.amdhsa_exception_fp_denorm_src 0
		.amdhsa_exception_fp_ieee_div_zero 0
		.amdhsa_exception_fp_ieee_overflow 0
		.amdhsa_exception_fp_ieee_underflow 0
		.amdhsa_exception_fp_ieee_inexact 0
		.amdhsa_exception_int_div_zero 0
	.end_amdhsa_kernel
	.section	.text._ZN7rocprim17ROCPRIM_400000_NS6detail17trampoline_kernelINS0_14default_configENS1_35adjacent_difference_config_selectorILb1ElEEZNS1_24adjacent_difference_implIS3_Lb1ELb0EPlS7_ZN2at6native12_GLOBAL__N_124unique_dim_cuda_templateIiEESt5tupleIJNS8_6TensorESD_SD_EERKSD_lbbbEUlllE1_EE10hipError_tPvRmT2_T3_mT4_P12ihipStream_tbEUlT_E_NS1_11comp_targetILNS1_3genE8ELNS1_11target_archE1030ELNS1_3gpuE2ELNS1_3repE0EEENS1_30default_config_static_selectorELNS0_4arch9wavefront6targetE1EEEvT1_,"axG",@progbits,_ZN7rocprim17ROCPRIM_400000_NS6detail17trampoline_kernelINS0_14default_configENS1_35adjacent_difference_config_selectorILb1ElEEZNS1_24adjacent_difference_implIS3_Lb1ELb0EPlS7_ZN2at6native12_GLOBAL__N_124unique_dim_cuda_templateIiEESt5tupleIJNS8_6TensorESD_SD_EERKSD_lbbbEUlllE1_EE10hipError_tPvRmT2_T3_mT4_P12ihipStream_tbEUlT_E_NS1_11comp_targetILNS1_3genE8ELNS1_11target_archE1030ELNS1_3gpuE2ELNS1_3repE0EEENS1_30default_config_static_selectorELNS0_4arch9wavefront6targetE1EEEvT1_,comdat
.Lfunc_end440:
	.size	_ZN7rocprim17ROCPRIM_400000_NS6detail17trampoline_kernelINS0_14default_configENS1_35adjacent_difference_config_selectorILb1ElEEZNS1_24adjacent_difference_implIS3_Lb1ELb0EPlS7_ZN2at6native12_GLOBAL__N_124unique_dim_cuda_templateIiEESt5tupleIJNS8_6TensorESD_SD_EERKSD_lbbbEUlllE1_EE10hipError_tPvRmT2_T3_mT4_P12ihipStream_tbEUlT_E_NS1_11comp_targetILNS1_3genE8ELNS1_11target_archE1030ELNS1_3gpuE2ELNS1_3repE0EEENS1_30default_config_static_selectorELNS0_4arch9wavefront6targetE1EEEvT1_, .Lfunc_end440-_ZN7rocprim17ROCPRIM_400000_NS6detail17trampoline_kernelINS0_14default_configENS1_35adjacent_difference_config_selectorILb1ElEEZNS1_24adjacent_difference_implIS3_Lb1ELb0EPlS7_ZN2at6native12_GLOBAL__N_124unique_dim_cuda_templateIiEESt5tupleIJNS8_6TensorESD_SD_EERKSD_lbbbEUlllE1_EE10hipError_tPvRmT2_T3_mT4_P12ihipStream_tbEUlT_E_NS1_11comp_targetILNS1_3genE8ELNS1_11target_archE1030ELNS1_3gpuE2ELNS1_3repE0EEENS1_30default_config_static_selectorELNS0_4arch9wavefront6targetE1EEEvT1_
                                        ; -- End function
	.section	.AMDGPU.csdata,"",@progbits
; Kernel info:
; codeLenInByte = 0
; NumSgprs: 4
; NumVgprs: 0
; NumAgprs: 0
; TotalNumVgprs: 0
; ScratchSize: 0
; MemoryBound: 0
; FloatMode: 240
; IeeeMode: 1
; LDSByteSize: 0 bytes/workgroup (compile time only)
; SGPRBlocks: 0
; VGPRBlocks: 0
; NumSGPRsForWavesPerEU: 4
; NumVGPRsForWavesPerEU: 1
; AccumOffset: 4
; Occupancy: 8
; WaveLimiterHint : 0
; COMPUTE_PGM_RSRC2:SCRATCH_EN: 0
; COMPUTE_PGM_RSRC2:USER_SGPR: 6
; COMPUTE_PGM_RSRC2:TRAP_HANDLER: 0
; COMPUTE_PGM_RSRC2:TGID_X_EN: 1
; COMPUTE_PGM_RSRC2:TGID_Y_EN: 0
; COMPUTE_PGM_RSRC2:TGID_Z_EN: 0
; COMPUTE_PGM_RSRC2:TIDIG_COMP_CNT: 0
; COMPUTE_PGM_RSRC3_GFX90A:ACCUM_OFFSET: 0
; COMPUTE_PGM_RSRC3_GFX90A:TG_SPLIT: 0
	.section	.text._ZN7rocprim17ROCPRIM_400000_NS6detail17trampoline_kernelINS0_14default_configENS1_25partition_config_selectorILNS1_17partition_subalgoE8ElNS0_10empty_typeEbEEZZNS1_14partition_implILS5_8ELb0ES3_jPlPS6_PKS6_NS0_5tupleIJS9_S6_EEENSD_IJSA_SA_EEENS0_18inequality_wrapperIZN2at6native12_GLOBAL__N_124unique_dim_cuda_templateIiEESt5tupleIJNSH_6TensorESM_SM_EERKSM_lbbbEUlllE0_EEPmJS6_EEE10hipError_tPvRmT3_T4_T5_T6_T7_T9_mT8_P12ihipStream_tbDpT10_ENKUlT_T0_E_clISt17integral_constantIbLb0EES1C_EEDaS17_S18_EUlS17_E_NS1_11comp_targetILNS1_3genE0ELNS1_11target_archE4294967295ELNS1_3gpuE0ELNS1_3repE0EEENS1_30default_config_static_selectorELNS0_4arch9wavefront6targetE1EEEvT1_,"axG",@progbits,_ZN7rocprim17ROCPRIM_400000_NS6detail17trampoline_kernelINS0_14default_configENS1_25partition_config_selectorILNS1_17partition_subalgoE8ElNS0_10empty_typeEbEEZZNS1_14partition_implILS5_8ELb0ES3_jPlPS6_PKS6_NS0_5tupleIJS9_S6_EEENSD_IJSA_SA_EEENS0_18inequality_wrapperIZN2at6native12_GLOBAL__N_124unique_dim_cuda_templateIiEESt5tupleIJNSH_6TensorESM_SM_EERKSM_lbbbEUlllE0_EEPmJS6_EEE10hipError_tPvRmT3_T4_T5_T6_T7_T9_mT8_P12ihipStream_tbDpT10_ENKUlT_T0_E_clISt17integral_constantIbLb0EES1C_EEDaS17_S18_EUlS17_E_NS1_11comp_targetILNS1_3genE0ELNS1_11target_archE4294967295ELNS1_3gpuE0ELNS1_3repE0EEENS1_30default_config_static_selectorELNS0_4arch9wavefront6targetE1EEEvT1_,comdat
	.globl	_ZN7rocprim17ROCPRIM_400000_NS6detail17trampoline_kernelINS0_14default_configENS1_25partition_config_selectorILNS1_17partition_subalgoE8ElNS0_10empty_typeEbEEZZNS1_14partition_implILS5_8ELb0ES3_jPlPS6_PKS6_NS0_5tupleIJS9_S6_EEENSD_IJSA_SA_EEENS0_18inequality_wrapperIZN2at6native12_GLOBAL__N_124unique_dim_cuda_templateIiEESt5tupleIJNSH_6TensorESM_SM_EERKSM_lbbbEUlllE0_EEPmJS6_EEE10hipError_tPvRmT3_T4_T5_T6_T7_T9_mT8_P12ihipStream_tbDpT10_ENKUlT_T0_E_clISt17integral_constantIbLb0EES1C_EEDaS17_S18_EUlS17_E_NS1_11comp_targetILNS1_3genE0ELNS1_11target_archE4294967295ELNS1_3gpuE0ELNS1_3repE0EEENS1_30default_config_static_selectorELNS0_4arch9wavefront6targetE1EEEvT1_ ; -- Begin function _ZN7rocprim17ROCPRIM_400000_NS6detail17trampoline_kernelINS0_14default_configENS1_25partition_config_selectorILNS1_17partition_subalgoE8ElNS0_10empty_typeEbEEZZNS1_14partition_implILS5_8ELb0ES3_jPlPS6_PKS6_NS0_5tupleIJS9_S6_EEENSD_IJSA_SA_EEENS0_18inequality_wrapperIZN2at6native12_GLOBAL__N_124unique_dim_cuda_templateIiEESt5tupleIJNSH_6TensorESM_SM_EERKSM_lbbbEUlllE0_EEPmJS6_EEE10hipError_tPvRmT3_T4_T5_T6_T7_T9_mT8_P12ihipStream_tbDpT10_ENKUlT_T0_E_clISt17integral_constantIbLb0EES1C_EEDaS17_S18_EUlS17_E_NS1_11comp_targetILNS1_3genE0ELNS1_11target_archE4294967295ELNS1_3gpuE0ELNS1_3repE0EEENS1_30default_config_static_selectorELNS0_4arch9wavefront6targetE1EEEvT1_
	.p2align	8
	.type	_ZN7rocprim17ROCPRIM_400000_NS6detail17trampoline_kernelINS0_14default_configENS1_25partition_config_selectorILNS1_17partition_subalgoE8ElNS0_10empty_typeEbEEZZNS1_14partition_implILS5_8ELb0ES3_jPlPS6_PKS6_NS0_5tupleIJS9_S6_EEENSD_IJSA_SA_EEENS0_18inequality_wrapperIZN2at6native12_GLOBAL__N_124unique_dim_cuda_templateIiEESt5tupleIJNSH_6TensorESM_SM_EERKSM_lbbbEUlllE0_EEPmJS6_EEE10hipError_tPvRmT3_T4_T5_T6_T7_T9_mT8_P12ihipStream_tbDpT10_ENKUlT_T0_E_clISt17integral_constantIbLb0EES1C_EEDaS17_S18_EUlS17_E_NS1_11comp_targetILNS1_3genE0ELNS1_11target_archE4294967295ELNS1_3gpuE0ELNS1_3repE0EEENS1_30default_config_static_selectorELNS0_4arch9wavefront6targetE1EEEvT1_,@function
_ZN7rocprim17ROCPRIM_400000_NS6detail17trampoline_kernelINS0_14default_configENS1_25partition_config_selectorILNS1_17partition_subalgoE8ElNS0_10empty_typeEbEEZZNS1_14partition_implILS5_8ELb0ES3_jPlPS6_PKS6_NS0_5tupleIJS9_S6_EEENSD_IJSA_SA_EEENS0_18inequality_wrapperIZN2at6native12_GLOBAL__N_124unique_dim_cuda_templateIiEESt5tupleIJNSH_6TensorESM_SM_EERKSM_lbbbEUlllE0_EEPmJS6_EEE10hipError_tPvRmT3_T4_T5_T6_T7_T9_mT8_P12ihipStream_tbDpT10_ENKUlT_T0_E_clISt17integral_constantIbLb0EES1C_EEDaS17_S18_EUlS17_E_NS1_11comp_targetILNS1_3genE0ELNS1_11target_archE4294967295ELNS1_3gpuE0ELNS1_3repE0EEENS1_30default_config_static_selectorELNS0_4arch9wavefront6targetE1EEEvT1_: ; @_ZN7rocprim17ROCPRIM_400000_NS6detail17trampoline_kernelINS0_14default_configENS1_25partition_config_selectorILNS1_17partition_subalgoE8ElNS0_10empty_typeEbEEZZNS1_14partition_implILS5_8ELb0ES3_jPlPS6_PKS6_NS0_5tupleIJS9_S6_EEENSD_IJSA_SA_EEENS0_18inequality_wrapperIZN2at6native12_GLOBAL__N_124unique_dim_cuda_templateIiEESt5tupleIJNSH_6TensorESM_SM_EERKSM_lbbbEUlllE0_EEPmJS6_EEE10hipError_tPvRmT3_T4_T5_T6_T7_T9_mT8_P12ihipStream_tbDpT10_ENKUlT_T0_E_clISt17integral_constantIbLb0EES1C_EEDaS17_S18_EUlS17_E_NS1_11comp_targetILNS1_3genE0ELNS1_11target_archE4294967295ELNS1_3gpuE0ELNS1_3repE0EEENS1_30default_config_static_selectorELNS0_4arch9wavefront6targetE1EEEvT1_
; %bb.0:
	.section	.rodata,"a",@progbits
	.p2align	6, 0x0
	.amdhsa_kernel _ZN7rocprim17ROCPRIM_400000_NS6detail17trampoline_kernelINS0_14default_configENS1_25partition_config_selectorILNS1_17partition_subalgoE8ElNS0_10empty_typeEbEEZZNS1_14partition_implILS5_8ELb0ES3_jPlPS6_PKS6_NS0_5tupleIJS9_S6_EEENSD_IJSA_SA_EEENS0_18inequality_wrapperIZN2at6native12_GLOBAL__N_124unique_dim_cuda_templateIiEESt5tupleIJNSH_6TensorESM_SM_EERKSM_lbbbEUlllE0_EEPmJS6_EEE10hipError_tPvRmT3_T4_T5_T6_T7_T9_mT8_P12ihipStream_tbDpT10_ENKUlT_T0_E_clISt17integral_constantIbLb0EES1C_EEDaS17_S18_EUlS17_E_NS1_11comp_targetILNS1_3genE0ELNS1_11target_archE4294967295ELNS1_3gpuE0ELNS1_3repE0EEENS1_30default_config_static_selectorELNS0_4arch9wavefront6targetE1EEEvT1_
		.amdhsa_group_segment_fixed_size 0
		.amdhsa_private_segment_fixed_size 0
		.amdhsa_kernarg_size 120
		.amdhsa_user_sgpr_count 6
		.amdhsa_user_sgpr_private_segment_buffer 1
		.amdhsa_user_sgpr_dispatch_ptr 0
		.amdhsa_user_sgpr_queue_ptr 0
		.amdhsa_user_sgpr_kernarg_segment_ptr 1
		.amdhsa_user_sgpr_dispatch_id 0
		.amdhsa_user_sgpr_flat_scratch_init 0
		.amdhsa_user_sgpr_kernarg_preload_length 0
		.amdhsa_user_sgpr_kernarg_preload_offset 0
		.amdhsa_user_sgpr_private_segment_size 0
		.amdhsa_uses_dynamic_stack 0
		.amdhsa_system_sgpr_private_segment_wavefront_offset 0
		.amdhsa_system_sgpr_workgroup_id_x 1
		.amdhsa_system_sgpr_workgroup_id_y 0
		.amdhsa_system_sgpr_workgroup_id_z 0
		.amdhsa_system_sgpr_workgroup_info 0
		.amdhsa_system_vgpr_workitem_id 0
		.amdhsa_next_free_vgpr 1
		.amdhsa_next_free_sgpr 0
		.amdhsa_accum_offset 4
		.amdhsa_reserve_vcc 0
		.amdhsa_reserve_flat_scratch 0
		.amdhsa_float_round_mode_32 0
		.amdhsa_float_round_mode_16_64 0
		.amdhsa_float_denorm_mode_32 3
		.amdhsa_float_denorm_mode_16_64 3
		.amdhsa_dx10_clamp 1
		.amdhsa_ieee_mode 1
		.amdhsa_fp16_overflow 0
		.amdhsa_tg_split 0
		.amdhsa_exception_fp_ieee_invalid_op 0
		.amdhsa_exception_fp_denorm_src 0
		.amdhsa_exception_fp_ieee_div_zero 0
		.amdhsa_exception_fp_ieee_overflow 0
		.amdhsa_exception_fp_ieee_underflow 0
		.amdhsa_exception_fp_ieee_inexact 0
		.amdhsa_exception_int_div_zero 0
	.end_amdhsa_kernel
	.section	.text._ZN7rocprim17ROCPRIM_400000_NS6detail17trampoline_kernelINS0_14default_configENS1_25partition_config_selectorILNS1_17partition_subalgoE8ElNS0_10empty_typeEbEEZZNS1_14partition_implILS5_8ELb0ES3_jPlPS6_PKS6_NS0_5tupleIJS9_S6_EEENSD_IJSA_SA_EEENS0_18inequality_wrapperIZN2at6native12_GLOBAL__N_124unique_dim_cuda_templateIiEESt5tupleIJNSH_6TensorESM_SM_EERKSM_lbbbEUlllE0_EEPmJS6_EEE10hipError_tPvRmT3_T4_T5_T6_T7_T9_mT8_P12ihipStream_tbDpT10_ENKUlT_T0_E_clISt17integral_constantIbLb0EES1C_EEDaS17_S18_EUlS17_E_NS1_11comp_targetILNS1_3genE0ELNS1_11target_archE4294967295ELNS1_3gpuE0ELNS1_3repE0EEENS1_30default_config_static_selectorELNS0_4arch9wavefront6targetE1EEEvT1_,"axG",@progbits,_ZN7rocprim17ROCPRIM_400000_NS6detail17trampoline_kernelINS0_14default_configENS1_25partition_config_selectorILNS1_17partition_subalgoE8ElNS0_10empty_typeEbEEZZNS1_14partition_implILS5_8ELb0ES3_jPlPS6_PKS6_NS0_5tupleIJS9_S6_EEENSD_IJSA_SA_EEENS0_18inequality_wrapperIZN2at6native12_GLOBAL__N_124unique_dim_cuda_templateIiEESt5tupleIJNSH_6TensorESM_SM_EERKSM_lbbbEUlllE0_EEPmJS6_EEE10hipError_tPvRmT3_T4_T5_T6_T7_T9_mT8_P12ihipStream_tbDpT10_ENKUlT_T0_E_clISt17integral_constantIbLb0EES1C_EEDaS17_S18_EUlS17_E_NS1_11comp_targetILNS1_3genE0ELNS1_11target_archE4294967295ELNS1_3gpuE0ELNS1_3repE0EEENS1_30default_config_static_selectorELNS0_4arch9wavefront6targetE1EEEvT1_,comdat
.Lfunc_end441:
	.size	_ZN7rocprim17ROCPRIM_400000_NS6detail17trampoline_kernelINS0_14default_configENS1_25partition_config_selectorILNS1_17partition_subalgoE8ElNS0_10empty_typeEbEEZZNS1_14partition_implILS5_8ELb0ES3_jPlPS6_PKS6_NS0_5tupleIJS9_S6_EEENSD_IJSA_SA_EEENS0_18inequality_wrapperIZN2at6native12_GLOBAL__N_124unique_dim_cuda_templateIiEESt5tupleIJNSH_6TensorESM_SM_EERKSM_lbbbEUlllE0_EEPmJS6_EEE10hipError_tPvRmT3_T4_T5_T6_T7_T9_mT8_P12ihipStream_tbDpT10_ENKUlT_T0_E_clISt17integral_constantIbLb0EES1C_EEDaS17_S18_EUlS17_E_NS1_11comp_targetILNS1_3genE0ELNS1_11target_archE4294967295ELNS1_3gpuE0ELNS1_3repE0EEENS1_30default_config_static_selectorELNS0_4arch9wavefront6targetE1EEEvT1_, .Lfunc_end441-_ZN7rocprim17ROCPRIM_400000_NS6detail17trampoline_kernelINS0_14default_configENS1_25partition_config_selectorILNS1_17partition_subalgoE8ElNS0_10empty_typeEbEEZZNS1_14partition_implILS5_8ELb0ES3_jPlPS6_PKS6_NS0_5tupleIJS9_S6_EEENSD_IJSA_SA_EEENS0_18inequality_wrapperIZN2at6native12_GLOBAL__N_124unique_dim_cuda_templateIiEESt5tupleIJNSH_6TensorESM_SM_EERKSM_lbbbEUlllE0_EEPmJS6_EEE10hipError_tPvRmT3_T4_T5_T6_T7_T9_mT8_P12ihipStream_tbDpT10_ENKUlT_T0_E_clISt17integral_constantIbLb0EES1C_EEDaS17_S18_EUlS17_E_NS1_11comp_targetILNS1_3genE0ELNS1_11target_archE4294967295ELNS1_3gpuE0ELNS1_3repE0EEENS1_30default_config_static_selectorELNS0_4arch9wavefront6targetE1EEEvT1_
                                        ; -- End function
	.section	.AMDGPU.csdata,"",@progbits
; Kernel info:
; codeLenInByte = 0
; NumSgprs: 4
; NumVgprs: 0
; NumAgprs: 0
; TotalNumVgprs: 0
; ScratchSize: 0
; MemoryBound: 0
; FloatMode: 240
; IeeeMode: 1
; LDSByteSize: 0 bytes/workgroup (compile time only)
; SGPRBlocks: 0
; VGPRBlocks: 0
; NumSGPRsForWavesPerEU: 4
; NumVGPRsForWavesPerEU: 1
; AccumOffset: 4
; Occupancy: 8
; WaveLimiterHint : 0
; COMPUTE_PGM_RSRC2:SCRATCH_EN: 0
; COMPUTE_PGM_RSRC2:USER_SGPR: 6
; COMPUTE_PGM_RSRC2:TRAP_HANDLER: 0
; COMPUTE_PGM_RSRC2:TGID_X_EN: 1
; COMPUTE_PGM_RSRC2:TGID_Y_EN: 0
; COMPUTE_PGM_RSRC2:TGID_Z_EN: 0
; COMPUTE_PGM_RSRC2:TIDIG_COMP_CNT: 0
; COMPUTE_PGM_RSRC3_GFX90A:ACCUM_OFFSET: 0
; COMPUTE_PGM_RSRC3_GFX90A:TG_SPLIT: 0
	.section	.text._ZN7rocprim17ROCPRIM_400000_NS6detail17trampoline_kernelINS0_14default_configENS1_25partition_config_selectorILNS1_17partition_subalgoE8ElNS0_10empty_typeEbEEZZNS1_14partition_implILS5_8ELb0ES3_jPlPS6_PKS6_NS0_5tupleIJS9_S6_EEENSD_IJSA_SA_EEENS0_18inequality_wrapperIZN2at6native12_GLOBAL__N_124unique_dim_cuda_templateIiEESt5tupleIJNSH_6TensorESM_SM_EERKSM_lbbbEUlllE0_EEPmJS6_EEE10hipError_tPvRmT3_T4_T5_T6_T7_T9_mT8_P12ihipStream_tbDpT10_ENKUlT_T0_E_clISt17integral_constantIbLb0EES1C_EEDaS17_S18_EUlS17_E_NS1_11comp_targetILNS1_3genE5ELNS1_11target_archE942ELNS1_3gpuE9ELNS1_3repE0EEENS1_30default_config_static_selectorELNS0_4arch9wavefront6targetE1EEEvT1_,"axG",@progbits,_ZN7rocprim17ROCPRIM_400000_NS6detail17trampoline_kernelINS0_14default_configENS1_25partition_config_selectorILNS1_17partition_subalgoE8ElNS0_10empty_typeEbEEZZNS1_14partition_implILS5_8ELb0ES3_jPlPS6_PKS6_NS0_5tupleIJS9_S6_EEENSD_IJSA_SA_EEENS0_18inequality_wrapperIZN2at6native12_GLOBAL__N_124unique_dim_cuda_templateIiEESt5tupleIJNSH_6TensorESM_SM_EERKSM_lbbbEUlllE0_EEPmJS6_EEE10hipError_tPvRmT3_T4_T5_T6_T7_T9_mT8_P12ihipStream_tbDpT10_ENKUlT_T0_E_clISt17integral_constantIbLb0EES1C_EEDaS17_S18_EUlS17_E_NS1_11comp_targetILNS1_3genE5ELNS1_11target_archE942ELNS1_3gpuE9ELNS1_3repE0EEENS1_30default_config_static_selectorELNS0_4arch9wavefront6targetE1EEEvT1_,comdat
	.globl	_ZN7rocprim17ROCPRIM_400000_NS6detail17trampoline_kernelINS0_14default_configENS1_25partition_config_selectorILNS1_17partition_subalgoE8ElNS0_10empty_typeEbEEZZNS1_14partition_implILS5_8ELb0ES3_jPlPS6_PKS6_NS0_5tupleIJS9_S6_EEENSD_IJSA_SA_EEENS0_18inequality_wrapperIZN2at6native12_GLOBAL__N_124unique_dim_cuda_templateIiEESt5tupleIJNSH_6TensorESM_SM_EERKSM_lbbbEUlllE0_EEPmJS6_EEE10hipError_tPvRmT3_T4_T5_T6_T7_T9_mT8_P12ihipStream_tbDpT10_ENKUlT_T0_E_clISt17integral_constantIbLb0EES1C_EEDaS17_S18_EUlS17_E_NS1_11comp_targetILNS1_3genE5ELNS1_11target_archE942ELNS1_3gpuE9ELNS1_3repE0EEENS1_30default_config_static_selectorELNS0_4arch9wavefront6targetE1EEEvT1_ ; -- Begin function _ZN7rocprim17ROCPRIM_400000_NS6detail17trampoline_kernelINS0_14default_configENS1_25partition_config_selectorILNS1_17partition_subalgoE8ElNS0_10empty_typeEbEEZZNS1_14partition_implILS5_8ELb0ES3_jPlPS6_PKS6_NS0_5tupleIJS9_S6_EEENSD_IJSA_SA_EEENS0_18inequality_wrapperIZN2at6native12_GLOBAL__N_124unique_dim_cuda_templateIiEESt5tupleIJNSH_6TensorESM_SM_EERKSM_lbbbEUlllE0_EEPmJS6_EEE10hipError_tPvRmT3_T4_T5_T6_T7_T9_mT8_P12ihipStream_tbDpT10_ENKUlT_T0_E_clISt17integral_constantIbLb0EES1C_EEDaS17_S18_EUlS17_E_NS1_11comp_targetILNS1_3genE5ELNS1_11target_archE942ELNS1_3gpuE9ELNS1_3repE0EEENS1_30default_config_static_selectorELNS0_4arch9wavefront6targetE1EEEvT1_
	.p2align	8
	.type	_ZN7rocprim17ROCPRIM_400000_NS6detail17trampoline_kernelINS0_14default_configENS1_25partition_config_selectorILNS1_17partition_subalgoE8ElNS0_10empty_typeEbEEZZNS1_14partition_implILS5_8ELb0ES3_jPlPS6_PKS6_NS0_5tupleIJS9_S6_EEENSD_IJSA_SA_EEENS0_18inequality_wrapperIZN2at6native12_GLOBAL__N_124unique_dim_cuda_templateIiEESt5tupleIJNSH_6TensorESM_SM_EERKSM_lbbbEUlllE0_EEPmJS6_EEE10hipError_tPvRmT3_T4_T5_T6_T7_T9_mT8_P12ihipStream_tbDpT10_ENKUlT_T0_E_clISt17integral_constantIbLb0EES1C_EEDaS17_S18_EUlS17_E_NS1_11comp_targetILNS1_3genE5ELNS1_11target_archE942ELNS1_3gpuE9ELNS1_3repE0EEENS1_30default_config_static_selectorELNS0_4arch9wavefront6targetE1EEEvT1_,@function
_ZN7rocprim17ROCPRIM_400000_NS6detail17trampoline_kernelINS0_14default_configENS1_25partition_config_selectorILNS1_17partition_subalgoE8ElNS0_10empty_typeEbEEZZNS1_14partition_implILS5_8ELb0ES3_jPlPS6_PKS6_NS0_5tupleIJS9_S6_EEENSD_IJSA_SA_EEENS0_18inequality_wrapperIZN2at6native12_GLOBAL__N_124unique_dim_cuda_templateIiEESt5tupleIJNSH_6TensorESM_SM_EERKSM_lbbbEUlllE0_EEPmJS6_EEE10hipError_tPvRmT3_T4_T5_T6_T7_T9_mT8_P12ihipStream_tbDpT10_ENKUlT_T0_E_clISt17integral_constantIbLb0EES1C_EEDaS17_S18_EUlS17_E_NS1_11comp_targetILNS1_3genE5ELNS1_11target_archE942ELNS1_3gpuE9ELNS1_3repE0EEENS1_30default_config_static_selectorELNS0_4arch9wavefront6targetE1EEEvT1_: ; @_ZN7rocprim17ROCPRIM_400000_NS6detail17trampoline_kernelINS0_14default_configENS1_25partition_config_selectorILNS1_17partition_subalgoE8ElNS0_10empty_typeEbEEZZNS1_14partition_implILS5_8ELb0ES3_jPlPS6_PKS6_NS0_5tupleIJS9_S6_EEENSD_IJSA_SA_EEENS0_18inequality_wrapperIZN2at6native12_GLOBAL__N_124unique_dim_cuda_templateIiEESt5tupleIJNSH_6TensorESM_SM_EERKSM_lbbbEUlllE0_EEPmJS6_EEE10hipError_tPvRmT3_T4_T5_T6_T7_T9_mT8_P12ihipStream_tbDpT10_ENKUlT_T0_E_clISt17integral_constantIbLb0EES1C_EEDaS17_S18_EUlS17_E_NS1_11comp_targetILNS1_3genE5ELNS1_11target_archE942ELNS1_3gpuE9ELNS1_3repE0EEENS1_30default_config_static_selectorELNS0_4arch9wavefront6targetE1EEEvT1_
; %bb.0:
	.section	.rodata,"a",@progbits
	.p2align	6, 0x0
	.amdhsa_kernel _ZN7rocprim17ROCPRIM_400000_NS6detail17trampoline_kernelINS0_14default_configENS1_25partition_config_selectorILNS1_17partition_subalgoE8ElNS0_10empty_typeEbEEZZNS1_14partition_implILS5_8ELb0ES3_jPlPS6_PKS6_NS0_5tupleIJS9_S6_EEENSD_IJSA_SA_EEENS0_18inequality_wrapperIZN2at6native12_GLOBAL__N_124unique_dim_cuda_templateIiEESt5tupleIJNSH_6TensorESM_SM_EERKSM_lbbbEUlllE0_EEPmJS6_EEE10hipError_tPvRmT3_T4_T5_T6_T7_T9_mT8_P12ihipStream_tbDpT10_ENKUlT_T0_E_clISt17integral_constantIbLb0EES1C_EEDaS17_S18_EUlS17_E_NS1_11comp_targetILNS1_3genE5ELNS1_11target_archE942ELNS1_3gpuE9ELNS1_3repE0EEENS1_30default_config_static_selectorELNS0_4arch9wavefront6targetE1EEEvT1_
		.amdhsa_group_segment_fixed_size 0
		.amdhsa_private_segment_fixed_size 0
		.amdhsa_kernarg_size 120
		.amdhsa_user_sgpr_count 6
		.amdhsa_user_sgpr_private_segment_buffer 1
		.amdhsa_user_sgpr_dispatch_ptr 0
		.amdhsa_user_sgpr_queue_ptr 0
		.amdhsa_user_sgpr_kernarg_segment_ptr 1
		.amdhsa_user_sgpr_dispatch_id 0
		.amdhsa_user_sgpr_flat_scratch_init 0
		.amdhsa_user_sgpr_kernarg_preload_length 0
		.amdhsa_user_sgpr_kernarg_preload_offset 0
		.amdhsa_user_sgpr_private_segment_size 0
		.amdhsa_uses_dynamic_stack 0
		.amdhsa_system_sgpr_private_segment_wavefront_offset 0
		.amdhsa_system_sgpr_workgroup_id_x 1
		.amdhsa_system_sgpr_workgroup_id_y 0
		.amdhsa_system_sgpr_workgroup_id_z 0
		.amdhsa_system_sgpr_workgroup_info 0
		.amdhsa_system_vgpr_workitem_id 0
		.amdhsa_next_free_vgpr 1
		.amdhsa_next_free_sgpr 0
		.amdhsa_accum_offset 4
		.amdhsa_reserve_vcc 0
		.amdhsa_reserve_flat_scratch 0
		.amdhsa_float_round_mode_32 0
		.amdhsa_float_round_mode_16_64 0
		.amdhsa_float_denorm_mode_32 3
		.amdhsa_float_denorm_mode_16_64 3
		.amdhsa_dx10_clamp 1
		.amdhsa_ieee_mode 1
		.amdhsa_fp16_overflow 0
		.amdhsa_tg_split 0
		.amdhsa_exception_fp_ieee_invalid_op 0
		.amdhsa_exception_fp_denorm_src 0
		.amdhsa_exception_fp_ieee_div_zero 0
		.amdhsa_exception_fp_ieee_overflow 0
		.amdhsa_exception_fp_ieee_underflow 0
		.amdhsa_exception_fp_ieee_inexact 0
		.amdhsa_exception_int_div_zero 0
	.end_amdhsa_kernel
	.section	.text._ZN7rocprim17ROCPRIM_400000_NS6detail17trampoline_kernelINS0_14default_configENS1_25partition_config_selectorILNS1_17partition_subalgoE8ElNS0_10empty_typeEbEEZZNS1_14partition_implILS5_8ELb0ES3_jPlPS6_PKS6_NS0_5tupleIJS9_S6_EEENSD_IJSA_SA_EEENS0_18inequality_wrapperIZN2at6native12_GLOBAL__N_124unique_dim_cuda_templateIiEESt5tupleIJNSH_6TensorESM_SM_EERKSM_lbbbEUlllE0_EEPmJS6_EEE10hipError_tPvRmT3_T4_T5_T6_T7_T9_mT8_P12ihipStream_tbDpT10_ENKUlT_T0_E_clISt17integral_constantIbLb0EES1C_EEDaS17_S18_EUlS17_E_NS1_11comp_targetILNS1_3genE5ELNS1_11target_archE942ELNS1_3gpuE9ELNS1_3repE0EEENS1_30default_config_static_selectorELNS0_4arch9wavefront6targetE1EEEvT1_,"axG",@progbits,_ZN7rocprim17ROCPRIM_400000_NS6detail17trampoline_kernelINS0_14default_configENS1_25partition_config_selectorILNS1_17partition_subalgoE8ElNS0_10empty_typeEbEEZZNS1_14partition_implILS5_8ELb0ES3_jPlPS6_PKS6_NS0_5tupleIJS9_S6_EEENSD_IJSA_SA_EEENS0_18inequality_wrapperIZN2at6native12_GLOBAL__N_124unique_dim_cuda_templateIiEESt5tupleIJNSH_6TensorESM_SM_EERKSM_lbbbEUlllE0_EEPmJS6_EEE10hipError_tPvRmT3_T4_T5_T6_T7_T9_mT8_P12ihipStream_tbDpT10_ENKUlT_T0_E_clISt17integral_constantIbLb0EES1C_EEDaS17_S18_EUlS17_E_NS1_11comp_targetILNS1_3genE5ELNS1_11target_archE942ELNS1_3gpuE9ELNS1_3repE0EEENS1_30default_config_static_selectorELNS0_4arch9wavefront6targetE1EEEvT1_,comdat
.Lfunc_end442:
	.size	_ZN7rocprim17ROCPRIM_400000_NS6detail17trampoline_kernelINS0_14default_configENS1_25partition_config_selectorILNS1_17partition_subalgoE8ElNS0_10empty_typeEbEEZZNS1_14partition_implILS5_8ELb0ES3_jPlPS6_PKS6_NS0_5tupleIJS9_S6_EEENSD_IJSA_SA_EEENS0_18inequality_wrapperIZN2at6native12_GLOBAL__N_124unique_dim_cuda_templateIiEESt5tupleIJNSH_6TensorESM_SM_EERKSM_lbbbEUlllE0_EEPmJS6_EEE10hipError_tPvRmT3_T4_T5_T6_T7_T9_mT8_P12ihipStream_tbDpT10_ENKUlT_T0_E_clISt17integral_constantIbLb0EES1C_EEDaS17_S18_EUlS17_E_NS1_11comp_targetILNS1_3genE5ELNS1_11target_archE942ELNS1_3gpuE9ELNS1_3repE0EEENS1_30default_config_static_selectorELNS0_4arch9wavefront6targetE1EEEvT1_, .Lfunc_end442-_ZN7rocprim17ROCPRIM_400000_NS6detail17trampoline_kernelINS0_14default_configENS1_25partition_config_selectorILNS1_17partition_subalgoE8ElNS0_10empty_typeEbEEZZNS1_14partition_implILS5_8ELb0ES3_jPlPS6_PKS6_NS0_5tupleIJS9_S6_EEENSD_IJSA_SA_EEENS0_18inequality_wrapperIZN2at6native12_GLOBAL__N_124unique_dim_cuda_templateIiEESt5tupleIJNSH_6TensorESM_SM_EERKSM_lbbbEUlllE0_EEPmJS6_EEE10hipError_tPvRmT3_T4_T5_T6_T7_T9_mT8_P12ihipStream_tbDpT10_ENKUlT_T0_E_clISt17integral_constantIbLb0EES1C_EEDaS17_S18_EUlS17_E_NS1_11comp_targetILNS1_3genE5ELNS1_11target_archE942ELNS1_3gpuE9ELNS1_3repE0EEENS1_30default_config_static_selectorELNS0_4arch9wavefront6targetE1EEEvT1_
                                        ; -- End function
	.section	.AMDGPU.csdata,"",@progbits
; Kernel info:
; codeLenInByte = 0
; NumSgprs: 4
; NumVgprs: 0
; NumAgprs: 0
; TotalNumVgprs: 0
; ScratchSize: 0
; MemoryBound: 0
; FloatMode: 240
; IeeeMode: 1
; LDSByteSize: 0 bytes/workgroup (compile time only)
; SGPRBlocks: 0
; VGPRBlocks: 0
; NumSGPRsForWavesPerEU: 4
; NumVGPRsForWavesPerEU: 1
; AccumOffset: 4
; Occupancy: 8
; WaveLimiterHint : 0
; COMPUTE_PGM_RSRC2:SCRATCH_EN: 0
; COMPUTE_PGM_RSRC2:USER_SGPR: 6
; COMPUTE_PGM_RSRC2:TRAP_HANDLER: 0
; COMPUTE_PGM_RSRC2:TGID_X_EN: 1
; COMPUTE_PGM_RSRC2:TGID_Y_EN: 0
; COMPUTE_PGM_RSRC2:TGID_Z_EN: 0
; COMPUTE_PGM_RSRC2:TIDIG_COMP_CNT: 0
; COMPUTE_PGM_RSRC3_GFX90A:ACCUM_OFFSET: 0
; COMPUTE_PGM_RSRC3_GFX90A:TG_SPLIT: 0
	.section	.text._ZN7rocprim17ROCPRIM_400000_NS6detail17trampoline_kernelINS0_14default_configENS1_25partition_config_selectorILNS1_17partition_subalgoE8ElNS0_10empty_typeEbEEZZNS1_14partition_implILS5_8ELb0ES3_jPlPS6_PKS6_NS0_5tupleIJS9_S6_EEENSD_IJSA_SA_EEENS0_18inequality_wrapperIZN2at6native12_GLOBAL__N_124unique_dim_cuda_templateIiEESt5tupleIJNSH_6TensorESM_SM_EERKSM_lbbbEUlllE0_EEPmJS6_EEE10hipError_tPvRmT3_T4_T5_T6_T7_T9_mT8_P12ihipStream_tbDpT10_ENKUlT_T0_E_clISt17integral_constantIbLb0EES1C_EEDaS17_S18_EUlS17_E_NS1_11comp_targetILNS1_3genE4ELNS1_11target_archE910ELNS1_3gpuE8ELNS1_3repE0EEENS1_30default_config_static_selectorELNS0_4arch9wavefront6targetE1EEEvT1_,"axG",@progbits,_ZN7rocprim17ROCPRIM_400000_NS6detail17trampoline_kernelINS0_14default_configENS1_25partition_config_selectorILNS1_17partition_subalgoE8ElNS0_10empty_typeEbEEZZNS1_14partition_implILS5_8ELb0ES3_jPlPS6_PKS6_NS0_5tupleIJS9_S6_EEENSD_IJSA_SA_EEENS0_18inequality_wrapperIZN2at6native12_GLOBAL__N_124unique_dim_cuda_templateIiEESt5tupleIJNSH_6TensorESM_SM_EERKSM_lbbbEUlllE0_EEPmJS6_EEE10hipError_tPvRmT3_T4_T5_T6_T7_T9_mT8_P12ihipStream_tbDpT10_ENKUlT_T0_E_clISt17integral_constantIbLb0EES1C_EEDaS17_S18_EUlS17_E_NS1_11comp_targetILNS1_3genE4ELNS1_11target_archE910ELNS1_3gpuE8ELNS1_3repE0EEENS1_30default_config_static_selectorELNS0_4arch9wavefront6targetE1EEEvT1_,comdat
	.globl	_ZN7rocprim17ROCPRIM_400000_NS6detail17trampoline_kernelINS0_14default_configENS1_25partition_config_selectorILNS1_17partition_subalgoE8ElNS0_10empty_typeEbEEZZNS1_14partition_implILS5_8ELb0ES3_jPlPS6_PKS6_NS0_5tupleIJS9_S6_EEENSD_IJSA_SA_EEENS0_18inequality_wrapperIZN2at6native12_GLOBAL__N_124unique_dim_cuda_templateIiEESt5tupleIJNSH_6TensorESM_SM_EERKSM_lbbbEUlllE0_EEPmJS6_EEE10hipError_tPvRmT3_T4_T5_T6_T7_T9_mT8_P12ihipStream_tbDpT10_ENKUlT_T0_E_clISt17integral_constantIbLb0EES1C_EEDaS17_S18_EUlS17_E_NS1_11comp_targetILNS1_3genE4ELNS1_11target_archE910ELNS1_3gpuE8ELNS1_3repE0EEENS1_30default_config_static_selectorELNS0_4arch9wavefront6targetE1EEEvT1_ ; -- Begin function _ZN7rocprim17ROCPRIM_400000_NS6detail17trampoline_kernelINS0_14default_configENS1_25partition_config_selectorILNS1_17partition_subalgoE8ElNS0_10empty_typeEbEEZZNS1_14partition_implILS5_8ELb0ES3_jPlPS6_PKS6_NS0_5tupleIJS9_S6_EEENSD_IJSA_SA_EEENS0_18inequality_wrapperIZN2at6native12_GLOBAL__N_124unique_dim_cuda_templateIiEESt5tupleIJNSH_6TensorESM_SM_EERKSM_lbbbEUlllE0_EEPmJS6_EEE10hipError_tPvRmT3_T4_T5_T6_T7_T9_mT8_P12ihipStream_tbDpT10_ENKUlT_T0_E_clISt17integral_constantIbLb0EES1C_EEDaS17_S18_EUlS17_E_NS1_11comp_targetILNS1_3genE4ELNS1_11target_archE910ELNS1_3gpuE8ELNS1_3repE0EEENS1_30default_config_static_selectorELNS0_4arch9wavefront6targetE1EEEvT1_
	.p2align	8
	.type	_ZN7rocprim17ROCPRIM_400000_NS6detail17trampoline_kernelINS0_14default_configENS1_25partition_config_selectorILNS1_17partition_subalgoE8ElNS0_10empty_typeEbEEZZNS1_14partition_implILS5_8ELb0ES3_jPlPS6_PKS6_NS0_5tupleIJS9_S6_EEENSD_IJSA_SA_EEENS0_18inequality_wrapperIZN2at6native12_GLOBAL__N_124unique_dim_cuda_templateIiEESt5tupleIJNSH_6TensorESM_SM_EERKSM_lbbbEUlllE0_EEPmJS6_EEE10hipError_tPvRmT3_T4_T5_T6_T7_T9_mT8_P12ihipStream_tbDpT10_ENKUlT_T0_E_clISt17integral_constantIbLb0EES1C_EEDaS17_S18_EUlS17_E_NS1_11comp_targetILNS1_3genE4ELNS1_11target_archE910ELNS1_3gpuE8ELNS1_3repE0EEENS1_30default_config_static_selectorELNS0_4arch9wavefront6targetE1EEEvT1_,@function
_ZN7rocprim17ROCPRIM_400000_NS6detail17trampoline_kernelINS0_14default_configENS1_25partition_config_selectorILNS1_17partition_subalgoE8ElNS0_10empty_typeEbEEZZNS1_14partition_implILS5_8ELb0ES3_jPlPS6_PKS6_NS0_5tupleIJS9_S6_EEENSD_IJSA_SA_EEENS0_18inequality_wrapperIZN2at6native12_GLOBAL__N_124unique_dim_cuda_templateIiEESt5tupleIJNSH_6TensorESM_SM_EERKSM_lbbbEUlllE0_EEPmJS6_EEE10hipError_tPvRmT3_T4_T5_T6_T7_T9_mT8_P12ihipStream_tbDpT10_ENKUlT_T0_E_clISt17integral_constantIbLb0EES1C_EEDaS17_S18_EUlS17_E_NS1_11comp_targetILNS1_3genE4ELNS1_11target_archE910ELNS1_3gpuE8ELNS1_3repE0EEENS1_30default_config_static_selectorELNS0_4arch9wavefront6targetE1EEEvT1_: ; @_ZN7rocprim17ROCPRIM_400000_NS6detail17trampoline_kernelINS0_14default_configENS1_25partition_config_selectorILNS1_17partition_subalgoE8ElNS0_10empty_typeEbEEZZNS1_14partition_implILS5_8ELb0ES3_jPlPS6_PKS6_NS0_5tupleIJS9_S6_EEENSD_IJSA_SA_EEENS0_18inequality_wrapperIZN2at6native12_GLOBAL__N_124unique_dim_cuda_templateIiEESt5tupleIJNSH_6TensorESM_SM_EERKSM_lbbbEUlllE0_EEPmJS6_EEE10hipError_tPvRmT3_T4_T5_T6_T7_T9_mT8_P12ihipStream_tbDpT10_ENKUlT_T0_E_clISt17integral_constantIbLb0EES1C_EEDaS17_S18_EUlS17_E_NS1_11comp_targetILNS1_3genE4ELNS1_11target_archE910ELNS1_3gpuE8ELNS1_3repE0EEENS1_30default_config_static_selectorELNS0_4arch9wavefront6targetE1EEEvT1_
; %bb.0:
	s_load_dwordx8 s[20:27], s[4:5], 0x40
	s_load_dwordx4 s[0:3], s[4:5], 0x8
	s_load_dwordx4 s[28:31], s[4:5], 0x60
	s_load_dword s7, s[4:5], 0x70
	s_waitcnt lgkmcnt(0)
	v_mov_b32_e32 v2, s24
	s_lshl_b64 s[8:9], s[2:3], 3
	s_add_u32 s12, s0, s8
	s_mul_i32 s8, s7, 0x500
	s_addc_u32 s13, s1, s9
	s_add_i32 s1, s8, s2
	s_add_i32 s10, s7, -1
	s_sub_i32 s7, s24, s1
	s_add_u32 s8, s2, s8
	s_addc_u32 s9, s3, 0
	v_mov_b32_e32 v3, s25
	s_cmp_eq_u32 s6, s10
	s_load_dwordx2 s[22:23], s[22:23], 0x0
	v_cmp_ge_u64_e32 vcc, s[8:9], v[2:3]
	s_cselect_b64 s[24:25], -1, 0
	s_mul_i32 s0, s6, 0x500
	s_mov_b32 s1, 0
	s_and_b64 s[10:11], s[24:25], vcc
	s_xor_b64 s[34:35], s[10:11], -1
	s_lshl_b64 s[0:1], s[0:1], 3
	s_add_u32 s0, s12, s0
	s_mov_b64 s[8:9], -1
	s_addc_u32 s1, s13, s1
	s_and_b64 vcc, exec, s[34:35]
	s_cbranch_vccz .LBB443_2
; %bb.1:
	v_lshlrev_b32_e32 v1, 3, v0
	v_mov_b32_e32 v2, s1
	v_add_co_u32_e32 v12, vcc, s0, v1
	v_addc_co_u32_e32 v13, vcc, 0, v2, vcc
	v_add_co_u32_e32 v2, vcc, 0x1000, v12
	v_addc_co_u32_e32 v3, vcc, 0, v13, vcc
	global_load_dwordx2 v[4:5], v1, s[0:1]
	global_load_dwordx2 v[6:7], v1, s[0:1] offset:2048
	global_load_dwordx2 v[8:9], v[2:3], off
	global_load_dwordx2 v[10:11], v[2:3], off offset:2048
	v_add_co_u32_e32 v2, vcc, 0x2000, v12
	v_addc_co_u32_e32 v3, vcc, 0, v13, vcc
	global_load_dwordx2 v[2:3], v[2:3], off
	s_mov_b64 s[8:9], 0
	s_waitcnt vmcnt(3)
	ds_write2st64_b64 v1, v[4:5], v[6:7] offset1:4
	s_waitcnt vmcnt(1)
	ds_write2st64_b64 v1, v[8:9], v[10:11] offset0:8 offset1:12
	s_waitcnt vmcnt(0)
	ds_write_b64 v1, v[2:3] offset:8192
	s_waitcnt lgkmcnt(0)
	s_barrier
.LBB443_2:
	s_andn2_b64 vcc, exec, s[8:9]
	s_addk_i32 s7, 0x500
	s_cbranch_vccnz .LBB443_14
; %bb.3:
	v_cmp_gt_u32_e32 vcc, s7, v0
                                        ; implicit-def: $vgpr2_vgpr3_vgpr4_vgpr5_vgpr6_vgpr7_vgpr8_vgpr9_vgpr10_vgpr11_vgpr12_vgpr13_vgpr14_vgpr15_vgpr16_vgpr17
	s_and_saveexec_b64 s[8:9], vcc
	s_cbranch_execz .LBB443_5
; %bb.4:
	v_lshlrev_b32_e32 v1, 3, v0
	global_load_dwordx2 v[2:3], v1, s[0:1]
.LBB443_5:
	s_or_b64 exec, exec, s[8:9]
	v_or_b32_e32 v1, 0x100, v0
	v_cmp_gt_u32_e32 vcc, s7, v1
	s_and_saveexec_b64 s[8:9], vcc
	s_cbranch_execz .LBB443_7
; %bb.6:
	v_lshlrev_b32_e32 v1, 3, v0
	global_load_dwordx2 v[4:5], v1, s[0:1] offset:2048
.LBB443_7:
	s_or_b64 exec, exec, s[8:9]
	v_or_b32_e32 v1, 0x200, v0
	v_cmp_gt_u32_e32 vcc, s7, v1
	s_and_saveexec_b64 s[8:9], vcc
	s_cbranch_execz .LBB443_9
; %bb.8:
	v_lshlrev_b32_e32 v1, 3, v1
	global_load_dwordx2 v[6:7], v1, s[0:1]
.LBB443_9:
	s_or_b64 exec, exec, s[8:9]
	v_or_b32_e32 v1, 0x300, v0
	v_cmp_gt_u32_e32 vcc, s7, v1
	s_and_saveexec_b64 s[8:9], vcc
	s_cbranch_execz .LBB443_11
; %bb.10:
	v_lshlrev_b32_e32 v1, 3, v1
	global_load_dwordx2 v[8:9], v1, s[0:1]
.LBB443_11:
	;; [unrolled: 9-line block ×3, first 2 shown]
	s_or_b64 exec, exec, s[8:9]
	v_lshlrev_b32_e32 v1, 3, v0
	s_waitcnt vmcnt(0)
	ds_write2st64_b64 v1, v[2:3], v[4:5] offset1:4
	ds_write2st64_b64 v1, v[6:7], v[8:9] offset0:8 offset1:12
	ds_write_b64 v1, v[10:11] offset:8192
	s_waitcnt lgkmcnt(0)
	s_barrier
.LBB443_14:
	v_mul_u32_u24_e32 v1, 5, v0
	v_lshlrev_b32_e32 v20, 3, v1
	s_waitcnt lgkmcnt(0)
	ds_read2_b64 v[6:9], v20 offset1:1
	ds_read2_b64 v[2:5], v20 offset0:2 offset1:3
	ds_read_b64 v[10:11], v20 offset:32
	s_cmp_lg_u32 s6, 0
	s_cselect_b64 s[16:17], -1, 0
	s_cmp_lg_u64 s[2:3], 0
	s_cselect_b64 s[2:3], -1, 0
	s_or_b64 s[2:3], s[16:17], s[2:3]
	v_mad_u32_u24 v24, v0, 5, 1
	v_mad_u32_u24 v22, v0, 5, 2
	;; [unrolled: 1-line block ×4, first 2 shown]
	s_mov_b64 s[12:13], 0
	s_and_b64 vcc, exec, s[2:3]
	v_cmp_gt_i64_e64 s[2:3], s[26:27], 0
	s_waitcnt lgkmcnt(0)
	s_barrier
	s_cbranch_vccz .LBB443_23
; %bb.15:
	s_add_u32 s0, s0, -8
	s_addc_u32 s1, s1, -1
	s_load_dwordx2 s[12:13], s[0:1], 0x0
	v_cndmask_b32_e64 v12, 0, 1, s[2:3]
	v_lshlrev_b32_e32 v21, 3, v0
	s_mov_b64 s[14:15], 0
	s_and_b64 vcc, exec, s[34:35]
	v_cmp_ne_u32_e64 s[0:1], 1, v12
	ds_write_b64 v21, v[10:11]
	s_cbranch_vccz .LBB443_24
; %bb.16:
	v_mul_lo_u32 v14, v5, s26
	v_mul_lo_u32 v15, v4, s27
	v_mad_u64_u32 v[12:13], s[2:3], v4, s26, 0
	v_add3_u32 v13, v13, v15, v14
	s_and_b64 vcc, exec, s[0:1]
	v_lshlrev_b64 v[12:13], 2, v[12:13]
	s_cbranch_vccnz .LBB443_27
; %bb.17:
	v_mul_lo_u32 v16, v11, s26
	v_mul_lo_u32 v17, v10, s27
	v_mad_u64_u32 v[14:15], s[2:3], v10, s26, 0
	v_add3_u32 v15, v15, v17, v16
	v_mov_b32_e32 v17, s29
	v_add_co_u32_e32 v16, vcc, s28, v12
	v_addc_co_u32_e64 v17, s[2:3], v17, v13, vcc
	v_lshlrev_b64 v[14:15], 2, v[14:15]
	v_mov_b32_e32 v19, s29
	v_add_co_u32_e64 v18, s[2:3], s28, v14
	v_addc_co_u32_e64 v19, s[8:9], v19, v15, s[2:3]
	global_load_dword v14, v[16:17], off
	global_load_dword v26, v[18:19], off
	s_mov_b64 s[14:15], -1
	s_waitcnt vmcnt(0)
	v_cmp_eq_u32_e64 s[8:9], v14, v26
	s_and_saveexec_b64 s[18:19], s[8:9]
	s_cbranch_execz .LBB443_26
; %bb.18:
	v_mov_b32_e32 v14, s29
	v_addc_co_u32_e64 v15, s[2:3], v15, v14, s[2:3]
	v_add_co_u32_e64 v14, s[2:3], 4, v18
	v_mov_b32_e32 v17, s29
	v_addc_co_u32_e64 v15, s[2:3], 0, v15, s[2:3]
	v_addc_co_u32_e32 v17, vcc, v13, v17, vcc
	v_add_co_u32_e32 v16, vcc, 4, v16
	s_add_u32 s2, s26, -1
	v_addc_co_u32_e32 v17, vcc, 0, v17, vcc
	s_addc_u32 s3, s27, -1
	s_mov_b64 s[8:9], 0
	s_mov_b64 s[36:37], 0
                                        ; implicit-def: $sgpr14_sgpr15
	s_branch .LBB443_21
.LBB443_19:                             ;   in Loop: Header=BB443_21 Depth=1
	global_load_dword v18, v[16:17], off
	global_load_dword v19, v[14:15], off
	v_add_co_u32_e32 v14, vcc, 4, v14
	v_addc_co_u32_e32 v15, vcc, 0, v15, vcc
	v_add_co_u32_e32 v16, vcc, 4, v16
	v_addc_co_u32_e32 v17, vcc, 0, v17, vcc
	s_add_u32 s36, s36, 1
	s_addc_u32 s37, s37, 0
	s_andn2_b64 s[14:15], s[14:15], exec
	s_waitcnt vmcnt(0)
	v_cmp_ne_u32_e32 vcc, v18, v19
	s_and_b64 s[38:39], vcc, exec
	s_or_b64 s[14:15], s[14:15], s[38:39]
.LBB443_20:                             ;   in Loop: Header=BB443_21 Depth=1
	s_and_b64 s[38:39], exec, s[14:15]
	s_or_b64 s[8:9], s[38:39], s[8:9]
	v_pk_mov_b32 v[18:19], s[36:37], s[36:37] op_sel:[0,1]
	s_andn2_b64 exec, exec, s[8:9]
	s_cbranch_execz .LBB443_25
.LBB443_21:                             ; =>This Inner Loop Header: Depth=1
	s_or_b64 s[14:15], s[14:15], exec
	s_cmp_eq_u64 s[2:3], s[36:37]
	s_cbranch_scc0 .LBB443_19
; %bb.22:                               ;   in Loop: Header=BB443_21 Depth=1
                                        ; implicit-def: $vgpr14_vgpr15
                                        ; implicit-def: $vgpr16_vgpr17
	s_mov_b64 s[36:37], s[26:27]
	s_branch .LBB443_20
.LBB443_23:
                                        ; implicit-def: $sgpr18_sgpr19
                                        ; implicit-def: $vgpr13
                                        ; implicit-def: $vgpr16
	s_branch .LBB443_125
.LBB443_24:
                                        ; implicit-def: $sgpr18_sgpr19
                                        ; implicit-def: $vgpr13
                                        ; implicit-def: $vgpr16
	s_cbranch_execnz .LBB443_66
	s_branch .LBB443_124
.LBB443_25:
	s_or_b64 exec, exec, s[8:9]
	v_cmp_gt_i64_e32 vcc, s[26:27], v[18:19]
	s_orn2_b64 s[14:15], vcc, exec
.LBB443_26:
	s_or_b64 exec, exec, s[18:19]
.LBB443_27:
	v_mul_lo_u32 v16, v3, s26
	v_mul_lo_u32 v17, v2, s27
	v_mad_u64_u32 v[14:15], s[2:3], v2, s26, 0
	v_add3_u32 v15, v15, v17, v16
	s_mov_b64 s[18:19], 0
	s_and_b64 vcc, exec, s[0:1]
	v_lshlrev_b64 v[16:17], 2, v[14:15]
	s_mov_b64 s[36:37], 0
	s_cbranch_vccnz .LBB443_36
; %bb.28:
	v_mov_b32_e32 v15, s29
	v_add_co_u32_e32 v14, vcc, s28, v16
	v_addc_co_u32_e64 v15, s[2:3], v15, v17, vcc
	v_mov_b32_e32 v19, s29
	v_add_co_u32_e64 v18, s[2:3], s28, v12
	v_addc_co_u32_e64 v19, s[8:9], v19, v13, s[2:3]
	global_load_dword v12, v[14:15], off
	global_load_dword v26, v[18:19], off
	s_mov_b64 s[36:37], -1
	s_waitcnt vmcnt(0)
	v_cmp_eq_u32_e64 s[8:9], v12, v26
	s_and_saveexec_b64 s[38:39], s[8:9]
	s_cbranch_execz .LBB443_35
; %bb.29:
	v_mov_b32_e32 v12, s29
	v_addc_co_u32_e64 v13, s[2:3], v13, v12, s[2:3]
	v_add_co_u32_e64 v12, s[2:3], 4, v18
	v_mov_b32_e32 v15, s29
	v_addc_co_u32_e64 v13, s[2:3], 0, v13, s[2:3]
	v_addc_co_u32_e32 v15, vcc, v17, v15, vcc
	v_add_co_u32_e32 v14, vcc, 4, v14
	s_add_u32 s2, s26, -1
	v_addc_co_u32_e32 v15, vcc, 0, v15, vcc
	s_addc_u32 s3, s27, -1
	s_mov_b64 s[8:9], 0
	s_mov_b64 s[40:41], 0
                                        ; implicit-def: $sgpr36_sgpr37
	s_branch .LBB443_32
.LBB443_30:                             ;   in Loop: Header=BB443_32 Depth=1
	global_load_dword v18, v[14:15], off
	global_load_dword v19, v[12:13], off
	v_add_co_u32_e32 v12, vcc, 4, v12
	v_addc_co_u32_e32 v13, vcc, 0, v13, vcc
	v_add_co_u32_e32 v14, vcc, 4, v14
	v_addc_co_u32_e32 v15, vcc, 0, v15, vcc
	s_add_u32 s40, s40, 1
	s_addc_u32 s41, s41, 0
	s_andn2_b64 s[36:37], s[36:37], exec
	s_waitcnt vmcnt(0)
	v_cmp_ne_u32_e32 vcc, v18, v19
	s_and_b64 s[42:43], vcc, exec
	s_or_b64 s[36:37], s[36:37], s[42:43]
.LBB443_31:                             ;   in Loop: Header=BB443_32 Depth=1
	s_and_b64 s[42:43], exec, s[36:37]
	s_or_b64 s[8:9], s[42:43], s[8:9]
	v_pk_mov_b32 v[18:19], s[40:41], s[40:41] op_sel:[0,1]
	s_andn2_b64 exec, exec, s[8:9]
	s_cbranch_execz .LBB443_34
.LBB443_32:                             ; =>This Inner Loop Header: Depth=1
	s_or_b64 s[36:37], s[36:37], exec
	s_cmp_eq_u64 s[2:3], s[40:41]
	s_cbranch_scc0 .LBB443_30
; %bb.33:                               ;   in Loop: Header=BB443_32 Depth=1
                                        ; implicit-def: $vgpr12_vgpr13
                                        ; implicit-def: $vgpr14_vgpr15
	s_mov_b64 s[40:41], s[26:27]
	s_branch .LBB443_31
.LBB443_34:
	s_or_b64 exec, exec, s[8:9]
	v_cmp_gt_i64_e32 vcc, s[26:27], v[18:19]
	s_orn2_b64 s[36:37], vcc, exec
.LBB443_35:
	s_or_b64 exec, exec, s[38:39]
.LBB443_36:
	v_mul_lo_u32 v14, v9, s26
	v_mul_lo_u32 v15, v8, s27
	v_mad_u64_u32 v[12:13], s[2:3], v8, s26, 0
	v_add3_u32 v13, v13, v15, v14
	s_and_b64 vcc, exec, s[0:1]
	v_lshlrev_b64 v[14:15], 2, v[12:13]
	s_cbranch_vccnz .LBB443_45
; %bb.37:
	v_mov_b32_e32 v12, s29
	v_add_co_u32_e32 v18, vcc, s28, v14
	v_addc_co_u32_e64 v19, s[2:3], v12, v15, vcc
	v_mov_b32_e32 v13, s29
	v_add_co_u32_e64 v12, s[2:3], s28, v16
	v_addc_co_u32_e64 v13, s[8:9], v13, v17, s[2:3]
	global_load_dword v16, v[18:19], off
	global_load_dword v26, v[12:13], off
	s_mov_b64 s[18:19], -1
	s_waitcnt vmcnt(0)
	v_cmp_eq_u32_e64 s[8:9], v16, v26
	s_and_saveexec_b64 s[38:39], s[8:9]
	s_cbranch_execz .LBB443_44
; %bb.38:
	v_mov_b32_e32 v13, s29
	v_addc_co_u32_e64 v13, s[2:3], v17, v13, s[2:3]
	v_add_co_u32_e64 v12, s[2:3], 4, v12
	v_mov_b32_e32 v16, s29
	v_addc_co_u32_e64 v13, s[2:3], 0, v13, s[2:3]
	v_addc_co_u32_e32 v17, vcc, v15, v16, vcc
	v_add_co_u32_e32 v16, vcc, 4, v18
	s_add_u32 s2, s26, -1
	v_addc_co_u32_e32 v17, vcc, 0, v17, vcc
	s_addc_u32 s3, s27, -1
	s_mov_b64 s[8:9], 0
	s_mov_b64 s[40:41], 0
                                        ; implicit-def: $sgpr18_sgpr19
	s_branch .LBB443_41
.LBB443_39:                             ;   in Loop: Header=BB443_41 Depth=1
	global_load_dword v18, v[16:17], off
	global_load_dword v19, v[12:13], off
	v_add_co_u32_e32 v12, vcc, 4, v12
	v_addc_co_u32_e32 v13, vcc, 0, v13, vcc
	v_add_co_u32_e32 v16, vcc, 4, v16
	v_addc_co_u32_e32 v17, vcc, 0, v17, vcc
	s_add_u32 s40, s40, 1
	s_addc_u32 s41, s41, 0
	s_andn2_b64 s[18:19], s[18:19], exec
	s_waitcnt vmcnt(0)
	v_cmp_ne_u32_e32 vcc, v18, v19
	s_and_b64 s[42:43], vcc, exec
	s_or_b64 s[18:19], s[18:19], s[42:43]
.LBB443_40:                             ;   in Loop: Header=BB443_41 Depth=1
	s_and_b64 s[42:43], exec, s[18:19]
	s_or_b64 s[8:9], s[42:43], s[8:9]
	v_pk_mov_b32 v[18:19], s[40:41], s[40:41] op_sel:[0,1]
	s_andn2_b64 exec, exec, s[8:9]
	s_cbranch_execz .LBB443_43
.LBB443_41:                             ; =>This Inner Loop Header: Depth=1
	s_or_b64 s[18:19], s[18:19], exec
	s_cmp_eq_u64 s[2:3], s[40:41]
	s_cbranch_scc0 .LBB443_39
; %bb.42:                               ;   in Loop: Header=BB443_41 Depth=1
                                        ; implicit-def: $vgpr12_vgpr13
                                        ; implicit-def: $vgpr16_vgpr17
	s_mov_b64 s[40:41], s[26:27]
	s_branch .LBB443_40
.LBB443_43:
	s_or_b64 exec, exec, s[8:9]
	v_cmp_gt_i64_e32 vcc, s[26:27], v[18:19]
	s_orn2_b64 s[18:19], vcc, exec
.LBB443_44:
	s_or_b64 exec, exec, s[38:39]
.LBB443_45:
	v_mul_lo_u32 v16, v7, s26
	v_mul_lo_u32 v17, v6, s27
	v_mad_u64_u32 v[12:13], s[2:3], v6, s26, 0
	v_add3_u32 v13, v13, v17, v16
	s_mov_b64 s[40:41], 0
	s_and_b64 vcc, exec, s[0:1]
	v_lshlrev_b64 v[12:13], 2, v[12:13]
	s_cbranch_vccnz .LBB443_54
; %bb.46:
	v_mov_b32_e32 v17, s29
	v_add_co_u32_e32 v16, vcc, s28, v12
	v_addc_co_u32_e64 v17, s[2:3], v17, v13, vcc
	v_mov_b32_e32 v19, s29
	v_add_co_u32_e64 v18, s[2:3], s28, v14
	v_addc_co_u32_e64 v19, s[8:9], v19, v15, s[2:3]
	global_load_dword v14, v[16:17], off
	global_load_dword v26, v[18:19], off
	s_mov_b64 s[40:41], -1
	s_waitcnt vmcnt(0)
	v_cmp_eq_u32_e64 s[8:9], v14, v26
	s_and_saveexec_b64 s[38:39], s[8:9]
	s_cbranch_execz .LBB443_53
; %bb.47:
	v_mov_b32_e32 v14, s29
	v_addc_co_u32_e64 v15, s[2:3], v15, v14, s[2:3]
	v_add_co_u32_e64 v14, s[2:3], 4, v18
	v_mov_b32_e32 v17, s29
	v_addc_co_u32_e64 v15, s[2:3], 0, v15, s[2:3]
	v_addc_co_u32_e32 v17, vcc, v13, v17, vcc
	v_add_co_u32_e32 v16, vcc, 4, v16
	s_add_u32 s2, s26, -1
	v_addc_co_u32_e32 v17, vcc, 0, v17, vcc
	s_addc_u32 s3, s27, -1
	s_mov_b64 s[8:9], 0
	s_mov_b64 s[42:43], 0
                                        ; implicit-def: $sgpr40_sgpr41
	s_branch .LBB443_50
.LBB443_48:                             ;   in Loop: Header=BB443_50 Depth=1
	global_load_dword v18, v[16:17], off
	global_load_dword v19, v[14:15], off
	v_add_co_u32_e32 v14, vcc, 4, v14
	v_addc_co_u32_e32 v15, vcc, 0, v15, vcc
	v_add_co_u32_e32 v16, vcc, 4, v16
	v_addc_co_u32_e32 v17, vcc, 0, v17, vcc
	s_add_u32 s42, s42, 1
	s_addc_u32 s43, s43, 0
	s_andn2_b64 s[40:41], s[40:41], exec
	s_waitcnt vmcnt(0)
	v_cmp_ne_u32_e32 vcc, v18, v19
	s_and_b64 s[44:45], vcc, exec
	s_or_b64 s[40:41], s[40:41], s[44:45]
.LBB443_49:                             ;   in Loop: Header=BB443_50 Depth=1
	s_and_b64 s[44:45], exec, s[40:41]
	s_or_b64 s[8:9], s[44:45], s[8:9]
	v_pk_mov_b32 v[18:19], s[42:43], s[42:43] op_sel:[0,1]
	s_andn2_b64 exec, exec, s[8:9]
	s_cbranch_execz .LBB443_52
.LBB443_50:                             ; =>This Inner Loop Header: Depth=1
	s_or_b64 s[40:41], s[40:41], exec
	s_cmp_eq_u64 s[2:3], s[42:43]
	s_cbranch_scc0 .LBB443_48
; %bb.51:                               ;   in Loop: Header=BB443_50 Depth=1
                                        ; implicit-def: $vgpr14_vgpr15
                                        ; implicit-def: $vgpr16_vgpr17
	s_mov_b64 s[42:43], s[26:27]
	s_branch .LBB443_49
.LBB443_52:
	s_or_b64 exec, exec, s[8:9]
	v_cmp_gt_i64_e32 vcc, s[26:27], v[18:19]
	s_orn2_b64 s[40:41], vcc, exec
.LBB443_53:
	s_or_b64 exec, exec, s[38:39]
.LBB443_54:
	v_cmp_ne_u32_e32 vcc, 0, v0
	s_waitcnt lgkmcnt(0)
	v_pk_mov_b32 v[14:15], s[12:13], s[12:13] op_sel:[0,1]
	s_barrier
	s_and_saveexec_b64 s[2:3], vcc
	s_cbranch_execz .LBB443_56
; %bb.55:
	v_add_u32_e32 v14, -8, v21
	ds_read_b64 v[14:15], v14
.LBB443_56:
	s_or_b64 exec, exec, s[2:3]
	v_cndmask_b32_e64 v17, 0, 1, s[36:37]
	v_cndmask_b32_e64 v16, 0, 1, s[18:19]
	;; [unrolled: 1-line block ×3, first 2 shown]
	v_lshlrev_b16_e32 v17, 8, v17
	v_lshlrev_b16_e32 v26, 8, v18
	v_or_b32_sdwa v27, v16, v17 dst_sel:WORD_1 dst_unused:UNUSED_PAD src0_sel:DWORD src1_sel:DWORD
	s_mov_b64 s[36:37], 0
	s_and_b64 vcc, exec, s[0:1]
	s_mov_b64 s[18:19], 0
	s_cbranch_vccnz .LBB443_65
; %bb.57:
	s_waitcnt lgkmcnt(0)
	v_mul_lo_u32 v16, v15, s26
	v_mul_lo_u32 v17, v14, s27
	v_mad_u64_u32 v[14:15], s[2:3], v14, s26, 0
	v_add3_u32 v15, v15, v17, v16
	v_lshlrev_b64 v[14:15], 2, v[14:15]
	v_mov_b32_e32 v17, s29
	v_add_co_u32_e32 v16, vcc, s28, v14
	v_addc_co_u32_e64 v17, s[2:3], v17, v15, vcc
	v_mov_b32_e32 v14, s29
	v_add_co_u32_e64 v18, s[2:3], s28, v12
	v_addc_co_u32_e64 v19, s[8:9], v14, v13, s[2:3]
	global_load_dword v12, v[16:17], off
	global_load_dword v14, v[18:19], off
	s_mov_b64 s[18:19], -1
	s_waitcnt vmcnt(0)
	v_cmp_eq_u32_e64 s[8:9], v12, v14
	s_and_saveexec_b64 s[38:39], s[8:9]
	s_cbranch_execz .LBB443_64
; %bb.58:
	v_mov_b32_e32 v12, s29
	v_addc_co_u32_e64 v13, s[2:3], v13, v12, s[2:3]
	v_add_co_u32_e64 v12, s[2:3], 4, v18
	v_mov_b32_e32 v14, s29
	v_addc_co_u32_e64 v13, s[2:3], 0, v13, s[2:3]
	v_addc_co_u32_e32 v15, vcc, v15, v14, vcc
	v_add_co_u32_e32 v14, vcc, 4, v16
	s_add_u32 s2, s26, -1
	v_addc_co_u32_e32 v15, vcc, 0, v15, vcc
	s_addc_u32 s3, s27, -1
	s_mov_b64 s[8:9], 0
	s_mov_b64 s[40:41], 0
                                        ; implicit-def: $sgpr18_sgpr19
	s_branch .LBB443_61
.LBB443_59:                             ;   in Loop: Header=BB443_61 Depth=1
	global_load_dword v16, v[14:15], off
	global_load_dword v17, v[12:13], off
	v_add_co_u32_e32 v12, vcc, 4, v12
	v_addc_co_u32_e32 v13, vcc, 0, v13, vcc
	v_add_co_u32_e32 v14, vcc, 4, v14
	v_addc_co_u32_e32 v15, vcc, 0, v15, vcc
	s_add_u32 s40, s40, 1
	s_addc_u32 s41, s41, 0
	s_andn2_b64 s[18:19], s[18:19], exec
	s_waitcnt vmcnt(0)
	v_cmp_ne_u32_e32 vcc, v16, v17
	s_and_b64 s[42:43], vcc, exec
	s_or_b64 s[18:19], s[18:19], s[42:43]
.LBB443_60:                             ;   in Loop: Header=BB443_61 Depth=1
	s_and_b64 s[42:43], exec, s[18:19]
	s_or_b64 s[8:9], s[42:43], s[8:9]
	v_pk_mov_b32 v[16:17], s[40:41], s[40:41] op_sel:[0,1]
	s_andn2_b64 exec, exec, s[8:9]
	s_cbranch_execz .LBB443_63
.LBB443_61:                             ; =>This Inner Loop Header: Depth=1
	s_or_b64 s[18:19], s[18:19], exec
	s_cmp_eq_u64 s[2:3], s[40:41]
	s_cbranch_scc0 .LBB443_59
; %bb.62:                               ;   in Loop: Header=BB443_61 Depth=1
                                        ; implicit-def: $vgpr12_vgpr13
                                        ; implicit-def: $vgpr14_vgpr15
	s_mov_b64 s[40:41], s[26:27]
	s_branch .LBB443_60
.LBB443_63:
	s_or_b64 exec, exec, s[8:9]
	v_cmp_gt_i64_e32 vcc, s[26:27], v[16:17]
	s_orn2_b64 s[18:19], vcc, exec
.LBB443_64:
	s_or_b64 exec, exec, s[38:39]
.LBB443_65:
	v_cndmask_b32_e64 v13, 0, 1, s[14:15]
	v_or_b32_e32 v16, v26, v27
	s_and_b64 vcc, exec, s[36:37]
	s_cbranch_vccz .LBB443_124
.LBB443_66:
	v_cmp_gt_u32_e32 vcc, s7, v23
	s_mov_b64 s[18:19], 0
	s_mov_b64 s[14:15], 0
	s_and_saveexec_b64 s[36:37], vcc
	s_cbranch_execz .LBB443_77
; %bb.67:
	s_and_b64 vcc, exec, s[0:1]
	s_mov_b64 s[38:39], 0
	s_cbranch_vccnz .LBB443_76
; %bb.68:
	s_waitcnt lgkmcnt(0)
	v_mul_lo_u32 v14, v5, s26
	v_mul_lo_u32 v15, v4, s27
	v_mad_u64_u32 v[12:13], s[2:3], v4, s26, 0
	v_add3_u32 v13, v13, v15, v14
	v_mul_lo_u32 v14, v11, s26
	v_mul_lo_u32 v15, v10, s27
	v_mad_u64_u32 v[18:19], s[2:3], v10, s26, 0
	v_add3_u32 v19, v19, v15, v14
	v_lshlrev_b64 v[14:15], 2, v[12:13]
	v_mov_b32_e32 v12, s29
	v_add_co_u32_e32 v16, vcc, s28, v14
	v_addc_co_u32_e64 v17, s[2:3], v12, v15, vcc
	v_lshlrev_b64 v[12:13], 2, v[18:19]
	v_mov_b32_e32 v14, s29
	v_add_co_u32_e64 v18, s[2:3], s28, v12
	v_addc_co_u32_e64 v19, s[8:9], v14, v13, s[2:3]
	global_load_dword v12, v[16:17], off
	global_load_dword v14, v[18:19], off
	s_mov_b64 s[38:39], -1
	s_waitcnt vmcnt(0)
	v_cmp_eq_u32_e64 s[8:9], v12, v14
	s_and_saveexec_b64 s[14:15], s[8:9]
	s_cbranch_execz .LBB443_75
; %bb.69:
	v_mov_b32_e32 v12, s29
	v_addc_co_u32_e64 v13, s[2:3], v13, v12, s[2:3]
	v_add_co_u32_e64 v12, s[2:3], 4, v18
	v_mov_b32_e32 v14, s29
	v_addc_co_u32_e64 v13, s[2:3], 0, v13, s[2:3]
	v_addc_co_u32_e32 v15, vcc, v15, v14, vcc
	v_add_co_u32_e32 v14, vcc, 4, v16
	s_add_u32 s2, s26, -1
	v_addc_co_u32_e32 v15, vcc, 0, v15, vcc
	s_addc_u32 s3, s27, -1
	s_mov_b64 s[8:9], 0
	s_mov_b64 s[40:41], 0
                                        ; implicit-def: $sgpr38_sgpr39
	s_branch .LBB443_72
.LBB443_70:                             ;   in Loop: Header=BB443_72 Depth=1
	global_load_dword v16, v[14:15], off
	global_load_dword v17, v[12:13], off
	v_add_co_u32_e32 v12, vcc, 4, v12
	v_addc_co_u32_e32 v13, vcc, 0, v13, vcc
	v_add_co_u32_e32 v14, vcc, 4, v14
	v_addc_co_u32_e32 v15, vcc, 0, v15, vcc
	s_add_u32 s40, s40, 1
	s_addc_u32 s41, s41, 0
	s_andn2_b64 s[38:39], s[38:39], exec
	s_waitcnt vmcnt(0)
	v_cmp_ne_u32_e32 vcc, v16, v17
	s_and_b64 s[42:43], vcc, exec
	s_or_b64 s[38:39], s[38:39], s[42:43]
.LBB443_71:                             ;   in Loop: Header=BB443_72 Depth=1
	s_and_b64 s[42:43], exec, s[38:39]
	s_or_b64 s[8:9], s[42:43], s[8:9]
	v_pk_mov_b32 v[16:17], s[40:41], s[40:41] op_sel:[0,1]
	s_andn2_b64 exec, exec, s[8:9]
	s_cbranch_execz .LBB443_74
.LBB443_72:                             ; =>This Inner Loop Header: Depth=1
	s_or_b64 s[38:39], s[38:39], exec
	s_cmp_eq_u64 s[2:3], s[40:41]
	s_cbranch_scc0 .LBB443_70
; %bb.73:                               ;   in Loop: Header=BB443_72 Depth=1
                                        ; implicit-def: $vgpr12_vgpr13
                                        ; implicit-def: $vgpr14_vgpr15
	s_mov_b64 s[40:41], s[26:27]
	s_branch .LBB443_71
.LBB443_74:
	s_or_b64 exec, exec, s[8:9]
	v_cmp_gt_i64_e32 vcc, s[26:27], v[16:17]
	s_orn2_b64 s[38:39], vcc, exec
.LBB443_75:
	s_or_b64 exec, exec, s[14:15]
.LBB443_76:
	s_and_b64 s[14:15], s[38:39], exec
.LBB443_77:
	s_or_b64 exec, exec, s[36:37]
	v_cmp_gt_u32_e32 vcc, s7, v25
	s_and_saveexec_b64 s[36:37], vcc
	s_cbranch_execz .LBB443_88
; %bb.78:
	s_and_b64 vcc, exec, s[0:1]
	s_mov_b64 s[38:39], 0
	s_cbranch_vccnz .LBB443_87
; %bb.79:
	s_waitcnt lgkmcnt(0)
	v_mul_lo_u32 v14, v3, s26
	v_mul_lo_u32 v15, v2, s27
	v_mad_u64_u32 v[12:13], s[2:3], v2, s26, 0
	v_add3_u32 v13, v13, v15, v14
	v_mul_lo_u32 v14, v5, s26
	v_mul_lo_u32 v15, v4, s27
	v_mad_u64_u32 v[18:19], s[2:3], v4, s26, 0
	v_add3_u32 v19, v19, v15, v14
	v_lshlrev_b64 v[14:15], 2, v[12:13]
	v_mov_b32_e32 v12, s29
	v_add_co_u32_e32 v16, vcc, s28, v14
	v_addc_co_u32_e64 v17, s[2:3], v12, v15, vcc
	v_lshlrev_b64 v[12:13], 2, v[18:19]
	v_mov_b32_e32 v14, s29
	v_add_co_u32_e64 v18, s[2:3], s28, v12
	v_addc_co_u32_e64 v19, s[8:9], v14, v13, s[2:3]
	global_load_dword v12, v[16:17], off
	global_load_dword v14, v[18:19], off
	s_mov_b64 s[38:39], -1
	s_waitcnt vmcnt(0)
	v_cmp_eq_u32_e64 s[8:9], v12, v14
	s_and_saveexec_b64 s[18:19], s[8:9]
	s_cbranch_execz .LBB443_86
; %bb.80:
	v_mov_b32_e32 v12, s29
	v_addc_co_u32_e64 v13, s[2:3], v13, v12, s[2:3]
	v_add_co_u32_e64 v12, s[2:3], 4, v18
	v_mov_b32_e32 v14, s29
	v_addc_co_u32_e64 v13, s[2:3], 0, v13, s[2:3]
	v_addc_co_u32_e32 v15, vcc, v15, v14, vcc
	v_add_co_u32_e32 v14, vcc, 4, v16
	s_add_u32 s2, s26, -1
	v_addc_co_u32_e32 v15, vcc, 0, v15, vcc
	s_addc_u32 s3, s27, -1
	s_mov_b64 s[8:9], 0
	s_mov_b64 s[40:41], 0
                                        ; implicit-def: $sgpr38_sgpr39
	s_branch .LBB443_83
.LBB443_81:                             ;   in Loop: Header=BB443_83 Depth=1
	global_load_dword v16, v[14:15], off
	global_load_dword v17, v[12:13], off
	v_add_co_u32_e32 v12, vcc, 4, v12
	v_addc_co_u32_e32 v13, vcc, 0, v13, vcc
	v_add_co_u32_e32 v14, vcc, 4, v14
	v_addc_co_u32_e32 v15, vcc, 0, v15, vcc
	s_add_u32 s40, s40, 1
	s_addc_u32 s41, s41, 0
	s_andn2_b64 s[38:39], s[38:39], exec
	s_waitcnt vmcnt(0)
	v_cmp_ne_u32_e32 vcc, v16, v17
	s_and_b64 s[42:43], vcc, exec
	s_or_b64 s[38:39], s[38:39], s[42:43]
.LBB443_82:                             ;   in Loop: Header=BB443_83 Depth=1
	s_and_b64 s[42:43], exec, s[38:39]
	s_or_b64 s[8:9], s[42:43], s[8:9]
	v_pk_mov_b32 v[16:17], s[40:41], s[40:41] op_sel:[0,1]
	s_andn2_b64 exec, exec, s[8:9]
	s_cbranch_execz .LBB443_85
.LBB443_83:                             ; =>This Inner Loop Header: Depth=1
	s_or_b64 s[38:39], s[38:39], exec
	s_cmp_eq_u64 s[2:3], s[40:41]
	s_cbranch_scc0 .LBB443_81
; %bb.84:                               ;   in Loop: Header=BB443_83 Depth=1
                                        ; implicit-def: $vgpr12_vgpr13
                                        ; implicit-def: $vgpr14_vgpr15
	s_mov_b64 s[40:41], s[26:27]
	s_branch .LBB443_82
.LBB443_85:
	s_or_b64 exec, exec, s[8:9]
	v_cmp_gt_i64_e32 vcc, s[26:27], v[16:17]
	s_orn2_b64 s[38:39], vcc, exec
.LBB443_86:
	s_or_b64 exec, exec, s[18:19]
.LBB443_87:
	s_and_b64 s[18:19], s[38:39], exec
.LBB443_88:
	s_or_b64 exec, exec, s[36:37]
	v_cmp_gt_u32_e32 vcc, s7, v22
	s_mov_b64 s[36:37], 0
	s_mov_b64 s[38:39], 0
	s_and_saveexec_b64 s[40:41], vcc
	s_cbranch_execz .LBB443_99
; %bb.89:
	s_and_b64 vcc, exec, s[0:1]
	s_mov_b64 s[42:43], 0
	s_cbranch_vccnz .LBB443_98
; %bb.90:
	s_waitcnt lgkmcnt(0)
	v_mul_lo_u32 v14, v9, s26
	v_mul_lo_u32 v15, v8, s27
	v_mad_u64_u32 v[12:13], s[2:3], v8, s26, 0
	v_add3_u32 v13, v13, v15, v14
	v_mul_lo_u32 v14, v3, s26
	v_mul_lo_u32 v15, v2, s27
	v_mad_u64_u32 v[18:19], s[2:3], v2, s26, 0
	v_add3_u32 v19, v19, v15, v14
	v_lshlrev_b64 v[14:15], 2, v[12:13]
	v_mov_b32_e32 v12, s29
	v_add_co_u32_e32 v16, vcc, s28, v14
	v_addc_co_u32_e64 v17, s[2:3], v12, v15, vcc
	v_lshlrev_b64 v[12:13], 2, v[18:19]
	v_mov_b32_e32 v14, s29
	v_add_co_u32_e64 v18, s[2:3], s28, v12
	v_addc_co_u32_e64 v19, s[8:9], v14, v13, s[2:3]
	global_load_dword v12, v[16:17], off
	global_load_dword v14, v[18:19], off
	s_mov_b64 s[42:43], -1
	s_waitcnt vmcnt(0)
	v_cmp_eq_u32_e64 s[8:9], v12, v14
	s_and_saveexec_b64 s[38:39], s[8:9]
	s_cbranch_execz .LBB443_97
; %bb.91:
	v_mov_b32_e32 v12, s29
	v_addc_co_u32_e64 v13, s[2:3], v13, v12, s[2:3]
	v_add_co_u32_e64 v12, s[2:3], 4, v18
	v_mov_b32_e32 v14, s29
	v_addc_co_u32_e64 v13, s[2:3], 0, v13, s[2:3]
	v_addc_co_u32_e32 v15, vcc, v15, v14, vcc
	v_add_co_u32_e32 v14, vcc, 4, v16
	s_add_u32 s2, s26, -1
	v_addc_co_u32_e32 v15, vcc, 0, v15, vcc
	s_addc_u32 s3, s27, -1
	s_mov_b64 s[8:9], 0
	s_mov_b64 s[44:45], 0
                                        ; implicit-def: $sgpr42_sgpr43
	s_branch .LBB443_94
.LBB443_92:                             ;   in Loop: Header=BB443_94 Depth=1
	global_load_dword v16, v[14:15], off
	global_load_dword v17, v[12:13], off
	v_add_co_u32_e32 v12, vcc, 4, v12
	v_addc_co_u32_e32 v13, vcc, 0, v13, vcc
	v_add_co_u32_e32 v14, vcc, 4, v14
	v_addc_co_u32_e32 v15, vcc, 0, v15, vcc
	s_add_u32 s44, s44, 1
	s_addc_u32 s45, s45, 0
	s_andn2_b64 s[42:43], s[42:43], exec
	s_waitcnt vmcnt(0)
	v_cmp_ne_u32_e32 vcc, v16, v17
	s_and_b64 s[46:47], vcc, exec
	s_or_b64 s[42:43], s[42:43], s[46:47]
.LBB443_93:                             ;   in Loop: Header=BB443_94 Depth=1
	s_and_b64 s[46:47], exec, s[42:43]
	s_or_b64 s[8:9], s[46:47], s[8:9]
	v_pk_mov_b32 v[16:17], s[44:45], s[44:45] op_sel:[0,1]
	s_andn2_b64 exec, exec, s[8:9]
	s_cbranch_execz .LBB443_96
.LBB443_94:                             ; =>This Inner Loop Header: Depth=1
	s_or_b64 s[42:43], s[42:43], exec
	s_cmp_eq_u64 s[2:3], s[44:45]
	s_cbranch_scc0 .LBB443_92
; %bb.95:                               ;   in Loop: Header=BB443_94 Depth=1
                                        ; implicit-def: $vgpr12_vgpr13
                                        ; implicit-def: $vgpr14_vgpr15
	s_mov_b64 s[44:45], s[26:27]
	s_branch .LBB443_93
.LBB443_96:
	s_or_b64 exec, exec, s[8:9]
	v_cmp_gt_i64_e32 vcc, s[26:27], v[16:17]
	s_orn2_b64 s[42:43], vcc, exec
.LBB443_97:
	s_or_b64 exec, exec, s[38:39]
.LBB443_98:
	s_and_b64 s[38:39], s[42:43], exec
.LBB443_99:
	s_or_b64 exec, exec, s[40:41]
	v_cmp_gt_u32_e32 vcc, s7, v24
	s_and_saveexec_b64 s[40:41], vcc
	s_cbranch_execz .LBB443_110
; %bb.100:
	s_and_b64 vcc, exec, s[0:1]
	s_mov_b64 s[42:43], 0
	s_cbranch_vccnz .LBB443_109
; %bb.101:
	s_waitcnt lgkmcnt(0)
	v_mul_lo_u32 v14, v7, s26
	v_mul_lo_u32 v15, v6, s27
	v_mad_u64_u32 v[12:13], s[2:3], v6, s26, 0
	v_add3_u32 v13, v13, v15, v14
	v_mul_lo_u32 v14, v9, s26
	v_mul_lo_u32 v15, v8, s27
	v_mad_u64_u32 v[18:19], s[2:3], v8, s26, 0
	v_add3_u32 v19, v19, v15, v14
	v_lshlrev_b64 v[14:15], 2, v[12:13]
	v_mov_b32_e32 v12, s29
	v_add_co_u32_e32 v16, vcc, s28, v14
	v_addc_co_u32_e64 v17, s[2:3], v12, v15, vcc
	v_lshlrev_b64 v[12:13], 2, v[18:19]
	v_mov_b32_e32 v14, s29
	v_add_co_u32_e64 v18, s[2:3], s28, v12
	v_addc_co_u32_e64 v19, s[8:9], v14, v13, s[2:3]
	global_load_dword v12, v[16:17], off
	global_load_dword v14, v[18:19], off
	s_mov_b64 s[42:43], -1
	s_waitcnt vmcnt(0)
	v_cmp_eq_u32_e64 s[8:9], v12, v14
	s_and_saveexec_b64 s[36:37], s[8:9]
	s_cbranch_execz .LBB443_108
; %bb.102:
	v_mov_b32_e32 v12, s29
	v_addc_co_u32_e64 v13, s[2:3], v13, v12, s[2:3]
	v_add_co_u32_e64 v12, s[2:3], 4, v18
	v_mov_b32_e32 v14, s29
	v_addc_co_u32_e64 v13, s[2:3], 0, v13, s[2:3]
	v_addc_co_u32_e32 v15, vcc, v15, v14, vcc
	v_add_co_u32_e32 v14, vcc, 4, v16
	s_add_u32 s2, s26, -1
	v_addc_co_u32_e32 v15, vcc, 0, v15, vcc
	s_addc_u32 s3, s27, -1
	s_mov_b64 s[8:9], 0
	s_mov_b64 s[44:45], 0
                                        ; implicit-def: $sgpr42_sgpr43
	s_branch .LBB443_105
.LBB443_103:                            ;   in Loop: Header=BB443_105 Depth=1
	global_load_dword v16, v[14:15], off
	global_load_dword v17, v[12:13], off
	v_add_co_u32_e32 v12, vcc, 4, v12
	v_addc_co_u32_e32 v13, vcc, 0, v13, vcc
	v_add_co_u32_e32 v14, vcc, 4, v14
	v_addc_co_u32_e32 v15, vcc, 0, v15, vcc
	s_add_u32 s44, s44, 1
	s_addc_u32 s45, s45, 0
	s_andn2_b64 s[42:43], s[42:43], exec
	s_waitcnt vmcnt(0)
	v_cmp_ne_u32_e32 vcc, v16, v17
	s_and_b64 s[46:47], vcc, exec
	s_or_b64 s[42:43], s[42:43], s[46:47]
.LBB443_104:                            ;   in Loop: Header=BB443_105 Depth=1
	s_and_b64 s[46:47], exec, s[42:43]
	s_or_b64 s[8:9], s[46:47], s[8:9]
	v_pk_mov_b32 v[16:17], s[44:45], s[44:45] op_sel:[0,1]
	s_andn2_b64 exec, exec, s[8:9]
	s_cbranch_execz .LBB443_107
.LBB443_105:                            ; =>This Inner Loop Header: Depth=1
	s_or_b64 s[42:43], s[42:43], exec
	s_cmp_eq_u64 s[2:3], s[44:45]
	s_cbranch_scc0 .LBB443_103
; %bb.106:                              ;   in Loop: Header=BB443_105 Depth=1
                                        ; implicit-def: $vgpr12_vgpr13
                                        ; implicit-def: $vgpr14_vgpr15
	s_mov_b64 s[44:45], s[26:27]
	s_branch .LBB443_104
.LBB443_107:
	s_or_b64 exec, exec, s[8:9]
	v_cmp_gt_i64_e32 vcc, s[26:27], v[16:17]
	s_orn2_b64 s[42:43], vcc, exec
.LBB443_108:
	s_or_b64 exec, exec, s[36:37]
.LBB443_109:
	s_and_b64 s[36:37], s[42:43], exec
.LBB443_110:
	s_or_b64 exec, exec, s[40:41]
	v_cmp_ne_u32_e32 vcc, 0, v0
	s_waitcnt lgkmcnt(0)
	v_pk_mov_b32 v[12:13], s[12:13], s[12:13] op_sel:[0,1]
	s_barrier
	s_and_saveexec_b64 s[2:3], vcc
	s_cbranch_execz .LBB443_112
; %bb.111:
	v_add_u32_e32 v12, -8, v21
	ds_read_b64 v[12:13], v12
.LBB443_112:
	s_or_b64 exec, exec, s[2:3]
	v_cndmask_b32_e64 v15, 0, 1, s[18:19]
	v_cndmask_b32_e64 v14, 0, 1, s[38:39]
	;; [unrolled: 1-line block ×3, first 2 shown]
	v_lshlrev_b16_e32 v15, 8, v15
	v_cmp_gt_u32_e32 vcc, s7, v1
	v_lshlrev_b16_e32 v21, 8, v16
	v_or_b32_sdwa v26, v14, v15 dst_sel:WORD_1 dst_unused:UNUSED_PAD src0_sel:DWORD src1_sel:DWORD
	s_mov_b64 s[18:19], 0
	s_and_saveexec_b64 s[8:9], vcc
	s_cbranch_execz .LBB443_123
; %bb.113:
	s_and_b64 vcc, exec, s[0:1]
	s_cbranch_vccnz .LBB443_122
; %bb.114:
	s_waitcnt lgkmcnt(0)
	v_mul_lo_u32 v14, v13, s26
	v_mul_lo_u32 v15, v12, s27
	v_mad_u64_u32 v[12:13], s[0:1], v12, s26, 0
	v_add3_u32 v13, v13, v15, v14
	v_mul_lo_u32 v14, v7, s26
	v_mul_lo_u32 v15, v6, s27
	v_mad_u64_u32 v[18:19], s[0:1], v6, s26, 0
	v_add3_u32 v19, v19, v15, v14
	v_lshlrev_b64 v[14:15], 2, v[12:13]
	v_mov_b32_e32 v12, s29
	v_add_co_u32_e32 v16, vcc, s28, v14
	v_addc_co_u32_e64 v17, s[0:1], v12, v15, vcc
	v_lshlrev_b64 v[12:13], 2, v[18:19]
	v_mov_b32_e32 v14, s29
	v_add_co_u32_e64 v18, s[0:1], s28, v12
	v_addc_co_u32_e64 v19, s[2:3], v14, v13, s[0:1]
	global_load_dword v12, v[16:17], off
	global_load_dword v14, v[18:19], off
	s_mov_b64 s[18:19], -1
	s_waitcnt vmcnt(0)
	v_cmp_eq_u32_e64 s[2:3], v12, v14
	s_and_saveexec_b64 s[12:13], s[2:3]
	s_cbranch_execz .LBB443_121
; %bb.115:
	v_mov_b32_e32 v12, s29
	v_addc_co_u32_e64 v13, s[0:1], v13, v12, s[0:1]
	v_add_co_u32_e64 v12, s[0:1], 4, v18
	v_mov_b32_e32 v14, s29
	v_addc_co_u32_e64 v13, s[0:1], 0, v13, s[0:1]
	v_addc_co_u32_e32 v15, vcc, v15, v14, vcc
	v_add_co_u32_e32 v14, vcc, 4, v16
	s_add_u32 s0, s26, -1
	v_addc_co_u32_e32 v15, vcc, 0, v15, vcc
	s_addc_u32 s1, s27, -1
	s_mov_b64 s[2:3], 0
	s_mov_b64 s[36:37], 0
                                        ; implicit-def: $sgpr18_sgpr19
	s_branch .LBB443_118
.LBB443_116:                            ;   in Loop: Header=BB443_118 Depth=1
	global_load_dword v16, v[14:15], off
	global_load_dword v17, v[12:13], off
	v_add_co_u32_e32 v12, vcc, 4, v12
	v_addc_co_u32_e32 v13, vcc, 0, v13, vcc
	v_add_co_u32_e32 v14, vcc, 4, v14
	v_addc_co_u32_e32 v15, vcc, 0, v15, vcc
	s_add_u32 s36, s36, 1
	s_addc_u32 s37, s37, 0
	s_andn2_b64 s[18:19], s[18:19], exec
	s_waitcnt vmcnt(0)
	v_cmp_ne_u32_e32 vcc, v16, v17
	s_and_b64 s[38:39], vcc, exec
	s_or_b64 s[18:19], s[18:19], s[38:39]
.LBB443_117:                            ;   in Loop: Header=BB443_118 Depth=1
	s_and_b64 s[38:39], exec, s[18:19]
	s_or_b64 s[2:3], s[38:39], s[2:3]
	v_pk_mov_b32 v[16:17], s[36:37], s[36:37] op_sel:[0,1]
	s_andn2_b64 exec, exec, s[2:3]
	s_cbranch_execz .LBB443_120
.LBB443_118:                            ; =>This Inner Loop Header: Depth=1
	s_or_b64 s[18:19], s[18:19], exec
	s_cmp_eq_u64 s[0:1], s[36:37]
	s_cbranch_scc0 .LBB443_116
; %bb.119:                              ;   in Loop: Header=BB443_118 Depth=1
                                        ; implicit-def: $vgpr12_vgpr13
                                        ; implicit-def: $vgpr14_vgpr15
	s_mov_b64 s[36:37], s[26:27]
	s_branch .LBB443_117
.LBB443_120:
	s_or_b64 exec, exec, s[2:3]
	v_cmp_gt_i64_e32 vcc, s[26:27], v[16:17]
	s_orn2_b64 s[18:19], vcc, exec
.LBB443_121:
	s_or_b64 exec, exec, s[12:13]
.LBB443_122:
	s_and_b64 s[18:19], s[18:19], exec
.LBB443_123:
	s_or_b64 exec, exec, s[8:9]
	s_waitcnt lgkmcnt(0)
	v_cndmask_b32_e64 v13, 0, 1, s[14:15]
	v_or_b32_e32 v16, v21, v26
.LBB443_124:
	s_waitcnt lgkmcnt(0)
	s_mov_b64 s[12:13], -1
	s_cbranch_execnz .LBB443_233
.LBB443_125:
	v_lshlrev_b32_e32 v12, 5, v0
	v_sub_u32_e32 v26, v20, v12
	s_mov_b64 s[18:19], 0
	v_cmp_gt_i64_e64 s[14:15], s[26:27], 0
	s_and_b64 vcc, exec, s[34:35]
	ds_write_b64 v26, v[10:11]
	s_cbranch_vccz .LBB443_133
; %bb.126:
	v_mul_lo_u32 v14, v5, s26
	v_mul_lo_u32 v15, v4, s27
	v_mad_u64_u32 v[12:13], s[0:1], v4, s26, 0
	v_add3_u32 v13, v13, v15, v14
	v_cndmask_b32_e64 v14, 0, 1, s[14:15]
	v_cmp_ne_u32_e64 s[0:1], 1, v14
	s_andn2_b64 vcc, exec, s[14:15]
	v_lshlrev_b64 v[12:13], 2, v[12:13]
	s_cbranch_vccnz .LBB443_136
; %bb.127:
	v_mul_lo_u32 v16, v11, s26
	v_mul_lo_u32 v17, v10, s27
	v_mad_u64_u32 v[14:15], s[2:3], v10, s26, 0
	v_add3_u32 v15, v15, v17, v16
	v_mov_b32_e32 v17, s29
	v_add_co_u32_e32 v16, vcc, s28, v12
	v_addc_co_u32_e64 v17, s[2:3], v17, v13, vcc
	v_lshlrev_b64 v[14:15], 2, v[14:15]
	v_mov_b32_e32 v19, s29
	v_add_co_u32_e64 v18, s[2:3], s28, v14
	v_addc_co_u32_e64 v19, s[8:9], v19, v15, s[2:3]
	global_load_dword v14, v[16:17], off
	global_load_dword v20, v[18:19], off
	s_mov_b64 s[18:19], -1
	s_waitcnt vmcnt(0)
	v_cmp_eq_u32_e64 s[8:9], v14, v20
	s_and_saveexec_b64 s[36:37], s[8:9]
	s_cbranch_execz .LBB443_135
; %bb.128:
	v_mov_b32_e32 v14, s29
	v_addc_co_u32_e64 v15, s[2:3], v15, v14, s[2:3]
	v_add_co_u32_e64 v14, s[2:3], 4, v18
	v_mov_b32_e32 v17, s29
	v_addc_co_u32_e64 v15, s[2:3], 0, v15, s[2:3]
	v_addc_co_u32_e32 v17, vcc, v13, v17, vcc
	v_add_co_u32_e32 v16, vcc, 4, v16
	s_add_u32 s2, s26, -1
	v_addc_co_u32_e32 v17, vcc, 0, v17, vcc
	s_addc_u32 s3, s27, -1
	s_mov_b64 s[8:9], 0
	s_mov_b64 s[38:39], 0
                                        ; implicit-def: $sgpr18_sgpr19
	s_branch .LBB443_131
.LBB443_129:                            ;   in Loop: Header=BB443_131 Depth=1
	global_load_dword v18, v[16:17], off
	global_load_dword v19, v[14:15], off
	v_add_co_u32_e32 v14, vcc, 4, v14
	v_addc_co_u32_e32 v15, vcc, 0, v15, vcc
	v_add_co_u32_e32 v16, vcc, 4, v16
	v_addc_co_u32_e32 v17, vcc, 0, v17, vcc
	s_add_u32 s38, s38, 1
	s_addc_u32 s39, s39, 0
	s_andn2_b64 s[18:19], s[18:19], exec
	s_waitcnt vmcnt(0)
	v_cmp_ne_u32_e32 vcc, v18, v19
	s_and_b64 s[40:41], vcc, exec
	s_or_b64 s[18:19], s[18:19], s[40:41]
.LBB443_130:                            ;   in Loop: Header=BB443_131 Depth=1
	s_and_b64 s[40:41], exec, s[18:19]
	s_or_b64 s[8:9], s[40:41], s[8:9]
	v_pk_mov_b32 v[18:19], s[38:39], s[38:39] op_sel:[0,1]
	s_andn2_b64 exec, exec, s[8:9]
	s_cbranch_execz .LBB443_134
.LBB443_131:                            ; =>This Inner Loop Header: Depth=1
	s_or_b64 s[18:19], s[18:19], exec
	s_cmp_eq_u64 s[2:3], s[38:39]
	s_cbranch_scc0 .LBB443_129
; %bb.132:                              ;   in Loop: Header=BB443_131 Depth=1
                                        ; implicit-def: $vgpr14_vgpr15
                                        ; implicit-def: $vgpr16_vgpr17
	s_mov_b64 s[38:39], s[26:27]
	s_branch .LBB443_130
.LBB443_133:
                                        ; implicit-def: $sgpr18_sgpr19
                                        ; implicit-def: $vgpr13
                                        ; implicit-def: $vgpr16
	s_cbranch_execnz .LBB443_175
	s_branch .LBB443_233
.LBB443_134:
	s_or_b64 exec, exec, s[8:9]
	v_cmp_gt_i64_e32 vcc, s[26:27], v[18:19]
	s_orn2_b64 s[18:19], vcc, exec
.LBB443_135:
	s_or_b64 exec, exec, s[36:37]
.LBB443_136:
	v_mul_lo_u32 v16, v3, s26
	v_mul_lo_u32 v17, v2, s27
	v_mad_u64_u32 v[14:15], s[2:3], v2, s26, 0
	v_add3_u32 v15, v15, v17, v16
	s_mov_b64 s[36:37], 0
	s_and_b64 vcc, exec, s[0:1]
	v_lshlrev_b64 v[14:15], 2, v[14:15]
	s_mov_b64 s[38:39], 0
	s_cbranch_vccnz .LBB443_145
; %bb.137:
	v_mov_b32_e32 v17, s29
	v_add_co_u32_e32 v16, vcc, s28, v14
	v_addc_co_u32_e64 v17, s[2:3], v17, v15, vcc
	v_mov_b32_e32 v19, s29
	v_add_co_u32_e64 v18, s[2:3], s28, v12
	v_addc_co_u32_e64 v19, s[8:9], v19, v13, s[2:3]
	global_load_dword v12, v[16:17], off
	global_load_dword v20, v[18:19], off
	s_mov_b64 s[38:39], -1
	s_waitcnt vmcnt(0)
	v_cmp_eq_u32_e64 s[8:9], v12, v20
	s_and_saveexec_b64 s[40:41], s[8:9]
	s_cbranch_execz .LBB443_144
; %bb.138:
	v_mov_b32_e32 v12, s29
	v_addc_co_u32_e64 v13, s[2:3], v13, v12, s[2:3]
	v_add_co_u32_e64 v12, s[2:3], 4, v18
	v_mov_b32_e32 v17, s29
	v_addc_co_u32_e64 v13, s[2:3], 0, v13, s[2:3]
	v_addc_co_u32_e32 v17, vcc, v15, v17, vcc
	v_add_co_u32_e32 v16, vcc, 4, v16
	s_add_u32 s2, s26, -1
	v_addc_co_u32_e32 v17, vcc, 0, v17, vcc
	s_addc_u32 s3, s27, -1
	s_mov_b64 s[8:9], 0
	s_mov_b64 s[42:43], 0
                                        ; implicit-def: $sgpr38_sgpr39
	s_branch .LBB443_141
.LBB443_139:                            ;   in Loop: Header=BB443_141 Depth=1
	global_load_dword v18, v[16:17], off
	global_load_dword v19, v[12:13], off
	v_add_co_u32_e32 v12, vcc, 4, v12
	v_addc_co_u32_e32 v13, vcc, 0, v13, vcc
	v_add_co_u32_e32 v16, vcc, 4, v16
	v_addc_co_u32_e32 v17, vcc, 0, v17, vcc
	s_add_u32 s42, s42, 1
	s_addc_u32 s43, s43, 0
	s_andn2_b64 s[38:39], s[38:39], exec
	s_waitcnt vmcnt(0)
	v_cmp_ne_u32_e32 vcc, v18, v19
	s_and_b64 s[44:45], vcc, exec
	s_or_b64 s[38:39], s[38:39], s[44:45]
.LBB443_140:                            ;   in Loop: Header=BB443_141 Depth=1
	s_and_b64 s[44:45], exec, s[38:39]
	s_or_b64 s[8:9], s[44:45], s[8:9]
	v_pk_mov_b32 v[18:19], s[42:43], s[42:43] op_sel:[0,1]
	s_andn2_b64 exec, exec, s[8:9]
	s_cbranch_execz .LBB443_143
.LBB443_141:                            ; =>This Inner Loop Header: Depth=1
	s_or_b64 s[38:39], s[38:39], exec
	s_cmp_eq_u64 s[2:3], s[42:43]
	s_cbranch_scc0 .LBB443_139
; %bb.142:                              ;   in Loop: Header=BB443_141 Depth=1
                                        ; implicit-def: $vgpr12_vgpr13
                                        ; implicit-def: $vgpr16_vgpr17
	s_mov_b64 s[42:43], s[26:27]
	s_branch .LBB443_140
.LBB443_143:
	s_or_b64 exec, exec, s[8:9]
	v_cmp_gt_i64_e32 vcc, s[26:27], v[18:19]
	s_orn2_b64 s[38:39], vcc, exec
.LBB443_144:
	s_or_b64 exec, exec, s[40:41]
.LBB443_145:
	v_mul_lo_u32 v16, v9, s26
	v_mul_lo_u32 v17, v8, s27
	v_mad_u64_u32 v[12:13], s[2:3], v8, s26, 0
	v_add3_u32 v13, v13, v17, v16
	s_and_b64 vcc, exec, s[0:1]
	v_lshlrev_b64 v[12:13], 2, v[12:13]
	s_cbranch_vccnz .LBB443_154
; %bb.146:
	v_mov_b32_e32 v17, s29
	v_add_co_u32_e32 v16, vcc, s28, v12
	v_addc_co_u32_e64 v17, s[2:3], v17, v13, vcc
	v_mov_b32_e32 v19, s29
	v_add_co_u32_e64 v18, s[2:3], s28, v14
	v_addc_co_u32_e64 v19, s[8:9], v19, v15, s[2:3]
	global_load_dword v14, v[16:17], off
	global_load_dword v20, v[18:19], off
	s_mov_b64 s[36:37], -1
	s_waitcnt vmcnt(0)
	v_cmp_eq_u32_e64 s[8:9], v14, v20
	s_and_saveexec_b64 s[40:41], s[8:9]
	s_cbranch_execz .LBB443_153
; %bb.147:
	v_mov_b32_e32 v14, s29
	v_addc_co_u32_e64 v15, s[2:3], v15, v14, s[2:3]
	v_add_co_u32_e64 v14, s[2:3], 4, v18
	v_mov_b32_e32 v17, s29
	v_addc_co_u32_e64 v15, s[2:3], 0, v15, s[2:3]
	v_addc_co_u32_e32 v17, vcc, v13, v17, vcc
	v_add_co_u32_e32 v16, vcc, 4, v16
	s_add_u32 s2, s26, -1
	v_addc_co_u32_e32 v17, vcc, 0, v17, vcc
	s_addc_u32 s3, s27, -1
	s_mov_b64 s[8:9], 0
	s_mov_b64 s[42:43], 0
                                        ; implicit-def: $sgpr36_sgpr37
	s_branch .LBB443_150
.LBB443_148:                            ;   in Loop: Header=BB443_150 Depth=1
	global_load_dword v18, v[16:17], off
	global_load_dword v19, v[14:15], off
	v_add_co_u32_e32 v14, vcc, 4, v14
	v_addc_co_u32_e32 v15, vcc, 0, v15, vcc
	v_add_co_u32_e32 v16, vcc, 4, v16
	v_addc_co_u32_e32 v17, vcc, 0, v17, vcc
	s_add_u32 s42, s42, 1
	s_addc_u32 s43, s43, 0
	s_andn2_b64 s[36:37], s[36:37], exec
	s_waitcnt vmcnt(0)
	v_cmp_ne_u32_e32 vcc, v18, v19
	s_and_b64 s[44:45], vcc, exec
	s_or_b64 s[36:37], s[36:37], s[44:45]
.LBB443_149:                            ;   in Loop: Header=BB443_150 Depth=1
	s_and_b64 s[44:45], exec, s[36:37]
	s_or_b64 s[8:9], s[44:45], s[8:9]
	v_pk_mov_b32 v[18:19], s[42:43], s[42:43] op_sel:[0,1]
	s_andn2_b64 exec, exec, s[8:9]
	s_cbranch_execz .LBB443_152
.LBB443_150:                            ; =>This Inner Loop Header: Depth=1
	s_or_b64 s[36:37], s[36:37], exec
	s_cmp_eq_u64 s[2:3], s[42:43]
	s_cbranch_scc0 .LBB443_148
; %bb.151:                              ;   in Loop: Header=BB443_150 Depth=1
                                        ; implicit-def: $vgpr14_vgpr15
                                        ; implicit-def: $vgpr16_vgpr17
	s_mov_b64 s[42:43], s[26:27]
	s_branch .LBB443_149
.LBB443_152:
	s_or_b64 exec, exec, s[8:9]
	v_cmp_gt_i64_e32 vcc, s[26:27], v[18:19]
	s_orn2_b64 s[36:37], vcc, exec
.LBB443_153:
	s_or_b64 exec, exec, s[40:41]
.LBB443_154:
	v_mul_lo_u32 v16, v7, s26
	v_mul_lo_u32 v17, v6, s27
	v_mad_u64_u32 v[14:15], s[2:3], v6, s26, 0
	v_add3_u32 v15, v15, v17, v16
	s_and_b64 vcc, exec, s[0:1]
	s_mov_b64 s[42:43], 0
	s_cbranch_vccnz .LBB443_163
; %bb.155:
	v_lshlrev_b64 v[16:17], 2, v[14:15]
	v_mov_b32_e32 v19, s29
	v_add_co_u32_e32 v18, vcc, s28, v16
	v_addc_co_u32_e64 v19, s[2:3], v19, v17, vcc
	v_mov_b32_e32 v16, s29
	v_add_co_u32_e64 v20, s[2:3], s28, v12
	v_addc_co_u32_e64 v21, s[8:9], v16, v13, s[2:3]
	global_load_dword v12, v[18:19], off
	global_load_dword v16, v[20:21], off
	s_mov_b64 s[42:43], -1
	s_waitcnt vmcnt(0)
	v_cmp_eq_u32_e64 s[8:9], v12, v16
	s_and_saveexec_b64 s[40:41], s[8:9]
	s_cbranch_execz .LBB443_162
; %bb.156:
	v_mov_b32_e32 v12, s29
	v_addc_co_u32_e64 v13, s[2:3], v13, v12, s[2:3]
	v_add_co_u32_e64 v12, s[2:3], 4, v20
	v_mov_b32_e32 v16, s29
	v_addc_co_u32_e64 v13, s[2:3], 0, v13, s[2:3]
	v_addc_co_u32_e32 v17, vcc, v17, v16, vcc
	v_add_co_u32_e32 v16, vcc, 4, v18
	s_add_u32 s2, s26, -1
	v_addc_co_u32_e32 v17, vcc, 0, v17, vcc
	s_addc_u32 s3, s27, -1
	s_mov_b64 s[8:9], 0
	s_mov_b64 s[44:45], 0
                                        ; implicit-def: $sgpr42_sgpr43
	s_branch .LBB443_159
.LBB443_157:                            ;   in Loop: Header=BB443_159 Depth=1
	global_load_dword v18, v[16:17], off
	global_load_dword v19, v[12:13], off
	v_add_co_u32_e32 v12, vcc, 4, v12
	v_addc_co_u32_e32 v13, vcc, 0, v13, vcc
	v_add_co_u32_e32 v16, vcc, 4, v16
	v_addc_co_u32_e32 v17, vcc, 0, v17, vcc
	s_add_u32 s44, s44, 1
	s_addc_u32 s45, s45, 0
	s_andn2_b64 s[42:43], s[42:43], exec
	s_waitcnt vmcnt(0)
	v_cmp_ne_u32_e32 vcc, v18, v19
	s_and_b64 s[46:47], vcc, exec
	s_or_b64 s[42:43], s[42:43], s[46:47]
.LBB443_158:                            ;   in Loop: Header=BB443_159 Depth=1
	s_and_b64 s[46:47], exec, s[42:43]
	s_or_b64 s[8:9], s[46:47], s[8:9]
	v_pk_mov_b32 v[18:19], s[44:45], s[44:45] op_sel:[0,1]
	s_andn2_b64 exec, exec, s[8:9]
	s_cbranch_execz .LBB443_161
.LBB443_159:                            ; =>This Inner Loop Header: Depth=1
	s_or_b64 s[42:43], s[42:43], exec
	s_cmp_eq_u64 s[2:3], s[44:45]
	s_cbranch_scc0 .LBB443_157
; %bb.160:                              ;   in Loop: Header=BB443_159 Depth=1
                                        ; implicit-def: $vgpr12_vgpr13
                                        ; implicit-def: $vgpr16_vgpr17
	s_mov_b64 s[44:45], s[26:27]
	s_branch .LBB443_158
.LBB443_161:
	s_or_b64 exec, exec, s[8:9]
	v_cmp_gt_i64_e32 vcc, s[26:27], v[18:19]
	s_orn2_b64 s[42:43], vcc, exec
.LBB443_162:
	s_or_b64 exec, exec, s[40:41]
.LBB443_163:
	v_cndmask_b32_e64 v13, 0, 1, s[38:39]
	v_cndmask_b32_e64 v16, 0, 1, s[42:43]
	;; [unrolled: 1-line block ×3, first 2 shown]
	v_lshlrev_b16_e32 v16, 8, v16
	v_lshlrev_b16_e32 v13, 8, v13
	v_or_b32_e32 v16, 1, v16
	v_or_b32_sdwa v12, v12, v13 dst_sel:WORD_1 dst_unused:UNUSED_PAD src0_sel:DWORD src1_sel:DWORD
	v_or_b32_sdwa v12, v16, v12 dst_sel:DWORD dst_unused:UNUSED_PAD src0_sel:WORD_0 src1_sel:DWORD
	v_cndmask_b32_e64 v13, 0, 1, s[18:19]
	v_cmp_ne_u32_e32 vcc, 0, v0
	s_waitcnt lgkmcnt(0)
	s_barrier
	s_waitcnt lgkmcnt(0)
                                        ; implicit-def: $sgpr18_sgpr19
                                        ; implicit-def: $vgpr16
	s_and_saveexec_b64 s[2:3], vcc
	s_xor_b64 s[8:9], exec, s[2:3]
	s_cbranch_execz .LBB443_174
; %bb.164:
	s_mov_b32 s33, 0x3020104
	s_and_b64 vcc, exec, s[0:1]
	s_mov_b64 s[36:37], 0
	s_cbranch_vccnz .LBB443_173
; %bb.165:
	v_add_u32_e32 v16, -8, v26
	ds_read_b64 v[16:17], v16
	v_mov_b32_e32 v19, s29
	v_lshlrev_b64 v[14:15], 2, v[14:15]
	s_mov_b64 s[36:37], -1
	s_waitcnt lgkmcnt(0)
	v_mul_lo_u32 v18, v17, s26
	v_mul_lo_u32 v20, v16, s27
	v_mad_u64_u32 v[16:17], s[0:1], v16, s26, 0
	v_add3_u32 v17, v17, v20, v18
	v_lshlrev_b64 v[16:17], 2, v[16:17]
	v_add_co_u32_e32 v18, vcc, s28, v16
	v_addc_co_u32_e64 v19, s[0:1], v19, v17, vcc
	v_mov_b32_e32 v16, s29
	v_add_co_u32_e64 v20, s[0:1], s28, v14
	v_addc_co_u32_e64 v21, s[2:3], v16, v15, s[0:1]
	global_load_dword v14, v[18:19], off
	global_load_dword v16, v[20:21], off
	s_waitcnt vmcnt(0)
	v_cmp_eq_u32_e64 s[2:3], v14, v16
	s_and_saveexec_b64 s[18:19], s[2:3]
	s_cbranch_execz .LBB443_172
; %bb.166:
	v_mov_b32_e32 v14, s29
	v_addc_co_u32_e64 v15, s[0:1], v15, v14, s[0:1]
	v_add_co_u32_e64 v14, s[0:1], 4, v20
	v_mov_b32_e32 v16, s29
	v_addc_co_u32_e64 v15, s[0:1], 0, v15, s[0:1]
	v_addc_co_u32_e32 v17, vcc, v17, v16, vcc
	v_add_co_u32_e32 v16, vcc, 4, v18
	s_add_u32 s0, s26, -1
	v_addc_co_u32_e32 v17, vcc, 0, v17, vcc
	s_addc_u32 s1, s27, -1
	s_mov_b64 s[2:3], 0
	s_mov_b64 s[38:39], 0
                                        ; implicit-def: $sgpr36_sgpr37
	s_branch .LBB443_169
.LBB443_167:                            ;   in Loop: Header=BB443_169 Depth=1
	global_load_dword v18, v[16:17], off
	global_load_dword v19, v[14:15], off
	v_add_co_u32_e32 v14, vcc, 4, v14
	v_addc_co_u32_e32 v15, vcc, 0, v15, vcc
	v_add_co_u32_e32 v16, vcc, 4, v16
	v_addc_co_u32_e32 v17, vcc, 0, v17, vcc
	s_add_u32 s38, s38, 1
	s_addc_u32 s39, s39, 0
	s_andn2_b64 s[36:37], s[36:37], exec
	s_waitcnt vmcnt(0)
	v_cmp_ne_u32_e32 vcc, v18, v19
	s_and_b64 s[40:41], vcc, exec
	s_or_b64 s[36:37], s[36:37], s[40:41]
.LBB443_168:                            ;   in Loop: Header=BB443_169 Depth=1
	s_and_b64 s[40:41], exec, s[36:37]
	s_or_b64 s[2:3], s[40:41], s[2:3]
	v_pk_mov_b32 v[18:19], s[38:39], s[38:39] op_sel:[0,1]
	s_andn2_b64 exec, exec, s[2:3]
	s_cbranch_execz .LBB443_171
.LBB443_169:                            ; =>This Inner Loop Header: Depth=1
	s_or_b64 s[36:37], s[36:37], exec
	s_cmp_eq_u64 s[0:1], s[38:39]
	s_cbranch_scc0 .LBB443_167
; %bb.170:                              ;   in Loop: Header=BB443_169 Depth=1
                                        ; implicit-def: $vgpr14_vgpr15
                                        ; implicit-def: $vgpr16_vgpr17
	s_mov_b64 s[38:39], s[26:27]
	s_branch .LBB443_168
.LBB443_171:
	s_or_b64 exec, exec, s[2:3]
	v_cmp_gt_i64_e32 vcc, s[26:27], v[18:19]
	s_orn2_b64 s[36:37], vcc, exec
.LBB443_172:
	s_or_b64 exec, exec, s[18:19]
.LBB443_173:
	v_perm_b32 v16, v12, v12, s33
	s_and_b64 s[18:19], s[36:37], exec
	s_or_b64 s[12:13], s[12:13], exec
.LBB443_174:
	s_or_b64 exec, exec, s[8:9]
	s_branch .LBB443_233
.LBB443_175:
	v_cmp_gt_u32_e32 vcc, s7, v23
	s_mov_b64 s[18:19], 0
	s_mov_b64 s[8:9], 0
	s_and_saveexec_b64 s[36:37], vcc
	s_cbranch_execz .LBB443_186
; %bb.176:
	s_andn2_b64 vcc, exec, s[14:15]
	s_mov_b64 s[38:39], 0
	s_cbranch_vccnz .LBB443_185
; %bb.177:
	v_mul_lo_u32 v14, v5, s26
	v_mul_lo_u32 v15, v4, s27
	v_mad_u64_u32 v[12:13], s[0:1], v4, s26, 0
	v_add3_u32 v13, v13, v15, v14
	v_mul_lo_u32 v14, v11, s26
	v_mul_lo_u32 v15, v10, s27
	v_mad_u64_u32 v[18:19], s[0:1], v10, s26, 0
	v_add3_u32 v19, v19, v15, v14
	v_lshlrev_b64 v[14:15], 2, v[12:13]
	v_mov_b32_e32 v12, s29
	v_add_co_u32_e32 v16, vcc, s28, v14
	v_addc_co_u32_e64 v17, s[0:1], v12, v15, vcc
	v_lshlrev_b64 v[12:13], 2, v[18:19]
	v_mov_b32_e32 v14, s29
	v_add_co_u32_e64 v18, s[0:1], s28, v12
	v_addc_co_u32_e64 v19, s[2:3], v14, v13, s[0:1]
	global_load_dword v12, v[16:17], off
	global_load_dword v14, v[18:19], off
	s_mov_b64 s[38:39], -1
	s_waitcnt vmcnt(0)
	v_cmp_eq_u32_e64 s[2:3], v12, v14
	s_and_saveexec_b64 s[8:9], s[2:3]
	s_cbranch_execz .LBB443_184
; %bb.178:
	v_mov_b32_e32 v12, s29
	v_addc_co_u32_e64 v13, s[0:1], v13, v12, s[0:1]
	v_add_co_u32_e64 v12, s[0:1], 4, v18
	v_mov_b32_e32 v14, s29
	v_addc_co_u32_e64 v13, s[0:1], 0, v13, s[0:1]
	v_addc_co_u32_e32 v15, vcc, v15, v14, vcc
	v_add_co_u32_e32 v14, vcc, 4, v16
	s_add_u32 s0, s26, -1
	v_addc_co_u32_e32 v15, vcc, 0, v15, vcc
	s_addc_u32 s1, s27, -1
	s_mov_b64 s[2:3], 0
	s_mov_b64 s[40:41], 0
                                        ; implicit-def: $sgpr38_sgpr39
	s_branch .LBB443_181
.LBB443_179:                            ;   in Loop: Header=BB443_181 Depth=1
	global_load_dword v16, v[14:15], off
	global_load_dword v17, v[12:13], off
	v_add_co_u32_e32 v12, vcc, 4, v12
	v_addc_co_u32_e32 v13, vcc, 0, v13, vcc
	v_add_co_u32_e32 v14, vcc, 4, v14
	v_addc_co_u32_e32 v15, vcc, 0, v15, vcc
	s_add_u32 s40, s40, 1
	s_addc_u32 s41, s41, 0
	s_andn2_b64 s[38:39], s[38:39], exec
	s_waitcnt vmcnt(0)
	v_cmp_ne_u32_e32 vcc, v16, v17
	s_and_b64 s[42:43], vcc, exec
	s_or_b64 s[38:39], s[38:39], s[42:43]
.LBB443_180:                            ;   in Loop: Header=BB443_181 Depth=1
	s_and_b64 s[42:43], exec, s[38:39]
	s_or_b64 s[2:3], s[42:43], s[2:3]
	v_pk_mov_b32 v[16:17], s[40:41], s[40:41] op_sel:[0,1]
	s_andn2_b64 exec, exec, s[2:3]
	s_cbranch_execz .LBB443_183
.LBB443_181:                            ; =>This Inner Loop Header: Depth=1
	s_or_b64 s[38:39], s[38:39], exec
	s_cmp_eq_u64 s[0:1], s[40:41]
	s_cbranch_scc0 .LBB443_179
; %bb.182:                              ;   in Loop: Header=BB443_181 Depth=1
                                        ; implicit-def: $vgpr12_vgpr13
                                        ; implicit-def: $vgpr14_vgpr15
	s_mov_b64 s[40:41], s[26:27]
	s_branch .LBB443_180
.LBB443_183:
	s_or_b64 exec, exec, s[2:3]
	v_cmp_gt_i64_e32 vcc, s[26:27], v[16:17]
	s_orn2_b64 s[38:39], vcc, exec
.LBB443_184:
	s_or_b64 exec, exec, s[8:9]
.LBB443_185:
	s_and_b64 s[8:9], s[38:39], exec
.LBB443_186:
	s_or_b64 exec, exec, s[36:37]
	v_cmp_gt_u32_e32 vcc, s7, v25
	s_and_saveexec_b64 s[36:37], vcc
	s_cbranch_execz .LBB443_197
; %bb.187:
	s_andn2_b64 vcc, exec, s[14:15]
	s_mov_b64 s[38:39], 0
	s_cbranch_vccnz .LBB443_196
; %bb.188:
	v_mul_lo_u32 v14, v3, s26
	v_mul_lo_u32 v15, v2, s27
	v_mad_u64_u32 v[12:13], s[0:1], v2, s26, 0
	v_add3_u32 v13, v13, v15, v14
	v_mul_lo_u32 v14, v5, s26
	v_mul_lo_u32 v15, v4, s27
	v_mad_u64_u32 v[18:19], s[0:1], v4, s26, 0
	v_add3_u32 v19, v19, v15, v14
	v_lshlrev_b64 v[14:15], 2, v[12:13]
	v_mov_b32_e32 v12, s29
	v_add_co_u32_e32 v16, vcc, s28, v14
	v_addc_co_u32_e64 v17, s[0:1], v12, v15, vcc
	v_lshlrev_b64 v[12:13], 2, v[18:19]
	v_mov_b32_e32 v14, s29
	v_add_co_u32_e64 v18, s[0:1], s28, v12
	v_addc_co_u32_e64 v19, s[2:3], v14, v13, s[0:1]
	global_load_dword v12, v[16:17], off
	global_load_dword v14, v[18:19], off
	s_mov_b64 s[38:39], -1
	s_waitcnt vmcnt(0)
	v_cmp_eq_u32_e64 s[2:3], v12, v14
	s_and_saveexec_b64 s[18:19], s[2:3]
	s_cbranch_execz .LBB443_195
; %bb.189:
	v_mov_b32_e32 v12, s29
	v_addc_co_u32_e64 v13, s[0:1], v13, v12, s[0:1]
	v_add_co_u32_e64 v12, s[0:1], 4, v18
	v_mov_b32_e32 v14, s29
	v_addc_co_u32_e64 v13, s[0:1], 0, v13, s[0:1]
	v_addc_co_u32_e32 v15, vcc, v15, v14, vcc
	v_add_co_u32_e32 v14, vcc, 4, v16
	s_add_u32 s0, s26, -1
	v_addc_co_u32_e32 v15, vcc, 0, v15, vcc
	s_addc_u32 s1, s27, -1
	s_mov_b64 s[2:3], 0
	s_mov_b64 s[40:41], 0
                                        ; implicit-def: $sgpr38_sgpr39
	s_branch .LBB443_192
.LBB443_190:                            ;   in Loop: Header=BB443_192 Depth=1
	global_load_dword v16, v[14:15], off
	global_load_dword v17, v[12:13], off
	v_add_co_u32_e32 v12, vcc, 4, v12
	v_addc_co_u32_e32 v13, vcc, 0, v13, vcc
	v_add_co_u32_e32 v14, vcc, 4, v14
	v_addc_co_u32_e32 v15, vcc, 0, v15, vcc
	s_add_u32 s40, s40, 1
	s_addc_u32 s41, s41, 0
	s_andn2_b64 s[38:39], s[38:39], exec
	s_waitcnt vmcnt(0)
	v_cmp_ne_u32_e32 vcc, v16, v17
	s_and_b64 s[42:43], vcc, exec
	s_or_b64 s[38:39], s[38:39], s[42:43]
.LBB443_191:                            ;   in Loop: Header=BB443_192 Depth=1
	s_and_b64 s[42:43], exec, s[38:39]
	s_or_b64 s[2:3], s[42:43], s[2:3]
	v_pk_mov_b32 v[16:17], s[40:41], s[40:41] op_sel:[0,1]
	s_andn2_b64 exec, exec, s[2:3]
	s_cbranch_execz .LBB443_194
.LBB443_192:                            ; =>This Inner Loop Header: Depth=1
	s_or_b64 s[38:39], s[38:39], exec
	s_cmp_eq_u64 s[0:1], s[40:41]
	s_cbranch_scc0 .LBB443_190
; %bb.193:                              ;   in Loop: Header=BB443_192 Depth=1
                                        ; implicit-def: $vgpr12_vgpr13
                                        ; implicit-def: $vgpr14_vgpr15
	s_mov_b64 s[40:41], s[26:27]
	s_branch .LBB443_191
.LBB443_194:
	s_or_b64 exec, exec, s[2:3]
	v_cmp_gt_i64_e32 vcc, s[26:27], v[16:17]
	s_orn2_b64 s[38:39], vcc, exec
.LBB443_195:
	s_or_b64 exec, exec, s[18:19]
.LBB443_196:
	s_and_b64 s[18:19], s[38:39], exec
.LBB443_197:
	s_or_b64 exec, exec, s[36:37]
	v_cmp_gt_u32_e32 vcc, s7, v22
	s_mov_b64 s[36:37], 0
	s_mov_b64 s[38:39], 0
	s_and_saveexec_b64 s[40:41], vcc
	s_cbranch_execz .LBB443_208
; %bb.198:
	s_andn2_b64 vcc, exec, s[14:15]
	s_mov_b64 s[42:43], 0
	s_cbranch_vccnz .LBB443_207
; %bb.199:
	v_mul_lo_u32 v14, v9, s26
	v_mul_lo_u32 v15, v8, s27
	v_mad_u64_u32 v[12:13], s[0:1], v8, s26, 0
	v_add3_u32 v13, v13, v15, v14
	v_mul_lo_u32 v14, v3, s26
	v_mul_lo_u32 v15, v2, s27
	v_mad_u64_u32 v[18:19], s[0:1], v2, s26, 0
	v_add3_u32 v19, v19, v15, v14
	v_lshlrev_b64 v[14:15], 2, v[12:13]
	v_mov_b32_e32 v12, s29
	v_add_co_u32_e32 v16, vcc, s28, v14
	v_addc_co_u32_e64 v17, s[0:1], v12, v15, vcc
	v_lshlrev_b64 v[12:13], 2, v[18:19]
	v_mov_b32_e32 v14, s29
	v_add_co_u32_e64 v18, s[0:1], s28, v12
	v_addc_co_u32_e64 v19, s[2:3], v14, v13, s[0:1]
	global_load_dword v12, v[16:17], off
	global_load_dword v14, v[18:19], off
	s_mov_b64 s[42:43], -1
	s_waitcnt vmcnt(0)
	v_cmp_eq_u32_e64 s[2:3], v12, v14
	s_and_saveexec_b64 s[38:39], s[2:3]
	s_cbranch_execz .LBB443_206
; %bb.200:
	v_mov_b32_e32 v12, s29
	v_addc_co_u32_e64 v13, s[0:1], v13, v12, s[0:1]
	v_add_co_u32_e64 v12, s[0:1], 4, v18
	v_mov_b32_e32 v14, s29
	v_addc_co_u32_e64 v13, s[0:1], 0, v13, s[0:1]
	v_addc_co_u32_e32 v15, vcc, v15, v14, vcc
	v_add_co_u32_e32 v14, vcc, 4, v16
	s_add_u32 s0, s26, -1
	v_addc_co_u32_e32 v15, vcc, 0, v15, vcc
	s_addc_u32 s1, s27, -1
	s_mov_b64 s[2:3], 0
	s_mov_b64 s[44:45], 0
                                        ; implicit-def: $sgpr42_sgpr43
	s_branch .LBB443_203
.LBB443_201:                            ;   in Loop: Header=BB443_203 Depth=1
	global_load_dword v16, v[14:15], off
	global_load_dword v17, v[12:13], off
	v_add_co_u32_e32 v12, vcc, 4, v12
	v_addc_co_u32_e32 v13, vcc, 0, v13, vcc
	v_add_co_u32_e32 v14, vcc, 4, v14
	v_addc_co_u32_e32 v15, vcc, 0, v15, vcc
	s_add_u32 s44, s44, 1
	s_addc_u32 s45, s45, 0
	s_andn2_b64 s[42:43], s[42:43], exec
	s_waitcnt vmcnt(0)
	v_cmp_ne_u32_e32 vcc, v16, v17
	s_and_b64 s[46:47], vcc, exec
	s_or_b64 s[42:43], s[42:43], s[46:47]
.LBB443_202:                            ;   in Loop: Header=BB443_203 Depth=1
	s_and_b64 s[46:47], exec, s[42:43]
	s_or_b64 s[2:3], s[46:47], s[2:3]
	v_pk_mov_b32 v[16:17], s[44:45], s[44:45] op_sel:[0,1]
	s_andn2_b64 exec, exec, s[2:3]
	s_cbranch_execz .LBB443_205
.LBB443_203:                            ; =>This Inner Loop Header: Depth=1
	s_or_b64 s[42:43], s[42:43], exec
	s_cmp_eq_u64 s[0:1], s[44:45]
	s_cbranch_scc0 .LBB443_201
; %bb.204:                              ;   in Loop: Header=BB443_203 Depth=1
                                        ; implicit-def: $vgpr12_vgpr13
                                        ; implicit-def: $vgpr14_vgpr15
	s_mov_b64 s[44:45], s[26:27]
	s_branch .LBB443_202
.LBB443_205:
	s_or_b64 exec, exec, s[2:3]
	v_cmp_gt_i64_e32 vcc, s[26:27], v[16:17]
	s_orn2_b64 s[42:43], vcc, exec
.LBB443_206:
	s_or_b64 exec, exec, s[38:39]
.LBB443_207:
	s_and_b64 s[38:39], s[42:43], exec
.LBB443_208:
	s_or_b64 exec, exec, s[40:41]
	v_cmp_gt_u32_e32 vcc, s7, v24
	s_and_saveexec_b64 s[40:41], vcc
	s_cbranch_execz .LBB443_219
; %bb.209:
	s_andn2_b64 vcc, exec, s[14:15]
	s_mov_b64 s[42:43], 0
	s_cbranch_vccnz .LBB443_218
; %bb.210:
	v_mul_lo_u32 v14, v7, s26
	v_mul_lo_u32 v15, v6, s27
	v_mad_u64_u32 v[12:13], s[0:1], v6, s26, 0
	v_add3_u32 v13, v13, v15, v14
	v_mul_lo_u32 v14, v9, s26
	v_mul_lo_u32 v15, v8, s27
	v_mad_u64_u32 v[18:19], s[0:1], v8, s26, 0
	v_add3_u32 v19, v19, v15, v14
	v_lshlrev_b64 v[14:15], 2, v[12:13]
	v_mov_b32_e32 v12, s29
	v_add_co_u32_e32 v16, vcc, s28, v14
	v_addc_co_u32_e64 v17, s[0:1], v12, v15, vcc
	v_lshlrev_b64 v[12:13], 2, v[18:19]
	v_mov_b32_e32 v14, s29
	v_add_co_u32_e64 v18, s[0:1], s28, v12
	v_addc_co_u32_e64 v19, s[2:3], v14, v13, s[0:1]
	global_load_dword v12, v[16:17], off
	global_load_dword v14, v[18:19], off
	s_mov_b64 s[42:43], -1
	s_waitcnt vmcnt(0)
	v_cmp_eq_u32_e64 s[2:3], v12, v14
	s_and_saveexec_b64 s[36:37], s[2:3]
	s_cbranch_execz .LBB443_217
; %bb.211:
	v_mov_b32_e32 v12, s29
	v_addc_co_u32_e64 v13, s[0:1], v13, v12, s[0:1]
	v_add_co_u32_e64 v12, s[0:1], 4, v18
	v_mov_b32_e32 v14, s29
	v_addc_co_u32_e64 v13, s[0:1], 0, v13, s[0:1]
	v_addc_co_u32_e32 v15, vcc, v15, v14, vcc
	v_add_co_u32_e32 v14, vcc, 4, v16
	s_add_u32 s0, s26, -1
	v_addc_co_u32_e32 v15, vcc, 0, v15, vcc
	s_addc_u32 s1, s27, -1
	s_mov_b64 s[2:3], 0
	s_mov_b64 s[44:45], 0
                                        ; implicit-def: $sgpr42_sgpr43
	s_branch .LBB443_214
.LBB443_212:                            ;   in Loop: Header=BB443_214 Depth=1
	global_load_dword v16, v[14:15], off
	global_load_dword v17, v[12:13], off
	v_add_co_u32_e32 v12, vcc, 4, v12
	v_addc_co_u32_e32 v13, vcc, 0, v13, vcc
	v_add_co_u32_e32 v14, vcc, 4, v14
	v_addc_co_u32_e32 v15, vcc, 0, v15, vcc
	s_add_u32 s44, s44, 1
	s_addc_u32 s45, s45, 0
	s_andn2_b64 s[42:43], s[42:43], exec
	s_waitcnt vmcnt(0)
	v_cmp_ne_u32_e32 vcc, v16, v17
	s_and_b64 s[46:47], vcc, exec
	s_or_b64 s[42:43], s[42:43], s[46:47]
.LBB443_213:                            ;   in Loop: Header=BB443_214 Depth=1
	s_and_b64 s[46:47], exec, s[42:43]
	s_or_b64 s[2:3], s[46:47], s[2:3]
	v_pk_mov_b32 v[16:17], s[44:45], s[44:45] op_sel:[0,1]
	s_andn2_b64 exec, exec, s[2:3]
	s_cbranch_execz .LBB443_216
.LBB443_214:                            ; =>This Inner Loop Header: Depth=1
	s_or_b64 s[42:43], s[42:43], exec
	s_cmp_eq_u64 s[0:1], s[44:45]
	s_cbranch_scc0 .LBB443_212
; %bb.215:                              ;   in Loop: Header=BB443_214 Depth=1
                                        ; implicit-def: $vgpr12_vgpr13
                                        ; implicit-def: $vgpr14_vgpr15
	s_mov_b64 s[44:45], s[26:27]
	s_branch .LBB443_213
.LBB443_216:
	s_or_b64 exec, exec, s[2:3]
	v_cmp_gt_i64_e32 vcc, s[26:27], v[16:17]
	s_orn2_b64 s[42:43], vcc, exec
.LBB443_217:
	s_or_b64 exec, exec, s[36:37]
.LBB443_218:
	s_and_b64 s[36:37], s[42:43], exec
.LBB443_219:
	s_or_b64 exec, exec, s[40:41]
	v_cndmask_b32_e64 v13, 0, 1, s[18:19]
	v_cndmask_b32_e64 v14, 0, 1, s[36:37]
	;; [unrolled: 1-line block ×3, first 2 shown]
	v_lshlrev_b16_e32 v14, 8, v14
	v_lshlrev_b16_e32 v13, 8, v13
	v_or_b32_e32 v14, 1, v14
	v_or_b32_sdwa v12, v12, v13 dst_sel:WORD_1 dst_unused:UNUSED_PAD src0_sel:DWORD src1_sel:DWORD
	v_or_b32_sdwa v12, v14, v12 dst_sel:DWORD dst_unused:UNUSED_PAD src0_sel:WORD_0 src1_sel:DWORD
	v_cndmask_b32_e64 v13, 0, 1, s[8:9]
	v_cmp_ne_u32_e32 vcc, 0, v0
	s_waitcnt lgkmcnt(0)
	s_barrier
	s_waitcnt lgkmcnt(0)
                                        ; implicit-def: $sgpr18_sgpr19
                                        ; implicit-def: $vgpr16
	s_and_saveexec_b64 s[8:9], vcc
	s_cbranch_execz .LBB443_232
; %bb.220:
	v_cmp_gt_u32_e32 vcc, s7, v1
	s_mov_b32 s33, 0x3020104
	s_mov_b64 s[0:1], 0
	s_and_saveexec_b64 s[18:19], vcc
	s_cbranch_execz .LBB443_231
; %bb.221:
	s_andn2_b64 vcc, exec, s[14:15]
	s_mov_b64 s[36:37], 0
	s_cbranch_vccnz .LBB443_230
; %bb.222:
	v_add_u32_e32 v14, -8, v26
	ds_read_b64 v[14:15], v14
	v_mul_lo_u32 v16, v7, s26
	v_mad_u64_u32 v[20:21], s[0:1], v6, s26, 0
	s_mov_b64 s[36:37], -1
	s_waitcnt lgkmcnt(0)
	v_mul_lo_u32 v17, v15, s26
	v_mul_lo_u32 v18, v14, s27
	v_mad_u64_u32 v[14:15], s[0:1], v14, s26, 0
	v_add3_u32 v15, v15, v18, v17
	v_mul_lo_u32 v17, v6, s27
	v_add3_u32 v21, v21, v17, v16
	v_lshlrev_b64 v[16:17], 2, v[14:15]
	v_mov_b32_e32 v14, s29
	v_add_co_u32_e32 v18, vcc, s28, v16
	v_addc_co_u32_e64 v19, s[0:1], v14, v17, vcc
	v_lshlrev_b64 v[14:15], 2, v[20:21]
	v_mov_b32_e32 v16, s29
	v_add_co_u32_e64 v20, s[0:1], s28, v14
	v_addc_co_u32_e64 v21, s[2:3], v16, v15, s[0:1]
	global_load_dword v14, v[18:19], off
	global_load_dword v16, v[20:21], off
	s_waitcnt vmcnt(0)
	v_cmp_eq_u32_e64 s[2:3], v14, v16
	s_and_saveexec_b64 s[14:15], s[2:3]
	s_cbranch_execz .LBB443_229
; %bb.223:
	v_mov_b32_e32 v14, s29
	v_addc_co_u32_e64 v15, s[0:1], v15, v14, s[0:1]
	v_add_co_u32_e64 v14, s[0:1], 4, v20
	v_mov_b32_e32 v16, s29
	v_addc_co_u32_e64 v15, s[0:1], 0, v15, s[0:1]
	v_addc_co_u32_e32 v17, vcc, v17, v16, vcc
	v_add_co_u32_e32 v16, vcc, 4, v18
	s_add_u32 s0, s26, -1
	v_addc_co_u32_e32 v17, vcc, 0, v17, vcc
	s_addc_u32 s1, s27, -1
	s_mov_b64 s[2:3], 0
	s_mov_b64 s[36:37], 0
                                        ; implicit-def: $sgpr28_sgpr29
	s_branch .LBB443_226
.LBB443_224:                            ;   in Loop: Header=BB443_226 Depth=1
	global_load_dword v18, v[16:17], off
	global_load_dword v19, v[14:15], off
	v_add_co_u32_e32 v14, vcc, 4, v14
	v_addc_co_u32_e32 v15, vcc, 0, v15, vcc
	v_add_co_u32_e32 v16, vcc, 4, v16
	v_addc_co_u32_e32 v17, vcc, 0, v17, vcc
	s_add_u32 s36, s36, 1
	s_addc_u32 s37, s37, 0
	s_andn2_b64 s[28:29], s[28:29], exec
	s_waitcnt vmcnt(0)
	v_cmp_ne_u32_e32 vcc, v18, v19
	s_and_b64 s[38:39], vcc, exec
	s_or_b64 s[28:29], s[28:29], s[38:39]
.LBB443_225:                            ;   in Loop: Header=BB443_226 Depth=1
	s_and_b64 s[38:39], exec, s[28:29]
	s_or_b64 s[2:3], s[38:39], s[2:3]
	v_pk_mov_b32 v[18:19], s[36:37], s[36:37] op_sel:[0,1]
	s_andn2_b64 exec, exec, s[2:3]
	s_cbranch_execz .LBB443_228
.LBB443_226:                            ; =>This Inner Loop Header: Depth=1
	s_or_b64 s[28:29], s[28:29], exec
	s_cmp_eq_u64 s[0:1], s[36:37]
	s_cbranch_scc0 .LBB443_224
; %bb.227:                              ;   in Loop: Header=BB443_226 Depth=1
                                        ; implicit-def: $vgpr14_vgpr15
                                        ; implicit-def: $vgpr16_vgpr17
	s_mov_b64 s[36:37], s[26:27]
	s_branch .LBB443_225
.LBB443_228:
	s_or_b64 exec, exec, s[2:3]
	v_cmp_gt_i64_e32 vcc, s[26:27], v[18:19]
	s_orn2_b64 s[36:37], vcc, exec
.LBB443_229:
	s_or_b64 exec, exec, s[14:15]
.LBB443_230:
	s_and_b64 s[0:1], s[36:37], exec
.LBB443_231:
	s_or_b64 exec, exec, s[18:19]
	v_perm_b32 v16, v12, v12, s33
	s_and_b64 s[18:19], s[0:1], exec
	s_or_b64 s[12:13], s[12:13], exec
.LBB443_232:
	s_or_b64 exec, exec, s[8:9]
.LBB443_233:
	s_and_saveexec_b64 s[0:1], s[12:13]
	s_cbranch_execz .LBB443_235
; %bb.234:
	v_lshrrev_b32_e32 v14, 24, v16
	s_movk_i32 s2, 0xff
	v_lshlrev_b16_e32 v14, 8, v14
	v_and_b32_sdwa v15, v16, s2 dst_sel:DWORD dst_unused:UNUSED_PAD src0_sel:WORD_1 src1_sel:DWORD
	v_or_b32_sdwa v14, v15, v14 dst_sel:WORD_1 dst_unused:UNUSED_PAD src0_sel:DWORD src1_sel:DWORD
	v_mov_b32_e32 v15, 8
	v_cndmask_b32_e64 v12, 0, 1, s[18:19]
	v_lshrrev_b32_sdwa v15, v15, v16 dst_sel:BYTE_1 dst_unused:UNUSED_PAD src0_sel:DWORD src1_sel:DWORD
	v_or_b32_e32 v12, v12, v15
	s_mov_b32 s2, 0xffff
	v_or_b32_sdwa v12, v12, v14 dst_sel:DWORD dst_unused:UNUSED_PAD src0_sel:WORD_0 src1_sel:DWORD
	v_and_b32_sdwa v13, s2, v13 dst_sel:DWORD dst_unused:UNUSED_PAD src0_sel:DWORD src1_sel:BYTE_0
.LBB443_235:
	s_or_b64 exec, exec, s[0:1]
	s_andn2_b64 vcc, exec, s[10:11]
	s_cbranch_vccnz .LBB443_237
; %bb.236:
	v_cmp_gt_u32_e32 vcc, s7, v1
	v_cndmask_b32_e32 v1, 0, v12, vcc
	v_and_b32_e32 v1, 0xffff00ff, v1
	v_cmp_gt_u32_e64 s[0:1], s7, v24
	v_cndmask_b32_e64 v1, v1, v12, s[0:1]
	v_lshrrev_b32_e32 v14, 24, v1
	s_mov_b32 s2, 0x40c0100
	v_perm_b32 v1, v14, v1, s2
	v_cmp_gt_u32_e64 s[2:3], s7, v22
	v_cmp_gt_u32_e64 s[8:9], s7, v25
	v_cndmask_b32_e64 v1, v1, v12, s[2:3]
	s_or_b64 s[2:3], s[8:9], s[2:3]
	s_or_b64 s[0:1], s[2:3], s[0:1]
	s_or_b64 vcc, s[0:1], vcc
	v_and_b32_e32 v1, 0xffffff, v1
	v_cndmask_b32_e32 v14, 0, v13, vcc
	v_cndmask_b32_e64 v1, v1, v12, s[8:9]
	v_and_b32_e32 v14, 0xffffff00, v14
	v_cmp_gt_u32_e32 vcc, s7, v23
	v_cndmask_b32_e32 v1, v1, v12, vcc
	v_cndmask_b32_e32 v12, v14, v13, vcc
	s_mov_b32 s0, 0x3020104
	v_and_b32_e32 v13, 0xff, v12
	v_perm_b32 v12, v1, v1, s0
.LBB443_237:
	v_and_b32_e32 v1, 0xff, v12
	v_bfe_u32 v25, v12, 8, 8
	v_bfe_u32 v27, v12, 16, 8
	v_alignbit_b32 v14, v13, v12, 24
	v_and_b32_e32 v28, 0xff, v14
	v_and_b32_e32 v14, 0xff, v13
	v_add3_u32 v15, v25, v1, v27
	v_add3_u32 v31, v15, v28, v14
	v_mbcnt_lo_u32_b32 v14, -1, 0
	v_mbcnt_hi_u32_b32 v29, -1, v14
	v_and_b32_e32 v14, 15, v29
	v_cmp_eq_u32_e64 s[14:15], 0, v14
	v_cmp_lt_u32_e64 s[12:13], 1, v14
	v_cmp_lt_u32_e64 s[10:11], 3, v14
	;; [unrolled: 1-line block ×3, first 2 shown]
	v_and_b32_e32 v14, 16, v29
	v_cmp_eq_u32_e64 s[18:19], 0, v14
	v_or_b32_e32 v14, 63, v0
	v_cmp_lt_u32_e64 s[0:1], 31, v29
	v_lshrrev_b32_e32 v30, 6, v0
	v_cmp_eq_u32_e64 s[2:3], v14, v0
	s_and_b64 vcc, exec, s[16:17]
	s_waitcnt lgkmcnt(0)
	s_barrier
	s_cbranch_vccz .LBB443_264
; %bb.238:
	v_mov_b32_dpp v14, v31 row_shr:1 row_mask:0xf bank_mask:0xf
	v_cndmask_b32_e64 v14, v14, 0, s[14:15]
	v_add_u32_e32 v14, v14, v31
	s_nop 1
	v_mov_b32_dpp v15, v14 row_shr:2 row_mask:0xf bank_mask:0xf
	v_cndmask_b32_e64 v15, 0, v15, s[12:13]
	v_add_u32_e32 v14, v14, v15
	s_nop 1
	;; [unrolled: 4-line block ×4, first 2 shown]
	v_mov_b32_dpp v15, v14 row_bcast:15 row_mask:0xf bank_mask:0xf
	v_cndmask_b32_e64 v15, v15, 0, s[18:19]
	v_add_u32_e32 v14, v14, v15
	s_nop 1
	v_mov_b32_dpp v15, v14 row_bcast:31 row_mask:0xf bank_mask:0xf
	v_cndmask_b32_e64 v15, 0, v15, s[0:1]
	v_add_u32_e32 v14, v14, v15
	s_and_saveexec_b64 s[16:17], s[2:3]
	s_cbranch_execz .LBB443_240
; %bb.239:
	v_lshlrev_b32_e32 v15, 2, v30
	ds_write_b32 v15, v14
.LBB443_240:
	s_or_b64 exec, exec, s[16:17]
	v_cmp_gt_u32_e32 vcc, 4, v0
	s_waitcnt lgkmcnt(0)
	s_barrier
	s_and_saveexec_b64 s[16:17], vcc
	s_cbranch_execz .LBB443_242
; %bb.241:
	v_lshlrev_b32_e32 v15, 2, v0
	ds_read_b32 v16, v15
	v_and_b32_e32 v17, 3, v29
	v_cmp_ne_u32_e32 vcc, 0, v17
	s_waitcnt lgkmcnt(0)
	v_mov_b32_dpp v18, v16 row_shr:1 row_mask:0xf bank_mask:0xf
	v_cndmask_b32_e32 v18, 0, v18, vcc
	v_add_u32_e32 v16, v18, v16
	v_cmp_lt_u32_e32 vcc, 1, v17
	s_nop 0
	v_mov_b32_dpp v18, v16 row_shr:2 row_mask:0xf bank_mask:0xf
	v_cndmask_b32_e32 v17, 0, v18, vcc
	v_add_u32_e32 v16, v16, v17
	ds_write_b32 v15, v16
.LBB443_242:
	s_or_b64 exec, exec, s[16:17]
	v_cmp_gt_u32_e32 vcc, 64, v0
	v_cmp_lt_u32_e64 s[16:17], 63, v0
	s_waitcnt lgkmcnt(0)
	s_barrier
	s_waitcnt lgkmcnt(0)
                                        ; implicit-def: $vgpr24
	s_and_saveexec_b64 s[26:27], s[16:17]
	s_cbranch_execz .LBB443_244
; %bb.243:
	v_lshl_add_u32 v15, v30, 2, -4
	ds_read_b32 v24, v15
	s_waitcnt lgkmcnt(0)
	v_add_u32_e32 v14, v24, v14
.LBB443_244:
	s_or_b64 exec, exec, s[26:27]
	v_add_u32_e32 v15, -1, v29
	v_and_b32_e32 v16, 64, v29
	v_cmp_lt_i32_e64 s[16:17], v15, v16
	v_cndmask_b32_e64 v15, v15, v29, s[16:17]
	v_lshlrev_b32_e32 v15, 2, v15
	ds_bpermute_b32 v26, v15, v14
	v_cmp_eq_u32_e64 s[16:17], 0, v29
	s_and_saveexec_b64 s[26:27], vcc
	s_cbranch_execz .LBB443_263
; %bb.245:
	v_mov_b32_e32 v21, 0
	ds_read_b32 v14, v21 offset:12
	s_and_saveexec_b64 s[28:29], s[16:17]
	s_cbranch_execz .LBB443_247
; %bb.246:
	s_add_i32 s36, s6, 64
	s_mov_b32 s37, 0
	s_lshl_b64 s[36:37], s[36:37], 3
	s_add_u32 s36, s30, s36
	v_mov_b32_e32 v15, 1
	s_addc_u32 s37, s31, s37
	s_waitcnt lgkmcnt(0)
	global_store_dwordx2 v21, v[14:15], s[36:37]
.LBB443_247:
	s_or_b64 exec, exec, s[28:29]
	v_xad_u32 v16, v29, -1, s6
	v_add_u32_e32 v20, 64, v16
	v_lshlrev_b64 v[18:19], 3, v[20:21]
	v_mov_b32_e32 v15, s31
	v_add_co_u32_e32 v22, vcc, s30, v18
	v_addc_co_u32_e32 v23, vcc, v15, v19, vcc
	global_load_dwordx2 v[18:19], v[22:23], off glc
	s_waitcnt vmcnt(0)
	v_cmp_eq_u16_sdwa s[36:37], v19, v21 src0_sel:BYTE_0 src1_sel:DWORD
	s_and_saveexec_b64 s[28:29], s[36:37]
	s_cbranch_execz .LBB443_251
; %bb.248:
	s_mov_b64 s[36:37], 0
	v_mov_b32_e32 v15, 0
.LBB443_249:                            ; =>This Inner Loop Header: Depth=1
	global_load_dwordx2 v[18:19], v[22:23], off glc
	s_waitcnt vmcnt(0)
	v_cmp_ne_u16_sdwa s[38:39], v19, v15 src0_sel:BYTE_0 src1_sel:DWORD
	s_or_b64 s[36:37], s[38:39], s[36:37]
	s_andn2_b64 exec, exec, s[36:37]
	s_cbranch_execnz .LBB443_249
; %bb.250:
	s_or_b64 exec, exec, s[36:37]
.LBB443_251:
	s_or_b64 exec, exec, s[28:29]
	v_and_b32_e32 v32, 63, v29
	v_mov_b32_e32 v15, 2
	v_cmp_ne_u32_e32 vcc, 63, v32
	v_cmp_eq_u16_sdwa s[28:29], v19, v15 src0_sel:BYTE_0 src1_sel:DWORD
	v_lshlrev_b64 v[20:21], v29, -1
	v_addc_co_u32_e32 v23, vcc, 0, v29, vcc
	v_and_b32_e32 v17, s29, v21
	v_lshlrev_b32_e32 v33, 2, v23
	v_or_b32_e32 v17, 0x80000000, v17
	ds_bpermute_b32 v23, v33, v18
	v_and_b32_e32 v22, s28, v20
	v_ffbl_b32_e32 v17, v17
	v_add_u32_e32 v17, 32, v17
	v_ffbl_b32_e32 v22, v22
	v_min_u32_e32 v17, v22, v17
	v_cmp_lt_u32_e32 vcc, v32, v17
	s_waitcnt lgkmcnt(0)
	v_cndmask_b32_e32 v22, 0, v23, vcc
	v_cmp_gt_u32_e32 vcc, 62, v32
	v_add_u32_e32 v18, v22, v18
	v_cndmask_b32_e64 v22, 0, 1, vcc
	v_lshlrev_b32_e32 v22, 1, v22
	v_add_lshl_u32 v34, v22, v29, 2
	ds_bpermute_b32 v22, v34, v18
	v_add_u32_e32 v35, 2, v32
	v_cmp_le_u32_e32 vcc, v35, v17
	v_add_u32_e32 v37, 4, v32
	v_add_u32_e32 v39, 8, v32
	s_waitcnt lgkmcnt(0)
	v_cndmask_b32_e32 v22, 0, v22, vcc
	v_cmp_gt_u32_e32 vcc, 60, v32
	v_add_u32_e32 v18, v18, v22
	v_cndmask_b32_e64 v22, 0, 1, vcc
	v_lshlrev_b32_e32 v22, 2, v22
	v_add_lshl_u32 v36, v22, v29, 2
	ds_bpermute_b32 v22, v36, v18
	v_cmp_le_u32_e32 vcc, v37, v17
	v_add_u32_e32 v42, 16, v32
	v_add_u32_e32 v44, 32, v32
	s_waitcnt lgkmcnt(0)
	v_cndmask_b32_e32 v22, 0, v22, vcc
	v_cmp_gt_u32_e32 vcc, 56, v32
	v_add_u32_e32 v18, v18, v22
	v_cndmask_b32_e64 v22, 0, 1, vcc
	v_lshlrev_b32_e32 v22, 3, v22
	v_add_lshl_u32 v38, v22, v29, 2
	ds_bpermute_b32 v22, v38, v18
	v_cmp_le_u32_e32 vcc, v39, v17
	s_waitcnt lgkmcnt(0)
	v_cndmask_b32_e32 v22, 0, v22, vcc
	v_cmp_gt_u32_e32 vcc, 48, v32
	v_add_u32_e32 v18, v18, v22
	v_cndmask_b32_e64 v22, 0, 1, vcc
	v_lshlrev_b32_e32 v22, 4, v22
	v_add_lshl_u32 v41, v22, v29, 2
	ds_bpermute_b32 v22, v41, v18
	v_cmp_le_u32_e32 vcc, v42, v17
	;; [unrolled: 9-line block ×3, first 2 shown]
	s_waitcnt lgkmcnt(0)
	v_cndmask_b32_e32 v17, 0, v22, vcc
	v_add_u32_e32 v18, v18, v17
	v_mov_b32_e32 v17, 0
	s_branch .LBB443_253
.LBB443_252:                            ;   in Loop: Header=BB443_253 Depth=1
	s_or_b64 exec, exec, s[28:29]
	v_cmp_eq_u16_sdwa s[28:29], v19, v15 src0_sel:BYTE_0 src1_sel:DWORD
	v_and_b32_e32 v22, s29, v21
	v_or_b32_e32 v22, 0x80000000, v22
	ds_bpermute_b32 v45, v33, v18
	v_and_b32_e32 v23, s28, v20
	v_ffbl_b32_e32 v22, v22
	v_add_u32_e32 v22, 32, v22
	v_ffbl_b32_e32 v23, v23
	v_min_u32_e32 v22, v23, v22
	v_cmp_lt_u32_e32 vcc, v32, v22
	s_waitcnt lgkmcnt(0)
	v_cndmask_b32_e32 v23, 0, v45, vcc
	v_add_u32_e32 v18, v23, v18
	ds_bpermute_b32 v23, v34, v18
	v_cmp_le_u32_e32 vcc, v35, v22
	v_subrev_u32_e32 v16, 64, v16
	s_waitcnt lgkmcnt(0)
	v_cndmask_b32_e32 v23, 0, v23, vcc
	v_add_u32_e32 v18, v18, v23
	ds_bpermute_b32 v23, v36, v18
	v_cmp_le_u32_e32 vcc, v37, v22
	s_waitcnt lgkmcnt(0)
	v_cndmask_b32_e32 v23, 0, v23, vcc
	v_add_u32_e32 v18, v18, v23
	ds_bpermute_b32 v23, v38, v18
	v_cmp_le_u32_e32 vcc, v39, v22
	;; [unrolled: 5-line block ×4, first 2 shown]
	s_waitcnt lgkmcnt(0)
	v_cndmask_b32_e32 v22, 0, v23, vcc
	v_add3_u32 v18, v22, v40, v18
.LBB443_253:                            ; =>This Loop Header: Depth=1
                                        ;     Child Loop BB443_256 Depth 2
	v_cmp_ne_u16_sdwa s[28:29], v19, v15 src0_sel:BYTE_0 src1_sel:DWORD
	v_cndmask_b32_e64 v19, 0, 1, s[28:29]
	;;#ASMSTART
	;;#ASMEND
	v_cmp_ne_u32_e32 vcc, 0, v19
	s_cmp_lg_u64 vcc, exec
	v_mov_b32_e32 v40, v18
	s_cbranch_scc1 .LBB443_258
; %bb.254:                              ;   in Loop: Header=BB443_253 Depth=1
	v_lshlrev_b64 v[18:19], 3, v[16:17]
	v_mov_b32_e32 v23, s31
	v_add_co_u32_e32 v22, vcc, s30, v18
	v_addc_co_u32_e32 v23, vcc, v23, v19, vcc
	global_load_dwordx2 v[18:19], v[22:23], off glc
	s_waitcnt vmcnt(0)
	v_cmp_eq_u16_sdwa s[36:37], v19, v17 src0_sel:BYTE_0 src1_sel:DWORD
	s_and_saveexec_b64 s[28:29], s[36:37]
	s_cbranch_execz .LBB443_252
; %bb.255:                              ;   in Loop: Header=BB443_253 Depth=1
	s_mov_b64 s[36:37], 0
.LBB443_256:                            ;   Parent Loop BB443_253 Depth=1
                                        ; =>  This Inner Loop Header: Depth=2
	global_load_dwordx2 v[18:19], v[22:23], off glc
	s_waitcnt vmcnt(0)
	v_cmp_ne_u16_sdwa s[38:39], v19, v17 src0_sel:BYTE_0 src1_sel:DWORD
	s_or_b64 s[36:37], s[38:39], s[36:37]
	s_andn2_b64 exec, exec, s[36:37]
	s_cbranch_execnz .LBB443_256
; %bb.257:                              ;   in Loop: Header=BB443_253 Depth=1
	s_or_b64 exec, exec, s[36:37]
	s_branch .LBB443_252
.LBB443_258:                            ;   in Loop: Header=BB443_253 Depth=1
                                        ; implicit-def: $vgpr18
                                        ; implicit-def: $vgpr19
	s_cbranch_execz .LBB443_253
; %bb.259:
	s_and_saveexec_b64 s[28:29], s[16:17]
	s_cbranch_execz .LBB443_261
; %bb.260:
	s_add_i32 s6, s6, 64
	s_mov_b32 s7, 0
	s_lshl_b64 s[6:7], s[6:7], 3
	s_add_u32 s6, s30, s6
	v_add_u32_e32 v16, v40, v14
	v_mov_b32_e32 v17, 2
	s_addc_u32 s7, s31, s7
	v_mov_b32_e32 v15, 0
	global_store_dwordx2 v15, v[16:17], s[6:7]
	s_movk_i32 s6, 0x2800
	v_add_u32_e64 v15, s6, 0
	ds_write2_b32 v15, v14, v40 offset1:2
.LBB443_261:
	s_or_b64 exec, exec, s[28:29]
	v_cmp_eq_u32_e32 vcc, 0, v0
	s_and_b64 exec, exec, vcc
	s_cbranch_execz .LBB443_263
; %bb.262:
	v_mov_b32_e32 v14, 0
	ds_write_b32 v14, v40 offset:12
.LBB443_263:
	s_or_b64 exec, exec, s[26:27]
	v_mov_b32_e32 v14, 0
	s_waitcnt lgkmcnt(0)
	s_barrier
	ds_read_b32 v14, v14 offset:12
	v_cndmask_b32_e64 v15, v26, v24, s[16:17]
	v_cmp_ne_u32_e32 vcc, 0, v0
	v_cndmask_b32_e32 v15, 0, v15, vcc
	s_movk_i32 s6, 0x2800
	s_waitcnt lgkmcnt(0)
	v_add_u32_e32 v26, v14, v15
	v_add_u32_e64 v14, s6, 0
	s_barrier
	ds_read2_b32 v[14:15], v14 offset1:2
	v_add_u32_e32 v24, v26, v1
	v_add_u32_e32 v22, v24, v25
	v_add_u32_e32 v20, v22, v27
	v_add_u32_e32 v18, v20, v28
	s_load_dwordx2 s[4:5], s[4:5], 0x28
	v_lshrrev_b64 v[16:17], 24, v[12:13]
	s_branch .LBB443_274
.LBB443_264:
                                        ; implicit-def: $vgpr18
                                        ; implicit-def: $vgpr20
                                        ; implicit-def: $vgpr22
                                        ; implicit-def: $vgpr24
                                        ; implicit-def: $vgpr26
                                        ; implicit-def: $vgpr15
	s_load_dwordx2 s[4:5], s[4:5], 0x28
	v_lshrrev_b64 v[16:17], 24, v[12:13]
	s_cbranch_execz .LBB443_274
; %bb.265:
	s_waitcnt lgkmcnt(0)
	v_mov_b32_dpp v14, v31 row_shr:1 row_mask:0xf bank_mask:0xf
	v_cndmask_b32_e64 v14, v14, 0, s[14:15]
	v_add_u32_e32 v14, v14, v31
	s_nop 1
	v_mov_b32_dpp v15, v14 row_shr:2 row_mask:0xf bank_mask:0xf
	v_cndmask_b32_e64 v15, 0, v15, s[12:13]
	v_add_u32_e32 v14, v14, v15
	s_nop 1
	v_mov_b32_dpp v15, v14 row_shr:4 row_mask:0xf bank_mask:0xf
	v_cndmask_b32_e64 v15, 0, v15, s[10:11]
	v_add_u32_e32 v14, v14, v15
	s_nop 1
	v_mov_b32_dpp v15, v14 row_shr:8 row_mask:0xf bank_mask:0xf
	v_cndmask_b32_e64 v15, 0, v15, s[8:9]
	v_add_u32_e32 v14, v14, v15
	s_nop 1
	v_mov_b32_dpp v15, v14 row_bcast:15 row_mask:0xf bank_mask:0xf
	v_cndmask_b32_e64 v15, v15, 0, s[18:19]
	v_add_u32_e32 v14, v14, v15
	s_nop 1
	v_mov_b32_dpp v15, v14 row_bcast:31 row_mask:0xf bank_mask:0xf
	v_cndmask_b32_e64 v15, 0, v15, s[0:1]
	v_add_u32_e32 v14, v14, v15
	s_and_saveexec_b64 s[0:1], s[2:3]
	s_cbranch_execz .LBB443_267
; %bb.266:
	v_lshlrev_b32_e32 v15, 2, v30
	ds_write_b32 v15, v14
.LBB443_267:
	s_or_b64 exec, exec, s[0:1]
	v_cmp_gt_u32_e32 vcc, 4, v0
	s_waitcnt lgkmcnt(0)
	s_barrier
	s_and_saveexec_b64 s[0:1], vcc
	s_cbranch_execz .LBB443_269
; %bb.268:
	v_lshlrev_b32_e32 v15, 2, v0
	ds_read_b32 v17, v15
	v_and_b32_e32 v18, 3, v29
	v_cmp_ne_u32_e32 vcc, 0, v18
	s_waitcnt lgkmcnt(0)
	v_mov_b32_dpp v19, v17 row_shr:1 row_mask:0xf bank_mask:0xf
	v_cndmask_b32_e32 v19, 0, v19, vcc
	v_add_u32_e32 v17, v19, v17
	v_cmp_lt_u32_e32 vcc, 1, v18
	s_nop 0
	v_mov_b32_dpp v19, v17 row_shr:2 row_mask:0xf bank_mask:0xf
	v_cndmask_b32_e32 v18, 0, v19, vcc
	v_add_u32_e32 v17, v17, v18
	ds_write_b32 v15, v17
.LBB443_269:
	s_or_b64 exec, exec, s[0:1]
	v_cmp_lt_u32_e32 vcc, 63, v0
	v_mov_b32_e32 v15, 0
	v_mov_b32_e32 v17, 0
	s_waitcnt lgkmcnt(0)
	s_barrier
	s_and_saveexec_b64 s[0:1], vcc
	s_cbranch_execz .LBB443_271
; %bb.270:
	v_lshl_add_u32 v17, v30, 2, -4
	ds_read_b32 v17, v17
.LBB443_271:
	s_or_b64 exec, exec, s[0:1]
	v_add_u32_e32 v18, -1, v29
	v_and_b32_e32 v19, 64, v29
	v_cmp_lt_i32_e32 vcc, v18, v19
	v_cndmask_b32_e32 v18, v18, v29, vcc
	s_waitcnt lgkmcnt(0)
	v_add_u32_e32 v14, v17, v14
	v_lshlrev_b32_e32 v18, 2, v18
	ds_bpermute_b32 v18, v18, v14
	ds_read_b32 v14, v15 offset:12
	v_cmp_eq_u32_e32 vcc, 0, v0
	s_and_saveexec_b64 s[0:1], vcc
	s_cbranch_execz .LBB443_273
; %bb.272:
	v_mov_b32_e32 v19, 0
	v_mov_b32_e32 v15, 2
	s_waitcnt lgkmcnt(0)
	global_store_dwordx2 v19, v[14:15], s[30:31] offset:512
.LBB443_273:
	s_or_b64 exec, exec, s[0:1]
	v_cmp_eq_u32_e64 s[0:1], 0, v29
	s_waitcnt lgkmcnt(1)
	v_cndmask_b32_e64 v17, v18, v17, s[0:1]
	v_cndmask_b32_e64 v26, v17, 0, vcc
	v_add_u32_e32 v24, v26, v1
	v_add_u32_e32 v22, v24, v25
	;; [unrolled: 1-line block ×3, first 2 shown]
	v_mov_b32_e32 v15, 0
	v_add_u32_e32 v18, v20, v28
	s_waitcnt lgkmcnt(0)
	s_barrier
.LBB443_274:
	s_movk_i32 s0, 0x101
	s_waitcnt lgkmcnt(0)
	v_cmp_gt_u32_e32 vcc, s0, v14
	v_lshrrev_b32_e32 v1, 8, v12
	s_mov_b64 s[0:1], -1
	s_cbranch_vccnz .LBB443_278
; %bb.275:
	s_and_b64 vcc, exec, s[0:1]
	s_cbranch_vccnz .LBB443_294
.LBB443_276:
	v_cmp_eq_u32_e32 vcc, 0, v0
	s_and_b64 s[0:1], vcc, s[24:25]
	s_and_saveexec_b64 s[2:3], s[0:1]
	s_cbranch_execnz .LBB443_308
.LBB443_277:
	s_endpgm
.LBB443_278:
	v_add_u32_e32 v17, v15, v14
	v_cmp_lt_u32_e32 vcc, v26, v17
	s_or_b64 s[2:3], s[34:35], vcc
	s_and_saveexec_b64 s[0:1], s[2:3]
	s_cbranch_execz .LBB443_281
; %bb.279:
	v_and_b32_e32 v19, 1, v12
	v_cmp_eq_u32_e32 vcc, 1, v19
	s_and_b64 exec, exec, vcc
	s_cbranch_execz .LBB443_281
; %bb.280:
	s_lshl_b64 s[2:3], s[22:23], 3
	s_add_u32 s2, s4, s2
	v_mov_b32_e32 v27, 0
	s_addc_u32 s3, s5, s3
	v_lshlrev_b64 v[28:29], 3, v[26:27]
	v_mov_b32_e32 v19, s3
	v_add_co_u32_e32 v28, vcc, s2, v28
	v_addc_co_u32_e32 v29, vcc, v19, v29, vcc
	global_store_dwordx2 v[28:29], v[6:7], off
.LBB443_281:
	s_or_b64 exec, exec, s[0:1]
	v_cmp_lt_u32_e32 vcc, v24, v17
	s_or_b64 s[2:3], s[34:35], vcc
	s_and_saveexec_b64 s[0:1], s[2:3]
	s_cbranch_execz .LBB443_284
; %bb.282:
	v_and_b32_e32 v19, 1, v1
	v_cmp_eq_u32_e32 vcc, 1, v19
	s_and_b64 exec, exec, vcc
	s_cbranch_execz .LBB443_284
; %bb.283:
	s_lshl_b64 s[2:3], s[22:23], 3
	s_add_u32 s2, s4, s2
	v_mov_b32_e32 v25, 0
	s_addc_u32 s3, s5, s3
	v_lshlrev_b64 v[28:29], 3, v[24:25]
	v_mov_b32_e32 v19, s3
	v_add_co_u32_e32 v28, vcc, s2, v28
	v_addc_co_u32_e32 v29, vcc, v19, v29, vcc
	global_store_dwordx2 v[28:29], v[8:9], off
.LBB443_284:
	s_or_b64 exec, exec, s[0:1]
	v_cmp_lt_u32_e32 vcc, v22, v17
	s_or_b64 s[2:3], s[34:35], vcc
	s_and_saveexec_b64 s[0:1], s[2:3]
	s_cbranch_execz .LBB443_287
; %bb.285:
	v_mov_b32_e32 v19, 1
	v_and_b32_sdwa v19, v19, v12 dst_sel:DWORD dst_unused:UNUSED_PAD src0_sel:DWORD src1_sel:WORD_1
	v_cmp_eq_u32_e32 vcc, 1, v19
	s_and_b64 exec, exec, vcc
	s_cbranch_execz .LBB443_287
; %bb.286:
	s_lshl_b64 s[2:3], s[22:23], 3
	s_add_u32 s2, s4, s2
	v_mov_b32_e32 v23, 0
	s_addc_u32 s3, s5, s3
	v_lshlrev_b64 v[28:29], 3, v[22:23]
	v_mov_b32_e32 v19, s3
	v_add_co_u32_e32 v28, vcc, s2, v28
	v_addc_co_u32_e32 v29, vcc, v19, v29, vcc
	global_store_dwordx2 v[28:29], v[2:3], off
.LBB443_287:
	s_or_b64 exec, exec, s[0:1]
	v_cmp_lt_u32_e32 vcc, v20, v17
	s_or_b64 s[2:3], s[34:35], vcc
	s_and_saveexec_b64 s[0:1], s[2:3]
	s_cbranch_execz .LBB443_290
; %bb.288:
	v_and_b32_e32 v19, 1, v16
	v_cmp_eq_u32_e32 vcc, 1, v19
	s_and_b64 exec, exec, vcc
	s_cbranch_execz .LBB443_290
; %bb.289:
	s_lshl_b64 s[2:3], s[22:23], 3
	s_add_u32 s2, s4, s2
	v_mov_b32_e32 v21, 0
	s_addc_u32 s3, s5, s3
	v_lshlrev_b64 v[28:29], 3, v[20:21]
	v_mov_b32_e32 v19, s3
	v_add_co_u32_e32 v28, vcc, s2, v28
	v_addc_co_u32_e32 v29, vcc, v19, v29, vcc
	global_store_dwordx2 v[28:29], v[4:5], off
.LBB443_290:
	s_or_b64 exec, exec, s[0:1]
	v_cmp_lt_u32_e32 vcc, v18, v17
	s_or_b64 s[2:3], s[34:35], vcc
	s_and_saveexec_b64 s[0:1], s[2:3]
	s_cbranch_execz .LBB443_293
; %bb.291:
	v_and_b32_e32 v17, 1, v13
	v_cmp_eq_u32_e32 vcc, 1, v17
	s_and_b64 exec, exec, vcc
	s_cbranch_execz .LBB443_293
; %bb.292:
	s_lshl_b64 s[2:3], s[22:23], 3
	s_add_u32 s2, s4, s2
	v_mov_b32_e32 v19, 0
	s_addc_u32 s3, s5, s3
	v_lshlrev_b64 v[28:29], 3, v[18:19]
	v_mov_b32_e32 v17, s3
	v_add_co_u32_e32 v28, vcc, s2, v28
	v_addc_co_u32_e32 v29, vcc, v17, v29, vcc
	global_store_dwordx2 v[28:29], v[10:11], off
.LBB443_293:
	s_or_b64 exec, exec, s[0:1]
	s_branch .LBB443_276
.LBB443_294:
	v_and_b32_e32 v17, 1, v12
	v_cmp_eq_u32_e32 vcc, 1, v17
	s_and_saveexec_b64 s[0:1], vcc
	s_cbranch_execz .LBB443_296
; %bb.295:
	v_sub_u32_e32 v17, v26, v15
	v_lshlrev_b32_e32 v17, 3, v17
	ds_write_b64 v17, v[6:7]
.LBB443_296:
	s_or_b64 exec, exec, s[0:1]
	v_and_b32_e32 v1, 1, v1
	v_cmp_eq_u32_e32 vcc, 1, v1
	s_and_saveexec_b64 s[0:1], vcc
	s_cbranch_execz .LBB443_298
; %bb.297:
	v_sub_u32_e32 v1, v24, v15
	v_lshlrev_b32_e32 v1, 3, v1
	ds_write_b64 v1, v[8:9]
.LBB443_298:
	s_or_b64 exec, exec, s[0:1]
	v_mov_b32_e32 v1, 1
	v_and_b32_sdwa v1, v1, v12 dst_sel:DWORD dst_unused:UNUSED_PAD src0_sel:DWORD src1_sel:WORD_1
	v_cmp_eq_u32_e32 vcc, 1, v1
	s_and_saveexec_b64 s[0:1], vcc
	s_cbranch_execz .LBB443_300
; %bb.299:
	v_sub_u32_e32 v1, v22, v15
	v_lshlrev_b32_e32 v1, 3, v1
	ds_write_b64 v1, v[2:3]
.LBB443_300:
	s_or_b64 exec, exec, s[0:1]
	v_and_b32_e32 v1, 1, v16
	v_cmp_eq_u32_e32 vcc, 1, v1
	s_and_saveexec_b64 s[0:1], vcc
	s_cbranch_execz .LBB443_302
; %bb.301:
	v_sub_u32_e32 v1, v20, v15
	v_lshlrev_b32_e32 v1, 3, v1
	ds_write_b64 v1, v[4:5]
.LBB443_302:
	s_or_b64 exec, exec, s[0:1]
	v_and_b32_e32 v1, 1, v13
	v_cmp_eq_u32_e32 vcc, 1, v1
	s_and_saveexec_b64 s[0:1], vcc
	s_cbranch_execz .LBB443_304
; %bb.303:
	v_sub_u32_e32 v1, v18, v15
	v_lshlrev_b32_e32 v1, 3, v1
	ds_write_b64 v1, v[10:11]
.LBB443_304:
	s_or_b64 exec, exec, s[0:1]
	v_cmp_lt_u32_e32 vcc, v0, v14
	s_waitcnt lgkmcnt(0)
	s_barrier
	s_and_saveexec_b64 s[0:1], vcc
	s_cbranch_execz .LBB443_307
; %bb.305:
	v_mov_b32_e32 v3, 0
	v_mov_b32_e32 v2, v15
	v_lshlrev_b64 v[4:5], 3, v[2:3]
	v_mov_b32_e32 v1, s5
	v_add_co_u32_e32 v2, vcc, s4, v4
	v_addc_co_u32_e32 v4, vcc, v1, v5, vcc
	s_lshl_b64 s[2:3], s[22:23], 3
	v_mov_b32_e32 v5, s3
	v_add_co_u32_e32 v1, vcc, s2, v2
	v_addc_co_u32_e32 v4, vcc, v4, v5, vcc
	v_lshlrev_b32_e32 v5, 3, v0
	s_mov_b64 s[2:3], 0
	v_mov_b32_e32 v2, v0
.LBB443_306:                            ; =>This Inner Loop Header: Depth=1
	ds_read_b64 v[6:7], v5
	v_lshlrev_b64 v[8:9], 3, v[2:3]
	v_add_co_u32_e32 v8, vcc, v1, v8
	v_add_u32_e32 v2, 0x100, v2
	v_addc_co_u32_e32 v9, vcc, v4, v9, vcc
	v_cmp_ge_u32_e32 vcc, v2, v14
	v_add_u32_e32 v5, 0x800, v5
	s_or_b64 s[2:3], vcc, s[2:3]
	s_waitcnt lgkmcnt(0)
	global_store_dwordx2 v[8:9], v[6:7], off
	s_andn2_b64 exec, exec, s[2:3]
	s_cbranch_execnz .LBB443_306
.LBB443_307:
	s_or_b64 exec, exec, s[0:1]
	v_cmp_eq_u32_e32 vcc, 0, v0
	s_and_b64 s[0:1], vcc, s[24:25]
	s_and_saveexec_b64 s[2:3], s[0:1]
	s_cbranch_execz .LBB443_277
.LBB443_308:
	v_mov_b32_e32 v0, s23
	v_add_co_u32_e32 v1, vcc, s22, v14
	v_addc_co_u32_e32 v3, vcc, 0, v0, vcc
	v_add_co_u32_e32 v0, vcc, v1, v15
	v_mov_b32_e32 v2, 0
	v_addc_co_u32_e32 v1, vcc, 0, v3, vcc
	global_store_dwordx2 v2, v[0:1], s[20:21]
	s_endpgm
	.section	.rodata,"a",@progbits
	.p2align	6, 0x0
	.amdhsa_kernel _ZN7rocprim17ROCPRIM_400000_NS6detail17trampoline_kernelINS0_14default_configENS1_25partition_config_selectorILNS1_17partition_subalgoE8ElNS0_10empty_typeEbEEZZNS1_14partition_implILS5_8ELb0ES3_jPlPS6_PKS6_NS0_5tupleIJS9_S6_EEENSD_IJSA_SA_EEENS0_18inequality_wrapperIZN2at6native12_GLOBAL__N_124unique_dim_cuda_templateIiEESt5tupleIJNSH_6TensorESM_SM_EERKSM_lbbbEUlllE0_EEPmJS6_EEE10hipError_tPvRmT3_T4_T5_T6_T7_T9_mT8_P12ihipStream_tbDpT10_ENKUlT_T0_E_clISt17integral_constantIbLb0EES1C_EEDaS17_S18_EUlS17_E_NS1_11comp_targetILNS1_3genE4ELNS1_11target_archE910ELNS1_3gpuE8ELNS1_3repE0EEENS1_30default_config_static_selectorELNS0_4arch9wavefront6targetE1EEEvT1_
		.amdhsa_group_segment_fixed_size 10252
		.amdhsa_private_segment_fixed_size 0
		.amdhsa_kernarg_size 120
		.amdhsa_user_sgpr_count 6
		.amdhsa_user_sgpr_private_segment_buffer 1
		.amdhsa_user_sgpr_dispatch_ptr 0
		.amdhsa_user_sgpr_queue_ptr 0
		.amdhsa_user_sgpr_kernarg_segment_ptr 1
		.amdhsa_user_sgpr_dispatch_id 0
		.amdhsa_user_sgpr_flat_scratch_init 0
		.amdhsa_user_sgpr_kernarg_preload_length 0
		.amdhsa_user_sgpr_kernarg_preload_offset 0
		.amdhsa_user_sgpr_private_segment_size 0
		.amdhsa_uses_dynamic_stack 0
		.amdhsa_system_sgpr_private_segment_wavefront_offset 0
		.amdhsa_system_sgpr_workgroup_id_x 1
		.amdhsa_system_sgpr_workgroup_id_y 0
		.amdhsa_system_sgpr_workgroup_id_z 0
		.amdhsa_system_sgpr_workgroup_info 0
		.amdhsa_system_vgpr_workitem_id 0
		.amdhsa_next_free_vgpr 46
		.amdhsa_next_free_sgpr 48
		.amdhsa_accum_offset 48
		.amdhsa_reserve_vcc 1
		.amdhsa_reserve_flat_scratch 0
		.amdhsa_float_round_mode_32 0
		.amdhsa_float_round_mode_16_64 0
		.amdhsa_float_denorm_mode_32 3
		.amdhsa_float_denorm_mode_16_64 3
		.amdhsa_dx10_clamp 1
		.amdhsa_ieee_mode 1
		.amdhsa_fp16_overflow 0
		.amdhsa_tg_split 0
		.amdhsa_exception_fp_ieee_invalid_op 0
		.amdhsa_exception_fp_denorm_src 0
		.amdhsa_exception_fp_ieee_div_zero 0
		.amdhsa_exception_fp_ieee_overflow 0
		.amdhsa_exception_fp_ieee_underflow 0
		.amdhsa_exception_fp_ieee_inexact 0
		.amdhsa_exception_int_div_zero 0
	.end_amdhsa_kernel
	.section	.text._ZN7rocprim17ROCPRIM_400000_NS6detail17trampoline_kernelINS0_14default_configENS1_25partition_config_selectorILNS1_17partition_subalgoE8ElNS0_10empty_typeEbEEZZNS1_14partition_implILS5_8ELb0ES3_jPlPS6_PKS6_NS0_5tupleIJS9_S6_EEENSD_IJSA_SA_EEENS0_18inequality_wrapperIZN2at6native12_GLOBAL__N_124unique_dim_cuda_templateIiEESt5tupleIJNSH_6TensorESM_SM_EERKSM_lbbbEUlllE0_EEPmJS6_EEE10hipError_tPvRmT3_T4_T5_T6_T7_T9_mT8_P12ihipStream_tbDpT10_ENKUlT_T0_E_clISt17integral_constantIbLb0EES1C_EEDaS17_S18_EUlS17_E_NS1_11comp_targetILNS1_3genE4ELNS1_11target_archE910ELNS1_3gpuE8ELNS1_3repE0EEENS1_30default_config_static_selectorELNS0_4arch9wavefront6targetE1EEEvT1_,"axG",@progbits,_ZN7rocprim17ROCPRIM_400000_NS6detail17trampoline_kernelINS0_14default_configENS1_25partition_config_selectorILNS1_17partition_subalgoE8ElNS0_10empty_typeEbEEZZNS1_14partition_implILS5_8ELb0ES3_jPlPS6_PKS6_NS0_5tupleIJS9_S6_EEENSD_IJSA_SA_EEENS0_18inequality_wrapperIZN2at6native12_GLOBAL__N_124unique_dim_cuda_templateIiEESt5tupleIJNSH_6TensorESM_SM_EERKSM_lbbbEUlllE0_EEPmJS6_EEE10hipError_tPvRmT3_T4_T5_T6_T7_T9_mT8_P12ihipStream_tbDpT10_ENKUlT_T0_E_clISt17integral_constantIbLb0EES1C_EEDaS17_S18_EUlS17_E_NS1_11comp_targetILNS1_3genE4ELNS1_11target_archE910ELNS1_3gpuE8ELNS1_3repE0EEENS1_30default_config_static_selectorELNS0_4arch9wavefront6targetE1EEEvT1_,comdat
.Lfunc_end443:
	.size	_ZN7rocprim17ROCPRIM_400000_NS6detail17trampoline_kernelINS0_14default_configENS1_25partition_config_selectorILNS1_17partition_subalgoE8ElNS0_10empty_typeEbEEZZNS1_14partition_implILS5_8ELb0ES3_jPlPS6_PKS6_NS0_5tupleIJS9_S6_EEENSD_IJSA_SA_EEENS0_18inequality_wrapperIZN2at6native12_GLOBAL__N_124unique_dim_cuda_templateIiEESt5tupleIJNSH_6TensorESM_SM_EERKSM_lbbbEUlllE0_EEPmJS6_EEE10hipError_tPvRmT3_T4_T5_T6_T7_T9_mT8_P12ihipStream_tbDpT10_ENKUlT_T0_E_clISt17integral_constantIbLb0EES1C_EEDaS17_S18_EUlS17_E_NS1_11comp_targetILNS1_3genE4ELNS1_11target_archE910ELNS1_3gpuE8ELNS1_3repE0EEENS1_30default_config_static_selectorELNS0_4arch9wavefront6targetE1EEEvT1_, .Lfunc_end443-_ZN7rocprim17ROCPRIM_400000_NS6detail17trampoline_kernelINS0_14default_configENS1_25partition_config_selectorILNS1_17partition_subalgoE8ElNS0_10empty_typeEbEEZZNS1_14partition_implILS5_8ELb0ES3_jPlPS6_PKS6_NS0_5tupleIJS9_S6_EEENSD_IJSA_SA_EEENS0_18inequality_wrapperIZN2at6native12_GLOBAL__N_124unique_dim_cuda_templateIiEESt5tupleIJNSH_6TensorESM_SM_EERKSM_lbbbEUlllE0_EEPmJS6_EEE10hipError_tPvRmT3_T4_T5_T6_T7_T9_mT8_P12ihipStream_tbDpT10_ENKUlT_T0_E_clISt17integral_constantIbLb0EES1C_EEDaS17_S18_EUlS17_E_NS1_11comp_targetILNS1_3genE4ELNS1_11target_archE910ELNS1_3gpuE8ELNS1_3repE0EEENS1_30default_config_static_selectorELNS0_4arch9wavefront6targetE1EEEvT1_
                                        ; -- End function
	.section	.AMDGPU.csdata,"",@progbits
; Kernel info:
; codeLenInByte = 11376
; NumSgprs: 52
; NumVgprs: 46
; NumAgprs: 0
; TotalNumVgprs: 46
; ScratchSize: 0
; MemoryBound: 0
; FloatMode: 240
; IeeeMode: 1
; LDSByteSize: 10252 bytes/workgroup (compile time only)
; SGPRBlocks: 6
; VGPRBlocks: 5
; NumSGPRsForWavesPerEU: 52
; NumVGPRsForWavesPerEU: 46
; AccumOffset: 48
; Occupancy: 6
; WaveLimiterHint : 1
; COMPUTE_PGM_RSRC2:SCRATCH_EN: 0
; COMPUTE_PGM_RSRC2:USER_SGPR: 6
; COMPUTE_PGM_RSRC2:TRAP_HANDLER: 0
; COMPUTE_PGM_RSRC2:TGID_X_EN: 1
; COMPUTE_PGM_RSRC2:TGID_Y_EN: 0
; COMPUTE_PGM_RSRC2:TGID_Z_EN: 0
; COMPUTE_PGM_RSRC2:TIDIG_COMP_CNT: 0
; COMPUTE_PGM_RSRC3_GFX90A:ACCUM_OFFSET: 11
; COMPUTE_PGM_RSRC3_GFX90A:TG_SPLIT: 0
	.section	.text._ZN7rocprim17ROCPRIM_400000_NS6detail17trampoline_kernelINS0_14default_configENS1_25partition_config_selectorILNS1_17partition_subalgoE8ElNS0_10empty_typeEbEEZZNS1_14partition_implILS5_8ELb0ES3_jPlPS6_PKS6_NS0_5tupleIJS9_S6_EEENSD_IJSA_SA_EEENS0_18inequality_wrapperIZN2at6native12_GLOBAL__N_124unique_dim_cuda_templateIiEESt5tupleIJNSH_6TensorESM_SM_EERKSM_lbbbEUlllE0_EEPmJS6_EEE10hipError_tPvRmT3_T4_T5_T6_T7_T9_mT8_P12ihipStream_tbDpT10_ENKUlT_T0_E_clISt17integral_constantIbLb0EES1C_EEDaS17_S18_EUlS17_E_NS1_11comp_targetILNS1_3genE3ELNS1_11target_archE908ELNS1_3gpuE7ELNS1_3repE0EEENS1_30default_config_static_selectorELNS0_4arch9wavefront6targetE1EEEvT1_,"axG",@progbits,_ZN7rocprim17ROCPRIM_400000_NS6detail17trampoline_kernelINS0_14default_configENS1_25partition_config_selectorILNS1_17partition_subalgoE8ElNS0_10empty_typeEbEEZZNS1_14partition_implILS5_8ELb0ES3_jPlPS6_PKS6_NS0_5tupleIJS9_S6_EEENSD_IJSA_SA_EEENS0_18inequality_wrapperIZN2at6native12_GLOBAL__N_124unique_dim_cuda_templateIiEESt5tupleIJNSH_6TensorESM_SM_EERKSM_lbbbEUlllE0_EEPmJS6_EEE10hipError_tPvRmT3_T4_T5_T6_T7_T9_mT8_P12ihipStream_tbDpT10_ENKUlT_T0_E_clISt17integral_constantIbLb0EES1C_EEDaS17_S18_EUlS17_E_NS1_11comp_targetILNS1_3genE3ELNS1_11target_archE908ELNS1_3gpuE7ELNS1_3repE0EEENS1_30default_config_static_selectorELNS0_4arch9wavefront6targetE1EEEvT1_,comdat
	.globl	_ZN7rocprim17ROCPRIM_400000_NS6detail17trampoline_kernelINS0_14default_configENS1_25partition_config_selectorILNS1_17partition_subalgoE8ElNS0_10empty_typeEbEEZZNS1_14partition_implILS5_8ELb0ES3_jPlPS6_PKS6_NS0_5tupleIJS9_S6_EEENSD_IJSA_SA_EEENS0_18inequality_wrapperIZN2at6native12_GLOBAL__N_124unique_dim_cuda_templateIiEESt5tupleIJNSH_6TensorESM_SM_EERKSM_lbbbEUlllE0_EEPmJS6_EEE10hipError_tPvRmT3_T4_T5_T6_T7_T9_mT8_P12ihipStream_tbDpT10_ENKUlT_T0_E_clISt17integral_constantIbLb0EES1C_EEDaS17_S18_EUlS17_E_NS1_11comp_targetILNS1_3genE3ELNS1_11target_archE908ELNS1_3gpuE7ELNS1_3repE0EEENS1_30default_config_static_selectorELNS0_4arch9wavefront6targetE1EEEvT1_ ; -- Begin function _ZN7rocprim17ROCPRIM_400000_NS6detail17trampoline_kernelINS0_14default_configENS1_25partition_config_selectorILNS1_17partition_subalgoE8ElNS0_10empty_typeEbEEZZNS1_14partition_implILS5_8ELb0ES3_jPlPS6_PKS6_NS0_5tupleIJS9_S6_EEENSD_IJSA_SA_EEENS0_18inequality_wrapperIZN2at6native12_GLOBAL__N_124unique_dim_cuda_templateIiEESt5tupleIJNSH_6TensorESM_SM_EERKSM_lbbbEUlllE0_EEPmJS6_EEE10hipError_tPvRmT3_T4_T5_T6_T7_T9_mT8_P12ihipStream_tbDpT10_ENKUlT_T0_E_clISt17integral_constantIbLb0EES1C_EEDaS17_S18_EUlS17_E_NS1_11comp_targetILNS1_3genE3ELNS1_11target_archE908ELNS1_3gpuE7ELNS1_3repE0EEENS1_30default_config_static_selectorELNS0_4arch9wavefront6targetE1EEEvT1_
	.p2align	8
	.type	_ZN7rocprim17ROCPRIM_400000_NS6detail17trampoline_kernelINS0_14default_configENS1_25partition_config_selectorILNS1_17partition_subalgoE8ElNS0_10empty_typeEbEEZZNS1_14partition_implILS5_8ELb0ES3_jPlPS6_PKS6_NS0_5tupleIJS9_S6_EEENSD_IJSA_SA_EEENS0_18inequality_wrapperIZN2at6native12_GLOBAL__N_124unique_dim_cuda_templateIiEESt5tupleIJNSH_6TensorESM_SM_EERKSM_lbbbEUlllE0_EEPmJS6_EEE10hipError_tPvRmT3_T4_T5_T6_T7_T9_mT8_P12ihipStream_tbDpT10_ENKUlT_T0_E_clISt17integral_constantIbLb0EES1C_EEDaS17_S18_EUlS17_E_NS1_11comp_targetILNS1_3genE3ELNS1_11target_archE908ELNS1_3gpuE7ELNS1_3repE0EEENS1_30default_config_static_selectorELNS0_4arch9wavefront6targetE1EEEvT1_,@function
_ZN7rocprim17ROCPRIM_400000_NS6detail17trampoline_kernelINS0_14default_configENS1_25partition_config_selectorILNS1_17partition_subalgoE8ElNS0_10empty_typeEbEEZZNS1_14partition_implILS5_8ELb0ES3_jPlPS6_PKS6_NS0_5tupleIJS9_S6_EEENSD_IJSA_SA_EEENS0_18inequality_wrapperIZN2at6native12_GLOBAL__N_124unique_dim_cuda_templateIiEESt5tupleIJNSH_6TensorESM_SM_EERKSM_lbbbEUlllE0_EEPmJS6_EEE10hipError_tPvRmT3_T4_T5_T6_T7_T9_mT8_P12ihipStream_tbDpT10_ENKUlT_T0_E_clISt17integral_constantIbLb0EES1C_EEDaS17_S18_EUlS17_E_NS1_11comp_targetILNS1_3genE3ELNS1_11target_archE908ELNS1_3gpuE7ELNS1_3repE0EEENS1_30default_config_static_selectorELNS0_4arch9wavefront6targetE1EEEvT1_: ; @_ZN7rocprim17ROCPRIM_400000_NS6detail17trampoline_kernelINS0_14default_configENS1_25partition_config_selectorILNS1_17partition_subalgoE8ElNS0_10empty_typeEbEEZZNS1_14partition_implILS5_8ELb0ES3_jPlPS6_PKS6_NS0_5tupleIJS9_S6_EEENSD_IJSA_SA_EEENS0_18inequality_wrapperIZN2at6native12_GLOBAL__N_124unique_dim_cuda_templateIiEESt5tupleIJNSH_6TensorESM_SM_EERKSM_lbbbEUlllE0_EEPmJS6_EEE10hipError_tPvRmT3_T4_T5_T6_T7_T9_mT8_P12ihipStream_tbDpT10_ENKUlT_T0_E_clISt17integral_constantIbLb0EES1C_EEDaS17_S18_EUlS17_E_NS1_11comp_targetILNS1_3genE3ELNS1_11target_archE908ELNS1_3gpuE7ELNS1_3repE0EEENS1_30default_config_static_selectorELNS0_4arch9wavefront6targetE1EEEvT1_
; %bb.0:
	.section	.rodata,"a",@progbits
	.p2align	6, 0x0
	.amdhsa_kernel _ZN7rocprim17ROCPRIM_400000_NS6detail17trampoline_kernelINS0_14default_configENS1_25partition_config_selectorILNS1_17partition_subalgoE8ElNS0_10empty_typeEbEEZZNS1_14partition_implILS5_8ELb0ES3_jPlPS6_PKS6_NS0_5tupleIJS9_S6_EEENSD_IJSA_SA_EEENS0_18inequality_wrapperIZN2at6native12_GLOBAL__N_124unique_dim_cuda_templateIiEESt5tupleIJNSH_6TensorESM_SM_EERKSM_lbbbEUlllE0_EEPmJS6_EEE10hipError_tPvRmT3_T4_T5_T6_T7_T9_mT8_P12ihipStream_tbDpT10_ENKUlT_T0_E_clISt17integral_constantIbLb0EES1C_EEDaS17_S18_EUlS17_E_NS1_11comp_targetILNS1_3genE3ELNS1_11target_archE908ELNS1_3gpuE7ELNS1_3repE0EEENS1_30default_config_static_selectorELNS0_4arch9wavefront6targetE1EEEvT1_
		.amdhsa_group_segment_fixed_size 0
		.amdhsa_private_segment_fixed_size 0
		.amdhsa_kernarg_size 120
		.amdhsa_user_sgpr_count 6
		.amdhsa_user_sgpr_private_segment_buffer 1
		.amdhsa_user_sgpr_dispatch_ptr 0
		.amdhsa_user_sgpr_queue_ptr 0
		.amdhsa_user_sgpr_kernarg_segment_ptr 1
		.amdhsa_user_sgpr_dispatch_id 0
		.amdhsa_user_sgpr_flat_scratch_init 0
		.amdhsa_user_sgpr_kernarg_preload_length 0
		.amdhsa_user_sgpr_kernarg_preload_offset 0
		.amdhsa_user_sgpr_private_segment_size 0
		.amdhsa_uses_dynamic_stack 0
		.amdhsa_system_sgpr_private_segment_wavefront_offset 0
		.amdhsa_system_sgpr_workgroup_id_x 1
		.amdhsa_system_sgpr_workgroup_id_y 0
		.amdhsa_system_sgpr_workgroup_id_z 0
		.amdhsa_system_sgpr_workgroup_info 0
		.amdhsa_system_vgpr_workitem_id 0
		.amdhsa_next_free_vgpr 1
		.amdhsa_next_free_sgpr 0
		.amdhsa_accum_offset 4
		.amdhsa_reserve_vcc 0
		.amdhsa_reserve_flat_scratch 0
		.amdhsa_float_round_mode_32 0
		.amdhsa_float_round_mode_16_64 0
		.amdhsa_float_denorm_mode_32 3
		.amdhsa_float_denorm_mode_16_64 3
		.amdhsa_dx10_clamp 1
		.amdhsa_ieee_mode 1
		.amdhsa_fp16_overflow 0
		.amdhsa_tg_split 0
		.amdhsa_exception_fp_ieee_invalid_op 0
		.amdhsa_exception_fp_denorm_src 0
		.amdhsa_exception_fp_ieee_div_zero 0
		.amdhsa_exception_fp_ieee_overflow 0
		.amdhsa_exception_fp_ieee_underflow 0
		.amdhsa_exception_fp_ieee_inexact 0
		.amdhsa_exception_int_div_zero 0
	.end_amdhsa_kernel
	.section	.text._ZN7rocprim17ROCPRIM_400000_NS6detail17trampoline_kernelINS0_14default_configENS1_25partition_config_selectorILNS1_17partition_subalgoE8ElNS0_10empty_typeEbEEZZNS1_14partition_implILS5_8ELb0ES3_jPlPS6_PKS6_NS0_5tupleIJS9_S6_EEENSD_IJSA_SA_EEENS0_18inequality_wrapperIZN2at6native12_GLOBAL__N_124unique_dim_cuda_templateIiEESt5tupleIJNSH_6TensorESM_SM_EERKSM_lbbbEUlllE0_EEPmJS6_EEE10hipError_tPvRmT3_T4_T5_T6_T7_T9_mT8_P12ihipStream_tbDpT10_ENKUlT_T0_E_clISt17integral_constantIbLb0EES1C_EEDaS17_S18_EUlS17_E_NS1_11comp_targetILNS1_3genE3ELNS1_11target_archE908ELNS1_3gpuE7ELNS1_3repE0EEENS1_30default_config_static_selectorELNS0_4arch9wavefront6targetE1EEEvT1_,"axG",@progbits,_ZN7rocprim17ROCPRIM_400000_NS6detail17trampoline_kernelINS0_14default_configENS1_25partition_config_selectorILNS1_17partition_subalgoE8ElNS0_10empty_typeEbEEZZNS1_14partition_implILS5_8ELb0ES3_jPlPS6_PKS6_NS0_5tupleIJS9_S6_EEENSD_IJSA_SA_EEENS0_18inequality_wrapperIZN2at6native12_GLOBAL__N_124unique_dim_cuda_templateIiEESt5tupleIJNSH_6TensorESM_SM_EERKSM_lbbbEUlllE0_EEPmJS6_EEE10hipError_tPvRmT3_T4_T5_T6_T7_T9_mT8_P12ihipStream_tbDpT10_ENKUlT_T0_E_clISt17integral_constantIbLb0EES1C_EEDaS17_S18_EUlS17_E_NS1_11comp_targetILNS1_3genE3ELNS1_11target_archE908ELNS1_3gpuE7ELNS1_3repE0EEENS1_30default_config_static_selectorELNS0_4arch9wavefront6targetE1EEEvT1_,comdat
.Lfunc_end444:
	.size	_ZN7rocprim17ROCPRIM_400000_NS6detail17trampoline_kernelINS0_14default_configENS1_25partition_config_selectorILNS1_17partition_subalgoE8ElNS0_10empty_typeEbEEZZNS1_14partition_implILS5_8ELb0ES3_jPlPS6_PKS6_NS0_5tupleIJS9_S6_EEENSD_IJSA_SA_EEENS0_18inequality_wrapperIZN2at6native12_GLOBAL__N_124unique_dim_cuda_templateIiEESt5tupleIJNSH_6TensorESM_SM_EERKSM_lbbbEUlllE0_EEPmJS6_EEE10hipError_tPvRmT3_T4_T5_T6_T7_T9_mT8_P12ihipStream_tbDpT10_ENKUlT_T0_E_clISt17integral_constantIbLb0EES1C_EEDaS17_S18_EUlS17_E_NS1_11comp_targetILNS1_3genE3ELNS1_11target_archE908ELNS1_3gpuE7ELNS1_3repE0EEENS1_30default_config_static_selectorELNS0_4arch9wavefront6targetE1EEEvT1_, .Lfunc_end444-_ZN7rocprim17ROCPRIM_400000_NS6detail17trampoline_kernelINS0_14default_configENS1_25partition_config_selectorILNS1_17partition_subalgoE8ElNS0_10empty_typeEbEEZZNS1_14partition_implILS5_8ELb0ES3_jPlPS6_PKS6_NS0_5tupleIJS9_S6_EEENSD_IJSA_SA_EEENS0_18inequality_wrapperIZN2at6native12_GLOBAL__N_124unique_dim_cuda_templateIiEESt5tupleIJNSH_6TensorESM_SM_EERKSM_lbbbEUlllE0_EEPmJS6_EEE10hipError_tPvRmT3_T4_T5_T6_T7_T9_mT8_P12ihipStream_tbDpT10_ENKUlT_T0_E_clISt17integral_constantIbLb0EES1C_EEDaS17_S18_EUlS17_E_NS1_11comp_targetILNS1_3genE3ELNS1_11target_archE908ELNS1_3gpuE7ELNS1_3repE0EEENS1_30default_config_static_selectorELNS0_4arch9wavefront6targetE1EEEvT1_
                                        ; -- End function
	.section	.AMDGPU.csdata,"",@progbits
; Kernel info:
; codeLenInByte = 0
; NumSgprs: 4
; NumVgprs: 0
; NumAgprs: 0
; TotalNumVgprs: 0
; ScratchSize: 0
; MemoryBound: 0
; FloatMode: 240
; IeeeMode: 1
; LDSByteSize: 0 bytes/workgroup (compile time only)
; SGPRBlocks: 0
; VGPRBlocks: 0
; NumSGPRsForWavesPerEU: 4
; NumVGPRsForWavesPerEU: 1
; AccumOffset: 4
; Occupancy: 8
; WaveLimiterHint : 0
; COMPUTE_PGM_RSRC2:SCRATCH_EN: 0
; COMPUTE_PGM_RSRC2:USER_SGPR: 6
; COMPUTE_PGM_RSRC2:TRAP_HANDLER: 0
; COMPUTE_PGM_RSRC2:TGID_X_EN: 1
; COMPUTE_PGM_RSRC2:TGID_Y_EN: 0
; COMPUTE_PGM_RSRC2:TGID_Z_EN: 0
; COMPUTE_PGM_RSRC2:TIDIG_COMP_CNT: 0
; COMPUTE_PGM_RSRC3_GFX90A:ACCUM_OFFSET: 0
; COMPUTE_PGM_RSRC3_GFX90A:TG_SPLIT: 0
	.section	.text._ZN7rocprim17ROCPRIM_400000_NS6detail17trampoline_kernelINS0_14default_configENS1_25partition_config_selectorILNS1_17partition_subalgoE8ElNS0_10empty_typeEbEEZZNS1_14partition_implILS5_8ELb0ES3_jPlPS6_PKS6_NS0_5tupleIJS9_S6_EEENSD_IJSA_SA_EEENS0_18inequality_wrapperIZN2at6native12_GLOBAL__N_124unique_dim_cuda_templateIiEESt5tupleIJNSH_6TensorESM_SM_EERKSM_lbbbEUlllE0_EEPmJS6_EEE10hipError_tPvRmT3_T4_T5_T6_T7_T9_mT8_P12ihipStream_tbDpT10_ENKUlT_T0_E_clISt17integral_constantIbLb0EES1C_EEDaS17_S18_EUlS17_E_NS1_11comp_targetILNS1_3genE2ELNS1_11target_archE906ELNS1_3gpuE6ELNS1_3repE0EEENS1_30default_config_static_selectorELNS0_4arch9wavefront6targetE1EEEvT1_,"axG",@progbits,_ZN7rocprim17ROCPRIM_400000_NS6detail17trampoline_kernelINS0_14default_configENS1_25partition_config_selectorILNS1_17partition_subalgoE8ElNS0_10empty_typeEbEEZZNS1_14partition_implILS5_8ELb0ES3_jPlPS6_PKS6_NS0_5tupleIJS9_S6_EEENSD_IJSA_SA_EEENS0_18inequality_wrapperIZN2at6native12_GLOBAL__N_124unique_dim_cuda_templateIiEESt5tupleIJNSH_6TensorESM_SM_EERKSM_lbbbEUlllE0_EEPmJS6_EEE10hipError_tPvRmT3_T4_T5_T6_T7_T9_mT8_P12ihipStream_tbDpT10_ENKUlT_T0_E_clISt17integral_constantIbLb0EES1C_EEDaS17_S18_EUlS17_E_NS1_11comp_targetILNS1_3genE2ELNS1_11target_archE906ELNS1_3gpuE6ELNS1_3repE0EEENS1_30default_config_static_selectorELNS0_4arch9wavefront6targetE1EEEvT1_,comdat
	.globl	_ZN7rocprim17ROCPRIM_400000_NS6detail17trampoline_kernelINS0_14default_configENS1_25partition_config_selectorILNS1_17partition_subalgoE8ElNS0_10empty_typeEbEEZZNS1_14partition_implILS5_8ELb0ES3_jPlPS6_PKS6_NS0_5tupleIJS9_S6_EEENSD_IJSA_SA_EEENS0_18inequality_wrapperIZN2at6native12_GLOBAL__N_124unique_dim_cuda_templateIiEESt5tupleIJNSH_6TensorESM_SM_EERKSM_lbbbEUlllE0_EEPmJS6_EEE10hipError_tPvRmT3_T4_T5_T6_T7_T9_mT8_P12ihipStream_tbDpT10_ENKUlT_T0_E_clISt17integral_constantIbLb0EES1C_EEDaS17_S18_EUlS17_E_NS1_11comp_targetILNS1_3genE2ELNS1_11target_archE906ELNS1_3gpuE6ELNS1_3repE0EEENS1_30default_config_static_selectorELNS0_4arch9wavefront6targetE1EEEvT1_ ; -- Begin function _ZN7rocprim17ROCPRIM_400000_NS6detail17trampoline_kernelINS0_14default_configENS1_25partition_config_selectorILNS1_17partition_subalgoE8ElNS0_10empty_typeEbEEZZNS1_14partition_implILS5_8ELb0ES3_jPlPS6_PKS6_NS0_5tupleIJS9_S6_EEENSD_IJSA_SA_EEENS0_18inequality_wrapperIZN2at6native12_GLOBAL__N_124unique_dim_cuda_templateIiEESt5tupleIJNSH_6TensorESM_SM_EERKSM_lbbbEUlllE0_EEPmJS6_EEE10hipError_tPvRmT3_T4_T5_T6_T7_T9_mT8_P12ihipStream_tbDpT10_ENKUlT_T0_E_clISt17integral_constantIbLb0EES1C_EEDaS17_S18_EUlS17_E_NS1_11comp_targetILNS1_3genE2ELNS1_11target_archE906ELNS1_3gpuE6ELNS1_3repE0EEENS1_30default_config_static_selectorELNS0_4arch9wavefront6targetE1EEEvT1_
	.p2align	8
	.type	_ZN7rocprim17ROCPRIM_400000_NS6detail17trampoline_kernelINS0_14default_configENS1_25partition_config_selectorILNS1_17partition_subalgoE8ElNS0_10empty_typeEbEEZZNS1_14partition_implILS5_8ELb0ES3_jPlPS6_PKS6_NS0_5tupleIJS9_S6_EEENSD_IJSA_SA_EEENS0_18inequality_wrapperIZN2at6native12_GLOBAL__N_124unique_dim_cuda_templateIiEESt5tupleIJNSH_6TensorESM_SM_EERKSM_lbbbEUlllE0_EEPmJS6_EEE10hipError_tPvRmT3_T4_T5_T6_T7_T9_mT8_P12ihipStream_tbDpT10_ENKUlT_T0_E_clISt17integral_constantIbLb0EES1C_EEDaS17_S18_EUlS17_E_NS1_11comp_targetILNS1_3genE2ELNS1_11target_archE906ELNS1_3gpuE6ELNS1_3repE0EEENS1_30default_config_static_selectorELNS0_4arch9wavefront6targetE1EEEvT1_,@function
_ZN7rocprim17ROCPRIM_400000_NS6detail17trampoline_kernelINS0_14default_configENS1_25partition_config_selectorILNS1_17partition_subalgoE8ElNS0_10empty_typeEbEEZZNS1_14partition_implILS5_8ELb0ES3_jPlPS6_PKS6_NS0_5tupleIJS9_S6_EEENSD_IJSA_SA_EEENS0_18inequality_wrapperIZN2at6native12_GLOBAL__N_124unique_dim_cuda_templateIiEESt5tupleIJNSH_6TensorESM_SM_EERKSM_lbbbEUlllE0_EEPmJS6_EEE10hipError_tPvRmT3_T4_T5_T6_T7_T9_mT8_P12ihipStream_tbDpT10_ENKUlT_T0_E_clISt17integral_constantIbLb0EES1C_EEDaS17_S18_EUlS17_E_NS1_11comp_targetILNS1_3genE2ELNS1_11target_archE906ELNS1_3gpuE6ELNS1_3repE0EEENS1_30default_config_static_selectorELNS0_4arch9wavefront6targetE1EEEvT1_: ; @_ZN7rocprim17ROCPRIM_400000_NS6detail17trampoline_kernelINS0_14default_configENS1_25partition_config_selectorILNS1_17partition_subalgoE8ElNS0_10empty_typeEbEEZZNS1_14partition_implILS5_8ELb0ES3_jPlPS6_PKS6_NS0_5tupleIJS9_S6_EEENSD_IJSA_SA_EEENS0_18inequality_wrapperIZN2at6native12_GLOBAL__N_124unique_dim_cuda_templateIiEESt5tupleIJNSH_6TensorESM_SM_EERKSM_lbbbEUlllE0_EEPmJS6_EEE10hipError_tPvRmT3_T4_T5_T6_T7_T9_mT8_P12ihipStream_tbDpT10_ENKUlT_T0_E_clISt17integral_constantIbLb0EES1C_EEDaS17_S18_EUlS17_E_NS1_11comp_targetILNS1_3genE2ELNS1_11target_archE906ELNS1_3gpuE6ELNS1_3repE0EEENS1_30default_config_static_selectorELNS0_4arch9wavefront6targetE1EEEvT1_
; %bb.0:
	.section	.rodata,"a",@progbits
	.p2align	6, 0x0
	.amdhsa_kernel _ZN7rocprim17ROCPRIM_400000_NS6detail17trampoline_kernelINS0_14default_configENS1_25partition_config_selectorILNS1_17partition_subalgoE8ElNS0_10empty_typeEbEEZZNS1_14partition_implILS5_8ELb0ES3_jPlPS6_PKS6_NS0_5tupleIJS9_S6_EEENSD_IJSA_SA_EEENS0_18inequality_wrapperIZN2at6native12_GLOBAL__N_124unique_dim_cuda_templateIiEESt5tupleIJNSH_6TensorESM_SM_EERKSM_lbbbEUlllE0_EEPmJS6_EEE10hipError_tPvRmT3_T4_T5_T6_T7_T9_mT8_P12ihipStream_tbDpT10_ENKUlT_T0_E_clISt17integral_constantIbLb0EES1C_EEDaS17_S18_EUlS17_E_NS1_11comp_targetILNS1_3genE2ELNS1_11target_archE906ELNS1_3gpuE6ELNS1_3repE0EEENS1_30default_config_static_selectorELNS0_4arch9wavefront6targetE1EEEvT1_
		.amdhsa_group_segment_fixed_size 0
		.amdhsa_private_segment_fixed_size 0
		.amdhsa_kernarg_size 120
		.amdhsa_user_sgpr_count 6
		.amdhsa_user_sgpr_private_segment_buffer 1
		.amdhsa_user_sgpr_dispatch_ptr 0
		.amdhsa_user_sgpr_queue_ptr 0
		.amdhsa_user_sgpr_kernarg_segment_ptr 1
		.amdhsa_user_sgpr_dispatch_id 0
		.amdhsa_user_sgpr_flat_scratch_init 0
		.amdhsa_user_sgpr_kernarg_preload_length 0
		.amdhsa_user_sgpr_kernarg_preload_offset 0
		.amdhsa_user_sgpr_private_segment_size 0
		.amdhsa_uses_dynamic_stack 0
		.amdhsa_system_sgpr_private_segment_wavefront_offset 0
		.amdhsa_system_sgpr_workgroup_id_x 1
		.amdhsa_system_sgpr_workgroup_id_y 0
		.amdhsa_system_sgpr_workgroup_id_z 0
		.amdhsa_system_sgpr_workgroup_info 0
		.amdhsa_system_vgpr_workitem_id 0
		.amdhsa_next_free_vgpr 1
		.amdhsa_next_free_sgpr 0
		.amdhsa_accum_offset 4
		.amdhsa_reserve_vcc 0
		.amdhsa_reserve_flat_scratch 0
		.amdhsa_float_round_mode_32 0
		.amdhsa_float_round_mode_16_64 0
		.amdhsa_float_denorm_mode_32 3
		.amdhsa_float_denorm_mode_16_64 3
		.amdhsa_dx10_clamp 1
		.amdhsa_ieee_mode 1
		.amdhsa_fp16_overflow 0
		.amdhsa_tg_split 0
		.amdhsa_exception_fp_ieee_invalid_op 0
		.amdhsa_exception_fp_denorm_src 0
		.amdhsa_exception_fp_ieee_div_zero 0
		.amdhsa_exception_fp_ieee_overflow 0
		.amdhsa_exception_fp_ieee_underflow 0
		.amdhsa_exception_fp_ieee_inexact 0
		.amdhsa_exception_int_div_zero 0
	.end_amdhsa_kernel
	.section	.text._ZN7rocprim17ROCPRIM_400000_NS6detail17trampoline_kernelINS0_14default_configENS1_25partition_config_selectorILNS1_17partition_subalgoE8ElNS0_10empty_typeEbEEZZNS1_14partition_implILS5_8ELb0ES3_jPlPS6_PKS6_NS0_5tupleIJS9_S6_EEENSD_IJSA_SA_EEENS0_18inequality_wrapperIZN2at6native12_GLOBAL__N_124unique_dim_cuda_templateIiEESt5tupleIJNSH_6TensorESM_SM_EERKSM_lbbbEUlllE0_EEPmJS6_EEE10hipError_tPvRmT3_T4_T5_T6_T7_T9_mT8_P12ihipStream_tbDpT10_ENKUlT_T0_E_clISt17integral_constantIbLb0EES1C_EEDaS17_S18_EUlS17_E_NS1_11comp_targetILNS1_3genE2ELNS1_11target_archE906ELNS1_3gpuE6ELNS1_3repE0EEENS1_30default_config_static_selectorELNS0_4arch9wavefront6targetE1EEEvT1_,"axG",@progbits,_ZN7rocprim17ROCPRIM_400000_NS6detail17trampoline_kernelINS0_14default_configENS1_25partition_config_selectorILNS1_17partition_subalgoE8ElNS0_10empty_typeEbEEZZNS1_14partition_implILS5_8ELb0ES3_jPlPS6_PKS6_NS0_5tupleIJS9_S6_EEENSD_IJSA_SA_EEENS0_18inequality_wrapperIZN2at6native12_GLOBAL__N_124unique_dim_cuda_templateIiEESt5tupleIJNSH_6TensorESM_SM_EERKSM_lbbbEUlllE0_EEPmJS6_EEE10hipError_tPvRmT3_T4_T5_T6_T7_T9_mT8_P12ihipStream_tbDpT10_ENKUlT_T0_E_clISt17integral_constantIbLb0EES1C_EEDaS17_S18_EUlS17_E_NS1_11comp_targetILNS1_3genE2ELNS1_11target_archE906ELNS1_3gpuE6ELNS1_3repE0EEENS1_30default_config_static_selectorELNS0_4arch9wavefront6targetE1EEEvT1_,comdat
.Lfunc_end445:
	.size	_ZN7rocprim17ROCPRIM_400000_NS6detail17trampoline_kernelINS0_14default_configENS1_25partition_config_selectorILNS1_17partition_subalgoE8ElNS0_10empty_typeEbEEZZNS1_14partition_implILS5_8ELb0ES3_jPlPS6_PKS6_NS0_5tupleIJS9_S6_EEENSD_IJSA_SA_EEENS0_18inequality_wrapperIZN2at6native12_GLOBAL__N_124unique_dim_cuda_templateIiEESt5tupleIJNSH_6TensorESM_SM_EERKSM_lbbbEUlllE0_EEPmJS6_EEE10hipError_tPvRmT3_T4_T5_T6_T7_T9_mT8_P12ihipStream_tbDpT10_ENKUlT_T0_E_clISt17integral_constantIbLb0EES1C_EEDaS17_S18_EUlS17_E_NS1_11comp_targetILNS1_3genE2ELNS1_11target_archE906ELNS1_3gpuE6ELNS1_3repE0EEENS1_30default_config_static_selectorELNS0_4arch9wavefront6targetE1EEEvT1_, .Lfunc_end445-_ZN7rocprim17ROCPRIM_400000_NS6detail17trampoline_kernelINS0_14default_configENS1_25partition_config_selectorILNS1_17partition_subalgoE8ElNS0_10empty_typeEbEEZZNS1_14partition_implILS5_8ELb0ES3_jPlPS6_PKS6_NS0_5tupleIJS9_S6_EEENSD_IJSA_SA_EEENS0_18inequality_wrapperIZN2at6native12_GLOBAL__N_124unique_dim_cuda_templateIiEESt5tupleIJNSH_6TensorESM_SM_EERKSM_lbbbEUlllE0_EEPmJS6_EEE10hipError_tPvRmT3_T4_T5_T6_T7_T9_mT8_P12ihipStream_tbDpT10_ENKUlT_T0_E_clISt17integral_constantIbLb0EES1C_EEDaS17_S18_EUlS17_E_NS1_11comp_targetILNS1_3genE2ELNS1_11target_archE906ELNS1_3gpuE6ELNS1_3repE0EEENS1_30default_config_static_selectorELNS0_4arch9wavefront6targetE1EEEvT1_
                                        ; -- End function
	.section	.AMDGPU.csdata,"",@progbits
; Kernel info:
; codeLenInByte = 0
; NumSgprs: 4
; NumVgprs: 0
; NumAgprs: 0
; TotalNumVgprs: 0
; ScratchSize: 0
; MemoryBound: 0
; FloatMode: 240
; IeeeMode: 1
; LDSByteSize: 0 bytes/workgroup (compile time only)
; SGPRBlocks: 0
; VGPRBlocks: 0
; NumSGPRsForWavesPerEU: 4
; NumVGPRsForWavesPerEU: 1
; AccumOffset: 4
; Occupancy: 8
; WaveLimiterHint : 0
; COMPUTE_PGM_RSRC2:SCRATCH_EN: 0
; COMPUTE_PGM_RSRC2:USER_SGPR: 6
; COMPUTE_PGM_RSRC2:TRAP_HANDLER: 0
; COMPUTE_PGM_RSRC2:TGID_X_EN: 1
; COMPUTE_PGM_RSRC2:TGID_Y_EN: 0
; COMPUTE_PGM_RSRC2:TGID_Z_EN: 0
; COMPUTE_PGM_RSRC2:TIDIG_COMP_CNT: 0
; COMPUTE_PGM_RSRC3_GFX90A:ACCUM_OFFSET: 0
; COMPUTE_PGM_RSRC3_GFX90A:TG_SPLIT: 0
	.section	.text._ZN7rocprim17ROCPRIM_400000_NS6detail17trampoline_kernelINS0_14default_configENS1_25partition_config_selectorILNS1_17partition_subalgoE8ElNS0_10empty_typeEbEEZZNS1_14partition_implILS5_8ELb0ES3_jPlPS6_PKS6_NS0_5tupleIJS9_S6_EEENSD_IJSA_SA_EEENS0_18inequality_wrapperIZN2at6native12_GLOBAL__N_124unique_dim_cuda_templateIiEESt5tupleIJNSH_6TensorESM_SM_EERKSM_lbbbEUlllE0_EEPmJS6_EEE10hipError_tPvRmT3_T4_T5_T6_T7_T9_mT8_P12ihipStream_tbDpT10_ENKUlT_T0_E_clISt17integral_constantIbLb0EES1C_EEDaS17_S18_EUlS17_E_NS1_11comp_targetILNS1_3genE10ELNS1_11target_archE1200ELNS1_3gpuE4ELNS1_3repE0EEENS1_30default_config_static_selectorELNS0_4arch9wavefront6targetE1EEEvT1_,"axG",@progbits,_ZN7rocprim17ROCPRIM_400000_NS6detail17trampoline_kernelINS0_14default_configENS1_25partition_config_selectorILNS1_17partition_subalgoE8ElNS0_10empty_typeEbEEZZNS1_14partition_implILS5_8ELb0ES3_jPlPS6_PKS6_NS0_5tupleIJS9_S6_EEENSD_IJSA_SA_EEENS0_18inequality_wrapperIZN2at6native12_GLOBAL__N_124unique_dim_cuda_templateIiEESt5tupleIJNSH_6TensorESM_SM_EERKSM_lbbbEUlllE0_EEPmJS6_EEE10hipError_tPvRmT3_T4_T5_T6_T7_T9_mT8_P12ihipStream_tbDpT10_ENKUlT_T0_E_clISt17integral_constantIbLb0EES1C_EEDaS17_S18_EUlS17_E_NS1_11comp_targetILNS1_3genE10ELNS1_11target_archE1200ELNS1_3gpuE4ELNS1_3repE0EEENS1_30default_config_static_selectorELNS0_4arch9wavefront6targetE1EEEvT1_,comdat
	.globl	_ZN7rocprim17ROCPRIM_400000_NS6detail17trampoline_kernelINS0_14default_configENS1_25partition_config_selectorILNS1_17partition_subalgoE8ElNS0_10empty_typeEbEEZZNS1_14partition_implILS5_8ELb0ES3_jPlPS6_PKS6_NS0_5tupleIJS9_S6_EEENSD_IJSA_SA_EEENS0_18inequality_wrapperIZN2at6native12_GLOBAL__N_124unique_dim_cuda_templateIiEESt5tupleIJNSH_6TensorESM_SM_EERKSM_lbbbEUlllE0_EEPmJS6_EEE10hipError_tPvRmT3_T4_T5_T6_T7_T9_mT8_P12ihipStream_tbDpT10_ENKUlT_T0_E_clISt17integral_constantIbLb0EES1C_EEDaS17_S18_EUlS17_E_NS1_11comp_targetILNS1_3genE10ELNS1_11target_archE1200ELNS1_3gpuE4ELNS1_3repE0EEENS1_30default_config_static_selectorELNS0_4arch9wavefront6targetE1EEEvT1_ ; -- Begin function _ZN7rocprim17ROCPRIM_400000_NS6detail17trampoline_kernelINS0_14default_configENS1_25partition_config_selectorILNS1_17partition_subalgoE8ElNS0_10empty_typeEbEEZZNS1_14partition_implILS5_8ELb0ES3_jPlPS6_PKS6_NS0_5tupleIJS9_S6_EEENSD_IJSA_SA_EEENS0_18inequality_wrapperIZN2at6native12_GLOBAL__N_124unique_dim_cuda_templateIiEESt5tupleIJNSH_6TensorESM_SM_EERKSM_lbbbEUlllE0_EEPmJS6_EEE10hipError_tPvRmT3_T4_T5_T6_T7_T9_mT8_P12ihipStream_tbDpT10_ENKUlT_T0_E_clISt17integral_constantIbLb0EES1C_EEDaS17_S18_EUlS17_E_NS1_11comp_targetILNS1_3genE10ELNS1_11target_archE1200ELNS1_3gpuE4ELNS1_3repE0EEENS1_30default_config_static_selectorELNS0_4arch9wavefront6targetE1EEEvT1_
	.p2align	8
	.type	_ZN7rocprim17ROCPRIM_400000_NS6detail17trampoline_kernelINS0_14default_configENS1_25partition_config_selectorILNS1_17partition_subalgoE8ElNS0_10empty_typeEbEEZZNS1_14partition_implILS5_8ELb0ES3_jPlPS6_PKS6_NS0_5tupleIJS9_S6_EEENSD_IJSA_SA_EEENS0_18inequality_wrapperIZN2at6native12_GLOBAL__N_124unique_dim_cuda_templateIiEESt5tupleIJNSH_6TensorESM_SM_EERKSM_lbbbEUlllE0_EEPmJS6_EEE10hipError_tPvRmT3_T4_T5_T6_T7_T9_mT8_P12ihipStream_tbDpT10_ENKUlT_T0_E_clISt17integral_constantIbLb0EES1C_EEDaS17_S18_EUlS17_E_NS1_11comp_targetILNS1_3genE10ELNS1_11target_archE1200ELNS1_3gpuE4ELNS1_3repE0EEENS1_30default_config_static_selectorELNS0_4arch9wavefront6targetE1EEEvT1_,@function
_ZN7rocprim17ROCPRIM_400000_NS6detail17trampoline_kernelINS0_14default_configENS1_25partition_config_selectorILNS1_17partition_subalgoE8ElNS0_10empty_typeEbEEZZNS1_14partition_implILS5_8ELb0ES3_jPlPS6_PKS6_NS0_5tupleIJS9_S6_EEENSD_IJSA_SA_EEENS0_18inequality_wrapperIZN2at6native12_GLOBAL__N_124unique_dim_cuda_templateIiEESt5tupleIJNSH_6TensorESM_SM_EERKSM_lbbbEUlllE0_EEPmJS6_EEE10hipError_tPvRmT3_T4_T5_T6_T7_T9_mT8_P12ihipStream_tbDpT10_ENKUlT_T0_E_clISt17integral_constantIbLb0EES1C_EEDaS17_S18_EUlS17_E_NS1_11comp_targetILNS1_3genE10ELNS1_11target_archE1200ELNS1_3gpuE4ELNS1_3repE0EEENS1_30default_config_static_selectorELNS0_4arch9wavefront6targetE1EEEvT1_: ; @_ZN7rocprim17ROCPRIM_400000_NS6detail17trampoline_kernelINS0_14default_configENS1_25partition_config_selectorILNS1_17partition_subalgoE8ElNS0_10empty_typeEbEEZZNS1_14partition_implILS5_8ELb0ES3_jPlPS6_PKS6_NS0_5tupleIJS9_S6_EEENSD_IJSA_SA_EEENS0_18inequality_wrapperIZN2at6native12_GLOBAL__N_124unique_dim_cuda_templateIiEESt5tupleIJNSH_6TensorESM_SM_EERKSM_lbbbEUlllE0_EEPmJS6_EEE10hipError_tPvRmT3_T4_T5_T6_T7_T9_mT8_P12ihipStream_tbDpT10_ENKUlT_T0_E_clISt17integral_constantIbLb0EES1C_EEDaS17_S18_EUlS17_E_NS1_11comp_targetILNS1_3genE10ELNS1_11target_archE1200ELNS1_3gpuE4ELNS1_3repE0EEENS1_30default_config_static_selectorELNS0_4arch9wavefront6targetE1EEEvT1_
; %bb.0:
	.section	.rodata,"a",@progbits
	.p2align	6, 0x0
	.amdhsa_kernel _ZN7rocprim17ROCPRIM_400000_NS6detail17trampoline_kernelINS0_14default_configENS1_25partition_config_selectorILNS1_17partition_subalgoE8ElNS0_10empty_typeEbEEZZNS1_14partition_implILS5_8ELb0ES3_jPlPS6_PKS6_NS0_5tupleIJS9_S6_EEENSD_IJSA_SA_EEENS0_18inequality_wrapperIZN2at6native12_GLOBAL__N_124unique_dim_cuda_templateIiEESt5tupleIJNSH_6TensorESM_SM_EERKSM_lbbbEUlllE0_EEPmJS6_EEE10hipError_tPvRmT3_T4_T5_T6_T7_T9_mT8_P12ihipStream_tbDpT10_ENKUlT_T0_E_clISt17integral_constantIbLb0EES1C_EEDaS17_S18_EUlS17_E_NS1_11comp_targetILNS1_3genE10ELNS1_11target_archE1200ELNS1_3gpuE4ELNS1_3repE0EEENS1_30default_config_static_selectorELNS0_4arch9wavefront6targetE1EEEvT1_
		.amdhsa_group_segment_fixed_size 0
		.amdhsa_private_segment_fixed_size 0
		.amdhsa_kernarg_size 120
		.amdhsa_user_sgpr_count 6
		.amdhsa_user_sgpr_private_segment_buffer 1
		.amdhsa_user_sgpr_dispatch_ptr 0
		.amdhsa_user_sgpr_queue_ptr 0
		.amdhsa_user_sgpr_kernarg_segment_ptr 1
		.amdhsa_user_sgpr_dispatch_id 0
		.amdhsa_user_sgpr_flat_scratch_init 0
		.amdhsa_user_sgpr_kernarg_preload_length 0
		.amdhsa_user_sgpr_kernarg_preload_offset 0
		.amdhsa_user_sgpr_private_segment_size 0
		.amdhsa_uses_dynamic_stack 0
		.amdhsa_system_sgpr_private_segment_wavefront_offset 0
		.amdhsa_system_sgpr_workgroup_id_x 1
		.amdhsa_system_sgpr_workgroup_id_y 0
		.amdhsa_system_sgpr_workgroup_id_z 0
		.amdhsa_system_sgpr_workgroup_info 0
		.amdhsa_system_vgpr_workitem_id 0
		.amdhsa_next_free_vgpr 1
		.amdhsa_next_free_sgpr 0
		.amdhsa_accum_offset 4
		.amdhsa_reserve_vcc 0
		.amdhsa_reserve_flat_scratch 0
		.amdhsa_float_round_mode_32 0
		.amdhsa_float_round_mode_16_64 0
		.amdhsa_float_denorm_mode_32 3
		.amdhsa_float_denorm_mode_16_64 3
		.amdhsa_dx10_clamp 1
		.amdhsa_ieee_mode 1
		.amdhsa_fp16_overflow 0
		.amdhsa_tg_split 0
		.amdhsa_exception_fp_ieee_invalid_op 0
		.amdhsa_exception_fp_denorm_src 0
		.amdhsa_exception_fp_ieee_div_zero 0
		.amdhsa_exception_fp_ieee_overflow 0
		.amdhsa_exception_fp_ieee_underflow 0
		.amdhsa_exception_fp_ieee_inexact 0
		.amdhsa_exception_int_div_zero 0
	.end_amdhsa_kernel
	.section	.text._ZN7rocprim17ROCPRIM_400000_NS6detail17trampoline_kernelINS0_14default_configENS1_25partition_config_selectorILNS1_17partition_subalgoE8ElNS0_10empty_typeEbEEZZNS1_14partition_implILS5_8ELb0ES3_jPlPS6_PKS6_NS0_5tupleIJS9_S6_EEENSD_IJSA_SA_EEENS0_18inequality_wrapperIZN2at6native12_GLOBAL__N_124unique_dim_cuda_templateIiEESt5tupleIJNSH_6TensorESM_SM_EERKSM_lbbbEUlllE0_EEPmJS6_EEE10hipError_tPvRmT3_T4_T5_T6_T7_T9_mT8_P12ihipStream_tbDpT10_ENKUlT_T0_E_clISt17integral_constantIbLb0EES1C_EEDaS17_S18_EUlS17_E_NS1_11comp_targetILNS1_3genE10ELNS1_11target_archE1200ELNS1_3gpuE4ELNS1_3repE0EEENS1_30default_config_static_selectorELNS0_4arch9wavefront6targetE1EEEvT1_,"axG",@progbits,_ZN7rocprim17ROCPRIM_400000_NS6detail17trampoline_kernelINS0_14default_configENS1_25partition_config_selectorILNS1_17partition_subalgoE8ElNS0_10empty_typeEbEEZZNS1_14partition_implILS5_8ELb0ES3_jPlPS6_PKS6_NS0_5tupleIJS9_S6_EEENSD_IJSA_SA_EEENS0_18inequality_wrapperIZN2at6native12_GLOBAL__N_124unique_dim_cuda_templateIiEESt5tupleIJNSH_6TensorESM_SM_EERKSM_lbbbEUlllE0_EEPmJS6_EEE10hipError_tPvRmT3_T4_T5_T6_T7_T9_mT8_P12ihipStream_tbDpT10_ENKUlT_T0_E_clISt17integral_constantIbLb0EES1C_EEDaS17_S18_EUlS17_E_NS1_11comp_targetILNS1_3genE10ELNS1_11target_archE1200ELNS1_3gpuE4ELNS1_3repE0EEENS1_30default_config_static_selectorELNS0_4arch9wavefront6targetE1EEEvT1_,comdat
.Lfunc_end446:
	.size	_ZN7rocprim17ROCPRIM_400000_NS6detail17trampoline_kernelINS0_14default_configENS1_25partition_config_selectorILNS1_17partition_subalgoE8ElNS0_10empty_typeEbEEZZNS1_14partition_implILS5_8ELb0ES3_jPlPS6_PKS6_NS0_5tupleIJS9_S6_EEENSD_IJSA_SA_EEENS0_18inequality_wrapperIZN2at6native12_GLOBAL__N_124unique_dim_cuda_templateIiEESt5tupleIJNSH_6TensorESM_SM_EERKSM_lbbbEUlllE0_EEPmJS6_EEE10hipError_tPvRmT3_T4_T5_T6_T7_T9_mT8_P12ihipStream_tbDpT10_ENKUlT_T0_E_clISt17integral_constantIbLb0EES1C_EEDaS17_S18_EUlS17_E_NS1_11comp_targetILNS1_3genE10ELNS1_11target_archE1200ELNS1_3gpuE4ELNS1_3repE0EEENS1_30default_config_static_selectorELNS0_4arch9wavefront6targetE1EEEvT1_, .Lfunc_end446-_ZN7rocprim17ROCPRIM_400000_NS6detail17trampoline_kernelINS0_14default_configENS1_25partition_config_selectorILNS1_17partition_subalgoE8ElNS0_10empty_typeEbEEZZNS1_14partition_implILS5_8ELb0ES3_jPlPS6_PKS6_NS0_5tupleIJS9_S6_EEENSD_IJSA_SA_EEENS0_18inequality_wrapperIZN2at6native12_GLOBAL__N_124unique_dim_cuda_templateIiEESt5tupleIJNSH_6TensorESM_SM_EERKSM_lbbbEUlllE0_EEPmJS6_EEE10hipError_tPvRmT3_T4_T5_T6_T7_T9_mT8_P12ihipStream_tbDpT10_ENKUlT_T0_E_clISt17integral_constantIbLb0EES1C_EEDaS17_S18_EUlS17_E_NS1_11comp_targetILNS1_3genE10ELNS1_11target_archE1200ELNS1_3gpuE4ELNS1_3repE0EEENS1_30default_config_static_selectorELNS0_4arch9wavefront6targetE1EEEvT1_
                                        ; -- End function
	.section	.AMDGPU.csdata,"",@progbits
; Kernel info:
; codeLenInByte = 0
; NumSgprs: 4
; NumVgprs: 0
; NumAgprs: 0
; TotalNumVgprs: 0
; ScratchSize: 0
; MemoryBound: 0
; FloatMode: 240
; IeeeMode: 1
; LDSByteSize: 0 bytes/workgroup (compile time only)
; SGPRBlocks: 0
; VGPRBlocks: 0
; NumSGPRsForWavesPerEU: 4
; NumVGPRsForWavesPerEU: 1
; AccumOffset: 4
; Occupancy: 8
; WaveLimiterHint : 0
; COMPUTE_PGM_RSRC2:SCRATCH_EN: 0
; COMPUTE_PGM_RSRC2:USER_SGPR: 6
; COMPUTE_PGM_RSRC2:TRAP_HANDLER: 0
; COMPUTE_PGM_RSRC2:TGID_X_EN: 1
; COMPUTE_PGM_RSRC2:TGID_Y_EN: 0
; COMPUTE_PGM_RSRC2:TGID_Z_EN: 0
; COMPUTE_PGM_RSRC2:TIDIG_COMP_CNT: 0
; COMPUTE_PGM_RSRC3_GFX90A:ACCUM_OFFSET: 0
; COMPUTE_PGM_RSRC3_GFX90A:TG_SPLIT: 0
	.section	.text._ZN7rocprim17ROCPRIM_400000_NS6detail17trampoline_kernelINS0_14default_configENS1_25partition_config_selectorILNS1_17partition_subalgoE8ElNS0_10empty_typeEbEEZZNS1_14partition_implILS5_8ELb0ES3_jPlPS6_PKS6_NS0_5tupleIJS9_S6_EEENSD_IJSA_SA_EEENS0_18inequality_wrapperIZN2at6native12_GLOBAL__N_124unique_dim_cuda_templateIiEESt5tupleIJNSH_6TensorESM_SM_EERKSM_lbbbEUlllE0_EEPmJS6_EEE10hipError_tPvRmT3_T4_T5_T6_T7_T9_mT8_P12ihipStream_tbDpT10_ENKUlT_T0_E_clISt17integral_constantIbLb0EES1C_EEDaS17_S18_EUlS17_E_NS1_11comp_targetILNS1_3genE9ELNS1_11target_archE1100ELNS1_3gpuE3ELNS1_3repE0EEENS1_30default_config_static_selectorELNS0_4arch9wavefront6targetE1EEEvT1_,"axG",@progbits,_ZN7rocprim17ROCPRIM_400000_NS6detail17trampoline_kernelINS0_14default_configENS1_25partition_config_selectorILNS1_17partition_subalgoE8ElNS0_10empty_typeEbEEZZNS1_14partition_implILS5_8ELb0ES3_jPlPS6_PKS6_NS0_5tupleIJS9_S6_EEENSD_IJSA_SA_EEENS0_18inequality_wrapperIZN2at6native12_GLOBAL__N_124unique_dim_cuda_templateIiEESt5tupleIJNSH_6TensorESM_SM_EERKSM_lbbbEUlllE0_EEPmJS6_EEE10hipError_tPvRmT3_T4_T5_T6_T7_T9_mT8_P12ihipStream_tbDpT10_ENKUlT_T0_E_clISt17integral_constantIbLb0EES1C_EEDaS17_S18_EUlS17_E_NS1_11comp_targetILNS1_3genE9ELNS1_11target_archE1100ELNS1_3gpuE3ELNS1_3repE0EEENS1_30default_config_static_selectorELNS0_4arch9wavefront6targetE1EEEvT1_,comdat
	.globl	_ZN7rocprim17ROCPRIM_400000_NS6detail17trampoline_kernelINS0_14default_configENS1_25partition_config_selectorILNS1_17partition_subalgoE8ElNS0_10empty_typeEbEEZZNS1_14partition_implILS5_8ELb0ES3_jPlPS6_PKS6_NS0_5tupleIJS9_S6_EEENSD_IJSA_SA_EEENS0_18inequality_wrapperIZN2at6native12_GLOBAL__N_124unique_dim_cuda_templateIiEESt5tupleIJNSH_6TensorESM_SM_EERKSM_lbbbEUlllE0_EEPmJS6_EEE10hipError_tPvRmT3_T4_T5_T6_T7_T9_mT8_P12ihipStream_tbDpT10_ENKUlT_T0_E_clISt17integral_constantIbLb0EES1C_EEDaS17_S18_EUlS17_E_NS1_11comp_targetILNS1_3genE9ELNS1_11target_archE1100ELNS1_3gpuE3ELNS1_3repE0EEENS1_30default_config_static_selectorELNS0_4arch9wavefront6targetE1EEEvT1_ ; -- Begin function _ZN7rocprim17ROCPRIM_400000_NS6detail17trampoline_kernelINS0_14default_configENS1_25partition_config_selectorILNS1_17partition_subalgoE8ElNS0_10empty_typeEbEEZZNS1_14partition_implILS5_8ELb0ES3_jPlPS6_PKS6_NS0_5tupleIJS9_S6_EEENSD_IJSA_SA_EEENS0_18inequality_wrapperIZN2at6native12_GLOBAL__N_124unique_dim_cuda_templateIiEESt5tupleIJNSH_6TensorESM_SM_EERKSM_lbbbEUlllE0_EEPmJS6_EEE10hipError_tPvRmT3_T4_T5_T6_T7_T9_mT8_P12ihipStream_tbDpT10_ENKUlT_T0_E_clISt17integral_constantIbLb0EES1C_EEDaS17_S18_EUlS17_E_NS1_11comp_targetILNS1_3genE9ELNS1_11target_archE1100ELNS1_3gpuE3ELNS1_3repE0EEENS1_30default_config_static_selectorELNS0_4arch9wavefront6targetE1EEEvT1_
	.p2align	8
	.type	_ZN7rocprim17ROCPRIM_400000_NS6detail17trampoline_kernelINS0_14default_configENS1_25partition_config_selectorILNS1_17partition_subalgoE8ElNS0_10empty_typeEbEEZZNS1_14partition_implILS5_8ELb0ES3_jPlPS6_PKS6_NS0_5tupleIJS9_S6_EEENSD_IJSA_SA_EEENS0_18inequality_wrapperIZN2at6native12_GLOBAL__N_124unique_dim_cuda_templateIiEESt5tupleIJNSH_6TensorESM_SM_EERKSM_lbbbEUlllE0_EEPmJS6_EEE10hipError_tPvRmT3_T4_T5_T6_T7_T9_mT8_P12ihipStream_tbDpT10_ENKUlT_T0_E_clISt17integral_constantIbLb0EES1C_EEDaS17_S18_EUlS17_E_NS1_11comp_targetILNS1_3genE9ELNS1_11target_archE1100ELNS1_3gpuE3ELNS1_3repE0EEENS1_30default_config_static_selectorELNS0_4arch9wavefront6targetE1EEEvT1_,@function
_ZN7rocprim17ROCPRIM_400000_NS6detail17trampoline_kernelINS0_14default_configENS1_25partition_config_selectorILNS1_17partition_subalgoE8ElNS0_10empty_typeEbEEZZNS1_14partition_implILS5_8ELb0ES3_jPlPS6_PKS6_NS0_5tupleIJS9_S6_EEENSD_IJSA_SA_EEENS0_18inequality_wrapperIZN2at6native12_GLOBAL__N_124unique_dim_cuda_templateIiEESt5tupleIJNSH_6TensorESM_SM_EERKSM_lbbbEUlllE0_EEPmJS6_EEE10hipError_tPvRmT3_T4_T5_T6_T7_T9_mT8_P12ihipStream_tbDpT10_ENKUlT_T0_E_clISt17integral_constantIbLb0EES1C_EEDaS17_S18_EUlS17_E_NS1_11comp_targetILNS1_3genE9ELNS1_11target_archE1100ELNS1_3gpuE3ELNS1_3repE0EEENS1_30default_config_static_selectorELNS0_4arch9wavefront6targetE1EEEvT1_: ; @_ZN7rocprim17ROCPRIM_400000_NS6detail17trampoline_kernelINS0_14default_configENS1_25partition_config_selectorILNS1_17partition_subalgoE8ElNS0_10empty_typeEbEEZZNS1_14partition_implILS5_8ELb0ES3_jPlPS6_PKS6_NS0_5tupleIJS9_S6_EEENSD_IJSA_SA_EEENS0_18inequality_wrapperIZN2at6native12_GLOBAL__N_124unique_dim_cuda_templateIiEESt5tupleIJNSH_6TensorESM_SM_EERKSM_lbbbEUlllE0_EEPmJS6_EEE10hipError_tPvRmT3_T4_T5_T6_T7_T9_mT8_P12ihipStream_tbDpT10_ENKUlT_T0_E_clISt17integral_constantIbLb0EES1C_EEDaS17_S18_EUlS17_E_NS1_11comp_targetILNS1_3genE9ELNS1_11target_archE1100ELNS1_3gpuE3ELNS1_3repE0EEENS1_30default_config_static_selectorELNS0_4arch9wavefront6targetE1EEEvT1_
; %bb.0:
	.section	.rodata,"a",@progbits
	.p2align	6, 0x0
	.amdhsa_kernel _ZN7rocprim17ROCPRIM_400000_NS6detail17trampoline_kernelINS0_14default_configENS1_25partition_config_selectorILNS1_17partition_subalgoE8ElNS0_10empty_typeEbEEZZNS1_14partition_implILS5_8ELb0ES3_jPlPS6_PKS6_NS0_5tupleIJS9_S6_EEENSD_IJSA_SA_EEENS0_18inequality_wrapperIZN2at6native12_GLOBAL__N_124unique_dim_cuda_templateIiEESt5tupleIJNSH_6TensorESM_SM_EERKSM_lbbbEUlllE0_EEPmJS6_EEE10hipError_tPvRmT3_T4_T5_T6_T7_T9_mT8_P12ihipStream_tbDpT10_ENKUlT_T0_E_clISt17integral_constantIbLb0EES1C_EEDaS17_S18_EUlS17_E_NS1_11comp_targetILNS1_3genE9ELNS1_11target_archE1100ELNS1_3gpuE3ELNS1_3repE0EEENS1_30default_config_static_selectorELNS0_4arch9wavefront6targetE1EEEvT1_
		.amdhsa_group_segment_fixed_size 0
		.amdhsa_private_segment_fixed_size 0
		.amdhsa_kernarg_size 120
		.amdhsa_user_sgpr_count 6
		.amdhsa_user_sgpr_private_segment_buffer 1
		.amdhsa_user_sgpr_dispatch_ptr 0
		.amdhsa_user_sgpr_queue_ptr 0
		.amdhsa_user_sgpr_kernarg_segment_ptr 1
		.amdhsa_user_sgpr_dispatch_id 0
		.amdhsa_user_sgpr_flat_scratch_init 0
		.amdhsa_user_sgpr_kernarg_preload_length 0
		.amdhsa_user_sgpr_kernarg_preload_offset 0
		.amdhsa_user_sgpr_private_segment_size 0
		.amdhsa_uses_dynamic_stack 0
		.amdhsa_system_sgpr_private_segment_wavefront_offset 0
		.amdhsa_system_sgpr_workgroup_id_x 1
		.amdhsa_system_sgpr_workgroup_id_y 0
		.amdhsa_system_sgpr_workgroup_id_z 0
		.amdhsa_system_sgpr_workgroup_info 0
		.amdhsa_system_vgpr_workitem_id 0
		.amdhsa_next_free_vgpr 1
		.amdhsa_next_free_sgpr 0
		.amdhsa_accum_offset 4
		.amdhsa_reserve_vcc 0
		.amdhsa_reserve_flat_scratch 0
		.amdhsa_float_round_mode_32 0
		.amdhsa_float_round_mode_16_64 0
		.amdhsa_float_denorm_mode_32 3
		.amdhsa_float_denorm_mode_16_64 3
		.amdhsa_dx10_clamp 1
		.amdhsa_ieee_mode 1
		.amdhsa_fp16_overflow 0
		.amdhsa_tg_split 0
		.amdhsa_exception_fp_ieee_invalid_op 0
		.amdhsa_exception_fp_denorm_src 0
		.amdhsa_exception_fp_ieee_div_zero 0
		.amdhsa_exception_fp_ieee_overflow 0
		.amdhsa_exception_fp_ieee_underflow 0
		.amdhsa_exception_fp_ieee_inexact 0
		.amdhsa_exception_int_div_zero 0
	.end_amdhsa_kernel
	.section	.text._ZN7rocprim17ROCPRIM_400000_NS6detail17trampoline_kernelINS0_14default_configENS1_25partition_config_selectorILNS1_17partition_subalgoE8ElNS0_10empty_typeEbEEZZNS1_14partition_implILS5_8ELb0ES3_jPlPS6_PKS6_NS0_5tupleIJS9_S6_EEENSD_IJSA_SA_EEENS0_18inequality_wrapperIZN2at6native12_GLOBAL__N_124unique_dim_cuda_templateIiEESt5tupleIJNSH_6TensorESM_SM_EERKSM_lbbbEUlllE0_EEPmJS6_EEE10hipError_tPvRmT3_T4_T5_T6_T7_T9_mT8_P12ihipStream_tbDpT10_ENKUlT_T0_E_clISt17integral_constantIbLb0EES1C_EEDaS17_S18_EUlS17_E_NS1_11comp_targetILNS1_3genE9ELNS1_11target_archE1100ELNS1_3gpuE3ELNS1_3repE0EEENS1_30default_config_static_selectorELNS0_4arch9wavefront6targetE1EEEvT1_,"axG",@progbits,_ZN7rocprim17ROCPRIM_400000_NS6detail17trampoline_kernelINS0_14default_configENS1_25partition_config_selectorILNS1_17partition_subalgoE8ElNS0_10empty_typeEbEEZZNS1_14partition_implILS5_8ELb0ES3_jPlPS6_PKS6_NS0_5tupleIJS9_S6_EEENSD_IJSA_SA_EEENS0_18inequality_wrapperIZN2at6native12_GLOBAL__N_124unique_dim_cuda_templateIiEESt5tupleIJNSH_6TensorESM_SM_EERKSM_lbbbEUlllE0_EEPmJS6_EEE10hipError_tPvRmT3_T4_T5_T6_T7_T9_mT8_P12ihipStream_tbDpT10_ENKUlT_T0_E_clISt17integral_constantIbLb0EES1C_EEDaS17_S18_EUlS17_E_NS1_11comp_targetILNS1_3genE9ELNS1_11target_archE1100ELNS1_3gpuE3ELNS1_3repE0EEENS1_30default_config_static_selectorELNS0_4arch9wavefront6targetE1EEEvT1_,comdat
.Lfunc_end447:
	.size	_ZN7rocprim17ROCPRIM_400000_NS6detail17trampoline_kernelINS0_14default_configENS1_25partition_config_selectorILNS1_17partition_subalgoE8ElNS0_10empty_typeEbEEZZNS1_14partition_implILS5_8ELb0ES3_jPlPS6_PKS6_NS0_5tupleIJS9_S6_EEENSD_IJSA_SA_EEENS0_18inequality_wrapperIZN2at6native12_GLOBAL__N_124unique_dim_cuda_templateIiEESt5tupleIJNSH_6TensorESM_SM_EERKSM_lbbbEUlllE0_EEPmJS6_EEE10hipError_tPvRmT3_T4_T5_T6_T7_T9_mT8_P12ihipStream_tbDpT10_ENKUlT_T0_E_clISt17integral_constantIbLb0EES1C_EEDaS17_S18_EUlS17_E_NS1_11comp_targetILNS1_3genE9ELNS1_11target_archE1100ELNS1_3gpuE3ELNS1_3repE0EEENS1_30default_config_static_selectorELNS0_4arch9wavefront6targetE1EEEvT1_, .Lfunc_end447-_ZN7rocprim17ROCPRIM_400000_NS6detail17trampoline_kernelINS0_14default_configENS1_25partition_config_selectorILNS1_17partition_subalgoE8ElNS0_10empty_typeEbEEZZNS1_14partition_implILS5_8ELb0ES3_jPlPS6_PKS6_NS0_5tupleIJS9_S6_EEENSD_IJSA_SA_EEENS0_18inequality_wrapperIZN2at6native12_GLOBAL__N_124unique_dim_cuda_templateIiEESt5tupleIJNSH_6TensorESM_SM_EERKSM_lbbbEUlllE0_EEPmJS6_EEE10hipError_tPvRmT3_T4_T5_T6_T7_T9_mT8_P12ihipStream_tbDpT10_ENKUlT_T0_E_clISt17integral_constantIbLb0EES1C_EEDaS17_S18_EUlS17_E_NS1_11comp_targetILNS1_3genE9ELNS1_11target_archE1100ELNS1_3gpuE3ELNS1_3repE0EEENS1_30default_config_static_selectorELNS0_4arch9wavefront6targetE1EEEvT1_
                                        ; -- End function
	.section	.AMDGPU.csdata,"",@progbits
; Kernel info:
; codeLenInByte = 0
; NumSgprs: 4
; NumVgprs: 0
; NumAgprs: 0
; TotalNumVgprs: 0
; ScratchSize: 0
; MemoryBound: 0
; FloatMode: 240
; IeeeMode: 1
; LDSByteSize: 0 bytes/workgroup (compile time only)
; SGPRBlocks: 0
; VGPRBlocks: 0
; NumSGPRsForWavesPerEU: 4
; NumVGPRsForWavesPerEU: 1
; AccumOffset: 4
; Occupancy: 8
; WaveLimiterHint : 0
; COMPUTE_PGM_RSRC2:SCRATCH_EN: 0
; COMPUTE_PGM_RSRC2:USER_SGPR: 6
; COMPUTE_PGM_RSRC2:TRAP_HANDLER: 0
; COMPUTE_PGM_RSRC2:TGID_X_EN: 1
; COMPUTE_PGM_RSRC2:TGID_Y_EN: 0
; COMPUTE_PGM_RSRC2:TGID_Z_EN: 0
; COMPUTE_PGM_RSRC2:TIDIG_COMP_CNT: 0
; COMPUTE_PGM_RSRC3_GFX90A:ACCUM_OFFSET: 0
; COMPUTE_PGM_RSRC3_GFX90A:TG_SPLIT: 0
	.section	.text._ZN7rocprim17ROCPRIM_400000_NS6detail17trampoline_kernelINS0_14default_configENS1_25partition_config_selectorILNS1_17partition_subalgoE8ElNS0_10empty_typeEbEEZZNS1_14partition_implILS5_8ELb0ES3_jPlPS6_PKS6_NS0_5tupleIJS9_S6_EEENSD_IJSA_SA_EEENS0_18inequality_wrapperIZN2at6native12_GLOBAL__N_124unique_dim_cuda_templateIiEESt5tupleIJNSH_6TensorESM_SM_EERKSM_lbbbEUlllE0_EEPmJS6_EEE10hipError_tPvRmT3_T4_T5_T6_T7_T9_mT8_P12ihipStream_tbDpT10_ENKUlT_T0_E_clISt17integral_constantIbLb0EES1C_EEDaS17_S18_EUlS17_E_NS1_11comp_targetILNS1_3genE8ELNS1_11target_archE1030ELNS1_3gpuE2ELNS1_3repE0EEENS1_30default_config_static_selectorELNS0_4arch9wavefront6targetE1EEEvT1_,"axG",@progbits,_ZN7rocprim17ROCPRIM_400000_NS6detail17trampoline_kernelINS0_14default_configENS1_25partition_config_selectorILNS1_17partition_subalgoE8ElNS0_10empty_typeEbEEZZNS1_14partition_implILS5_8ELb0ES3_jPlPS6_PKS6_NS0_5tupleIJS9_S6_EEENSD_IJSA_SA_EEENS0_18inequality_wrapperIZN2at6native12_GLOBAL__N_124unique_dim_cuda_templateIiEESt5tupleIJNSH_6TensorESM_SM_EERKSM_lbbbEUlllE0_EEPmJS6_EEE10hipError_tPvRmT3_T4_T5_T6_T7_T9_mT8_P12ihipStream_tbDpT10_ENKUlT_T0_E_clISt17integral_constantIbLb0EES1C_EEDaS17_S18_EUlS17_E_NS1_11comp_targetILNS1_3genE8ELNS1_11target_archE1030ELNS1_3gpuE2ELNS1_3repE0EEENS1_30default_config_static_selectorELNS0_4arch9wavefront6targetE1EEEvT1_,comdat
	.globl	_ZN7rocprim17ROCPRIM_400000_NS6detail17trampoline_kernelINS0_14default_configENS1_25partition_config_selectorILNS1_17partition_subalgoE8ElNS0_10empty_typeEbEEZZNS1_14partition_implILS5_8ELb0ES3_jPlPS6_PKS6_NS0_5tupleIJS9_S6_EEENSD_IJSA_SA_EEENS0_18inequality_wrapperIZN2at6native12_GLOBAL__N_124unique_dim_cuda_templateIiEESt5tupleIJNSH_6TensorESM_SM_EERKSM_lbbbEUlllE0_EEPmJS6_EEE10hipError_tPvRmT3_T4_T5_T6_T7_T9_mT8_P12ihipStream_tbDpT10_ENKUlT_T0_E_clISt17integral_constantIbLb0EES1C_EEDaS17_S18_EUlS17_E_NS1_11comp_targetILNS1_3genE8ELNS1_11target_archE1030ELNS1_3gpuE2ELNS1_3repE0EEENS1_30default_config_static_selectorELNS0_4arch9wavefront6targetE1EEEvT1_ ; -- Begin function _ZN7rocprim17ROCPRIM_400000_NS6detail17trampoline_kernelINS0_14default_configENS1_25partition_config_selectorILNS1_17partition_subalgoE8ElNS0_10empty_typeEbEEZZNS1_14partition_implILS5_8ELb0ES3_jPlPS6_PKS6_NS0_5tupleIJS9_S6_EEENSD_IJSA_SA_EEENS0_18inequality_wrapperIZN2at6native12_GLOBAL__N_124unique_dim_cuda_templateIiEESt5tupleIJNSH_6TensorESM_SM_EERKSM_lbbbEUlllE0_EEPmJS6_EEE10hipError_tPvRmT3_T4_T5_T6_T7_T9_mT8_P12ihipStream_tbDpT10_ENKUlT_T0_E_clISt17integral_constantIbLb0EES1C_EEDaS17_S18_EUlS17_E_NS1_11comp_targetILNS1_3genE8ELNS1_11target_archE1030ELNS1_3gpuE2ELNS1_3repE0EEENS1_30default_config_static_selectorELNS0_4arch9wavefront6targetE1EEEvT1_
	.p2align	8
	.type	_ZN7rocprim17ROCPRIM_400000_NS6detail17trampoline_kernelINS0_14default_configENS1_25partition_config_selectorILNS1_17partition_subalgoE8ElNS0_10empty_typeEbEEZZNS1_14partition_implILS5_8ELb0ES3_jPlPS6_PKS6_NS0_5tupleIJS9_S6_EEENSD_IJSA_SA_EEENS0_18inequality_wrapperIZN2at6native12_GLOBAL__N_124unique_dim_cuda_templateIiEESt5tupleIJNSH_6TensorESM_SM_EERKSM_lbbbEUlllE0_EEPmJS6_EEE10hipError_tPvRmT3_T4_T5_T6_T7_T9_mT8_P12ihipStream_tbDpT10_ENKUlT_T0_E_clISt17integral_constantIbLb0EES1C_EEDaS17_S18_EUlS17_E_NS1_11comp_targetILNS1_3genE8ELNS1_11target_archE1030ELNS1_3gpuE2ELNS1_3repE0EEENS1_30default_config_static_selectorELNS0_4arch9wavefront6targetE1EEEvT1_,@function
_ZN7rocprim17ROCPRIM_400000_NS6detail17trampoline_kernelINS0_14default_configENS1_25partition_config_selectorILNS1_17partition_subalgoE8ElNS0_10empty_typeEbEEZZNS1_14partition_implILS5_8ELb0ES3_jPlPS6_PKS6_NS0_5tupleIJS9_S6_EEENSD_IJSA_SA_EEENS0_18inequality_wrapperIZN2at6native12_GLOBAL__N_124unique_dim_cuda_templateIiEESt5tupleIJNSH_6TensorESM_SM_EERKSM_lbbbEUlllE0_EEPmJS6_EEE10hipError_tPvRmT3_T4_T5_T6_T7_T9_mT8_P12ihipStream_tbDpT10_ENKUlT_T0_E_clISt17integral_constantIbLb0EES1C_EEDaS17_S18_EUlS17_E_NS1_11comp_targetILNS1_3genE8ELNS1_11target_archE1030ELNS1_3gpuE2ELNS1_3repE0EEENS1_30default_config_static_selectorELNS0_4arch9wavefront6targetE1EEEvT1_: ; @_ZN7rocprim17ROCPRIM_400000_NS6detail17trampoline_kernelINS0_14default_configENS1_25partition_config_selectorILNS1_17partition_subalgoE8ElNS0_10empty_typeEbEEZZNS1_14partition_implILS5_8ELb0ES3_jPlPS6_PKS6_NS0_5tupleIJS9_S6_EEENSD_IJSA_SA_EEENS0_18inequality_wrapperIZN2at6native12_GLOBAL__N_124unique_dim_cuda_templateIiEESt5tupleIJNSH_6TensorESM_SM_EERKSM_lbbbEUlllE0_EEPmJS6_EEE10hipError_tPvRmT3_T4_T5_T6_T7_T9_mT8_P12ihipStream_tbDpT10_ENKUlT_T0_E_clISt17integral_constantIbLb0EES1C_EEDaS17_S18_EUlS17_E_NS1_11comp_targetILNS1_3genE8ELNS1_11target_archE1030ELNS1_3gpuE2ELNS1_3repE0EEENS1_30default_config_static_selectorELNS0_4arch9wavefront6targetE1EEEvT1_
; %bb.0:
	.section	.rodata,"a",@progbits
	.p2align	6, 0x0
	.amdhsa_kernel _ZN7rocprim17ROCPRIM_400000_NS6detail17trampoline_kernelINS0_14default_configENS1_25partition_config_selectorILNS1_17partition_subalgoE8ElNS0_10empty_typeEbEEZZNS1_14partition_implILS5_8ELb0ES3_jPlPS6_PKS6_NS0_5tupleIJS9_S6_EEENSD_IJSA_SA_EEENS0_18inequality_wrapperIZN2at6native12_GLOBAL__N_124unique_dim_cuda_templateIiEESt5tupleIJNSH_6TensorESM_SM_EERKSM_lbbbEUlllE0_EEPmJS6_EEE10hipError_tPvRmT3_T4_T5_T6_T7_T9_mT8_P12ihipStream_tbDpT10_ENKUlT_T0_E_clISt17integral_constantIbLb0EES1C_EEDaS17_S18_EUlS17_E_NS1_11comp_targetILNS1_3genE8ELNS1_11target_archE1030ELNS1_3gpuE2ELNS1_3repE0EEENS1_30default_config_static_selectorELNS0_4arch9wavefront6targetE1EEEvT1_
		.amdhsa_group_segment_fixed_size 0
		.amdhsa_private_segment_fixed_size 0
		.amdhsa_kernarg_size 120
		.amdhsa_user_sgpr_count 6
		.amdhsa_user_sgpr_private_segment_buffer 1
		.amdhsa_user_sgpr_dispatch_ptr 0
		.amdhsa_user_sgpr_queue_ptr 0
		.amdhsa_user_sgpr_kernarg_segment_ptr 1
		.amdhsa_user_sgpr_dispatch_id 0
		.amdhsa_user_sgpr_flat_scratch_init 0
		.amdhsa_user_sgpr_kernarg_preload_length 0
		.amdhsa_user_sgpr_kernarg_preload_offset 0
		.amdhsa_user_sgpr_private_segment_size 0
		.amdhsa_uses_dynamic_stack 0
		.amdhsa_system_sgpr_private_segment_wavefront_offset 0
		.amdhsa_system_sgpr_workgroup_id_x 1
		.amdhsa_system_sgpr_workgroup_id_y 0
		.amdhsa_system_sgpr_workgroup_id_z 0
		.amdhsa_system_sgpr_workgroup_info 0
		.amdhsa_system_vgpr_workitem_id 0
		.amdhsa_next_free_vgpr 1
		.amdhsa_next_free_sgpr 0
		.amdhsa_accum_offset 4
		.amdhsa_reserve_vcc 0
		.amdhsa_reserve_flat_scratch 0
		.amdhsa_float_round_mode_32 0
		.amdhsa_float_round_mode_16_64 0
		.amdhsa_float_denorm_mode_32 3
		.amdhsa_float_denorm_mode_16_64 3
		.amdhsa_dx10_clamp 1
		.amdhsa_ieee_mode 1
		.amdhsa_fp16_overflow 0
		.amdhsa_tg_split 0
		.amdhsa_exception_fp_ieee_invalid_op 0
		.amdhsa_exception_fp_denorm_src 0
		.amdhsa_exception_fp_ieee_div_zero 0
		.amdhsa_exception_fp_ieee_overflow 0
		.amdhsa_exception_fp_ieee_underflow 0
		.amdhsa_exception_fp_ieee_inexact 0
		.amdhsa_exception_int_div_zero 0
	.end_amdhsa_kernel
	.section	.text._ZN7rocprim17ROCPRIM_400000_NS6detail17trampoline_kernelINS0_14default_configENS1_25partition_config_selectorILNS1_17partition_subalgoE8ElNS0_10empty_typeEbEEZZNS1_14partition_implILS5_8ELb0ES3_jPlPS6_PKS6_NS0_5tupleIJS9_S6_EEENSD_IJSA_SA_EEENS0_18inequality_wrapperIZN2at6native12_GLOBAL__N_124unique_dim_cuda_templateIiEESt5tupleIJNSH_6TensorESM_SM_EERKSM_lbbbEUlllE0_EEPmJS6_EEE10hipError_tPvRmT3_T4_T5_T6_T7_T9_mT8_P12ihipStream_tbDpT10_ENKUlT_T0_E_clISt17integral_constantIbLb0EES1C_EEDaS17_S18_EUlS17_E_NS1_11comp_targetILNS1_3genE8ELNS1_11target_archE1030ELNS1_3gpuE2ELNS1_3repE0EEENS1_30default_config_static_selectorELNS0_4arch9wavefront6targetE1EEEvT1_,"axG",@progbits,_ZN7rocprim17ROCPRIM_400000_NS6detail17trampoline_kernelINS0_14default_configENS1_25partition_config_selectorILNS1_17partition_subalgoE8ElNS0_10empty_typeEbEEZZNS1_14partition_implILS5_8ELb0ES3_jPlPS6_PKS6_NS0_5tupleIJS9_S6_EEENSD_IJSA_SA_EEENS0_18inequality_wrapperIZN2at6native12_GLOBAL__N_124unique_dim_cuda_templateIiEESt5tupleIJNSH_6TensorESM_SM_EERKSM_lbbbEUlllE0_EEPmJS6_EEE10hipError_tPvRmT3_T4_T5_T6_T7_T9_mT8_P12ihipStream_tbDpT10_ENKUlT_T0_E_clISt17integral_constantIbLb0EES1C_EEDaS17_S18_EUlS17_E_NS1_11comp_targetILNS1_3genE8ELNS1_11target_archE1030ELNS1_3gpuE2ELNS1_3repE0EEENS1_30default_config_static_selectorELNS0_4arch9wavefront6targetE1EEEvT1_,comdat
.Lfunc_end448:
	.size	_ZN7rocprim17ROCPRIM_400000_NS6detail17trampoline_kernelINS0_14default_configENS1_25partition_config_selectorILNS1_17partition_subalgoE8ElNS0_10empty_typeEbEEZZNS1_14partition_implILS5_8ELb0ES3_jPlPS6_PKS6_NS0_5tupleIJS9_S6_EEENSD_IJSA_SA_EEENS0_18inequality_wrapperIZN2at6native12_GLOBAL__N_124unique_dim_cuda_templateIiEESt5tupleIJNSH_6TensorESM_SM_EERKSM_lbbbEUlllE0_EEPmJS6_EEE10hipError_tPvRmT3_T4_T5_T6_T7_T9_mT8_P12ihipStream_tbDpT10_ENKUlT_T0_E_clISt17integral_constantIbLb0EES1C_EEDaS17_S18_EUlS17_E_NS1_11comp_targetILNS1_3genE8ELNS1_11target_archE1030ELNS1_3gpuE2ELNS1_3repE0EEENS1_30default_config_static_selectorELNS0_4arch9wavefront6targetE1EEEvT1_, .Lfunc_end448-_ZN7rocprim17ROCPRIM_400000_NS6detail17trampoline_kernelINS0_14default_configENS1_25partition_config_selectorILNS1_17partition_subalgoE8ElNS0_10empty_typeEbEEZZNS1_14partition_implILS5_8ELb0ES3_jPlPS6_PKS6_NS0_5tupleIJS9_S6_EEENSD_IJSA_SA_EEENS0_18inequality_wrapperIZN2at6native12_GLOBAL__N_124unique_dim_cuda_templateIiEESt5tupleIJNSH_6TensorESM_SM_EERKSM_lbbbEUlllE0_EEPmJS6_EEE10hipError_tPvRmT3_T4_T5_T6_T7_T9_mT8_P12ihipStream_tbDpT10_ENKUlT_T0_E_clISt17integral_constantIbLb0EES1C_EEDaS17_S18_EUlS17_E_NS1_11comp_targetILNS1_3genE8ELNS1_11target_archE1030ELNS1_3gpuE2ELNS1_3repE0EEENS1_30default_config_static_selectorELNS0_4arch9wavefront6targetE1EEEvT1_
                                        ; -- End function
	.section	.AMDGPU.csdata,"",@progbits
; Kernel info:
; codeLenInByte = 0
; NumSgprs: 4
; NumVgprs: 0
; NumAgprs: 0
; TotalNumVgprs: 0
; ScratchSize: 0
; MemoryBound: 0
; FloatMode: 240
; IeeeMode: 1
; LDSByteSize: 0 bytes/workgroup (compile time only)
; SGPRBlocks: 0
; VGPRBlocks: 0
; NumSGPRsForWavesPerEU: 4
; NumVGPRsForWavesPerEU: 1
; AccumOffset: 4
; Occupancy: 8
; WaveLimiterHint : 0
; COMPUTE_PGM_RSRC2:SCRATCH_EN: 0
; COMPUTE_PGM_RSRC2:USER_SGPR: 6
; COMPUTE_PGM_RSRC2:TRAP_HANDLER: 0
; COMPUTE_PGM_RSRC2:TGID_X_EN: 1
; COMPUTE_PGM_RSRC2:TGID_Y_EN: 0
; COMPUTE_PGM_RSRC2:TGID_Z_EN: 0
; COMPUTE_PGM_RSRC2:TIDIG_COMP_CNT: 0
; COMPUTE_PGM_RSRC3_GFX90A:ACCUM_OFFSET: 0
; COMPUTE_PGM_RSRC3_GFX90A:TG_SPLIT: 0
	.section	.text._ZN7rocprim17ROCPRIM_400000_NS6detail17trampoline_kernelINS0_14default_configENS1_25partition_config_selectorILNS1_17partition_subalgoE8ElNS0_10empty_typeEbEEZZNS1_14partition_implILS5_8ELb0ES3_jPlPS6_PKS6_NS0_5tupleIJS9_S6_EEENSD_IJSA_SA_EEENS0_18inequality_wrapperIZN2at6native12_GLOBAL__N_124unique_dim_cuda_templateIiEESt5tupleIJNSH_6TensorESM_SM_EERKSM_lbbbEUlllE0_EEPmJS6_EEE10hipError_tPvRmT3_T4_T5_T6_T7_T9_mT8_P12ihipStream_tbDpT10_ENKUlT_T0_E_clISt17integral_constantIbLb1EES1C_EEDaS17_S18_EUlS17_E_NS1_11comp_targetILNS1_3genE0ELNS1_11target_archE4294967295ELNS1_3gpuE0ELNS1_3repE0EEENS1_30default_config_static_selectorELNS0_4arch9wavefront6targetE1EEEvT1_,"axG",@progbits,_ZN7rocprim17ROCPRIM_400000_NS6detail17trampoline_kernelINS0_14default_configENS1_25partition_config_selectorILNS1_17partition_subalgoE8ElNS0_10empty_typeEbEEZZNS1_14partition_implILS5_8ELb0ES3_jPlPS6_PKS6_NS0_5tupleIJS9_S6_EEENSD_IJSA_SA_EEENS0_18inequality_wrapperIZN2at6native12_GLOBAL__N_124unique_dim_cuda_templateIiEESt5tupleIJNSH_6TensorESM_SM_EERKSM_lbbbEUlllE0_EEPmJS6_EEE10hipError_tPvRmT3_T4_T5_T6_T7_T9_mT8_P12ihipStream_tbDpT10_ENKUlT_T0_E_clISt17integral_constantIbLb1EES1C_EEDaS17_S18_EUlS17_E_NS1_11comp_targetILNS1_3genE0ELNS1_11target_archE4294967295ELNS1_3gpuE0ELNS1_3repE0EEENS1_30default_config_static_selectorELNS0_4arch9wavefront6targetE1EEEvT1_,comdat
	.globl	_ZN7rocprim17ROCPRIM_400000_NS6detail17trampoline_kernelINS0_14default_configENS1_25partition_config_selectorILNS1_17partition_subalgoE8ElNS0_10empty_typeEbEEZZNS1_14partition_implILS5_8ELb0ES3_jPlPS6_PKS6_NS0_5tupleIJS9_S6_EEENSD_IJSA_SA_EEENS0_18inequality_wrapperIZN2at6native12_GLOBAL__N_124unique_dim_cuda_templateIiEESt5tupleIJNSH_6TensorESM_SM_EERKSM_lbbbEUlllE0_EEPmJS6_EEE10hipError_tPvRmT3_T4_T5_T6_T7_T9_mT8_P12ihipStream_tbDpT10_ENKUlT_T0_E_clISt17integral_constantIbLb1EES1C_EEDaS17_S18_EUlS17_E_NS1_11comp_targetILNS1_3genE0ELNS1_11target_archE4294967295ELNS1_3gpuE0ELNS1_3repE0EEENS1_30default_config_static_selectorELNS0_4arch9wavefront6targetE1EEEvT1_ ; -- Begin function _ZN7rocprim17ROCPRIM_400000_NS6detail17trampoline_kernelINS0_14default_configENS1_25partition_config_selectorILNS1_17partition_subalgoE8ElNS0_10empty_typeEbEEZZNS1_14partition_implILS5_8ELb0ES3_jPlPS6_PKS6_NS0_5tupleIJS9_S6_EEENSD_IJSA_SA_EEENS0_18inequality_wrapperIZN2at6native12_GLOBAL__N_124unique_dim_cuda_templateIiEESt5tupleIJNSH_6TensorESM_SM_EERKSM_lbbbEUlllE0_EEPmJS6_EEE10hipError_tPvRmT3_T4_T5_T6_T7_T9_mT8_P12ihipStream_tbDpT10_ENKUlT_T0_E_clISt17integral_constantIbLb1EES1C_EEDaS17_S18_EUlS17_E_NS1_11comp_targetILNS1_3genE0ELNS1_11target_archE4294967295ELNS1_3gpuE0ELNS1_3repE0EEENS1_30default_config_static_selectorELNS0_4arch9wavefront6targetE1EEEvT1_
	.p2align	8
	.type	_ZN7rocprim17ROCPRIM_400000_NS6detail17trampoline_kernelINS0_14default_configENS1_25partition_config_selectorILNS1_17partition_subalgoE8ElNS0_10empty_typeEbEEZZNS1_14partition_implILS5_8ELb0ES3_jPlPS6_PKS6_NS0_5tupleIJS9_S6_EEENSD_IJSA_SA_EEENS0_18inequality_wrapperIZN2at6native12_GLOBAL__N_124unique_dim_cuda_templateIiEESt5tupleIJNSH_6TensorESM_SM_EERKSM_lbbbEUlllE0_EEPmJS6_EEE10hipError_tPvRmT3_T4_T5_T6_T7_T9_mT8_P12ihipStream_tbDpT10_ENKUlT_T0_E_clISt17integral_constantIbLb1EES1C_EEDaS17_S18_EUlS17_E_NS1_11comp_targetILNS1_3genE0ELNS1_11target_archE4294967295ELNS1_3gpuE0ELNS1_3repE0EEENS1_30default_config_static_selectorELNS0_4arch9wavefront6targetE1EEEvT1_,@function
_ZN7rocprim17ROCPRIM_400000_NS6detail17trampoline_kernelINS0_14default_configENS1_25partition_config_selectorILNS1_17partition_subalgoE8ElNS0_10empty_typeEbEEZZNS1_14partition_implILS5_8ELb0ES3_jPlPS6_PKS6_NS0_5tupleIJS9_S6_EEENSD_IJSA_SA_EEENS0_18inequality_wrapperIZN2at6native12_GLOBAL__N_124unique_dim_cuda_templateIiEESt5tupleIJNSH_6TensorESM_SM_EERKSM_lbbbEUlllE0_EEPmJS6_EEE10hipError_tPvRmT3_T4_T5_T6_T7_T9_mT8_P12ihipStream_tbDpT10_ENKUlT_T0_E_clISt17integral_constantIbLb1EES1C_EEDaS17_S18_EUlS17_E_NS1_11comp_targetILNS1_3genE0ELNS1_11target_archE4294967295ELNS1_3gpuE0ELNS1_3repE0EEENS1_30default_config_static_selectorELNS0_4arch9wavefront6targetE1EEEvT1_: ; @_ZN7rocprim17ROCPRIM_400000_NS6detail17trampoline_kernelINS0_14default_configENS1_25partition_config_selectorILNS1_17partition_subalgoE8ElNS0_10empty_typeEbEEZZNS1_14partition_implILS5_8ELb0ES3_jPlPS6_PKS6_NS0_5tupleIJS9_S6_EEENSD_IJSA_SA_EEENS0_18inequality_wrapperIZN2at6native12_GLOBAL__N_124unique_dim_cuda_templateIiEESt5tupleIJNSH_6TensorESM_SM_EERKSM_lbbbEUlllE0_EEPmJS6_EEE10hipError_tPvRmT3_T4_T5_T6_T7_T9_mT8_P12ihipStream_tbDpT10_ENKUlT_T0_E_clISt17integral_constantIbLb1EES1C_EEDaS17_S18_EUlS17_E_NS1_11comp_targetILNS1_3genE0ELNS1_11target_archE4294967295ELNS1_3gpuE0ELNS1_3repE0EEENS1_30default_config_static_selectorELNS0_4arch9wavefront6targetE1EEEvT1_
; %bb.0:
	.section	.rodata,"a",@progbits
	.p2align	6, 0x0
	.amdhsa_kernel _ZN7rocprim17ROCPRIM_400000_NS6detail17trampoline_kernelINS0_14default_configENS1_25partition_config_selectorILNS1_17partition_subalgoE8ElNS0_10empty_typeEbEEZZNS1_14partition_implILS5_8ELb0ES3_jPlPS6_PKS6_NS0_5tupleIJS9_S6_EEENSD_IJSA_SA_EEENS0_18inequality_wrapperIZN2at6native12_GLOBAL__N_124unique_dim_cuda_templateIiEESt5tupleIJNSH_6TensorESM_SM_EERKSM_lbbbEUlllE0_EEPmJS6_EEE10hipError_tPvRmT3_T4_T5_T6_T7_T9_mT8_P12ihipStream_tbDpT10_ENKUlT_T0_E_clISt17integral_constantIbLb1EES1C_EEDaS17_S18_EUlS17_E_NS1_11comp_targetILNS1_3genE0ELNS1_11target_archE4294967295ELNS1_3gpuE0ELNS1_3repE0EEENS1_30default_config_static_selectorELNS0_4arch9wavefront6targetE1EEEvT1_
		.amdhsa_group_segment_fixed_size 0
		.amdhsa_private_segment_fixed_size 0
		.amdhsa_kernarg_size 136
		.amdhsa_user_sgpr_count 6
		.amdhsa_user_sgpr_private_segment_buffer 1
		.amdhsa_user_sgpr_dispatch_ptr 0
		.amdhsa_user_sgpr_queue_ptr 0
		.amdhsa_user_sgpr_kernarg_segment_ptr 1
		.amdhsa_user_sgpr_dispatch_id 0
		.amdhsa_user_sgpr_flat_scratch_init 0
		.amdhsa_user_sgpr_kernarg_preload_length 0
		.amdhsa_user_sgpr_kernarg_preload_offset 0
		.amdhsa_user_sgpr_private_segment_size 0
		.amdhsa_uses_dynamic_stack 0
		.amdhsa_system_sgpr_private_segment_wavefront_offset 0
		.amdhsa_system_sgpr_workgroup_id_x 1
		.amdhsa_system_sgpr_workgroup_id_y 0
		.amdhsa_system_sgpr_workgroup_id_z 0
		.amdhsa_system_sgpr_workgroup_info 0
		.amdhsa_system_vgpr_workitem_id 0
		.amdhsa_next_free_vgpr 1
		.amdhsa_next_free_sgpr 0
		.amdhsa_accum_offset 4
		.amdhsa_reserve_vcc 0
		.amdhsa_reserve_flat_scratch 0
		.amdhsa_float_round_mode_32 0
		.amdhsa_float_round_mode_16_64 0
		.amdhsa_float_denorm_mode_32 3
		.amdhsa_float_denorm_mode_16_64 3
		.amdhsa_dx10_clamp 1
		.amdhsa_ieee_mode 1
		.amdhsa_fp16_overflow 0
		.amdhsa_tg_split 0
		.amdhsa_exception_fp_ieee_invalid_op 0
		.amdhsa_exception_fp_denorm_src 0
		.amdhsa_exception_fp_ieee_div_zero 0
		.amdhsa_exception_fp_ieee_overflow 0
		.amdhsa_exception_fp_ieee_underflow 0
		.amdhsa_exception_fp_ieee_inexact 0
		.amdhsa_exception_int_div_zero 0
	.end_amdhsa_kernel
	.section	.text._ZN7rocprim17ROCPRIM_400000_NS6detail17trampoline_kernelINS0_14default_configENS1_25partition_config_selectorILNS1_17partition_subalgoE8ElNS0_10empty_typeEbEEZZNS1_14partition_implILS5_8ELb0ES3_jPlPS6_PKS6_NS0_5tupleIJS9_S6_EEENSD_IJSA_SA_EEENS0_18inequality_wrapperIZN2at6native12_GLOBAL__N_124unique_dim_cuda_templateIiEESt5tupleIJNSH_6TensorESM_SM_EERKSM_lbbbEUlllE0_EEPmJS6_EEE10hipError_tPvRmT3_T4_T5_T6_T7_T9_mT8_P12ihipStream_tbDpT10_ENKUlT_T0_E_clISt17integral_constantIbLb1EES1C_EEDaS17_S18_EUlS17_E_NS1_11comp_targetILNS1_3genE0ELNS1_11target_archE4294967295ELNS1_3gpuE0ELNS1_3repE0EEENS1_30default_config_static_selectorELNS0_4arch9wavefront6targetE1EEEvT1_,"axG",@progbits,_ZN7rocprim17ROCPRIM_400000_NS6detail17trampoline_kernelINS0_14default_configENS1_25partition_config_selectorILNS1_17partition_subalgoE8ElNS0_10empty_typeEbEEZZNS1_14partition_implILS5_8ELb0ES3_jPlPS6_PKS6_NS0_5tupleIJS9_S6_EEENSD_IJSA_SA_EEENS0_18inequality_wrapperIZN2at6native12_GLOBAL__N_124unique_dim_cuda_templateIiEESt5tupleIJNSH_6TensorESM_SM_EERKSM_lbbbEUlllE0_EEPmJS6_EEE10hipError_tPvRmT3_T4_T5_T6_T7_T9_mT8_P12ihipStream_tbDpT10_ENKUlT_T0_E_clISt17integral_constantIbLb1EES1C_EEDaS17_S18_EUlS17_E_NS1_11comp_targetILNS1_3genE0ELNS1_11target_archE4294967295ELNS1_3gpuE0ELNS1_3repE0EEENS1_30default_config_static_selectorELNS0_4arch9wavefront6targetE1EEEvT1_,comdat
.Lfunc_end449:
	.size	_ZN7rocprim17ROCPRIM_400000_NS6detail17trampoline_kernelINS0_14default_configENS1_25partition_config_selectorILNS1_17partition_subalgoE8ElNS0_10empty_typeEbEEZZNS1_14partition_implILS5_8ELb0ES3_jPlPS6_PKS6_NS0_5tupleIJS9_S6_EEENSD_IJSA_SA_EEENS0_18inequality_wrapperIZN2at6native12_GLOBAL__N_124unique_dim_cuda_templateIiEESt5tupleIJNSH_6TensorESM_SM_EERKSM_lbbbEUlllE0_EEPmJS6_EEE10hipError_tPvRmT3_T4_T5_T6_T7_T9_mT8_P12ihipStream_tbDpT10_ENKUlT_T0_E_clISt17integral_constantIbLb1EES1C_EEDaS17_S18_EUlS17_E_NS1_11comp_targetILNS1_3genE0ELNS1_11target_archE4294967295ELNS1_3gpuE0ELNS1_3repE0EEENS1_30default_config_static_selectorELNS0_4arch9wavefront6targetE1EEEvT1_, .Lfunc_end449-_ZN7rocprim17ROCPRIM_400000_NS6detail17trampoline_kernelINS0_14default_configENS1_25partition_config_selectorILNS1_17partition_subalgoE8ElNS0_10empty_typeEbEEZZNS1_14partition_implILS5_8ELb0ES3_jPlPS6_PKS6_NS0_5tupleIJS9_S6_EEENSD_IJSA_SA_EEENS0_18inequality_wrapperIZN2at6native12_GLOBAL__N_124unique_dim_cuda_templateIiEESt5tupleIJNSH_6TensorESM_SM_EERKSM_lbbbEUlllE0_EEPmJS6_EEE10hipError_tPvRmT3_T4_T5_T6_T7_T9_mT8_P12ihipStream_tbDpT10_ENKUlT_T0_E_clISt17integral_constantIbLb1EES1C_EEDaS17_S18_EUlS17_E_NS1_11comp_targetILNS1_3genE0ELNS1_11target_archE4294967295ELNS1_3gpuE0ELNS1_3repE0EEENS1_30default_config_static_selectorELNS0_4arch9wavefront6targetE1EEEvT1_
                                        ; -- End function
	.section	.AMDGPU.csdata,"",@progbits
; Kernel info:
; codeLenInByte = 0
; NumSgprs: 4
; NumVgprs: 0
; NumAgprs: 0
; TotalNumVgprs: 0
; ScratchSize: 0
; MemoryBound: 0
; FloatMode: 240
; IeeeMode: 1
; LDSByteSize: 0 bytes/workgroup (compile time only)
; SGPRBlocks: 0
; VGPRBlocks: 0
; NumSGPRsForWavesPerEU: 4
; NumVGPRsForWavesPerEU: 1
; AccumOffset: 4
; Occupancy: 8
; WaveLimiterHint : 0
; COMPUTE_PGM_RSRC2:SCRATCH_EN: 0
; COMPUTE_PGM_RSRC2:USER_SGPR: 6
; COMPUTE_PGM_RSRC2:TRAP_HANDLER: 0
; COMPUTE_PGM_RSRC2:TGID_X_EN: 1
; COMPUTE_PGM_RSRC2:TGID_Y_EN: 0
; COMPUTE_PGM_RSRC2:TGID_Z_EN: 0
; COMPUTE_PGM_RSRC2:TIDIG_COMP_CNT: 0
; COMPUTE_PGM_RSRC3_GFX90A:ACCUM_OFFSET: 0
; COMPUTE_PGM_RSRC3_GFX90A:TG_SPLIT: 0
	.section	.text._ZN7rocprim17ROCPRIM_400000_NS6detail17trampoline_kernelINS0_14default_configENS1_25partition_config_selectorILNS1_17partition_subalgoE8ElNS0_10empty_typeEbEEZZNS1_14partition_implILS5_8ELb0ES3_jPlPS6_PKS6_NS0_5tupleIJS9_S6_EEENSD_IJSA_SA_EEENS0_18inequality_wrapperIZN2at6native12_GLOBAL__N_124unique_dim_cuda_templateIiEESt5tupleIJNSH_6TensorESM_SM_EERKSM_lbbbEUlllE0_EEPmJS6_EEE10hipError_tPvRmT3_T4_T5_T6_T7_T9_mT8_P12ihipStream_tbDpT10_ENKUlT_T0_E_clISt17integral_constantIbLb1EES1C_EEDaS17_S18_EUlS17_E_NS1_11comp_targetILNS1_3genE5ELNS1_11target_archE942ELNS1_3gpuE9ELNS1_3repE0EEENS1_30default_config_static_selectorELNS0_4arch9wavefront6targetE1EEEvT1_,"axG",@progbits,_ZN7rocprim17ROCPRIM_400000_NS6detail17trampoline_kernelINS0_14default_configENS1_25partition_config_selectorILNS1_17partition_subalgoE8ElNS0_10empty_typeEbEEZZNS1_14partition_implILS5_8ELb0ES3_jPlPS6_PKS6_NS0_5tupleIJS9_S6_EEENSD_IJSA_SA_EEENS0_18inequality_wrapperIZN2at6native12_GLOBAL__N_124unique_dim_cuda_templateIiEESt5tupleIJNSH_6TensorESM_SM_EERKSM_lbbbEUlllE0_EEPmJS6_EEE10hipError_tPvRmT3_T4_T5_T6_T7_T9_mT8_P12ihipStream_tbDpT10_ENKUlT_T0_E_clISt17integral_constantIbLb1EES1C_EEDaS17_S18_EUlS17_E_NS1_11comp_targetILNS1_3genE5ELNS1_11target_archE942ELNS1_3gpuE9ELNS1_3repE0EEENS1_30default_config_static_selectorELNS0_4arch9wavefront6targetE1EEEvT1_,comdat
	.globl	_ZN7rocprim17ROCPRIM_400000_NS6detail17trampoline_kernelINS0_14default_configENS1_25partition_config_selectorILNS1_17partition_subalgoE8ElNS0_10empty_typeEbEEZZNS1_14partition_implILS5_8ELb0ES3_jPlPS6_PKS6_NS0_5tupleIJS9_S6_EEENSD_IJSA_SA_EEENS0_18inequality_wrapperIZN2at6native12_GLOBAL__N_124unique_dim_cuda_templateIiEESt5tupleIJNSH_6TensorESM_SM_EERKSM_lbbbEUlllE0_EEPmJS6_EEE10hipError_tPvRmT3_T4_T5_T6_T7_T9_mT8_P12ihipStream_tbDpT10_ENKUlT_T0_E_clISt17integral_constantIbLb1EES1C_EEDaS17_S18_EUlS17_E_NS1_11comp_targetILNS1_3genE5ELNS1_11target_archE942ELNS1_3gpuE9ELNS1_3repE0EEENS1_30default_config_static_selectorELNS0_4arch9wavefront6targetE1EEEvT1_ ; -- Begin function _ZN7rocprim17ROCPRIM_400000_NS6detail17trampoline_kernelINS0_14default_configENS1_25partition_config_selectorILNS1_17partition_subalgoE8ElNS0_10empty_typeEbEEZZNS1_14partition_implILS5_8ELb0ES3_jPlPS6_PKS6_NS0_5tupleIJS9_S6_EEENSD_IJSA_SA_EEENS0_18inequality_wrapperIZN2at6native12_GLOBAL__N_124unique_dim_cuda_templateIiEESt5tupleIJNSH_6TensorESM_SM_EERKSM_lbbbEUlllE0_EEPmJS6_EEE10hipError_tPvRmT3_T4_T5_T6_T7_T9_mT8_P12ihipStream_tbDpT10_ENKUlT_T0_E_clISt17integral_constantIbLb1EES1C_EEDaS17_S18_EUlS17_E_NS1_11comp_targetILNS1_3genE5ELNS1_11target_archE942ELNS1_3gpuE9ELNS1_3repE0EEENS1_30default_config_static_selectorELNS0_4arch9wavefront6targetE1EEEvT1_
	.p2align	8
	.type	_ZN7rocprim17ROCPRIM_400000_NS6detail17trampoline_kernelINS0_14default_configENS1_25partition_config_selectorILNS1_17partition_subalgoE8ElNS0_10empty_typeEbEEZZNS1_14partition_implILS5_8ELb0ES3_jPlPS6_PKS6_NS0_5tupleIJS9_S6_EEENSD_IJSA_SA_EEENS0_18inequality_wrapperIZN2at6native12_GLOBAL__N_124unique_dim_cuda_templateIiEESt5tupleIJNSH_6TensorESM_SM_EERKSM_lbbbEUlllE0_EEPmJS6_EEE10hipError_tPvRmT3_T4_T5_T6_T7_T9_mT8_P12ihipStream_tbDpT10_ENKUlT_T0_E_clISt17integral_constantIbLb1EES1C_EEDaS17_S18_EUlS17_E_NS1_11comp_targetILNS1_3genE5ELNS1_11target_archE942ELNS1_3gpuE9ELNS1_3repE0EEENS1_30default_config_static_selectorELNS0_4arch9wavefront6targetE1EEEvT1_,@function
_ZN7rocprim17ROCPRIM_400000_NS6detail17trampoline_kernelINS0_14default_configENS1_25partition_config_selectorILNS1_17partition_subalgoE8ElNS0_10empty_typeEbEEZZNS1_14partition_implILS5_8ELb0ES3_jPlPS6_PKS6_NS0_5tupleIJS9_S6_EEENSD_IJSA_SA_EEENS0_18inequality_wrapperIZN2at6native12_GLOBAL__N_124unique_dim_cuda_templateIiEESt5tupleIJNSH_6TensorESM_SM_EERKSM_lbbbEUlllE0_EEPmJS6_EEE10hipError_tPvRmT3_T4_T5_T6_T7_T9_mT8_P12ihipStream_tbDpT10_ENKUlT_T0_E_clISt17integral_constantIbLb1EES1C_EEDaS17_S18_EUlS17_E_NS1_11comp_targetILNS1_3genE5ELNS1_11target_archE942ELNS1_3gpuE9ELNS1_3repE0EEENS1_30default_config_static_selectorELNS0_4arch9wavefront6targetE1EEEvT1_: ; @_ZN7rocprim17ROCPRIM_400000_NS6detail17trampoline_kernelINS0_14default_configENS1_25partition_config_selectorILNS1_17partition_subalgoE8ElNS0_10empty_typeEbEEZZNS1_14partition_implILS5_8ELb0ES3_jPlPS6_PKS6_NS0_5tupleIJS9_S6_EEENSD_IJSA_SA_EEENS0_18inequality_wrapperIZN2at6native12_GLOBAL__N_124unique_dim_cuda_templateIiEESt5tupleIJNSH_6TensorESM_SM_EERKSM_lbbbEUlllE0_EEPmJS6_EEE10hipError_tPvRmT3_T4_T5_T6_T7_T9_mT8_P12ihipStream_tbDpT10_ENKUlT_T0_E_clISt17integral_constantIbLb1EES1C_EEDaS17_S18_EUlS17_E_NS1_11comp_targetILNS1_3genE5ELNS1_11target_archE942ELNS1_3gpuE9ELNS1_3repE0EEENS1_30default_config_static_selectorELNS0_4arch9wavefront6targetE1EEEvT1_
; %bb.0:
	.section	.rodata,"a",@progbits
	.p2align	6, 0x0
	.amdhsa_kernel _ZN7rocprim17ROCPRIM_400000_NS6detail17trampoline_kernelINS0_14default_configENS1_25partition_config_selectorILNS1_17partition_subalgoE8ElNS0_10empty_typeEbEEZZNS1_14partition_implILS5_8ELb0ES3_jPlPS6_PKS6_NS0_5tupleIJS9_S6_EEENSD_IJSA_SA_EEENS0_18inequality_wrapperIZN2at6native12_GLOBAL__N_124unique_dim_cuda_templateIiEESt5tupleIJNSH_6TensorESM_SM_EERKSM_lbbbEUlllE0_EEPmJS6_EEE10hipError_tPvRmT3_T4_T5_T6_T7_T9_mT8_P12ihipStream_tbDpT10_ENKUlT_T0_E_clISt17integral_constantIbLb1EES1C_EEDaS17_S18_EUlS17_E_NS1_11comp_targetILNS1_3genE5ELNS1_11target_archE942ELNS1_3gpuE9ELNS1_3repE0EEENS1_30default_config_static_selectorELNS0_4arch9wavefront6targetE1EEEvT1_
		.amdhsa_group_segment_fixed_size 0
		.amdhsa_private_segment_fixed_size 0
		.amdhsa_kernarg_size 136
		.amdhsa_user_sgpr_count 6
		.amdhsa_user_sgpr_private_segment_buffer 1
		.amdhsa_user_sgpr_dispatch_ptr 0
		.amdhsa_user_sgpr_queue_ptr 0
		.amdhsa_user_sgpr_kernarg_segment_ptr 1
		.amdhsa_user_sgpr_dispatch_id 0
		.amdhsa_user_sgpr_flat_scratch_init 0
		.amdhsa_user_sgpr_kernarg_preload_length 0
		.amdhsa_user_sgpr_kernarg_preload_offset 0
		.amdhsa_user_sgpr_private_segment_size 0
		.amdhsa_uses_dynamic_stack 0
		.amdhsa_system_sgpr_private_segment_wavefront_offset 0
		.amdhsa_system_sgpr_workgroup_id_x 1
		.amdhsa_system_sgpr_workgroup_id_y 0
		.amdhsa_system_sgpr_workgroup_id_z 0
		.amdhsa_system_sgpr_workgroup_info 0
		.amdhsa_system_vgpr_workitem_id 0
		.amdhsa_next_free_vgpr 1
		.amdhsa_next_free_sgpr 0
		.amdhsa_accum_offset 4
		.amdhsa_reserve_vcc 0
		.amdhsa_reserve_flat_scratch 0
		.amdhsa_float_round_mode_32 0
		.amdhsa_float_round_mode_16_64 0
		.amdhsa_float_denorm_mode_32 3
		.amdhsa_float_denorm_mode_16_64 3
		.amdhsa_dx10_clamp 1
		.amdhsa_ieee_mode 1
		.amdhsa_fp16_overflow 0
		.amdhsa_tg_split 0
		.amdhsa_exception_fp_ieee_invalid_op 0
		.amdhsa_exception_fp_denorm_src 0
		.amdhsa_exception_fp_ieee_div_zero 0
		.amdhsa_exception_fp_ieee_overflow 0
		.amdhsa_exception_fp_ieee_underflow 0
		.amdhsa_exception_fp_ieee_inexact 0
		.amdhsa_exception_int_div_zero 0
	.end_amdhsa_kernel
	.section	.text._ZN7rocprim17ROCPRIM_400000_NS6detail17trampoline_kernelINS0_14default_configENS1_25partition_config_selectorILNS1_17partition_subalgoE8ElNS0_10empty_typeEbEEZZNS1_14partition_implILS5_8ELb0ES3_jPlPS6_PKS6_NS0_5tupleIJS9_S6_EEENSD_IJSA_SA_EEENS0_18inequality_wrapperIZN2at6native12_GLOBAL__N_124unique_dim_cuda_templateIiEESt5tupleIJNSH_6TensorESM_SM_EERKSM_lbbbEUlllE0_EEPmJS6_EEE10hipError_tPvRmT3_T4_T5_T6_T7_T9_mT8_P12ihipStream_tbDpT10_ENKUlT_T0_E_clISt17integral_constantIbLb1EES1C_EEDaS17_S18_EUlS17_E_NS1_11comp_targetILNS1_3genE5ELNS1_11target_archE942ELNS1_3gpuE9ELNS1_3repE0EEENS1_30default_config_static_selectorELNS0_4arch9wavefront6targetE1EEEvT1_,"axG",@progbits,_ZN7rocprim17ROCPRIM_400000_NS6detail17trampoline_kernelINS0_14default_configENS1_25partition_config_selectorILNS1_17partition_subalgoE8ElNS0_10empty_typeEbEEZZNS1_14partition_implILS5_8ELb0ES3_jPlPS6_PKS6_NS0_5tupleIJS9_S6_EEENSD_IJSA_SA_EEENS0_18inequality_wrapperIZN2at6native12_GLOBAL__N_124unique_dim_cuda_templateIiEESt5tupleIJNSH_6TensorESM_SM_EERKSM_lbbbEUlllE0_EEPmJS6_EEE10hipError_tPvRmT3_T4_T5_T6_T7_T9_mT8_P12ihipStream_tbDpT10_ENKUlT_T0_E_clISt17integral_constantIbLb1EES1C_EEDaS17_S18_EUlS17_E_NS1_11comp_targetILNS1_3genE5ELNS1_11target_archE942ELNS1_3gpuE9ELNS1_3repE0EEENS1_30default_config_static_selectorELNS0_4arch9wavefront6targetE1EEEvT1_,comdat
.Lfunc_end450:
	.size	_ZN7rocprim17ROCPRIM_400000_NS6detail17trampoline_kernelINS0_14default_configENS1_25partition_config_selectorILNS1_17partition_subalgoE8ElNS0_10empty_typeEbEEZZNS1_14partition_implILS5_8ELb0ES3_jPlPS6_PKS6_NS0_5tupleIJS9_S6_EEENSD_IJSA_SA_EEENS0_18inequality_wrapperIZN2at6native12_GLOBAL__N_124unique_dim_cuda_templateIiEESt5tupleIJNSH_6TensorESM_SM_EERKSM_lbbbEUlllE0_EEPmJS6_EEE10hipError_tPvRmT3_T4_T5_T6_T7_T9_mT8_P12ihipStream_tbDpT10_ENKUlT_T0_E_clISt17integral_constantIbLb1EES1C_EEDaS17_S18_EUlS17_E_NS1_11comp_targetILNS1_3genE5ELNS1_11target_archE942ELNS1_3gpuE9ELNS1_3repE0EEENS1_30default_config_static_selectorELNS0_4arch9wavefront6targetE1EEEvT1_, .Lfunc_end450-_ZN7rocprim17ROCPRIM_400000_NS6detail17trampoline_kernelINS0_14default_configENS1_25partition_config_selectorILNS1_17partition_subalgoE8ElNS0_10empty_typeEbEEZZNS1_14partition_implILS5_8ELb0ES3_jPlPS6_PKS6_NS0_5tupleIJS9_S6_EEENSD_IJSA_SA_EEENS0_18inequality_wrapperIZN2at6native12_GLOBAL__N_124unique_dim_cuda_templateIiEESt5tupleIJNSH_6TensorESM_SM_EERKSM_lbbbEUlllE0_EEPmJS6_EEE10hipError_tPvRmT3_T4_T5_T6_T7_T9_mT8_P12ihipStream_tbDpT10_ENKUlT_T0_E_clISt17integral_constantIbLb1EES1C_EEDaS17_S18_EUlS17_E_NS1_11comp_targetILNS1_3genE5ELNS1_11target_archE942ELNS1_3gpuE9ELNS1_3repE0EEENS1_30default_config_static_selectorELNS0_4arch9wavefront6targetE1EEEvT1_
                                        ; -- End function
	.section	.AMDGPU.csdata,"",@progbits
; Kernel info:
; codeLenInByte = 0
; NumSgprs: 4
; NumVgprs: 0
; NumAgprs: 0
; TotalNumVgprs: 0
; ScratchSize: 0
; MemoryBound: 0
; FloatMode: 240
; IeeeMode: 1
; LDSByteSize: 0 bytes/workgroup (compile time only)
; SGPRBlocks: 0
; VGPRBlocks: 0
; NumSGPRsForWavesPerEU: 4
; NumVGPRsForWavesPerEU: 1
; AccumOffset: 4
; Occupancy: 8
; WaveLimiterHint : 0
; COMPUTE_PGM_RSRC2:SCRATCH_EN: 0
; COMPUTE_PGM_RSRC2:USER_SGPR: 6
; COMPUTE_PGM_RSRC2:TRAP_HANDLER: 0
; COMPUTE_PGM_RSRC2:TGID_X_EN: 1
; COMPUTE_PGM_RSRC2:TGID_Y_EN: 0
; COMPUTE_PGM_RSRC2:TGID_Z_EN: 0
; COMPUTE_PGM_RSRC2:TIDIG_COMP_CNT: 0
; COMPUTE_PGM_RSRC3_GFX90A:ACCUM_OFFSET: 0
; COMPUTE_PGM_RSRC3_GFX90A:TG_SPLIT: 0
	.section	.text._ZN7rocprim17ROCPRIM_400000_NS6detail17trampoline_kernelINS0_14default_configENS1_25partition_config_selectorILNS1_17partition_subalgoE8ElNS0_10empty_typeEbEEZZNS1_14partition_implILS5_8ELb0ES3_jPlPS6_PKS6_NS0_5tupleIJS9_S6_EEENSD_IJSA_SA_EEENS0_18inequality_wrapperIZN2at6native12_GLOBAL__N_124unique_dim_cuda_templateIiEESt5tupleIJNSH_6TensorESM_SM_EERKSM_lbbbEUlllE0_EEPmJS6_EEE10hipError_tPvRmT3_T4_T5_T6_T7_T9_mT8_P12ihipStream_tbDpT10_ENKUlT_T0_E_clISt17integral_constantIbLb1EES1C_EEDaS17_S18_EUlS17_E_NS1_11comp_targetILNS1_3genE4ELNS1_11target_archE910ELNS1_3gpuE8ELNS1_3repE0EEENS1_30default_config_static_selectorELNS0_4arch9wavefront6targetE1EEEvT1_,"axG",@progbits,_ZN7rocprim17ROCPRIM_400000_NS6detail17trampoline_kernelINS0_14default_configENS1_25partition_config_selectorILNS1_17partition_subalgoE8ElNS0_10empty_typeEbEEZZNS1_14partition_implILS5_8ELb0ES3_jPlPS6_PKS6_NS0_5tupleIJS9_S6_EEENSD_IJSA_SA_EEENS0_18inequality_wrapperIZN2at6native12_GLOBAL__N_124unique_dim_cuda_templateIiEESt5tupleIJNSH_6TensorESM_SM_EERKSM_lbbbEUlllE0_EEPmJS6_EEE10hipError_tPvRmT3_T4_T5_T6_T7_T9_mT8_P12ihipStream_tbDpT10_ENKUlT_T0_E_clISt17integral_constantIbLb1EES1C_EEDaS17_S18_EUlS17_E_NS1_11comp_targetILNS1_3genE4ELNS1_11target_archE910ELNS1_3gpuE8ELNS1_3repE0EEENS1_30default_config_static_selectorELNS0_4arch9wavefront6targetE1EEEvT1_,comdat
	.globl	_ZN7rocprim17ROCPRIM_400000_NS6detail17trampoline_kernelINS0_14default_configENS1_25partition_config_selectorILNS1_17partition_subalgoE8ElNS0_10empty_typeEbEEZZNS1_14partition_implILS5_8ELb0ES3_jPlPS6_PKS6_NS0_5tupleIJS9_S6_EEENSD_IJSA_SA_EEENS0_18inequality_wrapperIZN2at6native12_GLOBAL__N_124unique_dim_cuda_templateIiEESt5tupleIJNSH_6TensorESM_SM_EERKSM_lbbbEUlllE0_EEPmJS6_EEE10hipError_tPvRmT3_T4_T5_T6_T7_T9_mT8_P12ihipStream_tbDpT10_ENKUlT_T0_E_clISt17integral_constantIbLb1EES1C_EEDaS17_S18_EUlS17_E_NS1_11comp_targetILNS1_3genE4ELNS1_11target_archE910ELNS1_3gpuE8ELNS1_3repE0EEENS1_30default_config_static_selectorELNS0_4arch9wavefront6targetE1EEEvT1_ ; -- Begin function _ZN7rocprim17ROCPRIM_400000_NS6detail17trampoline_kernelINS0_14default_configENS1_25partition_config_selectorILNS1_17partition_subalgoE8ElNS0_10empty_typeEbEEZZNS1_14partition_implILS5_8ELb0ES3_jPlPS6_PKS6_NS0_5tupleIJS9_S6_EEENSD_IJSA_SA_EEENS0_18inequality_wrapperIZN2at6native12_GLOBAL__N_124unique_dim_cuda_templateIiEESt5tupleIJNSH_6TensorESM_SM_EERKSM_lbbbEUlllE0_EEPmJS6_EEE10hipError_tPvRmT3_T4_T5_T6_T7_T9_mT8_P12ihipStream_tbDpT10_ENKUlT_T0_E_clISt17integral_constantIbLb1EES1C_EEDaS17_S18_EUlS17_E_NS1_11comp_targetILNS1_3genE4ELNS1_11target_archE910ELNS1_3gpuE8ELNS1_3repE0EEENS1_30default_config_static_selectorELNS0_4arch9wavefront6targetE1EEEvT1_
	.p2align	8
	.type	_ZN7rocprim17ROCPRIM_400000_NS6detail17trampoline_kernelINS0_14default_configENS1_25partition_config_selectorILNS1_17partition_subalgoE8ElNS0_10empty_typeEbEEZZNS1_14partition_implILS5_8ELb0ES3_jPlPS6_PKS6_NS0_5tupleIJS9_S6_EEENSD_IJSA_SA_EEENS0_18inequality_wrapperIZN2at6native12_GLOBAL__N_124unique_dim_cuda_templateIiEESt5tupleIJNSH_6TensorESM_SM_EERKSM_lbbbEUlllE0_EEPmJS6_EEE10hipError_tPvRmT3_T4_T5_T6_T7_T9_mT8_P12ihipStream_tbDpT10_ENKUlT_T0_E_clISt17integral_constantIbLb1EES1C_EEDaS17_S18_EUlS17_E_NS1_11comp_targetILNS1_3genE4ELNS1_11target_archE910ELNS1_3gpuE8ELNS1_3repE0EEENS1_30default_config_static_selectorELNS0_4arch9wavefront6targetE1EEEvT1_,@function
_ZN7rocprim17ROCPRIM_400000_NS6detail17trampoline_kernelINS0_14default_configENS1_25partition_config_selectorILNS1_17partition_subalgoE8ElNS0_10empty_typeEbEEZZNS1_14partition_implILS5_8ELb0ES3_jPlPS6_PKS6_NS0_5tupleIJS9_S6_EEENSD_IJSA_SA_EEENS0_18inequality_wrapperIZN2at6native12_GLOBAL__N_124unique_dim_cuda_templateIiEESt5tupleIJNSH_6TensorESM_SM_EERKSM_lbbbEUlllE0_EEPmJS6_EEE10hipError_tPvRmT3_T4_T5_T6_T7_T9_mT8_P12ihipStream_tbDpT10_ENKUlT_T0_E_clISt17integral_constantIbLb1EES1C_EEDaS17_S18_EUlS17_E_NS1_11comp_targetILNS1_3genE4ELNS1_11target_archE910ELNS1_3gpuE8ELNS1_3repE0EEENS1_30default_config_static_selectorELNS0_4arch9wavefront6targetE1EEEvT1_: ; @_ZN7rocprim17ROCPRIM_400000_NS6detail17trampoline_kernelINS0_14default_configENS1_25partition_config_selectorILNS1_17partition_subalgoE8ElNS0_10empty_typeEbEEZZNS1_14partition_implILS5_8ELb0ES3_jPlPS6_PKS6_NS0_5tupleIJS9_S6_EEENSD_IJSA_SA_EEENS0_18inequality_wrapperIZN2at6native12_GLOBAL__N_124unique_dim_cuda_templateIiEESt5tupleIJNSH_6TensorESM_SM_EERKSM_lbbbEUlllE0_EEPmJS6_EEE10hipError_tPvRmT3_T4_T5_T6_T7_T9_mT8_P12ihipStream_tbDpT10_ENKUlT_T0_E_clISt17integral_constantIbLb1EES1C_EEDaS17_S18_EUlS17_E_NS1_11comp_targetILNS1_3genE4ELNS1_11target_archE910ELNS1_3gpuE8ELNS1_3repE0EEENS1_30default_config_static_selectorELNS0_4arch9wavefront6targetE1EEEvT1_
; %bb.0:
	s_load_dwordx2 s[28:29], s[4:5], 0x28
	s_load_dwordx8 s[20:27], s[4:5], 0x40
	s_load_dwordx4 s[16:19], s[4:5], 0x60
	v_cmp_ne_u32_e64 s[2:3], 0, v0
	v_cmp_eq_u32_e64 s[0:1], 0, v0
	s_and_saveexec_b64 s[6:7], s[0:1]
	s_cbranch_execz .LBB451_4
; %bb.1:
	s_mov_b64 s[10:11], exec
	v_mbcnt_lo_u32_b32 v1, s10, 0
	v_mbcnt_hi_u32_b32 v1, s11, v1
	v_cmp_eq_u32_e32 vcc, 0, v1
                                        ; implicit-def: $vgpr2
	s_and_saveexec_b64 s[8:9], vcc
	s_cbranch_execz .LBB451_3
; %bb.2:
	s_load_dwordx2 s[12:13], s[4:5], 0x78
	s_bcnt1_i32_b64 s10, s[10:11]
	v_mov_b32_e32 v2, 0
	v_mov_b32_e32 v3, s10
	s_waitcnt lgkmcnt(0)
	global_atomic_add v2, v2, v3, s[12:13] glc
.LBB451_3:
	s_or_b64 exec, exec, s[8:9]
	s_waitcnt vmcnt(0)
	v_readfirstlane_b32 s8, v2
	v_add_u32_e32 v1, s8, v1
	v_mov_b32_e32 v2, 0
	ds_write_b32 v2, v1
.LBB451_4:
	s_or_b64 exec, exec, s[6:7]
	v_mov_b32_e32 v3, 0
	s_load_dwordx4 s[8:11], s[4:5], 0x8
	s_load_dword s12, s[4:5], 0x70
	s_waitcnt lgkmcnt(0)
	s_barrier
	ds_read_b32 v1, v3
	s_waitcnt lgkmcnt(0)
	s_barrier
	global_load_dwordx2 v[4:5], v3, s[22:23]
	s_lshl_b64 s[4:5], s[10:11], 3
	s_mul_i32 s14, s12, 0x500
	s_add_u32 s8, s8, s4
	s_addc_u32 s4, s9, s5
	s_add_i32 s5, s14, s10
	s_add_i32 s12, s12, -1
	s_sub_i32 s48, s24, s5
	v_mov_b32_e32 v8, s4
	s_add_u32 s4, s10, s14
	s_addc_u32 s5, s11, 0
	v_readfirstlane_b32 s33, v1
	v_mov_b32_e32 v6, s24
	v_mov_b32_e32 v7, s25
	s_movk_i32 s13, 0x500
	s_cmp_eq_u32 s33, s12
	v_mul_lo_u32 v2, v1, s13
	v_cmp_ge_u64_e32 vcc, s[4:5], v[6:7]
	s_cselect_b64 s[24:25], -1, 0
	v_lshlrev_b64 v[2:3], 3, v[2:3]
	s_and_b64 s[12:13], vcc, s[24:25]
	v_add_co_u32_e64 v18, s[4:5], s8, v2
	s_xor_b64 s[30:31], s[12:13], -1
	s_mov_b64 s[6:7], -1
	v_addc_co_u32_e64 v19, s[4:5], v8, v3, s[4:5]
	s_and_b64 vcc, exec, s[30:31]
	s_waitcnt vmcnt(0)
	v_readfirstlane_b32 s22, v4
	v_readfirstlane_b32 s23, v5
	s_cbranch_vccz .LBB451_6
; %bb.5:
	v_lshlrev_b32_e32 v1, 3, v0
	v_add_co_u32_e32 v12, vcc, v18, v1
	v_addc_co_u32_e32 v13, vcc, 0, v19, vcc
	v_add_co_u32_e32 v2, vcc, 0x1000, v12
	v_readfirstlane_b32 s4, v18
	v_readfirstlane_b32 s5, v19
	v_addc_co_u32_e32 v3, vcc, 0, v13, vcc
	s_nop 3
	global_load_dwordx2 v[4:5], v1, s[4:5]
	global_load_dwordx2 v[6:7], v1, s[4:5] offset:2048
	global_load_dwordx2 v[8:9], v[2:3], off
	global_load_dwordx2 v[10:11], v[2:3], off offset:2048
	v_add_co_u32_e32 v2, vcc, 0x2000, v12
	v_addc_co_u32_e32 v3, vcc, 0, v13, vcc
	global_load_dwordx2 v[2:3], v[2:3], off
	s_mov_b64 s[6:7], 0
	s_waitcnt vmcnt(3)
	ds_write2st64_b64 v1, v[4:5], v[6:7] offset1:4
	s_waitcnt vmcnt(1)
	ds_write2st64_b64 v1, v[8:9], v[10:11] offset0:8 offset1:12
	s_waitcnt vmcnt(0)
	ds_write_b64 v1, v[2:3] offset:8192
	s_waitcnt lgkmcnt(0)
	s_barrier
.LBB451_6:
	s_andn2_b64 vcc, exec, s[6:7]
	s_addk_i32 s48, 0x500
	s_cbranch_vccnz .LBB451_18
; %bb.7:
	v_cmp_gt_u32_e32 vcc, s48, v0
                                        ; implicit-def: $vgpr2_vgpr3_vgpr4_vgpr5_vgpr6_vgpr7_vgpr8_vgpr9_vgpr10_vgpr11_vgpr12_vgpr13_vgpr14_vgpr15_vgpr16_vgpr17
	s_and_saveexec_b64 s[4:5], vcc
	s_cbranch_execz .LBB451_9
; %bb.8:
	v_lshlrev_b32_e32 v1, 3, v0
	v_readfirstlane_b32 s6, v18
	v_readfirstlane_b32 s7, v19
	s_nop 4
	global_load_dwordx2 v[2:3], v1, s[6:7]
.LBB451_9:
	s_or_b64 exec, exec, s[4:5]
	v_or_b32_e32 v1, 0x100, v0
	v_cmp_gt_u32_e32 vcc, s48, v1
	s_and_saveexec_b64 s[4:5], vcc
	s_cbranch_execz .LBB451_11
; %bb.10:
	v_lshlrev_b32_e32 v1, 3, v0
	v_readfirstlane_b32 s6, v18
	v_readfirstlane_b32 s7, v19
	s_nop 4
	global_load_dwordx2 v[4:5], v1, s[6:7] offset:2048
.LBB451_11:
	s_or_b64 exec, exec, s[4:5]
	v_or_b32_e32 v1, 0x200, v0
	v_cmp_gt_u32_e32 vcc, s48, v1
	s_and_saveexec_b64 s[4:5], vcc
	s_cbranch_execz .LBB451_13
; %bb.12:
	v_lshlrev_b32_e32 v1, 3, v1
	v_readfirstlane_b32 s6, v18
	v_readfirstlane_b32 s7, v19
	s_nop 4
	global_load_dwordx2 v[6:7], v1, s[6:7]
.LBB451_13:
	s_or_b64 exec, exec, s[4:5]
	v_or_b32_e32 v1, 0x300, v0
	v_cmp_gt_u32_e32 vcc, s48, v1
	s_and_saveexec_b64 s[4:5], vcc
	s_cbranch_execz .LBB451_15
; %bb.14:
	v_lshlrev_b32_e32 v1, 3, v1
	v_readfirstlane_b32 s6, v18
	v_readfirstlane_b32 s7, v19
	s_nop 4
	global_load_dwordx2 v[8:9], v1, s[6:7]
.LBB451_15:
	;; [unrolled: 12-line block ×3, first 2 shown]
	s_or_b64 exec, exec, s[4:5]
	v_lshlrev_b32_e32 v1, 3, v0
	s_waitcnt vmcnt(0)
	ds_write2st64_b64 v1, v[2:3], v[4:5] offset1:4
	ds_write2st64_b64 v1, v[6:7], v[8:9] offset0:8 offset1:12
	ds_write_b64 v1, v[10:11] offset:8192
	s_waitcnt lgkmcnt(0)
	s_barrier
.LBB451_18:
	v_mul_u32_u24_e32 v1, 5, v0
	v_lshlrev_b32_e32 v26, 3, v1
	ds_read2_b64 v[6:9], v26 offset1:1
	ds_read2_b64 v[2:5], v26 offset0:2 offset1:3
	ds_read_b64 v[10:11], v26 offset:32
	s_cmp_lg_u32 s33, 0
	s_cselect_b64 s[34:35], -1, 0
	s_cmp_lg_u64 s[10:11], 0
	s_cselect_b64 s[4:5], -1, 0
	s_or_b64 s[4:5], s[4:5], s[34:35]
	v_mad_u32_u24 v24, v0, 5, 1
	v_mad_u32_u24 v22, v0, 5, 2
	;; [unrolled: 1-line block ×4, first 2 shown]
	s_mov_b64 s[14:15], 0
	s_and_b64 vcc, exec, s[4:5]
	v_cmp_gt_i64_e64 s[4:5], s[26:27], 0
	s_waitcnt lgkmcnt(0)
	s_barrier
	s_cbranch_vccz .LBB451_27
; %bb.19:
	global_load_dwordx2 v[14:15], v[18:19], off offset:-8
	v_cndmask_b32_e64 v12, 0, 1, s[4:5]
	v_lshlrev_b32_e32 v27, 3, v0
	s_mov_b64 s[10:11], 0
	s_and_b64 vcc, exec, s[30:31]
	v_cmp_ne_u32_e64 s[4:5], 1, v12
	ds_write_b64 v27, v[10:11]
	s_cbranch_vccz .LBB451_28
; %bb.20:
	v_mul_lo_u32 v16, v5, s26
	v_mul_lo_u32 v17, v4, s27
	v_mad_u64_u32 v[12:13], s[6:7], v4, s26, 0
	v_add3_u32 v13, v13, v17, v16
	s_and_b64 vcc, exec, s[4:5]
	v_lshlrev_b64 v[12:13], 2, v[12:13]
	s_cbranch_vccnz .LBB451_31
; %bb.21:
	v_mul_lo_u32 v18, v11, s26
	v_mul_lo_u32 v19, v10, s27
	v_mad_u64_u32 v[16:17], s[6:7], v10, s26, 0
	v_add3_u32 v17, v17, v19, v18
	v_mov_b32_e32 v19, s17
	v_add_co_u32_e32 v18, vcc, s16, v12
	v_addc_co_u32_e64 v19, s[6:7], v19, v13, vcc
	v_lshlrev_b64 v[16:17], 2, v[16:17]
	v_mov_b32_e32 v21, s17
	v_add_co_u32_e64 v20, s[6:7], s16, v16
	v_addc_co_u32_e64 v21, s[8:9], v21, v17, s[6:7]
	global_load_dword v16, v[18:19], off
	global_load_dword v28, v[20:21], off
	s_mov_b64 s[10:11], -1
	s_waitcnt vmcnt(0)
	v_cmp_eq_u32_e64 s[8:9], v16, v28
	s_and_saveexec_b64 s[14:15], s[8:9]
	s_cbranch_execz .LBB451_30
; %bb.22:
	v_mov_b32_e32 v16, s17
	v_addc_co_u32_e64 v17, s[6:7], v17, v16, s[6:7]
	v_add_co_u32_e64 v16, s[6:7], 4, v20
	v_mov_b32_e32 v19, s17
	v_addc_co_u32_e64 v17, s[6:7], 0, v17, s[6:7]
	v_addc_co_u32_e32 v19, vcc, v13, v19, vcc
	v_add_co_u32_e32 v18, vcc, 4, v18
	s_add_u32 s6, s26, -1
	v_addc_co_u32_e32 v19, vcc, 0, v19, vcc
	s_addc_u32 s7, s27, -1
	s_mov_b64 s[8:9], 0
	s_mov_b64 s[36:37], 0
                                        ; implicit-def: $sgpr10_sgpr11
	s_branch .LBB451_25
.LBB451_23:                             ;   in Loop: Header=BB451_25 Depth=1
	global_load_dword v20, v[18:19], off
	global_load_dword v21, v[16:17], off
	v_add_co_u32_e32 v16, vcc, 4, v16
	v_addc_co_u32_e32 v17, vcc, 0, v17, vcc
	v_add_co_u32_e32 v18, vcc, 4, v18
	v_addc_co_u32_e32 v19, vcc, 0, v19, vcc
	s_add_u32 s36, s36, 1
	s_addc_u32 s37, s37, 0
	s_andn2_b64 s[10:11], s[10:11], exec
	s_waitcnt vmcnt(0)
	v_cmp_ne_u32_e32 vcc, v20, v21
	s_and_b64 s[38:39], vcc, exec
	s_or_b64 s[10:11], s[10:11], s[38:39]
.LBB451_24:                             ;   in Loop: Header=BB451_25 Depth=1
	s_and_b64 s[38:39], exec, s[10:11]
	s_or_b64 s[8:9], s[38:39], s[8:9]
	v_pk_mov_b32 v[20:21], s[36:37], s[36:37] op_sel:[0,1]
	s_andn2_b64 exec, exec, s[8:9]
	s_cbranch_execz .LBB451_29
.LBB451_25:                             ; =>This Inner Loop Header: Depth=1
	s_or_b64 s[10:11], s[10:11], exec
	s_cmp_eq_u64 s[6:7], s[36:37]
	s_cbranch_scc0 .LBB451_23
; %bb.26:                               ;   in Loop: Header=BB451_25 Depth=1
                                        ; implicit-def: $vgpr16_vgpr17
                                        ; implicit-def: $vgpr18_vgpr19
	s_mov_b64 s[36:37], s[26:27]
	s_branch .LBB451_24
.LBB451_27:
                                        ; implicit-def: $sgpr36_sgpr37
                                        ; implicit-def: $vgpr13
                                        ; implicit-def: $vgpr16
	s_branch .LBB451_129
.LBB451_28:
                                        ; implicit-def: $sgpr36_sgpr37
                                        ; implicit-def: $vgpr13
                                        ; implicit-def: $vgpr16
	s_cbranch_execnz .LBB451_70
	s_branch .LBB451_128
.LBB451_29:
	s_or_b64 exec, exec, s[8:9]
	v_cmp_gt_i64_e32 vcc, s[26:27], v[20:21]
	s_orn2_b64 s[10:11], vcc, exec
.LBB451_30:
	s_or_b64 exec, exec, s[14:15]
.LBB451_31:
	v_mul_lo_u32 v18, v3, s26
	v_mul_lo_u32 v19, v2, s27
	v_mad_u64_u32 v[16:17], s[6:7], v2, s26, 0
	v_add3_u32 v17, v17, v19, v18
	s_mov_b64 s[14:15], 0
	s_and_b64 vcc, exec, s[4:5]
	v_lshlrev_b64 v[18:19], 2, v[16:17]
	s_mov_b64 s[36:37], 0
	s_cbranch_vccnz .LBB451_40
; %bb.32:
	v_mov_b32_e32 v17, s17
	v_add_co_u32_e32 v16, vcc, s16, v18
	v_addc_co_u32_e64 v17, s[6:7], v17, v19, vcc
	v_mov_b32_e32 v21, s17
	v_add_co_u32_e64 v20, s[6:7], s16, v12
	v_addc_co_u32_e64 v21, s[8:9], v21, v13, s[6:7]
	global_load_dword v12, v[16:17], off
	global_load_dword v28, v[20:21], off
	s_mov_b64 s[36:37], -1
	s_waitcnt vmcnt(0)
	v_cmp_eq_u32_e64 s[8:9], v12, v28
	s_and_saveexec_b64 s[38:39], s[8:9]
	s_cbranch_execz .LBB451_39
; %bb.33:
	v_mov_b32_e32 v12, s17
	v_addc_co_u32_e64 v13, s[6:7], v13, v12, s[6:7]
	v_add_co_u32_e64 v12, s[6:7], 4, v20
	v_mov_b32_e32 v17, s17
	v_addc_co_u32_e64 v13, s[6:7], 0, v13, s[6:7]
	v_addc_co_u32_e32 v17, vcc, v19, v17, vcc
	v_add_co_u32_e32 v16, vcc, 4, v16
	s_add_u32 s6, s26, -1
	v_addc_co_u32_e32 v17, vcc, 0, v17, vcc
	s_addc_u32 s7, s27, -1
	s_mov_b64 s[8:9], 0
	s_mov_b64 s[40:41], 0
                                        ; implicit-def: $sgpr36_sgpr37
	s_branch .LBB451_36
.LBB451_34:                             ;   in Loop: Header=BB451_36 Depth=1
	global_load_dword v20, v[16:17], off
	global_load_dword v21, v[12:13], off
	v_add_co_u32_e32 v12, vcc, 4, v12
	v_addc_co_u32_e32 v13, vcc, 0, v13, vcc
	v_add_co_u32_e32 v16, vcc, 4, v16
	v_addc_co_u32_e32 v17, vcc, 0, v17, vcc
	s_add_u32 s40, s40, 1
	s_addc_u32 s41, s41, 0
	s_andn2_b64 s[36:37], s[36:37], exec
	s_waitcnt vmcnt(0)
	v_cmp_ne_u32_e32 vcc, v20, v21
	s_and_b64 s[42:43], vcc, exec
	s_or_b64 s[36:37], s[36:37], s[42:43]
.LBB451_35:                             ;   in Loop: Header=BB451_36 Depth=1
	s_and_b64 s[42:43], exec, s[36:37]
	s_or_b64 s[8:9], s[42:43], s[8:9]
	v_pk_mov_b32 v[20:21], s[40:41], s[40:41] op_sel:[0,1]
	s_andn2_b64 exec, exec, s[8:9]
	s_cbranch_execz .LBB451_38
.LBB451_36:                             ; =>This Inner Loop Header: Depth=1
	s_or_b64 s[36:37], s[36:37], exec
	s_cmp_eq_u64 s[6:7], s[40:41]
	s_cbranch_scc0 .LBB451_34
; %bb.37:                               ;   in Loop: Header=BB451_36 Depth=1
                                        ; implicit-def: $vgpr12_vgpr13
                                        ; implicit-def: $vgpr16_vgpr17
	s_mov_b64 s[40:41], s[26:27]
	s_branch .LBB451_35
.LBB451_38:
	s_or_b64 exec, exec, s[8:9]
	v_cmp_gt_i64_e32 vcc, s[26:27], v[20:21]
	s_orn2_b64 s[36:37], vcc, exec
.LBB451_39:
	s_or_b64 exec, exec, s[38:39]
.LBB451_40:
	v_mul_lo_u32 v16, v9, s26
	v_mul_lo_u32 v17, v8, s27
	v_mad_u64_u32 v[12:13], s[6:7], v8, s26, 0
	v_add3_u32 v13, v13, v17, v16
	s_and_b64 vcc, exec, s[4:5]
	v_lshlrev_b64 v[16:17], 2, v[12:13]
	s_cbranch_vccnz .LBB451_49
; %bb.41:
	v_mov_b32_e32 v12, s17
	v_add_co_u32_e32 v20, vcc, s16, v16
	v_addc_co_u32_e64 v21, s[6:7], v12, v17, vcc
	v_mov_b32_e32 v13, s17
	v_add_co_u32_e64 v12, s[6:7], s16, v18
	v_addc_co_u32_e64 v13, s[8:9], v13, v19, s[6:7]
	global_load_dword v18, v[20:21], off
	global_load_dword v28, v[12:13], off
	s_mov_b64 s[14:15], -1
	s_waitcnt vmcnt(0)
	v_cmp_eq_u32_e64 s[8:9], v18, v28
	s_and_saveexec_b64 s[38:39], s[8:9]
	s_cbranch_execz .LBB451_48
; %bb.42:
	v_mov_b32_e32 v13, s17
	v_addc_co_u32_e64 v13, s[6:7], v19, v13, s[6:7]
	v_add_co_u32_e64 v12, s[6:7], 4, v12
	v_mov_b32_e32 v18, s17
	v_addc_co_u32_e64 v13, s[6:7], 0, v13, s[6:7]
	v_addc_co_u32_e32 v19, vcc, v17, v18, vcc
	v_add_co_u32_e32 v18, vcc, 4, v20
	s_add_u32 s6, s26, -1
	v_addc_co_u32_e32 v19, vcc, 0, v19, vcc
	s_addc_u32 s7, s27, -1
	s_mov_b64 s[8:9], 0
	s_mov_b64 s[40:41], 0
                                        ; implicit-def: $sgpr14_sgpr15
	s_branch .LBB451_45
.LBB451_43:                             ;   in Loop: Header=BB451_45 Depth=1
	global_load_dword v20, v[18:19], off
	global_load_dword v21, v[12:13], off
	v_add_co_u32_e32 v12, vcc, 4, v12
	v_addc_co_u32_e32 v13, vcc, 0, v13, vcc
	v_add_co_u32_e32 v18, vcc, 4, v18
	v_addc_co_u32_e32 v19, vcc, 0, v19, vcc
	s_add_u32 s40, s40, 1
	s_addc_u32 s41, s41, 0
	s_andn2_b64 s[14:15], s[14:15], exec
	s_waitcnt vmcnt(0)
	v_cmp_ne_u32_e32 vcc, v20, v21
	s_and_b64 s[42:43], vcc, exec
	s_or_b64 s[14:15], s[14:15], s[42:43]
.LBB451_44:                             ;   in Loop: Header=BB451_45 Depth=1
	s_and_b64 s[42:43], exec, s[14:15]
	s_or_b64 s[8:9], s[42:43], s[8:9]
	v_pk_mov_b32 v[20:21], s[40:41], s[40:41] op_sel:[0,1]
	s_andn2_b64 exec, exec, s[8:9]
	s_cbranch_execz .LBB451_47
.LBB451_45:                             ; =>This Inner Loop Header: Depth=1
	s_or_b64 s[14:15], s[14:15], exec
	s_cmp_eq_u64 s[6:7], s[40:41]
	s_cbranch_scc0 .LBB451_43
; %bb.46:                               ;   in Loop: Header=BB451_45 Depth=1
                                        ; implicit-def: $vgpr12_vgpr13
                                        ; implicit-def: $vgpr18_vgpr19
	s_mov_b64 s[40:41], s[26:27]
	s_branch .LBB451_44
.LBB451_47:
	s_or_b64 exec, exec, s[8:9]
	v_cmp_gt_i64_e32 vcc, s[26:27], v[20:21]
	s_orn2_b64 s[14:15], vcc, exec
.LBB451_48:
	s_or_b64 exec, exec, s[38:39]
.LBB451_49:
	v_mul_lo_u32 v18, v7, s26
	v_mul_lo_u32 v19, v6, s27
	v_mad_u64_u32 v[12:13], s[6:7], v6, s26, 0
	v_add3_u32 v13, v13, v19, v18
	s_mov_b64 s[40:41], 0
	s_and_b64 vcc, exec, s[4:5]
	v_lshlrev_b64 v[12:13], 2, v[12:13]
	s_cbranch_vccnz .LBB451_58
; %bb.50:
	v_mov_b32_e32 v19, s17
	v_add_co_u32_e32 v18, vcc, s16, v12
	v_addc_co_u32_e64 v19, s[6:7], v19, v13, vcc
	v_mov_b32_e32 v21, s17
	v_add_co_u32_e64 v20, s[6:7], s16, v16
	v_addc_co_u32_e64 v21, s[8:9], v21, v17, s[6:7]
	global_load_dword v16, v[18:19], off
	global_load_dword v28, v[20:21], off
	s_mov_b64 s[40:41], -1
	s_waitcnt vmcnt(0)
	v_cmp_eq_u32_e64 s[8:9], v16, v28
	s_and_saveexec_b64 s[38:39], s[8:9]
	s_cbranch_execz .LBB451_57
; %bb.51:
	v_mov_b32_e32 v16, s17
	v_addc_co_u32_e64 v17, s[6:7], v17, v16, s[6:7]
	v_add_co_u32_e64 v16, s[6:7], 4, v20
	v_mov_b32_e32 v19, s17
	v_addc_co_u32_e64 v17, s[6:7], 0, v17, s[6:7]
	v_addc_co_u32_e32 v19, vcc, v13, v19, vcc
	v_add_co_u32_e32 v18, vcc, 4, v18
	s_add_u32 s6, s26, -1
	v_addc_co_u32_e32 v19, vcc, 0, v19, vcc
	s_addc_u32 s7, s27, -1
	s_mov_b64 s[8:9], 0
	s_mov_b64 s[42:43], 0
                                        ; implicit-def: $sgpr40_sgpr41
	s_branch .LBB451_54
.LBB451_52:                             ;   in Loop: Header=BB451_54 Depth=1
	global_load_dword v20, v[18:19], off
	global_load_dword v21, v[16:17], off
	v_add_co_u32_e32 v16, vcc, 4, v16
	v_addc_co_u32_e32 v17, vcc, 0, v17, vcc
	v_add_co_u32_e32 v18, vcc, 4, v18
	v_addc_co_u32_e32 v19, vcc, 0, v19, vcc
	s_add_u32 s42, s42, 1
	s_addc_u32 s43, s43, 0
	s_andn2_b64 s[40:41], s[40:41], exec
	s_waitcnt vmcnt(0)
	v_cmp_ne_u32_e32 vcc, v20, v21
	s_and_b64 s[44:45], vcc, exec
	s_or_b64 s[40:41], s[40:41], s[44:45]
.LBB451_53:                             ;   in Loop: Header=BB451_54 Depth=1
	s_and_b64 s[44:45], exec, s[40:41]
	s_or_b64 s[8:9], s[44:45], s[8:9]
	v_pk_mov_b32 v[20:21], s[42:43], s[42:43] op_sel:[0,1]
	s_andn2_b64 exec, exec, s[8:9]
	s_cbranch_execz .LBB451_56
.LBB451_54:                             ; =>This Inner Loop Header: Depth=1
	s_or_b64 s[40:41], s[40:41], exec
	s_cmp_eq_u64 s[6:7], s[42:43]
	s_cbranch_scc0 .LBB451_52
; %bb.55:                               ;   in Loop: Header=BB451_54 Depth=1
                                        ; implicit-def: $vgpr16_vgpr17
                                        ; implicit-def: $vgpr18_vgpr19
	s_mov_b64 s[42:43], s[26:27]
	s_branch .LBB451_53
.LBB451_56:
	s_or_b64 exec, exec, s[8:9]
	v_cmp_gt_i64_e32 vcc, s[26:27], v[20:21]
	s_orn2_b64 s[40:41], vcc, exec
.LBB451_57:
	s_or_b64 exec, exec, s[38:39]
.LBB451_58:
	s_waitcnt vmcnt(0)
	v_pk_mov_b32 v[16:17], v[14:15], v[14:15] op_sel:[0,1]
	s_waitcnt lgkmcnt(0)
	s_barrier
	s_and_saveexec_b64 s[6:7], s[2:3]
	s_cbranch_execz .LBB451_60
; %bb.59:
	v_add_u32_e32 v16, -8, v27
	ds_read_b64 v[16:17], v16
.LBB451_60:
	s_or_b64 exec, exec, s[6:7]
	v_cndmask_b32_e64 v19, 0, 1, s[36:37]
	v_cndmask_b32_e64 v18, 0, 1, s[14:15]
	;; [unrolled: 1-line block ×3, first 2 shown]
	v_lshlrev_b16_e32 v19, 8, v19
	v_lshlrev_b16_e32 v28, 8, v20
	v_or_b32_sdwa v29, v18, v19 dst_sel:WORD_1 dst_unused:UNUSED_PAD src0_sel:DWORD src1_sel:DWORD
	s_mov_b64 s[14:15], 0
	s_and_b64 vcc, exec, s[4:5]
	s_mov_b64 s[36:37], 0
	s_cbranch_vccnz .LBB451_69
; %bb.61:
	s_waitcnt lgkmcnt(0)
	v_mul_lo_u32 v18, v17, s26
	v_mul_lo_u32 v19, v16, s27
	v_mad_u64_u32 v[16:17], s[6:7], v16, s26, 0
	v_add3_u32 v17, v17, v19, v18
	v_lshlrev_b64 v[16:17], 2, v[16:17]
	v_mov_b32_e32 v19, s17
	v_add_co_u32_e32 v18, vcc, s16, v16
	v_addc_co_u32_e64 v19, s[6:7], v19, v17, vcc
	v_mov_b32_e32 v16, s17
	v_add_co_u32_e64 v20, s[6:7], s16, v12
	v_addc_co_u32_e64 v21, s[8:9], v16, v13, s[6:7]
	global_load_dword v12, v[18:19], off
	global_load_dword v16, v[20:21], off
	s_mov_b64 s[36:37], -1
	s_waitcnt vmcnt(0)
	v_cmp_eq_u32_e64 s[8:9], v12, v16
	s_and_saveexec_b64 s[38:39], s[8:9]
	s_cbranch_execz .LBB451_68
; %bb.62:
	v_mov_b32_e32 v12, s17
	v_addc_co_u32_e64 v13, s[6:7], v13, v12, s[6:7]
	v_add_co_u32_e64 v12, s[6:7], 4, v20
	v_mov_b32_e32 v16, s17
	v_addc_co_u32_e64 v13, s[6:7], 0, v13, s[6:7]
	v_addc_co_u32_e32 v17, vcc, v17, v16, vcc
	v_add_co_u32_e32 v16, vcc, 4, v18
	s_add_u32 s6, s26, -1
	v_addc_co_u32_e32 v17, vcc, 0, v17, vcc
	s_addc_u32 s7, s27, -1
	s_mov_b64 s[8:9], 0
	s_mov_b64 s[40:41], 0
                                        ; implicit-def: $sgpr36_sgpr37
	s_branch .LBB451_65
.LBB451_63:                             ;   in Loop: Header=BB451_65 Depth=1
	global_load_dword v18, v[16:17], off
	global_load_dword v19, v[12:13], off
	v_add_co_u32_e32 v12, vcc, 4, v12
	v_addc_co_u32_e32 v13, vcc, 0, v13, vcc
	v_add_co_u32_e32 v16, vcc, 4, v16
	v_addc_co_u32_e32 v17, vcc, 0, v17, vcc
	s_add_u32 s40, s40, 1
	s_addc_u32 s41, s41, 0
	s_andn2_b64 s[36:37], s[36:37], exec
	s_waitcnt vmcnt(0)
	v_cmp_ne_u32_e32 vcc, v18, v19
	s_and_b64 s[42:43], vcc, exec
	s_or_b64 s[36:37], s[36:37], s[42:43]
.LBB451_64:                             ;   in Loop: Header=BB451_65 Depth=1
	s_and_b64 s[42:43], exec, s[36:37]
	s_or_b64 s[8:9], s[42:43], s[8:9]
	v_pk_mov_b32 v[18:19], s[40:41], s[40:41] op_sel:[0,1]
	s_andn2_b64 exec, exec, s[8:9]
	s_cbranch_execz .LBB451_67
.LBB451_65:                             ; =>This Inner Loop Header: Depth=1
	s_or_b64 s[36:37], s[36:37], exec
	s_cmp_eq_u64 s[6:7], s[40:41]
	s_cbranch_scc0 .LBB451_63
; %bb.66:                               ;   in Loop: Header=BB451_65 Depth=1
                                        ; implicit-def: $vgpr12_vgpr13
                                        ; implicit-def: $vgpr16_vgpr17
	s_mov_b64 s[40:41], s[26:27]
	s_branch .LBB451_64
.LBB451_67:
	s_or_b64 exec, exec, s[8:9]
	v_cmp_gt_i64_e32 vcc, s[26:27], v[18:19]
	s_orn2_b64 s[36:37], vcc, exec
.LBB451_68:
	s_or_b64 exec, exec, s[38:39]
.LBB451_69:
	v_cndmask_b32_e64 v13, 0, 1, s[10:11]
	s_waitcnt lgkmcnt(0)
	v_or_b32_e32 v16, v28, v29
	s_and_b64 vcc, exec, s[14:15]
	s_cbranch_vccz .LBB451_128
.LBB451_70:
	v_cmp_gt_u32_e32 vcc, s48, v23
	s_mov_b64 s[14:15], 0
	s_mov_b64 s[10:11], 0
	s_and_saveexec_b64 s[36:37], vcc
	s_cbranch_execz .LBB451_81
; %bb.71:
	s_and_b64 vcc, exec, s[4:5]
	s_mov_b64 s[38:39], 0
	s_cbranch_vccnz .LBB451_80
; %bb.72:
	v_mul_lo_u32 v16, v5, s26
	v_mul_lo_u32 v17, v4, s27
	v_mad_u64_u32 v[12:13], s[6:7], v4, s26, 0
	v_add3_u32 v13, v13, v17, v16
	v_mul_lo_u32 v16, v11, s26
	v_mul_lo_u32 v17, v10, s27
	v_mad_u64_u32 v[20:21], s[6:7], v10, s26, 0
	v_add3_u32 v21, v21, v17, v16
	v_lshlrev_b64 v[16:17], 2, v[12:13]
	v_mov_b32_e32 v12, s17
	v_add_co_u32_e32 v18, vcc, s16, v16
	v_addc_co_u32_e64 v19, s[6:7], v12, v17, vcc
	v_lshlrev_b64 v[12:13], 2, v[20:21]
	v_mov_b32_e32 v16, s17
	v_add_co_u32_e64 v20, s[6:7], s16, v12
	v_addc_co_u32_e64 v21, s[8:9], v16, v13, s[6:7]
	global_load_dword v12, v[18:19], off
	global_load_dword v16, v[20:21], off
	s_mov_b64 s[38:39], -1
	s_waitcnt vmcnt(0)
	v_cmp_eq_u32_e64 s[8:9], v12, v16
	s_and_saveexec_b64 s[10:11], s[8:9]
	s_cbranch_execz .LBB451_79
; %bb.73:
	v_mov_b32_e32 v12, s17
	v_addc_co_u32_e64 v13, s[6:7], v13, v12, s[6:7]
	v_add_co_u32_e64 v12, s[6:7], 4, v20
	v_mov_b32_e32 v16, s17
	v_addc_co_u32_e64 v13, s[6:7], 0, v13, s[6:7]
	v_addc_co_u32_e32 v17, vcc, v17, v16, vcc
	v_add_co_u32_e32 v16, vcc, 4, v18
	s_add_u32 s6, s26, -1
	v_addc_co_u32_e32 v17, vcc, 0, v17, vcc
	s_addc_u32 s7, s27, -1
	s_mov_b64 s[8:9], 0
	s_mov_b64 s[40:41], 0
                                        ; implicit-def: $sgpr38_sgpr39
	s_branch .LBB451_76
.LBB451_74:                             ;   in Loop: Header=BB451_76 Depth=1
	global_load_dword v18, v[16:17], off
	global_load_dword v19, v[12:13], off
	v_add_co_u32_e32 v12, vcc, 4, v12
	v_addc_co_u32_e32 v13, vcc, 0, v13, vcc
	v_add_co_u32_e32 v16, vcc, 4, v16
	v_addc_co_u32_e32 v17, vcc, 0, v17, vcc
	s_add_u32 s40, s40, 1
	s_addc_u32 s41, s41, 0
	s_andn2_b64 s[38:39], s[38:39], exec
	s_waitcnt vmcnt(0)
	v_cmp_ne_u32_e32 vcc, v18, v19
	s_and_b64 s[42:43], vcc, exec
	s_or_b64 s[38:39], s[38:39], s[42:43]
.LBB451_75:                             ;   in Loop: Header=BB451_76 Depth=1
	s_and_b64 s[42:43], exec, s[38:39]
	s_or_b64 s[8:9], s[42:43], s[8:9]
	v_pk_mov_b32 v[18:19], s[40:41], s[40:41] op_sel:[0,1]
	s_andn2_b64 exec, exec, s[8:9]
	s_cbranch_execz .LBB451_78
.LBB451_76:                             ; =>This Inner Loop Header: Depth=1
	s_or_b64 s[38:39], s[38:39], exec
	s_cmp_eq_u64 s[6:7], s[40:41]
	s_cbranch_scc0 .LBB451_74
; %bb.77:                               ;   in Loop: Header=BB451_76 Depth=1
                                        ; implicit-def: $vgpr12_vgpr13
                                        ; implicit-def: $vgpr16_vgpr17
	s_mov_b64 s[40:41], s[26:27]
	s_branch .LBB451_75
.LBB451_78:
	s_or_b64 exec, exec, s[8:9]
	v_cmp_gt_i64_e32 vcc, s[26:27], v[18:19]
	s_orn2_b64 s[38:39], vcc, exec
.LBB451_79:
	s_or_b64 exec, exec, s[10:11]
.LBB451_80:
	s_and_b64 s[10:11], s[38:39], exec
.LBB451_81:
	s_or_b64 exec, exec, s[36:37]
	v_cmp_gt_u32_e32 vcc, s48, v25
	s_and_saveexec_b64 s[36:37], vcc
	s_cbranch_execz .LBB451_92
; %bb.82:
	s_and_b64 vcc, exec, s[4:5]
	s_mov_b64 s[38:39], 0
	s_cbranch_vccnz .LBB451_91
; %bb.83:
	v_mul_lo_u32 v16, v3, s26
	v_mul_lo_u32 v17, v2, s27
	v_mad_u64_u32 v[12:13], s[6:7], v2, s26, 0
	v_add3_u32 v13, v13, v17, v16
	v_mul_lo_u32 v16, v5, s26
	v_mul_lo_u32 v17, v4, s27
	v_mad_u64_u32 v[20:21], s[6:7], v4, s26, 0
	v_add3_u32 v21, v21, v17, v16
	v_lshlrev_b64 v[16:17], 2, v[12:13]
	v_mov_b32_e32 v12, s17
	v_add_co_u32_e32 v18, vcc, s16, v16
	v_addc_co_u32_e64 v19, s[6:7], v12, v17, vcc
	v_lshlrev_b64 v[12:13], 2, v[20:21]
	v_mov_b32_e32 v16, s17
	v_add_co_u32_e64 v20, s[6:7], s16, v12
	v_addc_co_u32_e64 v21, s[8:9], v16, v13, s[6:7]
	global_load_dword v12, v[18:19], off
	global_load_dword v16, v[20:21], off
	s_mov_b64 s[38:39], -1
	s_waitcnt vmcnt(0)
	v_cmp_eq_u32_e64 s[8:9], v12, v16
	s_and_saveexec_b64 s[14:15], s[8:9]
	s_cbranch_execz .LBB451_90
; %bb.84:
	v_mov_b32_e32 v12, s17
	v_addc_co_u32_e64 v13, s[6:7], v13, v12, s[6:7]
	v_add_co_u32_e64 v12, s[6:7], 4, v20
	v_mov_b32_e32 v16, s17
	v_addc_co_u32_e64 v13, s[6:7], 0, v13, s[6:7]
	v_addc_co_u32_e32 v17, vcc, v17, v16, vcc
	v_add_co_u32_e32 v16, vcc, 4, v18
	s_add_u32 s6, s26, -1
	v_addc_co_u32_e32 v17, vcc, 0, v17, vcc
	s_addc_u32 s7, s27, -1
	s_mov_b64 s[8:9], 0
	s_mov_b64 s[40:41], 0
                                        ; implicit-def: $sgpr38_sgpr39
	s_branch .LBB451_87
.LBB451_85:                             ;   in Loop: Header=BB451_87 Depth=1
	global_load_dword v18, v[16:17], off
	global_load_dword v19, v[12:13], off
	v_add_co_u32_e32 v12, vcc, 4, v12
	v_addc_co_u32_e32 v13, vcc, 0, v13, vcc
	v_add_co_u32_e32 v16, vcc, 4, v16
	v_addc_co_u32_e32 v17, vcc, 0, v17, vcc
	s_add_u32 s40, s40, 1
	s_addc_u32 s41, s41, 0
	s_andn2_b64 s[38:39], s[38:39], exec
	s_waitcnt vmcnt(0)
	v_cmp_ne_u32_e32 vcc, v18, v19
	s_and_b64 s[42:43], vcc, exec
	s_or_b64 s[38:39], s[38:39], s[42:43]
.LBB451_86:                             ;   in Loop: Header=BB451_87 Depth=1
	s_and_b64 s[42:43], exec, s[38:39]
	s_or_b64 s[8:9], s[42:43], s[8:9]
	v_pk_mov_b32 v[18:19], s[40:41], s[40:41] op_sel:[0,1]
	s_andn2_b64 exec, exec, s[8:9]
	s_cbranch_execz .LBB451_89
.LBB451_87:                             ; =>This Inner Loop Header: Depth=1
	s_or_b64 s[38:39], s[38:39], exec
	s_cmp_eq_u64 s[6:7], s[40:41]
	s_cbranch_scc0 .LBB451_85
; %bb.88:                               ;   in Loop: Header=BB451_87 Depth=1
                                        ; implicit-def: $vgpr12_vgpr13
                                        ; implicit-def: $vgpr16_vgpr17
	s_mov_b64 s[40:41], s[26:27]
	s_branch .LBB451_86
.LBB451_89:
	s_or_b64 exec, exec, s[8:9]
	v_cmp_gt_i64_e32 vcc, s[26:27], v[18:19]
	s_orn2_b64 s[38:39], vcc, exec
.LBB451_90:
	s_or_b64 exec, exec, s[14:15]
.LBB451_91:
	s_and_b64 s[14:15], s[38:39], exec
.LBB451_92:
	s_or_b64 exec, exec, s[36:37]
	v_cmp_gt_u32_e32 vcc, s48, v22
	s_mov_b64 s[36:37], 0
	s_mov_b64 s[38:39], 0
	s_and_saveexec_b64 s[40:41], vcc
	s_cbranch_execz .LBB451_103
; %bb.93:
	s_and_b64 vcc, exec, s[4:5]
	s_mov_b64 s[42:43], 0
	s_cbranch_vccnz .LBB451_102
; %bb.94:
	v_mul_lo_u32 v16, v9, s26
	v_mul_lo_u32 v17, v8, s27
	v_mad_u64_u32 v[12:13], s[6:7], v8, s26, 0
	v_add3_u32 v13, v13, v17, v16
	v_mul_lo_u32 v16, v3, s26
	v_mul_lo_u32 v17, v2, s27
	v_mad_u64_u32 v[20:21], s[6:7], v2, s26, 0
	v_add3_u32 v21, v21, v17, v16
	v_lshlrev_b64 v[16:17], 2, v[12:13]
	v_mov_b32_e32 v12, s17
	v_add_co_u32_e32 v18, vcc, s16, v16
	v_addc_co_u32_e64 v19, s[6:7], v12, v17, vcc
	v_lshlrev_b64 v[12:13], 2, v[20:21]
	v_mov_b32_e32 v16, s17
	v_add_co_u32_e64 v20, s[6:7], s16, v12
	v_addc_co_u32_e64 v21, s[8:9], v16, v13, s[6:7]
	global_load_dword v12, v[18:19], off
	global_load_dword v16, v[20:21], off
	s_mov_b64 s[42:43], -1
	s_waitcnt vmcnt(0)
	v_cmp_eq_u32_e64 s[8:9], v12, v16
	s_and_saveexec_b64 s[38:39], s[8:9]
	s_cbranch_execz .LBB451_101
; %bb.95:
	v_mov_b32_e32 v12, s17
	v_addc_co_u32_e64 v13, s[6:7], v13, v12, s[6:7]
	v_add_co_u32_e64 v12, s[6:7], 4, v20
	v_mov_b32_e32 v16, s17
	v_addc_co_u32_e64 v13, s[6:7], 0, v13, s[6:7]
	v_addc_co_u32_e32 v17, vcc, v17, v16, vcc
	v_add_co_u32_e32 v16, vcc, 4, v18
	s_add_u32 s6, s26, -1
	v_addc_co_u32_e32 v17, vcc, 0, v17, vcc
	s_addc_u32 s7, s27, -1
	s_mov_b64 s[8:9], 0
	s_mov_b64 s[44:45], 0
                                        ; implicit-def: $sgpr42_sgpr43
	s_branch .LBB451_98
.LBB451_96:                             ;   in Loop: Header=BB451_98 Depth=1
	global_load_dword v18, v[16:17], off
	global_load_dword v19, v[12:13], off
	v_add_co_u32_e32 v12, vcc, 4, v12
	v_addc_co_u32_e32 v13, vcc, 0, v13, vcc
	v_add_co_u32_e32 v16, vcc, 4, v16
	v_addc_co_u32_e32 v17, vcc, 0, v17, vcc
	s_add_u32 s44, s44, 1
	s_addc_u32 s45, s45, 0
	s_andn2_b64 s[42:43], s[42:43], exec
	s_waitcnt vmcnt(0)
	v_cmp_ne_u32_e32 vcc, v18, v19
	s_and_b64 s[46:47], vcc, exec
	s_or_b64 s[42:43], s[42:43], s[46:47]
.LBB451_97:                             ;   in Loop: Header=BB451_98 Depth=1
	s_and_b64 s[46:47], exec, s[42:43]
	s_or_b64 s[8:9], s[46:47], s[8:9]
	v_pk_mov_b32 v[18:19], s[44:45], s[44:45] op_sel:[0,1]
	s_andn2_b64 exec, exec, s[8:9]
	s_cbranch_execz .LBB451_100
.LBB451_98:                             ; =>This Inner Loop Header: Depth=1
	s_or_b64 s[42:43], s[42:43], exec
	s_cmp_eq_u64 s[6:7], s[44:45]
	s_cbranch_scc0 .LBB451_96
; %bb.99:                               ;   in Loop: Header=BB451_98 Depth=1
                                        ; implicit-def: $vgpr12_vgpr13
                                        ; implicit-def: $vgpr16_vgpr17
	s_mov_b64 s[44:45], s[26:27]
	s_branch .LBB451_97
.LBB451_100:
	s_or_b64 exec, exec, s[8:9]
	v_cmp_gt_i64_e32 vcc, s[26:27], v[18:19]
	s_orn2_b64 s[42:43], vcc, exec
.LBB451_101:
	s_or_b64 exec, exec, s[38:39]
.LBB451_102:
	s_and_b64 s[38:39], s[42:43], exec
.LBB451_103:
	s_or_b64 exec, exec, s[40:41]
	v_cmp_gt_u32_e32 vcc, s48, v24
	s_and_saveexec_b64 s[40:41], vcc
	s_cbranch_execz .LBB451_114
; %bb.104:
	s_and_b64 vcc, exec, s[4:5]
	s_mov_b64 s[42:43], 0
	s_cbranch_vccnz .LBB451_113
; %bb.105:
	v_mul_lo_u32 v16, v7, s26
	v_mul_lo_u32 v17, v6, s27
	v_mad_u64_u32 v[12:13], s[6:7], v6, s26, 0
	v_add3_u32 v13, v13, v17, v16
	v_mul_lo_u32 v16, v9, s26
	v_mul_lo_u32 v17, v8, s27
	v_mad_u64_u32 v[20:21], s[6:7], v8, s26, 0
	v_add3_u32 v21, v21, v17, v16
	v_lshlrev_b64 v[16:17], 2, v[12:13]
	v_mov_b32_e32 v12, s17
	v_add_co_u32_e32 v18, vcc, s16, v16
	v_addc_co_u32_e64 v19, s[6:7], v12, v17, vcc
	v_lshlrev_b64 v[12:13], 2, v[20:21]
	v_mov_b32_e32 v16, s17
	v_add_co_u32_e64 v20, s[6:7], s16, v12
	v_addc_co_u32_e64 v21, s[8:9], v16, v13, s[6:7]
	global_load_dword v12, v[18:19], off
	global_load_dword v16, v[20:21], off
	s_mov_b64 s[42:43], -1
	s_waitcnt vmcnt(0)
	v_cmp_eq_u32_e64 s[8:9], v12, v16
	s_and_saveexec_b64 s[36:37], s[8:9]
	s_cbranch_execz .LBB451_112
; %bb.106:
	v_mov_b32_e32 v12, s17
	v_addc_co_u32_e64 v13, s[6:7], v13, v12, s[6:7]
	v_add_co_u32_e64 v12, s[6:7], 4, v20
	v_mov_b32_e32 v16, s17
	v_addc_co_u32_e64 v13, s[6:7], 0, v13, s[6:7]
	v_addc_co_u32_e32 v17, vcc, v17, v16, vcc
	v_add_co_u32_e32 v16, vcc, 4, v18
	s_add_u32 s6, s26, -1
	v_addc_co_u32_e32 v17, vcc, 0, v17, vcc
	s_addc_u32 s7, s27, -1
	s_mov_b64 s[8:9], 0
	s_mov_b64 s[44:45], 0
                                        ; implicit-def: $sgpr42_sgpr43
	s_branch .LBB451_109
.LBB451_107:                            ;   in Loop: Header=BB451_109 Depth=1
	global_load_dword v18, v[16:17], off
	global_load_dword v19, v[12:13], off
	v_add_co_u32_e32 v12, vcc, 4, v12
	v_addc_co_u32_e32 v13, vcc, 0, v13, vcc
	v_add_co_u32_e32 v16, vcc, 4, v16
	v_addc_co_u32_e32 v17, vcc, 0, v17, vcc
	s_add_u32 s44, s44, 1
	s_addc_u32 s45, s45, 0
	s_andn2_b64 s[42:43], s[42:43], exec
	s_waitcnt vmcnt(0)
	v_cmp_ne_u32_e32 vcc, v18, v19
	s_and_b64 s[46:47], vcc, exec
	s_or_b64 s[42:43], s[42:43], s[46:47]
.LBB451_108:                            ;   in Loop: Header=BB451_109 Depth=1
	s_and_b64 s[46:47], exec, s[42:43]
	s_or_b64 s[8:9], s[46:47], s[8:9]
	v_pk_mov_b32 v[18:19], s[44:45], s[44:45] op_sel:[0,1]
	s_andn2_b64 exec, exec, s[8:9]
	s_cbranch_execz .LBB451_111
.LBB451_109:                            ; =>This Inner Loop Header: Depth=1
	s_or_b64 s[42:43], s[42:43], exec
	s_cmp_eq_u64 s[6:7], s[44:45]
	s_cbranch_scc0 .LBB451_107
; %bb.110:                              ;   in Loop: Header=BB451_109 Depth=1
                                        ; implicit-def: $vgpr12_vgpr13
                                        ; implicit-def: $vgpr16_vgpr17
	s_mov_b64 s[44:45], s[26:27]
	s_branch .LBB451_108
.LBB451_111:
	s_or_b64 exec, exec, s[8:9]
	v_cmp_gt_i64_e32 vcc, s[26:27], v[18:19]
	s_orn2_b64 s[42:43], vcc, exec
.LBB451_112:
	s_or_b64 exec, exec, s[36:37]
.LBB451_113:
	s_and_b64 s[36:37], s[42:43], exec
.LBB451_114:
	s_or_b64 exec, exec, s[40:41]
	s_waitcnt lgkmcnt(0)
	s_barrier
	s_and_saveexec_b64 s[6:7], s[2:3]
	s_cbranch_execz .LBB451_116
; %bb.115:
	v_add_u32_e32 v12, -8, v27
	s_waitcnt vmcnt(0)
	ds_read_b64 v[14:15], v12
.LBB451_116:
	s_or_b64 exec, exec, s[6:7]
	v_cndmask_b32_e64 v13, 0, 1, s[14:15]
	v_cndmask_b32_e64 v12, 0, 1, s[38:39]
	;; [unrolled: 1-line block ×3, first 2 shown]
	v_lshlrev_b16_e32 v13, 8, v13
	v_cmp_gt_u32_e32 vcc, s48, v1
	v_lshlrev_b16_e32 v20, 8, v16
	v_or_b32_sdwa v21, v12, v13 dst_sel:WORD_1 dst_unused:UNUSED_PAD src0_sel:DWORD src1_sel:DWORD
	s_mov_b64 s[36:37], 0
	s_and_saveexec_b64 s[8:9], vcc
	s_cbranch_execz .LBB451_127
; %bb.117:
	s_and_b64 vcc, exec, s[4:5]
	s_cbranch_vccnz .LBB451_126
; %bb.118:
	s_waitcnt vmcnt(0) lgkmcnt(0)
	v_mul_lo_u32 v15, v15, s26
	v_mul_lo_u32 v16, v14, s27
	v_mad_u64_u32 v[12:13], s[4:5], v14, s26, 0
	v_add3_u32 v13, v13, v16, v15
	v_mul_lo_u32 v14, v7, s26
	v_mul_lo_u32 v15, v6, s27
	v_mad_u64_u32 v[18:19], s[4:5], v6, s26, 0
	v_add3_u32 v19, v19, v15, v14
	v_lshlrev_b64 v[14:15], 2, v[12:13]
	v_mov_b32_e32 v12, s17
	v_add_co_u32_e32 v16, vcc, s16, v14
	v_addc_co_u32_e64 v17, s[4:5], v12, v15, vcc
	v_lshlrev_b64 v[12:13], 2, v[18:19]
	v_mov_b32_e32 v14, s17
	v_add_co_u32_e64 v18, s[4:5], s16, v12
	v_addc_co_u32_e64 v19, s[6:7], v14, v13, s[4:5]
	global_load_dword v12, v[16:17], off
	global_load_dword v14, v[18:19], off
	s_mov_b64 s[36:37], -1
	s_waitcnt vmcnt(0)
	v_cmp_eq_u32_e64 s[6:7], v12, v14
	s_and_saveexec_b64 s[14:15], s[6:7]
	s_cbranch_execz .LBB451_125
; %bb.119:
	v_mov_b32_e32 v12, s17
	v_addc_co_u32_e64 v13, s[4:5], v13, v12, s[4:5]
	v_add_co_u32_e64 v12, s[4:5], 4, v18
	v_mov_b32_e32 v14, s17
	v_addc_co_u32_e64 v13, s[4:5], 0, v13, s[4:5]
	v_addc_co_u32_e32 v15, vcc, v15, v14, vcc
	v_add_co_u32_e32 v14, vcc, 4, v16
	s_add_u32 s4, s26, -1
	v_addc_co_u32_e32 v15, vcc, 0, v15, vcc
	s_addc_u32 s5, s27, -1
	s_mov_b64 s[6:7], 0
	s_mov_b64 s[38:39], 0
                                        ; implicit-def: $sgpr36_sgpr37
	s_branch .LBB451_122
.LBB451_120:                            ;   in Loop: Header=BB451_122 Depth=1
	global_load_dword v16, v[14:15], off
	global_load_dword v17, v[12:13], off
	v_add_co_u32_e32 v12, vcc, 4, v12
	v_addc_co_u32_e32 v13, vcc, 0, v13, vcc
	v_add_co_u32_e32 v14, vcc, 4, v14
	v_addc_co_u32_e32 v15, vcc, 0, v15, vcc
	s_add_u32 s38, s38, 1
	s_addc_u32 s39, s39, 0
	s_andn2_b64 s[36:37], s[36:37], exec
	s_waitcnt vmcnt(0)
	v_cmp_ne_u32_e32 vcc, v16, v17
	s_and_b64 s[40:41], vcc, exec
	s_or_b64 s[36:37], s[36:37], s[40:41]
.LBB451_121:                            ;   in Loop: Header=BB451_122 Depth=1
	s_and_b64 s[40:41], exec, s[36:37]
	s_or_b64 s[6:7], s[40:41], s[6:7]
	v_pk_mov_b32 v[16:17], s[38:39], s[38:39] op_sel:[0,1]
	s_andn2_b64 exec, exec, s[6:7]
	s_cbranch_execz .LBB451_124
.LBB451_122:                            ; =>This Inner Loop Header: Depth=1
	s_or_b64 s[36:37], s[36:37], exec
	s_cmp_eq_u64 s[4:5], s[38:39]
	s_cbranch_scc0 .LBB451_120
; %bb.123:                              ;   in Loop: Header=BB451_122 Depth=1
                                        ; implicit-def: $vgpr12_vgpr13
                                        ; implicit-def: $vgpr14_vgpr15
	s_mov_b64 s[38:39], s[26:27]
	s_branch .LBB451_121
.LBB451_124:
	s_or_b64 exec, exec, s[6:7]
	v_cmp_gt_i64_e32 vcc, s[26:27], v[16:17]
	s_orn2_b64 s[36:37], vcc, exec
.LBB451_125:
	s_or_b64 exec, exec, s[14:15]
.LBB451_126:
	s_and_b64 s[36:37], s[36:37], exec
.LBB451_127:
	s_or_b64 exec, exec, s[8:9]
	v_cndmask_b32_e64 v13, 0, 1, s[10:11]
	v_or_b32_e32 v16, v20, v21
.LBB451_128:
	s_mov_b64 s[14:15], -1
	s_cbranch_execnz .LBB451_237
.LBB451_129:
	v_lshlrev_b32_e32 v12, 5, v0
	v_sub_u32_e32 v26, v26, v12
	s_mov_b64 s[36:37], 0
	v_cmp_gt_i64_e64 s[10:11], s[26:27], 0
	s_and_b64 vcc, exec, s[30:31]
	ds_write_b64 v26, v[10:11]
	s_cbranch_vccz .LBB451_137
; %bb.130:
	s_waitcnt vmcnt(0) lgkmcnt(1)
	v_mul_lo_u32 v14, v5, s26
	v_mul_lo_u32 v15, v4, s27
	v_mad_u64_u32 v[12:13], s[4:5], v4, s26, 0
	v_add3_u32 v13, v13, v15, v14
	v_cndmask_b32_e64 v14, 0, 1, s[10:11]
	v_cmp_ne_u32_e64 s[4:5], 1, v14
	s_andn2_b64 vcc, exec, s[10:11]
	v_lshlrev_b64 v[12:13], 2, v[12:13]
	s_cbranch_vccnz .LBB451_140
; %bb.131:
	v_mul_lo_u32 v16, v11, s26
	v_mul_lo_u32 v17, v10, s27
	v_mad_u64_u32 v[14:15], s[6:7], v10, s26, 0
	v_add3_u32 v15, v15, v17, v16
	v_mov_b32_e32 v17, s17
	v_add_co_u32_e32 v16, vcc, s16, v12
	v_addc_co_u32_e64 v17, s[6:7], v17, v13, vcc
	v_lshlrev_b64 v[14:15], 2, v[14:15]
	v_mov_b32_e32 v19, s17
	v_add_co_u32_e64 v18, s[6:7], s16, v14
	v_addc_co_u32_e64 v19, s[8:9], v19, v15, s[6:7]
	global_load_dword v14, v[16:17], off
	global_load_dword v20, v[18:19], off
	s_mov_b64 s[36:37], -1
	s_waitcnt vmcnt(0)
	v_cmp_eq_u32_e64 s[8:9], v14, v20
	s_and_saveexec_b64 s[38:39], s[8:9]
	s_cbranch_execz .LBB451_139
; %bb.132:
	v_mov_b32_e32 v14, s17
	v_addc_co_u32_e64 v15, s[6:7], v15, v14, s[6:7]
	v_add_co_u32_e64 v14, s[6:7], 4, v18
	v_mov_b32_e32 v17, s17
	v_addc_co_u32_e64 v15, s[6:7], 0, v15, s[6:7]
	v_addc_co_u32_e32 v17, vcc, v13, v17, vcc
	v_add_co_u32_e32 v16, vcc, 4, v16
	s_add_u32 s6, s26, -1
	v_addc_co_u32_e32 v17, vcc, 0, v17, vcc
	s_addc_u32 s7, s27, -1
	s_mov_b64 s[8:9], 0
	s_mov_b64 s[40:41], 0
                                        ; implicit-def: $sgpr36_sgpr37
	s_branch .LBB451_135
.LBB451_133:                            ;   in Loop: Header=BB451_135 Depth=1
	global_load_dword v18, v[16:17], off
	global_load_dword v19, v[14:15], off
	v_add_co_u32_e32 v14, vcc, 4, v14
	v_addc_co_u32_e32 v15, vcc, 0, v15, vcc
	v_add_co_u32_e32 v16, vcc, 4, v16
	v_addc_co_u32_e32 v17, vcc, 0, v17, vcc
	s_add_u32 s40, s40, 1
	s_addc_u32 s41, s41, 0
	s_andn2_b64 s[36:37], s[36:37], exec
	s_waitcnt vmcnt(0)
	v_cmp_ne_u32_e32 vcc, v18, v19
	s_and_b64 s[42:43], vcc, exec
	s_or_b64 s[36:37], s[36:37], s[42:43]
.LBB451_134:                            ;   in Loop: Header=BB451_135 Depth=1
	s_and_b64 s[42:43], exec, s[36:37]
	s_or_b64 s[8:9], s[42:43], s[8:9]
	v_pk_mov_b32 v[18:19], s[40:41], s[40:41] op_sel:[0,1]
	s_andn2_b64 exec, exec, s[8:9]
	s_cbranch_execz .LBB451_138
.LBB451_135:                            ; =>This Inner Loop Header: Depth=1
	s_or_b64 s[36:37], s[36:37], exec
	s_cmp_eq_u64 s[6:7], s[40:41]
	s_cbranch_scc0 .LBB451_133
; %bb.136:                              ;   in Loop: Header=BB451_135 Depth=1
                                        ; implicit-def: $vgpr14_vgpr15
                                        ; implicit-def: $vgpr16_vgpr17
	s_mov_b64 s[40:41], s[26:27]
	s_branch .LBB451_134
.LBB451_137:
                                        ; implicit-def: $sgpr36_sgpr37
                                        ; implicit-def: $vgpr13
                                        ; implicit-def: $vgpr16
	s_cbranch_execnz .LBB451_179
	s_branch .LBB451_237
.LBB451_138:
	s_or_b64 exec, exec, s[8:9]
	v_cmp_gt_i64_e32 vcc, s[26:27], v[18:19]
	s_orn2_b64 s[36:37], vcc, exec
.LBB451_139:
	s_or_b64 exec, exec, s[38:39]
.LBB451_140:
	v_mul_lo_u32 v16, v3, s26
	v_mul_lo_u32 v17, v2, s27
	v_mad_u64_u32 v[14:15], s[6:7], v2, s26, 0
	v_add3_u32 v15, v15, v17, v16
	s_mov_b64 s[38:39], 0
	s_and_b64 vcc, exec, s[4:5]
	v_lshlrev_b64 v[14:15], 2, v[14:15]
	s_mov_b64 s[40:41], 0
	s_cbranch_vccnz .LBB451_149
; %bb.141:
	v_mov_b32_e32 v17, s17
	v_add_co_u32_e32 v16, vcc, s16, v14
	v_addc_co_u32_e64 v17, s[6:7], v17, v15, vcc
	v_mov_b32_e32 v19, s17
	v_add_co_u32_e64 v18, s[6:7], s16, v12
	v_addc_co_u32_e64 v19, s[8:9], v19, v13, s[6:7]
	global_load_dword v12, v[16:17], off
	global_load_dword v20, v[18:19], off
	s_mov_b64 s[40:41], -1
	s_waitcnt vmcnt(0)
	v_cmp_eq_u32_e64 s[8:9], v12, v20
	s_and_saveexec_b64 s[42:43], s[8:9]
	s_cbranch_execz .LBB451_148
; %bb.142:
	v_mov_b32_e32 v12, s17
	v_addc_co_u32_e64 v13, s[6:7], v13, v12, s[6:7]
	v_add_co_u32_e64 v12, s[6:7], 4, v18
	v_mov_b32_e32 v17, s17
	v_addc_co_u32_e64 v13, s[6:7], 0, v13, s[6:7]
	v_addc_co_u32_e32 v17, vcc, v15, v17, vcc
	v_add_co_u32_e32 v16, vcc, 4, v16
	s_add_u32 s6, s26, -1
	v_addc_co_u32_e32 v17, vcc, 0, v17, vcc
	s_addc_u32 s7, s27, -1
	s_mov_b64 s[8:9], 0
	s_mov_b64 s[44:45], 0
                                        ; implicit-def: $sgpr40_sgpr41
	s_branch .LBB451_145
.LBB451_143:                            ;   in Loop: Header=BB451_145 Depth=1
	global_load_dword v18, v[16:17], off
	global_load_dword v19, v[12:13], off
	v_add_co_u32_e32 v12, vcc, 4, v12
	v_addc_co_u32_e32 v13, vcc, 0, v13, vcc
	v_add_co_u32_e32 v16, vcc, 4, v16
	v_addc_co_u32_e32 v17, vcc, 0, v17, vcc
	s_add_u32 s44, s44, 1
	s_addc_u32 s45, s45, 0
	s_andn2_b64 s[40:41], s[40:41], exec
	s_waitcnt vmcnt(0)
	v_cmp_ne_u32_e32 vcc, v18, v19
	s_and_b64 s[46:47], vcc, exec
	s_or_b64 s[40:41], s[40:41], s[46:47]
.LBB451_144:                            ;   in Loop: Header=BB451_145 Depth=1
	s_and_b64 s[46:47], exec, s[40:41]
	s_or_b64 s[8:9], s[46:47], s[8:9]
	v_pk_mov_b32 v[18:19], s[44:45], s[44:45] op_sel:[0,1]
	s_andn2_b64 exec, exec, s[8:9]
	s_cbranch_execz .LBB451_147
.LBB451_145:                            ; =>This Inner Loop Header: Depth=1
	s_or_b64 s[40:41], s[40:41], exec
	s_cmp_eq_u64 s[6:7], s[44:45]
	s_cbranch_scc0 .LBB451_143
; %bb.146:                              ;   in Loop: Header=BB451_145 Depth=1
                                        ; implicit-def: $vgpr12_vgpr13
                                        ; implicit-def: $vgpr16_vgpr17
	s_mov_b64 s[44:45], s[26:27]
	s_branch .LBB451_144
.LBB451_147:
	s_or_b64 exec, exec, s[8:9]
	v_cmp_gt_i64_e32 vcc, s[26:27], v[18:19]
	s_orn2_b64 s[40:41], vcc, exec
.LBB451_148:
	s_or_b64 exec, exec, s[42:43]
.LBB451_149:
	v_mul_lo_u32 v16, v9, s26
	v_mul_lo_u32 v17, v8, s27
	v_mad_u64_u32 v[12:13], s[6:7], v8, s26, 0
	v_add3_u32 v13, v13, v17, v16
	s_and_b64 vcc, exec, s[4:5]
	v_lshlrev_b64 v[12:13], 2, v[12:13]
	s_cbranch_vccnz .LBB451_158
; %bb.150:
	v_mov_b32_e32 v17, s17
	v_add_co_u32_e32 v16, vcc, s16, v12
	v_addc_co_u32_e64 v17, s[6:7], v17, v13, vcc
	v_mov_b32_e32 v19, s17
	v_add_co_u32_e64 v18, s[6:7], s16, v14
	v_addc_co_u32_e64 v19, s[8:9], v19, v15, s[6:7]
	global_load_dword v14, v[16:17], off
	global_load_dword v20, v[18:19], off
	s_mov_b64 s[38:39], -1
	s_waitcnt vmcnt(0)
	v_cmp_eq_u32_e64 s[8:9], v14, v20
	s_and_saveexec_b64 s[42:43], s[8:9]
	s_cbranch_execz .LBB451_157
; %bb.151:
	v_mov_b32_e32 v14, s17
	v_addc_co_u32_e64 v15, s[6:7], v15, v14, s[6:7]
	v_add_co_u32_e64 v14, s[6:7], 4, v18
	v_mov_b32_e32 v17, s17
	v_addc_co_u32_e64 v15, s[6:7], 0, v15, s[6:7]
	v_addc_co_u32_e32 v17, vcc, v13, v17, vcc
	v_add_co_u32_e32 v16, vcc, 4, v16
	s_add_u32 s6, s26, -1
	v_addc_co_u32_e32 v17, vcc, 0, v17, vcc
	s_addc_u32 s7, s27, -1
	s_mov_b64 s[8:9], 0
	s_mov_b64 s[44:45], 0
                                        ; implicit-def: $sgpr38_sgpr39
	s_branch .LBB451_154
.LBB451_152:                            ;   in Loop: Header=BB451_154 Depth=1
	global_load_dword v18, v[16:17], off
	global_load_dword v19, v[14:15], off
	v_add_co_u32_e32 v14, vcc, 4, v14
	v_addc_co_u32_e32 v15, vcc, 0, v15, vcc
	v_add_co_u32_e32 v16, vcc, 4, v16
	v_addc_co_u32_e32 v17, vcc, 0, v17, vcc
	s_add_u32 s44, s44, 1
	s_addc_u32 s45, s45, 0
	s_andn2_b64 s[38:39], s[38:39], exec
	s_waitcnt vmcnt(0)
	v_cmp_ne_u32_e32 vcc, v18, v19
	s_and_b64 s[46:47], vcc, exec
	s_or_b64 s[38:39], s[38:39], s[46:47]
.LBB451_153:                            ;   in Loop: Header=BB451_154 Depth=1
	s_and_b64 s[46:47], exec, s[38:39]
	s_or_b64 s[8:9], s[46:47], s[8:9]
	v_pk_mov_b32 v[18:19], s[44:45], s[44:45] op_sel:[0,1]
	s_andn2_b64 exec, exec, s[8:9]
	s_cbranch_execz .LBB451_156
.LBB451_154:                            ; =>This Inner Loop Header: Depth=1
	s_or_b64 s[38:39], s[38:39], exec
	s_cmp_eq_u64 s[6:7], s[44:45]
	s_cbranch_scc0 .LBB451_152
; %bb.155:                              ;   in Loop: Header=BB451_154 Depth=1
                                        ; implicit-def: $vgpr14_vgpr15
                                        ; implicit-def: $vgpr16_vgpr17
	s_mov_b64 s[44:45], s[26:27]
	s_branch .LBB451_153
.LBB451_156:
	s_or_b64 exec, exec, s[8:9]
	v_cmp_gt_i64_e32 vcc, s[26:27], v[18:19]
	s_orn2_b64 s[38:39], vcc, exec
.LBB451_157:
	s_or_b64 exec, exec, s[42:43]
.LBB451_158:
	v_mul_lo_u32 v16, v7, s26
	v_mul_lo_u32 v17, v6, s27
	v_mad_u64_u32 v[14:15], s[6:7], v6, s26, 0
	v_add3_u32 v15, v15, v17, v16
	s_and_b64 vcc, exec, s[4:5]
	s_mov_b64 s[44:45], 0
	s_cbranch_vccnz .LBB451_167
; %bb.159:
	v_lshlrev_b64 v[16:17], 2, v[14:15]
	v_mov_b32_e32 v19, s17
	v_add_co_u32_e32 v18, vcc, s16, v16
	v_addc_co_u32_e64 v19, s[6:7], v19, v17, vcc
	v_mov_b32_e32 v16, s17
	v_add_co_u32_e64 v20, s[6:7], s16, v12
	v_addc_co_u32_e64 v21, s[8:9], v16, v13, s[6:7]
	global_load_dword v12, v[18:19], off
	global_load_dword v16, v[20:21], off
	s_mov_b64 s[44:45], -1
	s_waitcnt vmcnt(0)
	v_cmp_eq_u32_e64 s[8:9], v12, v16
	s_and_saveexec_b64 s[42:43], s[8:9]
	s_cbranch_execz .LBB451_166
; %bb.160:
	v_mov_b32_e32 v12, s17
	v_addc_co_u32_e64 v13, s[6:7], v13, v12, s[6:7]
	v_add_co_u32_e64 v12, s[6:7], 4, v20
	v_mov_b32_e32 v16, s17
	v_addc_co_u32_e64 v13, s[6:7], 0, v13, s[6:7]
	v_addc_co_u32_e32 v17, vcc, v17, v16, vcc
	v_add_co_u32_e32 v16, vcc, 4, v18
	s_add_u32 s6, s26, -1
	v_addc_co_u32_e32 v17, vcc, 0, v17, vcc
	s_addc_u32 s7, s27, -1
	s_mov_b64 s[8:9], 0
	s_mov_b64 s[46:47], 0
                                        ; implicit-def: $sgpr44_sgpr45
	s_branch .LBB451_163
.LBB451_161:                            ;   in Loop: Header=BB451_163 Depth=1
	global_load_dword v18, v[16:17], off
	global_load_dword v19, v[12:13], off
	v_add_co_u32_e32 v12, vcc, 4, v12
	v_addc_co_u32_e32 v13, vcc, 0, v13, vcc
	v_add_co_u32_e32 v16, vcc, 4, v16
	v_addc_co_u32_e32 v17, vcc, 0, v17, vcc
	s_add_u32 s46, s46, 1
	s_addc_u32 s47, s47, 0
	s_andn2_b64 s[44:45], s[44:45], exec
	s_waitcnt vmcnt(0)
	v_cmp_ne_u32_e32 vcc, v18, v19
	s_and_b64 s[50:51], vcc, exec
	s_or_b64 s[44:45], s[44:45], s[50:51]
.LBB451_162:                            ;   in Loop: Header=BB451_163 Depth=1
	s_and_b64 s[50:51], exec, s[44:45]
	s_or_b64 s[8:9], s[50:51], s[8:9]
	v_pk_mov_b32 v[18:19], s[46:47], s[46:47] op_sel:[0,1]
	s_andn2_b64 exec, exec, s[8:9]
	s_cbranch_execz .LBB451_165
.LBB451_163:                            ; =>This Inner Loop Header: Depth=1
	s_or_b64 s[44:45], s[44:45], exec
	s_cmp_eq_u64 s[6:7], s[46:47]
	s_cbranch_scc0 .LBB451_161
; %bb.164:                              ;   in Loop: Header=BB451_163 Depth=1
                                        ; implicit-def: $vgpr12_vgpr13
                                        ; implicit-def: $vgpr16_vgpr17
	s_mov_b64 s[46:47], s[26:27]
	s_branch .LBB451_162
.LBB451_165:
	s_or_b64 exec, exec, s[8:9]
	v_cmp_gt_i64_e32 vcc, s[26:27], v[18:19]
	s_orn2_b64 s[44:45], vcc, exec
.LBB451_166:
	s_or_b64 exec, exec, s[42:43]
.LBB451_167:
	v_cndmask_b32_e64 v13, 0, 1, s[40:41]
	v_cndmask_b32_e64 v16, 0, 1, s[44:45]
	;; [unrolled: 1-line block ×3, first 2 shown]
	v_lshlrev_b16_e32 v16, 8, v16
	v_lshlrev_b16_e32 v13, 8, v13
	v_or_b32_e32 v16, 1, v16
	v_or_b32_sdwa v12, v12, v13 dst_sel:WORD_1 dst_unused:UNUSED_PAD src0_sel:DWORD src1_sel:DWORD
	v_or_b32_sdwa v12, v16, v12 dst_sel:DWORD dst_unused:UNUSED_PAD src0_sel:WORD_0 src1_sel:DWORD
	v_cndmask_b32_e64 v13, 0, 1, s[36:37]
	s_waitcnt lgkmcnt(0)
	s_barrier
	s_waitcnt lgkmcnt(0)
                                        ; implicit-def: $sgpr36_sgpr37
                                        ; implicit-def: $vgpr16
	s_and_saveexec_b64 s[6:7], s[2:3]
	s_xor_b64 s[8:9], exec, s[6:7]
	s_cbranch_execz .LBB451_178
; %bb.168:
	s_mov_b32 s42, 0x3020104
	s_and_b64 vcc, exec, s[4:5]
	s_mov_b64 s[38:39], 0
	s_cbranch_vccnz .LBB451_177
; %bb.169:
	v_add_u32_e32 v16, -8, v26
	ds_read_b64 v[16:17], v16
	v_mov_b32_e32 v19, s17
	v_lshlrev_b64 v[14:15], 2, v[14:15]
	s_mov_b64 s[38:39], -1
	s_waitcnt lgkmcnt(0)
	v_mul_lo_u32 v18, v17, s26
	v_mul_lo_u32 v20, v16, s27
	v_mad_u64_u32 v[16:17], s[4:5], v16, s26, 0
	v_add3_u32 v17, v17, v20, v18
	v_lshlrev_b64 v[16:17], 2, v[16:17]
	v_add_co_u32_e32 v18, vcc, s16, v16
	v_addc_co_u32_e64 v19, s[4:5], v19, v17, vcc
	v_mov_b32_e32 v16, s17
	v_add_co_u32_e64 v20, s[4:5], s16, v14
	v_addc_co_u32_e64 v21, s[6:7], v16, v15, s[4:5]
	global_load_dword v14, v[18:19], off
	global_load_dword v16, v[20:21], off
	s_waitcnt vmcnt(0)
	v_cmp_eq_u32_e64 s[6:7], v14, v16
	s_and_saveexec_b64 s[36:37], s[6:7]
	s_cbranch_execz .LBB451_176
; %bb.170:
	v_mov_b32_e32 v14, s17
	v_addc_co_u32_e64 v15, s[4:5], v15, v14, s[4:5]
	v_add_co_u32_e64 v14, s[4:5], 4, v20
	v_mov_b32_e32 v16, s17
	v_addc_co_u32_e64 v15, s[4:5], 0, v15, s[4:5]
	v_addc_co_u32_e32 v17, vcc, v17, v16, vcc
	v_add_co_u32_e32 v16, vcc, 4, v18
	s_add_u32 s4, s26, -1
	v_addc_co_u32_e32 v17, vcc, 0, v17, vcc
	s_addc_u32 s5, s27, -1
	s_mov_b64 s[6:7], 0
	s_mov_b64 s[40:41], 0
                                        ; implicit-def: $sgpr38_sgpr39
	s_branch .LBB451_173
.LBB451_171:                            ;   in Loop: Header=BB451_173 Depth=1
	global_load_dword v18, v[16:17], off
	global_load_dword v19, v[14:15], off
	v_add_co_u32_e32 v14, vcc, 4, v14
	v_addc_co_u32_e32 v15, vcc, 0, v15, vcc
	v_add_co_u32_e32 v16, vcc, 4, v16
	v_addc_co_u32_e32 v17, vcc, 0, v17, vcc
	s_add_u32 s40, s40, 1
	s_addc_u32 s41, s41, 0
	s_andn2_b64 s[38:39], s[38:39], exec
	s_waitcnt vmcnt(0)
	v_cmp_ne_u32_e32 vcc, v18, v19
	s_and_b64 s[44:45], vcc, exec
	s_or_b64 s[38:39], s[38:39], s[44:45]
.LBB451_172:                            ;   in Loop: Header=BB451_173 Depth=1
	s_and_b64 s[44:45], exec, s[38:39]
	s_or_b64 s[6:7], s[44:45], s[6:7]
	v_pk_mov_b32 v[18:19], s[40:41], s[40:41] op_sel:[0,1]
	s_andn2_b64 exec, exec, s[6:7]
	s_cbranch_execz .LBB451_175
.LBB451_173:                            ; =>This Inner Loop Header: Depth=1
	s_or_b64 s[38:39], s[38:39], exec
	s_cmp_eq_u64 s[4:5], s[40:41]
	s_cbranch_scc0 .LBB451_171
; %bb.174:                              ;   in Loop: Header=BB451_173 Depth=1
                                        ; implicit-def: $vgpr14_vgpr15
                                        ; implicit-def: $vgpr16_vgpr17
	s_mov_b64 s[40:41], s[26:27]
	s_branch .LBB451_172
.LBB451_175:
	s_or_b64 exec, exec, s[6:7]
	v_cmp_gt_i64_e32 vcc, s[26:27], v[18:19]
	s_orn2_b64 s[38:39], vcc, exec
.LBB451_176:
	s_or_b64 exec, exec, s[36:37]
.LBB451_177:
	v_perm_b32 v16, v12, v12, s42
	s_and_b64 s[36:37], s[38:39], exec
	s_or_b64 s[14:15], s[14:15], exec
.LBB451_178:
	s_or_b64 exec, exec, s[8:9]
	s_branch .LBB451_237
.LBB451_179:
	v_cmp_gt_u32_e32 vcc, s48, v23
	s_mov_b64 s[36:37], 0
	s_mov_b64 s[8:9], 0
	s_and_saveexec_b64 s[38:39], vcc
	s_cbranch_execz .LBB451_190
; %bb.180:
	s_andn2_b64 vcc, exec, s[10:11]
	s_mov_b64 s[40:41], 0
	s_cbranch_vccnz .LBB451_189
; %bb.181:
	s_waitcnt vmcnt(0) lgkmcnt(1)
	v_mul_lo_u32 v14, v5, s26
	v_mul_lo_u32 v15, v4, s27
	v_mad_u64_u32 v[12:13], s[4:5], v4, s26, 0
	v_add3_u32 v13, v13, v15, v14
	v_mul_lo_u32 v14, v11, s26
	v_mul_lo_u32 v15, v10, s27
	v_mad_u64_u32 v[18:19], s[4:5], v10, s26, 0
	v_add3_u32 v19, v19, v15, v14
	v_lshlrev_b64 v[14:15], 2, v[12:13]
	v_mov_b32_e32 v12, s17
	v_add_co_u32_e32 v16, vcc, s16, v14
	v_addc_co_u32_e64 v17, s[4:5], v12, v15, vcc
	v_lshlrev_b64 v[12:13], 2, v[18:19]
	v_mov_b32_e32 v14, s17
	v_add_co_u32_e64 v18, s[4:5], s16, v12
	v_addc_co_u32_e64 v19, s[6:7], v14, v13, s[4:5]
	global_load_dword v12, v[16:17], off
	global_load_dword v14, v[18:19], off
	s_mov_b64 s[40:41], -1
	s_waitcnt vmcnt(0)
	v_cmp_eq_u32_e64 s[6:7], v12, v14
	s_and_saveexec_b64 s[8:9], s[6:7]
	s_cbranch_execz .LBB451_188
; %bb.182:
	v_mov_b32_e32 v12, s17
	v_addc_co_u32_e64 v13, s[4:5], v13, v12, s[4:5]
	v_add_co_u32_e64 v12, s[4:5], 4, v18
	v_mov_b32_e32 v14, s17
	v_addc_co_u32_e64 v13, s[4:5], 0, v13, s[4:5]
	v_addc_co_u32_e32 v15, vcc, v15, v14, vcc
	v_add_co_u32_e32 v14, vcc, 4, v16
	s_add_u32 s4, s26, -1
	v_addc_co_u32_e32 v15, vcc, 0, v15, vcc
	s_addc_u32 s5, s27, -1
	s_mov_b64 s[6:7], 0
	s_mov_b64 s[42:43], 0
                                        ; implicit-def: $sgpr40_sgpr41
	s_branch .LBB451_185
.LBB451_183:                            ;   in Loop: Header=BB451_185 Depth=1
	global_load_dword v16, v[14:15], off
	global_load_dword v17, v[12:13], off
	v_add_co_u32_e32 v12, vcc, 4, v12
	v_addc_co_u32_e32 v13, vcc, 0, v13, vcc
	v_add_co_u32_e32 v14, vcc, 4, v14
	v_addc_co_u32_e32 v15, vcc, 0, v15, vcc
	s_add_u32 s42, s42, 1
	s_addc_u32 s43, s43, 0
	s_andn2_b64 s[40:41], s[40:41], exec
	s_waitcnt vmcnt(0)
	v_cmp_ne_u32_e32 vcc, v16, v17
	s_and_b64 s[44:45], vcc, exec
	s_or_b64 s[40:41], s[40:41], s[44:45]
.LBB451_184:                            ;   in Loop: Header=BB451_185 Depth=1
	s_and_b64 s[44:45], exec, s[40:41]
	s_or_b64 s[6:7], s[44:45], s[6:7]
	v_pk_mov_b32 v[16:17], s[42:43], s[42:43] op_sel:[0,1]
	s_andn2_b64 exec, exec, s[6:7]
	s_cbranch_execz .LBB451_187
.LBB451_185:                            ; =>This Inner Loop Header: Depth=1
	s_or_b64 s[40:41], s[40:41], exec
	s_cmp_eq_u64 s[4:5], s[42:43]
	s_cbranch_scc0 .LBB451_183
; %bb.186:                              ;   in Loop: Header=BB451_185 Depth=1
                                        ; implicit-def: $vgpr12_vgpr13
                                        ; implicit-def: $vgpr14_vgpr15
	s_mov_b64 s[42:43], s[26:27]
	s_branch .LBB451_184
.LBB451_187:
	s_or_b64 exec, exec, s[6:7]
	v_cmp_gt_i64_e32 vcc, s[26:27], v[16:17]
	s_orn2_b64 s[40:41], vcc, exec
.LBB451_188:
	s_or_b64 exec, exec, s[8:9]
.LBB451_189:
	s_and_b64 s[8:9], s[40:41], exec
.LBB451_190:
	s_or_b64 exec, exec, s[38:39]
	v_cmp_gt_u32_e32 vcc, s48, v25
	s_and_saveexec_b64 s[38:39], vcc
	s_cbranch_execz .LBB451_201
; %bb.191:
	s_andn2_b64 vcc, exec, s[10:11]
	s_mov_b64 s[40:41], 0
	s_cbranch_vccnz .LBB451_200
; %bb.192:
	s_waitcnt vmcnt(0) lgkmcnt(1)
	v_mul_lo_u32 v14, v3, s26
	v_mul_lo_u32 v15, v2, s27
	v_mad_u64_u32 v[12:13], s[4:5], v2, s26, 0
	v_add3_u32 v13, v13, v15, v14
	v_mul_lo_u32 v14, v5, s26
	v_mul_lo_u32 v15, v4, s27
	v_mad_u64_u32 v[18:19], s[4:5], v4, s26, 0
	v_add3_u32 v19, v19, v15, v14
	v_lshlrev_b64 v[14:15], 2, v[12:13]
	v_mov_b32_e32 v12, s17
	v_add_co_u32_e32 v16, vcc, s16, v14
	v_addc_co_u32_e64 v17, s[4:5], v12, v15, vcc
	v_lshlrev_b64 v[12:13], 2, v[18:19]
	v_mov_b32_e32 v14, s17
	v_add_co_u32_e64 v18, s[4:5], s16, v12
	v_addc_co_u32_e64 v19, s[6:7], v14, v13, s[4:5]
	global_load_dword v12, v[16:17], off
	global_load_dword v14, v[18:19], off
	s_mov_b64 s[40:41], -1
	s_waitcnt vmcnt(0)
	v_cmp_eq_u32_e64 s[6:7], v12, v14
	s_and_saveexec_b64 s[36:37], s[6:7]
	s_cbranch_execz .LBB451_199
; %bb.193:
	v_mov_b32_e32 v12, s17
	v_addc_co_u32_e64 v13, s[4:5], v13, v12, s[4:5]
	v_add_co_u32_e64 v12, s[4:5], 4, v18
	v_mov_b32_e32 v14, s17
	v_addc_co_u32_e64 v13, s[4:5], 0, v13, s[4:5]
	v_addc_co_u32_e32 v15, vcc, v15, v14, vcc
	v_add_co_u32_e32 v14, vcc, 4, v16
	s_add_u32 s4, s26, -1
	v_addc_co_u32_e32 v15, vcc, 0, v15, vcc
	s_addc_u32 s5, s27, -1
	s_mov_b64 s[6:7], 0
	s_mov_b64 s[42:43], 0
                                        ; implicit-def: $sgpr40_sgpr41
	s_branch .LBB451_196
.LBB451_194:                            ;   in Loop: Header=BB451_196 Depth=1
	global_load_dword v16, v[14:15], off
	global_load_dword v17, v[12:13], off
	v_add_co_u32_e32 v12, vcc, 4, v12
	v_addc_co_u32_e32 v13, vcc, 0, v13, vcc
	v_add_co_u32_e32 v14, vcc, 4, v14
	v_addc_co_u32_e32 v15, vcc, 0, v15, vcc
	s_add_u32 s42, s42, 1
	s_addc_u32 s43, s43, 0
	s_andn2_b64 s[40:41], s[40:41], exec
	s_waitcnt vmcnt(0)
	v_cmp_ne_u32_e32 vcc, v16, v17
	s_and_b64 s[44:45], vcc, exec
	s_or_b64 s[40:41], s[40:41], s[44:45]
.LBB451_195:                            ;   in Loop: Header=BB451_196 Depth=1
	s_and_b64 s[44:45], exec, s[40:41]
	s_or_b64 s[6:7], s[44:45], s[6:7]
	v_pk_mov_b32 v[16:17], s[42:43], s[42:43] op_sel:[0,1]
	s_andn2_b64 exec, exec, s[6:7]
	s_cbranch_execz .LBB451_198
.LBB451_196:                            ; =>This Inner Loop Header: Depth=1
	s_or_b64 s[40:41], s[40:41], exec
	s_cmp_eq_u64 s[4:5], s[42:43]
	s_cbranch_scc0 .LBB451_194
; %bb.197:                              ;   in Loop: Header=BB451_196 Depth=1
                                        ; implicit-def: $vgpr12_vgpr13
                                        ; implicit-def: $vgpr14_vgpr15
	s_mov_b64 s[42:43], s[26:27]
	s_branch .LBB451_195
.LBB451_198:
	s_or_b64 exec, exec, s[6:7]
	v_cmp_gt_i64_e32 vcc, s[26:27], v[16:17]
	s_orn2_b64 s[40:41], vcc, exec
.LBB451_199:
	s_or_b64 exec, exec, s[36:37]
.LBB451_200:
	s_and_b64 s[36:37], s[40:41], exec
.LBB451_201:
	s_or_b64 exec, exec, s[38:39]
	v_cmp_gt_u32_e32 vcc, s48, v22
	s_mov_b64 s[38:39], 0
	s_mov_b64 s[40:41], 0
	s_and_saveexec_b64 s[42:43], vcc
	s_cbranch_execz .LBB451_212
; %bb.202:
	s_andn2_b64 vcc, exec, s[10:11]
	s_mov_b64 s[44:45], 0
	s_cbranch_vccnz .LBB451_211
; %bb.203:
	s_waitcnt vmcnt(0) lgkmcnt(1)
	v_mul_lo_u32 v14, v9, s26
	v_mul_lo_u32 v15, v8, s27
	v_mad_u64_u32 v[12:13], s[4:5], v8, s26, 0
	v_add3_u32 v13, v13, v15, v14
	v_mul_lo_u32 v14, v3, s26
	v_mul_lo_u32 v15, v2, s27
	v_mad_u64_u32 v[18:19], s[4:5], v2, s26, 0
	v_add3_u32 v19, v19, v15, v14
	v_lshlrev_b64 v[14:15], 2, v[12:13]
	v_mov_b32_e32 v12, s17
	v_add_co_u32_e32 v16, vcc, s16, v14
	v_addc_co_u32_e64 v17, s[4:5], v12, v15, vcc
	v_lshlrev_b64 v[12:13], 2, v[18:19]
	v_mov_b32_e32 v14, s17
	v_add_co_u32_e64 v18, s[4:5], s16, v12
	v_addc_co_u32_e64 v19, s[6:7], v14, v13, s[4:5]
	global_load_dword v12, v[16:17], off
	global_load_dword v14, v[18:19], off
	s_mov_b64 s[44:45], -1
	s_waitcnt vmcnt(0)
	v_cmp_eq_u32_e64 s[6:7], v12, v14
	s_and_saveexec_b64 s[40:41], s[6:7]
	s_cbranch_execz .LBB451_210
; %bb.204:
	v_mov_b32_e32 v12, s17
	v_addc_co_u32_e64 v13, s[4:5], v13, v12, s[4:5]
	v_add_co_u32_e64 v12, s[4:5], 4, v18
	v_mov_b32_e32 v14, s17
	v_addc_co_u32_e64 v13, s[4:5], 0, v13, s[4:5]
	v_addc_co_u32_e32 v15, vcc, v15, v14, vcc
	v_add_co_u32_e32 v14, vcc, 4, v16
	s_add_u32 s4, s26, -1
	v_addc_co_u32_e32 v15, vcc, 0, v15, vcc
	s_addc_u32 s5, s27, -1
	s_mov_b64 s[6:7], 0
	s_mov_b64 s[46:47], 0
                                        ; implicit-def: $sgpr44_sgpr45
	s_branch .LBB451_207
.LBB451_205:                            ;   in Loop: Header=BB451_207 Depth=1
	global_load_dword v16, v[14:15], off
	global_load_dword v17, v[12:13], off
	v_add_co_u32_e32 v12, vcc, 4, v12
	v_addc_co_u32_e32 v13, vcc, 0, v13, vcc
	v_add_co_u32_e32 v14, vcc, 4, v14
	v_addc_co_u32_e32 v15, vcc, 0, v15, vcc
	s_add_u32 s46, s46, 1
	s_addc_u32 s47, s47, 0
	s_andn2_b64 s[44:45], s[44:45], exec
	s_waitcnt vmcnt(0)
	v_cmp_ne_u32_e32 vcc, v16, v17
	s_and_b64 s[50:51], vcc, exec
	s_or_b64 s[44:45], s[44:45], s[50:51]
.LBB451_206:                            ;   in Loop: Header=BB451_207 Depth=1
	s_and_b64 s[50:51], exec, s[44:45]
	s_or_b64 s[6:7], s[50:51], s[6:7]
	v_pk_mov_b32 v[16:17], s[46:47], s[46:47] op_sel:[0,1]
	s_andn2_b64 exec, exec, s[6:7]
	s_cbranch_execz .LBB451_209
.LBB451_207:                            ; =>This Inner Loop Header: Depth=1
	s_or_b64 s[44:45], s[44:45], exec
	s_cmp_eq_u64 s[4:5], s[46:47]
	s_cbranch_scc0 .LBB451_205
; %bb.208:                              ;   in Loop: Header=BB451_207 Depth=1
                                        ; implicit-def: $vgpr12_vgpr13
                                        ; implicit-def: $vgpr14_vgpr15
	s_mov_b64 s[46:47], s[26:27]
	s_branch .LBB451_206
.LBB451_209:
	s_or_b64 exec, exec, s[6:7]
	v_cmp_gt_i64_e32 vcc, s[26:27], v[16:17]
	s_orn2_b64 s[44:45], vcc, exec
.LBB451_210:
	s_or_b64 exec, exec, s[40:41]
.LBB451_211:
	s_and_b64 s[40:41], s[44:45], exec
.LBB451_212:
	s_or_b64 exec, exec, s[42:43]
	v_cmp_gt_u32_e32 vcc, s48, v24
	s_and_saveexec_b64 s[42:43], vcc
	s_cbranch_execz .LBB451_223
; %bb.213:
	s_andn2_b64 vcc, exec, s[10:11]
	s_mov_b64 s[44:45], 0
	s_cbranch_vccnz .LBB451_222
; %bb.214:
	s_waitcnt vmcnt(0) lgkmcnt(1)
	v_mul_lo_u32 v14, v7, s26
	v_mul_lo_u32 v15, v6, s27
	v_mad_u64_u32 v[12:13], s[4:5], v6, s26, 0
	v_add3_u32 v13, v13, v15, v14
	v_mul_lo_u32 v14, v9, s26
	v_mul_lo_u32 v15, v8, s27
	v_mad_u64_u32 v[18:19], s[4:5], v8, s26, 0
	v_add3_u32 v19, v19, v15, v14
	v_lshlrev_b64 v[14:15], 2, v[12:13]
	v_mov_b32_e32 v12, s17
	v_add_co_u32_e32 v16, vcc, s16, v14
	v_addc_co_u32_e64 v17, s[4:5], v12, v15, vcc
	v_lshlrev_b64 v[12:13], 2, v[18:19]
	v_mov_b32_e32 v14, s17
	v_add_co_u32_e64 v18, s[4:5], s16, v12
	v_addc_co_u32_e64 v19, s[6:7], v14, v13, s[4:5]
	global_load_dword v12, v[16:17], off
	global_load_dword v14, v[18:19], off
	s_mov_b64 s[44:45], -1
	s_waitcnt vmcnt(0)
	v_cmp_eq_u32_e64 s[6:7], v12, v14
	s_and_saveexec_b64 s[38:39], s[6:7]
	s_cbranch_execz .LBB451_221
; %bb.215:
	v_mov_b32_e32 v12, s17
	v_addc_co_u32_e64 v13, s[4:5], v13, v12, s[4:5]
	v_add_co_u32_e64 v12, s[4:5], 4, v18
	v_mov_b32_e32 v14, s17
	v_addc_co_u32_e64 v13, s[4:5], 0, v13, s[4:5]
	v_addc_co_u32_e32 v15, vcc, v15, v14, vcc
	v_add_co_u32_e32 v14, vcc, 4, v16
	s_add_u32 s4, s26, -1
	v_addc_co_u32_e32 v15, vcc, 0, v15, vcc
	s_addc_u32 s5, s27, -1
	s_mov_b64 s[6:7], 0
	s_mov_b64 s[46:47], 0
                                        ; implicit-def: $sgpr44_sgpr45
	s_branch .LBB451_218
.LBB451_216:                            ;   in Loop: Header=BB451_218 Depth=1
	global_load_dword v16, v[14:15], off
	global_load_dword v17, v[12:13], off
	v_add_co_u32_e32 v12, vcc, 4, v12
	v_addc_co_u32_e32 v13, vcc, 0, v13, vcc
	v_add_co_u32_e32 v14, vcc, 4, v14
	v_addc_co_u32_e32 v15, vcc, 0, v15, vcc
	s_add_u32 s46, s46, 1
	s_addc_u32 s47, s47, 0
	s_andn2_b64 s[44:45], s[44:45], exec
	s_waitcnt vmcnt(0)
	v_cmp_ne_u32_e32 vcc, v16, v17
	s_and_b64 s[50:51], vcc, exec
	s_or_b64 s[44:45], s[44:45], s[50:51]
.LBB451_217:                            ;   in Loop: Header=BB451_218 Depth=1
	s_and_b64 s[50:51], exec, s[44:45]
	s_or_b64 s[6:7], s[50:51], s[6:7]
	v_pk_mov_b32 v[16:17], s[46:47], s[46:47] op_sel:[0,1]
	s_andn2_b64 exec, exec, s[6:7]
	s_cbranch_execz .LBB451_220
.LBB451_218:                            ; =>This Inner Loop Header: Depth=1
	s_or_b64 s[44:45], s[44:45], exec
	s_cmp_eq_u64 s[4:5], s[46:47]
	s_cbranch_scc0 .LBB451_216
; %bb.219:                              ;   in Loop: Header=BB451_218 Depth=1
                                        ; implicit-def: $vgpr12_vgpr13
                                        ; implicit-def: $vgpr14_vgpr15
	s_mov_b64 s[46:47], s[26:27]
	s_branch .LBB451_217
.LBB451_220:
	s_or_b64 exec, exec, s[6:7]
	v_cmp_gt_i64_e32 vcc, s[26:27], v[16:17]
	s_orn2_b64 s[44:45], vcc, exec
.LBB451_221:
	s_or_b64 exec, exec, s[38:39]
.LBB451_222:
	s_and_b64 s[38:39], s[44:45], exec
.LBB451_223:
	s_or_b64 exec, exec, s[42:43]
	v_cndmask_b32_e64 v13, 0, 1, s[36:37]
	s_waitcnt vmcnt(0) lgkmcnt(1)
	v_cndmask_b32_e64 v14, 0, 1, s[38:39]
	v_cndmask_b32_e64 v12, 0, 1, s[40:41]
	v_lshlrev_b16_e32 v14, 8, v14
	v_lshlrev_b16_e32 v13, 8, v13
	v_or_b32_e32 v14, 1, v14
	v_or_b32_sdwa v12, v12, v13 dst_sel:WORD_1 dst_unused:UNUSED_PAD src0_sel:DWORD src1_sel:DWORD
	v_or_b32_sdwa v12, v14, v12 dst_sel:DWORD dst_unused:UNUSED_PAD src0_sel:WORD_0 src1_sel:DWORD
	v_cndmask_b32_e64 v13, 0, 1, s[8:9]
	s_waitcnt lgkmcnt(0)
	s_barrier
	s_waitcnt lgkmcnt(0)
                                        ; implicit-def: $sgpr36_sgpr37
                                        ; implicit-def: $vgpr16
	s_and_saveexec_b64 s[6:7], s[2:3]
	s_cbranch_execz .LBB451_236
; %bb.224:
	v_cmp_gt_u32_e32 vcc, s48, v1
	s_mov_b32 s38, 0x3020104
	s_mov_b64 s[2:3], 0
	s_and_saveexec_b64 s[8:9], vcc
	s_cbranch_execz .LBB451_235
; %bb.225:
	s_andn2_b64 vcc, exec, s[10:11]
	s_mov_b64 s[36:37], 0
	s_cbranch_vccnz .LBB451_234
; %bb.226:
	v_add_u32_e32 v14, -8, v26
	ds_read_b64 v[14:15], v14
	v_mul_lo_u32 v16, v7, s26
	v_mad_u64_u32 v[20:21], s[2:3], v6, s26, 0
	s_mov_b64 s[36:37], -1
	s_waitcnt lgkmcnt(0)
	v_mul_lo_u32 v17, v15, s26
	v_mul_lo_u32 v18, v14, s27
	v_mad_u64_u32 v[14:15], s[2:3], v14, s26, 0
	v_add3_u32 v15, v15, v18, v17
	v_mul_lo_u32 v17, v6, s27
	v_add3_u32 v21, v21, v17, v16
	v_lshlrev_b64 v[16:17], 2, v[14:15]
	v_mov_b32_e32 v14, s17
	v_add_co_u32_e32 v18, vcc, s16, v16
	v_addc_co_u32_e64 v19, s[2:3], v14, v17, vcc
	v_lshlrev_b64 v[14:15], 2, v[20:21]
	v_mov_b32_e32 v16, s17
	v_add_co_u32_e64 v20, s[2:3], s16, v14
	v_addc_co_u32_e64 v21, s[4:5], v16, v15, s[2:3]
	global_load_dword v14, v[18:19], off
	global_load_dword v16, v[20:21], off
	s_waitcnt vmcnt(0)
	v_cmp_eq_u32_e64 s[4:5], v14, v16
	s_and_saveexec_b64 s[10:11], s[4:5]
	s_cbranch_execz .LBB451_233
; %bb.227:
	v_mov_b32_e32 v14, s17
	v_addc_co_u32_e64 v15, s[2:3], v15, v14, s[2:3]
	v_add_co_u32_e64 v14, s[2:3], 4, v20
	v_mov_b32_e32 v16, s17
	v_addc_co_u32_e64 v15, s[2:3], 0, v15, s[2:3]
	v_addc_co_u32_e32 v17, vcc, v17, v16, vcc
	v_add_co_u32_e32 v16, vcc, 4, v18
	s_add_u32 s2, s26, -1
	v_addc_co_u32_e32 v17, vcc, 0, v17, vcc
	s_addc_u32 s3, s27, -1
	s_mov_b64 s[4:5], 0
	s_mov_b64 s[36:37], 0
                                        ; implicit-def: $sgpr16_sgpr17
	s_branch .LBB451_230
.LBB451_228:                            ;   in Loop: Header=BB451_230 Depth=1
	global_load_dword v18, v[16:17], off
	global_load_dword v19, v[14:15], off
	v_add_co_u32_e32 v14, vcc, 4, v14
	v_addc_co_u32_e32 v15, vcc, 0, v15, vcc
	v_add_co_u32_e32 v16, vcc, 4, v16
	v_addc_co_u32_e32 v17, vcc, 0, v17, vcc
	s_add_u32 s36, s36, 1
	s_addc_u32 s37, s37, 0
	s_andn2_b64 s[16:17], s[16:17], exec
	s_waitcnt vmcnt(0)
	v_cmp_ne_u32_e32 vcc, v18, v19
	s_and_b64 s[40:41], vcc, exec
	s_or_b64 s[16:17], s[16:17], s[40:41]
.LBB451_229:                            ;   in Loop: Header=BB451_230 Depth=1
	s_and_b64 s[40:41], exec, s[16:17]
	s_or_b64 s[4:5], s[40:41], s[4:5]
	v_pk_mov_b32 v[18:19], s[36:37], s[36:37] op_sel:[0,1]
	s_andn2_b64 exec, exec, s[4:5]
	s_cbranch_execz .LBB451_232
.LBB451_230:                            ; =>This Inner Loop Header: Depth=1
	s_or_b64 s[16:17], s[16:17], exec
	s_cmp_eq_u64 s[2:3], s[36:37]
	s_cbranch_scc0 .LBB451_228
; %bb.231:                              ;   in Loop: Header=BB451_230 Depth=1
                                        ; implicit-def: $vgpr14_vgpr15
                                        ; implicit-def: $vgpr16_vgpr17
	s_mov_b64 s[36:37], s[26:27]
	s_branch .LBB451_229
.LBB451_232:
	s_or_b64 exec, exec, s[4:5]
	v_cmp_gt_i64_e32 vcc, s[26:27], v[18:19]
	s_orn2_b64 s[36:37], vcc, exec
.LBB451_233:
	s_or_b64 exec, exec, s[10:11]
.LBB451_234:
	s_and_b64 s[2:3], s[36:37], exec
.LBB451_235:
	s_or_b64 exec, exec, s[8:9]
	v_perm_b32 v16, v12, v12, s38
	s_and_b64 s[36:37], s[2:3], exec
	s_or_b64 s[14:15], s[14:15], exec
.LBB451_236:
	s_or_b64 exec, exec, s[6:7]
.LBB451_237:
	s_and_saveexec_b64 s[2:3], s[14:15]
	s_cbranch_execz .LBB451_239
; %bb.238:
	s_waitcnt vmcnt(0) lgkmcnt(0)
	v_lshrrev_b32_e32 v14, 24, v16
	s_movk_i32 s4, 0xff
	v_lshlrev_b16_e32 v14, 8, v14
	v_and_b32_sdwa v15, v16, s4 dst_sel:DWORD dst_unused:UNUSED_PAD src0_sel:WORD_1 src1_sel:DWORD
	v_or_b32_sdwa v14, v15, v14 dst_sel:WORD_1 dst_unused:UNUSED_PAD src0_sel:DWORD src1_sel:DWORD
	v_mov_b32_e32 v15, 8
	v_cndmask_b32_e64 v12, 0, 1, s[36:37]
	v_lshrrev_b32_sdwa v15, v15, v16 dst_sel:BYTE_1 dst_unused:UNUSED_PAD src0_sel:DWORD src1_sel:DWORD
	v_or_b32_e32 v12, v12, v15
	s_mov_b32 s4, 0xffff
	v_or_b32_sdwa v12, v12, v14 dst_sel:DWORD dst_unused:UNUSED_PAD src0_sel:WORD_0 src1_sel:DWORD
	v_and_b32_sdwa v13, s4, v13 dst_sel:DWORD dst_unused:UNUSED_PAD src0_sel:DWORD src1_sel:BYTE_0
.LBB451_239:
	s_or_b64 exec, exec, s[2:3]
	s_andn2_b64 vcc, exec, s[12:13]
	s_cbranch_vccnz .LBB451_241
; %bb.240:
	v_cmp_gt_u32_e32 vcc, s48, v1
	v_cndmask_b32_e32 v1, 0, v12, vcc
	v_and_b32_e32 v1, 0xffff00ff, v1
	v_cmp_gt_u32_e64 s[2:3], s48, v24
	v_cndmask_b32_e64 v1, v1, v12, s[2:3]
	s_waitcnt vmcnt(0) lgkmcnt(0)
	v_lshrrev_b32_e32 v14, 24, v1
	s_mov_b32 s4, 0x40c0100
	v_perm_b32 v1, v14, v1, s4
	v_cmp_gt_u32_e64 s[4:5], s48, v22
	v_cmp_gt_u32_e64 s[6:7], s48, v25
	v_cndmask_b32_e64 v1, v1, v12, s[4:5]
	s_or_b64 s[4:5], s[6:7], s[4:5]
	s_or_b64 s[2:3], s[4:5], s[2:3]
	s_or_b64 vcc, s[2:3], vcc
	v_and_b32_e32 v1, 0xffffff, v1
	v_cndmask_b32_e32 v14, 0, v13, vcc
	v_cndmask_b32_e64 v1, v1, v12, s[6:7]
	v_and_b32_e32 v14, 0xffffff00, v14
	v_cmp_gt_u32_e32 vcc, s48, v23
	v_cndmask_b32_e32 v1, v1, v12, vcc
	v_cndmask_b32_e32 v12, v14, v13, vcc
	s_mov_b32 s2, 0x3020104
	v_and_b32_e32 v13, 0xff, v12
	v_perm_b32 v12, v1, v1, s2
.LBB451_241:
	v_and_b32_e32 v1, 0xff, v12
	v_bfe_u32 v25, v12, 8, 8
	v_bfe_u32 v27, v12, 16, 8
	s_waitcnt vmcnt(0) lgkmcnt(0)
	v_alignbit_b32 v14, v13, v12, 24
	v_and_b32_e32 v28, 0xff, v14
	v_and_b32_e32 v14, 0xff, v13
	v_add3_u32 v15, v25, v1, v27
	v_add3_u32 v31, v15, v28, v14
	v_mbcnt_lo_u32_b32 v14, -1, 0
	v_mbcnt_hi_u32_b32 v29, -1, v14
	v_and_b32_e32 v14, 15, v29
	v_cmp_eq_u32_e64 s[14:15], 0, v14
	v_cmp_lt_u32_e64 s[12:13], 1, v14
	v_cmp_lt_u32_e64 s[10:11], 3, v14
	;; [unrolled: 1-line block ×3, first 2 shown]
	v_and_b32_e32 v14, 16, v29
	v_cmp_eq_u32_e64 s[6:7], 0, v14
	v_or_b32_e32 v14, 63, v0
	v_cmp_lt_u32_e64 s[2:3], 31, v29
	v_lshrrev_b32_e32 v30, 6, v0
	v_cmp_eq_u32_e64 s[4:5], v14, v0
	s_and_b64 vcc, exec, s[34:35]
	s_barrier
	s_cbranch_vccz .LBB451_272
; %bb.242:
	v_mov_b32_dpp v14, v31 row_shr:1 row_mask:0xf bank_mask:0xf
	v_cndmask_b32_e64 v14, v14, 0, s[14:15]
	v_add_u32_e32 v14, v14, v31
	s_nop 1
	v_mov_b32_dpp v15, v14 row_shr:2 row_mask:0xf bank_mask:0xf
	v_cndmask_b32_e64 v15, 0, v15, s[12:13]
	v_add_u32_e32 v14, v14, v15
	s_nop 1
	;; [unrolled: 4-line block ×4, first 2 shown]
	v_mov_b32_dpp v15, v14 row_bcast:15 row_mask:0xf bank_mask:0xf
	v_cndmask_b32_e64 v15, v15, 0, s[6:7]
	v_add_u32_e32 v14, v14, v15
	s_nop 1
	v_mov_b32_dpp v15, v14 row_bcast:31 row_mask:0xf bank_mask:0xf
	v_cndmask_b32_e64 v15, 0, v15, s[2:3]
	v_add_u32_e32 v14, v14, v15
	s_and_saveexec_b64 s[16:17], s[4:5]
	s_cbranch_execz .LBB451_244
; %bb.243:
	v_lshlrev_b32_e32 v15, 2, v30
	ds_write_b32 v15, v14
.LBB451_244:
	s_or_b64 exec, exec, s[16:17]
	v_cmp_gt_u32_e32 vcc, 4, v0
	s_waitcnt lgkmcnt(0)
	s_barrier
	s_and_saveexec_b64 s[16:17], vcc
	s_cbranch_execz .LBB451_246
; %bb.245:
	v_lshlrev_b32_e32 v15, 2, v0
	ds_read_b32 v16, v15
	v_and_b32_e32 v17, 3, v29
	v_cmp_ne_u32_e32 vcc, 0, v17
	s_waitcnt lgkmcnt(0)
	v_mov_b32_dpp v18, v16 row_shr:1 row_mask:0xf bank_mask:0xf
	v_cndmask_b32_e32 v18, 0, v18, vcc
	v_add_u32_e32 v16, v18, v16
	v_cmp_lt_u32_e32 vcc, 1, v17
	s_nop 0
	v_mov_b32_dpp v18, v16 row_shr:2 row_mask:0xf bank_mask:0xf
	v_cndmask_b32_e32 v17, 0, v18, vcc
	v_add_u32_e32 v16, v16, v17
	ds_write_b32 v15, v16
.LBB451_246:
	s_or_b64 exec, exec, s[16:17]
	v_cmp_gt_u32_e32 vcc, 64, v0
	v_cmp_lt_u32_e64 s[16:17], 63, v0
	s_waitcnt lgkmcnt(0)
	s_barrier
	s_waitcnt lgkmcnt(0)
                                        ; implicit-def: $vgpr24
	s_and_saveexec_b64 s[26:27], s[16:17]
	s_cbranch_execz .LBB451_248
; %bb.247:
	v_lshl_add_u32 v15, v30, 2, -4
	ds_read_b32 v24, v15
	s_waitcnt lgkmcnt(0)
	v_add_u32_e32 v14, v24, v14
.LBB451_248:
	s_or_b64 exec, exec, s[26:27]
	v_add_u32_e32 v15, -1, v29
	v_and_b32_e32 v16, 64, v29
	v_cmp_lt_i32_e64 s[16:17], v15, v16
	v_cndmask_b32_e64 v15, v15, v29, s[16:17]
	v_lshlrev_b32_e32 v15, 2, v15
	ds_bpermute_b32 v26, v15, v14
	v_cmp_eq_u32_e64 s[16:17], 0, v29
	s_and_saveexec_b64 s[26:27], vcc
	s_cbranch_execz .LBB451_271
; %bb.249:
	v_mov_b32_e32 v23, 0
	ds_read_b32 v14, v23 offset:12
	s_and_saveexec_b64 s[34:35], s[16:17]
	s_cbranch_execz .LBB451_251
; %bb.250:
	s_add_i32 s36, s33, 64
	s_mov_b32 s37, 0
	s_lshl_b64 s[36:37], s[36:37], 3
	s_add_u32 s36, s18, s36
	v_mov_b32_e32 v15, 1
	s_addc_u32 s37, s19, s37
	s_waitcnt lgkmcnt(0)
	global_store_dwordx2 v23, v[14:15], s[36:37]
.LBB451_251:
	s_or_b64 exec, exec, s[34:35]
	v_xad_u32 v16, v29, -1, s33
	v_add_u32_e32 v22, 64, v16
	v_lshlrev_b64 v[18:19], 3, v[22:23]
	v_mov_b32_e32 v15, s19
	v_add_co_u32_e32 v18, vcc, s18, v18
	v_addc_co_u32_e32 v19, vcc, v15, v19, vcc
	global_load_dwordx2 v[20:21], v[18:19], off glc
	s_waitcnt vmcnt(0)
	v_cmp_eq_u16_sdwa s[36:37], v21, v23 src0_sel:BYTE_0 src1_sel:DWORD
	s_and_saveexec_b64 s[34:35], s[36:37]
	s_cbranch_execz .LBB451_257
; %bb.252:
	s_mov_b32 s38, 1
	s_mov_b64 s[36:37], 0
	v_mov_b32_e32 v15, 0
.LBB451_253:                            ; =>This Loop Header: Depth=1
                                        ;     Child Loop BB451_254 Depth 2
	s_max_u32 s39, s38, 1
.LBB451_254:                            ;   Parent Loop BB451_253 Depth=1
                                        ; =>  This Inner Loop Header: Depth=2
	s_add_i32 s39, s39, -1
	s_cmp_eq_u32 s39, 0
	s_sleep 1
	s_cbranch_scc0 .LBB451_254
; %bb.255:                              ;   in Loop: Header=BB451_253 Depth=1
	global_load_dwordx2 v[20:21], v[18:19], off glc
	s_cmp_lt_u32 s38, 32
	s_cselect_b64 s[40:41], -1, 0
	s_cmp_lg_u64 s[40:41], 0
	s_addc_u32 s38, s38, 0
	s_waitcnt vmcnt(0)
	v_cmp_ne_u16_sdwa s[40:41], v21, v15 src0_sel:BYTE_0 src1_sel:DWORD
	s_or_b64 s[36:37], s[40:41], s[36:37]
	s_andn2_b64 exec, exec, s[36:37]
	s_cbranch_execnz .LBB451_253
; %bb.256:
	s_or_b64 exec, exec, s[36:37]
.LBB451_257:
	s_or_b64 exec, exec, s[34:35]
	v_and_b32_e32 v32, 63, v29
	v_mov_b32_e32 v15, 2
	v_cmp_ne_u32_e32 vcc, 63, v32
	v_cmp_eq_u16_sdwa s[34:35], v21, v15 src0_sel:BYTE_0 src1_sel:DWORD
	v_lshlrev_b64 v[18:19], v29, -1
	v_addc_co_u32_e32 v23, vcc, 0, v29, vcc
	v_and_b32_e32 v17, s35, v19
	v_lshlrev_b32_e32 v33, 2, v23
	v_or_b32_e32 v17, 0x80000000, v17
	ds_bpermute_b32 v23, v33, v20
	v_and_b32_e32 v22, s34, v18
	v_ffbl_b32_e32 v17, v17
	v_add_u32_e32 v17, 32, v17
	v_ffbl_b32_e32 v22, v22
	v_min_u32_e32 v17, v22, v17
	v_cmp_lt_u32_e32 vcc, v32, v17
	s_waitcnt lgkmcnt(0)
	v_cndmask_b32_e32 v22, 0, v23, vcc
	v_cmp_gt_u32_e32 vcc, 62, v32
	v_add_u32_e32 v20, v22, v20
	v_cndmask_b32_e64 v22, 0, 1, vcc
	v_lshlrev_b32_e32 v22, 1, v22
	v_add_lshl_u32 v34, v22, v29, 2
	ds_bpermute_b32 v22, v34, v20
	v_add_u32_e32 v35, 2, v32
	v_cmp_le_u32_e32 vcc, v35, v17
	v_add_u32_e32 v37, 4, v32
	v_add_u32_e32 v39, 8, v32
	s_waitcnt lgkmcnt(0)
	v_cndmask_b32_e32 v22, 0, v22, vcc
	v_cmp_gt_u32_e32 vcc, 60, v32
	v_add_u32_e32 v20, v20, v22
	v_cndmask_b32_e64 v22, 0, 1, vcc
	v_lshlrev_b32_e32 v22, 2, v22
	v_add_lshl_u32 v36, v22, v29, 2
	ds_bpermute_b32 v22, v36, v20
	v_cmp_le_u32_e32 vcc, v37, v17
	v_add_u32_e32 v42, 16, v32
	v_add_u32_e32 v44, 32, v32
	s_waitcnt lgkmcnt(0)
	v_cndmask_b32_e32 v22, 0, v22, vcc
	v_cmp_gt_u32_e32 vcc, 56, v32
	v_add_u32_e32 v20, v20, v22
	v_cndmask_b32_e64 v22, 0, 1, vcc
	v_lshlrev_b32_e32 v22, 3, v22
	v_add_lshl_u32 v38, v22, v29, 2
	ds_bpermute_b32 v22, v38, v20
	v_cmp_le_u32_e32 vcc, v39, v17
	s_waitcnt lgkmcnt(0)
	v_cndmask_b32_e32 v22, 0, v22, vcc
	v_cmp_gt_u32_e32 vcc, 48, v32
	v_add_u32_e32 v20, v20, v22
	v_cndmask_b32_e64 v22, 0, 1, vcc
	v_lshlrev_b32_e32 v22, 4, v22
	v_add_lshl_u32 v41, v22, v29, 2
	ds_bpermute_b32 v22, v41, v20
	v_cmp_le_u32_e32 vcc, v42, v17
	;; [unrolled: 9-line block ×3, first 2 shown]
	s_waitcnt lgkmcnt(0)
	v_cndmask_b32_e32 v17, 0, v22, vcc
	v_add_u32_e32 v20, v20, v17
	v_mov_b32_e32 v17, 0
	s_branch .LBB451_259
.LBB451_258:                            ;   in Loop: Header=BB451_259 Depth=1
	s_or_b64 exec, exec, s[34:35]
	v_cmp_eq_u16_sdwa s[34:35], v21, v15 src0_sel:BYTE_0 src1_sel:DWORD
	v_and_b32_e32 v22, s35, v19
	v_or_b32_e32 v22, 0x80000000, v22
	ds_bpermute_b32 v45, v33, v20
	v_and_b32_e32 v23, s34, v18
	v_ffbl_b32_e32 v22, v22
	v_add_u32_e32 v22, 32, v22
	v_ffbl_b32_e32 v23, v23
	v_min_u32_e32 v22, v23, v22
	v_cmp_lt_u32_e32 vcc, v32, v22
	s_waitcnt lgkmcnt(0)
	v_cndmask_b32_e32 v23, 0, v45, vcc
	v_add_u32_e32 v20, v23, v20
	ds_bpermute_b32 v23, v34, v20
	v_cmp_le_u32_e32 vcc, v35, v22
	v_subrev_u32_e32 v16, 64, v16
	s_waitcnt lgkmcnt(0)
	v_cndmask_b32_e32 v23, 0, v23, vcc
	v_add_u32_e32 v20, v20, v23
	ds_bpermute_b32 v23, v36, v20
	v_cmp_le_u32_e32 vcc, v37, v22
	s_waitcnt lgkmcnt(0)
	v_cndmask_b32_e32 v23, 0, v23, vcc
	v_add_u32_e32 v20, v20, v23
	ds_bpermute_b32 v23, v38, v20
	v_cmp_le_u32_e32 vcc, v39, v22
	;; [unrolled: 5-line block ×4, first 2 shown]
	s_waitcnt lgkmcnt(0)
	v_cndmask_b32_e32 v22, 0, v23, vcc
	v_add3_u32 v20, v22, v40, v20
.LBB451_259:                            ; =>This Loop Header: Depth=1
                                        ;     Child Loop BB451_262 Depth 2
                                        ;       Child Loop BB451_263 Depth 3
	v_cmp_ne_u16_sdwa s[34:35], v21, v15 src0_sel:BYTE_0 src1_sel:DWORD
	v_cndmask_b32_e64 v21, 0, 1, s[34:35]
	;;#ASMSTART
	;;#ASMEND
	v_cmp_ne_u32_e32 vcc, 0, v21
	s_cmp_lg_u64 vcc, exec
	v_mov_b32_e32 v40, v20
	s_cbranch_scc1 .LBB451_266
; %bb.260:                              ;   in Loop: Header=BB451_259 Depth=1
	v_lshlrev_b64 v[20:21], 3, v[16:17]
	v_mov_b32_e32 v23, s19
	v_add_co_u32_e32 v22, vcc, s18, v20
	v_addc_co_u32_e32 v23, vcc, v23, v21, vcc
	global_load_dwordx2 v[20:21], v[22:23], off glc
	s_waitcnt vmcnt(0)
	v_cmp_eq_u16_sdwa s[36:37], v21, v17 src0_sel:BYTE_0 src1_sel:DWORD
	s_and_saveexec_b64 s[34:35], s[36:37]
	s_cbranch_execz .LBB451_258
; %bb.261:                              ;   in Loop: Header=BB451_259 Depth=1
	s_mov_b32 s38, 1
	s_mov_b64 s[36:37], 0
.LBB451_262:                            ;   Parent Loop BB451_259 Depth=1
                                        ; =>  This Loop Header: Depth=2
                                        ;       Child Loop BB451_263 Depth 3
	s_max_u32 s39, s38, 1
.LBB451_263:                            ;   Parent Loop BB451_259 Depth=1
                                        ;     Parent Loop BB451_262 Depth=2
                                        ; =>    This Inner Loop Header: Depth=3
	s_add_i32 s39, s39, -1
	s_cmp_eq_u32 s39, 0
	s_sleep 1
	s_cbranch_scc0 .LBB451_263
; %bb.264:                              ;   in Loop: Header=BB451_262 Depth=2
	global_load_dwordx2 v[20:21], v[22:23], off glc
	s_cmp_lt_u32 s38, 32
	s_cselect_b64 s[40:41], -1, 0
	s_cmp_lg_u64 s[40:41], 0
	s_addc_u32 s38, s38, 0
	s_waitcnt vmcnt(0)
	v_cmp_ne_u16_sdwa s[40:41], v21, v17 src0_sel:BYTE_0 src1_sel:DWORD
	s_or_b64 s[36:37], s[40:41], s[36:37]
	s_andn2_b64 exec, exec, s[36:37]
	s_cbranch_execnz .LBB451_262
; %bb.265:                              ;   in Loop: Header=BB451_259 Depth=1
	s_or_b64 exec, exec, s[36:37]
	s_branch .LBB451_258
.LBB451_266:                            ;   in Loop: Header=BB451_259 Depth=1
                                        ; implicit-def: $vgpr20
                                        ; implicit-def: $vgpr21
	s_cbranch_execz .LBB451_259
; %bb.267:
	s_and_saveexec_b64 s[34:35], s[16:17]
	s_cbranch_execz .LBB451_269
; %bb.268:
	s_add_i32 s36, s33, 64
	s_mov_b32 s37, 0
	s_lshl_b64 s[36:37], s[36:37], 3
	s_add_u32 s36, s18, s36
	v_add_u32_e32 v16, v40, v14
	v_mov_b32_e32 v17, 2
	s_addc_u32 s37, s19, s37
	v_mov_b32_e32 v15, 0
	s_movk_i32 s33, 0x2800
	global_store_dwordx2 v15, v[16:17], s[36:37]
	v_add_u32_e64 v15, s33, 0
	ds_write2_b32 v15, v14, v40 offset1:2
.LBB451_269:
	s_or_b64 exec, exec, s[34:35]
	s_and_b64 exec, exec, s[0:1]
	s_cbranch_execz .LBB451_271
; %bb.270:
	v_mov_b32_e32 v14, 0
	ds_write_b32 v14, v40 offset:12
.LBB451_271:
	s_or_b64 exec, exec, s[26:27]
	v_mov_b32_e32 v14, 0
	s_waitcnt lgkmcnt(0)
	s_barrier
	ds_read_b32 v14, v14 offset:12
	v_cndmask_b32_e64 v15, v26, v24, s[16:17]
	v_cndmask_b32_e64 v15, v15, 0, s[0:1]
	s_movk_i32 s16, 0x2800
	s_waitcnt lgkmcnt(0)
	v_add_u32_e32 v26, v14, v15
	v_add_u32_e64 v14, s16, 0
	s_barrier
	ds_read2_b32 v[14:15], v14 offset1:2
	v_add_u32_e32 v24, v26, v1
	v_add_u32_e32 v22, v24, v25
	;; [unrolled: 1-line block ×4, first 2 shown]
	v_lshrrev_b64 v[16:17], 24, v[12:13]
	s_branch .LBB451_282
.LBB451_272:
                                        ; implicit-def: $vgpr18
                                        ; implicit-def: $vgpr20
                                        ; implicit-def: $vgpr22
                                        ; implicit-def: $vgpr24
                                        ; implicit-def: $vgpr26
                                        ; implicit-def: $vgpr15
	v_lshrrev_b64 v[16:17], 24, v[12:13]
	s_cbranch_execz .LBB451_282
; %bb.273:
	s_waitcnt lgkmcnt(0)
	v_mov_b32_dpp v14, v31 row_shr:1 row_mask:0xf bank_mask:0xf
	v_cndmask_b32_e64 v14, v14, 0, s[14:15]
	v_add_u32_e32 v14, v14, v31
	s_nop 1
	v_mov_b32_dpp v15, v14 row_shr:2 row_mask:0xf bank_mask:0xf
	v_cndmask_b32_e64 v15, 0, v15, s[12:13]
	v_add_u32_e32 v14, v14, v15
	s_nop 1
	;; [unrolled: 4-line block ×4, first 2 shown]
	v_mov_b32_dpp v15, v14 row_bcast:15 row_mask:0xf bank_mask:0xf
	v_cndmask_b32_e64 v15, v15, 0, s[6:7]
	v_add_u32_e32 v14, v14, v15
	s_nop 1
	v_mov_b32_dpp v15, v14 row_bcast:31 row_mask:0xf bank_mask:0xf
	v_cndmask_b32_e64 v15, 0, v15, s[2:3]
	v_add_u32_e32 v14, v14, v15
	s_and_saveexec_b64 s[2:3], s[4:5]
	s_cbranch_execz .LBB451_275
; %bb.274:
	v_lshlrev_b32_e32 v15, 2, v30
	ds_write_b32 v15, v14
.LBB451_275:
	s_or_b64 exec, exec, s[2:3]
	v_cmp_gt_u32_e32 vcc, 4, v0
	s_waitcnt lgkmcnt(0)
	s_barrier
	s_and_saveexec_b64 s[2:3], vcc
	s_cbranch_execz .LBB451_277
; %bb.276:
	v_lshlrev_b32_e32 v15, 2, v0
	ds_read_b32 v17, v15
	v_and_b32_e32 v18, 3, v29
	v_cmp_ne_u32_e32 vcc, 0, v18
	s_waitcnt lgkmcnt(0)
	v_mov_b32_dpp v19, v17 row_shr:1 row_mask:0xf bank_mask:0xf
	v_cndmask_b32_e32 v19, 0, v19, vcc
	v_add_u32_e32 v17, v19, v17
	v_cmp_lt_u32_e32 vcc, 1, v18
	s_nop 0
	v_mov_b32_dpp v19, v17 row_shr:2 row_mask:0xf bank_mask:0xf
	v_cndmask_b32_e32 v18, 0, v19, vcc
	v_add_u32_e32 v17, v17, v18
	ds_write_b32 v15, v17
.LBB451_277:
	s_or_b64 exec, exec, s[2:3]
	v_cmp_lt_u32_e32 vcc, 63, v0
	v_mov_b32_e32 v15, 0
	v_mov_b32_e32 v17, 0
	s_waitcnt lgkmcnt(0)
	s_barrier
	s_and_saveexec_b64 s[2:3], vcc
	s_cbranch_execz .LBB451_279
; %bb.278:
	v_lshl_add_u32 v17, v30, 2, -4
	ds_read_b32 v17, v17
.LBB451_279:
	s_or_b64 exec, exec, s[2:3]
	v_add_u32_e32 v18, -1, v29
	v_and_b32_e32 v19, 64, v29
	v_cmp_lt_i32_e32 vcc, v18, v19
	v_cndmask_b32_e32 v18, v18, v29, vcc
	s_waitcnt lgkmcnt(0)
	v_add_u32_e32 v14, v17, v14
	v_lshlrev_b32_e32 v18, 2, v18
	ds_bpermute_b32 v18, v18, v14
	ds_read_b32 v14, v15 offset:12
	s_and_saveexec_b64 s[2:3], s[0:1]
	s_cbranch_execz .LBB451_281
; %bb.280:
	v_mov_b32_e32 v19, 0
	v_mov_b32_e32 v15, 2
	s_waitcnt lgkmcnt(0)
	global_store_dwordx2 v19, v[14:15], s[18:19] offset:512
.LBB451_281:
	s_or_b64 exec, exec, s[2:3]
	v_cmp_eq_u32_e32 vcc, 0, v29
	s_waitcnt lgkmcnt(1)
	v_cndmask_b32_e32 v17, v18, v17, vcc
	v_cndmask_b32_e64 v26, v17, 0, s[0:1]
	v_add_u32_e32 v24, v26, v1
	v_add_u32_e32 v22, v24, v25
	v_add_u32_e32 v20, v22, v27
	v_mov_b32_e32 v15, 0
	v_add_u32_e32 v18, v20, v28
	s_waitcnt lgkmcnt(0)
	s_barrier
.LBB451_282:
	s_movk_i32 s2, 0x101
	s_waitcnt lgkmcnt(0)
	v_cmp_gt_u32_e32 vcc, s2, v14
	v_lshrrev_b32_e32 v1, 8, v12
	s_mov_b64 s[2:3], -1
	s_cbranch_vccnz .LBB451_286
; %bb.283:
	s_and_b64 vcc, exec, s[2:3]
	s_cbranch_vccnz .LBB451_302
.LBB451_284:
	s_and_b64 s[0:1], s[0:1], s[24:25]
	s_and_saveexec_b64 s[2:3], s[0:1]
	s_cbranch_execnz .LBB451_316
.LBB451_285:
	s_endpgm
.LBB451_286:
	v_add_u32_e32 v17, v15, v14
	v_cmp_lt_u32_e32 vcc, v26, v17
	s_or_b64 s[4:5], s[30:31], vcc
	s_and_saveexec_b64 s[2:3], s[4:5]
	s_cbranch_execz .LBB451_289
; %bb.287:
	v_and_b32_e32 v19, 1, v12
	v_cmp_eq_u32_e32 vcc, 1, v19
	s_and_b64 exec, exec, vcc
	s_cbranch_execz .LBB451_289
; %bb.288:
	s_lshl_b64 s[4:5], s[22:23], 3
	s_add_u32 s4, s28, s4
	v_mov_b32_e32 v27, 0
	s_addc_u32 s5, s29, s5
	v_lshlrev_b64 v[28:29], 3, v[26:27]
	v_mov_b32_e32 v19, s5
	v_add_co_u32_e32 v28, vcc, s4, v28
	v_addc_co_u32_e32 v29, vcc, v19, v29, vcc
	global_store_dwordx2 v[28:29], v[6:7], off
.LBB451_289:
	s_or_b64 exec, exec, s[2:3]
	v_cmp_lt_u32_e32 vcc, v24, v17
	s_or_b64 s[4:5], s[30:31], vcc
	s_and_saveexec_b64 s[2:3], s[4:5]
	s_cbranch_execz .LBB451_292
; %bb.290:
	v_and_b32_e32 v19, 1, v1
	v_cmp_eq_u32_e32 vcc, 1, v19
	s_and_b64 exec, exec, vcc
	s_cbranch_execz .LBB451_292
; %bb.291:
	s_lshl_b64 s[4:5], s[22:23], 3
	s_add_u32 s4, s28, s4
	v_mov_b32_e32 v25, 0
	s_addc_u32 s5, s29, s5
	v_lshlrev_b64 v[28:29], 3, v[24:25]
	v_mov_b32_e32 v19, s5
	v_add_co_u32_e32 v28, vcc, s4, v28
	v_addc_co_u32_e32 v29, vcc, v19, v29, vcc
	global_store_dwordx2 v[28:29], v[8:9], off
.LBB451_292:
	s_or_b64 exec, exec, s[2:3]
	v_cmp_lt_u32_e32 vcc, v22, v17
	s_or_b64 s[4:5], s[30:31], vcc
	s_and_saveexec_b64 s[2:3], s[4:5]
	s_cbranch_execz .LBB451_295
; %bb.293:
	v_mov_b32_e32 v19, 1
	v_and_b32_sdwa v19, v19, v12 dst_sel:DWORD dst_unused:UNUSED_PAD src0_sel:DWORD src1_sel:WORD_1
	v_cmp_eq_u32_e32 vcc, 1, v19
	s_and_b64 exec, exec, vcc
	s_cbranch_execz .LBB451_295
; %bb.294:
	s_lshl_b64 s[4:5], s[22:23], 3
	s_add_u32 s4, s28, s4
	v_mov_b32_e32 v23, 0
	s_addc_u32 s5, s29, s5
	v_lshlrev_b64 v[28:29], 3, v[22:23]
	v_mov_b32_e32 v19, s5
	v_add_co_u32_e32 v28, vcc, s4, v28
	v_addc_co_u32_e32 v29, vcc, v19, v29, vcc
	global_store_dwordx2 v[28:29], v[2:3], off
.LBB451_295:
	s_or_b64 exec, exec, s[2:3]
	v_cmp_lt_u32_e32 vcc, v20, v17
	s_or_b64 s[4:5], s[30:31], vcc
	s_and_saveexec_b64 s[2:3], s[4:5]
	s_cbranch_execz .LBB451_298
; %bb.296:
	v_and_b32_e32 v19, 1, v16
	v_cmp_eq_u32_e32 vcc, 1, v19
	s_and_b64 exec, exec, vcc
	s_cbranch_execz .LBB451_298
; %bb.297:
	s_lshl_b64 s[4:5], s[22:23], 3
	s_add_u32 s4, s28, s4
	v_mov_b32_e32 v21, 0
	s_addc_u32 s5, s29, s5
	v_lshlrev_b64 v[28:29], 3, v[20:21]
	v_mov_b32_e32 v19, s5
	v_add_co_u32_e32 v28, vcc, s4, v28
	v_addc_co_u32_e32 v29, vcc, v19, v29, vcc
	global_store_dwordx2 v[28:29], v[4:5], off
.LBB451_298:
	s_or_b64 exec, exec, s[2:3]
	v_cmp_lt_u32_e32 vcc, v18, v17
	s_or_b64 s[4:5], s[30:31], vcc
	s_and_saveexec_b64 s[2:3], s[4:5]
	s_cbranch_execz .LBB451_301
; %bb.299:
	v_and_b32_e32 v17, 1, v13
	v_cmp_eq_u32_e32 vcc, 1, v17
	s_and_b64 exec, exec, vcc
	s_cbranch_execz .LBB451_301
; %bb.300:
	s_lshl_b64 s[4:5], s[22:23], 3
	s_add_u32 s4, s28, s4
	v_mov_b32_e32 v19, 0
	s_addc_u32 s5, s29, s5
	v_lshlrev_b64 v[28:29], 3, v[18:19]
	v_mov_b32_e32 v17, s5
	v_add_co_u32_e32 v28, vcc, s4, v28
	v_addc_co_u32_e32 v29, vcc, v17, v29, vcc
	global_store_dwordx2 v[28:29], v[10:11], off
.LBB451_301:
	s_or_b64 exec, exec, s[2:3]
	s_branch .LBB451_284
.LBB451_302:
	v_and_b32_e32 v17, 1, v12
	v_cmp_eq_u32_e32 vcc, 1, v17
	s_and_saveexec_b64 s[2:3], vcc
	s_cbranch_execz .LBB451_304
; %bb.303:
	v_sub_u32_e32 v17, v26, v15
	v_lshlrev_b32_e32 v17, 3, v17
	ds_write_b64 v17, v[6:7]
.LBB451_304:
	s_or_b64 exec, exec, s[2:3]
	v_and_b32_e32 v1, 1, v1
	v_cmp_eq_u32_e32 vcc, 1, v1
	s_and_saveexec_b64 s[2:3], vcc
	s_cbranch_execz .LBB451_306
; %bb.305:
	v_sub_u32_e32 v1, v24, v15
	v_lshlrev_b32_e32 v1, 3, v1
	ds_write_b64 v1, v[8:9]
.LBB451_306:
	s_or_b64 exec, exec, s[2:3]
	v_mov_b32_e32 v1, 1
	v_and_b32_sdwa v1, v1, v12 dst_sel:DWORD dst_unused:UNUSED_PAD src0_sel:DWORD src1_sel:WORD_1
	v_cmp_eq_u32_e32 vcc, 1, v1
	s_and_saveexec_b64 s[2:3], vcc
	s_cbranch_execz .LBB451_308
; %bb.307:
	v_sub_u32_e32 v1, v22, v15
	v_lshlrev_b32_e32 v1, 3, v1
	ds_write_b64 v1, v[2:3]
.LBB451_308:
	s_or_b64 exec, exec, s[2:3]
	v_and_b32_e32 v1, 1, v16
	v_cmp_eq_u32_e32 vcc, 1, v1
	s_and_saveexec_b64 s[2:3], vcc
	s_cbranch_execz .LBB451_310
; %bb.309:
	v_sub_u32_e32 v1, v20, v15
	v_lshlrev_b32_e32 v1, 3, v1
	ds_write_b64 v1, v[4:5]
.LBB451_310:
	s_or_b64 exec, exec, s[2:3]
	v_and_b32_e32 v1, 1, v13
	v_cmp_eq_u32_e32 vcc, 1, v1
	s_and_saveexec_b64 s[2:3], vcc
	s_cbranch_execz .LBB451_312
; %bb.311:
	v_sub_u32_e32 v1, v18, v15
	v_lshlrev_b32_e32 v1, 3, v1
	ds_write_b64 v1, v[10:11]
.LBB451_312:
	s_or_b64 exec, exec, s[2:3]
	v_cmp_lt_u32_e32 vcc, v0, v14
	s_waitcnt lgkmcnt(0)
	s_barrier
	s_and_saveexec_b64 s[2:3], vcc
	s_cbranch_execz .LBB451_315
; %bb.313:
	v_mov_b32_e32 v1, 0
	v_mov_b32_e32 v2, v15
	;; [unrolled: 1-line block ×3, first 2 shown]
	v_lshlrev_b64 v[2:3], 3, v[2:3]
	v_mov_b32_e32 v4, s29
	v_add_co_u32_e32 v2, vcc, s28, v2
	v_addc_co_u32_e32 v3, vcc, v4, v3, vcc
	s_lshl_b64 s[4:5], s[22:23], 3
	v_mov_b32_e32 v4, s5
	v_add_co_u32_e32 v2, vcc, s4, v2
	v_addc_co_u32_e32 v3, vcc, v3, v4, vcc
	v_lshlrev_b32_e32 v4, 3, v0
	s_mov_b64 s[4:5], 0
.LBB451_314:                            ; =>This Inner Loop Header: Depth=1
	ds_read_b64 v[6:7], v4
	v_lshlrev_b64 v[8:9], 3, v[0:1]
	v_add_co_u32_e32 v8, vcc, v2, v8
	v_add_u32_e32 v0, 0x100, v0
	v_addc_co_u32_e32 v9, vcc, v3, v9, vcc
	v_cmp_ge_u32_e32 vcc, v0, v14
	v_add_u32_e32 v4, 0x800, v4
	s_or_b64 s[4:5], vcc, s[4:5]
	s_waitcnt lgkmcnt(0)
	global_store_dwordx2 v[8:9], v[6:7], off
	s_andn2_b64 exec, exec, s[4:5]
	s_cbranch_execnz .LBB451_314
.LBB451_315:
	s_or_b64 exec, exec, s[2:3]
	s_and_b64 s[0:1], s[0:1], s[24:25]
	s_and_saveexec_b64 s[2:3], s[0:1]
	s_cbranch_execz .LBB451_285
.LBB451_316:
	v_mov_b32_e32 v0, s23
	v_add_co_u32_e32 v1, vcc, s22, v14
	v_addc_co_u32_e32 v3, vcc, 0, v0, vcc
	v_add_co_u32_e32 v0, vcc, v1, v15
	v_mov_b32_e32 v2, 0
	v_addc_co_u32_e32 v1, vcc, 0, v3, vcc
	global_store_dwordx2 v2, v[0:1], s[20:21]
	s_endpgm
	.section	.rodata,"a",@progbits
	.p2align	6, 0x0
	.amdhsa_kernel _ZN7rocprim17ROCPRIM_400000_NS6detail17trampoline_kernelINS0_14default_configENS1_25partition_config_selectorILNS1_17partition_subalgoE8ElNS0_10empty_typeEbEEZZNS1_14partition_implILS5_8ELb0ES3_jPlPS6_PKS6_NS0_5tupleIJS9_S6_EEENSD_IJSA_SA_EEENS0_18inequality_wrapperIZN2at6native12_GLOBAL__N_124unique_dim_cuda_templateIiEESt5tupleIJNSH_6TensorESM_SM_EERKSM_lbbbEUlllE0_EEPmJS6_EEE10hipError_tPvRmT3_T4_T5_T6_T7_T9_mT8_P12ihipStream_tbDpT10_ENKUlT_T0_E_clISt17integral_constantIbLb1EES1C_EEDaS17_S18_EUlS17_E_NS1_11comp_targetILNS1_3genE4ELNS1_11target_archE910ELNS1_3gpuE8ELNS1_3repE0EEENS1_30default_config_static_selectorELNS0_4arch9wavefront6targetE1EEEvT1_
		.amdhsa_group_segment_fixed_size 10252
		.amdhsa_private_segment_fixed_size 0
		.amdhsa_kernarg_size 136
		.amdhsa_user_sgpr_count 6
		.amdhsa_user_sgpr_private_segment_buffer 1
		.amdhsa_user_sgpr_dispatch_ptr 0
		.amdhsa_user_sgpr_queue_ptr 0
		.amdhsa_user_sgpr_kernarg_segment_ptr 1
		.amdhsa_user_sgpr_dispatch_id 0
		.amdhsa_user_sgpr_flat_scratch_init 0
		.amdhsa_user_sgpr_kernarg_preload_length 0
		.amdhsa_user_sgpr_kernarg_preload_offset 0
		.amdhsa_user_sgpr_private_segment_size 0
		.amdhsa_uses_dynamic_stack 0
		.amdhsa_system_sgpr_private_segment_wavefront_offset 0
		.amdhsa_system_sgpr_workgroup_id_x 1
		.amdhsa_system_sgpr_workgroup_id_y 0
		.amdhsa_system_sgpr_workgroup_id_z 0
		.amdhsa_system_sgpr_workgroup_info 0
		.amdhsa_system_vgpr_workitem_id 0
		.amdhsa_next_free_vgpr 46
		.amdhsa_next_free_sgpr 52
		.amdhsa_accum_offset 48
		.amdhsa_reserve_vcc 1
		.amdhsa_reserve_flat_scratch 0
		.amdhsa_float_round_mode_32 0
		.amdhsa_float_round_mode_16_64 0
		.amdhsa_float_denorm_mode_32 3
		.amdhsa_float_denorm_mode_16_64 3
		.amdhsa_dx10_clamp 1
		.amdhsa_ieee_mode 1
		.amdhsa_fp16_overflow 0
		.amdhsa_tg_split 0
		.amdhsa_exception_fp_ieee_invalid_op 0
		.amdhsa_exception_fp_denorm_src 0
		.amdhsa_exception_fp_ieee_div_zero 0
		.amdhsa_exception_fp_ieee_overflow 0
		.amdhsa_exception_fp_ieee_underflow 0
		.amdhsa_exception_fp_ieee_inexact 0
		.amdhsa_exception_int_div_zero 0
	.end_amdhsa_kernel
	.section	.text._ZN7rocprim17ROCPRIM_400000_NS6detail17trampoline_kernelINS0_14default_configENS1_25partition_config_selectorILNS1_17partition_subalgoE8ElNS0_10empty_typeEbEEZZNS1_14partition_implILS5_8ELb0ES3_jPlPS6_PKS6_NS0_5tupleIJS9_S6_EEENSD_IJSA_SA_EEENS0_18inequality_wrapperIZN2at6native12_GLOBAL__N_124unique_dim_cuda_templateIiEESt5tupleIJNSH_6TensorESM_SM_EERKSM_lbbbEUlllE0_EEPmJS6_EEE10hipError_tPvRmT3_T4_T5_T6_T7_T9_mT8_P12ihipStream_tbDpT10_ENKUlT_T0_E_clISt17integral_constantIbLb1EES1C_EEDaS17_S18_EUlS17_E_NS1_11comp_targetILNS1_3genE4ELNS1_11target_archE910ELNS1_3gpuE8ELNS1_3repE0EEENS1_30default_config_static_selectorELNS0_4arch9wavefront6targetE1EEEvT1_,"axG",@progbits,_ZN7rocprim17ROCPRIM_400000_NS6detail17trampoline_kernelINS0_14default_configENS1_25partition_config_selectorILNS1_17partition_subalgoE8ElNS0_10empty_typeEbEEZZNS1_14partition_implILS5_8ELb0ES3_jPlPS6_PKS6_NS0_5tupleIJS9_S6_EEENSD_IJSA_SA_EEENS0_18inequality_wrapperIZN2at6native12_GLOBAL__N_124unique_dim_cuda_templateIiEESt5tupleIJNSH_6TensorESM_SM_EERKSM_lbbbEUlllE0_EEPmJS6_EEE10hipError_tPvRmT3_T4_T5_T6_T7_T9_mT8_P12ihipStream_tbDpT10_ENKUlT_T0_E_clISt17integral_constantIbLb1EES1C_EEDaS17_S18_EUlS17_E_NS1_11comp_targetILNS1_3genE4ELNS1_11target_archE910ELNS1_3gpuE8ELNS1_3repE0EEENS1_30default_config_static_selectorELNS0_4arch9wavefront6targetE1EEEvT1_,comdat
.Lfunc_end451:
	.size	_ZN7rocprim17ROCPRIM_400000_NS6detail17trampoline_kernelINS0_14default_configENS1_25partition_config_selectorILNS1_17partition_subalgoE8ElNS0_10empty_typeEbEEZZNS1_14partition_implILS5_8ELb0ES3_jPlPS6_PKS6_NS0_5tupleIJS9_S6_EEENSD_IJSA_SA_EEENS0_18inequality_wrapperIZN2at6native12_GLOBAL__N_124unique_dim_cuda_templateIiEESt5tupleIJNSH_6TensorESM_SM_EERKSM_lbbbEUlllE0_EEPmJS6_EEE10hipError_tPvRmT3_T4_T5_T6_T7_T9_mT8_P12ihipStream_tbDpT10_ENKUlT_T0_E_clISt17integral_constantIbLb1EES1C_EEDaS17_S18_EUlS17_E_NS1_11comp_targetILNS1_3genE4ELNS1_11target_archE910ELNS1_3gpuE8ELNS1_3repE0EEENS1_30default_config_static_selectorELNS0_4arch9wavefront6targetE1EEEvT1_, .Lfunc_end451-_ZN7rocprim17ROCPRIM_400000_NS6detail17trampoline_kernelINS0_14default_configENS1_25partition_config_selectorILNS1_17partition_subalgoE8ElNS0_10empty_typeEbEEZZNS1_14partition_implILS5_8ELb0ES3_jPlPS6_PKS6_NS0_5tupleIJS9_S6_EEENSD_IJSA_SA_EEENS0_18inequality_wrapperIZN2at6native12_GLOBAL__N_124unique_dim_cuda_templateIiEESt5tupleIJNSH_6TensorESM_SM_EERKSM_lbbbEUlllE0_EEPmJS6_EEE10hipError_tPvRmT3_T4_T5_T6_T7_T9_mT8_P12ihipStream_tbDpT10_ENKUlT_T0_E_clISt17integral_constantIbLb1EES1C_EEDaS17_S18_EUlS17_E_NS1_11comp_targetILNS1_3genE4ELNS1_11target_archE910ELNS1_3gpuE8ELNS1_3repE0EEENS1_30default_config_static_selectorELNS0_4arch9wavefront6targetE1EEEvT1_
                                        ; -- End function
	.section	.AMDGPU.csdata,"",@progbits
; Kernel info:
; codeLenInByte = 11652
; NumSgprs: 56
; NumVgprs: 46
; NumAgprs: 0
; TotalNumVgprs: 46
; ScratchSize: 0
; MemoryBound: 0
; FloatMode: 240
; IeeeMode: 1
; LDSByteSize: 10252 bytes/workgroup (compile time only)
; SGPRBlocks: 6
; VGPRBlocks: 5
; NumSGPRsForWavesPerEU: 56
; NumVGPRsForWavesPerEU: 46
; AccumOffset: 48
; Occupancy: 6
; WaveLimiterHint : 1
; COMPUTE_PGM_RSRC2:SCRATCH_EN: 0
; COMPUTE_PGM_RSRC2:USER_SGPR: 6
; COMPUTE_PGM_RSRC2:TRAP_HANDLER: 0
; COMPUTE_PGM_RSRC2:TGID_X_EN: 1
; COMPUTE_PGM_RSRC2:TGID_Y_EN: 0
; COMPUTE_PGM_RSRC2:TGID_Z_EN: 0
; COMPUTE_PGM_RSRC2:TIDIG_COMP_CNT: 0
; COMPUTE_PGM_RSRC3_GFX90A:ACCUM_OFFSET: 11
; COMPUTE_PGM_RSRC3_GFX90A:TG_SPLIT: 0
	.section	.text._ZN7rocprim17ROCPRIM_400000_NS6detail17trampoline_kernelINS0_14default_configENS1_25partition_config_selectorILNS1_17partition_subalgoE8ElNS0_10empty_typeEbEEZZNS1_14partition_implILS5_8ELb0ES3_jPlPS6_PKS6_NS0_5tupleIJS9_S6_EEENSD_IJSA_SA_EEENS0_18inequality_wrapperIZN2at6native12_GLOBAL__N_124unique_dim_cuda_templateIiEESt5tupleIJNSH_6TensorESM_SM_EERKSM_lbbbEUlllE0_EEPmJS6_EEE10hipError_tPvRmT3_T4_T5_T6_T7_T9_mT8_P12ihipStream_tbDpT10_ENKUlT_T0_E_clISt17integral_constantIbLb1EES1C_EEDaS17_S18_EUlS17_E_NS1_11comp_targetILNS1_3genE3ELNS1_11target_archE908ELNS1_3gpuE7ELNS1_3repE0EEENS1_30default_config_static_selectorELNS0_4arch9wavefront6targetE1EEEvT1_,"axG",@progbits,_ZN7rocprim17ROCPRIM_400000_NS6detail17trampoline_kernelINS0_14default_configENS1_25partition_config_selectorILNS1_17partition_subalgoE8ElNS0_10empty_typeEbEEZZNS1_14partition_implILS5_8ELb0ES3_jPlPS6_PKS6_NS0_5tupleIJS9_S6_EEENSD_IJSA_SA_EEENS0_18inequality_wrapperIZN2at6native12_GLOBAL__N_124unique_dim_cuda_templateIiEESt5tupleIJNSH_6TensorESM_SM_EERKSM_lbbbEUlllE0_EEPmJS6_EEE10hipError_tPvRmT3_T4_T5_T6_T7_T9_mT8_P12ihipStream_tbDpT10_ENKUlT_T0_E_clISt17integral_constantIbLb1EES1C_EEDaS17_S18_EUlS17_E_NS1_11comp_targetILNS1_3genE3ELNS1_11target_archE908ELNS1_3gpuE7ELNS1_3repE0EEENS1_30default_config_static_selectorELNS0_4arch9wavefront6targetE1EEEvT1_,comdat
	.globl	_ZN7rocprim17ROCPRIM_400000_NS6detail17trampoline_kernelINS0_14default_configENS1_25partition_config_selectorILNS1_17partition_subalgoE8ElNS0_10empty_typeEbEEZZNS1_14partition_implILS5_8ELb0ES3_jPlPS6_PKS6_NS0_5tupleIJS9_S6_EEENSD_IJSA_SA_EEENS0_18inequality_wrapperIZN2at6native12_GLOBAL__N_124unique_dim_cuda_templateIiEESt5tupleIJNSH_6TensorESM_SM_EERKSM_lbbbEUlllE0_EEPmJS6_EEE10hipError_tPvRmT3_T4_T5_T6_T7_T9_mT8_P12ihipStream_tbDpT10_ENKUlT_T0_E_clISt17integral_constantIbLb1EES1C_EEDaS17_S18_EUlS17_E_NS1_11comp_targetILNS1_3genE3ELNS1_11target_archE908ELNS1_3gpuE7ELNS1_3repE0EEENS1_30default_config_static_selectorELNS0_4arch9wavefront6targetE1EEEvT1_ ; -- Begin function _ZN7rocprim17ROCPRIM_400000_NS6detail17trampoline_kernelINS0_14default_configENS1_25partition_config_selectorILNS1_17partition_subalgoE8ElNS0_10empty_typeEbEEZZNS1_14partition_implILS5_8ELb0ES3_jPlPS6_PKS6_NS0_5tupleIJS9_S6_EEENSD_IJSA_SA_EEENS0_18inequality_wrapperIZN2at6native12_GLOBAL__N_124unique_dim_cuda_templateIiEESt5tupleIJNSH_6TensorESM_SM_EERKSM_lbbbEUlllE0_EEPmJS6_EEE10hipError_tPvRmT3_T4_T5_T6_T7_T9_mT8_P12ihipStream_tbDpT10_ENKUlT_T0_E_clISt17integral_constantIbLb1EES1C_EEDaS17_S18_EUlS17_E_NS1_11comp_targetILNS1_3genE3ELNS1_11target_archE908ELNS1_3gpuE7ELNS1_3repE0EEENS1_30default_config_static_selectorELNS0_4arch9wavefront6targetE1EEEvT1_
	.p2align	8
	.type	_ZN7rocprim17ROCPRIM_400000_NS6detail17trampoline_kernelINS0_14default_configENS1_25partition_config_selectorILNS1_17partition_subalgoE8ElNS0_10empty_typeEbEEZZNS1_14partition_implILS5_8ELb0ES3_jPlPS6_PKS6_NS0_5tupleIJS9_S6_EEENSD_IJSA_SA_EEENS0_18inequality_wrapperIZN2at6native12_GLOBAL__N_124unique_dim_cuda_templateIiEESt5tupleIJNSH_6TensorESM_SM_EERKSM_lbbbEUlllE0_EEPmJS6_EEE10hipError_tPvRmT3_T4_T5_T6_T7_T9_mT8_P12ihipStream_tbDpT10_ENKUlT_T0_E_clISt17integral_constantIbLb1EES1C_EEDaS17_S18_EUlS17_E_NS1_11comp_targetILNS1_3genE3ELNS1_11target_archE908ELNS1_3gpuE7ELNS1_3repE0EEENS1_30default_config_static_selectorELNS0_4arch9wavefront6targetE1EEEvT1_,@function
_ZN7rocprim17ROCPRIM_400000_NS6detail17trampoline_kernelINS0_14default_configENS1_25partition_config_selectorILNS1_17partition_subalgoE8ElNS0_10empty_typeEbEEZZNS1_14partition_implILS5_8ELb0ES3_jPlPS6_PKS6_NS0_5tupleIJS9_S6_EEENSD_IJSA_SA_EEENS0_18inequality_wrapperIZN2at6native12_GLOBAL__N_124unique_dim_cuda_templateIiEESt5tupleIJNSH_6TensorESM_SM_EERKSM_lbbbEUlllE0_EEPmJS6_EEE10hipError_tPvRmT3_T4_T5_T6_T7_T9_mT8_P12ihipStream_tbDpT10_ENKUlT_T0_E_clISt17integral_constantIbLb1EES1C_EEDaS17_S18_EUlS17_E_NS1_11comp_targetILNS1_3genE3ELNS1_11target_archE908ELNS1_3gpuE7ELNS1_3repE0EEENS1_30default_config_static_selectorELNS0_4arch9wavefront6targetE1EEEvT1_: ; @_ZN7rocprim17ROCPRIM_400000_NS6detail17trampoline_kernelINS0_14default_configENS1_25partition_config_selectorILNS1_17partition_subalgoE8ElNS0_10empty_typeEbEEZZNS1_14partition_implILS5_8ELb0ES3_jPlPS6_PKS6_NS0_5tupleIJS9_S6_EEENSD_IJSA_SA_EEENS0_18inequality_wrapperIZN2at6native12_GLOBAL__N_124unique_dim_cuda_templateIiEESt5tupleIJNSH_6TensorESM_SM_EERKSM_lbbbEUlllE0_EEPmJS6_EEE10hipError_tPvRmT3_T4_T5_T6_T7_T9_mT8_P12ihipStream_tbDpT10_ENKUlT_T0_E_clISt17integral_constantIbLb1EES1C_EEDaS17_S18_EUlS17_E_NS1_11comp_targetILNS1_3genE3ELNS1_11target_archE908ELNS1_3gpuE7ELNS1_3repE0EEENS1_30default_config_static_selectorELNS0_4arch9wavefront6targetE1EEEvT1_
; %bb.0:
	.section	.rodata,"a",@progbits
	.p2align	6, 0x0
	.amdhsa_kernel _ZN7rocprim17ROCPRIM_400000_NS6detail17trampoline_kernelINS0_14default_configENS1_25partition_config_selectorILNS1_17partition_subalgoE8ElNS0_10empty_typeEbEEZZNS1_14partition_implILS5_8ELb0ES3_jPlPS6_PKS6_NS0_5tupleIJS9_S6_EEENSD_IJSA_SA_EEENS0_18inequality_wrapperIZN2at6native12_GLOBAL__N_124unique_dim_cuda_templateIiEESt5tupleIJNSH_6TensorESM_SM_EERKSM_lbbbEUlllE0_EEPmJS6_EEE10hipError_tPvRmT3_T4_T5_T6_T7_T9_mT8_P12ihipStream_tbDpT10_ENKUlT_T0_E_clISt17integral_constantIbLb1EES1C_EEDaS17_S18_EUlS17_E_NS1_11comp_targetILNS1_3genE3ELNS1_11target_archE908ELNS1_3gpuE7ELNS1_3repE0EEENS1_30default_config_static_selectorELNS0_4arch9wavefront6targetE1EEEvT1_
		.amdhsa_group_segment_fixed_size 0
		.amdhsa_private_segment_fixed_size 0
		.amdhsa_kernarg_size 136
		.amdhsa_user_sgpr_count 6
		.amdhsa_user_sgpr_private_segment_buffer 1
		.amdhsa_user_sgpr_dispatch_ptr 0
		.amdhsa_user_sgpr_queue_ptr 0
		.amdhsa_user_sgpr_kernarg_segment_ptr 1
		.amdhsa_user_sgpr_dispatch_id 0
		.amdhsa_user_sgpr_flat_scratch_init 0
		.amdhsa_user_sgpr_kernarg_preload_length 0
		.amdhsa_user_sgpr_kernarg_preload_offset 0
		.amdhsa_user_sgpr_private_segment_size 0
		.amdhsa_uses_dynamic_stack 0
		.amdhsa_system_sgpr_private_segment_wavefront_offset 0
		.amdhsa_system_sgpr_workgroup_id_x 1
		.amdhsa_system_sgpr_workgroup_id_y 0
		.amdhsa_system_sgpr_workgroup_id_z 0
		.amdhsa_system_sgpr_workgroup_info 0
		.amdhsa_system_vgpr_workitem_id 0
		.amdhsa_next_free_vgpr 1
		.amdhsa_next_free_sgpr 0
		.amdhsa_accum_offset 4
		.amdhsa_reserve_vcc 0
		.amdhsa_reserve_flat_scratch 0
		.amdhsa_float_round_mode_32 0
		.amdhsa_float_round_mode_16_64 0
		.amdhsa_float_denorm_mode_32 3
		.amdhsa_float_denorm_mode_16_64 3
		.amdhsa_dx10_clamp 1
		.amdhsa_ieee_mode 1
		.amdhsa_fp16_overflow 0
		.amdhsa_tg_split 0
		.amdhsa_exception_fp_ieee_invalid_op 0
		.amdhsa_exception_fp_denorm_src 0
		.amdhsa_exception_fp_ieee_div_zero 0
		.amdhsa_exception_fp_ieee_overflow 0
		.amdhsa_exception_fp_ieee_underflow 0
		.amdhsa_exception_fp_ieee_inexact 0
		.amdhsa_exception_int_div_zero 0
	.end_amdhsa_kernel
	.section	.text._ZN7rocprim17ROCPRIM_400000_NS6detail17trampoline_kernelINS0_14default_configENS1_25partition_config_selectorILNS1_17partition_subalgoE8ElNS0_10empty_typeEbEEZZNS1_14partition_implILS5_8ELb0ES3_jPlPS6_PKS6_NS0_5tupleIJS9_S6_EEENSD_IJSA_SA_EEENS0_18inequality_wrapperIZN2at6native12_GLOBAL__N_124unique_dim_cuda_templateIiEESt5tupleIJNSH_6TensorESM_SM_EERKSM_lbbbEUlllE0_EEPmJS6_EEE10hipError_tPvRmT3_T4_T5_T6_T7_T9_mT8_P12ihipStream_tbDpT10_ENKUlT_T0_E_clISt17integral_constantIbLb1EES1C_EEDaS17_S18_EUlS17_E_NS1_11comp_targetILNS1_3genE3ELNS1_11target_archE908ELNS1_3gpuE7ELNS1_3repE0EEENS1_30default_config_static_selectorELNS0_4arch9wavefront6targetE1EEEvT1_,"axG",@progbits,_ZN7rocprim17ROCPRIM_400000_NS6detail17trampoline_kernelINS0_14default_configENS1_25partition_config_selectorILNS1_17partition_subalgoE8ElNS0_10empty_typeEbEEZZNS1_14partition_implILS5_8ELb0ES3_jPlPS6_PKS6_NS0_5tupleIJS9_S6_EEENSD_IJSA_SA_EEENS0_18inequality_wrapperIZN2at6native12_GLOBAL__N_124unique_dim_cuda_templateIiEESt5tupleIJNSH_6TensorESM_SM_EERKSM_lbbbEUlllE0_EEPmJS6_EEE10hipError_tPvRmT3_T4_T5_T6_T7_T9_mT8_P12ihipStream_tbDpT10_ENKUlT_T0_E_clISt17integral_constantIbLb1EES1C_EEDaS17_S18_EUlS17_E_NS1_11comp_targetILNS1_3genE3ELNS1_11target_archE908ELNS1_3gpuE7ELNS1_3repE0EEENS1_30default_config_static_selectorELNS0_4arch9wavefront6targetE1EEEvT1_,comdat
.Lfunc_end452:
	.size	_ZN7rocprim17ROCPRIM_400000_NS6detail17trampoline_kernelINS0_14default_configENS1_25partition_config_selectorILNS1_17partition_subalgoE8ElNS0_10empty_typeEbEEZZNS1_14partition_implILS5_8ELb0ES3_jPlPS6_PKS6_NS0_5tupleIJS9_S6_EEENSD_IJSA_SA_EEENS0_18inequality_wrapperIZN2at6native12_GLOBAL__N_124unique_dim_cuda_templateIiEESt5tupleIJNSH_6TensorESM_SM_EERKSM_lbbbEUlllE0_EEPmJS6_EEE10hipError_tPvRmT3_T4_T5_T6_T7_T9_mT8_P12ihipStream_tbDpT10_ENKUlT_T0_E_clISt17integral_constantIbLb1EES1C_EEDaS17_S18_EUlS17_E_NS1_11comp_targetILNS1_3genE3ELNS1_11target_archE908ELNS1_3gpuE7ELNS1_3repE0EEENS1_30default_config_static_selectorELNS0_4arch9wavefront6targetE1EEEvT1_, .Lfunc_end452-_ZN7rocprim17ROCPRIM_400000_NS6detail17trampoline_kernelINS0_14default_configENS1_25partition_config_selectorILNS1_17partition_subalgoE8ElNS0_10empty_typeEbEEZZNS1_14partition_implILS5_8ELb0ES3_jPlPS6_PKS6_NS0_5tupleIJS9_S6_EEENSD_IJSA_SA_EEENS0_18inequality_wrapperIZN2at6native12_GLOBAL__N_124unique_dim_cuda_templateIiEESt5tupleIJNSH_6TensorESM_SM_EERKSM_lbbbEUlllE0_EEPmJS6_EEE10hipError_tPvRmT3_T4_T5_T6_T7_T9_mT8_P12ihipStream_tbDpT10_ENKUlT_T0_E_clISt17integral_constantIbLb1EES1C_EEDaS17_S18_EUlS17_E_NS1_11comp_targetILNS1_3genE3ELNS1_11target_archE908ELNS1_3gpuE7ELNS1_3repE0EEENS1_30default_config_static_selectorELNS0_4arch9wavefront6targetE1EEEvT1_
                                        ; -- End function
	.section	.AMDGPU.csdata,"",@progbits
; Kernel info:
; codeLenInByte = 0
; NumSgprs: 4
; NumVgprs: 0
; NumAgprs: 0
; TotalNumVgprs: 0
; ScratchSize: 0
; MemoryBound: 0
; FloatMode: 240
; IeeeMode: 1
; LDSByteSize: 0 bytes/workgroup (compile time only)
; SGPRBlocks: 0
; VGPRBlocks: 0
; NumSGPRsForWavesPerEU: 4
; NumVGPRsForWavesPerEU: 1
; AccumOffset: 4
; Occupancy: 8
; WaveLimiterHint : 0
; COMPUTE_PGM_RSRC2:SCRATCH_EN: 0
; COMPUTE_PGM_RSRC2:USER_SGPR: 6
; COMPUTE_PGM_RSRC2:TRAP_HANDLER: 0
; COMPUTE_PGM_RSRC2:TGID_X_EN: 1
; COMPUTE_PGM_RSRC2:TGID_Y_EN: 0
; COMPUTE_PGM_RSRC2:TGID_Z_EN: 0
; COMPUTE_PGM_RSRC2:TIDIG_COMP_CNT: 0
; COMPUTE_PGM_RSRC3_GFX90A:ACCUM_OFFSET: 0
; COMPUTE_PGM_RSRC3_GFX90A:TG_SPLIT: 0
	.section	.text._ZN7rocprim17ROCPRIM_400000_NS6detail17trampoline_kernelINS0_14default_configENS1_25partition_config_selectorILNS1_17partition_subalgoE8ElNS0_10empty_typeEbEEZZNS1_14partition_implILS5_8ELb0ES3_jPlPS6_PKS6_NS0_5tupleIJS9_S6_EEENSD_IJSA_SA_EEENS0_18inequality_wrapperIZN2at6native12_GLOBAL__N_124unique_dim_cuda_templateIiEESt5tupleIJNSH_6TensorESM_SM_EERKSM_lbbbEUlllE0_EEPmJS6_EEE10hipError_tPvRmT3_T4_T5_T6_T7_T9_mT8_P12ihipStream_tbDpT10_ENKUlT_T0_E_clISt17integral_constantIbLb1EES1C_EEDaS17_S18_EUlS17_E_NS1_11comp_targetILNS1_3genE2ELNS1_11target_archE906ELNS1_3gpuE6ELNS1_3repE0EEENS1_30default_config_static_selectorELNS0_4arch9wavefront6targetE1EEEvT1_,"axG",@progbits,_ZN7rocprim17ROCPRIM_400000_NS6detail17trampoline_kernelINS0_14default_configENS1_25partition_config_selectorILNS1_17partition_subalgoE8ElNS0_10empty_typeEbEEZZNS1_14partition_implILS5_8ELb0ES3_jPlPS6_PKS6_NS0_5tupleIJS9_S6_EEENSD_IJSA_SA_EEENS0_18inequality_wrapperIZN2at6native12_GLOBAL__N_124unique_dim_cuda_templateIiEESt5tupleIJNSH_6TensorESM_SM_EERKSM_lbbbEUlllE0_EEPmJS6_EEE10hipError_tPvRmT3_T4_T5_T6_T7_T9_mT8_P12ihipStream_tbDpT10_ENKUlT_T0_E_clISt17integral_constantIbLb1EES1C_EEDaS17_S18_EUlS17_E_NS1_11comp_targetILNS1_3genE2ELNS1_11target_archE906ELNS1_3gpuE6ELNS1_3repE0EEENS1_30default_config_static_selectorELNS0_4arch9wavefront6targetE1EEEvT1_,comdat
	.globl	_ZN7rocprim17ROCPRIM_400000_NS6detail17trampoline_kernelINS0_14default_configENS1_25partition_config_selectorILNS1_17partition_subalgoE8ElNS0_10empty_typeEbEEZZNS1_14partition_implILS5_8ELb0ES3_jPlPS6_PKS6_NS0_5tupleIJS9_S6_EEENSD_IJSA_SA_EEENS0_18inequality_wrapperIZN2at6native12_GLOBAL__N_124unique_dim_cuda_templateIiEESt5tupleIJNSH_6TensorESM_SM_EERKSM_lbbbEUlllE0_EEPmJS6_EEE10hipError_tPvRmT3_T4_T5_T6_T7_T9_mT8_P12ihipStream_tbDpT10_ENKUlT_T0_E_clISt17integral_constantIbLb1EES1C_EEDaS17_S18_EUlS17_E_NS1_11comp_targetILNS1_3genE2ELNS1_11target_archE906ELNS1_3gpuE6ELNS1_3repE0EEENS1_30default_config_static_selectorELNS0_4arch9wavefront6targetE1EEEvT1_ ; -- Begin function _ZN7rocprim17ROCPRIM_400000_NS6detail17trampoline_kernelINS0_14default_configENS1_25partition_config_selectorILNS1_17partition_subalgoE8ElNS0_10empty_typeEbEEZZNS1_14partition_implILS5_8ELb0ES3_jPlPS6_PKS6_NS0_5tupleIJS9_S6_EEENSD_IJSA_SA_EEENS0_18inequality_wrapperIZN2at6native12_GLOBAL__N_124unique_dim_cuda_templateIiEESt5tupleIJNSH_6TensorESM_SM_EERKSM_lbbbEUlllE0_EEPmJS6_EEE10hipError_tPvRmT3_T4_T5_T6_T7_T9_mT8_P12ihipStream_tbDpT10_ENKUlT_T0_E_clISt17integral_constantIbLb1EES1C_EEDaS17_S18_EUlS17_E_NS1_11comp_targetILNS1_3genE2ELNS1_11target_archE906ELNS1_3gpuE6ELNS1_3repE0EEENS1_30default_config_static_selectorELNS0_4arch9wavefront6targetE1EEEvT1_
	.p2align	8
	.type	_ZN7rocprim17ROCPRIM_400000_NS6detail17trampoline_kernelINS0_14default_configENS1_25partition_config_selectorILNS1_17partition_subalgoE8ElNS0_10empty_typeEbEEZZNS1_14partition_implILS5_8ELb0ES3_jPlPS6_PKS6_NS0_5tupleIJS9_S6_EEENSD_IJSA_SA_EEENS0_18inequality_wrapperIZN2at6native12_GLOBAL__N_124unique_dim_cuda_templateIiEESt5tupleIJNSH_6TensorESM_SM_EERKSM_lbbbEUlllE0_EEPmJS6_EEE10hipError_tPvRmT3_T4_T5_T6_T7_T9_mT8_P12ihipStream_tbDpT10_ENKUlT_T0_E_clISt17integral_constantIbLb1EES1C_EEDaS17_S18_EUlS17_E_NS1_11comp_targetILNS1_3genE2ELNS1_11target_archE906ELNS1_3gpuE6ELNS1_3repE0EEENS1_30default_config_static_selectorELNS0_4arch9wavefront6targetE1EEEvT1_,@function
_ZN7rocprim17ROCPRIM_400000_NS6detail17trampoline_kernelINS0_14default_configENS1_25partition_config_selectorILNS1_17partition_subalgoE8ElNS0_10empty_typeEbEEZZNS1_14partition_implILS5_8ELb0ES3_jPlPS6_PKS6_NS0_5tupleIJS9_S6_EEENSD_IJSA_SA_EEENS0_18inequality_wrapperIZN2at6native12_GLOBAL__N_124unique_dim_cuda_templateIiEESt5tupleIJNSH_6TensorESM_SM_EERKSM_lbbbEUlllE0_EEPmJS6_EEE10hipError_tPvRmT3_T4_T5_T6_T7_T9_mT8_P12ihipStream_tbDpT10_ENKUlT_T0_E_clISt17integral_constantIbLb1EES1C_EEDaS17_S18_EUlS17_E_NS1_11comp_targetILNS1_3genE2ELNS1_11target_archE906ELNS1_3gpuE6ELNS1_3repE0EEENS1_30default_config_static_selectorELNS0_4arch9wavefront6targetE1EEEvT1_: ; @_ZN7rocprim17ROCPRIM_400000_NS6detail17trampoline_kernelINS0_14default_configENS1_25partition_config_selectorILNS1_17partition_subalgoE8ElNS0_10empty_typeEbEEZZNS1_14partition_implILS5_8ELb0ES3_jPlPS6_PKS6_NS0_5tupleIJS9_S6_EEENSD_IJSA_SA_EEENS0_18inequality_wrapperIZN2at6native12_GLOBAL__N_124unique_dim_cuda_templateIiEESt5tupleIJNSH_6TensorESM_SM_EERKSM_lbbbEUlllE0_EEPmJS6_EEE10hipError_tPvRmT3_T4_T5_T6_T7_T9_mT8_P12ihipStream_tbDpT10_ENKUlT_T0_E_clISt17integral_constantIbLb1EES1C_EEDaS17_S18_EUlS17_E_NS1_11comp_targetILNS1_3genE2ELNS1_11target_archE906ELNS1_3gpuE6ELNS1_3repE0EEENS1_30default_config_static_selectorELNS0_4arch9wavefront6targetE1EEEvT1_
; %bb.0:
	.section	.rodata,"a",@progbits
	.p2align	6, 0x0
	.amdhsa_kernel _ZN7rocprim17ROCPRIM_400000_NS6detail17trampoline_kernelINS0_14default_configENS1_25partition_config_selectorILNS1_17partition_subalgoE8ElNS0_10empty_typeEbEEZZNS1_14partition_implILS5_8ELb0ES3_jPlPS6_PKS6_NS0_5tupleIJS9_S6_EEENSD_IJSA_SA_EEENS0_18inequality_wrapperIZN2at6native12_GLOBAL__N_124unique_dim_cuda_templateIiEESt5tupleIJNSH_6TensorESM_SM_EERKSM_lbbbEUlllE0_EEPmJS6_EEE10hipError_tPvRmT3_T4_T5_T6_T7_T9_mT8_P12ihipStream_tbDpT10_ENKUlT_T0_E_clISt17integral_constantIbLb1EES1C_EEDaS17_S18_EUlS17_E_NS1_11comp_targetILNS1_3genE2ELNS1_11target_archE906ELNS1_3gpuE6ELNS1_3repE0EEENS1_30default_config_static_selectorELNS0_4arch9wavefront6targetE1EEEvT1_
		.amdhsa_group_segment_fixed_size 0
		.amdhsa_private_segment_fixed_size 0
		.amdhsa_kernarg_size 136
		.amdhsa_user_sgpr_count 6
		.amdhsa_user_sgpr_private_segment_buffer 1
		.amdhsa_user_sgpr_dispatch_ptr 0
		.amdhsa_user_sgpr_queue_ptr 0
		.amdhsa_user_sgpr_kernarg_segment_ptr 1
		.amdhsa_user_sgpr_dispatch_id 0
		.amdhsa_user_sgpr_flat_scratch_init 0
		.amdhsa_user_sgpr_kernarg_preload_length 0
		.amdhsa_user_sgpr_kernarg_preload_offset 0
		.amdhsa_user_sgpr_private_segment_size 0
		.amdhsa_uses_dynamic_stack 0
		.amdhsa_system_sgpr_private_segment_wavefront_offset 0
		.amdhsa_system_sgpr_workgroup_id_x 1
		.amdhsa_system_sgpr_workgroup_id_y 0
		.amdhsa_system_sgpr_workgroup_id_z 0
		.amdhsa_system_sgpr_workgroup_info 0
		.amdhsa_system_vgpr_workitem_id 0
		.amdhsa_next_free_vgpr 1
		.amdhsa_next_free_sgpr 0
		.amdhsa_accum_offset 4
		.amdhsa_reserve_vcc 0
		.amdhsa_reserve_flat_scratch 0
		.amdhsa_float_round_mode_32 0
		.amdhsa_float_round_mode_16_64 0
		.amdhsa_float_denorm_mode_32 3
		.amdhsa_float_denorm_mode_16_64 3
		.amdhsa_dx10_clamp 1
		.amdhsa_ieee_mode 1
		.amdhsa_fp16_overflow 0
		.amdhsa_tg_split 0
		.amdhsa_exception_fp_ieee_invalid_op 0
		.amdhsa_exception_fp_denorm_src 0
		.amdhsa_exception_fp_ieee_div_zero 0
		.amdhsa_exception_fp_ieee_overflow 0
		.amdhsa_exception_fp_ieee_underflow 0
		.amdhsa_exception_fp_ieee_inexact 0
		.amdhsa_exception_int_div_zero 0
	.end_amdhsa_kernel
	.section	.text._ZN7rocprim17ROCPRIM_400000_NS6detail17trampoline_kernelINS0_14default_configENS1_25partition_config_selectorILNS1_17partition_subalgoE8ElNS0_10empty_typeEbEEZZNS1_14partition_implILS5_8ELb0ES3_jPlPS6_PKS6_NS0_5tupleIJS9_S6_EEENSD_IJSA_SA_EEENS0_18inequality_wrapperIZN2at6native12_GLOBAL__N_124unique_dim_cuda_templateIiEESt5tupleIJNSH_6TensorESM_SM_EERKSM_lbbbEUlllE0_EEPmJS6_EEE10hipError_tPvRmT3_T4_T5_T6_T7_T9_mT8_P12ihipStream_tbDpT10_ENKUlT_T0_E_clISt17integral_constantIbLb1EES1C_EEDaS17_S18_EUlS17_E_NS1_11comp_targetILNS1_3genE2ELNS1_11target_archE906ELNS1_3gpuE6ELNS1_3repE0EEENS1_30default_config_static_selectorELNS0_4arch9wavefront6targetE1EEEvT1_,"axG",@progbits,_ZN7rocprim17ROCPRIM_400000_NS6detail17trampoline_kernelINS0_14default_configENS1_25partition_config_selectorILNS1_17partition_subalgoE8ElNS0_10empty_typeEbEEZZNS1_14partition_implILS5_8ELb0ES3_jPlPS6_PKS6_NS0_5tupleIJS9_S6_EEENSD_IJSA_SA_EEENS0_18inequality_wrapperIZN2at6native12_GLOBAL__N_124unique_dim_cuda_templateIiEESt5tupleIJNSH_6TensorESM_SM_EERKSM_lbbbEUlllE0_EEPmJS6_EEE10hipError_tPvRmT3_T4_T5_T6_T7_T9_mT8_P12ihipStream_tbDpT10_ENKUlT_T0_E_clISt17integral_constantIbLb1EES1C_EEDaS17_S18_EUlS17_E_NS1_11comp_targetILNS1_3genE2ELNS1_11target_archE906ELNS1_3gpuE6ELNS1_3repE0EEENS1_30default_config_static_selectorELNS0_4arch9wavefront6targetE1EEEvT1_,comdat
.Lfunc_end453:
	.size	_ZN7rocprim17ROCPRIM_400000_NS6detail17trampoline_kernelINS0_14default_configENS1_25partition_config_selectorILNS1_17partition_subalgoE8ElNS0_10empty_typeEbEEZZNS1_14partition_implILS5_8ELb0ES3_jPlPS6_PKS6_NS0_5tupleIJS9_S6_EEENSD_IJSA_SA_EEENS0_18inequality_wrapperIZN2at6native12_GLOBAL__N_124unique_dim_cuda_templateIiEESt5tupleIJNSH_6TensorESM_SM_EERKSM_lbbbEUlllE0_EEPmJS6_EEE10hipError_tPvRmT3_T4_T5_T6_T7_T9_mT8_P12ihipStream_tbDpT10_ENKUlT_T0_E_clISt17integral_constantIbLb1EES1C_EEDaS17_S18_EUlS17_E_NS1_11comp_targetILNS1_3genE2ELNS1_11target_archE906ELNS1_3gpuE6ELNS1_3repE0EEENS1_30default_config_static_selectorELNS0_4arch9wavefront6targetE1EEEvT1_, .Lfunc_end453-_ZN7rocprim17ROCPRIM_400000_NS6detail17trampoline_kernelINS0_14default_configENS1_25partition_config_selectorILNS1_17partition_subalgoE8ElNS0_10empty_typeEbEEZZNS1_14partition_implILS5_8ELb0ES3_jPlPS6_PKS6_NS0_5tupleIJS9_S6_EEENSD_IJSA_SA_EEENS0_18inequality_wrapperIZN2at6native12_GLOBAL__N_124unique_dim_cuda_templateIiEESt5tupleIJNSH_6TensorESM_SM_EERKSM_lbbbEUlllE0_EEPmJS6_EEE10hipError_tPvRmT3_T4_T5_T6_T7_T9_mT8_P12ihipStream_tbDpT10_ENKUlT_T0_E_clISt17integral_constantIbLb1EES1C_EEDaS17_S18_EUlS17_E_NS1_11comp_targetILNS1_3genE2ELNS1_11target_archE906ELNS1_3gpuE6ELNS1_3repE0EEENS1_30default_config_static_selectorELNS0_4arch9wavefront6targetE1EEEvT1_
                                        ; -- End function
	.section	.AMDGPU.csdata,"",@progbits
; Kernel info:
; codeLenInByte = 0
; NumSgprs: 4
; NumVgprs: 0
; NumAgprs: 0
; TotalNumVgprs: 0
; ScratchSize: 0
; MemoryBound: 0
; FloatMode: 240
; IeeeMode: 1
; LDSByteSize: 0 bytes/workgroup (compile time only)
; SGPRBlocks: 0
; VGPRBlocks: 0
; NumSGPRsForWavesPerEU: 4
; NumVGPRsForWavesPerEU: 1
; AccumOffset: 4
; Occupancy: 8
; WaveLimiterHint : 0
; COMPUTE_PGM_RSRC2:SCRATCH_EN: 0
; COMPUTE_PGM_RSRC2:USER_SGPR: 6
; COMPUTE_PGM_RSRC2:TRAP_HANDLER: 0
; COMPUTE_PGM_RSRC2:TGID_X_EN: 1
; COMPUTE_PGM_RSRC2:TGID_Y_EN: 0
; COMPUTE_PGM_RSRC2:TGID_Z_EN: 0
; COMPUTE_PGM_RSRC2:TIDIG_COMP_CNT: 0
; COMPUTE_PGM_RSRC3_GFX90A:ACCUM_OFFSET: 0
; COMPUTE_PGM_RSRC3_GFX90A:TG_SPLIT: 0
	.section	.text._ZN7rocprim17ROCPRIM_400000_NS6detail17trampoline_kernelINS0_14default_configENS1_25partition_config_selectorILNS1_17partition_subalgoE8ElNS0_10empty_typeEbEEZZNS1_14partition_implILS5_8ELb0ES3_jPlPS6_PKS6_NS0_5tupleIJS9_S6_EEENSD_IJSA_SA_EEENS0_18inequality_wrapperIZN2at6native12_GLOBAL__N_124unique_dim_cuda_templateIiEESt5tupleIJNSH_6TensorESM_SM_EERKSM_lbbbEUlllE0_EEPmJS6_EEE10hipError_tPvRmT3_T4_T5_T6_T7_T9_mT8_P12ihipStream_tbDpT10_ENKUlT_T0_E_clISt17integral_constantIbLb1EES1C_EEDaS17_S18_EUlS17_E_NS1_11comp_targetILNS1_3genE10ELNS1_11target_archE1200ELNS1_3gpuE4ELNS1_3repE0EEENS1_30default_config_static_selectorELNS0_4arch9wavefront6targetE1EEEvT1_,"axG",@progbits,_ZN7rocprim17ROCPRIM_400000_NS6detail17trampoline_kernelINS0_14default_configENS1_25partition_config_selectorILNS1_17partition_subalgoE8ElNS0_10empty_typeEbEEZZNS1_14partition_implILS5_8ELb0ES3_jPlPS6_PKS6_NS0_5tupleIJS9_S6_EEENSD_IJSA_SA_EEENS0_18inequality_wrapperIZN2at6native12_GLOBAL__N_124unique_dim_cuda_templateIiEESt5tupleIJNSH_6TensorESM_SM_EERKSM_lbbbEUlllE0_EEPmJS6_EEE10hipError_tPvRmT3_T4_T5_T6_T7_T9_mT8_P12ihipStream_tbDpT10_ENKUlT_T0_E_clISt17integral_constantIbLb1EES1C_EEDaS17_S18_EUlS17_E_NS1_11comp_targetILNS1_3genE10ELNS1_11target_archE1200ELNS1_3gpuE4ELNS1_3repE0EEENS1_30default_config_static_selectorELNS0_4arch9wavefront6targetE1EEEvT1_,comdat
	.globl	_ZN7rocprim17ROCPRIM_400000_NS6detail17trampoline_kernelINS0_14default_configENS1_25partition_config_selectorILNS1_17partition_subalgoE8ElNS0_10empty_typeEbEEZZNS1_14partition_implILS5_8ELb0ES3_jPlPS6_PKS6_NS0_5tupleIJS9_S6_EEENSD_IJSA_SA_EEENS0_18inequality_wrapperIZN2at6native12_GLOBAL__N_124unique_dim_cuda_templateIiEESt5tupleIJNSH_6TensorESM_SM_EERKSM_lbbbEUlllE0_EEPmJS6_EEE10hipError_tPvRmT3_T4_T5_T6_T7_T9_mT8_P12ihipStream_tbDpT10_ENKUlT_T0_E_clISt17integral_constantIbLb1EES1C_EEDaS17_S18_EUlS17_E_NS1_11comp_targetILNS1_3genE10ELNS1_11target_archE1200ELNS1_3gpuE4ELNS1_3repE0EEENS1_30default_config_static_selectorELNS0_4arch9wavefront6targetE1EEEvT1_ ; -- Begin function _ZN7rocprim17ROCPRIM_400000_NS6detail17trampoline_kernelINS0_14default_configENS1_25partition_config_selectorILNS1_17partition_subalgoE8ElNS0_10empty_typeEbEEZZNS1_14partition_implILS5_8ELb0ES3_jPlPS6_PKS6_NS0_5tupleIJS9_S6_EEENSD_IJSA_SA_EEENS0_18inequality_wrapperIZN2at6native12_GLOBAL__N_124unique_dim_cuda_templateIiEESt5tupleIJNSH_6TensorESM_SM_EERKSM_lbbbEUlllE0_EEPmJS6_EEE10hipError_tPvRmT3_T4_T5_T6_T7_T9_mT8_P12ihipStream_tbDpT10_ENKUlT_T0_E_clISt17integral_constantIbLb1EES1C_EEDaS17_S18_EUlS17_E_NS1_11comp_targetILNS1_3genE10ELNS1_11target_archE1200ELNS1_3gpuE4ELNS1_3repE0EEENS1_30default_config_static_selectorELNS0_4arch9wavefront6targetE1EEEvT1_
	.p2align	8
	.type	_ZN7rocprim17ROCPRIM_400000_NS6detail17trampoline_kernelINS0_14default_configENS1_25partition_config_selectorILNS1_17partition_subalgoE8ElNS0_10empty_typeEbEEZZNS1_14partition_implILS5_8ELb0ES3_jPlPS6_PKS6_NS0_5tupleIJS9_S6_EEENSD_IJSA_SA_EEENS0_18inequality_wrapperIZN2at6native12_GLOBAL__N_124unique_dim_cuda_templateIiEESt5tupleIJNSH_6TensorESM_SM_EERKSM_lbbbEUlllE0_EEPmJS6_EEE10hipError_tPvRmT3_T4_T5_T6_T7_T9_mT8_P12ihipStream_tbDpT10_ENKUlT_T0_E_clISt17integral_constantIbLb1EES1C_EEDaS17_S18_EUlS17_E_NS1_11comp_targetILNS1_3genE10ELNS1_11target_archE1200ELNS1_3gpuE4ELNS1_3repE0EEENS1_30default_config_static_selectorELNS0_4arch9wavefront6targetE1EEEvT1_,@function
_ZN7rocprim17ROCPRIM_400000_NS6detail17trampoline_kernelINS0_14default_configENS1_25partition_config_selectorILNS1_17partition_subalgoE8ElNS0_10empty_typeEbEEZZNS1_14partition_implILS5_8ELb0ES3_jPlPS6_PKS6_NS0_5tupleIJS9_S6_EEENSD_IJSA_SA_EEENS0_18inequality_wrapperIZN2at6native12_GLOBAL__N_124unique_dim_cuda_templateIiEESt5tupleIJNSH_6TensorESM_SM_EERKSM_lbbbEUlllE0_EEPmJS6_EEE10hipError_tPvRmT3_T4_T5_T6_T7_T9_mT8_P12ihipStream_tbDpT10_ENKUlT_T0_E_clISt17integral_constantIbLb1EES1C_EEDaS17_S18_EUlS17_E_NS1_11comp_targetILNS1_3genE10ELNS1_11target_archE1200ELNS1_3gpuE4ELNS1_3repE0EEENS1_30default_config_static_selectorELNS0_4arch9wavefront6targetE1EEEvT1_: ; @_ZN7rocprim17ROCPRIM_400000_NS6detail17trampoline_kernelINS0_14default_configENS1_25partition_config_selectorILNS1_17partition_subalgoE8ElNS0_10empty_typeEbEEZZNS1_14partition_implILS5_8ELb0ES3_jPlPS6_PKS6_NS0_5tupleIJS9_S6_EEENSD_IJSA_SA_EEENS0_18inequality_wrapperIZN2at6native12_GLOBAL__N_124unique_dim_cuda_templateIiEESt5tupleIJNSH_6TensorESM_SM_EERKSM_lbbbEUlllE0_EEPmJS6_EEE10hipError_tPvRmT3_T4_T5_T6_T7_T9_mT8_P12ihipStream_tbDpT10_ENKUlT_T0_E_clISt17integral_constantIbLb1EES1C_EEDaS17_S18_EUlS17_E_NS1_11comp_targetILNS1_3genE10ELNS1_11target_archE1200ELNS1_3gpuE4ELNS1_3repE0EEENS1_30default_config_static_selectorELNS0_4arch9wavefront6targetE1EEEvT1_
; %bb.0:
	.section	.rodata,"a",@progbits
	.p2align	6, 0x0
	.amdhsa_kernel _ZN7rocprim17ROCPRIM_400000_NS6detail17trampoline_kernelINS0_14default_configENS1_25partition_config_selectorILNS1_17partition_subalgoE8ElNS0_10empty_typeEbEEZZNS1_14partition_implILS5_8ELb0ES3_jPlPS6_PKS6_NS0_5tupleIJS9_S6_EEENSD_IJSA_SA_EEENS0_18inequality_wrapperIZN2at6native12_GLOBAL__N_124unique_dim_cuda_templateIiEESt5tupleIJNSH_6TensorESM_SM_EERKSM_lbbbEUlllE0_EEPmJS6_EEE10hipError_tPvRmT3_T4_T5_T6_T7_T9_mT8_P12ihipStream_tbDpT10_ENKUlT_T0_E_clISt17integral_constantIbLb1EES1C_EEDaS17_S18_EUlS17_E_NS1_11comp_targetILNS1_3genE10ELNS1_11target_archE1200ELNS1_3gpuE4ELNS1_3repE0EEENS1_30default_config_static_selectorELNS0_4arch9wavefront6targetE1EEEvT1_
		.amdhsa_group_segment_fixed_size 0
		.amdhsa_private_segment_fixed_size 0
		.amdhsa_kernarg_size 136
		.amdhsa_user_sgpr_count 6
		.amdhsa_user_sgpr_private_segment_buffer 1
		.amdhsa_user_sgpr_dispatch_ptr 0
		.amdhsa_user_sgpr_queue_ptr 0
		.amdhsa_user_sgpr_kernarg_segment_ptr 1
		.amdhsa_user_sgpr_dispatch_id 0
		.amdhsa_user_sgpr_flat_scratch_init 0
		.amdhsa_user_sgpr_kernarg_preload_length 0
		.amdhsa_user_sgpr_kernarg_preload_offset 0
		.amdhsa_user_sgpr_private_segment_size 0
		.amdhsa_uses_dynamic_stack 0
		.amdhsa_system_sgpr_private_segment_wavefront_offset 0
		.amdhsa_system_sgpr_workgroup_id_x 1
		.amdhsa_system_sgpr_workgroup_id_y 0
		.amdhsa_system_sgpr_workgroup_id_z 0
		.amdhsa_system_sgpr_workgroup_info 0
		.amdhsa_system_vgpr_workitem_id 0
		.amdhsa_next_free_vgpr 1
		.amdhsa_next_free_sgpr 0
		.amdhsa_accum_offset 4
		.amdhsa_reserve_vcc 0
		.amdhsa_reserve_flat_scratch 0
		.amdhsa_float_round_mode_32 0
		.amdhsa_float_round_mode_16_64 0
		.amdhsa_float_denorm_mode_32 3
		.amdhsa_float_denorm_mode_16_64 3
		.amdhsa_dx10_clamp 1
		.amdhsa_ieee_mode 1
		.amdhsa_fp16_overflow 0
		.amdhsa_tg_split 0
		.amdhsa_exception_fp_ieee_invalid_op 0
		.amdhsa_exception_fp_denorm_src 0
		.amdhsa_exception_fp_ieee_div_zero 0
		.amdhsa_exception_fp_ieee_overflow 0
		.amdhsa_exception_fp_ieee_underflow 0
		.amdhsa_exception_fp_ieee_inexact 0
		.amdhsa_exception_int_div_zero 0
	.end_amdhsa_kernel
	.section	.text._ZN7rocprim17ROCPRIM_400000_NS6detail17trampoline_kernelINS0_14default_configENS1_25partition_config_selectorILNS1_17partition_subalgoE8ElNS0_10empty_typeEbEEZZNS1_14partition_implILS5_8ELb0ES3_jPlPS6_PKS6_NS0_5tupleIJS9_S6_EEENSD_IJSA_SA_EEENS0_18inequality_wrapperIZN2at6native12_GLOBAL__N_124unique_dim_cuda_templateIiEESt5tupleIJNSH_6TensorESM_SM_EERKSM_lbbbEUlllE0_EEPmJS6_EEE10hipError_tPvRmT3_T4_T5_T6_T7_T9_mT8_P12ihipStream_tbDpT10_ENKUlT_T0_E_clISt17integral_constantIbLb1EES1C_EEDaS17_S18_EUlS17_E_NS1_11comp_targetILNS1_3genE10ELNS1_11target_archE1200ELNS1_3gpuE4ELNS1_3repE0EEENS1_30default_config_static_selectorELNS0_4arch9wavefront6targetE1EEEvT1_,"axG",@progbits,_ZN7rocprim17ROCPRIM_400000_NS6detail17trampoline_kernelINS0_14default_configENS1_25partition_config_selectorILNS1_17partition_subalgoE8ElNS0_10empty_typeEbEEZZNS1_14partition_implILS5_8ELb0ES3_jPlPS6_PKS6_NS0_5tupleIJS9_S6_EEENSD_IJSA_SA_EEENS0_18inequality_wrapperIZN2at6native12_GLOBAL__N_124unique_dim_cuda_templateIiEESt5tupleIJNSH_6TensorESM_SM_EERKSM_lbbbEUlllE0_EEPmJS6_EEE10hipError_tPvRmT3_T4_T5_T6_T7_T9_mT8_P12ihipStream_tbDpT10_ENKUlT_T0_E_clISt17integral_constantIbLb1EES1C_EEDaS17_S18_EUlS17_E_NS1_11comp_targetILNS1_3genE10ELNS1_11target_archE1200ELNS1_3gpuE4ELNS1_3repE0EEENS1_30default_config_static_selectorELNS0_4arch9wavefront6targetE1EEEvT1_,comdat
.Lfunc_end454:
	.size	_ZN7rocprim17ROCPRIM_400000_NS6detail17trampoline_kernelINS0_14default_configENS1_25partition_config_selectorILNS1_17partition_subalgoE8ElNS0_10empty_typeEbEEZZNS1_14partition_implILS5_8ELb0ES3_jPlPS6_PKS6_NS0_5tupleIJS9_S6_EEENSD_IJSA_SA_EEENS0_18inequality_wrapperIZN2at6native12_GLOBAL__N_124unique_dim_cuda_templateIiEESt5tupleIJNSH_6TensorESM_SM_EERKSM_lbbbEUlllE0_EEPmJS6_EEE10hipError_tPvRmT3_T4_T5_T6_T7_T9_mT8_P12ihipStream_tbDpT10_ENKUlT_T0_E_clISt17integral_constantIbLb1EES1C_EEDaS17_S18_EUlS17_E_NS1_11comp_targetILNS1_3genE10ELNS1_11target_archE1200ELNS1_3gpuE4ELNS1_3repE0EEENS1_30default_config_static_selectorELNS0_4arch9wavefront6targetE1EEEvT1_, .Lfunc_end454-_ZN7rocprim17ROCPRIM_400000_NS6detail17trampoline_kernelINS0_14default_configENS1_25partition_config_selectorILNS1_17partition_subalgoE8ElNS0_10empty_typeEbEEZZNS1_14partition_implILS5_8ELb0ES3_jPlPS6_PKS6_NS0_5tupleIJS9_S6_EEENSD_IJSA_SA_EEENS0_18inequality_wrapperIZN2at6native12_GLOBAL__N_124unique_dim_cuda_templateIiEESt5tupleIJNSH_6TensorESM_SM_EERKSM_lbbbEUlllE0_EEPmJS6_EEE10hipError_tPvRmT3_T4_T5_T6_T7_T9_mT8_P12ihipStream_tbDpT10_ENKUlT_T0_E_clISt17integral_constantIbLb1EES1C_EEDaS17_S18_EUlS17_E_NS1_11comp_targetILNS1_3genE10ELNS1_11target_archE1200ELNS1_3gpuE4ELNS1_3repE0EEENS1_30default_config_static_selectorELNS0_4arch9wavefront6targetE1EEEvT1_
                                        ; -- End function
	.section	.AMDGPU.csdata,"",@progbits
; Kernel info:
; codeLenInByte = 0
; NumSgprs: 4
; NumVgprs: 0
; NumAgprs: 0
; TotalNumVgprs: 0
; ScratchSize: 0
; MemoryBound: 0
; FloatMode: 240
; IeeeMode: 1
; LDSByteSize: 0 bytes/workgroup (compile time only)
; SGPRBlocks: 0
; VGPRBlocks: 0
; NumSGPRsForWavesPerEU: 4
; NumVGPRsForWavesPerEU: 1
; AccumOffset: 4
; Occupancy: 8
; WaveLimiterHint : 0
; COMPUTE_PGM_RSRC2:SCRATCH_EN: 0
; COMPUTE_PGM_RSRC2:USER_SGPR: 6
; COMPUTE_PGM_RSRC2:TRAP_HANDLER: 0
; COMPUTE_PGM_RSRC2:TGID_X_EN: 1
; COMPUTE_PGM_RSRC2:TGID_Y_EN: 0
; COMPUTE_PGM_RSRC2:TGID_Z_EN: 0
; COMPUTE_PGM_RSRC2:TIDIG_COMP_CNT: 0
; COMPUTE_PGM_RSRC3_GFX90A:ACCUM_OFFSET: 0
; COMPUTE_PGM_RSRC3_GFX90A:TG_SPLIT: 0
	.section	.text._ZN7rocprim17ROCPRIM_400000_NS6detail17trampoline_kernelINS0_14default_configENS1_25partition_config_selectorILNS1_17partition_subalgoE8ElNS0_10empty_typeEbEEZZNS1_14partition_implILS5_8ELb0ES3_jPlPS6_PKS6_NS0_5tupleIJS9_S6_EEENSD_IJSA_SA_EEENS0_18inequality_wrapperIZN2at6native12_GLOBAL__N_124unique_dim_cuda_templateIiEESt5tupleIJNSH_6TensorESM_SM_EERKSM_lbbbEUlllE0_EEPmJS6_EEE10hipError_tPvRmT3_T4_T5_T6_T7_T9_mT8_P12ihipStream_tbDpT10_ENKUlT_T0_E_clISt17integral_constantIbLb1EES1C_EEDaS17_S18_EUlS17_E_NS1_11comp_targetILNS1_3genE9ELNS1_11target_archE1100ELNS1_3gpuE3ELNS1_3repE0EEENS1_30default_config_static_selectorELNS0_4arch9wavefront6targetE1EEEvT1_,"axG",@progbits,_ZN7rocprim17ROCPRIM_400000_NS6detail17trampoline_kernelINS0_14default_configENS1_25partition_config_selectorILNS1_17partition_subalgoE8ElNS0_10empty_typeEbEEZZNS1_14partition_implILS5_8ELb0ES3_jPlPS6_PKS6_NS0_5tupleIJS9_S6_EEENSD_IJSA_SA_EEENS0_18inequality_wrapperIZN2at6native12_GLOBAL__N_124unique_dim_cuda_templateIiEESt5tupleIJNSH_6TensorESM_SM_EERKSM_lbbbEUlllE0_EEPmJS6_EEE10hipError_tPvRmT3_T4_T5_T6_T7_T9_mT8_P12ihipStream_tbDpT10_ENKUlT_T0_E_clISt17integral_constantIbLb1EES1C_EEDaS17_S18_EUlS17_E_NS1_11comp_targetILNS1_3genE9ELNS1_11target_archE1100ELNS1_3gpuE3ELNS1_3repE0EEENS1_30default_config_static_selectorELNS0_4arch9wavefront6targetE1EEEvT1_,comdat
	.globl	_ZN7rocprim17ROCPRIM_400000_NS6detail17trampoline_kernelINS0_14default_configENS1_25partition_config_selectorILNS1_17partition_subalgoE8ElNS0_10empty_typeEbEEZZNS1_14partition_implILS5_8ELb0ES3_jPlPS6_PKS6_NS0_5tupleIJS9_S6_EEENSD_IJSA_SA_EEENS0_18inequality_wrapperIZN2at6native12_GLOBAL__N_124unique_dim_cuda_templateIiEESt5tupleIJNSH_6TensorESM_SM_EERKSM_lbbbEUlllE0_EEPmJS6_EEE10hipError_tPvRmT3_T4_T5_T6_T7_T9_mT8_P12ihipStream_tbDpT10_ENKUlT_T0_E_clISt17integral_constantIbLb1EES1C_EEDaS17_S18_EUlS17_E_NS1_11comp_targetILNS1_3genE9ELNS1_11target_archE1100ELNS1_3gpuE3ELNS1_3repE0EEENS1_30default_config_static_selectorELNS0_4arch9wavefront6targetE1EEEvT1_ ; -- Begin function _ZN7rocprim17ROCPRIM_400000_NS6detail17trampoline_kernelINS0_14default_configENS1_25partition_config_selectorILNS1_17partition_subalgoE8ElNS0_10empty_typeEbEEZZNS1_14partition_implILS5_8ELb0ES3_jPlPS6_PKS6_NS0_5tupleIJS9_S6_EEENSD_IJSA_SA_EEENS0_18inequality_wrapperIZN2at6native12_GLOBAL__N_124unique_dim_cuda_templateIiEESt5tupleIJNSH_6TensorESM_SM_EERKSM_lbbbEUlllE0_EEPmJS6_EEE10hipError_tPvRmT3_T4_T5_T6_T7_T9_mT8_P12ihipStream_tbDpT10_ENKUlT_T0_E_clISt17integral_constantIbLb1EES1C_EEDaS17_S18_EUlS17_E_NS1_11comp_targetILNS1_3genE9ELNS1_11target_archE1100ELNS1_3gpuE3ELNS1_3repE0EEENS1_30default_config_static_selectorELNS0_4arch9wavefront6targetE1EEEvT1_
	.p2align	8
	.type	_ZN7rocprim17ROCPRIM_400000_NS6detail17trampoline_kernelINS0_14default_configENS1_25partition_config_selectorILNS1_17partition_subalgoE8ElNS0_10empty_typeEbEEZZNS1_14partition_implILS5_8ELb0ES3_jPlPS6_PKS6_NS0_5tupleIJS9_S6_EEENSD_IJSA_SA_EEENS0_18inequality_wrapperIZN2at6native12_GLOBAL__N_124unique_dim_cuda_templateIiEESt5tupleIJNSH_6TensorESM_SM_EERKSM_lbbbEUlllE0_EEPmJS6_EEE10hipError_tPvRmT3_T4_T5_T6_T7_T9_mT8_P12ihipStream_tbDpT10_ENKUlT_T0_E_clISt17integral_constantIbLb1EES1C_EEDaS17_S18_EUlS17_E_NS1_11comp_targetILNS1_3genE9ELNS1_11target_archE1100ELNS1_3gpuE3ELNS1_3repE0EEENS1_30default_config_static_selectorELNS0_4arch9wavefront6targetE1EEEvT1_,@function
_ZN7rocprim17ROCPRIM_400000_NS6detail17trampoline_kernelINS0_14default_configENS1_25partition_config_selectorILNS1_17partition_subalgoE8ElNS0_10empty_typeEbEEZZNS1_14partition_implILS5_8ELb0ES3_jPlPS6_PKS6_NS0_5tupleIJS9_S6_EEENSD_IJSA_SA_EEENS0_18inequality_wrapperIZN2at6native12_GLOBAL__N_124unique_dim_cuda_templateIiEESt5tupleIJNSH_6TensorESM_SM_EERKSM_lbbbEUlllE0_EEPmJS6_EEE10hipError_tPvRmT3_T4_T5_T6_T7_T9_mT8_P12ihipStream_tbDpT10_ENKUlT_T0_E_clISt17integral_constantIbLb1EES1C_EEDaS17_S18_EUlS17_E_NS1_11comp_targetILNS1_3genE9ELNS1_11target_archE1100ELNS1_3gpuE3ELNS1_3repE0EEENS1_30default_config_static_selectorELNS0_4arch9wavefront6targetE1EEEvT1_: ; @_ZN7rocprim17ROCPRIM_400000_NS6detail17trampoline_kernelINS0_14default_configENS1_25partition_config_selectorILNS1_17partition_subalgoE8ElNS0_10empty_typeEbEEZZNS1_14partition_implILS5_8ELb0ES3_jPlPS6_PKS6_NS0_5tupleIJS9_S6_EEENSD_IJSA_SA_EEENS0_18inequality_wrapperIZN2at6native12_GLOBAL__N_124unique_dim_cuda_templateIiEESt5tupleIJNSH_6TensorESM_SM_EERKSM_lbbbEUlllE0_EEPmJS6_EEE10hipError_tPvRmT3_T4_T5_T6_T7_T9_mT8_P12ihipStream_tbDpT10_ENKUlT_T0_E_clISt17integral_constantIbLb1EES1C_EEDaS17_S18_EUlS17_E_NS1_11comp_targetILNS1_3genE9ELNS1_11target_archE1100ELNS1_3gpuE3ELNS1_3repE0EEENS1_30default_config_static_selectorELNS0_4arch9wavefront6targetE1EEEvT1_
; %bb.0:
	.section	.rodata,"a",@progbits
	.p2align	6, 0x0
	.amdhsa_kernel _ZN7rocprim17ROCPRIM_400000_NS6detail17trampoline_kernelINS0_14default_configENS1_25partition_config_selectorILNS1_17partition_subalgoE8ElNS0_10empty_typeEbEEZZNS1_14partition_implILS5_8ELb0ES3_jPlPS6_PKS6_NS0_5tupleIJS9_S6_EEENSD_IJSA_SA_EEENS0_18inequality_wrapperIZN2at6native12_GLOBAL__N_124unique_dim_cuda_templateIiEESt5tupleIJNSH_6TensorESM_SM_EERKSM_lbbbEUlllE0_EEPmJS6_EEE10hipError_tPvRmT3_T4_T5_T6_T7_T9_mT8_P12ihipStream_tbDpT10_ENKUlT_T0_E_clISt17integral_constantIbLb1EES1C_EEDaS17_S18_EUlS17_E_NS1_11comp_targetILNS1_3genE9ELNS1_11target_archE1100ELNS1_3gpuE3ELNS1_3repE0EEENS1_30default_config_static_selectorELNS0_4arch9wavefront6targetE1EEEvT1_
		.amdhsa_group_segment_fixed_size 0
		.amdhsa_private_segment_fixed_size 0
		.amdhsa_kernarg_size 136
		.amdhsa_user_sgpr_count 6
		.amdhsa_user_sgpr_private_segment_buffer 1
		.amdhsa_user_sgpr_dispatch_ptr 0
		.amdhsa_user_sgpr_queue_ptr 0
		.amdhsa_user_sgpr_kernarg_segment_ptr 1
		.amdhsa_user_sgpr_dispatch_id 0
		.amdhsa_user_sgpr_flat_scratch_init 0
		.amdhsa_user_sgpr_kernarg_preload_length 0
		.amdhsa_user_sgpr_kernarg_preload_offset 0
		.amdhsa_user_sgpr_private_segment_size 0
		.amdhsa_uses_dynamic_stack 0
		.amdhsa_system_sgpr_private_segment_wavefront_offset 0
		.amdhsa_system_sgpr_workgroup_id_x 1
		.amdhsa_system_sgpr_workgroup_id_y 0
		.amdhsa_system_sgpr_workgroup_id_z 0
		.amdhsa_system_sgpr_workgroup_info 0
		.amdhsa_system_vgpr_workitem_id 0
		.amdhsa_next_free_vgpr 1
		.amdhsa_next_free_sgpr 0
		.amdhsa_accum_offset 4
		.amdhsa_reserve_vcc 0
		.amdhsa_reserve_flat_scratch 0
		.amdhsa_float_round_mode_32 0
		.amdhsa_float_round_mode_16_64 0
		.amdhsa_float_denorm_mode_32 3
		.amdhsa_float_denorm_mode_16_64 3
		.amdhsa_dx10_clamp 1
		.amdhsa_ieee_mode 1
		.amdhsa_fp16_overflow 0
		.amdhsa_tg_split 0
		.amdhsa_exception_fp_ieee_invalid_op 0
		.amdhsa_exception_fp_denorm_src 0
		.amdhsa_exception_fp_ieee_div_zero 0
		.amdhsa_exception_fp_ieee_overflow 0
		.amdhsa_exception_fp_ieee_underflow 0
		.amdhsa_exception_fp_ieee_inexact 0
		.amdhsa_exception_int_div_zero 0
	.end_amdhsa_kernel
	.section	.text._ZN7rocprim17ROCPRIM_400000_NS6detail17trampoline_kernelINS0_14default_configENS1_25partition_config_selectorILNS1_17partition_subalgoE8ElNS0_10empty_typeEbEEZZNS1_14partition_implILS5_8ELb0ES3_jPlPS6_PKS6_NS0_5tupleIJS9_S6_EEENSD_IJSA_SA_EEENS0_18inequality_wrapperIZN2at6native12_GLOBAL__N_124unique_dim_cuda_templateIiEESt5tupleIJNSH_6TensorESM_SM_EERKSM_lbbbEUlllE0_EEPmJS6_EEE10hipError_tPvRmT3_T4_T5_T6_T7_T9_mT8_P12ihipStream_tbDpT10_ENKUlT_T0_E_clISt17integral_constantIbLb1EES1C_EEDaS17_S18_EUlS17_E_NS1_11comp_targetILNS1_3genE9ELNS1_11target_archE1100ELNS1_3gpuE3ELNS1_3repE0EEENS1_30default_config_static_selectorELNS0_4arch9wavefront6targetE1EEEvT1_,"axG",@progbits,_ZN7rocprim17ROCPRIM_400000_NS6detail17trampoline_kernelINS0_14default_configENS1_25partition_config_selectorILNS1_17partition_subalgoE8ElNS0_10empty_typeEbEEZZNS1_14partition_implILS5_8ELb0ES3_jPlPS6_PKS6_NS0_5tupleIJS9_S6_EEENSD_IJSA_SA_EEENS0_18inequality_wrapperIZN2at6native12_GLOBAL__N_124unique_dim_cuda_templateIiEESt5tupleIJNSH_6TensorESM_SM_EERKSM_lbbbEUlllE0_EEPmJS6_EEE10hipError_tPvRmT3_T4_T5_T6_T7_T9_mT8_P12ihipStream_tbDpT10_ENKUlT_T0_E_clISt17integral_constantIbLb1EES1C_EEDaS17_S18_EUlS17_E_NS1_11comp_targetILNS1_3genE9ELNS1_11target_archE1100ELNS1_3gpuE3ELNS1_3repE0EEENS1_30default_config_static_selectorELNS0_4arch9wavefront6targetE1EEEvT1_,comdat
.Lfunc_end455:
	.size	_ZN7rocprim17ROCPRIM_400000_NS6detail17trampoline_kernelINS0_14default_configENS1_25partition_config_selectorILNS1_17partition_subalgoE8ElNS0_10empty_typeEbEEZZNS1_14partition_implILS5_8ELb0ES3_jPlPS6_PKS6_NS0_5tupleIJS9_S6_EEENSD_IJSA_SA_EEENS0_18inequality_wrapperIZN2at6native12_GLOBAL__N_124unique_dim_cuda_templateIiEESt5tupleIJNSH_6TensorESM_SM_EERKSM_lbbbEUlllE0_EEPmJS6_EEE10hipError_tPvRmT3_T4_T5_T6_T7_T9_mT8_P12ihipStream_tbDpT10_ENKUlT_T0_E_clISt17integral_constantIbLb1EES1C_EEDaS17_S18_EUlS17_E_NS1_11comp_targetILNS1_3genE9ELNS1_11target_archE1100ELNS1_3gpuE3ELNS1_3repE0EEENS1_30default_config_static_selectorELNS0_4arch9wavefront6targetE1EEEvT1_, .Lfunc_end455-_ZN7rocprim17ROCPRIM_400000_NS6detail17trampoline_kernelINS0_14default_configENS1_25partition_config_selectorILNS1_17partition_subalgoE8ElNS0_10empty_typeEbEEZZNS1_14partition_implILS5_8ELb0ES3_jPlPS6_PKS6_NS0_5tupleIJS9_S6_EEENSD_IJSA_SA_EEENS0_18inequality_wrapperIZN2at6native12_GLOBAL__N_124unique_dim_cuda_templateIiEESt5tupleIJNSH_6TensorESM_SM_EERKSM_lbbbEUlllE0_EEPmJS6_EEE10hipError_tPvRmT3_T4_T5_T6_T7_T9_mT8_P12ihipStream_tbDpT10_ENKUlT_T0_E_clISt17integral_constantIbLb1EES1C_EEDaS17_S18_EUlS17_E_NS1_11comp_targetILNS1_3genE9ELNS1_11target_archE1100ELNS1_3gpuE3ELNS1_3repE0EEENS1_30default_config_static_selectorELNS0_4arch9wavefront6targetE1EEEvT1_
                                        ; -- End function
	.section	.AMDGPU.csdata,"",@progbits
; Kernel info:
; codeLenInByte = 0
; NumSgprs: 4
; NumVgprs: 0
; NumAgprs: 0
; TotalNumVgprs: 0
; ScratchSize: 0
; MemoryBound: 0
; FloatMode: 240
; IeeeMode: 1
; LDSByteSize: 0 bytes/workgroup (compile time only)
; SGPRBlocks: 0
; VGPRBlocks: 0
; NumSGPRsForWavesPerEU: 4
; NumVGPRsForWavesPerEU: 1
; AccumOffset: 4
; Occupancy: 8
; WaveLimiterHint : 0
; COMPUTE_PGM_RSRC2:SCRATCH_EN: 0
; COMPUTE_PGM_RSRC2:USER_SGPR: 6
; COMPUTE_PGM_RSRC2:TRAP_HANDLER: 0
; COMPUTE_PGM_RSRC2:TGID_X_EN: 1
; COMPUTE_PGM_RSRC2:TGID_Y_EN: 0
; COMPUTE_PGM_RSRC2:TGID_Z_EN: 0
; COMPUTE_PGM_RSRC2:TIDIG_COMP_CNT: 0
; COMPUTE_PGM_RSRC3_GFX90A:ACCUM_OFFSET: 0
; COMPUTE_PGM_RSRC3_GFX90A:TG_SPLIT: 0
	.section	.text._ZN7rocprim17ROCPRIM_400000_NS6detail17trampoline_kernelINS0_14default_configENS1_25partition_config_selectorILNS1_17partition_subalgoE8ElNS0_10empty_typeEbEEZZNS1_14partition_implILS5_8ELb0ES3_jPlPS6_PKS6_NS0_5tupleIJS9_S6_EEENSD_IJSA_SA_EEENS0_18inequality_wrapperIZN2at6native12_GLOBAL__N_124unique_dim_cuda_templateIiEESt5tupleIJNSH_6TensorESM_SM_EERKSM_lbbbEUlllE0_EEPmJS6_EEE10hipError_tPvRmT3_T4_T5_T6_T7_T9_mT8_P12ihipStream_tbDpT10_ENKUlT_T0_E_clISt17integral_constantIbLb1EES1C_EEDaS17_S18_EUlS17_E_NS1_11comp_targetILNS1_3genE8ELNS1_11target_archE1030ELNS1_3gpuE2ELNS1_3repE0EEENS1_30default_config_static_selectorELNS0_4arch9wavefront6targetE1EEEvT1_,"axG",@progbits,_ZN7rocprim17ROCPRIM_400000_NS6detail17trampoline_kernelINS0_14default_configENS1_25partition_config_selectorILNS1_17partition_subalgoE8ElNS0_10empty_typeEbEEZZNS1_14partition_implILS5_8ELb0ES3_jPlPS6_PKS6_NS0_5tupleIJS9_S6_EEENSD_IJSA_SA_EEENS0_18inequality_wrapperIZN2at6native12_GLOBAL__N_124unique_dim_cuda_templateIiEESt5tupleIJNSH_6TensorESM_SM_EERKSM_lbbbEUlllE0_EEPmJS6_EEE10hipError_tPvRmT3_T4_T5_T6_T7_T9_mT8_P12ihipStream_tbDpT10_ENKUlT_T0_E_clISt17integral_constantIbLb1EES1C_EEDaS17_S18_EUlS17_E_NS1_11comp_targetILNS1_3genE8ELNS1_11target_archE1030ELNS1_3gpuE2ELNS1_3repE0EEENS1_30default_config_static_selectorELNS0_4arch9wavefront6targetE1EEEvT1_,comdat
	.globl	_ZN7rocprim17ROCPRIM_400000_NS6detail17trampoline_kernelINS0_14default_configENS1_25partition_config_selectorILNS1_17partition_subalgoE8ElNS0_10empty_typeEbEEZZNS1_14partition_implILS5_8ELb0ES3_jPlPS6_PKS6_NS0_5tupleIJS9_S6_EEENSD_IJSA_SA_EEENS0_18inequality_wrapperIZN2at6native12_GLOBAL__N_124unique_dim_cuda_templateIiEESt5tupleIJNSH_6TensorESM_SM_EERKSM_lbbbEUlllE0_EEPmJS6_EEE10hipError_tPvRmT3_T4_T5_T6_T7_T9_mT8_P12ihipStream_tbDpT10_ENKUlT_T0_E_clISt17integral_constantIbLb1EES1C_EEDaS17_S18_EUlS17_E_NS1_11comp_targetILNS1_3genE8ELNS1_11target_archE1030ELNS1_3gpuE2ELNS1_3repE0EEENS1_30default_config_static_selectorELNS0_4arch9wavefront6targetE1EEEvT1_ ; -- Begin function _ZN7rocprim17ROCPRIM_400000_NS6detail17trampoline_kernelINS0_14default_configENS1_25partition_config_selectorILNS1_17partition_subalgoE8ElNS0_10empty_typeEbEEZZNS1_14partition_implILS5_8ELb0ES3_jPlPS6_PKS6_NS0_5tupleIJS9_S6_EEENSD_IJSA_SA_EEENS0_18inequality_wrapperIZN2at6native12_GLOBAL__N_124unique_dim_cuda_templateIiEESt5tupleIJNSH_6TensorESM_SM_EERKSM_lbbbEUlllE0_EEPmJS6_EEE10hipError_tPvRmT3_T4_T5_T6_T7_T9_mT8_P12ihipStream_tbDpT10_ENKUlT_T0_E_clISt17integral_constantIbLb1EES1C_EEDaS17_S18_EUlS17_E_NS1_11comp_targetILNS1_3genE8ELNS1_11target_archE1030ELNS1_3gpuE2ELNS1_3repE0EEENS1_30default_config_static_selectorELNS0_4arch9wavefront6targetE1EEEvT1_
	.p2align	8
	.type	_ZN7rocprim17ROCPRIM_400000_NS6detail17trampoline_kernelINS0_14default_configENS1_25partition_config_selectorILNS1_17partition_subalgoE8ElNS0_10empty_typeEbEEZZNS1_14partition_implILS5_8ELb0ES3_jPlPS6_PKS6_NS0_5tupleIJS9_S6_EEENSD_IJSA_SA_EEENS0_18inequality_wrapperIZN2at6native12_GLOBAL__N_124unique_dim_cuda_templateIiEESt5tupleIJNSH_6TensorESM_SM_EERKSM_lbbbEUlllE0_EEPmJS6_EEE10hipError_tPvRmT3_T4_T5_T6_T7_T9_mT8_P12ihipStream_tbDpT10_ENKUlT_T0_E_clISt17integral_constantIbLb1EES1C_EEDaS17_S18_EUlS17_E_NS1_11comp_targetILNS1_3genE8ELNS1_11target_archE1030ELNS1_3gpuE2ELNS1_3repE0EEENS1_30default_config_static_selectorELNS0_4arch9wavefront6targetE1EEEvT1_,@function
_ZN7rocprim17ROCPRIM_400000_NS6detail17trampoline_kernelINS0_14default_configENS1_25partition_config_selectorILNS1_17partition_subalgoE8ElNS0_10empty_typeEbEEZZNS1_14partition_implILS5_8ELb0ES3_jPlPS6_PKS6_NS0_5tupleIJS9_S6_EEENSD_IJSA_SA_EEENS0_18inequality_wrapperIZN2at6native12_GLOBAL__N_124unique_dim_cuda_templateIiEESt5tupleIJNSH_6TensorESM_SM_EERKSM_lbbbEUlllE0_EEPmJS6_EEE10hipError_tPvRmT3_T4_T5_T6_T7_T9_mT8_P12ihipStream_tbDpT10_ENKUlT_T0_E_clISt17integral_constantIbLb1EES1C_EEDaS17_S18_EUlS17_E_NS1_11comp_targetILNS1_3genE8ELNS1_11target_archE1030ELNS1_3gpuE2ELNS1_3repE0EEENS1_30default_config_static_selectorELNS0_4arch9wavefront6targetE1EEEvT1_: ; @_ZN7rocprim17ROCPRIM_400000_NS6detail17trampoline_kernelINS0_14default_configENS1_25partition_config_selectorILNS1_17partition_subalgoE8ElNS0_10empty_typeEbEEZZNS1_14partition_implILS5_8ELb0ES3_jPlPS6_PKS6_NS0_5tupleIJS9_S6_EEENSD_IJSA_SA_EEENS0_18inequality_wrapperIZN2at6native12_GLOBAL__N_124unique_dim_cuda_templateIiEESt5tupleIJNSH_6TensorESM_SM_EERKSM_lbbbEUlllE0_EEPmJS6_EEE10hipError_tPvRmT3_T4_T5_T6_T7_T9_mT8_P12ihipStream_tbDpT10_ENKUlT_T0_E_clISt17integral_constantIbLb1EES1C_EEDaS17_S18_EUlS17_E_NS1_11comp_targetILNS1_3genE8ELNS1_11target_archE1030ELNS1_3gpuE2ELNS1_3repE0EEENS1_30default_config_static_selectorELNS0_4arch9wavefront6targetE1EEEvT1_
; %bb.0:
	.section	.rodata,"a",@progbits
	.p2align	6, 0x0
	.amdhsa_kernel _ZN7rocprim17ROCPRIM_400000_NS6detail17trampoline_kernelINS0_14default_configENS1_25partition_config_selectorILNS1_17partition_subalgoE8ElNS0_10empty_typeEbEEZZNS1_14partition_implILS5_8ELb0ES3_jPlPS6_PKS6_NS0_5tupleIJS9_S6_EEENSD_IJSA_SA_EEENS0_18inequality_wrapperIZN2at6native12_GLOBAL__N_124unique_dim_cuda_templateIiEESt5tupleIJNSH_6TensorESM_SM_EERKSM_lbbbEUlllE0_EEPmJS6_EEE10hipError_tPvRmT3_T4_T5_T6_T7_T9_mT8_P12ihipStream_tbDpT10_ENKUlT_T0_E_clISt17integral_constantIbLb1EES1C_EEDaS17_S18_EUlS17_E_NS1_11comp_targetILNS1_3genE8ELNS1_11target_archE1030ELNS1_3gpuE2ELNS1_3repE0EEENS1_30default_config_static_selectorELNS0_4arch9wavefront6targetE1EEEvT1_
		.amdhsa_group_segment_fixed_size 0
		.amdhsa_private_segment_fixed_size 0
		.amdhsa_kernarg_size 136
		.amdhsa_user_sgpr_count 6
		.amdhsa_user_sgpr_private_segment_buffer 1
		.amdhsa_user_sgpr_dispatch_ptr 0
		.amdhsa_user_sgpr_queue_ptr 0
		.amdhsa_user_sgpr_kernarg_segment_ptr 1
		.amdhsa_user_sgpr_dispatch_id 0
		.amdhsa_user_sgpr_flat_scratch_init 0
		.amdhsa_user_sgpr_kernarg_preload_length 0
		.amdhsa_user_sgpr_kernarg_preload_offset 0
		.amdhsa_user_sgpr_private_segment_size 0
		.amdhsa_uses_dynamic_stack 0
		.amdhsa_system_sgpr_private_segment_wavefront_offset 0
		.amdhsa_system_sgpr_workgroup_id_x 1
		.amdhsa_system_sgpr_workgroup_id_y 0
		.amdhsa_system_sgpr_workgroup_id_z 0
		.amdhsa_system_sgpr_workgroup_info 0
		.amdhsa_system_vgpr_workitem_id 0
		.amdhsa_next_free_vgpr 1
		.amdhsa_next_free_sgpr 0
		.amdhsa_accum_offset 4
		.amdhsa_reserve_vcc 0
		.amdhsa_reserve_flat_scratch 0
		.amdhsa_float_round_mode_32 0
		.amdhsa_float_round_mode_16_64 0
		.amdhsa_float_denorm_mode_32 3
		.amdhsa_float_denorm_mode_16_64 3
		.amdhsa_dx10_clamp 1
		.amdhsa_ieee_mode 1
		.amdhsa_fp16_overflow 0
		.amdhsa_tg_split 0
		.amdhsa_exception_fp_ieee_invalid_op 0
		.amdhsa_exception_fp_denorm_src 0
		.amdhsa_exception_fp_ieee_div_zero 0
		.amdhsa_exception_fp_ieee_overflow 0
		.amdhsa_exception_fp_ieee_underflow 0
		.amdhsa_exception_fp_ieee_inexact 0
		.amdhsa_exception_int_div_zero 0
	.end_amdhsa_kernel
	.section	.text._ZN7rocprim17ROCPRIM_400000_NS6detail17trampoline_kernelINS0_14default_configENS1_25partition_config_selectorILNS1_17partition_subalgoE8ElNS0_10empty_typeEbEEZZNS1_14partition_implILS5_8ELb0ES3_jPlPS6_PKS6_NS0_5tupleIJS9_S6_EEENSD_IJSA_SA_EEENS0_18inequality_wrapperIZN2at6native12_GLOBAL__N_124unique_dim_cuda_templateIiEESt5tupleIJNSH_6TensorESM_SM_EERKSM_lbbbEUlllE0_EEPmJS6_EEE10hipError_tPvRmT3_T4_T5_T6_T7_T9_mT8_P12ihipStream_tbDpT10_ENKUlT_T0_E_clISt17integral_constantIbLb1EES1C_EEDaS17_S18_EUlS17_E_NS1_11comp_targetILNS1_3genE8ELNS1_11target_archE1030ELNS1_3gpuE2ELNS1_3repE0EEENS1_30default_config_static_selectorELNS0_4arch9wavefront6targetE1EEEvT1_,"axG",@progbits,_ZN7rocprim17ROCPRIM_400000_NS6detail17trampoline_kernelINS0_14default_configENS1_25partition_config_selectorILNS1_17partition_subalgoE8ElNS0_10empty_typeEbEEZZNS1_14partition_implILS5_8ELb0ES3_jPlPS6_PKS6_NS0_5tupleIJS9_S6_EEENSD_IJSA_SA_EEENS0_18inequality_wrapperIZN2at6native12_GLOBAL__N_124unique_dim_cuda_templateIiEESt5tupleIJNSH_6TensorESM_SM_EERKSM_lbbbEUlllE0_EEPmJS6_EEE10hipError_tPvRmT3_T4_T5_T6_T7_T9_mT8_P12ihipStream_tbDpT10_ENKUlT_T0_E_clISt17integral_constantIbLb1EES1C_EEDaS17_S18_EUlS17_E_NS1_11comp_targetILNS1_3genE8ELNS1_11target_archE1030ELNS1_3gpuE2ELNS1_3repE0EEENS1_30default_config_static_selectorELNS0_4arch9wavefront6targetE1EEEvT1_,comdat
.Lfunc_end456:
	.size	_ZN7rocprim17ROCPRIM_400000_NS6detail17trampoline_kernelINS0_14default_configENS1_25partition_config_selectorILNS1_17partition_subalgoE8ElNS0_10empty_typeEbEEZZNS1_14partition_implILS5_8ELb0ES3_jPlPS6_PKS6_NS0_5tupleIJS9_S6_EEENSD_IJSA_SA_EEENS0_18inequality_wrapperIZN2at6native12_GLOBAL__N_124unique_dim_cuda_templateIiEESt5tupleIJNSH_6TensorESM_SM_EERKSM_lbbbEUlllE0_EEPmJS6_EEE10hipError_tPvRmT3_T4_T5_T6_T7_T9_mT8_P12ihipStream_tbDpT10_ENKUlT_T0_E_clISt17integral_constantIbLb1EES1C_EEDaS17_S18_EUlS17_E_NS1_11comp_targetILNS1_3genE8ELNS1_11target_archE1030ELNS1_3gpuE2ELNS1_3repE0EEENS1_30default_config_static_selectorELNS0_4arch9wavefront6targetE1EEEvT1_, .Lfunc_end456-_ZN7rocprim17ROCPRIM_400000_NS6detail17trampoline_kernelINS0_14default_configENS1_25partition_config_selectorILNS1_17partition_subalgoE8ElNS0_10empty_typeEbEEZZNS1_14partition_implILS5_8ELb0ES3_jPlPS6_PKS6_NS0_5tupleIJS9_S6_EEENSD_IJSA_SA_EEENS0_18inequality_wrapperIZN2at6native12_GLOBAL__N_124unique_dim_cuda_templateIiEESt5tupleIJNSH_6TensorESM_SM_EERKSM_lbbbEUlllE0_EEPmJS6_EEE10hipError_tPvRmT3_T4_T5_T6_T7_T9_mT8_P12ihipStream_tbDpT10_ENKUlT_T0_E_clISt17integral_constantIbLb1EES1C_EEDaS17_S18_EUlS17_E_NS1_11comp_targetILNS1_3genE8ELNS1_11target_archE1030ELNS1_3gpuE2ELNS1_3repE0EEENS1_30default_config_static_selectorELNS0_4arch9wavefront6targetE1EEEvT1_
                                        ; -- End function
	.section	.AMDGPU.csdata,"",@progbits
; Kernel info:
; codeLenInByte = 0
; NumSgprs: 4
; NumVgprs: 0
; NumAgprs: 0
; TotalNumVgprs: 0
; ScratchSize: 0
; MemoryBound: 0
; FloatMode: 240
; IeeeMode: 1
; LDSByteSize: 0 bytes/workgroup (compile time only)
; SGPRBlocks: 0
; VGPRBlocks: 0
; NumSGPRsForWavesPerEU: 4
; NumVGPRsForWavesPerEU: 1
; AccumOffset: 4
; Occupancy: 8
; WaveLimiterHint : 0
; COMPUTE_PGM_RSRC2:SCRATCH_EN: 0
; COMPUTE_PGM_RSRC2:USER_SGPR: 6
; COMPUTE_PGM_RSRC2:TRAP_HANDLER: 0
; COMPUTE_PGM_RSRC2:TGID_X_EN: 1
; COMPUTE_PGM_RSRC2:TGID_Y_EN: 0
; COMPUTE_PGM_RSRC2:TGID_Z_EN: 0
; COMPUTE_PGM_RSRC2:TIDIG_COMP_CNT: 0
; COMPUTE_PGM_RSRC3_GFX90A:ACCUM_OFFSET: 0
; COMPUTE_PGM_RSRC3_GFX90A:TG_SPLIT: 0
	.section	.text._ZN7rocprim17ROCPRIM_400000_NS6detail17trampoline_kernelINS0_14default_configENS1_25partition_config_selectorILNS1_17partition_subalgoE8ElNS0_10empty_typeEbEEZZNS1_14partition_implILS5_8ELb0ES3_jPlPS6_PKS6_NS0_5tupleIJS9_S6_EEENSD_IJSA_SA_EEENS0_18inequality_wrapperIZN2at6native12_GLOBAL__N_124unique_dim_cuda_templateIiEESt5tupleIJNSH_6TensorESM_SM_EERKSM_lbbbEUlllE0_EEPmJS6_EEE10hipError_tPvRmT3_T4_T5_T6_T7_T9_mT8_P12ihipStream_tbDpT10_ENKUlT_T0_E_clISt17integral_constantIbLb1EES1B_IbLb0EEEEDaS17_S18_EUlS17_E_NS1_11comp_targetILNS1_3genE0ELNS1_11target_archE4294967295ELNS1_3gpuE0ELNS1_3repE0EEENS1_30default_config_static_selectorELNS0_4arch9wavefront6targetE1EEEvT1_,"axG",@progbits,_ZN7rocprim17ROCPRIM_400000_NS6detail17trampoline_kernelINS0_14default_configENS1_25partition_config_selectorILNS1_17partition_subalgoE8ElNS0_10empty_typeEbEEZZNS1_14partition_implILS5_8ELb0ES3_jPlPS6_PKS6_NS0_5tupleIJS9_S6_EEENSD_IJSA_SA_EEENS0_18inequality_wrapperIZN2at6native12_GLOBAL__N_124unique_dim_cuda_templateIiEESt5tupleIJNSH_6TensorESM_SM_EERKSM_lbbbEUlllE0_EEPmJS6_EEE10hipError_tPvRmT3_T4_T5_T6_T7_T9_mT8_P12ihipStream_tbDpT10_ENKUlT_T0_E_clISt17integral_constantIbLb1EES1B_IbLb0EEEEDaS17_S18_EUlS17_E_NS1_11comp_targetILNS1_3genE0ELNS1_11target_archE4294967295ELNS1_3gpuE0ELNS1_3repE0EEENS1_30default_config_static_selectorELNS0_4arch9wavefront6targetE1EEEvT1_,comdat
	.globl	_ZN7rocprim17ROCPRIM_400000_NS6detail17trampoline_kernelINS0_14default_configENS1_25partition_config_selectorILNS1_17partition_subalgoE8ElNS0_10empty_typeEbEEZZNS1_14partition_implILS5_8ELb0ES3_jPlPS6_PKS6_NS0_5tupleIJS9_S6_EEENSD_IJSA_SA_EEENS0_18inequality_wrapperIZN2at6native12_GLOBAL__N_124unique_dim_cuda_templateIiEESt5tupleIJNSH_6TensorESM_SM_EERKSM_lbbbEUlllE0_EEPmJS6_EEE10hipError_tPvRmT3_T4_T5_T6_T7_T9_mT8_P12ihipStream_tbDpT10_ENKUlT_T0_E_clISt17integral_constantIbLb1EES1B_IbLb0EEEEDaS17_S18_EUlS17_E_NS1_11comp_targetILNS1_3genE0ELNS1_11target_archE4294967295ELNS1_3gpuE0ELNS1_3repE0EEENS1_30default_config_static_selectorELNS0_4arch9wavefront6targetE1EEEvT1_ ; -- Begin function _ZN7rocprim17ROCPRIM_400000_NS6detail17trampoline_kernelINS0_14default_configENS1_25partition_config_selectorILNS1_17partition_subalgoE8ElNS0_10empty_typeEbEEZZNS1_14partition_implILS5_8ELb0ES3_jPlPS6_PKS6_NS0_5tupleIJS9_S6_EEENSD_IJSA_SA_EEENS0_18inequality_wrapperIZN2at6native12_GLOBAL__N_124unique_dim_cuda_templateIiEESt5tupleIJNSH_6TensorESM_SM_EERKSM_lbbbEUlllE0_EEPmJS6_EEE10hipError_tPvRmT3_T4_T5_T6_T7_T9_mT8_P12ihipStream_tbDpT10_ENKUlT_T0_E_clISt17integral_constantIbLb1EES1B_IbLb0EEEEDaS17_S18_EUlS17_E_NS1_11comp_targetILNS1_3genE0ELNS1_11target_archE4294967295ELNS1_3gpuE0ELNS1_3repE0EEENS1_30default_config_static_selectorELNS0_4arch9wavefront6targetE1EEEvT1_
	.p2align	8
	.type	_ZN7rocprim17ROCPRIM_400000_NS6detail17trampoline_kernelINS0_14default_configENS1_25partition_config_selectorILNS1_17partition_subalgoE8ElNS0_10empty_typeEbEEZZNS1_14partition_implILS5_8ELb0ES3_jPlPS6_PKS6_NS0_5tupleIJS9_S6_EEENSD_IJSA_SA_EEENS0_18inequality_wrapperIZN2at6native12_GLOBAL__N_124unique_dim_cuda_templateIiEESt5tupleIJNSH_6TensorESM_SM_EERKSM_lbbbEUlllE0_EEPmJS6_EEE10hipError_tPvRmT3_T4_T5_T6_T7_T9_mT8_P12ihipStream_tbDpT10_ENKUlT_T0_E_clISt17integral_constantIbLb1EES1B_IbLb0EEEEDaS17_S18_EUlS17_E_NS1_11comp_targetILNS1_3genE0ELNS1_11target_archE4294967295ELNS1_3gpuE0ELNS1_3repE0EEENS1_30default_config_static_selectorELNS0_4arch9wavefront6targetE1EEEvT1_,@function
_ZN7rocprim17ROCPRIM_400000_NS6detail17trampoline_kernelINS0_14default_configENS1_25partition_config_selectorILNS1_17partition_subalgoE8ElNS0_10empty_typeEbEEZZNS1_14partition_implILS5_8ELb0ES3_jPlPS6_PKS6_NS0_5tupleIJS9_S6_EEENSD_IJSA_SA_EEENS0_18inequality_wrapperIZN2at6native12_GLOBAL__N_124unique_dim_cuda_templateIiEESt5tupleIJNSH_6TensorESM_SM_EERKSM_lbbbEUlllE0_EEPmJS6_EEE10hipError_tPvRmT3_T4_T5_T6_T7_T9_mT8_P12ihipStream_tbDpT10_ENKUlT_T0_E_clISt17integral_constantIbLb1EES1B_IbLb0EEEEDaS17_S18_EUlS17_E_NS1_11comp_targetILNS1_3genE0ELNS1_11target_archE4294967295ELNS1_3gpuE0ELNS1_3repE0EEENS1_30default_config_static_selectorELNS0_4arch9wavefront6targetE1EEEvT1_: ; @_ZN7rocprim17ROCPRIM_400000_NS6detail17trampoline_kernelINS0_14default_configENS1_25partition_config_selectorILNS1_17partition_subalgoE8ElNS0_10empty_typeEbEEZZNS1_14partition_implILS5_8ELb0ES3_jPlPS6_PKS6_NS0_5tupleIJS9_S6_EEENSD_IJSA_SA_EEENS0_18inequality_wrapperIZN2at6native12_GLOBAL__N_124unique_dim_cuda_templateIiEESt5tupleIJNSH_6TensorESM_SM_EERKSM_lbbbEUlllE0_EEPmJS6_EEE10hipError_tPvRmT3_T4_T5_T6_T7_T9_mT8_P12ihipStream_tbDpT10_ENKUlT_T0_E_clISt17integral_constantIbLb1EES1B_IbLb0EEEEDaS17_S18_EUlS17_E_NS1_11comp_targetILNS1_3genE0ELNS1_11target_archE4294967295ELNS1_3gpuE0ELNS1_3repE0EEENS1_30default_config_static_selectorELNS0_4arch9wavefront6targetE1EEEvT1_
; %bb.0:
	.section	.rodata,"a",@progbits
	.p2align	6, 0x0
	.amdhsa_kernel _ZN7rocprim17ROCPRIM_400000_NS6detail17trampoline_kernelINS0_14default_configENS1_25partition_config_selectorILNS1_17partition_subalgoE8ElNS0_10empty_typeEbEEZZNS1_14partition_implILS5_8ELb0ES3_jPlPS6_PKS6_NS0_5tupleIJS9_S6_EEENSD_IJSA_SA_EEENS0_18inequality_wrapperIZN2at6native12_GLOBAL__N_124unique_dim_cuda_templateIiEESt5tupleIJNSH_6TensorESM_SM_EERKSM_lbbbEUlllE0_EEPmJS6_EEE10hipError_tPvRmT3_T4_T5_T6_T7_T9_mT8_P12ihipStream_tbDpT10_ENKUlT_T0_E_clISt17integral_constantIbLb1EES1B_IbLb0EEEEDaS17_S18_EUlS17_E_NS1_11comp_targetILNS1_3genE0ELNS1_11target_archE4294967295ELNS1_3gpuE0ELNS1_3repE0EEENS1_30default_config_static_selectorELNS0_4arch9wavefront6targetE1EEEvT1_
		.amdhsa_group_segment_fixed_size 0
		.amdhsa_private_segment_fixed_size 0
		.amdhsa_kernarg_size 120
		.amdhsa_user_sgpr_count 6
		.amdhsa_user_sgpr_private_segment_buffer 1
		.amdhsa_user_sgpr_dispatch_ptr 0
		.amdhsa_user_sgpr_queue_ptr 0
		.amdhsa_user_sgpr_kernarg_segment_ptr 1
		.amdhsa_user_sgpr_dispatch_id 0
		.amdhsa_user_sgpr_flat_scratch_init 0
		.amdhsa_user_sgpr_kernarg_preload_length 0
		.amdhsa_user_sgpr_kernarg_preload_offset 0
		.amdhsa_user_sgpr_private_segment_size 0
		.amdhsa_uses_dynamic_stack 0
		.amdhsa_system_sgpr_private_segment_wavefront_offset 0
		.amdhsa_system_sgpr_workgroup_id_x 1
		.amdhsa_system_sgpr_workgroup_id_y 0
		.amdhsa_system_sgpr_workgroup_id_z 0
		.amdhsa_system_sgpr_workgroup_info 0
		.amdhsa_system_vgpr_workitem_id 0
		.amdhsa_next_free_vgpr 1
		.amdhsa_next_free_sgpr 0
		.amdhsa_accum_offset 4
		.amdhsa_reserve_vcc 0
		.amdhsa_reserve_flat_scratch 0
		.amdhsa_float_round_mode_32 0
		.amdhsa_float_round_mode_16_64 0
		.amdhsa_float_denorm_mode_32 3
		.amdhsa_float_denorm_mode_16_64 3
		.amdhsa_dx10_clamp 1
		.amdhsa_ieee_mode 1
		.amdhsa_fp16_overflow 0
		.amdhsa_tg_split 0
		.amdhsa_exception_fp_ieee_invalid_op 0
		.amdhsa_exception_fp_denorm_src 0
		.amdhsa_exception_fp_ieee_div_zero 0
		.amdhsa_exception_fp_ieee_overflow 0
		.amdhsa_exception_fp_ieee_underflow 0
		.amdhsa_exception_fp_ieee_inexact 0
		.amdhsa_exception_int_div_zero 0
	.end_amdhsa_kernel
	.section	.text._ZN7rocprim17ROCPRIM_400000_NS6detail17trampoline_kernelINS0_14default_configENS1_25partition_config_selectorILNS1_17partition_subalgoE8ElNS0_10empty_typeEbEEZZNS1_14partition_implILS5_8ELb0ES3_jPlPS6_PKS6_NS0_5tupleIJS9_S6_EEENSD_IJSA_SA_EEENS0_18inequality_wrapperIZN2at6native12_GLOBAL__N_124unique_dim_cuda_templateIiEESt5tupleIJNSH_6TensorESM_SM_EERKSM_lbbbEUlllE0_EEPmJS6_EEE10hipError_tPvRmT3_T4_T5_T6_T7_T9_mT8_P12ihipStream_tbDpT10_ENKUlT_T0_E_clISt17integral_constantIbLb1EES1B_IbLb0EEEEDaS17_S18_EUlS17_E_NS1_11comp_targetILNS1_3genE0ELNS1_11target_archE4294967295ELNS1_3gpuE0ELNS1_3repE0EEENS1_30default_config_static_selectorELNS0_4arch9wavefront6targetE1EEEvT1_,"axG",@progbits,_ZN7rocprim17ROCPRIM_400000_NS6detail17trampoline_kernelINS0_14default_configENS1_25partition_config_selectorILNS1_17partition_subalgoE8ElNS0_10empty_typeEbEEZZNS1_14partition_implILS5_8ELb0ES3_jPlPS6_PKS6_NS0_5tupleIJS9_S6_EEENSD_IJSA_SA_EEENS0_18inequality_wrapperIZN2at6native12_GLOBAL__N_124unique_dim_cuda_templateIiEESt5tupleIJNSH_6TensorESM_SM_EERKSM_lbbbEUlllE0_EEPmJS6_EEE10hipError_tPvRmT3_T4_T5_T6_T7_T9_mT8_P12ihipStream_tbDpT10_ENKUlT_T0_E_clISt17integral_constantIbLb1EES1B_IbLb0EEEEDaS17_S18_EUlS17_E_NS1_11comp_targetILNS1_3genE0ELNS1_11target_archE4294967295ELNS1_3gpuE0ELNS1_3repE0EEENS1_30default_config_static_selectorELNS0_4arch9wavefront6targetE1EEEvT1_,comdat
.Lfunc_end457:
	.size	_ZN7rocprim17ROCPRIM_400000_NS6detail17trampoline_kernelINS0_14default_configENS1_25partition_config_selectorILNS1_17partition_subalgoE8ElNS0_10empty_typeEbEEZZNS1_14partition_implILS5_8ELb0ES3_jPlPS6_PKS6_NS0_5tupleIJS9_S6_EEENSD_IJSA_SA_EEENS0_18inequality_wrapperIZN2at6native12_GLOBAL__N_124unique_dim_cuda_templateIiEESt5tupleIJNSH_6TensorESM_SM_EERKSM_lbbbEUlllE0_EEPmJS6_EEE10hipError_tPvRmT3_T4_T5_T6_T7_T9_mT8_P12ihipStream_tbDpT10_ENKUlT_T0_E_clISt17integral_constantIbLb1EES1B_IbLb0EEEEDaS17_S18_EUlS17_E_NS1_11comp_targetILNS1_3genE0ELNS1_11target_archE4294967295ELNS1_3gpuE0ELNS1_3repE0EEENS1_30default_config_static_selectorELNS0_4arch9wavefront6targetE1EEEvT1_, .Lfunc_end457-_ZN7rocprim17ROCPRIM_400000_NS6detail17trampoline_kernelINS0_14default_configENS1_25partition_config_selectorILNS1_17partition_subalgoE8ElNS0_10empty_typeEbEEZZNS1_14partition_implILS5_8ELb0ES3_jPlPS6_PKS6_NS0_5tupleIJS9_S6_EEENSD_IJSA_SA_EEENS0_18inequality_wrapperIZN2at6native12_GLOBAL__N_124unique_dim_cuda_templateIiEESt5tupleIJNSH_6TensorESM_SM_EERKSM_lbbbEUlllE0_EEPmJS6_EEE10hipError_tPvRmT3_T4_T5_T6_T7_T9_mT8_P12ihipStream_tbDpT10_ENKUlT_T0_E_clISt17integral_constantIbLb1EES1B_IbLb0EEEEDaS17_S18_EUlS17_E_NS1_11comp_targetILNS1_3genE0ELNS1_11target_archE4294967295ELNS1_3gpuE0ELNS1_3repE0EEENS1_30default_config_static_selectorELNS0_4arch9wavefront6targetE1EEEvT1_
                                        ; -- End function
	.section	.AMDGPU.csdata,"",@progbits
; Kernel info:
; codeLenInByte = 0
; NumSgprs: 4
; NumVgprs: 0
; NumAgprs: 0
; TotalNumVgprs: 0
; ScratchSize: 0
; MemoryBound: 0
; FloatMode: 240
; IeeeMode: 1
; LDSByteSize: 0 bytes/workgroup (compile time only)
; SGPRBlocks: 0
; VGPRBlocks: 0
; NumSGPRsForWavesPerEU: 4
; NumVGPRsForWavesPerEU: 1
; AccumOffset: 4
; Occupancy: 8
; WaveLimiterHint : 0
; COMPUTE_PGM_RSRC2:SCRATCH_EN: 0
; COMPUTE_PGM_RSRC2:USER_SGPR: 6
; COMPUTE_PGM_RSRC2:TRAP_HANDLER: 0
; COMPUTE_PGM_RSRC2:TGID_X_EN: 1
; COMPUTE_PGM_RSRC2:TGID_Y_EN: 0
; COMPUTE_PGM_RSRC2:TGID_Z_EN: 0
; COMPUTE_PGM_RSRC2:TIDIG_COMP_CNT: 0
; COMPUTE_PGM_RSRC3_GFX90A:ACCUM_OFFSET: 0
; COMPUTE_PGM_RSRC3_GFX90A:TG_SPLIT: 0
	.section	.text._ZN7rocprim17ROCPRIM_400000_NS6detail17trampoline_kernelINS0_14default_configENS1_25partition_config_selectorILNS1_17partition_subalgoE8ElNS0_10empty_typeEbEEZZNS1_14partition_implILS5_8ELb0ES3_jPlPS6_PKS6_NS0_5tupleIJS9_S6_EEENSD_IJSA_SA_EEENS0_18inequality_wrapperIZN2at6native12_GLOBAL__N_124unique_dim_cuda_templateIiEESt5tupleIJNSH_6TensorESM_SM_EERKSM_lbbbEUlllE0_EEPmJS6_EEE10hipError_tPvRmT3_T4_T5_T6_T7_T9_mT8_P12ihipStream_tbDpT10_ENKUlT_T0_E_clISt17integral_constantIbLb1EES1B_IbLb0EEEEDaS17_S18_EUlS17_E_NS1_11comp_targetILNS1_3genE5ELNS1_11target_archE942ELNS1_3gpuE9ELNS1_3repE0EEENS1_30default_config_static_selectorELNS0_4arch9wavefront6targetE1EEEvT1_,"axG",@progbits,_ZN7rocprim17ROCPRIM_400000_NS6detail17trampoline_kernelINS0_14default_configENS1_25partition_config_selectorILNS1_17partition_subalgoE8ElNS0_10empty_typeEbEEZZNS1_14partition_implILS5_8ELb0ES3_jPlPS6_PKS6_NS0_5tupleIJS9_S6_EEENSD_IJSA_SA_EEENS0_18inequality_wrapperIZN2at6native12_GLOBAL__N_124unique_dim_cuda_templateIiEESt5tupleIJNSH_6TensorESM_SM_EERKSM_lbbbEUlllE0_EEPmJS6_EEE10hipError_tPvRmT3_T4_T5_T6_T7_T9_mT8_P12ihipStream_tbDpT10_ENKUlT_T0_E_clISt17integral_constantIbLb1EES1B_IbLb0EEEEDaS17_S18_EUlS17_E_NS1_11comp_targetILNS1_3genE5ELNS1_11target_archE942ELNS1_3gpuE9ELNS1_3repE0EEENS1_30default_config_static_selectorELNS0_4arch9wavefront6targetE1EEEvT1_,comdat
	.globl	_ZN7rocprim17ROCPRIM_400000_NS6detail17trampoline_kernelINS0_14default_configENS1_25partition_config_selectorILNS1_17partition_subalgoE8ElNS0_10empty_typeEbEEZZNS1_14partition_implILS5_8ELb0ES3_jPlPS6_PKS6_NS0_5tupleIJS9_S6_EEENSD_IJSA_SA_EEENS0_18inequality_wrapperIZN2at6native12_GLOBAL__N_124unique_dim_cuda_templateIiEESt5tupleIJNSH_6TensorESM_SM_EERKSM_lbbbEUlllE0_EEPmJS6_EEE10hipError_tPvRmT3_T4_T5_T6_T7_T9_mT8_P12ihipStream_tbDpT10_ENKUlT_T0_E_clISt17integral_constantIbLb1EES1B_IbLb0EEEEDaS17_S18_EUlS17_E_NS1_11comp_targetILNS1_3genE5ELNS1_11target_archE942ELNS1_3gpuE9ELNS1_3repE0EEENS1_30default_config_static_selectorELNS0_4arch9wavefront6targetE1EEEvT1_ ; -- Begin function _ZN7rocprim17ROCPRIM_400000_NS6detail17trampoline_kernelINS0_14default_configENS1_25partition_config_selectorILNS1_17partition_subalgoE8ElNS0_10empty_typeEbEEZZNS1_14partition_implILS5_8ELb0ES3_jPlPS6_PKS6_NS0_5tupleIJS9_S6_EEENSD_IJSA_SA_EEENS0_18inequality_wrapperIZN2at6native12_GLOBAL__N_124unique_dim_cuda_templateIiEESt5tupleIJNSH_6TensorESM_SM_EERKSM_lbbbEUlllE0_EEPmJS6_EEE10hipError_tPvRmT3_T4_T5_T6_T7_T9_mT8_P12ihipStream_tbDpT10_ENKUlT_T0_E_clISt17integral_constantIbLb1EES1B_IbLb0EEEEDaS17_S18_EUlS17_E_NS1_11comp_targetILNS1_3genE5ELNS1_11target_archE942ELNS1_3gpuE9ELNS1_3repE0EEENS1_30default_config_static_selectorELNS0_4arch9wavefront6targetE1EEEvT1_
	.p2align	8
	.type	_ZN7rocprim17ROCPRIM_400000_NS6detail17trampoline_kernelINS0_14default_configENS1_25partition_config_selectorILNS1_17partition_subalgoE8ElNS0_10empty_typeEbEEZZNS1_14partition_implILS5_8ELb0ES3_jPlPS6_PKS6_NS0_5tupleIJS9_S6_EEENSD_IJSA_SA_EEENS0_18inequality_wrapperIZN2at6native12_GLOBAL__N_124unique_dim_cuda_templateIiEESt5tupleIJNSH_6TensorESM_SM_EERKSM_lbbbEUlllE0_EEPmJS6_EEE10hipError_tPvRmT3_T4_T5_T6_T7_T9_mT8_P12ihipStream_tbDpT10_ENKUlT_T0_E_clISt17integral_constantIbLb1EES1B_IbLb0EEEEDaS17_S18_EUlS17_E_NS1_11comp_targetILNS1_3genE5ELNS1_11target_archE942ELNS1_3gpuE9ELNS1_3repE0EEENS1_30default_config_static_selectorELNS0_4arch9wavefront6targetE1EEEvT1_,@function
_ZN7rocprim17ROCPRIM_400000_NS6detail17trampoline_kernelINS0_14default_configENS1_25partition_config_selectorILNS1_17partition_subalgoE8ElNS0_10empty_typeEbEEZZNS1_14partition_implILS5_8ELb0ES3_jPlPS6_PKS6_NS0_5tupleIJS9_S6_EEENSD_IJSA_SA_EEENS0_18inequality_wrapperIZN2at6native12_GLOBAL__N_124unique_dim_cuda_templateIiEESt5tupleIJNSH_6TensorESM_SM_EERKSM_lbbbEUlllE0_EEPmJS6_EEE10hipError_tPvRmT3_T4_T5_T6_T7_T9_mT8_P12ihipStream_tbDpT10_ENKUlT_T0_E_clISt17integral_constantIbLb1EES1B_IbLb0EEEEDaS17_S18_EUlS17_E_NS1_11comp_targetILNS1_3genE5ELNS1_11target_archE942ELNS1_3gpuE9ELNS1_3repE0EEENS1_30default_config_static_selectorELNS0_4arch9wavefront6targetE1EEEvT1_: ; @_ZN7rocprim17ROCPRIM_400000_NS6detail17trampoline_kernelINS0_14default_configENS1_25partition_config_selectorILNS1_17partition_subalgoE8ElNS0_10empty_typeEbEEZZNS1_14partition_implILS5_8ELb0ES3_jPlPS6_PKS6_NS0_5tupleIJS9_S6_EEENSD_IJSA_SA_EEENS0_18inequality_wrapperIZN2at6native12_GLOBAL__N_124unique_dim_cuda_templateIiEESt5tupleIJNSH_6TensorESM_SM_EERKSM_lbbbEUlllE0_EEPmJS6_EEE10hipError_tPvRmT3_T4_T5_T6_T7_T9_mT8_P12ihipStream_tbDpT10_ENKUlT_T0_E_clISt17integral_constantIbLb1EES1B_IbLb0EEEEDaS17_S18_EUlS17_E_NS1_11comp_targetILNS1_3genE5ELNS1_11target_archE942ELNS1_3gpuE9ELNS1_3repE0EEENS1_30default_config_static_selectorELNS0_4arch9wavefront6targetE1EEEvT1_
; %bb.0:
	.section	.rodata,"a",@progbits
	.p2align	6, 0x0
	.amdhsa_kernel _ZN7rocprim17ROCPRIM_400000_NS6detail17trampoline_kernelINS0_14default_configENS1_25partition_config_selectorILNS1_17partition_subalgoE8ElNS0_10empty_typeEbEEZZNS1_14partition_implILS5_8ELb0ES3_jPlPS6_PKS6_NS0_5tupleIJS9_S6_EEENSD_IJSA_SA_EEENS0_18inequality_wrapperIZN2at6native12_GLOBAL__N_124unique_dim_cuda_templateIiEESt5tupleIJNSH_6TensorESM_SM_EERKSM_lbbbEUlllE0_EEPmJS6_EEE10hipError_tPvRmT3_T4_T5_T6_T7_T9_mT8_P12ihipStream_tbDpT10_ENKUlT_T0_E_clISt17integral_constantIbLb1EES1B_IbLb0EEEEDaS17_S18_EUlS17_E_NS1_11comp_targetILNS1_3genE5ELNS1_11target_archE942ELNS1_3gpuE9ELNS1_3repE0EEENS1_30default_config_static_selectorELNS0_4arch9wavefront6targetE1EEEvT1_
		.amdhsa_group_segment_fixed_size 0
		.amdhsa_private_segment_fixed_size 0
		.amdhsa_kernarg_size 120
		.amdhsa_user_sgpr_count 6
		.amdhsa_user_sgpr_private_segment_buffer 1
		.amdhsa_user_sgpr_dispatch_ptr 0
		.amdhsa_user_sgpr_queue_ptr 0
		.amdhsa_user_sgpr_kernarg_segment_ptr 1
		.amdhsa_user_sgpr_dispatch_id 0
		.amdhsa_user_sgpr_flat_scratch_init 0
		.amdhsa_user_sgpr_kernarg_preload_length 0
		.amdhsa_user_sgpr_kernarg_preload_offset 0
		.amdhsa_user_sgpr_private_segment_size 0
		.amdhsa_uses_dynamic_stack 0
		.amdhsa_system_sgpr_private_segment_wavefront_offset 0
		.amdhsa_system_sgpr_workgroup_id_x 1
		.amdhsa_system_sgpr_workgroup_id_y 0
		.amdhsa_system_sgpr_workgroup_id_z 0
		.amdhsa_system_sgpr_workgroup_info 0
		.amdhsa_system_vgpr_workitem_id 0
		.amdhsa_next_free_vgpr 1
		.amdhsa_next_free_sgpr 0
		.amdhsa_accum_offset 4
		.amdhsa_reserve_vcc 0
		.amdhsa_reserve_flat_scratch 0
		.amdhsa_float_round_mode_32 0
		.amdhsa_float_round_mode_16_64 0
		.amdhsa_float_denorm_mode_32 3
		.amdhsa_float_denorm_mode_16_64 3
		.amdhsa_dx10_clamp 1
		.amdhsa_ieee_mode 1
		.amdhsa_fp16_overflow 0
		.amdhsa_tg_split 0
		.amdhsa_exception_fp_ieee_invalid_op 0
		.amdhsa_exception_fp_denorm_src 0
		.amdhsa_exception_fp_ieee_div_zero 0
		.amdhsa_exception_fp_ieee_overflow 0
		.amdhsa_exception_fp_ieee_underflow 0
		.amdhsa_exception_fp_ieee_inexact 0
		.amdhsa_exception_int_div_zero 0
	.end_amdhsa_kernel
	.section	.text._ZN7rocprim17ROCPRIM_400000_NS6detail17trampoline_kernelINS0_14default_configENS1_25partition_config_selectorILNS1_17partition_subalgoE8ElNS0_10empty_typeEbEEZZNS1_14partition_implILS5_8ELb0ES3_jPlPS6_PKS6_NS0_5tupleIJS9_S6_EEENSD_IJSA_SA_EEENS0_18inequality_wrapperIZN2at6native12_GLOBAL__N_124unique_dim_cuda_templateIiEESt5tupleIJNSH_6TensorESM_SM_EERKSM_lbbbEUlllE0_EEPmJS6_EEE10hipError_tPvRmT3_T4_T5_T6_T7_T9_mT8_P12ihipStream_tbDpT10_ENKUlT_T0_E_clISt17integral_constantIbLb1EES1B_IbLb0EEEEDaS17_S18_EUlS17_E_NS1_11comp_targetILNS1_3genE5ELNS1_11target_archE942ELNS1_3gpuE9ELNS1_3repE0EEENS1_30default_config_static_selectorELNS0_4arch9wavefront6targetE1EEEvT1_,"axG",@progbits,_ZN7rocprim17ROCPRIM_400000_NS6detail17trampoline_kernelINS0_14default_configENS1_25partition_config_selectorILNS1_17partition_subalgoE8ElNS0_10empty_typeEbEEZZNS1_14partition_implILS5_8ELb0ES3_jPlPS6_PKS6_NS0_5tupleIJS9_S6_EEENSD_IJSA_SA_EEENS0_18inequality_wrapperIZN2at6native12_GLOBAL__N_124unique_dim_cuda_templateIiEESt5tupleIJNSH_6TensorESM_SM_EERKSM_lbbbEUlllE0_EEPmJS6_EEE10hipError_tPvRmT3_T4_T5_T6_T7_T9_mT8_P12ihipStream_tbDpT10_ENKUlT_T0_E_clISt17integral_constantIbLb1EES1B_IbLb0EEEEDaS17_S18_EUlS17_E_NS1_11comp_targetILNS1_3genE5ELNS1_11target_archE942ELNS1_3gpuE9ELNS1_3repE0EEENS1_30default_config_static_selectorELNS0_4arch9wavefront6targetE1EEEvT1_,comdat
.Lfunc_end458:
	.size	_ZN7rocprim17ROCPRIM_400000_NS6detail17trampoline_kernelINS0_14default_configENS1_25partition_config_selectorILNS1_17partition_subalgoE8ElNS0_10empty_typeEbEEZZNS1_14partition_implILS5_8ELb0ES3_jPlPS6_PKS6_NS0_5tupleIJS9_S6_EEENSD_IJSA_SA_EEENS0_18inequality_wrapperIZN2at6native12_GLOBAL__N_124unique_dim_cuda_templateIiEESt5tupleIJNSH_6TensorESM_SM_EERKSM_lbbbEUlllE0_EEPmJS6_EEE10hipError_tPvRmT3_T4_T5_T6_T7_T9_mT8_P12ihipStream_tbDpT10_ENKUlT_T0_E_clISt17integral_constantIbLb1EES1B_IbLb0EEEEDaS17_S18_EUlS17_E_NS1_11comp_targetILNS1_3genE5ELNS1_11target_archE942ELNS1_3gpuE9ELNS1_3repE0EEENS1_30default_config_static_selectorELNS0_4arch9wavefront6targetE1EEEvT1_, .Lfunc_end458-_ZN7rocprim17ROCPRIM_400000_NS6detail17trampoline_kernelINS0_14default_configENS1_25partition_config_selectorILNS1_17partition_subalgoE8ElNS0_10empty_typeEbEEZZNS1_14partition_implILS5_8ELb0ES3_jPlPS6_PKS6_NS0_5tupleIJS9_S6_EEENSD_IJSA_SA_EEENS0_18inequality_wrapperIZN2at6native12_GLOBAL__N_124unique_dim_cuda_templateIiEESt5tupleIJNSH_6TensorESM_SM_EERKSM_lbbbEUlllE0_EEPmJS6_EEE10hipError_tPvRmT3_T4_T5_T6_T7_T9_mT8_P12ihipStream_tbDpT10_ENKUlT_T0_E_clISt17integral_constantIbLb1EES1B_IbLb0EEEEDaS17_S18_EUlS17_E_NS1_11comp_targetILNS1_3genE5ELNS1_11target_archE942ELNS1_3gpuE9ELNS1_3repE0EEENS1_30default_config_static_selectorELNS0_4arch9wavefront6targetE1EEEvT1_
                                        ; -- End function
	.section	.AMDGPU.csdata,"",@progbits
; Kernel info:
; codeLenInByte = 0
; NumSgprs: 4
; NumVgprs: 0
; NumAgprs: 0
; TotalNumVgprs: 0
; ScratchSize: 0
; MemoryBound: 0
; FloatMode: 240
; IeeeMode: 1
; LDSByteSize: 0 bytes/workgroup (compile time only)
; SGPRBlocks: 0
; VGPRBlocks: 0
; NumSGPRsForWavesPerEU: 4
; NumVGPRsForWavesPerEU: 1
; AccumOffset: 4
; Occupancy: 8
; WaveLimiterHint : 0
; COMPUTE_PGM_RSRC2:SCRATCH_EN: 0
; COMPUTE_PGM_RSRC2:USER_SGPR: 6
; COMPUTE_PGM_RSRC2:TRAP_HANDLER: 0
; COMPUTE_PGM_RSRC2:TGID_X_EN: 1
; COMPUTE_PGM_RSRC2:TGID_Y_EN: 0
; COMPUTE_PGM_RSRC2:TGID_Z_EN: 0
; COMPUTE_PGM_RSRC2:TIDIG_COMP_CNT: 0
; COMPUTE_PGM_RSRC3_GFX90A:ACCUM_OFFSET: 0
; COMPUTE_PGM_RSRC3_GFX90A:TG_SPLIT: 0
	.section	.text._ZN7rocprim17ROCPRIM_400000_NS6detail17trampoline_kernelINS0_14default_configENS1_25partition_config_selectorILNS1_17partition_subalgoE8ElNS0_10empty_typeEbEEZZNS1_14partition_implILS5_8ELb0ES3_jPlPS6_PKS6_NS0_5tupleIJS9_S6_EEENSD_IJSA_SA_EEENS0_18inequality_wrapperIZN2at6native12_GLOBAL__N_124unique_dim_cuda_templateIiEESt5tupleIJNSH_6TensorESM_SM_EERKSM_lbbbEUlllE0_EEPmJS6_EEE10hipError_tPvRmT3_T4_T5_T6_T7_T9_mT8_P12ihipStream_tbDpT10_ENKUlT_T0_E_clISt17integral_constantIbLb1EES1B_IbLb0EEEEDaS17_S18_EUlS17_E_NS1_11comp_targetILNS1_3genE4ELNS1_11target_archE910ELNS1_3gpuE8ELNS1_3repE0EEENS1_30default_config_static_selectorELNS0_4arch9wavefront6targetE1EEEvT1_,"axG",@progbits,_ZN7rocprim17ROCPRIM_400000_NS6detail17trampoline_kernelINS0_14default_configENS1_25partition_config_selectorILNS1_17partition_subalgoE8ElNS0_10empty_typeEbEEZZNS1_14partition_implILS5_8ELb0ES3_jPlPS6_PKS6_NS0_5tupleIJS9_S6_EEENSD_IJSA_SA_EEENS0_18inequality_wrapperIZN2at6native12_GLOBAL__N_124unique_dim_cuda_templateIiEESt5tupleIJNSH_6TensorESM_SM_EERKSM_lbbbEUlllE0_EEPmJS6_EEE10hipError_tPvRmT3_T4_T5_T6_T7_T9_mT8_P12ihipStream_tbDpT10_ENKUlT_T0_E_clISt17integral_constantIbLb1EES1B_IbLb0EEEEDaS17_S18_EUlS17_E_NS1_11comp_targetILNS1_3genE4ELNS1_11target_archE910ELNS1_3gpuE8ELNS1_3repE0EEENS1_30default_config_static_selectorELNS0_4arch9wavefront6targetE1EEEvT1_,comdat
	.globl	_ZN7rocprim17ROCPRIM_400000_NS6detail17trampoline_kernelINS0_14default_configENS1_25partition_config_selectorILNS1_17partition_subalgoE8ElNS0_10empty_typeEbEEZZNS1_14partition_implILS5_8ELb0ES3_jPlPS6_PKS6_NS0_5tupleIJS9_S6_EEENSD_IJSA_SA_EEENS0_18inequality_wrapperIZN2at6native12_GLOBAL__N_124unique_dim_cuda_templateIiEESt5tupleIJNSH_6TensorESM_SM_EERKSM_lbbbEUlllE0_EEPmJS6_EEE10hipError_tPvRmT3_T4_T5_T6_T7_T9_mT8_P12ihipStream_tbDpT10_ENKUlT_T0_E_clISt17integral_constantIbLb1EES1B_IbLb0EEEEDaS17_S18_EUlS17_E_NS1_11comp_targetILNS1_3genE4ELNS1_11target_archE910ELNS1_3gpuE8ELNS1_3repE0EEENS1_30default_config_static_selectorELNS0_4arch9wavefront6targetE1EEEvT1_ ; -- Begin function _ZN7rocprim17ROCPRIM_400000_NS6detail17trampoline_kernelINS0_14default_configENS1_25partition_config_selectorILNS1_17partition_subalgoE8ElNS0_10empty_typeEbEEZZNS1_14partition_implILS5_8ELb0ES3_jPlPS6_PKS6_NS0_5tupleIJS9_S6_EEENSD_IJSA_SA_EEENS0_18inequality_wrapperIZN2at6native12_GLOBAL__N_124unique_dim_cuda_templateIiEESt5tupleIJNSH_6TensorESM_SM_EERKSM_lbbbEUlllE0_EEPmJS6_EEE10hipError_tPvRmT3_T4_T5_T6_T7_T9_mT8_P12ihipStream_tbDpT10_ENKUlT_T0_E_clISt17integral_constantIbLb1EES1B_IbLb0EEEEDaS17_S18_EUlS17_E_NS1_11comp_targetILNS1_3genE4ELNS1_11target_archE910ELNS1_3gpuE8ELNS1_3repE0EEENS1_30default_config_static_selectorELNS0_4arch9wavefront6targetE1EEEvT1_
	.p2align	8
	.type	_ZN7rocprim17ROCPRIM_400000_NS6detail17trampoline_kernelINS0_14default_configENS1_25partition_config_selectorILNS1_17partition_subalgoE8ElNS0_10empty_typeEbEEZZNS1_14partition_implILS5_8ELb0ES3_jPlPS6_PKS6_NS0_5tupleIJS9_S6_EEENSD_IJSA_SA_EEENS0_18inequality_wrapperIZN2at6native12_GLOBAL__N_124unique_dim_cuda_templateIiEESt5tupleIJNSH_6TensorESM_SM_EERKSM_lbbbEUlllE0_EEPmJS6_EEE10hipError_tPvRmT3_T4_T5_T6_T7_T9_mT8_P12ihipStream_tbDpT10_ENKUlT_T0_E_clISt17integral_constantIbLb1EES1B_IbLb0EEEEDaS17_S18_EUlS17_E_NS1_11comp_targetILNS1_3genE4ELNS1_11target_archE910ELNS1_3gpuE8ELNS1_3repE0EEENS1_30default_config_static_selectorELNS0_4arch9wavefront6targetE1EEEvT1_,@function
_ZN7rocprim17ROCPRIM_400000_NS6detail17trampoline_kernelINS0_14default_configENS1_25partition_config_selectorILNS1_17partition_subalgoE8ElNS0_10empty_typeEbEEZZNS1_14partition_implILS5_8ELb0ES3_jPlPS6_PKS6_NS0_5tupleIJS9_S6_EEENSD_IJSA_SA_EEENS0_18inequality_wrapperIZN2at6native12_GLOBAL__N_124unique_dim_cuda_templateIiEESt5tupleIJNSH_6TensorESM_SM_EERKSM_lbbbEUlllE0_EEPmJS6_EEE10hipError_tPvRmT3_T4_T5_T6_T7_T9_mT8_P12ihipStream_tbDpT10_ENKUlT_T0_E_clISt17integral_constantIbLb1EES1B_IbLb0EEEEDaS17_S18_EUlS17_E_NS1_11comp_targetILNS1_3genE4ELNS1_11target_archE910ELNS1_3gpuE8ELNS1_3repE0EEENS1_30default_config_static_selectorELNS0_4arch9wavefront6targetE1EEEvT1_: ; @_ZN7rocprim17ROCPRIM_400000_NS6detail17trampoline_kernelINS0_14default_configENS1_25partition_config_selectorILNS1_17partition_subalgoE8ElNS0_10empty_typeEbEEZZNS1_14partition_implILS5_8ELb0ES3_jPlPS6_PKS6_NS0_5tupleIJS9_S6_EEENSD_IJSA_SA_EEENS0_18inequality_wrapperIZN2at6native12_GLOBAL__N_124unique_dim_cuda_templateIiEESt5tupleIJNSH_6TensorESM_SM_EERKSM_lbbbEUlllE0_EEPmJS6_EEE10hipError_tPvRmT3_T4_T5_T6_T7_T9_mT8_P12ihipStream_tbDpT10_ENKUlT_T0_E_clISt17integral_constantIbLb1EES1B_IbLb0EEEEDaS17_S18_EUlS17_E_NS1_11comp_targetILNS1_3genE4ELNS1_11target_archE910ELNS1_3gpuE8ELNS1_3repE0EEENS1_30default_config_static_selectorELNS0_4arch9wavefront6targetE1EEEvT1_
; %bb.0:
	s_load_dwordx8 s[20:27], s[4:5], 0x40
	s_load_dwordx4 s[0:3], s[4:5], 0x8
	s_load_dwordx4 s[28:31], s[4:5], 0x60
	s_load_dword s7, s[4:5], 0x70
	s_waitcnt lgkmcnt(0)
	v_mov_b32_e32 v2, s24
	s_lshl_b64 s[8:9], s[2:3], 3
	s_add_u32 s12, s0, s8
	s_mul_i32 s8, s7, 0x500
	s_addc_u32 s13, s1, s9
	s_add_i32 s1, s8, s2
	s_add_i32 s10, s7, -1
	s_sub_i32 s7, s24, s1
	s_add_u32 s8, s2, s8
	s_addc_u32 s9, s3, 0
	v_mov_b32_e32 v3, s25
	s_cmp_eq_u32 s6, s10
	s_load_dwordx2 s[22:23], s[22:23], 0x0
	v_cmp_ge_u64_e32 vcc, s[8:9], v[2:3]
	s_cselect_b64 s[24:25], -1, 0
	s_mul_i32 s0, s6, 0x500
	s_mov_b32 s1, 0
	s_and_b64 s[10:11], s[24:25], vcc
	s_xor_b64 s[34:35], s[10:11], -1
	s_lshl_b64 s[0:1], s[0:1], 3
	s_add_u32 s0, s12, s0
	s_mov_b64 s[8:9], -1
	s_addc_u32 s1, s13, s1
	s_and_b64 vcc, exec, s[34:35]
	s_cbranch_vccz .LBB459_2
; %bb.1:
	v_lshlrev_b32_e32 v1, 3, v0
	v_mov_b32_e32 v2, s1
	v_add_co_u32_e32 v12, vcc, s0, v1
	v_addc_co_u32_e32 v13, vcc, 0, v2, vcc
	v_add_co_u32_e32 v2, vcc, 0x1000, v12
	v_addc_co_u32_e32 v3, vcc, 0, v13, vcc
	global_load_dwordx2 v[4:5], v1, s[0:1]
	global_load_dwordx2 v[6:7], v1, s[0:1] offset:2048
	global_load_dwordx2 v[8:9], v[2:3], off
	global_load_dwordx2 v[10:11], v[2:3], off offset:2048
	v_add_co_u32_e32 v2, vcc, 0x2000, v12
	v_addc_co_u32_e32 v3, vcc, 0, v13, vcc
	global_load_dwordx2 v[2:3], v[2:3], off
	s_mov_b64 s[8:9], 0
	s_waitcnt vmcnt(3)
	ds_write2st64_b64 v1, v[4:5], v[6:7] offset1:4
	s_waitcnt vmcnt(1)
	ds_write2st64_b64 v1, v[8:9], v[10:11] offset0:8 offset1:12
	s_waitcnt vmcnt(0)
	ds_write_b64 v1, v[2:3] offset:8192
	s_waitcnt lgkmcnt(0)
	s_barrier
.LBB459_2:
	s_andn2_b64 vcc, exec, s[8:9]
	s_addk_i32 s7, 0x500
	s_cbranch_vccnz .LBB459_14
; %bb.3:
	v_cmp_gt_u32_e32 vcc, s7, v0
                                        ; implicit-def: $vgpr2_vgpr3_vgpr4_vgpr5_vgpr6_vgpr7_vgpr8_vgpr9_vgpr10_vgpr11_vgpr12_vgpr13_vgpr14_vgpr15_vgpr16_vgpr17
	s_and_saveexec_b64 s[8:9], vcc
	s_cbranch_execz .LBB459_5
; %bb.4:
	v_lshlrev_b32_e32 v1, 3, v0
	global_load_dwordx2 v[2:3], v1, s[0:1]
.LBB459_5:
	s_or_b64 exec, exec, s[8:9]
	v_or_b32_e32 v1, 0x100, v0
	v_cmp_gt_u32_e32 vcc, s7, v1
	s_and_saveexec_b64 s[8:9], vcc
	s_cbranch_execz .LBB459_7
; %bb.6:
	v_lshlrev_b32_e32 v1, 3, v0
	global_load_dwordx2 v[4:5], v1, s[0:1] offset:2048
.LBB459_7:
	s_or_b64 exec, exec, s[8:9]
	v_or_b32_e32 v1, 0x200, v0
	v_cmp_gt_u32_e32 vcc, s7, v1
	s_and_saveexec_b64 s[8:9], vcc
	s_cbranch_execz .LBB459_9
; %bb.8:
	v_lshlrev_b32_e32 v1, 3, v1
	global_load_dwordx2 v[6:7], v1, s[0:1]
.LBB459_9:
	s_or_b64 exec, exec, s[8:9]
	v_or_b32_e32 v1, 0x300, v0
	v_cmp_gt_u32_e32 vcc, s7, v1
	s_and_saveexec_b64 s[8:9], vcc
	s_cbranch_execz .LBB459_11
; %bb.10:
	v_lshlrev_b32_e32 v1, 3, v1
	global_load_dwordx2 v[8:9], v1, s[0:1]
.LBB459_11:
	s_or_b64 exec, exec, s[8:9]
	v_or_b32_e32 v1, 0x400, v0
	v_cmp_gt_u32_e32 vcc, s7, v1
	s_and_saveexec_b64 s[8:9], vcc
	s_cbranch_execz .LBB459_13
; %bb.12:
	v_lshlrev_b32_e32 v1, 3, v1
	global_load_dwordx2 v[10:11], v1, s[0:1]
.LBB459_13:
	s_or_b64 exec, exec, s[8:9]
	v_lshlrev_b32_e32 v1, 3, v0
	s_waitcnt vmcnt(0)
	ds_write2st64_b64 v1, v[2:3], v[4:5] offset1:4
	ds_write2st64_b64 v1, v[6:7], v[8:9] offset0:8 offset1:12
	ds_write_b64 v1, v[10:11] offset:8192
	s_waitcnt lgkmcnt(0)
	s_barrier
.LBB459_14:
	v_mul_u32_u24_e32 v1, 5, v0
	v_lshlrev_b32_e32 v20, 3, v1
	s_waitcnt lgkmcnt(0)
	ds_read2_b64 v[6:9], v20 offset1:1
	ds_read2_b64 v[2:5], v20 offset0:2 offset1:3
	ds_read_b64 v[10:11], v20 offset:32
	s_cmp_lg_u32 s6, 0
	s_cselect_b64 s[16:17], -1, 0
	s_cmp_lg_u64 s[2:3], 0
	s_cselect_b64 s[2:3], -1, 0
	s_or_b64 s[2:3], s[16:17], s[2:3]
	v_mad_u32_u24 v24, v0, 5, 1
	v_mad_u32_u24 v22, v0, 5, 2
	;; [unrolled: 1-line block ×4, first 2 shown]
	s_mov_b64 s[12:13], 0
	s_and_b64 vcc, exec, s[2:3]
	v_cmp_gt_i64_e64 s[2:3], s[26:27], 0
	s_waitcnt lgkmcnt(0)
	s_barrier
	s_cbranch_vccz .LBB459_23
; %bb.15:
	s_add_u32 s0, s0, -8
	s_addc_u32 s1, s1, -1
	s_load_dwordx2 s[12:13], s[0:1], 0x0
	v_cndmask_b32_e64 v12, 0, 1, s[2:3]
	v_lshlrev_b32_e32 v21, 3, v0
	s_mov_b64 s[14:15], 0
	s_and_b64 vcc, exec, s[34:35]
	v_cmp_ne_u32_e64 s[0:1], 1, v12
	ds_write_b64 v21, v[10:11]
	s_cbranch_vccz .LBB459_24
; %bb.16:
	v_mul_lo_u32 v14, v5, s26
	v_mul_lo_u32 v15, v4, s27
	v_mad_u64_u32 v[12:13], s[2:3], v4, s26, 0
	v_add3_u32 v13, v13, v15, v14
	s_and_b64 vcc, exec, s[0:1]
	v_lshlrev_b64 v[12:13], 2, v[12:13]
	s_cbranch_vccnz .LBB459_27
; %bb.17:
	v_mul_lo_u32 v16, v11, s26
	v_mul_lo_u32 v17, v10, s27
	v_mad_u64_u32 v[14:15], s[2:3], v10, s26, 0
	v_add3_u32 v15, v15, v17, v16
	v_mov_b32_e32 v17, s29
	v_add_co_u32_e32 v16, vcc, s28, v12
	v_addc_co_u32_e64 v17, s[2:3], v17, v13, vcc
	v_lshlrev_b64 v[14:15], 2, v[14:15]
	v_mov_b32_e32 v19, s29
	v_add_co_u32_e64 v18, s[2:3], s28, v14
	v_addc_co_u32_e64 v19, s[8:9], v19, v15, s[2:3]
	global_load_dword v14, v[16:17], off
	global_load_dword v26, v[18:19], off
	s_mov_b64 s[14:15], -1
	s_waitcnt vmcnt(0)
	v_cmp_eq_u32_e64 s[8:9], v14, v26
	s_and_saveexec_b64 s[18:19], s[8:9]
	s_cbranch_execz .LBB459_26
; %bb.18:
	v_mov_b32_e32 v14, s29
	v_addc_co_u32_e64 v15, s[2:3], v15, v14, s[2:3]
	v_add_co_u32_e64 v14, s[2:3], 4, v18
	v_mov_b32_e32 v17, s29
	v_addc_co_u32_e64 v15, s[2:3], 0, v15, s[2:3]
	v_addc_co_u32_e32 v17, vcc, v13, v17, vcc
	v_add_co_u32_e32 v16, vcc, 4, v16
	s_add_u32 s2, s26, -1
	v_addc_co_u32_e32 v17, vcc, 0, v17, vcc
	s_addc_u32 s3, s27, -1
	s_mov_b64 s[8:9], 0
	s_mov_b64 s[36:37], 0
                                        ; implicit-def: $sgpr14_sgpr15
	s_branch .LBB459_21
.LBB459_19:                             ;   in Loop: Header=BB459_21 Depth=1
	global_load_dword v18, v[16:17], off
	global_load_dword v19, v[14:15], off
	v_add_co_u32_e32 v14, vcc, 4, v14
	v_addc_co_u32_e32 v15, vcc, 0, v15, vcc
	v_add_co_u32_e32 v16, vcc, 4, v16
	v_addc_co_u32_e32 v17, vcc, 0, v17, vcc
	s_add_u32 s36, s36, 1
	s_addc_u32 s37, s37, 0
	s_andn2_b64 s[14:15], s[14:15], exec
	s_waitcnt vmcnt(0)
	v_cmp_ne_u32_e32 vcc, v18, v19
	s_and_b64 s[38:39], vcc, exec
	s_or_b64 s[14:15], s[14:15], s[38:39]
.LBB459_20:                             ;   in Loop: Header=BB459_21 Depth=1
	s_and_b64 s[38:39], exec, s[14:15]
	s_or_b64 s[8:9], s[38:39], s[8:9]
	v_pk_mov_b32 v[18:19], s[36:37], s[36:37] op_sel:[0,1]
	s_andn2_b64 exec, exec, s[8:9]
	s_cbranch_execz .LBB459_25
.LBB459_21:                             ; =>This Inner Loop Header: Depth=1
	s_or_b64 s[14:15], s[14:15], exec
	s_cmp_eq_u64 s[2:3], s[36:37]
	s_cbranch_scc0 .LBB459_19
; %bb.22:                               ;   in Loop: Header=BB459_21 Depth=1
                                        ; implicit-def: $vgpr14_vgpr15
                                        ; implicit-def: $vgpr16_vgpr17
	s_mov_b64 s[36:37], s[26:27]
	s_branch .LBB459_20
.LBB459_23:
                                        ; implicit-def: $sgpr18_sgpr19
                                        ; implicit-def: $vgpr13
                                        ; implicit-def: $vgpr16
	s_branch .LBB459_125
.LBB459_24:
                                        ; implicit-def: $sgpr18_sgpr19
                                        ; implicit-def: $vgpr13
                                        ; implicit-def: $vgpr16
	s_cbranch_execnz .LBB459_66
	s_branch .LBB459_124
.LBB459_25:
	s_or_b64 exec, exec, s[8:9]
	v_cmp_gt_i64_e32 vcc, s[26:27], v[18:19]
	s_orn2_b64 s[14:15], vcc, exec
.LBB459_26:
	s_or_b64 exec, exec, s[18:19]
.LBB459_27:
	v_mul_lo_u32 v16, v3, s26
	v_mul_lo_u32 v17, v2, s27
	v_mad_u64_u32 v[14:15], s[2:3], v2, s26, 0
	v_add3_u32 v15, v15, v17, v16
	s_mov_b64 s[18:19], 0
	s_and_b64 vcc, exec, s[0:1]
	v_lshlrev_b64 v[16:17], 2, v[14:15]
	s_mov_b64 s[36:37], 0
	s_cbranch_vccnz .LBB459_36
; %bb.28:
	v_mov_b32_e32 v15, s29
	v_add_co_u32_e32 v14, vcc, s28, v16
	v_addc_co_u32_e64 v15, s[2:3], v15, v17, vcc
	v_mov_b32_e32 v19, s29
	v_add_co_u32_e64 v18, s[2:3], s28, v12
	v_addc_co_u32_e64 v19, s[8:9], v19, v13, s[2:3]
	global_load_dword v12, v[14:15], off
	global_load_dword v26, v[18:19], off
	s_mov_b64 s[36:37], -1
	s_waitcnt vmcnt(0)
	v_cmp_eq_u32_e64 s[8:9], v12, v26
	s_and_saveexec_b64 s[38:39], s[8:9]
	s_cbranch_execz .LBB459_35
; %bb.29:
	v_mov_b32_e32 v12, s29
	v_addc_co_u32_e64 v13, s[2:3], v13, v12, s[2:3]
	v_add_co_u32_e64 v12, s[2:3], 4, v18
	v_mov_b32_e32 v15, s29
	v_addc_co_u32_e64 v13, s[2:3], 0, v13, s[2:3]
	v_addc_co_u32_e32 v15, vcc, v17, v15, vcc
	v_add_co_u32_e32 v14, vcc, 4, v14
	s_add_u32 s2, s26, -1
	v_addc_co_u32_e32 v15, vcc, 0, v15, vcc
	s_addc_u32 s3, s27, -1
	s_mov_b64 s[8:9], 0
	s_mov_b64 s[40:41], 0
                                        ; implicit-def: $sgpr36_sgpr37
	s_branch .LBB459_32
.LBB459_30:                             ;   in Loop: Header=BB459_32 Depth=1
	global_load_dword v18, v[14:15], off
	global_load_dword v19, v[12:13], off
	v_add_co_u32_e32 v12, vcc, 4, v12
	v_addc_co_u32_e32 v13, vcc, 0, v13, vcc
	v_add_co_u32_e32 v14, vcc, 4, v14
	v_addc_co_u32_e32 v15, vcc, 0, v15, vcc
	s_add_u32 s40, s40, 1
	s_addc_u32 s41, s41, 0
	s_andn2_b64 s[36:37], s[36:37], exec
	s_waitcnt vmcnt(0)
	v_cmp_ne_u32_e32 vcc, v18, v19
	s_and_b64 s[42:43], vcc, exec
	s_or_b64 s[36:37], s[36:37], s[42:43]
.LBB459_31:                             ;   in Loop: Header=BB459_32 Depth=1
	s_and_b64 s[42:43], exec, s[36:37]
	s_or_b64 s[8:9], s[42:43], s[8:9]
	v_pk_mov_b32 v[18:19], s[40:41], s[40:41] op_sel:[0,1]
	s_andn2_b64 exec, exec, s[8:9]
	s_cbranch_execz .LBB459_34
.LBB459_32:                             ; =>This Inner Loop Header: Depth=1
	s_or_b64 s[36:37], s[36:37], exec
	s_cmp_eq_u64 s[2:3], s[40:41]
	s_cbranch_scc0 .LBB459_30
; %bb.33:                               ;   in Loop: Header=BB459_32 Depth=1
                                        ; implicit-def: $vgpr12_vgpr13
                                        ; implicit-def: $vgpr14_vgpr15
	s_mov_b64 s[40:41], s[26:27]
	s_branch .LBB459_31
.LBB459_34:
	s_or_b64 exec, exec, s[8:9]
	v_cmp_gt_i64_e32 vcc, s[26:27], v[18:19]
	s_orn2_b64 s[36:37], vcc, exec
.LBB459_35:
	s_or_b64 exec, exec, s[38:39]
.LBB459_36:
	v_mul_lo_u32 v14, v9, s26
	v_mul_lo_u32 v15, v8, s27
	v_mad_u64_u32 v[12:13], s[2:3], v8, s26, 0
	v_add3_u32 v13, v13, v15, v14
	s_and_b64 vcc, exec, s[0:1]
	v_lshlrev_b64 v[14:15], 2, v[12:13]
	s_cbranch_vccnz .LBB459_45
; %bb.37:
	v_mov_b32_e32 v12, s29
	v_add_co_u32_e32 v18, vcc, s28, v14
	v_addc_co_u32_e64 v19, s[2:3], v12, v15, vcc
	v_mov_b32_e32 v13, s29
	v_add_co_u32_e64 v12, s[2:3], s28, v16
	v_addc_co_u32_e64 v13, s[8:9], v13, v17, s[2:3]
	global_load_dword v16, v[18:19], off
	global_load_dword v26, v[12:13], off
	s_mov_b64 s[18:19], -1
	s_waitcnt vmcnt(0)
	v_cmp_eq_u32_e64 s[8:9], v16, v26
	s_and_saveexec_b64 s[38:39], s[8:9]
	s_cbranch_execz .LBB459_44
; %bb.38:
	v_mov_b32_e32 v13, s29
	v_addc_co_u32_e64 v13, s[2:3], v17, v13, s[2:3]
	v_add_co_u32_e64 v12, s[2:3], 4, v12
	v_mov_b32_e32 v16, s29
	v_addc_co_u32_e64 v13, s[2:3], 0, v13, s[2:3]
	v_addc_co_u32_e32 v17, vcc, v15, v16, vcc
	v_add_co_u32_e32 v16, vcc, 4, v18
	s_add_u32 s2, s26, -1
	v_addc_co_u32_e32 v17, vcc, 0, v17, vcc
	s_addc_u32 s3, s27, -1
	s_mov_b64 s[8:9], 0
	s_mov_b64 s[40:41], 0
                                        ; implicit-def: $sgpr18_sgpr19
	s_branch .LBB459_41
.LBB459_39:                             ;   in Loop: Header=BB459_41 Depth=1
	global_load_dword v18, v[16:17], off
	global_load_dword v19, v[12:13], off
	v_add_co_u32_e32 v12, vcc, 4, v12
	v_addc_co_u32_e32 v13, vcc, 0, v13, vcc
	v_add_co_u32_e32 v16, vcc, 4, v16
	v_addc_co_u32_e32 v17, vcc, 0, v17, vcc
	s_add_u32 s40, s40, 1
	s_addc_u32 s41, s41, 0
	s_andn2_b64 s[18:19], s[18:19], exec
	s_waitcnt vmcnt(0)
	v_cmp_ne_u32_e32 vcc, v18, v19
	s_and_b64 s[42:43], vcc, exec
	s_or_b64 s[18:19], s[18:19], s[42:43]
.LBB459_40:                             ;   in Loop: Header=BB459_41 Depth=1
	s_and_b64 s[42:43], exec, s[18:19]
	s_or_b64 s[8:9], s[42:43], s[8:9]
	v_pk_mov_b32 v[18:19], s[40:41], s[40:41] op_sel:[0,1]
	s_andn2_b64 exec, exec, s[8:9]
	s_cbranch_execz .LBB459_43
.LBB459_41:                             ; =>This Inner Loop Header: Depth=1
	s_or_b64 s[18:19], s[18:19], exec
	s_cmp_eq_u64 s[2:3], s[40:41]
	s_cbranch_scc0 .LBB459_39
; %bb.42:                               ;   in Loop: Header=BB459_41 Depth=1
                                        ; implicit-def: $vgpr12_vgpr13
                                        ; implicit-def: $vgpr16_vgpr17
	s_mov_b64 s[40:41], s[26:27]
	s_branch .LBB459_40
.LBB459_43:
	s_or_b64 exec, exec, s[8:9]
	v_cmp_gt_i64_e32 vcc, s[26:27], v[18:19]
	s_orn2_b64 s[18:19], vcc, exec
.LBB459_44:
	s_or_b64 exec, exec, s[38:39]
.LBB459_45:
	v_mul_lo_u32 v16, v7, s26
	v_mul_lo_u32 v17, v6, s27
	v_mad_u64_u32 v[12:13], s[2:3], v6, s26, 0
	v_add3_u32 v13, v13, v17, v16
	s_mov_b64 s[40:41], 0
	s_and_b64 vcc, exec, s[0:1]
	v_lshlrev_b64 v[12:13], 2, v[12:13]
	s_cbranch_vccnz .LBB459_54
; %bb.46:
	v_mov_b32_e32 v17, s29
	v_add_co_u32_e32 v16, vcc, s28, v12
	v_addc_co_u32_e64 v17, s[2:3], v17, v13, vcc
	v_mov_b32_e32 v19, s29
	v_add_co_u32_e64 v18, s[2:3], s28, v14
	v_addc_co_u32_e64 v19, s[8:9], v19, v15, s[2:3]
	global_load_dword v14, v[16:17], off
	global_load_dword v26, v[18:19], off
	s_mov_b64 s[40:41], -1
	s_waitcnt vmcnt(0)
	v_cmp_eq_u32_e64 s[8:9], v14, v26
	s_and_saveexec_b64 s[38:39], s[8:9]
	s_cbranch_execz .LBB459_53
; %bb.47:
	v_mov_b32_e32 v14, s29
	v_addc_co_u32_e64 v15, s[2:3], v15, v14, s[2:3]
	v_add_co_u32_e64 v14, s[2:3], 4, v18
	v_mov_b32_e32 v17, s29
	v_addc_co_u32_e64 v15, s[2:3], 0, v15, s[2:3]
	v_addc_co_u32_e32 v17, vcc, v13, v17, vcc
	v_add_co_u32_e32 v16, vcc, 4, v16
	s_add_u32 s2, s26, -1
	v_addc_co_u32_e32 v17, vcc, 0, v17, vcc
	s_addc_u32 s3, s27, -1
	s_mov_b64 s[8:9], 0
	s_mov_b64 s[42:43], 0
                                        ; implicit-def: $sgpr40_sgpr41
	s_branch .LBB459_50
.LBB459_48:                             ;   in Loop: Header=BB459_50 Depth=1
	global_load_dword v18, v[16:17], off
	global_load_dword v19, v[14:15], off
	v_add_co_u32_e32 v14, vcc, 4, v14
	v_addc_co_u32_e32 v15, vcc, 0, v15, vcc
	v_add_co_u32_e32 v16, vcc, 4, v16
	v_addc_co_u32_e32 v17, vcc, 0, v17, vcc
	s_add_u32 s42, s42, 1
	s_addc_u32 s43, s43, 0
	s_andn2_b64 s[40:41], s[40:41], exec
	s_waitcnt vmcnt(0)
	v_cmp_ne_u32_e32 vcc, v18, v19
	s_and_b64 s[44:45], vcc, exec
	s_or_b64 s[40:41], s[40:41], s[44:45]
.LBB459_49:                             ;   in Loop: Header=BB459_50 Depth=1
	s_and_b64 s[44:45], exec, s[40:41]
	s_or_b64 s[8:9], s[44:45], s[8:9]
	v_pk_mov_b32 v[18:19], s[42:43], s[42:43] op_sel:[0,1]
	s_andn2_b64 exec, exec, s[8:9]
	s_cbranch_execz .LBB459_52
.LBB459_50:                             ; =>This Inner Loop Header: Depth=1
	s_or_b64 s[40:41], s[40:41], exec
	s_cmp_eq_u64 s[2:3], s[42:43]
	s_cbranch_scc0 .LBB459_48
; %bb.51:                               ;   in Loop: Header=BB459_50 Depth=1
                                        ; implicit-def: $vgpr14_vgpr15
                                        ; implicit-def: $vgpr16_vgpr17
	s_mov_b64 s[42:43], s[26:27]
	s_branch .LBB459_49
.LBB459_52:
	s_or_b64 exec, exec, s[8:9]
	v_cmp_gt_i64_e32 vcc, s[26:27], v[18:19]
	s_orn2_b64 s[40:41], vcc, exec
.LBB459_53:
	s_or_b64 exec, exec, s[38:39]
.LBB459_54:
	v_cmp_ne_u32_e32 vcc, 0, v0
	s_waitcnt lgkmcnt(0)
	v_pk_mov_b32 v[14:15], s[12:13], s[12:13] op_sel:[0,1]
	s_barrier
	s_and_saveexec_b64 s[2:3], vcc
	s_cbranch_execz .LBB459_56
; %bb.55:
	v_add_u32_e32 v14, -8, v21
	ds_read_b64 v[14:15], v14
.LBB459_56:
	s_or_b64 exec, exec, s[2:3]
	v_cndmask_b32_e64 v17, 0, 1, s[36:37]
	v_cndmask_b32_e64 v16, 0, 1, s[18:19]
	;; [unrolled: 1-line block ×3, first 2 shown]
	v_lshlrev_b16_e32 v17, 8, v17
	v_lshlrev_b16_e32 v26, 8, v18
	v_or_b32_sdwa v27, v16, v17 dst_sel:WORD_1 dst_unused:UNUSED_PAD src0_sel:DWORD src1_sel:DWORD
	s_mov_b64 s[36:37], 0
	s_and_b64 vcc, exec, s[0:1]
	s_mov_b64 s[18:19], 0
	s_cbranch_vccnz .LBB459_65
; %bb.57:
	s_waitcnt lgkmcnt(0)
	v_mul_lo_u32 v16, v15, s26
	v_mul_lo_u32 v17, v14, s27
	v_mad_u64_u32 v[14:15], s[2:3], v14, s26, 0
	v_add3_u32 v15, v15, v17, v16
	v_lshlrev_b64 v[14:15], 2, v[14:15]
	v_mov_b32_e32 v17, s29
	v_add_co_u32_e32 v16, vcc, s28, v14
	v_addc_co_u32_e64 v17, s[2:3], v17, v15, vcc
	v_mov_b32_e32 v14, s29
	v_add_co_u32_e64 v18, s[2:3], s28, v12
	v_addc_co_u32_e64 v19, s[8:9], v14, v13, s[2:3]
	global_load_dword v12, v[16:17], off
	global_load_dword v14, v[18:19], off
	s_mov_b64 s[18:19], -1
	s_waitcnt vmcnt(0)
	v_cmp_eq_u32_e64 s[8:9], v12, v14
	s_and_saveexec_b64 s[38:39], s[8:9]
	s_cbranch_execz .LBB459_64
; %bb.58:
	v_mov_b32_e32 v12, s29
	v_addc_co_u32_e64 v13, s[2:3], v13, v12, s[2:3]
	v_add_co_u32_e64 v12, s[2:3], 4, v18
	v_mov_b32_e32 v14, s29
	v_addc_co_u32_e64 v13, s[2:3], 0, v13, s[2:3]
	v_addc_co_u32_e32 v15, vcc, v15, v14, vcc
	v_add_co_u32_e32 v14, vcc, 4, v16
	s_add_u32 s2, s26, -1
	v_addc_co_u32_e32 v15, vcc, 0, v15, vcc
	s_addc_u32 s3, s27, -1
	s_mov_b64 s[8:9], 0
	s_mov_b64 s[40:41], 0
                                        ; implicit-def: $sgpr18_sgpr19
	s_branch .LBB459_61
.LBB459_59:                             ;   in Loop: Header=BB459_61 Depth=1
	global_load_dword v16, v[14:15], off
	global_load_dword v17, v[12:13], off
	v_add_co_u32_e32 v12, vcc, 4, v12
	v_addc_co_u32_e32 v13, vcc, 0, v13, vcc
	v_add_co_u32_e32 v14, vcc, 4, v14
	v_addc_co_u32_e32 v15, vcc, 0, v15, vcc
	s_add_u32 s40, s40, 1
	s_addc_u32 s41, s41, 0
	s_andn2_b64 s[18:19], s[18:19], exec
	s_waitcnt vmcnt(0)
	v_cmp_ne_u32_e32 vcc, v16, v17
	s_and_b64 s[42:43], vcc, exec
	s_or_b64 s[18:19], s[18:19], s[42:43]
.LBB459_60:                             ;   in Loop: Header=BB459_61 Depth=1
	s_and_b64 s[42:43], exec, s[18:19]
	s_or_b64 s[8:9], s[42:43], s[8:9]
	v_pk_mov_b32 v[16:17], s[40:41], s[40:41] op_sel:[0,1]
	s_andn2_b64 exec, exec, s[8:9]
	s_cbranch_execz .LBB459_63
.LBB459_61:                             ; =>This Inner Loop Header: Depth=1
	s_or_b64 s[18:19], s[18:19], exec
	s_cmp_eq_u64 s[2:3], s[40:41]
	s_cbranch_scc0 .LBB459_59
; %bb.62:                               ;   in Loop: Header=BB459_61 Depth=1
                                        ; implicit-def: $vgpr12_vgpr13
                                        ; implicit-def: $vgpr14_vgpr15
	s_mov_b64 s[40:41], s[26:27]
	s_branch .LBB459_60
.LBB459_63:
	s_or_b64 exec, exec, s[8:9]
	v_cmp_gt_i64_e32 vcc, s[26:27], v[16:17]
	s_orn2_b64 s[18:19], vcc, exec
.LBB459_64:
	s_or_b64 exec, exec, s[38:39]
.LBB459_65:
	v_cndmask_b32_e64 v13, 0, 1, s[14:15]
	v_or_b32_e32 v16, v26, v27
	s_and_b64 vcc, exec, s[36:37]
	s_cbranch_vccz .LBB459_124
.LBB459_66:
	v_cmp_gt_u32_e32 vcc, s7, v23
	s_mov_b64 s[18:19], 0
	s_mov_b64 s[14:15], 0
	s_and_saveexec_b64 s[36:37], vcc
	s_cbranch_execz .LBB459_77
; %bb.67:
	s_and_b64 vcc, exec, s[0:1]
	s_mov_b64 s[38:39], 0
	s_cbranch_vccnz .LBB459_76
; %bb.68:
	s_waitcnt lgkmcnt(0)
	v_mul_lo_u32 v14, v5, s26
	v_mul_lo_u32 v15, v4, s27
	v_mad_u64_u32 v[12:13], s[2:3], v4, s26, 0
	v_add3_u32 v13, v13, v15, v14
	v_mul_lo_u32 v14, v11, s26
	v_mul_lo_u32 v15, v10, s27
	v_mad_u64_u32 v[18:19], s[2:3], v10, s26, 0
	v_add3_u32 v19, v19, v15, v14
	v_lshlrev_b64 v[14:15], 2, v[12:13]
	v_mov_b32_e32 v12, s29
	v_add_co_u32_e32 v16, vcc, s28, v14
	v_addc_co_u32_e64 v17, s[2:3], v12, v15, vcc
	v_lshlrev_b64 v[12:13], 2, v[18:19]
	v_mov_b32_e32 v14, s29
	v_add_co_u32_e64 v18, s[2:3], s28, v12
	v_addc_co_u32_e64 v19, s[8:9], v14, v13, s[2:3]
	global_load_dword v12, v[16:17], off
	global_load_dword v14, v[18:19], off
	s_mov_b64 s[38:39], -1
	s_waitcnt vmcnt(0)
	v_cmp_eq_u32_e64 s[8:9], v12, v14
	s_and_saveexec_b64 s[14:15], s[8:9]
	s_cbranch_execz .LBB459_75
; %bb.69:
	v_mov_b32_e32 v12, s29
	v_addc_co_u32_e64 v13, s[2:3], v13, v12, s[2:3]
	v_add_co_u32_e64 v12, s[2:3], 4, v18
	v_mov_b32_e32 v14, s29
	v_addc_co_u32_e64 v13, s[2:3], 0, v13, s[2:3]
	v_addc_co_u32_e32 v15, vcc, v15, v14, vcc
	v_add_co_u32_e32 v14, vcc, 4, v16
	s_add_u32 s2, s26, -1
	v_addc_co_u32_e32 v15, vcc, 0, v15, vcc
	s_addc_u32 s3, s27, -1
	s_mov_b64 s[8:9], 0
	s_mov_b64 s[40:41], 0
                                        ; implicit-def: $sgpr38_sgpr39
	s_branch .LBB459_72
.LBB459_70:                             ;   in Loop: Header=BB459_72 Depth=1
	global_load_dword v16, v[14:15], off
	global_load_dword v17, v[12:13], off
	v_add_co_u32_e32 v12, vcc, 4, v12
	v_addc_co_u32_e32 v13, vcc, 0, v13, vcc
	v_add_co_u32_e32 v14, vcc, 4, v14
	v_addc_co_u32_e32 v15, vcc, 0, v15, vcc
	s_add_u32 s40, s40, 1
	s_addc_u32 s41, s41, 0
	s_andn2_b64 s[38:39], s[38:39], exec
	s_waitcnt vmcnt(0)
	v_cmp_ne_u32_e32 vcc, v16, v17
	s_and_b64 s[42:43], vcc, exec
	s_or_b64 s[38:39], s[38:39], s[42:43]
.LBB459_71:                             ;   in Loop: Header=BB459_72 Depth=1
	s_and_b64 s[42:43], exec, s[38:39]
	s_or_b64 s[8:9], s[42:43], s[8:9]
	v_pk_mov_b32 v[16:17], s[40:41], s[40:41] op_sel:[0,1]
	s_andn2_b64 exec, exec, s[8:9]
	s_cbranch_execz .LBB459_74
.LBB459_72:                             ; =>This Inner Loop Header: Depth=1
	s_or_b64 s[38:39], s[38:39], exec
	s_cmp_eq_u64 s[2:3], s[40:41]
	s_cbranch_scc0 .LBB459_70
; %bb.73:                               ;   in Loop: Header=BB459_72 Depth=1
                                        ; implicit-def: $vgpr12_vgpr13
                                        ; implicit-def: $vgpr14_vgpr15
	s_mov_b64 s[40:41], s[26:27]
	s_branch .LBB459_71
.LBB459_74:
	s_or_b64 exec, exec, s[8:9]
	v_cmp_gt_i64_e32 vcc, s[26:27], v[16:17]
	s_orn2_b64 s[38:39], vcc, exec
.LBB459_75:
	s_or_b64 exec, exec, s[14:15]
.LBB459_76:
	s_and_b64 s[14:15], s[38:39], exec
.LBB459_77:
	s_or_b64 exec, exec, s[36:37]
	v_cmp_gt_u32_e32 vcc, s7, v25
	s_and_saveexec_b64 s[36:37], vcc
	s_cbranch_execz .LBB459_88
; %bb.78:
	s_and_b64 vcc, exec, s[0:1]
	s_mov_b64 s[38:39], 0
	s_cbranch_vccnz .LBB459_87
; %bb.79:
	s_waitcnt lgkmcnt(0)
	v_mul_lo_u32 v14, v3, s26
	v_mul_lo_u32 v15, v2, s27
	v_mad_u64_u32 v[12:13], s[2:3], v2, s26, 0
	v_add3_u32 v13, v13, v15, v14
	v_mul_lo_u32 v14, v5, s26
	v_mul_lo_u32 v15, v4, s27
	v_mad_u64_u32 v[18:19], s[2:3], v4, s26, 0
	v_add3_u32 v19, v19, v15, v14
	v_lshlrev_b64 v[14:15], 2, v[12:13]
	v_mov_b32_e32 v12, s29
	v_add_co_u32_e32 v16, vcc, s28, v14
	v_addc_co_u32_e64 v17, s[2:3], v12, v15, vcc
	v_lshlrev_b64 v[12:13], 2, v[18:19]
	v_mov_b32_e32 v14, s29
	v_add_co_u32_e64 v18, s[2:3], s28, v12
	v_addc_co_u32_e64 v19, s[8:9], v14, v13, s[2:3]
	global_load_dword v12, v[16:17], off
	global_load_dword v14, v[18:19], off
	s_mov_b64 s[38:39], -1
	s_waitcnt vmcnt(0)
	v_cmp_eq_u32_e64 s[8:9], v12, v14
	s_and_saveexec_b64 s[18:19], s[8:9]
	s_cbranch_execz .LBB459_86
; %bb.80:
	v_mov_b32_e32 v12, s29
	v_addc_co_u32_e64 v13, s[2:3], v13, v12, s[2:3]
	v_add_co_u32_e64 v12, s[2:3], 4, v18
	v_mov_b32_e32 v14, s29
	v_addc_co_u32_e64 v13, s[2:3], 0, v13, s[2:3]
	v_addc_co_u32_e32 v15, vcc, v15, v14, vcc
	v_add_co_u32_e32 v14, vcc, 4, v16
	s_add_u32 s2, s26, -1
	v_addc_co_u32_e32 v15, vcc, 0, v15, vcc
	s_addc_u32 s3, s27, -1
	s_mov_b64 s[8:9], 0
	s_mov_b64 s[40:41], 0
                                        ; implicit-def: $sgpr38_sgpr39
	s_branch .LBB459_83
.LBB459_81:                             ;   in Loop: Header=BB459_83 Depth=1
	global_load_dword v16, v[14:15], off
	global_load_dword v17, v[12:13], off
	v_add_co_u32_e32 v12, vcc, 4, v12
	v_addc_co_u32_e32 v13, vcc, 0, v13, vcc
	v_add_co_u32_e32 v14, vcc, 4, v14
	v_addc_co_u32_e32 v15, vcc, 0, v15, vcc
	s_add_u32 s40, s40, 1
	s_addc_u32 s41, s41, 0
	s_andn2_b64 s[38:39], s[38:39], exec
	s_waitcnt vmcnt(0)
	v_cmp_ne_u32_e32 vcc, v16, v17
	s_and_b64 s[42:43], vcc, exec
	s_or_b64 s[38:39], s[38:39], s[42:43]
.LBB459_82:                             ;   in Loop: Header=BB459_83 Depth=1
	s_and_b64 s[42:43], exec, s[38:39]
	s_or_b64 s[8:9], s[42:43], s[8:9]
	v_pk_mov_b32 v[16:17], s[40:41], s[40:41] op_sel:[0,1]
	s_andn2_b64 exec, exec, s[8:9]
	s_cbranch_execz .LBB459_85
.LBB459_83:                             ; =>This Inner Loop Header: Depth=1
	s_or_b64 s[38:39], s[38:39], exec
	s_cmp_eq_u64 s[2:3], s[40:41]
	s_cbranch_scc0 .LBB459_81
; %bb.84:                               ;   in Loop: Header=BB459_83 Depth=1
                                        ; implicit-def: $vgpr12_vgpr13
                                        ; implicit-def: $vgpr14_vgpr15
	s_mov_b64 s[40:41], s[26:27]
	s_branch .LBB459_82
.LBB459_85:
	s_or_b64 exec, exec, s[8:9]
	v_cmp_gt_i64_e32 vcc, s[26:27], v[16:17]
	s_orn2_b64 s[38:39], vcc, exec
.LBB459_86:
	s_or_b64 exec, exec, s[18:19]
.LBB459_87:
	s_and_b64 s[18:19], s[38:39], exec
.LBB459_88:
	s_or_b64 exec, exec, s[36:37]
	v_cmp_gt_u32_e32 vcc, s7, v22
	s_mov_b64 s[36:37], 0
	s_mov_b64 s[38:39], 0
	s_and_saveexec_b64 s[40:41], vcc
	s_cbranch_execz .LBB459_99
; %bb.89:
	s_and_b64 vcc, exec, s[0:1]
	s_mov_b64 s[42:43], 0
	s_cbranch_vccnz .LBB459_98
; %bb.90:
	s_waitcnt lgkmcnt(0)
	v_mul_lo_u32 v14, v9, s26
	v_mul_lo_u32 v15, v8, s27
	v_mad_u64_u32 v[12:13], s[2:3], v8, s26, 0
	v_add3_u32 v13, v13, v15, v14
	v_mul_lo_u32 v14, v3, s26
	v_mul_lo_u32 v15, v2, s27
	v_mad_u64_u32 v[18:19], s[2:3], v2, s26, 0
	v_add3_u32 v19, v19, v15, v14
	v_lshlrev_b64 v[14:15], 2, v[12:13]
	v_mov_b32_e32 v12, s29
	v_add_co_u32_e32 v16, vcc, s28, v14
	v_addc_co_u32_e64 v17, s[2:3], v12, v15, vcc
	v_lshlrev_b64 v[12:13], 2, v[18:19]
	v_mov_b32_e32 v14, s29
	v_add_co_u32_e64 v18, s[2:3], s28, v12
	v_addc_co_u32_e64 v19, s[8:9], v14, v13, s[2:3]
	global_load_dword v12, v[16:17], off
	global_load_dword v14, v[18:19], off
	s_mov_b64 s[42:43], -1
	s_waitcnt vmcnt(0)
	v_cmp_eq_u32_e64 s[8:9], v12, v14
	s_and_saveexec_b64 s[38:39], s[8:9]
	s_cbranch_execz .LBB459_97
; %bb.91:
	v_mov_b32_e32 v12, s29
	v_addc_co_u32_e64 v13, s[2:3], v13, v12, s[2:3]
	v_add_co_u32_e64 v12, s[2:3], 4, v18
	v_mov_b32_e32 v14, s29
	v_addc_co_u32_e64 v13, s[2:3], 0, v13, s[2:3]
	v_addc_co_u32_e32 v15, vcc, v15, v14, vcc
	v_add_co_u32_e32 v14, vcc, 4, v16
	s_add_u32 s2, s26, -1
	v_addc_co_u32_e32 v15, vcc, 0, v15, vcc
	s_addc_u32 s3, s27, -1
	s_mov_b64 s[8:9], 0
	s_mov_b64 s[44:45], 0
                                        ; implicit-def: $sgpr42_sgpr43
	s_branch .LBB459_94
.LBB459_92:                             ;   in Loop: Header=BB459_94 Depth=1
	global_load_dword v16, v[14:15], off
	global_load_dword v17, v[12:13], off
	v_add_co_u32_e32 v12, vcc, 4, v12
	v_addc_co_u32_e32 v13, vcc, 0, v13, vcc
	v_add_co_u32_e32 v14, vcc, 4, v14
	v_addc_co_u32_e32 v15, vcc, 0, v15, vcc
	s_add_u32 s44, s44, 1
	s_addc_u32 s45, s45, 0
	s_andn2_b64 s[42:43], s[42:43], exec
	s_waitcnt vmcnt(0)
	v_cmp_ne_u32_e32 vcc, v16, v17
	s_and_b64 s[46:47], vcc, exec
	s_or_b64 s[42:43], s[42:43], s[46:47]
.LBB459_93:                             ;   in Loop: Header=BB459_94 Depth=1
	s_and_b64 s[46:47], exec, s[42:43]
	s_or_b64 s[8:9], s[46:47], s[8:9]
	v_pk_mov_b32 v[16:17], s[44:45], s[44:45] op_sel:[0,1]
	s_andn2_b64 exec, exec, s[8:9]
	s_cbranch_execz .LBB459_96
.LBB459_94:                             ; =>This Inner Loop Header: Depth=1
	s_or_b64 s[42:43], s[42:43], exec
	s_cmp_eq_u64 s[2:3], s[44:45]
	s_cbranch_scc0 .LBB459_92
; %bb.95:                               ;   in Loop: Header=BB459_94 Depth=1
                                        ; implicit-def: $vgpr12_vgpr13
                                        ; implicit-def: $vgpr14_vgpr15
	s_mov_b64 s[44:45], s[26:27]
	s_branch .LBB459_93
.LBB459_96:
	s_or_b64 exec, exec, s[8:9]
	v_cmp_gt_i64_e32 vcc, s[26:27], v[16:17]
	s_orn2_b64 s[42:43], vcc, exec
.LBB459_97:
	s_or_b64 exec, exec, s[38:39]
.LBB459_98:
	s_and_b64 s[38:39], s[42:43], exec
.LBB459_99:
	s_or_b64 exec, exec, s[40:41]
	v_cmp_gt_u32_e32 vcc, s7, v24
	s_and_saveexec_b64 s[40:41], vcc
	s_cbranch_execz .LBB459_110
; %bb.100:
	s_and_b64 vcc, exec, s[0:1]
	s_mov_b64 s[42:43], 0
	s_cbranch_vccnz .LBB459_109
; %bb.101:
	s_waitcnt lgkmcnt(0)
	v_mul_lo_u32 v14, v7, s26
	v_mul_lo_u32 v15, v6, s27
	v_mad_u64_u32 v[12:13], s[2:3], v6, s26, 0
	v_add3_u32 v13, v13, v15, v14
	v_mul_lo_u32 v14, v9, s26
	v_mul_lo_u32 v15, v8, s27
	v_mad_u64_u32 v[18:19], s[2:3], v8, s26, 0
	v_add3_u32 v19, v19, v15, v14
	v_lshlrev_b64 v[14:15], 2, v[12:13]
	v_mov_b32_e32 v12, s29
	v_add_co_u32_e32 v16, vcc, s28, v14
	v_addc_co_u32_e64 v17, s[2:3], v12, v15, vcc
	v_lshlrev_b64 v[12:13], 2, v[18:19]
	v_mov_b32_e32 v14, s29
	v_add_co_u32_e64 v18, s[2:3], s28, v12
	v_addc_co_u32_e64 v19, s[8:9], v14, v13, s[2:3]
	global_load_dword v12, v[16:17], off
	global_load_dword v14, v[18:19], off
	s_mov_b64 s[42:43], -1
	s_waitcnt vmcnt(0)
	v_cmp_eq_u32_e64 s[8:9], v12, v14
	s_and_saveexec_b64 s[36:37], s[8:9]
	s_cbranch_execz .LBB459_108
; %bb.102:
	v_mov_b32_e32 v12, s29
	v_addc_co_u32_e64 v13, s[2:3], v13, v12, s[2:3]
	v_add_co_u32_e64 v12, s[2:3], 4, v18
	v_mov_b32_e32 v14, s29
	v_addc_co_u32_e64 v13, s[2:3], 0, v13, s[2:3]
	v_addc_co_u32_e32 v15, vcc, v15, v14, vcc
	v_add_co_u32_e32 v14, vcc, 4, v16
	s_add_u32 s2, s26, -1
	v_addc_co_u32_e32 v15, vcc, 0, v15, vcc
	s_addc_u32 s3, s27, -1
	s_mov_b64 s[8:9], 0
	s_mov_b64 s[44:45], 0
                                        ; implicit-def: $sgpr42_sgpr43
	s_branch .LBB459_105
.LBB459_103:                            ;   in Loop: Header=BB459_105 Depth=1
	global_load_dword v16, v[14:15], off
	global_load_dword v17, v[12:13], off
	v_add_co_u32_e32 v12, vcc, 4, v12
	v_addc_co_u32_e32 v13, vcc, 0, v13, vcc
	v_add_co_u32_e32 v14, vcc, 4, v14
	v_addc_co_u32_e32 v15, vcc, 0, v15, vcc
	s_add_u32 s44, s44, 1
	s_addc_u32 s45, s45, 0
	s_andn2_b64 s[42:43], s[42:43], exec
	s_waitcnt vmcnt(0)
	v_cmp_ne_u32_e32 vcc, v16, v17
	s_and_b64 s[46:47], vcc, exec
	s_or_b64 s[42:43], s[42:43], s[46:47]
.LBB459_104:                            ;   in Loop: Header=BB459_105 Depth=1
	s_and_b64 s[46:47], exec, s[42:43]
	s_or_b64 s[8:9], s[46:47], s[8:9]
	v_pk_mov_b32 v[16:17], s[44:45], s[44:45] op_sel:[0,1]
	s_andn2_b64 exec, exec, s[8:9]
	s_cbranch_execz .LBB459_107
.LBB459_105:                            ; =>This Inner Loop Header: Depth=1
	s_or_b64 s[42:43], s[42:43], exec
	s_cmp_eq_u64 s[2:3], s[44:45]
	s_cbranch_scc0 .LBB459_103
; %bb.106:                              ;   in Loop: Header=BB459_105 Depth=1
                                        ; implicit-def: $vgpr12_vgpr13
                                        ; implicit-def: $vgpr14_vgpr15
	s_mov_b64 s[44:45], s[26:27]
	s_branch .LBB459_104
.LBB459_107:
	s_or_b64 exec, exec, s[8:9]
	v_cmp_gt_i64_e32 vcc, s[26:27], v[16:17]
	s_orn2_b64 s[42:43], vcc, exec
.LBB459_108:
	s_or_b64 exec, exec, s[36:37]
.LBB459_109:
	s_and_b64 s[36:37], s[42:43], exec
.LBB459_110:
	s_or_b64 exec, exec, s[40:41]
	v_cmp_ne_u32_e32 vcc, 0, v0
	s_waitcnt lgkmcnt(0)
	v_pk_mov_b32 v[12:13], s[12:13], s[12:13] op_sel:[0,1]
	s_barrier
	s_and_saveexec_b64 s[2:3], vcc
	s_cbranch_execz .LBB459_112
; %bb.111:
	v_add_u32_e32 v12, -8, v21
	ds_read_b64 v[12:13], v12
.LBB459_112:
	s_or_b64 exec, exec, s[2:3]
	v_cndmask_b32_e64 v15, 0, 1, s[18:19]
	v_cndmask_b32_e64 v14, 0, 1, s[38:39]
	;; [unrolled: 1-line block ×3, first 2 shown]
	v_lshlrev_b16_e32 v15, 8, v15
	v_cmp_gt_u32_e32 vcc, s7, v1
	v_lshlrev_b16_e32 v21, 8, v16
	v_or_b32_sdwa v26, v14, v15 dst_sel:WORD_1 dst_unused:UNUSED_PAD src0_sel:DWORD src1_sel:DWORD
	s_mov_b64 s[18:19], 0
	s_and_saveexec_b64 s[8:9], vcc
	s_cbranch_execz .LBB459_123
; %bb.113:
	s_and_b64 vcc, exec, s[0:1]
	s_cbranch_vccnz .LBB459_122
; %bb.114:
	s_waitcnt lgkmcnt(0)
	v_mul_lo_u32 v14, v13, s26
	v_mul_lo_u32 v15, v12, s27
	v_mad_u64_u32 v[12:13], s[0:1], v12, s26, 0
	v_add3_u32 v13, v13, v15, v14
	v_mul_lo_u32 v14, v7, s26
	v_mul_lo_u32 v15, v6, s27
	v_mad_u64_u32 v[18:19], s[0:1], v6, s26, 0
	v_add3_u32 v19, v19, v15, v14
	v_lshlrev_b64 v[14:15], 2, v[12:13]
	v_mov_b32_e32 v12, s29
	v_add_co_u32_e32 v16, vcc, s28, v14
	v_addc_co_u32_e64 v17, s[0:1], v12, v15, vcc
	v_lshlrev_b64 v[12:13], 2, v[18:19]
	v_mov_b32_e32 v14, s29
	v_add_co_u32_e64 v18, s[0:1], s28, v12
	v_addc_co_u32_e64 v19, s[2:3], v14, v13, s[0:1]
	global_load_dword v12, v[16:17], off
	global_load_dword v14, v[18:19], off
	s_mov_b64 s[18:19], -1
	s_waitcnt vmcnt(0)
	v_cmp_eq_u32_e64 s[2:3], v12, v14
	s_and_saveexec_b64 s[12:13], s[2:3]
	s_cbranch_execz .LBB459_121
; %bb.115:
	v_mov_b32_e32 v12, s29
	v_addc_co_u32_e64 v13, s[0:1], v13, v12, s[0:1]
	v_add_co_u32_e64 v12, s[0:1], 4, v18
	v_mov_b32_e32 v14, s29
	v_addc_co_u32_e64 v13, s[0:1], 0, v13, s[0:1]
	v_addc_co_u32_e32 v15, vcc, v15, v14, vcc
	v_add_co_u32_e32 v14, vcc, 4, v16
	s_add_u32 s0, s26, -1
	v_addc_co_u32_e32 v15, vcc, 0, v15, vcc
	s_addc_u32 s1, s27, -1
	s_mov_b64 s[2:3], 0
	s_mov_b64 s[36:37], 0
                                        ; implicit-def: $sgpr18_sgpr19
	s_branch .LBB459_118
.LBB459_116:                            ;   in Loop: Header=BB459_118 Depth=1
	global_load_dword v16, v[14:15], off
	global_load_dword v17, v[12:13], off
	v_add_co_u32_e32 v12, vcc, 4, v12
	v_addc_co_u32_e32 v13, vcc, 0, v13, vcc
	v_add_co_u32_e32 v14, vcc, 4, v14
	v_addc_co_u32_e32 v15, vcc, 0, v15, vcc
	s_add_u32 s36, s36, 1
	s_addc_u32 s37, s37, 0
	s_andn2_b64 s[18:19], s[18:19], exec
	s_waitcnt vmcnt(0)
	v_cmp_ne_u32_e32 vcc, v16, v17
	s_and_b64 s[38:39], vcc, exec
	s_or_b64 s[18:19], s[18:19], s[38:39]
.LBB459_117:                            ;   in Loop: Header=BB459_118 Depth=1
	s_and_b64 s[38:39], exec, s[18:19]
	s_or_b64 s[2:3], s[38:39], s[2:3]
	v_pk_mov_b32 v[16:17], s[36:37], s[36:37] op_sel:[0,1]
	s_andn2_b64 exec, exec, s[2:3]
	s_cbranch_execz .LBB459_120
.LBB459_118:                            ; =>This Inner Loop Header: Depth=1
	s_or_b64 s[18:19], s[18:19], exec
	s_cmp_eq_u64 s[0:1], s[36:37]
	s_cbranch_scc0 .LBB459_116
; %bb.119:                              ;   in Loop: Header=BB459_118 Depth=1
                                        ; implicit-def: $vgpr12_vgpr13
                                        ; implicit-def: $vgpr14_vgpr15
	s_mov_b64 s[36:37], s[26:27]
	s_branch .LBB459_117
.LBB459_120:
	s_or_b64 exec, exec, s[2:3]
	v_cmp_gt_i64_e32 vcc, s[26:27], v[16:17]
	s_orn2_b64 s[18:19], vcc, exec
.LBB459_121:
	s_or_b64 exec, exec, s[12:13]
.LBB459_122:
	s_and_b64 s[18:19], s[18:19], exec
.LBB459_123:
	s_or_b64 exec, exec, s[8:9]
	s_waitcnt lgkmcnt(0)
	v_cndmask_b32_e64 v13, 0, 1, s[14:15]
	v_or_b32_e32 v16, v21, v26
.LBB459_124:
	s_waitcnt lgkmcnt(0)
	s_mov_b64 s[12:13], -1
	s_cbranch_execnz .LBB459_233
.LBB459_125:
	v_lshlrev_b32_e32 v12, 5, v0
	v_sub_u32_e32 v26, v20, v12
	s_mov_b64 s[18:19], 0
	v_cmp_gt_i64_e64 s[14:15], s[26:27], 0
	s_and_b64 vcc, exec, s[34:35]
	ds_write_b64 v26, v[10:11]
	s_cbranch_vccz .LBB459_133
; %bb.126:
	v_mul_lo_u32 v14, v5, s26
	v_mul_lo_u32 v15, v4, s27
	v_mad_u64_u32 v[12:13], s[0:1], v4, s26, 0
	v_add3_u32 v13, v13, v15, v14
	v_cndmask_b32_e64 v14, 0, 1, s[14:15]
	v_cmp_ne_u32_e64 s[0:1], 1, v14
	s_andn2_b64 vcc, exec, s[14:15]
	v_lshlrev_b64 v[12:13], 2, v[12:13]
	s_cbranch_vccnz .LBB459_136
; %bb.127:
	v_mul_lo_u32 v16, v11, s26
	v_mul_lo_u32 v17, v10, s27
	v_mad_u64_u32 v[14:15], s[2:3], v10, s26, 0
	v_add3_u32 v15, v15, v17, v16
	v_mov_b32_e32 v17, s29
	v_add_co_u32_e32 v16, vcc, s28, v12
	v_addc_co_u32_e64 v17, s[2:3], v17, v13, vcc
	v_lshlrev_b64 v[14:15], 2, v[14:15]
	v_mov_b32_e32 v19, s29
	v_add_co_u32_e64 v18, s[2:3], s28, v14
	v_addc_co_u32_e64 v19, s[8:9], v19, v15, s[2:3]
	global_load_dword v14, v[16:17], off
	global_load_dword v20, v[18:19], off
	s_mov_b64 s[18:19], -1
	s_waitcnt vmcnt(0)
	v_cmp_eq_u32_e64 s[8:9], v14, v20
	s_and_saveexec_b64 s[36:37], s[8:9]
	s_cbranch_execz .LBB459_135
; %bb.128:
	v_mov_b32_e32 v14, s29
	v_addc_co_u32_e64 v15, s[2:3], v15, v14, s[2:3]
	v_add_co_u32_e64 v14, s[2:3], 4, v18
	v_mov_b32_e32 v17, s29
	v_addc_co_u32_e64 v15, s[2:3], 0, v15, s[2:3]
	v_addc_co_u32_e32 v17, vcc, v13, v17, vcc
	v_add_co_u32_e32 v16, vcc, 4, v16
	s_add_u32 s2, s26, -1
	v_addc_co_u32_e32 v17, vcc, 0, v17, vcc
	s_addc_u32 s3, s27, -1
	s_mov_b64 s[8:9], 0
	s_mov_b64 s[38:39], 0
                                        ; implicit-def: $sgpr18_sgpr19
	s_branch .LBB459_131
.LBB459_129:                            ;   in Loop: Header=BB459_131 Depth=1
	global_load_dword v18, v[16:17], off
	global_load_dword v19, v[14:15], off
	v_add_co_u32_e32 v14, vcc, 4, v14
	v_addc_co_u32_e32 v15, vcc, 0, v15, vcc
	v_add_co_u32_e32 v16, vcc, 4, v16
	v_addc_co_u32_e32 v17, vcc, 0, v17, vcc
	s_add_u32 s38, s38, 1
	s_addc_u32 s39, s39, 0
	s_andn2_b64 s[18:19], s[18:19], exec
	s_waitcnt vmcnt(0)
	v_cmp_ne_u32_e32 vcc, v18, v19
	s_and_b64 s[40:41], vcc, exec
	s_or_b64 s[18:19], s[18:19], s[40:41]
.LBB459_130:                            ;   in Loop: Header=BB459_131 Depth=1
	s_and_b64 s[40:41], exec, s[18:19]
	s_or_b64 s[8:9], s[40:41], s[8:9]
	v_pk_mov_b32 v[18:19], s[38:39], s[38:39] op_sel:[0,1]
	s_andn2_b64 exec, exec, s[8:9]
	s_cbranch_execz .LBB459_134
.LBB459_131:                            ; =>This Inner Loop Header: Depth=1
	s_or_b64 s[18:19], s[18:19], exec
	s_cmp_eq_u64 s[2:3], s[38:39]
	s_cbranch_scc0 .LBB459_129
; %bb.132:                              ;   in Loop: Header=BB459_131 Depth=1
                                        ; implicit-def: $vgpr14_vgpr15
                                        ; implicit-def: $vgpr16_vgpr17
	s_mov_b64 s[38:39], s[26:27]
	s_branch .LBB459_130
.LBB459_133:
                                        ; implicit-def: $sgpr18_sgpr19
                                        ; implicit-def: $vgpr13
                                        ; implicit-def: $vgpr16
	s_cbranch_execnz .LBB459_175
	s_branch .LBB459_233
.LBB459_134:
	s_or_b64 exec, exec, s[8:9]
	v_cmp_gt_i64_e32 vcc, s[26:27], v[18:19]
	s_orn2_b64 s[18:19], vcc, exec
.LBB459_135:
	s_or_b64 exec, exec, s[36:37]
.LBB459_136:
	v_mul_lo_u32 v16, v3, s26
	v_mul_lo_u32 v17, v2, s27
	v_mad_u64_u32 v[14:15], s[2:3], v2, s26, 0
	v_add3_u32 v15, v15, v17, v16
	s_mov_b64 s[36:37], 0
	s_and_b64 vcc, exec, s[0:1]
	v_lshlrev_b64 v[14:15], 2, v[14:15]
	s_mov_b64 s[38:39], 0
	s_cbranch_vccnz .LBB459_145
; %bb.137:
	v_mov_b32_e32 v17, s29
	v_add_co_u32_e32 v16, vcc, s28, v14
	v_addc_co_u32_e64 v17, s[2:3], v17, v15, vcc
	v_mov_b32_e32 v19, s29
	v_add_co_u32_e64 v18, s[2:3], s28, v12
	v_addc_co_u32_e64 v19, s[8:9], v19, v13, s[2:3]
	global_load_dword v12, v[16:17], off
	global_load_dword v20, v[18:19], off
	s_mov_b64 s[38:39], -1
	s_waitcnt vmcnt(0)
	v_cmp_eq_u32_e64 s[8:9], v12, v20
	s_and_saveexec_b64 s[40:41], s[8:9]
	s_cbranch_execz .LBB459_144
; %bb.138:
	v_mov_b32_e32 v12, s29
	v_addc_co_u32_e64 v13, s[2:3], v13, v12, s[2:3]
	v_add_co_u32_e64 v12, s[2:3], 4, v18
	v_mov_b32_e32 v17, s29
	v_addc_co_u32_e64 v13, s[2:3], 0, v13, s[2:3]
	v_addc_co_u32_e32 v17, vcc, v15, v17, vcc
	v_add_co_u32_e32 v16, vcc, 4, v16
	s_add_u32 s2, s26, -1
	v_addc_co_u32_e32 v17, vcc, 0, v17, vcc
	s_addc_u32 s3, s27, -1
	s_mov_b64 s[8:9], 0
	s_mov_b64 s[42:43], 0
                                        ; implicit-def: $sgpr38_sgpr39
	s_branch .LBB459_141
.LBB459_139:                            ;   in Loop: Header=BB459_141 Depth=1
	global_load_dword v18, v[16:17], off
	global_load_dword v19, v[12:13], off
	v_add_co_u32_e32 v12, vcc, 4, v12
	v_addc_co_u32_e32 v13, vcc, 0, v13, vcc
	v_add_co_u32_e32 v16, vcc, 4, v16
	v_addc_co_u32_e32 v17, vcc, 0, v17, vcc
	s_add_u32 s42, s42, 1
	s_addc_u32 s43, s43, 0
	s_andn2_b64 s[38:39], s[38:39], exec
	s_waitcnt vmcnt(0)
	v_cmp_ne_u32_e32 vcc, v18, v19
	s_and_b64 s[44:45], vcc, exec
	s_or_b64 s[38:39], s[38:39], s[44:45]
.LBB459_140:                            ;   in Loop: Header=BB459_141 Depth=1
	s_and_b64 s[44:45], exec, s[38:39]
	s_or_b64 s[8:9], s[44:45], s[8:9]
	v_pk_mov_b32 v[18:19], s[42:43], s[42:43] op_sel:[0,1]
	s_andn2_b64 exec, exec, s[8:9]
	s_cbranch_execz .LBB459_143
.LBB459_141:                            ; =>This Inner Loop Header: Depth=1
	s_or_b64 s[38:39], s[38:39], exec
	s_cmp_eq_u64 s[2:3], s[42:43]
	s_cbranch_scc0 .LBB459_139
; %bb.142:                              ;   in Loop: Header=BB459_141 Depth=1
                                        ; implicit-def: $vgpr12_vgpr13
                                        ; implicit-def: $vgpr16_vgpr17
	s_mov_b64 s[42:43], s[26:27]
	s_branch .LBB459_140
.LBB459_143:
	s_or_b64 exec, exec, s[8:9]
	v_cmp_gt_i64_e32 vcc, s[26:27], v[18:19]
	s_orn2_b64 s[38:39], vcc, exec
.LBB459_144:
	s_or_b64 exec, exec, s[40:41]
.LBB459_145:
	v_mul_lo_u32 v16, v9, s26
	v_mul_lo_u32 v17, v8, s27
	v_mad_u64_u32 v[12:13], s[2:3], v8, s26, 0
	v_add3_u32 v13, v13, v17, v16
	s_and_b64 vcc, exec, s[0:1]
	v_lshlrev_b64 v[12:13], 2, v[12:13]
	s_cbranch_vccnz .LBB459_154
; %bb.146:
	v_mov_b32_e32 v17, s29
	v_add_co_u32_e32 v16, vcc, s28, v12
	v_addc_co_u32_e64 v17, s[2:3], v17, v13, vcc
	v_mov_b32_e32 v19, s29
	v_add_co_u32_e64 v18, s[2:3], s28, v14
	v_addc_co_u32_e64 v19, s[8:9], v19, v15, s[2:3]
	global_load_dword v14, v[16:17], off
	global_load_dword v20, v[18:19], off
	s_mov_b64 s[36:37], -1
	s_waitcnt vmcnt(0)
	v_cmp_eq_u32_e64 s[8:9], v14, v20
	s_and_saveexec_b64 s[40:41], s[8:9]
	s_cbranch_execz .LBB459_153
; %bb.147:
	v_mov_b32_e32 v14, s29
	v_addc_co_u32_e64 v15, s[2:3], v15, v14, s[2:3]
	v_add_co_u32_e64 v14, s[2:3], 4, v18
	v_mov_b32_e32 v17, s29
	v_addc_co_u32_e64 v15, s[2:3], 0, v15, s[2:3]
	v_addc_co_u32_e32 v17, vcc, v13, v17, vcc
	v_add_co_u32_e32 v16, vcc, 4, v16
	s_add_u32 s2, s26, -1
	v_addc_co_u32_e32 v17, vcc, 0, v17, vcc
	s_addc_u32 s3, s27, -1
	s_mov_b64 s[8:9], 0
	s_mov_b64 s[42:43], 0
                                        ; implicit-def: $sgpr36_sgpr37
	s_branch .LBB459_150
.LBB459_148:                            ;   in Loop: Header=BB459_150 Depth=1
	global_load_dword v18, v[16:17], off
	global_load_dword v19, v[14:15], off
	v_add_co_u32_e32 v14, vcc, 4, v14
	v_addc_co_u32_e32 v15, vcc, 0, v15, vcc
	v_add_co_u32_e32 v16, vcc, 4, v16
	v_addc_co_u32_e32 v17, vcc, 0, v17, vcc
	s_add_u32 s42, s42, 1
	s_addc_u32 s43, s43, 0
	s_andn2_b64 s[36:37], s[36:37], exec
	s_waitcnt vmcnt(0)
	v_cmp_ne_u32_e32 vcc, v18, v19
	s_and_b64 s[44:45], vcc, exec
	s_or_b64 s[36:37], s[36:37], s[44:45]
.LBB459_149:                            ;   in Loop: Header=BB459_150 Depth=1
	s_and_b64 s[44:45], exec, s[36:37]
	s_or_b64 s[8:9], s[44:45], s[8:9]
	v_pk_mov_b32 v[18:19], s[42:43], s[42:43] op_sel:[0,1]
	s_andn2_b64 exec, exec, s[8:9]
	s_cbranch_execz .LBB459_152
.LBB459_150:                            ; =>This Inner Loop Header: Depth=1
	s_or_b64 s[36:37], s[36:37], exec
	s_cmp_eq_u64 s[2:3], s[42:43]
	s_cbranch_scc0 .LBB459_148
; %bb.151:                              ;   in Loop: Header=BB459_150 Depth=1
                                        ; implicit-def: $vgpr14_vgpr15
                                        ; implicit-def: $vgpr16_vgpr17
	s_mov_b64 s[42:43], s[26:27]
	s_branch .LBB459_149
.LBB459_152:
	s_or_b64 exec, exec, s[8:9]
	v_cmp_gt_i64_e32 vcc, s[26:27], v[18:19]
	s_orn2_b64 s[36:37], vcc, exec
.LBB459_153:
	s_or_b64 exec, exec, s[40:41]
.LBB459_154:
	v_mul_lo_u32 v16, v7, s26
	v_mul_lo_u32 v17, v6, s27
	v_mad_u64_u32 v[14:15], s[2:3], v6, s26, 0
	v_add3_u32 v15, v15, v17, v16
	s_and_b64 vcc, exec, s[0:1]
	s_mov_b64 s[42:43], 0
	s_cbranch_vccnz .LBB459_163
; %bb.155:
	v_lshlrev_b64 v[16:17], 2, v[14:15]
	v_mov_b32_e32 v19, s29
	v_add_co_u32_e32 v18, vcc, s28, v16
	v_addc_co_u32_e64 v19, s[2:3], v19, v17, vcc
	v_mov_b32_e32 v16, s29
	v_add_co_u32_e64 v20, s[2:3], s28, v12
	v_addc_co_u32_e64 v21, s[8:9], v16, v13, s[2:3]
	global_load_dword v12, v[18:19], off
	global_load_dword v16, v[20:21], off
	s_mov_b64 s[42:43], -1
	s_waitcnt vmcnt(0)
	v_cmp_eq_u32_e64 s[8:9], v12, v16
	s_and_saveexec_b64 s[40:41], s[8:9]
	s_cbranch_execz .LBB459_162
; %bb.156:
	v_mov_b32_e32 v12, s29
	v_addc_co_u32_e64 v13, s[2:3], v13, v12, s[2:3]
	v_add_co_u32_e64 v12, s[2:3], 4, v20
	v_mov_b32_e32 v16, s29
	v_addc_co_u32_e64 v13, s[2:3], 0, v13, s[2:3]
	v_addc_co_u32_e32 v17, vcc, v17, v16, vcc
	v_add_co_u32_e32 v16, vcc, 4, v18
	s_add_u32 s2, s26, -1
	v_addc_co_u32_e32 v17, vcc, 0, v17, vcc
	s_addc_u32 s3, s27, -1
	s_mov_b64 s[8:9], 0
	s_mov_b64 s[44:45], 0
                                        ; implicit-def: $sgpr42_sgpr43
	s_branch .LBB459_159
.LBB459_157:                            ;   in Loop: Header=BB459_159 Depth=1
	global_load_dword v18, v[16:17], off
	global_load_dword v19, v[12:13], off
	v_add_co_u32_e32 v12, vcc, 4, v12
	v_addc_co_u32_e32 v13, vcc, 0, v13, vcc
	v_add_co_u32_e32 v16, vcc, 4, v16
	v_addc_co_u32_e32 v17, vcc, 0, v17, vcc
	s_add_u32 s44, s44, 1
	s_addc_u32 s45, s45, 0
	s_andn2_b64 s[42:43], s[42:43], exec
	s_waitcnt vmcnt(0)
	v_cmp_ne_u32_e32 vcc, v18, v19
	s_and_b64 s[46:47], vcc, exec
	s_or_b64 s[42:43], s[42:43], s[46:47]
.LBB459_158:                            ;   in Loop: Header=BB459_159 Depth=1
	s_and_b64 s[46:47], exec, s[42:43]
	s_or_b64 s[8:9], s[46:47], s[8:9]
	v_pk_mov_b32 v[18:19], s[44:45], s[44:45] op_sel:[0,1]
	s_andn2_b64 exec, exec, s[8:9]
	s_cbranch_execz .LBB459_161
.LBB459_159:                            ; =>This Inner Loop Header: Depth=1
	s_or_b64 s[42:43], s[42:43], exec
	s_cmp_eq_u64 s[2:3], s[44:45]
	s_cbranch_scc0 .LBB459_157
; %bb.160:                              ;   in Loop: Header=BB459_159 Depth=1
                                        ; implicit-def: $vgpr12_vgpr13
                                        ; implicit-def: $vgpr16_vgpr17
	s_mov_b64 s[44:45], s[26:27]
	s_branch .LBB459_158
.LBB459_161:
	s_or_b64 exec, exec, s[8:9]
	v_cmp_gt_i64_e32 vcc, s[26:27], v[18:19]
	s_orn2_b64 s[42:43], vcc, exec
.LBB459_162:
	s_or_b64 exec, exec, s[40:41]
.LBB459_163:
	v_cndmask_b32_e64 v13, 0, 1, s[38:39]
	v_cndmask_b32_e64 v16, 0, 1, s[42:43]
	;; [unrolled: 1-line block ×3, first 2 shown]
	v_lshlrev_b16_e32 v16, 8, v16
	v_lshlrev_b16_e32 v13, 8, v13
	v_or_b32_e32 v16, 1, v16
	v_or_b32_sdwa v12, v12, v13 dst_sel:WORD_1 dst_unused:UNUSED_PAD src0_sel:DWORD src1_sel:DWORD
	v_or_b32_sdwa v12, v16, v12 dst_sel:DWORD dst_unused:UNUSED_PAD src0_sel:WORD_0 src1_sel:DWORD
	v_cndmask_b32_e64 v13, 0, 1, s[18:19]
	v_cmp_ne_u32_e32 vcc, 0, v0
	s_waitcnt lgkmcnt(0)
	s_barrier
	s_waitcnt lgkmcnt(0)
                                        ; implicit-def: $sgpr18_sgpr19
                                        ; implicit-def: $vgpr16
	s_and_saveexec_b64 s[2:3], vcc
	s_xor_b64 s[8:9], exec, s[2:3]
	s_cbranch_execz .LBB459_174
; %bb.164:
	s_mov_b32 s33, 0x3020104
	s_and_b64 vcc, exec, s[0:1]
	s_mov_b64 s[36:37], 0
	s_cbranch_vccnz .LBB459_173
; %bb.165:
	v_add_u32_e32 v16, -8, v26
	ds_read_b64 v[16:17], v16
	v_mov_b32_e32 v19, s29
	v_lshlrev_b64 v[14:15], 2, v[14:15]
	s_mov_b64 s[36:37], -1
	s_waitcnt lgkmcnt(0)
	v_mul_lo_u32 v18, v17, s26
	v_mul_lo_u32 v20, v16, s27
	v_mad_u64_u32 v[16:17], s[0:1], v16, s26, 0
	v_add3_u32 v17, v17, v20, v18
	v_lshlrev_b64 v[16:17], 2, v[16:17]
	v_add_co_u32_e32 v18, vcc, s28, v16
	v_addc_co_u32_e64 v19, s[0:1], v19, v17, vcc
	v_mov_b32_e32 v16, s29
	v_add_co_u32_e64 v20, s[0:1], s28, v14
	v_addc_co_u32_e64 v21, s[2:3], v16, v15, s[0:1]
	global_load_dword v14, v[18:19], off
	global_load_dword v16, v[20:21], off
	s_waitcnt vmcnt(0)
	v_cmp_eq_u32_e64 s[2:3], v14, v16
	s_and_saveexec_b64 s[18:19], s[2:3]
	s_cbranch_execz .LBB459_172
; %bb.166:
	v_mov_b32_e32 v14, s29
	v_addc_co_u32_e64 v15, s[0:1], v15, v14, s[0:1]
	v_add_co_u32_e64 v14, s[0:1], 4, v20
	v_mov_b32_e32 v16, s29
	v_addc_co_u32_e64 v15, s[0:1], 0, v15, s[0:1]
	v_addc_co_u32_e32 v17, vcc, v17, v16, vcc
	v_add_co_u32_e32 v16, vcc, 4, v18
	s_add_u32 s0, s26, -1
	v_addc_co_u32_e32 v17, vcc, 0, v17, vcc
	s_addc_u32 s1, s27, -1
	s_mov_b64 s[2:3], 0
	s_mov_b64 s[38:39], 0
                                        ; implicit-def: $sgpr36_sgpr37
	s_branch .LBB459_169
.LBB459_167:                            ;   in Loop: Header=BB459_169 Depth=1
	global_load_dword v18, v[16:17], off
	global_load_dword v19, v[14:15], off
	v_add_co_u32_e32 v14, vcc, 4, v14
	v_addc_co_u32_e32 v15, vcc, 0, v15, vcc
	v_add_co_u32_e32 v16, vcc, 4, v16
	v_addc_co_u32_e32 v17, vcc, 0, v17, vcc
	s_add_u32 s38, s38, 1
	s_addc_u32 s39, s39, 0
	s_andn2_b64 s[36:37], s[36:37], exec
	s_waitcnt vmcnt(0)
	v_cmp_ne_u32_e32 vcc, v18, v19
	s_and_b64 s[40:41], vcc, exec
	s_or_b64 s[36:37], s[36:37], s[40:41]
.LBB459_168:                            ;   in Loop: Header=BB459_169 Depth=1
	s_and_b64 s[40:41], exec, s[36:37]
	s_or_b64 s[2:3], s[40:41], s[2:3]
	v_pk_mov_b32 v[18:19], s[38:39], s[38:39] op_sel:[0,1]
	s_andn2_b64 exec, exec, s[2:3]
	s_cbranch_execz .LBB459_171
.LBB459_169:                            ; =>This Inner Loop Header: Depth=1
	s_or_b64 s[36:37], s[36:37], exec
	s_cmp_eq_u64 s[0:1], s[38:39]
	s_cbranch_scc0 .LBB459_167
; %bb.170:                              ;   in Loop: Header=BB459_169 Depth=1
                                        ; implicit-def: $vgpr14_vgpr15
                                        ; implicit-def: $vgpr16_vgpr17
	s_mov_b64 s[38:39], s[26:27]
	s_branch .LBB459_168
.LBB459_171:
	s_or_b64 exec, exec, s[2:3]
	v_cmp_gt_i64_e32 vcc, s[26:27], v[18:19]
	s_orn2_b64 s[36:37], vcc, exec
.LBB459_172:
	s_or_b64 exec, exec, s[18:19]
.LBB459_173:
	v_perm_b32 v16, v12, v12, s33
	s_and_b64 s[18:19], s[36:37], exec
	s_or_b64 s[12:13], s[12:13], exec
.LBB459_174:
	s_or_b64 exec, exec, s[8:9]
	s_branch .LBB459_233
.LBB459_175:
	v_cmp_gt_u32_e32 vcc, s7, v23
	s_mov_b64 s[18:19], 0
	s_mov_b64 s[8:9], 0
	s_and_saveexec_b64 s[36:37], vcc
	s_cbranch_execz .LBB459_186
; %bb.176:
	s_andn2_b64 vcc, exec, s[14:15]
	s_mov_b64 s[38:39], 0
	s_cbranch_vccnz .LBB459_185
; %bb.177:
	v_mul_lo_u32 v14, v5, s26
	v_mul_lo_u32 v15, v4, s27
	v_mad_u64_u32 v[12:13], s[0:1], v4, s26, 0
	v_add3_u32 v13, v13, v15, v14
	v_mul_lo_u32 v14, v11, s26
	v_mul_lo_u32 v15, v10, s27
	v_mad_u64_u32 v[18:19], s[0:1], v10, s26, 0
	v_add3_u32 v19, v19, v15, v14
	v_lshlrev_b64 v[14:15], 2, v[12:13]
	v_mov_b32_e32 v12, s29
	v_add_co_u32_e32 v16, vcc, s28, v14
	v_addc_co_u32_e64 v17, s[0:1], v12, v15, vcc
	v_lshlrev_b64 v[12:13], 2, v[18:19]
	v_mov_b32_e32 v14, s29
	v_add_co_u32_e64 v18, s[0:1], s28, v12
	v_addc_co_u32_e64 v19, s[2:3], v14, v13, s[0:1]
	global_load_dword v12, v[16:17], off
	global_load_dword v14, v[18:19], off
	s_mov_b64 s[38:39], -1
	s_waitcnt vmcnt(0)
	v_cmp_eq_u32_e64 s[2:3], v12, v14
	s_and_saveexec_b64 s[8:9], s[2:3]
	s_cbranch_execz .LBB459_184
; %bb.178:
	v_mov_b32_e32 v12, s29
	v_addc_co_u32_e64 v13, s[0:1], v13, v12, s[0:1]
	v_add_co_u32_e64 v12, s[0:1], 4, v18
	v_mov_b32_e32 v14, s29
	v_addc_co_u32_e64 v13, s[0:1], 0, v13, s[0:1]
	v_addc_co_u32_e32 v15, vcc, v15, v14, vcc
	v_add_co_u32_e32 v14, vcc, 4, v16
	s_add_u32 s0, s26, -1
	v_addc_co_u32_e32 v15, vcc, 0, v15, vcc
	s_addc_u32 s1, s27, -1
	s_mov_b64 s[2:3], 0
	s_mov_b64 s[40:41], 0
                                        ; implicit-def: $sgpr38_sgpr39
	s_branch .LBB459_181
.LBB459_179:                            ;   in Loop: Header=BB459_181 Depth=1
	global_load_dword v16, v[14:15], off
	global_load_dword v17, v[12:13], off
	v_add_co_u32_e32 v12, vcc, 4, v12
	v_addc_co_u32_e32 v13, vcc, 0, v13, vcc
	v_add_co_u32_e32 v14, vcc, 4, v14
	v_addc_co_u32_e32 v15, vcc, 0, v15, vcc
	s_add_u32 s40, s40, 1
	s_addc_u32 s41, s41, 0
	s_andn2_b64 s[38:39], s[38:39], exec
	s_waitcnt vmcnt(0)
	v_cmp_ne_u32_e32 vcc, v16, v17
	s_and_b64 s[42:43], vcc, exec
	s_or_b64 s[38:39], s[38:39], s[42:43]
.LBB459_180:                            ;   in Loop: Header=BB459_181 Depth=1
	s_and_b64 s[42:43], exec, s[38:39]
	s_or_b64 s[2:3], s[42:43], s[2:3]
	v_pk_mov_b32 v[16:17], s[40:41], s[40:41] op_sel:[0,1]
	s_andn2_b64 exec, exec, s[2:3]
	s_cbranch_execz .LBB459_183
.LBB459_181:                            ; =>This Inner Loop Header: Depth=1
	s_or_b64 s[38:39], s[38:39], exec
	s_cmp_eq_u64 s[0:1], s[40:41]
	s_cbranch_scc0 .LBB459_179
; %bb.182:                              ;   in Loop: Header=BB459_181 Depth=1
                                        ; implicit-def: $vgpr12_vgpr13
                                        ; implicit-def: $vgpr14_vgpr15
	s_mov_b64 s[40:41], s[26:27]
	s_branch .LBB459_180
.LBB459_183:
	s_or_b64 exec, exec, s[2:3]
	v_cmp_gt_i64_e32 vcc, s[26:27], v[16:17]
	s_orn2_b64 s[38:39], vcc, exec
.LBB459_184:
	s_or_b64 exec, exec, s[8:9]
.LBB459_185:
	s_and_b64 s[8:9], s[38:39], exec
.LBB459_186:
	s_or_b64 exec, exec, s[36:37]
	v_cmp_gt_u32_e32 vcc, s7, v25
	s_and_saveexec_b64 s[36:37], vcc
	s_cbranch_execz .LBB459_197
; %bb.187:
	s_andn2_b64 vcc, exec, s[14:15]
	s_mov_b64 s[38:39], 0
	s_cbranch_vccnz .LBB459_196
; %bb.188:
	v_mul_lo_u32 v14, v3, s26
	v_mul_lo_u32 v15, v2, s27
	v_mad_u64_u32 v[12:13], s[0:1], v2, s26, 0
	v_add3_u32 v13, v13, v15, v14
	v_mul_lo_u32 v14, v5, s26
	v_mul_lo_u32 v15, v4, s27
	v_mad_u64_u32 v[18:19], s[0:1], v4, s26, 0
	v_add3_u32 v19, v19, v15, v14
	v_lshlrev_b64 v[14:15], 2, v[12:13]
	v_mov_b32_e32 v12, s29
	v_add_co_u32_e32 v16, vcc, s28, v14
	v_addc_co_u32_e64 v17, s[0:1], v12, v15, vcc
	v_lshlrev_b64 v[12:13], 2, v[18:19]
	v_mov_b32_e32 v14, s29
	v_add_co_u32_e64 v18, s[0:1], s28, v12
	v_addc_co_u32_e64 v19, s[2:3], v14, v13, s[0:1]
	global_load_dword v12, v[16:17], off
	global_load_dword v14, v[18:19], off
	s_mov_b64 s[38:39], -1
	s_waitcnt vmcnt(0)
	v_cmp_eq_u32_e64 s[2:3], v12, v14
	s_and_saveexec_b64 s[18:19], s[2:3]
	s_cbranch_execz .LBB459_195
; %bb.189:
	v_mov_b32_e32 v12, s29
	v_addc_co_u32_e64 v13, s[0:1], v13, v12, s[0:1]
	v_add_co_u32_e64 v12, s[0:1], 4, v18
	v_mov_b32_e32 v14, s29
	v_addc_co_u32_e64 v13, s[0:1], 0, v13, s[0:1]
	v_addc_co_u32_e32 v15, vcc, v15, v14, vcc
	v_add_co_u32_e32 v14, vcc, 4, v16
	s_add_u32 s0, s26, -1
	v_addc_co_u32_e32 v15, vcc, 0, v15, vcc
	s_addc_u32 s1, s27, -1
	s_mov_b64 s[2:3], 0
	s_mov_b64 s[40:41], 0
                                        ; implicit-def: $sgpr38_sgpr39
	s_branch .LBB459_192
.LBB459_190:                            ;   in Loop: Header=BB459_192 Depth=1
	global_load_dword v16, v[14:15], off
	global_load_dword v17, v[12:13], off
	v_add_co_u32_e32 v12, vcc, 4, v12
	v_addc_co_u32_e32 v13, vcc, 0, v13, vcc
	v_add_co_u32_e32 v14, vcc, 4, v14
	v_addc_co_u32_e32 v15, vcc, 0, v15, vcc
	s_add_u32 s40, s40, 1
	s_addc_u32 s41, s41, 0
	s_andn2_b64 s[38:39], s[38:39], exec
	s_waitcnt vmcnt(0)
	v_cmp_ne_u32_e32 vcc, v16, v17
	s_and_b64 s[42:43], vcc, exec
	s_or_b64 s[38:39], s[38:39], s[42:43]
.LBB459_191:                            ;   in Loop: Header=BB459_192 Depth=1
	s_and_b64 s[42:43], exec, s[38:39]
	s_or_b64 s[2:3], s[42:43], s[2:3]
	v_pk_mov_b32 v[16:17], s[40:41], s[40:41] op_sel:[0,1]
	s_andn2_b64 exec, exec, s[2:3]
	s_cbranch_execz .LBB459_194
.LBB459_192:                            ; =>This Inner Loop Header: Depth=1
	s_or_b64 s[38:39], s[38:39], exec
	s_cmp_eq_u64 s[0:1], s[40:41]
	s_cbranch_scc0 .LBB459_190
; %bb.193:                              ;   in Loop: Header=BB459_192 Depth=1
                                        ; implicit-def: $vgpr12_vgpr13
                                        ; implicit-def: $vgpr14_vgpr15
	s_mov_b64 s[40:41], s[26:27]
	s_branch .LBB459_191
.LBB459_194:
	s_or_b64 exec, exec, s[2:3]
	v_cmp_gt_i64_e32 vcc, s[26:27], v[16:17]
	s_orn2_b64 s[38:39], vcc, exec
.LBB459_195:
	s_or_b64 exec, exec, s[18:19]
.LBB459_196:
	s_and_b64 s[18:19], s[38:39], exec
.LBB459_197:
	s_or_b64 exec, exec, s[36:37]
	v_cmp_gt_u32_e32 vcc, s7, v22
	s_mov_b64 s[36:37], 0
	s_mov_b64 s[38:39], 0
	s_and_saveexec_b64 s[40:41], vcc
	s_cbranch_execz .LBB459_208
; %bb.198:
	s_andn2_b64 vcc, exec, s[14:15]
	s_mov_b64 s[42:43], 0
	s_cbranch_vccnz .LBB459_207
; %bb.199:
	v_mul_lo_u32 v14, v9, s26
	v_mul_lo_u32 v15, v8, s27
	v_mad_u64_u32 v[12:13], s[0:1], v8, s26, 0
	v_add3_u32 v13, v13, v15, v14
	v_mul_lo_u32 v14, v3, s26
	v_mul_lo_u32 v15, v2, s27
	v_mad_u64_u32 v[18:19], s[0:1], v2, s26, 0
	v_add3_u32 v19, v19, v15, v14
	v_lshlrev_b64 v[14:15], 2, v[12:13]
	v_mov_b32_e32 v12, s29
	v_add_co_u32_e32 v16, vcc, s28, v14
	v_addc_co_u32_e64 v17, s[0:1], v12, v15, vcc
	v_lshlrev_b64 v[12:13], 2, v[18:19]
	v_mov_b32_e32 v14, s29
	v_add_co_u32_e64 v18, s[0:1], s28, v12
	v_addc_co_u32_e64 v19, s[2:3], v14, v13, s[0:1]
	global_load_dword v12, v[16:17], off
	global_load_dword v14, v[18:19], off
	s_mov_b64 s[42:43], -1
	s_waitcnt vmcnt(0)
	v_cmp_eq_u32_e64 s[2:3], v12, v14
	s_and_saveexec_b64 s[38:39], s[2:3]
	s_cbranch_execz .LBB459_206
; %bb.200:
	v_mov_b32_e32 v12, s29
	v_addc_co_u32_e64 v13, s[0:1], v13, v12, s[0:1]
	v_add_co_u32_e64 v12, s[0:1], 4, v18
	v_mov_b32_e32 v14, s29
	v_addc_co_u32_e64 v13, s[0:1], 0, v13, s[0:1]
	v_addc_co_u32_e32 v15, vcc, v15, v14, vcc
	v_add_co_u32_e32 v14, vcc, 4, v16
	s_add_u32 s0, s26, -1
	v_addc_co_u32_e32 v15, vcc, 0, v15, vcc
	s_addc_u32 s1, s27, -1
	s_mov_b64 s[2:3], 0
	s_mov_b64 s[44:45], 0
                                        ; implicit-def: $sgpr42_sgpr43
	s_branch .LBB459_203
.LBB459_201:                            ;   in Loop: Header=BB459_203 Depth=1
	global_load_dword v16, v[14:15], off
	global_load_dword v17, v[12:13], off
	v_add_co_u32_e32 v12, vcc, 4, v12
	v_addc_co_u32_e32 v13, vcc, 0, v13, vcc
	v_add_co_u32_e32 v14, vcc, 4, v14
	v_addc_co_u32_e32 v15, vcc, 0, v15, vcc
	s_add_u32 s44, s44, 1
	s_addc_u32 s45, s45, 0
	s_andn2_b64 s[42:43], s[42:43], exec
	s_waitcnt vmcnt(0)
	v_cmp_ne_u32_e32 vcc, v16, v17
	s_and_b64 s[46:47], vcc, exec
	s_or_b64 s[42:43], s[42:43], s[46:47]
.LBB459_202:                            ;   in Loop: Header=BB459_203 Depth=1
	s_and_b64 s[46:47], exec, s[42:43]
	s_or_b64 s[2:3], s[46:47], s[2:3]
	v_pk_mov_b32 v[16:17], s[44:45], s[44:45] op_sel:[0,1]
	s_andn2_b64 exec, exec, s[2:3]
	s_cbranch_execz .LBB459_205
.LBB459_203:                            ; =>This Inner Loop Header: Depth=1
	s_or_b64 s[42:43], s[42:43], exec
	s_cmp_eq_u64 s[0:1], s[44:45]
	s_cbranch_scc0 .LBB459_201
; %bb.204:                              ;   in Loop: Header=BB459_203 Depth=1
                                        ; implicit-def: $vgpr12_vgpr13
                                        ; implicit-def: $vgpr14_vgpr15
	s_mov_b64 s[44:45], s[26:27]
	s_branch .LBB459_202
.LBB459_205:
	s_or_b64 exec, exec, s[2:3]
	v_cmp_gt_i64_e32 vcc, s[26:27], v[16:17]
	s_orn2_b64 s[42:43], vcc, exec
.LBB459_206:
	s_or_b64 exec, exec, s[38:39]
.LBB459_207:
	s_and_b64 s[38:39], s[42:43], exec
.LBB459_208:
	s_or_b64 exec, exec, s[40:41]
	v_cmp_gt_u32_e32 vcc, s7, v24
	s_and_saveexec_b64 s[40:41], vcc
	s_cbranch_execz .LBB459_219
; %bb.209:
	s_andn2_b64 vcc, exec, s[14:15]
	s_mov_b64 s[42:43], 0
	s_cbranch_vccnz .LBB459_218
; %bb.210:
	v_mul_lo_u32 v14, v7, s26
	v_mul_lo_u32 v15, v6, s27
	v_mad_u64_u32 v[12:13], s[0:1], v6, s26, 0
	v_add3_u32 v13, v13, v15, v14
	v_mul_lo_u32 v14, v9, s26
	v_mul_lo_u32 v15, v8, s27
	v_mad_u64_u32 v[18:19], s[0:1], v8, s26, 0
	v_add3_u32 v19, v19, v15, v14
	v_lshlrev_b64 v[14:15], 2, v[12:13]
	v_mov_b32_e32 v12, s29
	v_add_co_u32_e32 v16, vcc, s28, v14
	v_addc_co_u32_e64 v17, s[0:1], v12, v15, vcc
	v_lshlrev_b64 v[12:13], 2, v[18:19]
	v_mov_b32_e32 v14, s29
	v_add_co_u32_e64 v18, s[0:1], s28, v12
	v_addc_co_u32_e64 v19, s[2:3], v14, v13, s[0:1]
	global_load_dword v12, v[16:17], off
	global_load_dword v14, v[18:19], off
	s_mov_b64 s[42:43], -1
	s_waitcnt vmcnt(0)
	v_cmp_eq_u32_e64 s[2:3], v12, v14
	s_and_saveexec_b64 s[36:37], s[2:3]
	s_cbranch_execz .LBB459_217
; %bb.211:
	v_mov_b32_e32 v12, s29
	v_addc_co_u32_e64 v13, s[0:1], v13, v12, s[0:1]
	v_add_co_u32_e64 v12, s[0:1], 4, v18
	v_mov_b32_e32 v14, s29
	v_addc_co_u32_e64 v13, s[0:1], 0, v13, s[0:1]
	v_addc_co_u32_e32 v15, vcc, v15, v14, vcc
	v_add_co_u32_e32 v14, vcc, 4, v16
	s_add_u32 s0, s26, -1
	v_addc_co_u32_e32 v15, vcc, 0, v15, vcc
	s_addc_u32 s1, s27, -1
	s_mov_b64 s[2:3], 0
	s_mov_b64 s[44:45], 0
                                        ; implicit-def: $sgpr42_sgpr43
	s_branch .LBB459_214
.LBB459_212:                            ;   in Loop: Header=BB459_214 Depth=1
	global_load_dword v16, v[14:15], off
	global_load_dword v17, v[12:13], off
	v_add_co_u32_e32 v12, vcc, 4, v12
	v_addc_co_u32_e32 v13, vcc, 0, v13, vcc
	v_add_co_u32_e32 v14, vcc, 4, v14
	v_addc_co_u32_e32 v15, vcc, 0, v15, vcc
	s_add_u32 s44, s44, 1
	s_addc_u32 s45, s45, 0
	s_andn2_b64 s[42:43], s[42:43], exec
	s_waitcnt vmcnt(0)
	v_cmp_ne_u32_e32 vcc, v16, v17
	s_and_b64 s[46:47], vcc, exec
	s_or_b64 s[42:43], s[42:43], s[46:47]
.LBB459_213:                            ;   in Loop: Header=BB459_214 Depth=1
	s_and_b64 s[46:47], exec, s[42:43]
	s_or_b64 s[2:3], s[46:47], s[2:3]
	v_pk_mov_b32 v[16:17], s[44:45], s[44:45] op_sel:[0,1]
	s_andn2_b64 exec, exec, s[2:3]
	s_cbranch_execz .LBB459_216
.LBB459_214:                            ; =>This Inner Loop Header: Depth=1
	s_or_b64 s[42:43], s[42:43], exec
	s_cmp_eq_u64 s[0:1], s[44:45]
	s_cbranch_scc0 .LBB459_212
; %bb.215:                              ;   in Loop: Header=BB459_214 Depth=1
                                        ; implicit-def: $vgpr12_vgpr13
                                        ; implicit-def: $vgpr14_vgpr15
	s_mov_b64 s[44:45], s[26:27]
	s_branch .LBB459_213
.LBB459_216:
	s_or_b64 exec, exec, s[2:3]
	v_cmp_gt_i64_e32 vcc, s[26:27], v[16:17]
	s_orn2_b64 s[42:43], vcc, exec
.LBB459_217:
	s_or_b64 exec, exec, s[36:37]
.LBB459_218:
	s_and_b64 s[36:37], s[42:43], exec
.LBB459_219:
	s_or_b64 exec, exec, s[40:41]
	v_cndmask_b32_e64 v13, 0, 1, s[18:19]
	v_cndmask_b32_e64 v14, 0, 1, s[36:37]
	;; [unrolled: 1-line block ×3, first 2 shown]
	v_lshlrev_b16_e32 v14, 8, v14
	v_lshlrev_b16_e32 v13, 8, v13
	v_or_b32_e32 v14, 1, v14
	v_or_b32_sdwa v12, v12, v13 dst_sel:WORD_1 dst_unused:UNUSED_PAD src0_sel:DWORD src1_sel:DWORD
	v_or_b32_sdwa v12, v14, v12 dst_sel:DWORD dst_unused:UNUSED_PAD src0_sel:WORD_0 src1_sel:DWORD
	v_cndmask_b32_e64 v13, 0, 1, s[8:9]
	v_cmp_ne_u32_e32 vcc, 0, v0
	s_waitcnt lgkmcnt(0)
	s_barrier
	s_waitcnt lgkmcnt(0)
                                        ; implicit-def: $sgpr18_sgpr19
                                        ; implicit-def: $vgpr16
	s_and_saveexec_b64 s[8:9], vcc
	s_cbranch_execz .LBB459_232
; %bb.220:
	v_cmp_gt_u32_e32 vcc, s7, v1
	s_mov_b32 s33, 0x3020104
	s_mov_b64 s[0:1], 0
	s_and_saveexec_b64 s[18:19], vcc
	s_cbranch_execz .LBB459_231
; %bb.221:
	s_andn2_b64 vcc, exec, s[14:15]
	s_mov_b64 s[36:37], 0
	s_cbranch_vccnz .LBB459_230
; %bb.222:
	v_add_u32_e32 v14, -8, v26
	ds_read_b64 v[14:15], v14
	v_mul_lo_u32 v16, v7, s26
	v_mad_u64_u32 v[20:21], s[0:1], v6, s26, 0
	s_mov_b64 s[36:37], -1
	s_waitcnt lgkmcnt(0)
	v_mul_lo_u32 v17, v15, s26
	v_mul_lo_u32 v18, v14, s27
	v_mad_u64_u32 v[14:15], s[0:1], v14, s26, 0
	v_add3_u32 v15, v15, v18, v17
	v_mul_lo_u32 v17, v6, s27
	v_add3_u32 v21, v21, v17, v16
	v_lshlrev_b64 v[16:17], 2, v[14:15]
	v_mov_b32_e32 v14, s29
	v_add_co_u32_e32 v18, vcc, s28, v16
	v_addc_co_u32_e64 v19, s[0:1], v14, v17, vcc
	v_lshlrev_b64 v[14:15], 2, v[20:21]
	v_mov_b32_e32 v16, s29
	v_add_co_u32_e64 v20, s[0:1], s28, v14
	v_addc_co_u32_e64 v21, s[2:3], v16, v15, s[0:1]
	global_load_dword v14, v[18:19], off
	global_load_dword v16, v[20:21], off
	s_waitcnt vmcnt(0)
	v_cmp_eq_u32_e64 s[2:3], v14, v16
	s_and_saveexec_b64 s[14:15], s[2:3]
	s_cbranch_execz .LBB459_229
; %bb.223:
	v_mov_b32_e32 v14, s29
	v_addc_co_u32_e64 v15, s[0:1], v15, v14, s[0:1]
	v_add_co_u32_e64 v14, s[0:1], 4, v20
	v_mov_b32_e32 v16, s29
	v_addc_co_u32_e64 v15, s[0:1], 0, v15, s[0:1]
	v_addc_co_u32_e32 v17, vcc, v17, v16, vcc
	v_add_co_u32_e32 v16, vcc, 4, v18
	s_add_u32 s0, s26, -1
	v_addc_co_u32_e32 v17, vcc, 0, v17, vcc
	s_addc_u32 s1, s27, -1
	s_mov_b64 s[2:3], 0
	s_mov_b64 s[36:37], 0
                                        ; implicit-def: $sgpr28_sgpr29
	s_branch .LBB459_226
.LBB459_224:                            ;   in Loop: Header=BB459_226 Depth=1
	global_load_dword v18, v[16:17], off
	global_load_dword v19, v[14:15], off
	v_add_co_u32_e32 v14, vcc, 4, v14
	v_addc_co_u32_e32 v15, vcc, 0, v15, vcc
	v_add_co_u32_e32 v16, vcc, 4, v16
	v_addc_co_u32_e32 v17, vcc, 0, v17, vcc
	s_add_u32 s36, s36, 1
	s_addc_u32 s37, s37, 0
	s_andn2_b64 s[28:29], s[28:29], exec
	s_waitcnt vmcnt(0)
	v_cmp_ne_u32_e32 vcc, v18, v19
	s_and_b64 s[38:39], vcc, exec
	s_or_b64 s[28:29], s[28:29], s[38:39]
.LBB459_225:                            ;   in Loop: Header=BB459_226 Depth=1
	s_and_b64 s[38:39], exec, s[28:29]
	s_or_b64 s[2:3], s[38:39], s[2:3]
	v_pk_mov_b32 v[18:19], s[36:37], s[36:37] op_sel:[0,1]
	s_andn2_b64 exec, exec, s[2:3]
	s_cbranch_execz .LBB459_228
.LBB459_226:                            ; =>This Inner Loop Header: Depth=1
	s_or_b64 s[28:29], s[28:29], exec
	s_cmp_eq_u64 s[0:1], s[36:37]
	s_cbranch_scc0 .LBB459_224
; %bb.227:                              ;   in Loop: Header=BB459_226 Depth=1
                                        ; implicit-def: $vgpr14_vgpr15
                                        ; implicit-def: $vgpr16_vgpr17
	s_mov_b64 s[36:37], s[26:27]
	s_branch .LBB459_225
.LBB459_228:
	s_or_b64 exec, exec, s[2:3]
	v_cmp_gt_i64_e32 vcc, s[26:27], v[18:19]
	s_orn2_b64 s[36:37], vcc, exec
.LBB459_229:
	s_or_b64 exec, exec, s[14:15]
.LBB459_230:
	s_and_b64 s[0:1], s[36:37], exec
.LBB459_231:
	s_or_b64 exec, exec, s[18:19]
	v_perm_b32 v16, v12, v12, s33
	s_and_b64 s[18:19], s[0:1], exec
	s_or_b64 s[12:13], s[12:13], exec
.LBB459_232:
	s_or_b64 exec, exec, s[8:9]
.LBB459_233:
	s_and_saveexec_b64 s[0:1], s[12:13]
	s_cbranch_execz .LBB459_235
; %bb.234:
	v_lshrrev_b32_e32 v14, 24, v16
	s_movk_i32 s2, 0xff
	v_lshlrev_b16_e32 v14, 8, v14
	v_and_b32_sdwa v15, v16, s2 dst_sel:DWORD dst_unused:UNUSED_PAD src0_sel:WORD_1 src1_sel:DWORD
	v_or_b32_sdwa v14, v15, v14 dst_sel:WORD_1 dst_unused:UNUSED_PAD src0_sel:DWORD src1_sel:DWORD
	v_mov_b32_e32 v15, 8
	v_cndmask_b32_e64 v12, 0, 1, s[18:19]
	v_lshrrev_b32_sdwa v15, v15, v16 dst_sel:BYTE_1 dst_unused:UNUSED_PAD src0_sel:DWORD src1_sel:DWORD
	v_or_b32_e32 v12, v12, v15
	s_mov_b32 s2, 0xffff
	v_or_b32_sdwa v12, v12, v14 dst_sel:DWORD dst_unused:UNUSED_PAD src0_sel:WORD_0 src1_sel:DWORD
	v_and_b32_sdwa v13, s2, v13 dst_sel:DWORD dst_unused:UNUSED_PAD src0_sel:DWORD src1_sel:BYTE_0
.LBB459_235:
	s_or_b64 exec, exec, s[0:1]
	s_andn2_b64 vcc, exec, s[10:11]
	s_cbranch_vccnz .LBB459_237
; %bb.236:
	v_cmp_gt_u32_e32 vcc, s7, v1
	v_cndmask_b32_e32 v1, 0, v12, vcc
	v_and_b32_e32 v1, 0xffff00ff, v1
	v_cmp_gt_u32_e64 s[0:1], s7, v24
	v_cndmask_b32_e64 v1, v1, v12, s[0:1]
	v_lshrrev_b32_e32 v14, 24, v1
	s_mov_b32 s2, 0x40c0100
	v_perm_b32 v1, v14, v1, s2
	v_cmp_gt_u32_e64 s[2:3], s7, v22
	v_cmp_gt_u32_e64 s[8:9], s7, v25
	v_cndmask_b32_e64 v1, v1, v12, s[2:3]
	s_or_b64 s[2:3], s[8:9], s[2:3]
	s_or_b64 s[0:1], s[2:3], s[0:1]
	s_or_b64 vcc, s[0:1], vcc
	v_and_b32_e32 v1, 0xffffff, v1
	v_cndmask_b32_e32 v14, 0, v13, vcc
	v_cndmask_b32_e64 v1, v1, v12, s[8:9]
	v_and_b32_e32 v14, 0xffffff00, v14
	v_cmp_gt_u32_e32 vcc, s7, v23
	v_cndmask_b32_e32 v1, v1, v12, vcc
	v_cndmask_b32_e32 v12, v14, v13, vcc
	s_mov_b32 s0, 0x3020104
	v_and_b32_e32 v13, 0xff, v12
	v_perm_b32 v12, v1, v1, s0
.LBB459_237:
	v_and_b32_e32 v1, 0xff, v12
	v_bfe_u32 v25, v12, 8, 8
	v_bfe_u32 v27, v12, 16, 8
	v_alignbit_b32 v14, v13, v12, 24
	v_and_b32_e32 v28, 0xff, v14
	v_and_b32_e32 v14, 0xff, v13
	v_add3_u32 v15, v25, v1, v27
	v_add3_u32 v31, v15, v28, v14
	v_mbcnt_lo_u32_b32 v14, -1, 0
	v_mbcnt_hi_u32_b32 v29, -1, v14
	v_and_b32_e32 v14, 15, v29
	v_cmp_eq_u32_e64 s[14:15], 0, v14
	v_cmp_lt_u32_e64 s[12:13], 1, v14
	v_cmp_lt_u32_e64 s[10:11], 3, v14
	;; [unrolled: 1-line block ×3, first 2 shown]
	v_and_b32_e32 v14, 16, v29
	v_cmp_eq_u32_e64 s[18:19], 0, v14
	v_or_b32_e32 v14, 63, v0
	v_cmp_lt_u32_e64 s[0:1], 31, v29
	v_lshrrev_b32_e32 v30, 6, v0
	v_cmp_eq_u32_e64 s[2:3], v14, v0
	s_and_b64 vcc, exec, s[16:17]
	s_waitcnt lgkmcnt(0)
	s_barrier
	s_cbranch_vccz .LBB459_268
; %bb.238:
	v_mov_b32_dpp v14, v31 row_shr:1 row_mask:0xf bank_mask:0xf
	v_cndmask_b32_e64 v14, v14, 0, s[14:15]
	v_add_u32_e32 v14, v14, v31
	s_nop 1
	v_mov_b32_dpp v15, v14 row_shr:2 row_mask:0xf bank_mask:0xf
	v_cndmask_b32_e64 v15, 0, v15, s[12:13]
	v_add_u32_e32 v14, v14, v15
	s_nop 1
	;; [unrolled: 4-line block ×4, first 2 shown]
	v_mov_b32_dpp v15, v14 row_bcast:15 row_mask:0xf bank_mask:0xf
	v_cndmask_b32_e64 v15, v15, 0, s[18:19]
	v_add_u32_e32 v14, v14, v15
	s_nop 1
	v_mov_b32_dpp v15, v14 row_bcast:31 row_mask:0xf bank_mask:0xf
	v_cndmask_b32_e64 v15, 0, v15, s[0:1]
	v_add_u32_e32 v14, v14, v15
	s_and_saveexec_b64 s[16:17], s[2:3]
	s_cbranch_execz .LBB459_240
; %bb.239:
	v_lshlrev_b32_e32 v15, 2, v30
	ds_write_b32 v15, v14
.LBB459_240:
	s_or_b64 exec, exec, s[16:17]
	v_cmp_gt_u32_e32 vcc, 4, v0
	s_waitcnt lgkmcnt(0)
	s_barrier
	s_and_saveexec_b64 s[16:17], vcc
	s_cbranch_execz .LBB459_242
; %bb.241:
	v_lshlrev_b32_e32 v15, 2, v0
	ds_read_b32 v16, v15
	v_and_b32_e32 v17, 3, v29
	v_cmp_ne_u32_e32 vcc, 0, v17
	s_waitcnt lgkmcnt(0)
	v_mov_b32_dpp v18, v16 row_shr:1 row_mask:0xf bank_mask:0xf
	v_cndmask_b32_e32 v18, 0, v18, vcc
	v_add_u32_e32 v16, v18, v16
	v_cmp_lt_u32_e32 vcc, 1, v17
	s_nop 0
	v_mov_b32_dpp v18, v16 row_shr:2 row_mask:0xf bank_mask:0xf
	v_cndmask_b32_e32 v17, 0, v18, vcc
	v_add_u32_e32 v16, v16, v17
	ds_write_b32 v15, v16
.LBB459_242:
	s_or_b64 exec, exec, s[16:17]
	v_cmp_gt_u32_e32 vcc, 64, v0
	v_cmp_lt_u32_e64 s[16:17], 63, v0
	s_waitcnt lgkmcnt(0)
	s_barrier
	s_waitcnt lgkmcnt(0)
                                        ; implicit-def: $vgpr24
	s_and_saveexec_b64 s[26:27], s[16:17]
	s_cbranch_execz .LBB459_244
; %bb.243:
	v_lshl_add_u32 v15, v30, 2, -4
	ds_read_b32 v24, v15
	s_waitcnt lgkmcnt(0)
	v_add_u32_e32 v14, v24, v14
.LBB459_244:
	s_or_b64 exec, exec, s[26:27]
	v_add_u32_e32 v15, -1, v29
	v_and_b32_e32 v16, 64, v29
	v_cmp_lt_i32_e64 s[16:17], v15, v16
	v_cndmask_b32_e64 v15, v15, v29, s[16:17]
	v_lshlrev_b32_e32 v15, 2, v15
	ds_bpermute_b32 v26, v15, v14
	v_cmp_eq_u32_e64 s[16:17], 0, v29
	s_and_saveexec_b64 s[26:27], vcc
	s_cbranch_execz .LBB459_267
; %bb.245:
	v_mov_b32_e32 v23, 0
	ds_read_b32 v14, v23 offset:12
	s_and_saveexec_b64 s[28:29], s[16:17]
	s_cbranch_execz .LBB459_247
; %bb.246:
	s_add_i32 s36, s6, 64
	s_mov_b32 s37, 0
	s_lshl_b64 s[36:37], s[36:37], 3
	s_add_u32 s36, s30, s36
	v_mov_b32_e32 v15, 1
	s_addc_u32 s37, s31, s37
	s_waitcnt lgkmcnt(0)
	global_store_dwordx2 v23, v[14:15], s[36:37]
.LBB459_247:
	s_or_b64 exec, exec, s[28:29]
	v_xad_u32 v16, v29, -1, s6
	v_add_u32_e32 v22, 64, v16
	v_lshlrev_b64 v[18:19], 3, v[22:23]
	v_mov_b32_e32 v15, s31
	v_add_co_u32_e32 v18, vcc, s30, v18
	v_addc_co_u32_e32 v19, vcc, v15, v19, vcc
	global_load_dwordx2 v[20:21], v[18:19], off glc
	s_waitcnt vmcnt(0)
	v_cmp_eq_u16_sdwa s[36:37], v21, v23 src0_sel:BYTE_0 src1_sel:DWORD
	s_and_saveexec_b64 s[28:29], s[36:37]
	s_cbranch_execz .LBB459_253
; %bb.248:
	s_mov_b32 s7, 1
	s_mov_b64 s[36:37], 0
	v_mov_b32_e32 v15, 0
.LBB459_249:                            ; =>This Loop Header: Depth=1
                                        ;     Child Loop BB459_250 Depth 2
	s_max_u32 s33, s7, 1
.LBB459_250:                            ;   Parent Loop BB459_249 Depth=1
                                        ; =>  This Inner Loop Header: Depth=2
	s_add_i32 s33, s33, -1
	s_cmp_eq_u32 s33, 0
	s_sleep 1
	s_cbranch_scc0 .LBB459_250
; %bb.251:                              ;   in Loop: Header=BB459_249 Depth=1
	global_load_dwordx2 v[20:21], v[18:19], off glc
	s_cmp_lt_u32 s7, 32
	s_cselect_b64 s[38:39], -1, 0
	s_cmp_lg_u64 s[38:39], 0
	s_addc_u32 s7, s7, 0
	s_waitcnt vmcnt(0)
	v_cmp_ne_u16_sdwa s[38:39], v21, v15 src0_sel:BYTE_0 src1_sel:DWORD
	s_or_b64 s[36:37], s[38:39], s[36:37]
	s_andn2_b64 exec, exec, s[36:37]
	s_cbranch_execnz .LBB459_249
; %bb.252:
	s_or_b64 exec, exec, s[36:37]
.LBB459_253:
	s_or_b64 exec, exec, s[28:29]
	v_and_b32_e32 v32, 63, v29
	v_mov_b32_e32 v15, 2
	v_cmp_ne_u32_e32 vcc, 63, v32
	v_cmp_eq_u16_sdwa s[28:29], v21, v15 src0_sel:BYTE_0 src1_sel:DWORD
	v_lshlrev_b64 v[18:19], v29, -1
	v_addc_co_u32_e32 v23, vcc, 0, v29, vcc
	v_and_b32_e32 v17, s29, v19
	v_lshlrev_b32_e32 v33, 2, v23
	v_or_b32_e32 v17, 0x80000000, v17
	ds_bpermute_b32 v23, v33, v20
	v_and_b32_e32 v22, s28, v18
	v_ffbl_b32_e32 v17, v17
	v_add_u32_e32 v17, 32, v17
	v_ffbl_b32_e32 v22, v22
	v_min_u32_e32 v17, v22, v17
	v_cmp_lt_u32_e32 vcc, v32, v17
	s_waitcnt lgkmcnt(0)
	v_cndmask_b32_e32 v22, 0, v23, vcc
	v_cmp_gt_u32_e32 vcc, 62, v32
	v_add_u32_e32 v20, v22, v20
	v_cndmask_b32_e64 v22, 0, 1, vcc
	v_lshlrev_b32_e32 v22, 1, v22
	v_add_lshl_u32 v34, v22, v29, 2
	ds_bpermute_b32 v22, v34, v20
	v_add_u32_e32 v35, 2, v32
	v_cmp_le_u32_e32 vcc, v35, v17
	v_add_u32_e32 v37, 4, v32
	v_add_u32_e32 v39, 8, v32
	s_waitcnt lgkmcnt(0)
	v_cndmask_b32_e32 v22, 0, v22, vcc
	v_cmp_gt_u32_e32 vcc, 60, v32
	v_add_u32_e32 v20, v20, v22
	v_cndmask_b32_e64 v22, 0, 1, vcc
	v_lshlrev_b32_e32 v22, 2, v22
	v_add_lshl_u32 v36, v22, v29, 2
	ds_bpermute_b32 v22, v36, v20
	v_cmp_le_u32_e32 vcc, v37, v17
	v_add_u32_e32 v42, 16, v32
	v_add_u32_e32 v44, 32, v32
	s_waitcnt lgkmcnt(0)
	v_cndmask_b32_e32 v22, 0, v22, vcc
	v_cmp_gt_u32_e32 vcc, 56, v32
	v_add_u32_e32 v20, v20, v22
	v_cndmask_b32_e64 v22, 0, 1, vcc
	v_lshlrev_b32_e32 v22, 3, v22
	v_add_lshl_u32 v38, v22, v29, 2
	ds_bpermute_b32 v22, v38, v20
	v_cmp_le_u32_e32 vcc, v39, v17
	s_waitcnt lgkmcnt(0)
	v_cndmask_b32_e32 v22, 0, v22, vcc
	v_cmp_gt_u32_e32 vcc, 48, v32
	v_add_u32_e32 v20, v20, v22
	v_cndmask_b32_e64 v22, 0, 1, vcc
	v_lshlrev_b32_e32 v22, 4, v22
	v_add_lshl_u32 v41, v22, v29, 2
	ds_bpermute_b32 v22, v41, v20
	v_cmp_le_u32_e32 vcc, v42, v17
	;; [unrolled: 9-line block ×3, first 2 shown]
	s_waitcnt lgkmcnt(0)
	v_cndmask_b32_e32 v17, 0, v22, vcc
	v_add_u32_e32 v20, v20, v17
	v_mov_b32_e32 v17, 0
	s_branch .LBB459_255
.LBB459_254:                            ;   in Loop: Header=BB459_255 Depth=1
	s_or_b64 exec, exec, s[28:29]
	v_cmp_eq_u16_sdwa s[28:29], v21, v15 src0_sel:BYTE_0 src1_sel:DWORD
	v_and_b32_e32 v22, s29, v19
	v_or_b32_e32 v22, 0x80000000, v22
	ds_bpermute_b32 v45, v33, v20
	v_and_b32_e32 v23, s28, v18
	v_ffbl_b32_e32 v22, v22
	v_add_u32_e32 v22, 32, v22
	v_ffbl_b32_e32 v23, v23
	v_min_u32_e32 v22, v23, v22
	v_cmp_lt_u32_e32 vcc, v32, v22
	s_waitcnt lgkmcnt(0)
	v_cndmask_b32_e32 v23, 0, v45, vcc
	v_add_u32_e32 v20, v23, v20
	ds_bpermute_b32 v23, v34, v20
	v_cmp_le_u32_e32 vcc, v35, v22
	v_subrev_u32_e32 v16, 64, v16
	s_waitcnt lgkmcnt(0)
	v_cndmask_b32_e32 v23, 0, v23, vcc
	v_add_u32_e32 v20, v20, v23
	ds_bpermute_b32 v23, v36, v20
	v_cmp_le_u32_e32 vcc, v37, v22
	s_waitcnt lgkmcnt(0)
	v_cndmask_b32_e32 v23, 0, v23, vcc
	v_add_u32_e32 v20, v20, v23
	ds_bpermute_b32 v23, v38, v20
	v_cmp_le_u32_e32 vcc, v39, v22
	;; [unrolled: 5-line block ×4, first 2 shown]
	s_waitcnt lgkmcnt(0)
	v_cndmask_b32_e32 v22, 0, v23, vcc
	v_add3_u32 v20, v22, v40, v20
.LBB459_255:                            ; =>This Loop Header: Depth=1
                                        ;     Child Loop BB459_258 Depth 2
                                        ;       Child Loop BB459_259 Depth 3
	v_cmp_ne_u16_sdwa s[28:29], v21, v15 src0_sel:BYTE_0 src1_sel:DWORD
	v_cndmask_b32_e64 v21, 0, 1, s[28:29]
	;;#ASMSTART
	;;#ASMEND
	v_cmp_ne_u32_e32 vcc, 0, v21
	s_cmp_lg_u64 vcc, exec
	v_mov_b32_e32 v40, v20
	s_cbranch_scc1 .LBB459_262
; %bb.256:                              ;   in Loop: Header=BB459_255 Depth=1
	v_lshlrev_b64 v[20:21], 3, v[16:17]
	v_mov_b32_e32 v23, s31
	v_add_co_u32_e32 v22, vcc, s30, v20
	v_addc_co_u32_e32 v23, vcc, v23, v21, vcc
	global_load_dwordx2 v[20:21], v[22:23], off glc
	s_waitcnt vmcnt(0)
	v_cmp_eq_u16_sdwa s[36:37], v21, v17 src0_sel:BYTE_0 src1_sel:DWORD
	s_and_saveexec_b64 s[28:29], s[36:37]
	s_cbranch_execz .LBB459_254
; %bb.257:                              ;   in Loop: Header=BB459_255 Depth=1
	s_mov_b32 s7, 1
	s_mov_b64 s[36:37], 0
.LBB459_258:                            ;   Parent Loop BB459_255 Depth=1
                                        ; =>  This Loop Header: Depth=2
                                        ;       Child Loop BB459_259 Depth 3
	s_max_u32 s33, s7, 1
.LBB459_259:                            ;   Parent Loop BB459_255 Depth=1
                                        ;     Parent Loop BB459_258 Depth=2
                                        ; =>    This Inner Loop Header: Depth=3
	s_add_i32 s33, s33, -1
	s_cmp_eq_u32 s33, 0
	s_sleep 1
	s_cbranch_scc0 .LBB459_259
; %bb.260:                              ;   in Loop: Header=BB459_258 Depth=2
	global_load_dwordx2 v[20:21], v[22:23], off glc
	s_cmp_lt_u32 s7, 32
	s_cselect_b64 s[38:39], -1, 0
	s_cmp_lg_u64 s[38:39], 0
	s_addc_u32 s7, s7, 0
	s_waitcnt vmcnt(0)
	v_cmp_ne_u16_sdwa s[38:39], v21, v17 src0_sel:BYTE_0 src1_sel:DWORD
	s_or_b64 s[36:37], s[38:39], s[36:37]
	s_andn2_b64 exec, exec, s[36:37]
	s_cbranch_execnz .LBB459_258
; %bb.261:                              ;   in Loop: Header=BB459_255 Depth=1
	s_or_b64 exec, exec, s[36:37]
	s_branch .LBB459_254
.LBB459_262:                            ;   in Loop: Header=BB459_255 Depth=1
                                        ; implicit-def: $vgpr20
                                        ; implicit-def: $vgpr21
	s_cbranch_execz .LBB459_255
; %bb.263:
	s_and_saveexec_b64 s[28:29], s[16:17]
	s_cbranch_execz .LBB459_265
; %bb.264:
	s_add_i32 s6, s6, 64
	s_mov_b32 s7, 0
	s_lshl_b64 s[6:7], s[6:7], 3
	s_add_u32 s6, s30, s6
	v_add_u32_e32 v16, v40, v14
	v_mov_b32_e32 v17, 2
	s_addc_u32 s7, s31, s7
	v_mov_b32_e32 v15, 0
	global_store_dwordx2 v15, v[16:17], s[6:7]
	s_movk_i32 s6, 0x2800
	v_add_u32_e64 v15, s6, 0
	ds_write2_b32 v15, v14, v40 offset1:2
.LBB459_265:
	s_or_b64 exec, exec, s[28:29]
	v_cmp_eq_u32_e32 vcc, 0, v0
	s_and_b64 exec, exec, vcc
	s_cbranch_execz .LBB459_267
; %bb.266:
	v_mov_b32_e32 v14, 0
	ds_write_b32 v14, v40 offset:12
.LBB459_267:
	s_or_b64 exec, exec, s[26:27]
	v_mov_b32_e32 v14, 0
	s_waitcnt lgkmcnt(0)
	s_barrier
	ds_read_b32 v14, v14 offset:12
	v_cndmask_b32_e64 v15, v26, v24, s[16:17]
	v_cmp_ne_u32_e32 vcc, 0, v0
	v_cndmask_b32_e32 v15, 0, v15, vcc
	s_movk_i32 s6, 0x2800
	s_waitcnt lgkmcnt(0)
	v_add_u32_e32 v26, v14, v15
	v_add_u32_e64 v14, s6, 0
	s_barrier
	ds_read2_b32 v[14:15], v14 offset1:2
	v_add_u32_e32 v24, v26, v1
	v_add_u32_e32 v22, v24, v25
	;; [unrolled: 1-line block ×4, first 2 shown]
	s_load_dwordx2 s[4:5], s[4:5], 0x28
	v_lshrrev_b64 v[16:17], 24, v[12:13]
	s_branch .LBB459_278
.LBB459_268:
                                        ; implicit-def: $vgpr18
                                        ; implicit-def: $vgpr20
                                        ; implicit-def: $vgpr22
                                        ; implicit-def: $vgpr24
                                        ; implicit-def: $vgpr26
                                        ; implicit-def: $vgpr15
	s_load_dwordx2 s[4:5], s[4:5], 0x28
	v_lshrrev_b64 v[16:17], 24, v[12:13]
	s_cbranch_execz .LBB459_278
; %bb.269:
	s_waitcnt lgkmcnt(0)
	v_mov_b32_dpp v14, v31 row_shr:1 row_mask:0xf bank_mask:0xf
	v_cndmask_b32_e64 v14, v14, 0, s[14:15]
	v_add_u32_e32 v14, v14, v31
	s_nop 1
	v_mov_b32_dpp v15, v14 row_shr:2 row_mask:0xf bank_mask:0xf
	v_cndmask_b32_e64 v15, 0, v15, s[12:13]
	v_add_u32_e32 v14, v14, v15
	s_nop 1
	;; [unrolled: 4-line block ×4, first 2 shown]
	v_mov_b32_dpp v15, v14 row_bcast:15 row_mask:0xf bank_mask:0xf
	v_cndmask_b32_e64 v15, v15, 0, s[18:19]
	v_add_u32_e32 v14, v14, v15
	s_nop 1
	v_mov_b32_dpp v15, v14 row_bcast:31 row_mask:0xf bank_mask:0xf
	v_cndmask_b32_e64 v15, 0, v15, s[0:1]
	v_add_u32_e32 v14, v14, v15
	s_and_saveexec_b64 s[0:1], s[2:3]
	s_cbranch_execz .LBB459_271
; %bb.270:
	v_lshlrev_b32_e32 v15, 2, v30
	ds_write_b32 v15, v14
.LBB459_271:
	s_or_b64 exec, exec, s[0:1]
	v_cmp_gt_u32_e32 vcc, 4, v0
	s_waitcnt lgkmcnt(0)
	s_barrier
	s_and_saveexec_b64 s[0:1], vcc
	s_cbranch_execz .LBB459_273
; %bb.272:
	v_lshlrev_b32_e32 v15, 2, v0
	ds_read_b32 v17, v15
	v_and_b32_e32 v18, 3, v29
	v_cmp_ne_u32_e32 vcc, 0, v18
	s_waitcnt lgkmcnt(0)
	v_mov_b32_dpp v19, v17 row_shr:1 row_mask:0xf bank_mask:0xf
	v_cndmask_b32_e32 v19, 0, v19, vcc
	v_add_u32_e32 v17, v19, v17
	v_cmp_lt_u32_e32 vcc, 1, v18
	s_nop 0
	v_mov_b32_dpp v19, v17 row_shr:2 row_mask:0xf bank_mask:0xf
	v_cndmask_b32_e32 v18, 0, v19, vcc
	v_add_u32_e32 v17, v17, v18
	ds_write_b32 v15, v17
.LBB459_273:
	s_or_b64 exec, exec, s[0:1]
	v_cmp_lt_u32_e32 vcc, 63, v0
	v_mov_b32_e32 v15, 0
	v_mov_b32_e32 v17, 0
	s_waitcnt lgkmcnt(0)
	s_barrier
	s_and_saveexec_b64 s[0:1], vcc
	s_cbranch_execz .LBB459_275
; %bb.274:
	v_lshl_add_u32 v17, v30, 2, -4
	ds_read_b32 v17, v17
.LBB459_275:
	s_or_b64 exec, exec, s[0:1]
	v_add_u32_e32 v18, -1, v29
	v_and_b32_e32 v19, 64, v29
	v_cmp_lt_i32_e32 vcc, v18, v19
	v_cndmask_b32_e32 v18, v18, v29, vcc
	s_waitcnt lgkmcnt(0)
	v_add_u32_e32 v14, v17, v14
	v_lshlrev_b32_e32 v18, 2, v18
	ds_bpermute_b32 v18, v18, v14
	ds_read_b32 v14, v15 offset:12
	v_cmp_eq_u32_e32 vcc, 0, v0
	s_and_saveexec_b64 s[0:1], vcc
	s_cbranch_execz .LBB459_277
; %bb.276:
	v_mov_b32_e32 v19, 0
	v_mov_b32_e32 v15, 2
	s_waitcnt lgkmcnt(0)
	global_store_dwordx2 v19, v[14:15], s[30:31] offset:512
.LBB459_277:
	s_or_b64 exec, exec, s[0:1]
	v_cmp_eq_u32_e64 s[0:1], 0, v29
	s_waitcnt lgkmcnt(1)
	v_cndmask_b32_e64 v17, v18, v17, s[0:1]
	v_cndmask_b32_e64 v26, v17, 0, vcc
	v_add_u32_e32 v24, v26, v1
	v_add_u32_e32 v22, v24, v25
	;; [unrolled: 1-line block ×3, first 2 shown]
	v_mov_b32_e32 v15, 0
	v_add_u32_e32 v18, v20, v28
	s_waitcnt lgkmcnt(0)
	s_barrier
.LBB459_278:
	s_movk_i32 s0, 0x101
	s_waitcnt lgkmcnt(0)
	v_cmp_gt_u32_e32 vcc, s0, v14
	v_lshrrev_b32_e32 v1, 8, v12
	s_mov_b64 s[0:1], -1
	s_cbranch_vccnz .LBB459_282
; %bb.279:
	s_and_b64 vcc, exec, s[0:1]
	s_cbranch_vccnz .LBB459_298
.LBB459_280:
	v_cmp_eq_u32_e32 vcc, 0, v0
	s_and_b64 s[0:1], vcc, s[24:25]
	s_and_saveexec_b64 s[2:3], s[0:1]
	s_cbranch_execnz .LBB459_312
.LBB459_281:
	s_endpgm
.LBB459_282:
	v_add_u32_e32 v17, v15, v14
	v_cmp_lt_u32_e32 vcc, v26, v17
	s_or_b64 s[2:3], s[34:35], vcc
	s_and_saveexec_b64 s[0:1], s[2:3]
	s_cbranch_execz .LBB459_285
; %bb.283:
	v_and_b32_e32 v19, 1, v12
	v_cmp_eq_u32_e32 vcc, 1, v19
	s_and_b64 exec, exec, vcc
	s_cbranch_execz .LBB459_285
; %bb.284:
	s_lshl_b64 s[2:3], s[22:23], 3
	s_add_u32 s2, s4, s2
	v_mov_b32_e32 v27, 0
	s_addc_u32 s3, s5, s3
	v_lshlrev_b64 v[28:29], 3, v[26:27]
	v_mov_b32_e32 v19, s3
	v_add_co_u32_e32 v28, vcc, s2, v28
	v_addc_co_u32_e32 v29, vcc, v19, v29, vcc
	global_store_dwordx2 v[28:29], v[6:7], off
.LBB459_285:
	s_or_b64 exec, exec, s[0:1]
	v_cmp_lt_u32_e32 vcc, v24, v17
	s_or_b64 s[2:3], s[34:35], vcc
	s_and_saveexec_b64 s[0:1], s[2:3]
	s_cbranch_execz .LBB459_288
; %bb.286:
	v_and_b32_e32 v19, 1, v1
	v_cmp_eq_u32_e32 vcc, 1, v19
	s_and_b64 exec, exec, vcc
	s_cbranch_execz .LBB459_288
; %bb.287:
	s_lshl_b64 s[2:3], s[22:23], 3
	s_add_u32 s2, s4, s2
	v_mov_b32_e32 v25, 0
	s_addc_u32 s3, s5, s3
	v_lshlrev_b64 v[28:29], 3, v[24:25]
	v_mov_b32_e32 v19, s3
	v_add_co_u32_e32 v28, vcc, s2, v28
	v_addc_co_u32_e32 v29, vcc, v19, v29, vcc
	global_store_dwordx2 v[28:29], v[8:9], off
.LBB459_288:
	s_or_b64 exec, exec, s[0:1]
	v_cmp_lt_u32_e32 vcc, v22, v17
	s_or_b64 s[2:3], s[34:35], vcc
	s_and_saveexec_b64 s[0:1], s[2:3]
	s_cbranch_execz .LBB459_291
; %bb.289:
	v_mov_b32_e32 v19, 1
	v_and_b32_sdwa v19, v19, v12 dst_sel:DWORD dst_unused:UNUSED_PAD src0_sel:DWORD src1_sel:WORD_1
	v_cmp_eq_u32_e32 vcc, 1, v19
	s_and_b64 exec, exec, vcc
	s_cbranch_execz .LBB459_291
; %bb.290:
	s_lshl_b64 s[2:3], s[22:23], 3
	s_add_u32 s2, s4, s2
	v_mov_b32_e32 v23, 0
	s_addc_u32 s3, s5, s3
	v_lshlrev_b64 v[28:29], 3, v[22:23]
	v_mov_b32_e32 v19, s3
	v_add_co_u32_e32 v28, vcc, s2, v28
	v_addc_co_u32_e32 v29, vcc, v19, v29, vcc
	global_store_dwordx2 v[28:29], v[2:3], off
.LBB459_291:
	s_or_b64 exec, exec, s[0:1]
	v_cmp_lt_u32_e32 vcc, v20, v17
	s_or_b64 s[2:3], s[34:35], vcc
	s_and_saveexec_b64 s[0:1], s[2:3]
	s_cbranch_execz .LBB459_294
; %bb.292:
	v_and_b32_e32 v19, 1, v16
	v_cmp_eq_u32_e32 vcc, 1, v19
	s_and_b64 exec, exec, vcc
	s_cbranch_execz .LBB459_294
; %bb.293:
	s_lshl_b64 s[2:3], s[22:23], 3
	s_add_u32 s2, s4, s2
	v_mov_b32_e32 v21, 0
	s_addc_u32 s3, s5, s3
	v_lshlrev_b64 v[28:29], 3, v[20:21]
	v_mov_b32_e32 v19, s3
	v_add_co_u32_e32 v28, vcc, s2, v28
	v_addc_co_u32_e32 v29, vcc, v19, v29, vcc
	global_store_dwordx2 v[28:29], v[4:5], off
.LBB459_294:
	s_or_b64 exec, exec, s[0:1]
	v_cmp_lt_u32_e32 vcc, v18, v17
	s_or_b64 s[2:3], s[34:35], vcc
	s_and_saveexec_b64 s[0:1], s[2:3]
	s_cbranch_execz .LBB459_297
; %bb.295:
	v_and_b32_e32 v17, 1, v13
	v_cmp_eq_u32_e32 vcc, 1, v17
	s_and_b64 exec, exec, vcc
	s_cbranch_execz .LBB459_297
; %bb.296:
	s_lshl_b64 s[2:3], s[22:23], 3
	s_add_u32 s2, s4, s2
	v_mov_b32_e32 v19, 0
	s_addc_u32 s3, s5, s3
	v_lshlrev_b64 v[28:29], 3, v[18:19]
	v_mov_b32_e32 v17, s3
	v_add_co_u32_e32 v28, vcc, s2, v28
	v_addc_co_u32_e32 v29, vcc, v17, v29, vcc
	global_store_dwordx2 v[28:29], v[10:11], off
.LBB459_297:
	s_or_b64 exec, exec, s[0:1]
	s_branch .LBB459_280
.LBB459_298:
	v_and_b32_e32 v17, 1, v12
	v_cmp_eq_u32_e32 vcc, 1, v17
	s_and_saveexec_b64 s[0:1], vcc
	s_cbranch_execz .LBB459_300
; %bb.299:
	v_sub_u32_e32 v17, v26, v15
	v_lshlrev_b32_e32 v17, 3, v17
	ds_write_b64 v17, v[6:7]
.LBB459_300:
	s_or_b64 exec, exec, s[0:1]
	v_and_b32_e32 v1, 1, v1
	v_cmp_eq_u32_e32 vcc, 1, v1
	s_and_saveexec_b64 s[0:1], vcc
	s_cbranch_execz .LBB459_302
; %bb.301:
	v_sub_u32_e32 v1, v24, v15
	v_lshlrev_b32_e32 v1, 3, v1
	ds_write_b64 v1, v[8:9]
.LBB459_302:
	s_or_b64 exec, exec, s[0:1]
	v_mov_b32_e32 v1, 1
	v_and_b32_sdwa v1, v1, v12 dst_sel:DWORD dst_unused:UNUSED_PAD src0_sel:DWORD src1_sel:WORD_1
	v_cmp_eq_u32_e32 vcc, 1, v1
	s_and_saveexec_b64 s[0:1], vcc
	s_cbranch_execz .LBB459_304
; %bb.303:
	v_sub_u32_e32 v1, v22, v15
	v_lshlrev_b32_e32 v1, 3, v1
	ds_write_b64 v1, v[2:3]
.LBB459_304:
	s_or_b64 exec, exec, s[0:1]
	v_and_b32_e32 v1, 1, v16
	v_cmp_eq_u32_e32 vcc, 1, v1
	s_and_saveexec_b64 s[0:1], vcc
	s_cbranch_execz .LBB459_306
; %bb.305:
	v_sub_u32_e32 v1, v20, v15
	v_lshlrev_b32_e32 v1, 3, v1
	ds_write_b64 v1, v[4:5]
.LBB459_306:
	s_or_b64 exec, exec, s[0:1]
	v_and_b32_e32 v1, 1, v13
	v_cmp_eq_u32_e32 vcc, 1, v1
	s_and_saveexec_b64 s[0:1], vcc
	s_cbranch_execz .LBB459_308
; %bb.307:
	v_sub_u32_e32 v1, v18, v15
	v_lshlrev_b32_e32 v1, 3, v1
	ds_write_b64 v1, v[10:11]
.LBB459_308:
	s_or_b64 exec, exec, s[0:1]
	v_cmp_lt_u32_e32 vcc, v0, v14
	s_waitcnt lgkmcnt(0)
	s_barrier
	s_and_saveexec_b64 s[0:1], vcc
	s_cbranch_execz .LBB459_311
; %bb.309:
	v_mov_b32_e32 v3, 0
	v_mov_b32_e32 v2, v15
	v_lshlrev_b64 v[4:5], 3, v[2:3]
	v_mov_b32_e32 v1, s5
	v_add_co_u32_e32 v2, vcc, s4, v4
	v_addc_co_u32_e32 v4, vcc, v1, v5, vcc
	s_lshl_b64 s[2:3], s[22:23], 3
	v_mov_b32_e32 v5, s3
	v_add_co_u32_e32 v1, vcc, s2, v2
	v_addc_co_u32_e32 v4, vcc, v4, v5, vcc
	v_lshlrev_b32_e32 v5, 3, v0
	s_mov_b64 s[2:3], 0
	v_mov_b32_e32 v2, v0
.LBB459_310:                            ; =>This Inner Loop Header: Depth=1
	ds_read_b64 v[6:7], v5
	v_lshlrev_b64 v[8:9], 3, v[2:3]
	v_add_co_u32_e32 v8, vcc, v1, v8
	v_add_u32_e32 v2, 0x100, v2
	v_addc_co_u32_e32 v9, vcc, v4, v9, vcc
	v_cmp_ge_u32_e32 vcc, v2, v14
	v_add_u32_e32 v5, 0x800, v5
	s_or_b64 s[2:3], vcc, s[2:3]
	s_waitcnt lgkmcnt(0)
	global_store_dwordx2 v[8:9], v[6:7], off
	s_andn2_b64 exec, exec, s[2:3]
	s_cbranch_execnz .LBB459_310
.LBB459_311:
	s_or_b64 exec, exec, s[0:1]
	v_cmp_eq_u32_e32 vcc, 0, v0
	s_and_b64 s[0:1], vcc, s[24:25]
	s_and_saveexec_b64 s[2:3], s[0:1]
	s_cbranch_execz .LBB459_281
.LBB459_312:
	v_mov_b32_e32 v0, s23
	v_add_co_u32_e32 v1, vcc, s22, v14
	v_addc_co_u32_e32 v3, vcc, 0, v0, vcc
	v_add_co_u32_e32 v0, vcc, v1, v15
	v_mov_b32_e32 v2, 0
	v_addc_co_u32_e32 v1, vcc, 0, v3, vcc
	global_store_dwordx2 v2, v[0:1], s[20:21]
	s_endpgm
	.section	.rodata,"a",@progbits
	.p2align	6, 0x0
	.amdhsa_kernel _ZN7rocprim17ROCPRIM_400000_NS6detail17trampoline_kernelINS0_14default_configENS1_25partition_config_selectorILNS1_17partition_subalgoE8ElNS0_10empty_typeEbEEZZNS1_14partition_implILS5_8ELb0ES3_jPlPS6_PKS6_NS0_5tupleIJS9_S6_EEENSD_IJSA_SA_EEENS0_18inequality_wrapperIZN2at6native12_GLOBAL__N_124unique_dim_cuda_templateIiEESt5tupleIJNSH_6TensorESM_SM_EERKSM_lbbbEUlllE0_EEPmJS6_EEE10hipError_tPvRmT3_T4_T5_T6_T7_T9_mT8_P12ihipStream_tbDpT10_ENKUlT_T0_E_clISt17integral_constantIbLb1EES1B_IbLb0EEEEDaS17_S18_EUlS17_E_NS1_11comp_targetILNS1_3genE4ELNS1_11target_archE910ELNS1_3gpuE8ELNS1_3repE0EEENS1_30default_config_static_selectorELNS0_4arch9wavefront6targetE1EEEvT1_
		.amdhsa_group_segment_fixed_size 10252
		.amdhsa_private_segment_fixed_size 0
		.amdhsa_kernarg_size 120
		.amdhsa_user_sgpr_count 6
		.amdhsa_user_sgpr_private_segment_buffer 1
		.amdhsa_user_sgpr_dispatch_ptr 0
		.amdhsa_user_sgpr_queue_ptr 0
		.amdhsa_user_sgpr_kernarg_segment_ptr 1
		.amdhsa_user_sgpr_dispatch_id 0
		.amdhsa_user_sgpr_flat_scratch_init 0
		.amdhsa_user_sgpr_kernarg_preload_length 0
		.amdhsa_user_sgpr_kernarg_preload_offset 0
		.amdhsa_user_sgpr_private_segment_size 0
		.amdhsa_uses_dynamic_stack 0
		.amdhsa_system_sgpr_private_segment_wavefront_offset 0
		.amdhsa_system_sgpr_workgroup_id_x 1
		.amdhsa_system_sgpr_workgroup_id_y 0
		.amdhsa_system_sgpr_workgroup_id_z 0
		.amdhsa_system_sgpr_workgroup_info 0
		.amdhsa_system_vgpr_workitem_id 0
		.amdhsa_next_free_vgpr 46
		.amdhsa_next_free_sgpr 48
		.amdhsa_accum_offset 48
		.amdhsa_reserve_vcc 1
		.amdhsa_reserve_flat_scratch 0
		.amdhsa_float_round_mode_32 0
		.amdhsa_float_round_mode_16_64 0
		.amdhsa_float_denorm_mode_32 3
		.amdhsa_float_denorm_mode_16_64 3
		.amdhsa_dx10_clamp 1
		.amdhsa_ieee_mode 1
		.amdhsa_fp16_overflow 0
		.amdhsa_tg_split 0
		.amdhsa_exception_fp_ieee_invalid_op 0
		.amdhsa_exception_fp_denorm_src 0
		.amdhsa_exception_fp_ieee_div_zero 0
		.amdhsa_exception_fp_ieee_overflow 0
		.amdhsa_exception_fp_ieee_underflow 0
		.amdhsa_exception_fp_ieee_inexact 0
		.amdhsa_exception_int_div_zero 0
	.end_amdhsa_kernel
	.section	.text._ZN7rocprim17ROCPRIM_400000_NS6detail17trampoline_kernelINS0_14default_configENS1_25partition_config_selectorILNS1_17partition_subalgoE8ElNS0_10empty_typeEbEEZZNS1_14partition_implILS5_8ELb0ES3_jPlPS6_PKS6_NS0_5tupleIJS9_S6_EEENSD_IJSA_SA_EEENS0_18inequality_wrapperIZN2at6native12_GLOBAL__N_124unique_dim_cuda_templateIiEESt5tupleIJNSH_6TensorESM_SM_EERKSM_lbbbEUlllE0_EEPmJS6_EEE10hipError_tPvRmT3_T4_T5_T6_T7_T9_mT8_P12ihipStream_tbDpT10_ENKUlT_T0_E_clISt17integral_constantIbLb1EES1B_IbLb0EEEEDaS17_S18_EUlS17_E_NS1_11comp_targetILNS1_3genE4ELNS1_11target_archE910ELNS1_3gpuE8ELNS1_3repE0EEENS1_30default_config_static_selectorELNS0_4arch9wavefront6targetE1EEEvT1_,"axG",@progbits,_ZN7rocprim17ROCPRIM_400000_NS6detail17trampoline_kernelINS0_14default_configENS1_25partition_config_selectorILNS1_17partition_subalgoE8ElNS0_10empty_typeEbEEZZNS1_14partition_implILS5_8ELb0ES3_jPlPS6_PKS6_NS0_5tupleIJS9_S6_EEENSD_IJSA_SA_EEENS0_18inequality_wrapperIZN2at6native12_GLOBAL__N_124unique_dim_cuda_templateIiEESt5tupleIJNSH_6TensorESM_SM_EERKSM_lbbbEUlllE0_EEPmJS6_EEE10hipError_tPvRmT3_T4_T5_T6_T7_T9_mT8_P12ihipStream_tbDpT10_ENKUlT_T0_E_clISt17integral_constantIbLb1EES1B_IbLb0EEEEDaS17_S18_EUlS17_E_NS1_11comp_targetILNS1_3genE4ELNS1_11target_archE910ELNS1_3gpuE8ELNS1_3repE0EEENS1_30default_config_static_selectorELNS0_4arch9wavefront6targetE1EEEvT1_,comdat
.Lfunc_end459:
	.size	_ZN7rocprim17ROCPRIM_400000_NS6detail17trampoline_kernelINS0_14default_configENS1_25partition_config_selectorILNS1_17partition_subalgoE8ElNS0_10empty_typeEbEEZZNS1_14partition_implILS5_8ELb0ES3_jPlPS6_PKS6_NS0_5tupleIJS9_S6_EEENSD_IJSA_SA_EEENS0_18inequality_wrapperIZN2at6native12_GLOBAL__N_124unique_dim_cuda_templateIiEESt5tupleIJNSH_6TensorESM_SM_EERKSM_lbbbEUlllE0_EEPmJS6_EEE10hipError_tPvRmT3_T4_T5_T6_T7_T9_mT8_P12ihipStream_tbDpT10_ENKUlT_T0_E_clISt17integral_constantIbLb1EES1B_IbLb0EEEEDaS17_S18_EUlS17_E_NS1_11comp_targetILNS1_3genE4ELNS1_11target_archE910ELNS1_3gpuE8ELNS1_3repE0EEENS1_30default_config_static_selectorELNS0_4arch9wavefront6targetE1EEEvT1_, .Lfunc_end459-_ZN7rocprim17ROCPRIM_400000_NS6detail17trampoline_kernelINS0_14default_configENS1_25partition_config_selectorILNS1_17partition_subalgoE8ElNS0_10empty_typeEbEEZZNS1_14partition_implILS5_8ELb0ES3_jPlPS6_PKS6_NS0_5tupleIJS9_S6_EEENSD_IJSA_SA_EEENS0_18inequality_wrapperIZN2at6native12_GLOBAL__N_124unique_dim_cuda_templateIiEESt5tupleIJNSH_6TensorESM_SM_EERKSM_lbbbEUlllE0_EEPmJS6_EEE10hipError_tPvRmT3_T4_T5_T6_T7_T9_mT8_P12ihipStream_tbDpT10_ENKUlT_T0_E_clISt17integral_constantIbLb1EES1B_IbLb0EEEEDaS17_S18_EUlS17_E_NS1_11comp_targetILNS1_3genE4ELNS1_11target_archE910ELNS1_3gpuE8ELNS1_3repE0EEENS1_30default_config_static_selectorELNS0_4arch9wavefront6targetE1EEEvT1_
                                        ; -- End function
	.section	.AMDGPU.csdata,"",@progbits
; Kernel info:
; codeLenInByte = 11456
; NumSgprs: 52
; NumVgprs: 46
; NumAgprs: 0
; TotalNumVgprs: 46
; ScratchSize: 0
; MemoryBound: 0
; FloatMode: 240
; IeeeMode: 1
; LDSByteSize: 10252 bytes/workgroup (compile time only)
; SGPRBlocks: 6
; VGPRBlocks: 5
; NumSGPRsForWavesPerEU: 52
; NumVGPRsForWavesPerEU: 46
; AccumOffset: 48
; Occupancy: 6
; WaveLimiterHint : 1
; COMPUTE_PGM_RSRC2:SCRATCH_EN: 0
; COMPUTE_PGM_RSRC2:USER_SGPR: 6
; COMPUTE_PGM_RSRC2:TRAP_HANDLER: 0
; COMPUTE_PGM_RSRC2:TGID_X_EN: 1
; COMPUTE_PGM_RSRC2:TGID_Y_EN: 0
; COMPUTE_PGM_RSRC2:TGID_Z_EN: 0
; COMPUTE_PGM_RSRC2:TIDIG_COMP_CNT: 0
; COMPUTE_PGM_RSRC3_GFX90A:ACCUM_OFFSET: 11
; COMPUTE_PGM_RSRC3_GFX90A:TG_SPLIT: 0
	.section	.text._ZN7rocprim17ROCPRIM_400000_NS6detail17trampoline_kernelINS0_14default_configENS1_25partition_config_selectorILNS1_17partition_subalgoE8ElNS0_10empty_typeEbEEZZNS1_14partition_implILS5_8ELb0ES3_jPlPS6_PKS6_NS0_5tupleIJS9_S6_EEENSD_IJSA_SA_EEENS0_18inequality_wrapperIZN2at6native12_GLOBAL__N_124unique_dim_cuda_templateIiEESt5tupleIJNSH_6TensorESM_SM_EERKSM_lbbbEUlllE0_EEPmJS6_EEE10hipError_tPvRmT3_T4_T5_T6_T7_T9_mT8_P12ihipStream_tbDpT10_ENKUlT_T0_E_clISt17integral_constantIbLb1EES1B_IbLb0EEEEDaS17_S18_EUlS17_E_NS1_11comp_targetILNS1_3genE3ELNS1_11target_archE908ELNS1_3gpuE7ELNS1_3repE0EEENS1_30default_config_static_selectorELNS0_4arch9wavefront6targetE1EEEvT1_,"axG",@progbits,_ZN7rocprim17ROCPRIM_400000_NS6detail17trampoline_kernelINS0_14default_configENS1_25partition_config_selectorILNS1_17partition_subalgoE8ElNS0_10empty_typeEbEEZZNS1_14partition_implILS5_8ELb0ES3_jPlPS6_PKS6_NS0_5tupleIJS9_S6_EEENSD_IJSA_SA_EEENS0_18inequality_wrapperIZN2at6native12_GLOBAL__N_124unique_dim_cuda_templateIiEESt5tupleIJNSH_6TensorESM_SM_EERKSM_lbbbEUlllE0_EEPmJS6_EEE10hipError_tPvRmT3_T4_T5_T6_T7_T9_mT8_P12ihipStream_tbDpT10_ENKUlT_T0_E_clISt17integral_constantIbLb1EES1B_IbLb0EEEEDaS17_S18_EUlS17_E_NS1_11comp_targetILNS1_3genE3ELNS1_11target_archE908ELNS1_3gpuE7ELNS1_3repE0EEENS1_30default_config_static_selectorELNS0_4arch9wavefront6targetE1EEEvT1_,comdat
	.globl	_ZN7rocprim17ROCPRIM_400000_NS6detail17trampoline_kernelINS0_14default_configENS1_25partition_config_selectorILNS1_17partition_subalgoE8ElNS0_10empty_typeEbEEZZNS1_14partition_implILS5_8ELb0ES3_jPlPS6_PKS6_NS0_5tupleIJS9_S6_EEENSD_IJSA_SA_EEENS0_18inequality_wrapperIZN2at6native12_GLOBAL__N_124unique_dim_cuda_templateIiEESt5tupleIJNSH_6TensorESM_SM_EERKSM_lbbbEUlllE0_EEPmJS6_EEE10hipError_tPvRmT3_T4_T5_T6_T7_T9_mT8_P12ihipStream_tbDpT10_ENKUlT_T0_E_clISt17integral_constantIbLb1EES1B_IbLb0EEEEDaS17_S18_EUlS17_E_NS1_11comp_targetILNS1_3genE3ELNS1_11target_archE908ELNS1_3gpuE7ELNS1_3repE0EEENS1_30default_config_static_selectorELNS0_4arch9wavefront6targetE1EEEvT1_ ; -- Begin function _ZN7rocprim17ROCPRIM_400000_NS6detail17trampoline_kernelINS0_14default_configENS1_25partition_config_selectorILNS1_17partition_subalgoE8ElNS0_10empty_typeEbEEZZNS1_14partition_implILS5_8ELb0ES3_jPlPS6_PKS6_NS0_5tupleIJS9_S6_EEENSD_IJSA_SA_EEENS0_18inequality_wrapperIZN2at6native12_GLOBAL__N_124unique_dim_cuda_templateIiEESt5tupleIJNSH_6TensorESM_SM_EERKSM_lbbbEUlllE0_EEPmJS6_EEE10hipError_tPvRmT3_T4_T5_T6_T7_T9_mT8_P12ihipStream_tbDpT10_ENKUlT_T0_E_clISt17integral_constantIbLb1EES1B_IbLb0EEEEDaS17_S18_EUlS17_E_NS1_11comp_targetILNS1_3genE3ELNS1_11target_archE908ELNS1_3gpuE7ELNS1_3repE0EEENS1_30default_config_static_selectorELNS0_4arch9wavefront6targetE1EEEvT1_
	.p2align	8
	.type	_ZN7rocprim17ROCPRIM_400000_NS6detail17trampoline_kernelINS0_14default_configENS1_25partition_config_selectorILNS1_17partition_subalgoE8ElNS0_10empty_typeEbEEZZNS1_14partition_implILS5_8ELb0ES3_jPlPS6_PKS6_NS0_5tupleIJS9_S6_EEENSD_IJSA_SA_EEENS0_18inequality_wrapperIZN2at6native12_GLOBAL__N_124unique_dim_cuda_templateIiEESt5tupleIJNSH_6TensorESM_SM_EERKSM_lbbbEUlllE0_EEPmJS6_EEE10hipError_tPvRmT3_T4_T5_T6_T7_T9_mT8_P12ihipStream_tbDpT10_ENKUlT_T0_E_clISt17integral_constantIbLb1EES1B_IbLb0EEEEDaS17_S18_EUlS17_E_NS1_11comp_targetILNS1_3genE3ELNS1_11target_archE908ELNS1_3gpuE7ELNS1_3repE0EEENS1_30default_config_static_selectorELNS0_4arch9wavefront6targetE1EEEvT1_,@function
_ZN7rocprim17ROCPRIM_400000_NS6detail17trampoline_kernelINS0_14default_configENS1_25partition_config_selectorILNS1_17partition_subalgoE8ElNS0_10empty_typeEbEEZZNS1_14partition_implILS5_8ELb0ES3_jPlPS6_PKS6_NS0_5tupleIJS9_S6_EEENSD_IJSA_SA_EEENS0_18inequality_wrapperIZN2at6native12_GLOBAL__N_124unique_dim_cuda_templateIiEESt5tupleIJNSH_6TensorESM_SM_EERKSM_lbbbEUlllE0_EEPmJS6_EEE10hipError_tPvRmT3_T4_T5_T6_T7_T9_mT8_P12ihipStream_tbDpT10_ENKUlT_T0_E_clISt17integral_constantIbLb1EES1B_IbLb0EEEEDaS17_S18_EUlS17_E_NS1_11comp_targetILNS1_3genE3ELNS1_11target_archE908ELNS1_3gpuE7ELNS1_3repE0EEENS1_30default_config_static_selectorELNS0_4arch9wavefront6targetE1EEEvT1_: ; @_ZN7rocprim17ROCPRIM_400000_NS6detail17trampoline_kernelINS0_14default_configENS1_25partition_config_selectorILNS1_17partition_subalgoE8ElNS0_10empty_typeEbEEZZNS1_14partition_implILS5_8ELb0ES3_jPlPS6_PKS6_NS0_5tupleIJS9_S6_EEENSD_IJSA_SA_EEENS0_18inequality_wrapperIZN2at6native12_GLOBAL__N_124unique_dim_cuda_templateIiEESt5tupleIJNSH_6TensorESM_SM_EERKSM_lbbbEUlllE0_EEPmJS6_EEE10hipError_tPvRmT3_T4_T5_T6_T7_T9_mT8_P12ihipStream_tbDpT10_ENKUlT_T0_E_clISt17integral_constantIbLb1EES1B_IbLb0EEEEDaS17_S18_EUlS17_E_NS1_11comp_targetILNS1_3genE3ELNS1_11target_archE908ELNS1_3gpuE7ELNS1_3repE0EEENS1_30default_config_static_selectorELNS0_4arch9wavefront6targetE1EEEvT1_
; %bb.0:
	.section	.rodata,"a",@progbits
	.p2align	6, 0x0
	.amdhsa_kernel _ZN7rocprim17ROCPRIM_400000_NS6detail17trampoline_kernelINS0_14default_configENS1_25partition_config_selectorILNS1_17partition_subalgoE8ElNS0_10empty_typeEbEEZZNS1_14partition_implILS5_8ELb0ES3_jPlPS6_PKS6_NS0_5tupleIJS9_S6_EEENSD_IJSA_SA_EEENS0_18inequality_wrapperIZN2at6native12_GLOBAL__N_124unique_dim_cuda_templateIiEESt5tupleIJNSH_6TensorESM_SM_EERKSM_lbbbEUlllE0_EEPmJS6_EEE10hipError_tPvRmT3_T4_T5_T6_T7_T9_mT8_P12ihipStream_tbDpT10_ENKUlT_T0_E_clISt17integral_constantIbLb1EES1B_IbLb0EEEEDaS17_S18_EUlS17_E_NS1_11comp_targetILNS1_3genE3ELNS1_11target_archE908ELNS1_3gpuE7ELNS1_3repE0EEENS1_30default_config_static_selectorELNS0_4arch9wavefront6targetE1EEEvT1_
		.amdhsa_group_segment_fixed_size 0
		.amdhsa_private_segment_fixed_size 0
		.amdhsa_kernarg_size 120
		.amdhsa_user_sgpr_count 6
		.amdhsa_user_sgpr_private_segment_buffer 1
		.amdhsa_user_sgpr_dispatch_ptr 0
		.amdhsa_user_sgpr_queue_ptr 0
		.amdhsa_user_sgpr_kernarg_segment_ptr 1
		.amdhsa_user_sgpr_dispatch_id 0
		.amdhsa_user_sgpr_flat_scratch_init 0
		.amdhsa_user_sgpr_kernarg_preload_length 0
		.amdhsa_user_sgpr_kernarg_preload_offset 0
		.amdhsa_user_sgpr_private_segment_size 0
		.amdhsa_uses_dynamic_stack 0
		.amdhsa_system_sgpr_private_segment_wavefront_offset 0
		.amdhsa_system_sgpr_workgroup_id_x 1
		.amdhsa_system_sgpr_workgroup_id_y 0
		.amdhsa_system_sgpr_workgroup_id_z 0
		.amdhsa_system_sgpr_workgroup_info 0
		.amdhsa_system_vgpr_workitem_id 0
		.amdhsa_next_free_vgpr 1
		.amdhsa_next_free_sgpr 0
		.amdhsa_accum_offset 4
		.amdhsa_reserve_vcc 0
		.amdhsa_reserve_flat_scratch 0
		.amdhsa_float_round_mode_32 0
		.amdhsa_float_round_mode_16_64 0
		.amdhsa_float_denorm_mode_32 3
		.amdhsa_float_denorm_mode_16_64 3
		.amdhsa_dx10_clamp 1
		.amdhsa_ieee_mode 1
		.amdhsa_fp16_overflow 0
		.amdhsa_tg_split 0
		.amdhsa_exception_fp_ieee_invalid_op 0
		.amdhsa_exception_fp_denorm_src 0
		.amdhsa_exception_fp_ieee_div_zero 0
		.amdhsa_exception_fp_ieee_overflow 0
		.amdhsa_exception_fp_ieee_underflow 0
		.amdhsa_exception_fp_ieee_inexact 0
		.amdhsa_exception_int_div_zero 0
	.end_amdhsa_kernel
	.section	.text._ZN7rocprim17ROCPRIM_400000_NS6detail17trampoline_kernelINS0_14default_configENS1_25partition_config_selectorILNS1_17partition_subalgoE8ElNS0_10empty_typeEbEEZZNS1_14partition_implILS5_8ELb0ES3_jPlPS6_PKS6_NS0_5tupleIJS9_S6_EEENSD_IJSA_SA_EEENS0_18inequality_wrapperIZN2at6native12_GLOBAL__N_124unique_dim_cuda_templateIiEESt5tupleIJNSH_6TensorESM_SM_EERKSM_lbbbEUlllE0_EEPmJS6_EEE10hipError_tPvRmT3_T4_T5_T6_T7_T9_mT8_P12ihipStream_tbDpT10_ENKUlT_T0_E_clISt17integral_constantIbLb1EES1B_IbLb0EEEEDaS17_S18_EUlS17_E_NS1_11comp_targetILNS1_3genE3ELNS1_11target_archE908ELNS1_3gpuE7ELNS1_3repE0EEENS1_30default_config_static_selectorELNS0_4arch9wavefront6targetE1EEEvT1_,"axG",@progbits,_ZN7rocprim17ROCPRIM_400000_NS6detail17trampoline_kernelINS0_14default_configENS1_25partition_config_selectorILNS1_17partition_subalgoE8ElNS0_10empty_typeEbEEZZNS1_14partition_implILS5_8ELb0ES3_jPlPS6_PKS6_NS0_5tupleIJS9_S6_EEENSD_IJSA_SA_EEENS0_18inequality_wrapperIZN2at6native12_GLOBAL__N_124unique_dim_cuda_templateIiEESt5tupleIJNSH_6TensorESM_SM_EERKSM_lbbbEUlllE0_EEPmJS6_EEE10hipError_tPvRmT3_T4_T5_T6_T7_T9_mT8_P12ihipStream_tbDpT10_ENKUlT_T0_E_clISt17integral_constantIbLb1EES1B_IbLb0EEEEDaS17_S18_EUlS17_E_NS1_11comp_targetILNS1_3genE3ELNS1_11target_archE908ELNS1_3gpuE7ELNS1_3repE0EEENS1_30default_config_static_selectorELNS0_4arch9wavefront6targetE1EEEvT1_,comdat
.Lfunc_end460:
	.size	_ZN7rocprim17ROCPRIM_400000_NS6detail17trampoline_kernelINS0_14default_configENS1_25partition_config_selectorILNS1_17partition_subalgoE8ElNS0_10empty_typeEbEEZZNS1_14partition_implILS5_8ELb0ES3_jPlPS6_PKS6_NS0_5tupleIJS9_S6_EEENSD_IJSA_SA_EEENS0_18inequality_wrapperIZN2at6native12_GLOBAL__N_124unique_dim_cuda_templateIiEESt5tupleIJNSH_6TensorESM_SM_EERKSM_lbbbEUlllE0_EEPmJS6_EEE10hipError_tPvRmT3_T4_T5_T6_T7_T9_mT8_P12ihipStream_tbDpT10_ENKUlT_T0_E_clISt17integral_constantIbLb1EES1B_IbLb0EEEEDaS17_S18_EUlS17_E_NS1_11comp_targetILNS1_3genE3ELNS1_11target_archE908ELNS1_3gpuE7ELNS1_3repE0EEENS1_30default_config_static_selectorELNS0_4arch9wavefront6targetE1EEEvT1_, .Lfunc_end460-_ZN7rocprim17ROCPRIM_400000_NS6detail17trampoline_kernelINS0_14default_configENS1_25partition_config_selectorILNS1_17partition_subalgoE8ElNS0_10empty_typeEbEEZZNS1_14partition_implILS5_8ELb0ES3_jPlPS6_PKS6_NS0_5tupleIJS9_S6_EEENSD_IJSA_SA_EEENS0_18inequality_wrapperIZN2at6native12_GLOBAL__N_124unique_dim_cuda_templateIiEESt5tupleIJNSH_6TensorESM_SM_EERKSM_lbbbEUlllE0_EEPmJS6_EEE10hipError_tPvRmT3_T4_T5_T6_T7_T9_mT8_P12ihipStream_tbDpT10_ENKUlT_T0_E_clISt17integral_constantIbLb1EES1B_IbLb0EEEEDaS17_S18_EUlS17_E_NS1_11comp_targetILNS1_3genE3ELNS1_11target_archE908ELNS1_3gpuE7ELNS1_3repE0EEENS1_30default_config_static_selectorELNS0_4arch9wavefront6targetE1EEEvT1_
                                        ; -- End function
	.section	.AMDGPU.csdata,"",@progbits
; Kernel info:
; codeLenInByte = 0
; NumSgprs: 4
; NumVgprs: 0
; NumAgprs: 0
; TotalNumVgprs: 0
; ScratchSize: 0
; MemoryBound: 0
; FloatMode: 240
; IeeeMode: 1
; LDSByteSize: 0 bytes/workgroup (compile time only)
; SGPRBlocks: 0
; VGPRBlocks: 0
; NumSGPRsForWavesPerEU: 4
; NumVGPRsForWavesPerEU: 1
; AccumOffset: 4
; Occupancy: 8
; WaveLimiterHint : 0
; COMPUTE_PGM_RSRC2:SCRATCH_EN: 0
; COMPUTE_PGM_RSRC2:USER_SGPR: 6
; COMPUTE_PGM_RSRC2:TRAP_HANDLER: 0
; COMPUTE_PGM_RSRC2:TGID_X_EN: 1
; COMPUTE_PGM_RSRC2:TGID_Y_EN: 0
; COMPUTE_PGM_RSRC2:TGID_Z_EN: 0
; COMPUTE_PGM_RSRC2:TIDIG_COMP_CNT: 0
; COMPUTE_PGM_RSRC3_GFX90A:ACCUM_OFFSET: 0
; COMPUTE_PGM_RSRC3_GFX90A:TG_SPLIT: 0
	.section	.text._ZN7rocprim17ROCPRIM_400000_NS6detail17trampoline_kernelINS0_14default_configENS1_25partition_config_selectorILNS1_17partition_subalgoE8ElNS0_10empty_typeEbEEZZNS1_14partition_implILS5_8ELb0ES3_jPlPS6_PKS6_NS0_5tupleIJS9_S6_EEENSD_IJSA_SA_EEENS0_18inequality_wrapperIZN2at6native12_GLOBAL__N_124unique_dim_cuda_templateIiEESt5tupleIJNSH_6TensorESM_SM_EERKSM_lbbbEUlllE0_EEPmJS6_EEE10hipError_tPvRmT3_T4_T5_T6_T7_T9_mT8_P12ihipStream_tbDpT10_ENKUlT_T0_E_clISt17integral_constantIbLb1EES1B_IbLb0EEEEDaS17_S18_EUlS17_E_NS1_11comp_targetILNS1_3genE2ELNS1_11target_archE906ELNS1_3gpuE6ELNS1_3repE0EEENS1_30default_config_static_selectorELNS0_4arch9wavefront6targetE1EEEvT1_,"axG",@progbits,_ZN7rocprim17ROCPRIM_400000_NS6detail17trampoline_kernelINS0_14default_configENS1_25partition_config_selectorILNS1_17partition_subalgoE8ElNS0_10empty_typeEbEEZZNS1_14partition_implILS5_8ELb0ES3_jPlPS6_PKS6_NS0_5tupleIJS9_S6_EEENSD_IJSA_SA_EEENS0_18inequality_wrapperIZN2at6native12_GLOBAL__N_124unique_dim_cuda_templateIiEESt5tupleIJNSH_6TensorESM_SM_EERKSM_lbbbEUlllE0_EEPmJS6_EEE10hipError_tPvRmT3_T4_T5_T6_T7_T9_mT8_P12ihipStream_tbDpT10_ENKUlT_T0_E_clISt17integral_constantIbLb1EES1B_IbLb0EEEEDaS17_S18_EUlS17_E_NS1_11comp_targetILNS1_3genE2ELNS1_11target_archE906ELNS1_3gpuE6ELNS1_3repE0EEENS1_30default_config_static_selectorELNS0_4arch9wavefront6targetE1EEEvT1_,comdat
	.globl	_ZN7rocprim17ROCPRIM_400000_NS6detail17trampoline_kernelINS0_14default_configENS1_25partition_config_selectorILNS1_17partition_subalgoE8ElNS0_10empty_typeEbEEZZNS1_14partition_implILS5_8ELb0ES3_jPlPS6_PKS6_NS0_5tupleIJS9_S6_EEENSD_IJSA_SA_EEENS0_18inequality_wrapperIZN2at6native12_GLOBAL__N_124unique_dim_cuda_templateIiEESt5tupleIJNSH_6TensorESM_SM_EERKSM_lbbbEUlllE0_EEPmJS6_EEE10hipError_tPvRmT3_T4_T5_T6_T7_T9_mT8_P12ihipStream_tbDpT10_ENKUlT_T0_E_clISt17integral_constantIbLb1EES1B_IbLb0EEEEDaS17_S18_EUlS17_E_NS1_11comp_targetILNS1_3genE2ELNS1_11target_archE906ELNS1_3gpuE6ELNS1_3repE0EEENS1_30default_config_static_selectorELNS0_4arch9wavefront6targetE1EEEvT1_ ; -- Begin function _ZN7rocprim17ROCPRIM_400000_NS6detail17trampoline_kernelINS0_14default_configENS1_25partition_config_selectorILNS1_17partition_subalgoE8ElNS0_10empty_typeEbEEZZNS1_14partition_implILS5_8ELb0ES3_jPlPS6_PKS6_NS0_5tupleIJS9_S6_EEENSD_IJSA_SA_EEENS0_18inequality_wrapperIZN2at6native12_GLOBAL__N_124unique_dim_cuda_templateIiEESt5tupleIJNSH_6TensorESM_SM_EERKSM_lbbbEUlllE0_EEPmJS6_EEE10hipError_tPvRmT3_T4_T5_T6_T7_T9_mT8_P12ihipStream_tbDpT10_ENKUlT_T0_E_clISt17integral_constantIbLb1EES1B_IbLb0EEEEDaS17_S18_EUlS17_E_NS1_11comp_targetILNS1_3genE2ELNS1_11target_archE906ELNS1_3gpuE6ELNS1_3repE0EEENS1_30default_config_static_selectorELNS0_4arch9wavefront6targetE1EEEvT1_
	.p2align	8
	.type	_ZN7rocprim17ROCPRIM_400000_NS6detail17trampoline_kernelINS0_14default_configENS1_25partition_config_selectorILNS1_17partition_subalgoE8ElNS0_10empty_typeEbEEZZNS1_14partition_implILS5_8ELb0ES3_jPlPS6_PKS6_NS0_5tupleIJS9_S6_EEENSD_IJSA_SA_EEENS0_18inequality_wrapperIZN2at6native12_GLOBAL__N_124unique_dim_cuda_templateIiEESt5tupleIJNSH_6TensorESM_SM_EERKSM_lbbbEUlllE0_EEPmJS6_EEE10hipError_tPvRmT3_T4_T5_T6_T7_T9_mT8_P12ihipStream_tbDpT10_ENKUlT_T0_E_clISt17integral_constantIbLb1EES1B_IbLb0EEEEDaS17_S18_EUlS17_E_NS1_11comp_targetILNS1_3genE2ELNS1_11target_archE906ELNS1_3gpuE6ELNS1_3repE0EEENS1_30default_config_static_selectorELNS0_4arch9wavefront6targetE1EEEvT1_,@function
_ZN7rocprim17ROCPRIM_400000_NS6detail17trampoline_kernelINS0_14default_configENS1_25partition_config_selectorILNS1_17partition_subalgoE8ElNS0_10empty_typeEbEEZZNS1_14partition_implILS5_8ELb0ES3_jPlPS6_PKS6_NS0_5tupleIJS9_S6_EEENSD_IJSA_SA_EEENS0_18inequality_wrapperIZN2at6native12_GLOBAL__N_124unique_dim_cuda_templateIiEESt5tupleIJNSH_6TensorESM_SM_EERKSM_lbbbEUlllE0_EEPmJS6_EEE10hipError_tPvRmT3_T4_T5_T6_T7_T9_mT8_P12ihipStream_tbDpT10_ENKUlT_T0_E_clISt17integral_constantIbLb1EES1B_IbLb0EEEEDaS17_S18_EUlS17_E_NS1_11comp_targetILNS1_3genE2ELNS1_11target_archE906ELNS1_3gpuE6ELNS1_3repE0EEENS1_30default_config_static_selectorELNS0_4arch9wavefront6targetE1EEEvT1_: ; @_ZN7rocprim17ROCPRIM_400000_NS6detail17trampoline_kernelINS0_14default_configENS1_25partition_config_selectorILNS1_17partition_subalgoE8ElNS0_10empty_typeEbEEZZNS1_14partition_implILS5_8ELb0ES3_jPlPS6_PKS6_NS0_5tupleIJS9_S6_EEENSD_IJSA_SA_EEENS0_18inequality_wrapperIZN2at6native12_GLOBAL__N_124unique_dim_cuda_templateIiEESt5tupleIJNSH_6TensorESM_SM_EERKSM_lbbbEUlllE0_EEPmJS6_EEE10hipError_tPvRmT3_T4_T5_T6_T7_T9_mT8_P12ihipStream_tbDpT10_ENKUlT_T0_E_clISt17integral_constantIbLb1EES1B_IbLb0EEEEDaS17_S18_EUlS17_E_NS1_11comp_targetILNS1_3genE2ELNS1_11target_archE906ELNS1_3gpuE6ELNS1_3repE0EEENS1_30default_config_static_selectorELNS0_4arch9wavefront6targetE1EEEvT1_
; %bb.0:
	.section	.rodata,"a",@progbits
	.p2align	6, 0x0
	.amdhsa_kernel _ZN7rocprim17ROCPRIM_400000_NS6detail17trampoline_kernelINS0_14default_configENS1_25partition_config_selectorILNS1_17partition_subalgoE8ElNS0_10empty_typeEbEEZZNS1_14partition_implILS5_8ELb0ES3_jPlPS6_PKS6_NS0_5tupleIJS9_S6_EEENSD_IJSA_SA_EEENS0_18inequality_wrapperIZN2at6native12_GLOBAL__N_124unique_dim_cuda_templateIiEESt5tupleIJNSH_6TensorESM_SM_EERKSM_lbbbEUlllE0_EEPmJS6_EEE10hipError_tPvRmT3_T4_T5_T6_T7_T9_mT8_P12ihipStream_tbDpT10_ENKUlT_T0_E_clISt17integral_constantIbLb1EES1B_IbLb0EEEEDaS17_S18_EUlS17_E_NS1_11comp_targetILNS1_3genE2ELNS1_11target_archE906ELNS1_3gpuE6ELNS1_3repE0EEENS1_30default_config_static_selectorELNS0_4arch9wavefront6targetE1EEEvT1_
		.amdhsa_group_segment_fixed_size 0
		.amdhsa_private_segment_fixed_size 0
		.amdhsa_kernarg_size 120
		.amdhsa_user_sgpr_count 6
		.amdhsa_user_sgpr_private_segment_buffer 1
		.amdhsa_user_sgpr_dispatch_ptr 0
		.amdhsa_user_sgpr_queue_ptr 0
		.amdhsa_user_sgpr_kernarg_segment_ptr 1
		.amdhsa_user_sgpr_dispatch_id 0
		.amdhsa_user_sgpr_flat_scratch_init 0
		.amdhsa_user_sgpr_kernarg_preload_length 0
		.amdhsa_user_sgpr_kernarg_preload_offset 0
		.amdhsa_user_sgpr_private_segment_size 0
		.amdhsa_uses_dynamic_stack 0
		.amdhsa_system_sgpr_private_segment_wavefront_offset 0
		.amdhsa_system_sgpr_workgroup_id_x 1
		.amdhsa_system_sgpr_workgroup_id_y 0
		.amdhsa_system_sgpr_workgroup_id_z 0
		.amdhsa_system_sgpr_workgroup_info 0
		.amdhsa_system_vgpr_workitem_id 0
		.amdhsa_next_free_vgpr 1
		.amdhsa_next_free_sgpr 0
		.amdhsa_accum_offset 4
		.amdhsa_reserve_vcc 0
		.amdhsa_reserve_flat_scratch 0
		.amdhsa_float_round_mode_32 0
		.amdhsa_float_round_mode_16_64 0
		.amdhsa_float_denorm_mode_32 3
		.amdhsa_float_denorm_mode_16_64 3
		.amdhsa_dx10_clamp 1
		.amdhsa_ieee_mode 1
		.amdhsa_fp16_overflow 0
		.amdhsa_tg_split 0
		.amdhsa_exception_fp_ieee_invalid_op 0
		.amdhsa_exception_fp_denorm_src 0
		.amdhsa_exception_fp_ieee_div_zero 0
		.amdhsa_exception_fp_ieee_overflow 0
		.amdhsa_exception_fp_ieee_underflow 0
		.amdhsa_exception_fp_ieee_inexact 0
		.amdhsa_exception_int_div_zero 0
	.end_amdhsa_kernel
	.section	.text._ZN7rocprim17ROCPRIM_400000_NS6detail17trampoline_kernelINS0_14default_configENS1_25partition_config_selectorILNS1_17partition_subalgoE8ElNS0_10empty_typeEbEEZZNS1_14partition_implILS5_8ELb0ES3_jPlPS6_PKS6_NS0_5tupleIJS9_S6_EEENSD_IJSA_SA_EEENS0_18inequality_wrapperIZN2at6native12_GLOBAL__N_124unique_dim_cuda_templateIiEESt5tupleIJNSH_6TensorESM_SM_EERKSM_lbbbEUlllE0_EEPmJS6_EEE10hipError_tPvRmT3_T4_T5_T6_T7_T9_mT8_P12ihipStream_tbDpT10_ENKUlT_T0_E_clISt17integral_constantIbLb1EES1B_IbLb0EEEEDaS17_S18_EUlS17_E_NS1_11comp_targetILNS1_3genE2ELNS1_11target_archE906ELNS1_3gpuE6ELNS1_3repE0EEENS1_30default_config_static_selectorELNS0_4arch9wavefront6targetE1EEEvT1_,"axG",@progbits,_ZN7rocprim17ROCPRIM_400000_NS6detail17trampoline_kernelINS0_14default_configENS1_25partition_config_selectorILNS1_17partition_subalgoE8ElNS0_10empty_typeEbEEZZNS1_14partition_implILS5_8ELb0ES3_jPlPS6_PKS6_NS0_5tupleIJS9_S6_EEENSD_IJSA_SA_EEENS0_18inequality_wrapperIZN2at6native12_GLOBAL__N_124unique_dim_cuda_templateIiEESt5tupleIJNSH_6TensorESM_SM_EERKSM_lbbbEUlllE0_EEPmJS6_EEE10hipError_tPvRmT3_T4_T5_T6_T7_T9_mT8_P12ihipStream_tbDpT10_ENKUlT_T0_E_clISt17integral_constantIbLb1EES1B_IbLb0EEEEDaS17_S18_EUlS17_E_NS1_11comp_targetILNS1_3genE2ELNS1_11target_archE906ELNS1_3gpuE6ELNS1_3repE0EEENS1_30default_config_static_selectorELNS0_4arch9wavefront6targetE1EEEvT1_,comdat
.Lfunc_end461:
	.size	_ZN7rocprim17ROCPRIM_400000_NS6detail17trampoline_kernelINS0_14default_configENS1_25partition_config_selectorILNS1_17partition_subalgoE8ElNS0_10empty_typeEbEEZZNS1_14partition_implILS5_8ELb0ES3_jPlPS6_PKS6_NS0_5tupleIJS9_S6_EEENSD_IJSA_SA_EEENS0_18inequality_wrapperIZN2at6native12_GLOBAL__N_124unique_dim_cuda_templateIiEESt5tupleIJNSH_6TensorESM_SM_EERKSM_lbbbEUlllE0_EEPmJS6_EEE10hipError_tPvRmT3_T4_T5_T6_T7_T9_mT8_P12ihipStream_tbDpT10_ENKUlT_T0_E_clISt17integral_constantIbLb1EES1B_IbLb0EEEEDaS17_S18_EUlS17_E_NS1_11comp_targetILNS1_3genE2ELNS1_11target_archE906ELNS1_3gpuE6ELNS1_3repE0EEENS1_30default_config_static_selectorELNS0_4arch9wavefront6targetE1EEEvT1_, .Lfunc_end461-_ZN7rocprim17ROCPRIM_400000_NS6detail17trampoline_kernelINS0_14default_configENS1_25partition_config_selectorILNS1_17partition_subalgoE8ElNS0_10empty_typeEbEEZZNS1_14partition_implILS5_8ELb0ES3_jPlPS6_PKS6_NS0_5tupleIJS9_S6_EEENSD_IJSA_SA_EEENS0_18inequality_wrapperIZN2at6native12_GLOBAL__N_124unique_dim_cuda_templateIiEESt5tupleIJNSH_6TensorESM_SM_EERKSM_lbbbEUlllE0_EEPmJS6_EEE10hipError_tPvRmT3_T4_T5_T6_T7_T9_mT8_P12ihipStream_tbDpT10_ENKUlT_T0_E_clISt17integral_constantIbLb1EES1B_IbLb0EEEEDaS17_S18_EUlS17_E_NS1_11comp_targetILNS1_3genE2ELNS1_11target_archE906ELNS1_3gpuE6ELNS1_3repE0EEENS1_30default_config_static_selectorELNS0_4arch9wavefront6targetE1EEEvT1_
                                        ; -- End function
	.section	.AMDGPU.csdata,"",@progbits
; Kernel info:
; codeLenInByte = 0
; NumSgprs: 4
; NumVgprs: 0
; NumAgprs: 0
; TotalNumVgprs: 0
; ScratchSize: 0
; MemoryBound: 0
; FloatMode: 240
; IeeeMode: 1
; LDSByteSize: 0 bytes/workgroup (compile time only)
; SGPRBlocks: 0
; VGPRBlocks: 0
; NumSGPRsForWavesPerEU: 4
; NumVGPRsForWavesPerEU: 1
; AccumOffset: 4
; Occupancy: 8
; WaveLimiterHint : 0
; COMPUTE_PGM_RSRC2:SCRATCH_EN: 0
; COMPUTE_PGM_RSRC2:USER_SGPR: 6
; COMPUTE_PGM_RSRC2:TRAP_HANDLER: 0
; COMPUTE_PGM_RSRC2:TGID_X_EN: 1
; COMPUTE_PGM_RSRC2:TGID_Y_EN: 0
; COMPUTE_PGM_RSRC2:TGID_Z_EN: 0
; COMPUTE_PGM_RSRC2:TIDIG_COMP_CNT: 0
; COMPUTE_PGM_RSRC3_GFX90A:ACCUM_OFFSET: 0
; COMPUTE_PGM_RSRC3_GFX90A:TG_SPLIT: 0
	.section	.text._ZN7rocprim17ROCPRIM_400000_NS6detail17trampoline_kernelINS0_14default_configENS1_25partition_config_selectorILNS1_17partition_subalgoE8ElNS0_10empty_typeEbEEZZNS1_14partition_implILS5_8ELb0ES3_jPlPS6_PKS6_NS0_5tupleIJS9_S6_EEENSD_IJSA_SA_EEENS0_18inequality_wrapperIZN2at6native12_GLOBAL__N_124unique_dim_cuda_templateIiEESt5tupleIJNSH_6TensorESM_SM_EERKSM_lbbbEUlllE0_EEPmJS6_EEE10hipError_tPvRmT3_T4_T5_T6_T7_T9_mT8_P12ihipStream_tbDpT10_ENKUlT_T0_E_clISt17integral_constantIbLb1EES1B_IbLb0EEEEDaS17_S18_EUlS17_E_NS1_11comp_targetILNS1_3genE10ELNS1_11target_archE1200ELNS1_3gpuE4ELNS1_3repE0EEENS1_30default_config_static_selectorELNS0_4arch9wavefront6targetE1EEEvT1_,"axG",@progbits,_ZN7rocprim17ROCPRIM_400000_NS6detail17trampoline_kernelINS0_14default_configENS1_25partition_config_selectorILNS1_17partition_subalgoE8ElNS0_10empty_typeEbEEZZNS1_14partition_implILS5_8ELb0ES3_jPlPS6_PKS6_NS0_5tupleIJS9_S6_EEENSD_IJSA_SA_EEENS0_18inequality_wrapperIZN2at6native12_GLOBAL__N_124unique_dim_cuda_templateIiEESt5tupleIJNSH_6TensorESM_SM_EERKSM_lbbbEUlllE0_EEPmJS6_EEE10hipError_tPvRmT3_T4_T5_T6_T7_T9_mT8_P12ihipStream_tbDpT10_ENKUlT_T0_E_clISt17integral_constantIbLb1EES1B_IbLb0EEEEDaS17_S18_EUlS17_E_NS1_11comp_targetILNS1_3genE10ELNS1_11target_archE1200ELNS1_3gpuE4ELNS1_3repE0EEENS1_30default_config_static_selectorELNS0_4arch9wavefront6targetE1EEEvT1_,comdat
	.globl	_ZN7rocprim17ROCPRIM_400000_NS6detail17trampoline_kernelINS0_14default_configENS1_25partition_config_selectorILNS1_17partition_subalgoE8ElNS0_10empty_typeEbEEZZNS1_14partition_implILS5_8ELb0ES3_jPlPS6_PKS6_NS0_5tupleIJS9_S6_EEENSD_IJSA_SA_EEENS0_18inequality_wrapperIZN2at6native12_GLOBAL__N_124unique_dim_cuda_templateIiEESt5tupleIJNSH_6TensorESM_SM_EERKSM_lbbbEUlllE0_EEPmJS6_EEE10hipError_tPvRmT3_T4_T5_T6_T7_T9_mT8_P12ihipStream_tbDpT10_ENKUlT_T0_E_clISt17integral_constantIbLb1EES1B_IbLb0EEEEDaS17_S18_EUlS17_E_NS1_11comp_targetILNS1_3genE10ELNS1_11target_archE1200ELNS1_3gpuE4ELNS1_3repE0EEENS1_30default_config_static_selectorELNS0_4arch9wavefront6targetE1EEEvT1_ ; -- Begin function _ZN7rocprim17ROCPRIM_400000_NS6detail17trampoline_kernelINS0_14default_configENS1_25partition_config_selectorILNS1_17partition_subalgoE8ElNS0_10empty_typeEbEEZZNS1_14partition_implILS5_8ELb0ES3_jPlPS6_PKS6_NS0_5tupleIJS9_S6_EEENSD_IJSA_SA_EEENS0_18inequality_wrapperIZN2at6native12_GLOBAL__N_124unique_dim_cuda_templateIiEESt5tupleIJNSH_6TensorESM_SM_EERKSM_lbbbEUlllE0_EEPmJS6_EEE10hipError_tPvRmT3_T4_T5_T6_T7_T9_mT8_P12ihipStream_tbDpT10_ENKUlT_T0_E_clISt17integral_constantIbLb1EES1B_IbLb0EEEEDaS17_S18_EUlS17_E_NS1_11comp_targetILNS1_3genE10ELNS1_11target_archE1200ELNS1_3gpuE4ELNS1_3repE0EEENS1_30default_config_static_selectorELNS0_4arch9wavefront6targetE1EEEvT1_
	.p2align	8
	.type	_ZN7rocprim17ROCPRIM_400000_NS6detail17trampoline_kernelINS0_14default_configENS1_25partition_config_selectorILNS1_17partition_subalgoE8ElNS0_10empty_typeEbEEZZNS1_14partition_implILS5_8ELb0ES3_jPlPS6_PKS6_NS0_5tupleIJS9_S6_EEENSD_IJSA_SA_EEENS0_18inequality_wrapperIZN2at6native12_GLOBAL__N_124unique_dim_cuda_templateIiEESt5tupleIJNSH_6TensorESM_SM_EERKSM_lbbbEUlllE0_EEPmJS6_EEE10hipError_tPvRmT3_T4_T5_T6_T7_T9_mT8_P12ihipStream_tbDpT10_ENKUlT_T0_E_clISt17integral_constantIbLb1EES1B_IbLb0EEEEDaS17_S18_EUlS17_E_NS1_11comp_targetILNS1_3genE10ELNS1_11target_archE1200ELNS1_3gpuE4ELNS1_3repE0EEENS1_30default_config_static_selectorELNS0_4arch9wavefront6targetE1EEEvT1_,@function
_ZN7rocprim17ROCPRIM_400000_NS6detail17trampoline_kernelINS0_14default_configENS1_25partition_config_selectorILNS1_17partition_subalgoE8ElNS0_10empty_typeEbEEZZNS1_14partition_implILS5_8ELb0ES3_jPlPS6_PKS6_NS0_5tupleIJS9_S6_EEENSD_IJSA_SA_EEENS0_18inequality_wrapperIZN2at6native12_GLOBAL__N_124unique_dim_cuda_templateIiEESt5tupleIJNSH_6TensorESM_SM_EERKSM_lbbbEUlllE0_EEPmJS6_EEE10hipError_tPvRmT3_T4_T5_T6_T7_T9_mT8_P12ihipStream_tbDpT10_ENKUlT_T0_E_clISt17integral_constantIbLb1EES1B_IbLb0EEEEDaS17_S18_EUlS17_E_NS1_11comp_targetILNS1_3genE10ELNS1_11target_archE1200ELNS1_3gpuE4ELNS1_3repE0EEENS1_30default_config_static_selectorELNS0_4arch9wavefront6targetE1EEEvT1_: ; @_ZN7rocprim17ROCPRIM_400000_NS6detail17trampoline_kernelINS0_14default_configENS1_25partition_config_selectorILNS1_17partition_subalgoE8ElNS0_10empty_typeEbEEZZNS1_14partition_implILS5_8ELb0ES3_jPlPS6_PKS6_NS0_5tupleIJS9_S6_EEENSD_IJSA_SA_EEENS0_18inequality_wrapperIZN2at6native12_GLOBAL__N_124unique_dim_cuda_templateIiEESt5tupleIJNSH_6TensorESM_SM_EERKSM_lbbbEUlllE0_EEPmJS6_EEE10hipError_tPvRmT3_T4_T5_T6_T7_T9_mT8_P12ihipStream_tbDpT10_ENKUlT_T0_E_clISt17integral_constantIbLb1EES1B_IbLb0EEEEDaS17_S18_EUlS17_E_NS1_11comp_targetILNS1_3genE10ELNS1_11target_archE1200ELNS1_3gpuE4ELNS1_3repE0EEENS1_30default_config_static_selectorELNS0_4arch9wavefront6targetE1EEEvT1_
; %bb.0:
	.section	.rodata,"a",@progbits
	.p2align	6, 0x0
	.amdhsa_kernel _ZN7rocprim17ROCPRIM_400000_NS6detail17trampoline_kernelINS0_14default_configENS1_25partition_config_selectorILNS1_17partition_subalgoE8ElNS0_10empty_typeEbEEZZNS1_14partition_implILS5_8ELb0ES3_jPlPS6_PKS6_NS0_5tupleIJS9_S6_EEENSD_IJSA_SA_EEENS0_18inequality_wrapperIZN2at6native12_GLOBAL__N_124unique_dim_cuda_templateIiEESt5tupleIJNSH_6TensorESM_SM_EERKSM_lbbbEUlllE0_EEPmJS6_EEE10hipError_tPvRmT3_T4_T5_T6_T7_T9_mT8_P12ihipStream_tbDpT10_ENKUlT_T0_E_clISt17integral_constantIbLb1EES1B_IbLb0EEEEDaS17_S18_EUlS17_E_NS1_11comp_targetILNS1_3genE10ELNS1_11target_archE1200ELNS1_3gpuE4ELNS1_3repE0EEENS1_30default_config_static_selectorELNS0_4arch9wavefront6targetE1EEEvT1_
		.amdhsa_group_segment_fixed_size 0
		.amdhsa_private_segment_fixed_size 0
		.amdhsa_kernarg_size 120
		.amdhsa_user_sgpr_count 6
		.amdhsa_user_sgpr_private_segment_buffer 1
		.amdhsa_user_sgpr_dispatch_ptr 0
		.amdhsa_user_sgpr_queue_ptr 0
		.amdhsa_user_sgpr_kernarg_segment_ptr 1
		.amdhsa_user_sgpr_dispatch_id 0
		.amdhsa_user_sgpr_flat_scratch_init 0
		.amdhsa_user_sgpr_kernarg_preload_length 0
		.amdhsa_user_sgpr_kernarg_preload_offset 0
		.amdhsa_user_sgpr_private_segment_size 0
		.amdhsa_uses_dynamic_stack 0
		.amdhsa_system_sgpr_private_segment_wavefront_offset 0
		.amdhsa_system_sgpr_workgroup_id_x 1
		.amdhsa_system_sgpr_workgroup_id_y 0
		.amdhsa_system_sgpr_workgroup_id_z 0
		.amdhsa_system_sgpr_workgroup_info 0
		.amdhsa_system_vgpr_workitem_id 0
		.amdhsa_next_free_vgpr 1
		.amdhsa_next_free_sgpr 0
		.amdhsa_accum_offset 4
		.amdhsa_reserve_vcc 0
		.amdhsa_reserve_flat_scratch 0
		.amdhsa_float_round_mode_32 0
		.amdhsa_float_round_mode_16_64 0
		.amdhsa_float_denorm_mode_32 3
		.amdhsa_float_denorm_mode_16_64 3
		.amdhsa_dx10_clamp 1
		.amdhsa_ieee_mode 1
		.amdhsa_fp16_overflow 0
		.amdhsa_tg_split 0
		.amdhsa_exception_fp_ieee_invalid_op 0
		.amdhsa_exception_fp_denorm_src 0
		.amdhsa_exception_fp_ieee_div_zero 0
		.amdhsa_exception_fp_ieee_overflow 0
		.amdhsa_exception_fp_ieee_underflow 0
		.amdhsa_exception_fp_ieee_inexact 0
		.amdhsa_exception_int_div_zero 0
	.end_amdhsa_kernel
	.section	.text._ZN7rocprim17ROCPRIM_400000_NS6detail17trampoline_kernelINS0_14default_configENS1_25partition_config_selectorILNS1_17partition_subalgoE8ElNS0_10empty_typeEbEEZZNS1_14partition_implILS5_8ELb0ES3_jPlPS6_PKS6_NS0_5tupleIJS9_S6_EEENSD_IJSA_SA_EEENS0_18inequality_wrapperIZN2at6native12_GLOBAL__N_124unique_dim_cuda_templateIiEESt5tupleIJNSH_6TensorESM_SM_EERKSM_lbbbEUlllE0_EEPmJS6_EEE10hipError_tPvRmT3_T4_T5_T6_T7_T9_mT8_P12ihipStream_tbDpT10_ENKUlT_T0_E_clISt17integral_constantIbLb1EES1B_IbLb0EEEEDaS17_S18_EUlS17_E_NS1_11comp_targetILNS1_3genE10ELNS1_11target_archE1200ELNS1_3gpuE4ELNS1_3repE0EEENS1_30default_config_static_selectorELNS0_4arch9wavefront6targetE1EEEvT1_,"axG",@progbits,_ZN7rocprim17ROCPRIM_400000_NS6detail17trampoline_kernelINS0_14default_configENS1_25partition_config_selectorILNS1_17partition_subalgoE8ElNS0_10empty_typeEbEEZZNS1_14partition_implILS5_8ELb0ES3_jPlPS6_PKS6_NS0_5tupleIJS9_S6_EEENSD_IJSA_SA_EEENS0_18inequality_wrapperIZN2at6native12_GLOBAL__N_124unique_dim_cuda_templateIiEESt5tupleIJNSH_6TensorESM_SM_EERKSM_lbbbEUlllE0_EEPmJS6_EEE10hipError_tPvRmT3_T4_T5_T6_T7_T9_mT8_P12ihipStream_tbDpT10_ENKUlT_T0_E_clISt17integral_constantIbLb1EES1B_IbLb0EEEEDaS17_S18_EUlS17_E_NS1_11comp_targetILNS1_3genE10ELNS1_11target_archE1200ELNS1_3gpuE4ELNS1_3repE0EEENS1_30default_config_static_selectorELNS0_4arch9wavefront6targetE1EEEvT1_,comdat
.Lfunc_end462:
	.size	_ZN7rocprim17ROCPRIM_400000_NS6detail17trampoline_kernelINS0_14default_configENS1_25partition_config_selectorILNS1_17partition_subalgoE8ElNS0_10empty_typeEbEEZZNS1_14partition_implILS5_8ELb0ES3_jPlPS6_PKS6_NS0_5tupleIJS9_S6_EEENSD_IJSA_SA_EEENS0_18inequality_wrapperIZN2at6native12_GLOBAL__N_124unique_dim_cuda_templateIiEESt5tupleIJNSH_6TensorESM_SM_EERKSM_lbbbEUlllE0_EEPmJS6_EEE10hipError_tPvRmT3_T4_T5_T6_T7_T9_mT8_P12ihipStream_tbDpT10_ENKUlT_T0_E_clISt17integral_constantIbLb1EES1B_IbLb0EEEEDaS17_S18_EUlS17_E_NS1_11comp_targetILNS1_3genE10ELNS1_11target_archE1200ELNS1_3gpuE4ELNS1_3repE0EEENS1_30default_config_static_selectorELNS0_4arch9wavefront6targetE1EEEvT1_, .Lfunc_end462-_ZN7rocprim17ROCPRIM_400000_NS6detail17trampoline_kernelINS0_14default_configENS1_25partition_config_selectorILNS1_17partition_subalgoE8ElNS0_10empty_typeEbEEZZNS1_14partition_implILS5_8ELb0ES3_jPlPS6_PKS6_NS0_5tupleIJS9_S6_EEENSD_IJSA_SA_EEENS0_18inequality_wrapperIZN2at6native12_GLOBAL__N_124unique_dim_cuda_templateIiEESt5tupleIJNSH_6TensorESM_SM_EERKSM_lbbbEUlllE0_EEPmJS6_EEE10hipError_tPvRmT3_T4_T5_T6_T7_T9_mT8_P12ihipStream_tbDpT10_ENKUlT_T0_E_clISt17integral_constantIbLb1EES1B_IbLb0EEEEDaS17_S18_EUlS17_E_NS1_11comp_targetILNS1_3genE10ELNS1_11target_archE1200ELNS1_3gpuE4ELNS1_3repE0EEENS1_30default_config_static_selectorELNS0_4arch9wavefront6targetE1EEEvT1_
                                        ; -- End function
	.section	.AMDGPU.csdata,"",@progbits
; Kernel info:
; codeLenInByte = 0
; NumSgprs: 4
; NumVgprs: 0
; NumAgprs: 0
; TotalNumVgprs: 0
; ScratchSize: 0
; MemoryBound: 0
; FloatMode: 240
; IeeeMode: 1
; LDSByteSize: 0 bytes/workgroup (compile time only)
; SGPRBlocks: 0
; VGPRBlocks: 0
; NumSGPRsForWavesPerEU: 4
; NumVGPRsForWavesPerEU: 1
; AccumOffset: 4
; Occupancy: 8
; WaveLimiterHint : 0
; COMPUTE_PGM_RSRC2:SCRATCH_EN: 0
; COMPUTE_PGM_RSRC2:USER_SGPR: 6
; COMPUTE_PGM_RSRC2:TRAP_HANDLER: 0
; COMPUTE_PGM_RSRC2:TGID_X_EN: 1
; COMPUTE_PGM_RSRC2:TGID_Y_EN: 0
; COMPUTE_PGM_RSRC2:TGID_Z_EN: 0
; COMPUTE_PGM_RSRC2:TIDIG_COMP_CNT: 0
; COMPUTE_PGM_RSRC3_GFX90A:ACCUM_OFFSET: 0
; COMPUTE_PGM_RSRC3_GFX90A:TG_SPLIT: 0
	.section	.text._ZN7rocprim17ROCPRIM_400000_NS6detail17trampoline_kernelINS0_14default_configENS1_25partition_config_selectorILNS1_17partition_subalgoE8ElNS0_10empty_typeEbEEZZNS1_14partition_implILS5_8ELb0ES3_jPlPS6_PKS6_NS0_5tupleIJS9_S6_EEENSD_IJSA_SA_EEENS0_18inequality_wrapperIZN2at6native12_GLOBAL__N_124unique_dim_cuda_templateIiEESt5tupleIJNSH_6TensorESM_SM_EERKSM_lbbbEUlllE0_EEPmJS6_EEE10hipError_tPvRmT3_T4_T5_T6_T7_T9_mT8_P12ihipStream_tbDpT10_ENKUlT_T0_E_clISt17integral_constantIbLb1EES1B_IbLb0EEEEDaS17_S18_EUlS17_E_NS1_11comp_targetILNS1_3genE9ELNS1_11target_archE1100ELNS1_3gpuE3ELNS1_3repE0EEENS1_30default_config_static_selectorELNS0_4arch9wavefront6targetE1EEEvT1_,"axG",@progbits,_ZN7rocprim17ROCPRIM_400000_NS6detail17trampoline_kernelINS0_14default_configENS1_25partition_config_selectorILNS1_17partition_subalgoE8ElNS0_10empty_typeEbEEZZNS1_14partition_implILS5_8ELb0ES3_jPlPS6_PKS6_NS0_5tupleIJS9_S6_EEENSD_IJSA_SA_EEENS0_18inequality_wrapperIZN2at6native12_GLOBAL__N_124unique_dim_cuda_templateIiEESt5tupleIJNSH_6TensorESM_SM_EERKSM_lbbbEUlllE0_EEPmJS6_EEE10hipError_tPvRmT3_T4_T5_T6_T7_T9_mT8_P12ihipStream_tbDpT10_ENKUlT_T0_E_clISt17integral_constantIbLb1EES1B_IbLb0EEEEDaS17_S18_EUlS17_E_NS1_11comp_targetILNS1_3genE9ELNS1_11target_archE1100ELNS1_3gpuE3ELNS1_3repE0EEENS1_30default_config_static_selectorELNS0_4arch9wavefront6targetE1EEEvT1_,comdat
	.globl	_ZN7rocprim17ROCPRIM_400000_NS6detail17trampoline_kernelINS0_14default_configENS1_25partition_config_selectorILNS1_17partition_subalgoE8ElNS0_10empty_typeEbEEZZNS1_14partition_implILS5_8ELb0ES3_jPlPS6_PKS6_NS0_5tupleIJS9_S6_EEENSD_IJSA_SA_EEENS0_18inequality_wrapperIZN2at6native12_GLOBAL__N_124unique_dim_cuda_templateIiEESt5tupleIJNSH_6TensorESM_SM_EERKSM_lbbbEUlllE0_EEPmJS6_EEE10hipError_tPvRmT3_T4_T5_T6_T7_T9_mT8_P12ihipStream_tbDpT10_ENKUlT_T0_E_clISt17integral_constantIbLb1EES1B_IbLb0EEEEDaS17_S18_EUlS17_E_NS1_11comp_targetILNS1_3genE9ELNS1_11target_archE1100ELNS1_3gpuE3ELNS1_3repE0EEENS1_30default_config_static_selectorELNS0_4arch9wavefront6targetE1EEEvT1_ ; -- Begin function _ZN7rocprim17ROCPRIM_400000_NS6detail17trampoline_kernelINS0_14default_configENS1_25partition_config_selectorILNS1_17partition_subalgoE8ElNS0_10empty_typeEbEEZZNS1_14partition_implILS5_8ELb0ES3_jPlPS6_PKS6_NS0_5tupleIJS9_S6_EEENSD_IJSA_SA_EEENS0_18inequality_wrapperIZN2at6native12_GLOBAL__N_124unique_dim_cuda_templateIiEESt5tupleIJNSH_6TensorESM_SM_EERKSM_lbbbEUlllE0_EEPmJS6_EEE10hipError_tPvRmT3_T4_T5_T6_T7_T9_mT8_P12ihipStream_tbDpT10_ENKUlT_T0_E_clISt17integral_constantIbLb1EES1B_IbLb0EEEEDaS17_S18_EUlS17_E_NS1_11comp_targetILNS1_3genE9ELNS1_11target_archE1100ELNS1_3gpuE3ELNS1_3repE0EEENS1_30default_config_static_selectorELNS0_4arch9wavefront6targetE1EEEvT1_
	.p2align	8
	.type	_ZN7rocprim17ROCPRIM_400000_NS6detail17trampoline_kernelINS0_14default_configENS1_25partition_config_selectorILNS1_17partition_subalgoE8ElNS0_10empty_typeEbEEZZNS1_14partition_implILS5_8ELb0ES3_jPlPS6_PKS6_NS0_5tupleIJS9_S6_EEENSD_IJSA_SA_EEENS0_18inequality_wrapperIZN2at6native12_GLOBAL__N_124unique_dim_cuda_templateIiEESt5tupleIJNSH_6TensorESM_SM_EERKSM_lbbbEUlllE0_EEPmJS6_EEE10hipError_tPvRmT3_T4_T5_T6_T7_T9_mT8_P12ihipStream_tbDpT10_ENKUlT_T0_E_clISt17integral_constantIbLb1EES1B_IbLb0EEEEDaS17_S18_EUlS17_E_NS1_11comp_targetILNS1_3genE9ELNS1_11target_archE1100ELNS1_3gpuE3ELNS1_3repE0EEENS1_30default_config_static_selectorELNS0_4arch9wavefront6targetE1EEEvT1_,@function
_ZN7rocprim17ROCPRIM_400000_NS6detail17trampoline_kernelINS0_14default_configENS1_25partition_config_selectorILNS1_17partition_subalgoE8ElNS0_10empty_typeEbEEZZNS1_14partition_implILS5_8ELb0ES3_jPlPS6_PKS6_NS0_5tupleIJS9_S6_EEENSD_IJSA_SA_EEENS0_18inequality_wrapperIZN2at6native12_GLOBAL__N_124unique_dim_cuda_templateIiEESt5tupleIJNSH_6TensorESM_SM_EERKSM_lbbbEUlllE0_EEPmJS6_EEE10hipError_tPvRmT3_T4_T5_T6_T7_T9_mT8_P12ihipStream_tbDpT10_ENKUlT_T0_E_clISt17integral_constantIbLb1EES1B_IbLb0EEEEDaS17_S18_EUlS17_E_NS1_11comp_targetILNS1_3genE9ELNS1_11target_archE1100ELNS1_3gpuE3ELNS1_3repE0EEENS1_30default_config_static_selectorELNS0_4arch9wavefront6targetE1EEEvT1_: ; @_ZN7rocprim17ROCPRIM_400000_NS6detail17trampoline_kernelINS0_14default_configENS1_25partition_config_selectorILNS1_17partition_subalgoE8ElNS0_10empty_typeEbEEZZNS1_14partition_implILS5_8ELb0ES3_jPlPS6_PKS6_NS0_5tupleIJS9_S6_EEENSD_IJSA_SA_EEENS0_18inequality_wrapperIZN2at6native12_GLOBAL__N_124unique_dim_cuda_templateIiEESt5tupleIJNSH_6TensorESM_SM_EERKSM_lbbbEUlllE0_EEPmJS6_EEE10hipError_tPvRmT3_T4_T5_T6_T7_T9_mT8_P12ihipStream_tbDpT10_ENKUlT_T0_E_clISt17integral_constantIbLb1EES1B_IbLb0EEEEDaS17_S18_EUlS17_E_NS1_11comp_targetILNS1_3genE9ELNS1_11target_archE1100ELNS1_3gpuE3ELNS1_3repE0EEENS1_30default_config_static_selectorELNS0_4arch9wavefront6targetE1EEEvT1_
; %bb.0:
	.section	.rodata,"a",@progbits
	.p2align	6, 0x0
	.amdhsa_kernel _ZN7rocprim17ROCPRIM_400000_NS6detail17trampoline_kernelINS0_14default_configENS1_25partition_config_selectorILNS1_17partition_subalgoE8ElNS0_10empty_typeEbEEZZNS1_14partition_implILS5_8ELb0ES3_jPlPS6_PKS6_NS0_5tupleIJS9_S6_EEENSD_IJSA_SA_EEENS0_18inequality_wrapperIZN2at6native12_GLOBAL__N_124unique_dim_cuda_templateIiEESt5tupleIJNSH_6TensorESM_SM_EERKSM_lbbbEUlllE0_EEPmJS6_EEE10hipError_tPvRmT3_T4_T5_T6_T7_T9_mT8_P12ihipStream_tbDpT10_ENKUlT_T0_E_clISt17integral_constantIbLb1EES1B_IbLb0EEEEDaS17_S18_EUlS17_E_NS1_11comp_targetILNS1_3genE9ELNS1_11target_archE1100ELNS1_3gpuE3ELNS1_3repE0EEENS1_30default_config_static_selectorELNS0_4arch9wavefront6targetE1EEEvT1_
		.amdhsa_group_segment_fixed_size 0
		.amdhsa_private_segment_fixed_size 0
		.amdhsa_kernarg_size 120
		.amdhsa_user_sgpr_count 6
		.amdhsa_user_sgpr_private_segment_buffer 1
		.amdhsa_user_sgpr_dispatch_ptr 0
		.amdhsa_user_sgpr_queue_ptr 0
		.amdhsa_user_sgpr_kernarg_segment_ptr 1
		.amdhsa_user_sgpr_dispatch_id 0
		.amdhsa_user_sgpr_flat_scratch_init 0
		.amdhsa_user_sgpr_kernarg_preload_length 0
		.amdhsa_user_sgpr_kernarg_preload_offset 0
		.amdhsa_user_sgpr_private_segment_size 0
		.amdhsa_uses_dynamic_stack 0
		.amdhsa_system_sgpr_private_segment_wavefront_offset 0
		.amdhsa_system_sgpr_workgroup_id_x 1
		.amdhsa_system_sgpr_workgroup_id_y 0
		.amdhsa_system_sgpr_workgroup_id_z 0
		.amdhsa_system_sgpr_workgroup_info 0
		.amdhsa_system_vgpr_workitem_id 0
		.amdhsa_next_free_vgpr 1
		.amdhsa_next_free_sgpr 0
		.amdhsa_accum_offset 4
		.amdhsa_reserve_vcc 0
		.amdhsa_reserve_flat_scratch 0
		.amdhsa_float_round_mode_32 0
		.amdhsa_float_round_mode_16_64 0
		.amdhsa_float_denorm_mode_32 3
		.amdhsa_float_denorm_mode_16_64 3
		.amdhsa_dx10_clamp 1
		.amdhsa_ieee_mode 1
		.amdhsa_fp16_overflow 0
		.amdhsa_tg_split 0
		.amdhsa_exception_fp_ieee_invalid_op 0
		.amdhsa_exception_fp_denorm_src 0
		.amdhsa_exception_fp_ieee_div_zero 0
		.amdhsa_exception_fp_ieee_overflow 0
		.amdhsa_exception_fp_ieee_underflow 0
		.amdhsa_exception_fp_ieee_inexact 0
		.amdhsa_exception_int_div_zero 0
	.end_amdhsa_kernel
	.section	.text._ZN7rocprim17ROCPRIM_400000_NS6detail17trampoline_kernelINS0_14default_configENS1_25partition_config_selectorILNS1_17partition_subalgoE8ElNS0_10empty_typeEbEEZZNS1_14partition_implILS5_8ELb0ES3_jPlPS6_PKS6_NS0_5tupleIJS9_S6_EEENSD_IJSA_SA_EEENS0_18inequality_wrapperIZN2at6native12_GLOBAL__N_124unique_dim_cuda_templateIiEESt5tupleIJNSH_6TensorESM_SM_EERKSM_lbbbEUlllE0_EEPmJS6_EEE10hipError_tPvRmT3_T4_T5_T6_T7_T9_mT8_P12ihipStream_tbDpT10_ENKUlT_T0_E_clISt17integral_constantIbLb1EES1B_IbLb0EEEEDaS17_S18_EUlS17_E_NS1_11comp_targetILNS1_3genE9ELNS1_11target_archE1100ELNS1_3gpuE3ELNS1_3repE0EEENS1_30default_config_static_selectorELNS0_4arch9wavefront6targetE1EEEvT1_,"axG",@progbits,_ZN7rocprim17ROCPRIM_400000_NS6detail17trampoline_kernelINS0_14default_configENS1_25partition_config_selectorILNS1_17partition_subalgoE8ElNS0_10empty_typeEbEEZZNS1_14partition_implILS5_8ELb0ES3_jPlPS6_PKS6_NS0_5tupleIJS9_S6_EEENSD_IJSA_SA_EEENS0_18inequality_wrapperIZN2at6native12_GLOBAL__N_124unique_dim_cuda_templateIiEESt5tupleIJNSH_6TensorESM_SM_EERKSM_lbbbEUlllE0_EEPmJS6_EEE10hipError_tPvRmT3_T4_T5_T6_T7_T9_mT8_P12ihipStream_tbDpT10_ENKUlT_T0_E_clISt17integral_constantIbLb1EES1B_IbLb0EEEEDaS17_S18_EUlS17_E_NS1_11comp_targetILNS1_3genE9ELNS1_11target_archE1100ELNS1_3gpuE3ELNS1_3repE0EEENS1_30default_config_static_selectorELNS0_4arch9wavefront6targetE1EEEvT1_,comdat
.Lfunc_end463:
	.size	_ZN7rocprim17ROCPRIM_400000_NS6detail17trampoline_kernelINS0_14default_configENS1_25partition_config_selectorILNS1_17partition_subalgoE8ElNS0_10empty_typeEbEEZZNS1_14partition_implILS5_8ELb0ES3_jPlPS6_PKS6_NS0_5tupleIJS9_S6_EEENSD_IJSA_SA_EEENS0_18inequality_wrapperIZN2at6native12_GLOBAL__N_124unique_dim_cuda_templateIiEESt5tupleIJNSH_6TensorESM_SM_EERKSM_lbbbEUlllE0_EEPmJS6_EEE10hipError_tPvRmT3_T4_T5_T6_T7_T9_mT8_P12ihipStream_tbDpT10_ENKUlT_T0_E_clISt17integral_constantIbLb1EES1B_IbLb0EEEEDaS17_S18_EUlS17_E_NS1_11comp_targetILNS1_3genE9ELNS1_11target_archE1100ELNS1_3gpuE3ELNS1_3repE0EEENS1_30default_config_static_selectorELNS0_4arch9wavefront6targetE1EEEvT1_, .Lfunc_end463-_ZN7rocprim17ROCPRIM_400000_NS6detail17trampoline_kernelINS0_14default_configENS1_25partition_config_selectorILNS1_17partition_subalgoE8ElNS0_10empty_typeEbEEZZNS1_14partition_implILS5_8ELb0ES3_jPlPS6_PKS6_NS0_5tupleIJS9_S6_EEENSD_IJSA_SA_EEENS0_18inequality_wrapperIZN2at6native12_GLOBAL__N_124unique_dim_cuda_templateIiEESt5tupleIJNSH_6TensorESM_SM_EERKSM_lbbbEUlllE0_EEPmJS6_EEE10hipError_tPvRmT3_T4_T5_T6_T7_T9_mT8_P12ihipStream_tbDpT10_ENKUlT_T0_E_clISt17integral_constantIbLb1EES1B_IbLb0EEEEDaS17_S18_EUlS17_E_NS1_11comp_targetILNS1_3genE9ELNS1_11target_archE1100ELNS1_3gpuE3ELNS1_3repE0EEENS1_30default_config_static_selectorELNS0_4arch9wavefront6targetE1EEEvT1_
                                        ; -- End function
	.section	.AMDGPU.csdata,"",@progbits
; Kernel info:
; codeLenInByte = 0
; NumSgprs: 4
; NumVgprs: 0
; NumAgprs: 0
; TotalNumVgprs: 0
; ScratchSize: 0
; MemoryBound: 0
; FloatMode: 240
; IeeeMode: 1
; LDSByteSize: 0 bytes/workgroup (compile time only)
; SGPRBlocks: 0
; VGPRBlocks: 0
; NumSGPRsForWavesPerEU: 4
; NumVGPRsForWavesPerEU: 1
; AccumOffset: 4
; Occupancy: 8
; WaveLimiterHint : 0
; COMPUTE_PGM_RSRC2:SCRATCH_EN: 0
; COMPUTE_PGM_RSRC2:USER_SGPR: 6
; COMPUTE_PGM_RSRC2:TRAP_HANDLER: 0
; COMPUTE_PGM_RSRC2:TGID_X_EN: 1
; COMPUTE_PGM_RSRC2:TGID_Y_EN: 0
; COMPUTE_PGM_RSRC2:TGID_Z_EN: 0
; COMPUTE_PGM_RSRC2:TIDIG_COMP_CNT: 0
; COMPUTE_PGM_RSRC3_GFX90A:ACCUM_OFFSET: 0
; COMPUTE_PGM_RSRC3_GFX90A:TG_SPLIT: 0
	.section	.text._ZN7rocprim17ROCPRIM_400000_NS6detail17trampoline_kernelINS0_14default_configENS1_25partition_config_selectorILNS1_17partition_subalgoE8ElNS0_10empty_typeEbEEZZNS1_14partition_implILS5_8ELb0ES3_jPlPS6_PKS6_NS0_5tupleIJS9_S6_EEENSD_IJSA_SA_EEENS0_18inequality_wrapperIZN2at6native12_GLOBAL__N_124unique_dim_cuda_templateIiEESt5tupleIJNSH_6TensorESM_SM_EERKSM_lbbbEUlllE0_EEPmJS6_EEE10hipError_tPvRmT3_T4_T5_T6_T7_T9_mT8_P12ihipStream_tbDpT10_ENKUlT_T0_E_clISt17integral_constantIbLb1EES1B_IbLb0EEEEDaS17_S18_EUlS17_E_NS1_11comp_targetILNS1_3genE8ELNS1_11target_archE1030ELNS1_3gpuE2ELNS1_3repE0EEENS1_30default_config_static_selectorELNS0_4arch9wavefront6targetE1EEEvT1_,"axG",@progbits,_ZN7rocprim17ROCPRIM_400000_NS6detail17trampoline_kernelINS0_14default_configENS1_25partition_config_selectorILNS1_17partition_subalgoE8ElNS0_10empty_typeEbEEZZNS1_14partition_implILS5_8ELb0ES3_jPlPS6_PKS6_NS0_5tupleIJS9_S6_EEENSD_IJSA_SA_EEENS0_18inequality_wrapperIZN2at6native12_GLOBAL__N_124unique_dim_cuda_templateIiEESt5tupleIJNSH_6TensorESM_SM_EERKSM_lbbbEUlllE0_EEPmJS6_EEE10hipError_tPvRmT3_T4_T5_T6_T7_T9_mT8_P12ihipStream_tbDpT10_ENKUlT_T0_E_clISt17integral_constantIbLb1EES1B_IbLb0EEEEDaS17_S18_EUlS17_E_NS1_11comp_targetILNS1_3genE8ELNS1_11target_archE1030ELNS1_3gpuE2ELNS1_3repE0EEENS1_30default_config_static_selectorELNS0_4arch9wavefront6targetE1EEEvT1_,comdat
	.globl	_ZN7rocprim17ROCPRIM_400000_NS6detail17trampoline_kernelINS0_14default_configENS1_25partition_config_selectorILNS1_17partition_subalgoE8ElNS0_10empty_typeEbEEZZNS1_14partition_implILS5_8ELb0ES3_jPlPS6_PKS6_NS0_5tupleIJS9_S6_EEENSD_IJSA_SA_EEENS0_18inequality_wrapperIZN2at6native12_GLOBAL__N_124unique_dim_cuda_templateIiEESt5tupleIJNSH_6TensorESM_SM_EERKSM_lbbbEUlllE0_EEPmJS6_EEE10hipError_tPvRmT3_T4_T5_T6_T7_T9_mT8_P12ihipStream_tbDpT10_ENKUlT_T0_E_clISt17integral_constantIbLb1EES1B_IbLb0EEEEDaS17_S18_EUlS17_E_NS1_11comp_targetILNS1_3genE8ELNS1_11target_archE1030ELNS1_3gpuE2ELNS1_3repE0EEENS1_30default_config_static_selectorELNS0_4arch9wavefront6targetE1EEEvT1_ ; -- Begin function _ZN7rocprim17ROCPRIM_400000_NS6detail17trampoline_kernelINS0_14default_configENS1_25partition_config_selectorILNS1_17partition_subalgoE8ElNS0_10empty_typeEbEEZZNS1_14partition_implILS5_8ELb0ES3_jPlPS6_PKS6_NS0_5tupleIJS9_S6_EEENSD_IJSA_SA_EEENS0_18inequality_wrapperIZN2at6native12_GLOBAL__N_124unique_dim_cuda_templateIiEESt5tupleIJNSH_6TensorESM_SM_EERKSM_lbbbEUlllE0_EEPmJS6_EEE10hipError_tPvRmT3_T4_T5_T6_T7_T9_mT8_P12ihipStream_tbDpT10_ENKUlT_T0_E_clISt17integral_constantIbLb1EES1B_IbLb0EEEEDaS17_S18_EUlS17_E_NS1_11comp_targetILNS1_3genE8ELNS1_11target_archE1030ELNS1_3gpuE2ELNS1_3repE0EEENS1_30default_config_static_selectorELNS0_4arch9wavefront6targetE1EEEvT1_
	.p2align	8
	.type	_ZN7rocprim17ROCPRIM_400000_NS6detail17trampoline_kernelINS0_14default_configENS1_25partition_config_selectorILNS1_17partition_subalgoE8ElNS0_10empty_typeEbEEZZNS1_14partition_implILS5_8ELb0ES3_jPlPS6_PKS6_NS0_5tupleIJS9_S6_EEENSD_IJSA_SA_EEENS0_18inequality_wrapperIZN2at6native12_GLOBAL__N_124unique_dim_cuda_templateIiEESt5tupleIJNSH_6TensorESM_SM_EERKSM_lbbbEUlllE0_EEPmJS6_EEE10hipError_tPvRmT3_T4_T5_T6_T7_T9_mT8_P12ihipStream_tbDpT10_ENKUlT_T0_E_clISt17integral_constantIbLb1EES1B_IbLb0EEEEDaS17_S18_EUlS17_E_NS1_11comp_targetILNS1_3genE8ELNS1_11target_archE1030ELNS1_3gpuE2ELNS1_3repE0EEENS1_30default_config_static_selectorELNS0_4arch9wavefront6targetE1EEEvT1_,@function
_ZN7rocprim17ROCPRIM_400000_NS6detail17trampoline_kernelINS0_14default_configENS1_25partition_config_selectorILNS1_17partition_subalgoE8ElNS0_10empty_typeEbEEZZNS1_14partition_implILS5_8ELb0ES3_jPlPS6_PKS6_NS0_5tupleIJS9_S6_EEENSD_IJSA_SA_EEENS0_18inequality_wrapperIZN2at6native12_GLOBAL__N_124unique_dim_cuda_templateIiEESt5tupleIJNSH_6TensorESM_SM_EERKSM_lbbbEUlllE0_EEPmJS6_EEE10hipError_tPvRmT3_T4_T5_T6_T7_T9_mT8_P12ihipStream_tbDpT10_ENKUlT_T0_E_clISt17integral_constantIbLb1EES1B_IbLb0EEEEDaS17_S18_EUlS17_E_NS1_11comp_targetILNS1_3genE8ELNS1_11target_archE1030ELNS1_3gpuE2ELNS1_3repE0EEENS1_30default_config_static_selectorELNS0_4arch9wavefront6targetE1EEEvT1_: ; @_ZN7rocprim17ROCPRIM_400000_NS6detail17trampoline_kernelINS0_14default_configENS1_25partition_config_selectorILNS1_17partition_subalgoE8ElNS0_10empty_typeEbEEZZNS1_14partition_implILS5_8ELb0ES3_jPlPS6_PKS6_NS0_5tupleIJS9_S6_EEENSD_IJSA_SA_EEENS0_18inequality_wrapperIZN2at6native12_GLOBAL__N_124unique_dim_cuda_templateIiEESt5tupleIJNSH_6TensorESM_SM_EERKSM_lbbbEUlllE0_EEPmJS6_EEE10hipError_tPvRmT3_T4_T5_T6_T7_T9_mT8_P12ihipStream_tbDpT10_ENKUlT_T0_E_clISt17integral_constantIbLb1EES1B_IbLb0EEEEDaS17_S18_EUlS17_E_NS1_11comp_targetILNS1_3genE8ELNS1_11target_archE1030ELNS1_3gpuE2ELNS1_3repE0EEENS1_30default_config_static_selectorELNS0_4arch9wavefront6targetE1EEEvT1_
; %bb.0:
	.section	.rodata,"a",@progbits
	.p2align	6, 0x0
	.amdhsa_kernel _ZN7rocprim17ROCPRIM_400000_NS6detail17trampoline_kernelINS0_14default_configENS1_25partition_config_selectorILNS1_17partition_subalgoE8ElNS0_10empty_typeEbEEZZNS1_14partition_implILS5_8ELb0ES3_jPlPS6_PKS6_NS0_5tupleIJS9_S6_EEENSD_IJSA_SA_EEENS0_18inequality_wrapperIZN2at6native12_GLOBAL__N_124unique_dim_cuda_templateIiEESt5tupleIJNSH_6TensorESM_SM_EERKSM_lbbbEUlllE0_EEPmJS6_EEE10hipError_tPvRmT3_T4_T5_T6_T7_T9_mT8_P12ihipStream_tbDpT10_ENKUlT_T0_E_clISt17integral_constantIbLb1EES1B_IbLb0EEEEDaS17_S18_EUlS17_E_NS1_11comp_targetILNS1_3genE8ELNS1_11target_archE1030ELNS1_3gpuE2ELNS1_3repE0EEENS1_30default_config_static_selectorELNS0_4arch9wavefront6targetE1EEEvT1_
		.amdhsa_group_segment_fixed_size 0
		.amdhsa_private_segment_fixed_size 0
		.amdhsa_kernarg_size 120
		.amdhsa_user_sgpr_count 6
		.amdhsa_user_sgpr_private_segment_buffer 1
		.amdhsa_user_sgpr_dispatch_ptr 0
		.amdhsa_user_sgpr_queue_ptr 0
		.amdhsa_user_sgpr_kernarg_segment_ptr 1
		.amdhsa_user_sgpr_dispatch_id 0
		.amdhsa_user_sgpr_flat_scratch_init 0
		.amdhsa_user_sgpr_kernarg_preload_length 0
		.amdhsa_user_sgpr_kernarg_preload_offset 0
		.amdhsa_user_sgpr_private_segment_size 0
		.amdhsa_uses_dynamic_stack 0
		.amdhsa_system_sgpr_private_segment_wavefront_offset 0
		.amdhsa_system_sgpr_workgroup_id_x 1
		.amdhsa_system_sgpr_workgroup_id_y 0
		.amdhsa_system_sgpr_workgroup_id_z 0
		.amdhsa_system_sgpr_workgroup_info 0
		.amdhsa_system_vgpr_workitem_id 0
		.amdhsa_next_free_vgpr 1
		.amdhsa_next_free_sgpr 0
		.amdhsa_accum_offset 4
		.amdhsa_reserve_vcc 0
		.amdhsa_reserve_flat_scratch 0
		.amdhsa_float_round_mode_32 0
		.amdhsa_float_round_mode_16_64 0
		.amdhsa_float_denorm_mode_32 3
		.amdhsa_float_denorm_mode_16_64 3
		.amdhsa_dx10_clamp 1
		.amdhsa_ieee_mode 1
		.amdhsa_fp16_overflow 0
		.amdhsa_tg_split 0
		.amdhsa_exception_fp_ieee_invalid_op 0
		.amdhsa_exception_fp_denorm_src 0
		.amdhsa_exception_fp_ieee_div_zero 0
		.amdhsa_exception_fp_ieee_overflow 0
		.amdhsa_exception_fp_ieee_underflow 0
		.amdhsa_exception_fp_ieee_inexact 0
		.amdhsa_exception_int_div_zero 0
	.end_amdhsa_kernel
	.section	.text._ZN7rocprim17ROCPRIM_400000_NS6detail17trampoline_kernelINS0_14default_configENS1_25partition_config_selectorILNS1_17partition_subalgoE8ElNS0_10empty_typeEbEEZZNS1_14partition_implILS5_8ELb0ES3_jPlPS6_PKS6_NS0_5tupleIJS9_S6_EEENSD_IJSA_SA_EEENS0_18inequality_wrapperIZN2at6native12_GLOBAL__N_124unique_dim_cuda_templateIiEESt5tupleIJNSH_6TensorESM_SM_EERKSM_lbbbEUlllE0_EEPmJS6_EEE10hipError_tPvRmT3_T4_T5_T6_T7_T9_mT8_P12ihipStream_tbDpT10_ENKUlT_T0_E_clISt17integral_constantIbLb1EES1B_IbLb0EEEEDaS17_S18_EUlS17_E_NS1_11comp_targetILNS1_3genE8ELNS1_11target_archE1030ELNS1_3gpuE2ELNS1_3repE0EEENS1_30default_config_static_selectorELNS0_4arch9wavefront6targetE1EEEvT1_,"axG",@progbits,_ZN7rocprim17ROCPRIM_400000_NS6detail17trampoline_kernelINS0_14default_configENS1_25partition_config_selectorILNS1_17partition_subalgoE8ElNS0_10empty_typeEbEEZZNS1_14partition_implILS5_8ELb0ES3_jPlPS6_PKS6_NS0_5tupleIJS9_S6_EEENSD_IJSA_SA_EEENS0_18inequality_wrapperIZN2at6native12_GLOBAL__N_124unique_dim_cuda_templateIiEESt5tupleIJNSH_6TensorESM_SM_EERKSM_lbbbEUlllE0_EEPmJS6_EEE10hipError_tPvRmT3_T4_T5_T6_T7_T9_mT8_P12ihipStream_tbDpT10_ENKUlT_T0_E_clISt17integral_constantIbLb1EES1B_IbLb0EEEEDaS17_S18_EUlS17_E_NS1_11comp_targetILNS1_3genE8ELNS1_11target_archE1030ELNS1_3gpuE2ELNS1_3repE0EEENS1_30default_config_static_selectorELNS0_4arch9wavefront6targetE1EEEvT1_,comdat
.Lfunc_end464:
	.size	_ZN7rocprim17ROCPRIM_400000_NS6detail17trampoline_kernelINS0_14default_configENS1_25partition_config_selectorILNS1_17partition_subalgoE8ElNS0_10empty_typeEbEEZZNS1_14partition_implILS5_8ELb0ES3_jPlPS6_PKS6_NS0_5tupleIJS9_S6_EEENSD_IJSA_SA_EEENS0_18inequality_wrapperIZN2at6native12_GLOBAL__N_124unique_dim_cuda_templateIiEESt5tupleIJNSH_6TensorESM_SM_EERKSM_lbbbEUlllE0_EEPmJS6_EEE10hipError_tPvRmT3_T4_T5_T6_T7_T9_mT8_P12ihipStream_tbDpT10_ENKUlT_T0_E_clISt17integral_constantIbLb1EES1B_IbLb0EEEEDaS17_S18_EUlS17_E_NS1_11comp_targetILNS1_3genE8ELNS1_11target_archE1030ELNS1_3gpuE2ELNS1_3repE0EEENS1_30default_config_static_selectorELNS0_4arch9wavefront6targetE1EEEvT1_, .Lfunc_end464-_ZN7rocprim17ROCPRIM_400000_NS6detail17trampoline_kernelINS0_14default_configENS1_25partition_config_selectorILNS1_17partition_subalgoE8ElNS0_10empty_typeEbEEZZNS1_14partition_implILS5_8ELb0ES3_jPlPS6_PKS6_NS0_5tupleIJS9_S6_EEENSD_IJSA_SA_EEENS0_18inequality_wrapperIZN2at6native12_GLOBAL__N_124unique_dim_cuda_templateIiEESt5tupleIJNSH_6TensorESM_SM_EERKSM_lbbbEUlllE0_EEPmJS6_EEE10hipError_tPvRmT3_T4_T5_T6_T7_T9_mT8_P12ihipStream_tbDpT10_ENKUlT_T0_E_clISt17integral_constantIbLb1EES1B_IbLb0EEEEDaS17_S18_EUlS17_E_NS1_11comp_targetILNS1_3genE8ELNS1_11target_archE1030ELNS1_3gpuE2ELNS1_3repE0EEENS1_30default_config_static_selectorELNS0_4arch9wavefront6targetE1EEEvT1_
                                        ; -- End function
	.section	.AMDGPU.csdata,"",@progbits
; Kernel info:
; codeLenInByte = 0
; NumSgprs: 4
; NumVgprs: 0
; NumAgprs: 0
; TotalNumVgprs: 0
; ScratchSize: 0
; MemoryBound: 0
; FloatMode: 240
; IeeeMode: 1
; LDSByteSize: 0 bytes/workgroup (compile time only)
; SGPRBlocks: 0
; VGPRBlocks: 0
; NumSGPRsForWavesPerEU: 4
; NumVGPRsForWavesPerEU: 1
; AccumOffset: 4
; Occupancy: 8
; WaveLimiterHint : 0
; COMPUTE_PGM_RSRC2:SCRATCH_EN: 0
; COMPUTE_PGM_RSRC2:USER_SGPR: 6
; COMPUTE_PGM_RSRC2:TRAP_HANDLER: 0
; COMPUTE_PGM_RSRC2:TGID_X_EN: 1
; COMPUTE_PGM_RSRC2:TGID_Y_EN: 0
; COMPUTE_PGM_RSRC2:TGID_Z_EN: 0
; COMPUTE_PGM_RSRC2:TIDIG_COMP_CNT: 0
; COMPUTE_PGM_RSRC3_GFX90A:ACCUM_OFFSET: 0
; COMPUTE_PGM_RSRC3_GFX90A:TG_SPLIT: 0
	.section	.text._ZN7rocprim17ROCPRIM_400000_NS6detail17trampoline_kernelINS0_14default_configENS1_25partition_config_selectorILNS1_17partition_subalgoE8ElNS0_10empty_typeEbEEZZNS1_14partition_implILS5_8ELb0ES3_jPlPS6_PKS6_NS0_5tupleIJS9_S6_EEENSD_IJSA_SA_EEENS0_18inequality_wrapperIZN2at6native12_GLOBAL__N_124unique_dim_cuda_templateIiEESt5tupleIJNSH_6TensorESM_SM_EERKSM_lbbbEUlllE0_EEPmJS6_EEE10hipError_tPvRmT3_T4_T5_T6_T7_T9_mT8_P12ihipStream_tbDpT10_ENKUlT_T0_E_clISt17integral_constantIbLb0EES1B_IbLb1EEEEDaS17_S18_EUlS17_E_NS1_11comp_targetILNS1_3genE0ELNS1_11target_archE4294967295ELNS1_3gpuE0ELNS1_3repE0EEENS1_30default_config_static_selectorELNS0_4arch9wavefront6targetE1EEEvT1_,"axG",@progbits,_ZN7rocprim17ROCPRIM_400000_NS6detail17trampoline_kernelINS0_14default_configENS1_25partition_config_selectorILNS1_17partition_subalgoE8ElNS0_10empty_typeEbEEZZNS1_14partition_implILS5_8ELb0ES3_jPlPS6_PKS6_NS0_5tupleIJS9_S6_EEENSD_IJSA_SA_EEENS0_18inequality_wrapperIZN2at6native12_GLOBAL__N_124unique_dim_cuda_templateIiEESt5tupleIJNSH_6TensorESM_SM_EERKSM_lbbbEUlllE0_EEPmJS6_EEE10hipError_tPvRmT3_T4_T5_T6_T7_T9_mT8_P12ihipStream_tbDpT10_ENKUlT_T0_E_clISt17integral_constantIbLb0EES1B_IbLb1EEEEDaS17_S18_EUlS17_E_NS1_11comp_targetILNS1_3genE0ELNS1_11target_archE4294967295ELNS1_3gpuE0ELNS1_3repE0EEENS1_30default_config_static_selectorELNS0_4arch9wavefront6targetE1EEEvT1_,comdat
	.globl	_ZN7rocprim17ROCPRIM_400000_NS6detail17trampoline_kernelINS0_14default_configENS1_25partition_config_selectorILNS1_17partition_subalgoE8ElNS0_10empty_typeEbEEZZNS1_14partition_implILS5_8ELb0ES3_jPlPS6_PKS6_NS0_5tupleIJS9_S6_EEENSD_IJSA_SA_EEENS0_18inequality_wrapperIZN2at6native12_GLOBAL__N_124unique_dim_cuda_templateIiEESt5tupleIJNSH_6TensorESM_SM_EERKSM_lbbbEUlllE0_EEPmJS6_EEE10hipError_tPvRmT3_T4_T5_T6_T7_T9_mT8_P12ihipStream_tbDpT10_ENKUlT_T0_E_clISt17integral_constantIbLb0EES1B_IbLb1EEEEDaS17_S18_EUlS17_E_NS1_11comp_targetILNS1_3genE0ELNS1_11target_archE4294967295ELNS1_3gpuE0ELNS1_3repE0EEENS1_30default_config_static_selectorELNS0_4arch9wavefront6targetE1EEEvT1_ ; -- Begin function _ZN7rocprim17ROCPRIM_400000_NS6detail17trampoline_kernelINS0_14default_configENS1_25partition_config_selectorILNS1_17partition_subalgoE8ElNS0_10empty_typeEbEEZZNS1_14partition_implILS5_8ELb0ES3_jPlPS6_PKS6_NS0_5tupleIJS9_S6_EEENSD_IJSA_SA_EEENS0_18inequality_wrapperIZN2at6native12_GLOBAL__N_124unique_dim_cuda_templateIiEESt5tupleIJNSH_6TensorESM_SM_EERKSM_lbbbEUlllE0_EEPmJS6_EEE10hipError_tPvRmT3_T4_T5_T6_T7_T9_mT8_P12ihipStream_tbDpT10_ENKUlT_T0_E_clISt17integral_constantIbLb0EES1B_IbLb1EEEEDaS17_S18_EUlS17_E_NS1_11comp_targetILNS1_3genE0ELNS1_11target_archE4294967295ELNS1_3gpuE0ELNS1_3repE0EEENS1_30default_config_static_selectorELNS0_4arch9wavefront6targetE1EEEvT1_
	.p2align	8
	.type	_ZN7rocprim17ROCPRIM_400000_NS6detail17trampoline_kernelINS0_14default_configENS1_25partition_config_selectorILNS1_17partition_subalgoE8ElNS0_10empty_typeEbEEZZNS1_14partition_implILS5_8ELb0ES3_jPlPS6_PKS6_NS0_5tupleIJS9_S6_EEENSD_IJSA_SA_EEENS0_18inequality_wrapperIZN2at6native12_GLOBAL__N_124unique_dim_cuda_templateIiEESt5tupleIJNSH_6TensorESM_SM_EERKSM_lbbbEUlllE0_EEPmJS6_EEE10hipError_tPvRmT3_T4_T5_T6_T7_T9_mT8_P12ihipStream_tbDpT10_ENKUlT_T0_E_clISt17integral_constantIbLb0EES1B_IbLb1EEEEDaS17_S18_EUlS17_E_NS1_11comp_targetILNS1_3genE0ELNS1_11target_archE4294967295ELNS1_3gpuE0ELNS1_3repE0EEENS1_30default_config_static_selectorELNS0_4arch9wavefront6targetE1EEEvT1_,@function
_ZN7rocprim17ROCPRIM_400000_NS6detail17trampoline_kernelINS0_14default_configENS1_25partition_config_selectorILNS1_17partition_subalgoE8ElNS0_10empty_typeEbEEZZNS1_14partition_implILS5_8ELb0ES3_jPlPS6_PKS6_NS0_5tupleIJS9_S6_EEENSD_IJSA_SA_EEENS0_18inequality_wrapperIZN2at6native12_GLOBAL__N_124unique_dim_cuda_templateIiEESt5tupleIJNSH_6TensorESM_SM_EERKSM_lbbbEUlllE0_EEPmJS6_EEE10hipError_tPvRmT3_T4_T5_T6_T7_T9_mT8_P12ihipStream_tbDpT10_ENKUlT_T0_E_clISt17integral_constantIbLb0EES1B_IbLb1EEEEDaS17_S18_EUlS17_E_NS1_11comp_targetILNS1_3genE0ELNS1_11target_archE4294967295ELNS1_3gpuE0ELNS1_3repE0EEENS1_30default_config_static_selectorELNS0_4arch9wavefront6targetE1EEEvT1_: ; @_ZN7rocprim17ROCPRIM_400000_NS6detail17trampoline_kernelINS0_14default_configENS1_25partition_config_selectorILNS1_17partition_subalgoE8ElNS0_10empty_typeEbEEZZNS1_14partition_implILS5_8ELb0ES3_jPlPS6_PKS6_NS0_5tupleIJS9_S6_EEENSD_IJSA_SA_EEENS0_18inequality_wrapperIZN2at6native12_GLOBAL__N_124unique_dim_cuda_templateIiEESt5tupleIJNSH_6TensorESM_SM_EERKSM_lbbbEUlllE0_EEPmJS6_EEE10hipError_tPvRmT3_T4_T5_T6_T7_T9_mT8_P12ihipStream_tbDpT10_ENKUlT_T0_E_clISt17integral_constantIbLb0EES1B_IbLb1EEEEDaS17_S18_EUlS17_E_NS1_11comp_targetILNS1_3genE0ELNS1_11target_archE4294967295ELNS1_3gpuE0ELNS1_3repE0EEENS1_30default_config_static_selectorELNS0_4arch9wavefront6targetE1EEEvT1_
; %bb.0:
	.section	.rodata,"a",@progbits
	.p2align	6, 0x0
	.amdhsa_kernel _ZN7rocprim17ROCPRIM_400000_NS6detail17trampoline_kernelINS0_14default_configENS1_25partition_config_selectorILNS1_17partition_subalgoE8ElNS0_10empty_typeEbEEZZNS1_14partition_implILS5_8ELb0ES3_jPlPS6_PKS6_NS0_5tupleIJS9_S6_EEENSD_IJSA_SA_EEENS0_18inequality_wrapperIZN2at6native12_GLOBAL__N_124unique_dim_cuda_templateIiEESt5tupleIJNSH_6TensorESM_SM_EERKSM_lbbbEUlllE0_EEPmJS6_EEE10hipError_tPvRmT3_T4_T5_T6_T7_T9_mT8_P12ihipStream_tbDpT10_ENKUlT_T0_E_clISt17integral_constantIbLb0EES1B_IbLb1EEEEDaS17_S18_EUlS17_E_NS1_11comp_targetILNS1_3genE0ELNS1_11target_archE4294967295ELNS1_3gpuE0ELNS1_3repE0EEENS1_30default_config_static_selectorELNS0_4arch9wavefront6targetE1EEEvT1_
		.amdhsa_group_segment_fixed_size 0
		.amdhsa_private_segment_fixed_size 0
		.amdhsa_kernarg_size 136
		.amdhsa_user_sgpr_count 6
		.amdhsa_user_sgpr_private_segment_buffer 1
		.amdhsa_user_sgpr_dispatch_ptr 0
		.amdhsa_user_sgpr_queue_ptr 0
		.amdhsa_user_sgpr_kernarg_segment_ptr 1
		.amdhsa_user_sgpr_dispatch_id 0
		.amdhsa_user_sgpr_flat_scratch_init 0
		.amdhsa_user_sgpr_kernarg_preload_length 0
		.amdhsa_user_sgpr_kernarg_preload_offset 0
		.amdhsa_user_sgpr_private_segment_size 0
		.amdhsa_uses_dynamic_stack 0
		.amdhsa_system_sgpr_private_segment_wavefront_offset 0
		.amdhsa_system_sgpr_workgroup_id_x 1
		.amdhsa_system_sgpr_workgroup_id_y 0
		.amdhsa_system_sgpr_workgroup_id_z 0
		.amdhsa_system_sgpr_workgroup_info 0
		.amdhsa_system_vgpr_workitem_id 0
		.amdhsa_next_free_vgpr 1
		.amdhsa_next_free_sgpr 0
		.amdhsa_accum_offset 4
		.amdhsa_reserve_vcc 0
		.amdhsa_reserve_flat_scratch 0
		.amdhsa_float_round_mode_32 0
		.amdhsa_float_round_mode_16_64 0
		.amdhsa_float_denorm_mode_32 3
		.amdhsa_float_denorm_mode_16_64 3
		.amdhsa_dx10_clamp 1
		.amdhsa_ieee_mode 1
		.amdhsa_fp16_overflow 0
		.amdhsa_tg_split 0
		.amdhsa_exception_fp_ieee_invalid_op 0
		.amdhsa_exception_fp_denorm_src 0
		.amdhsa_exception_fp_ieee_div_zero 0
		.amdhsa_exception_fp_ieee_overflow 0
		.amdhsa_exception_fp_ieee_underflow 0
		.amdhsa_exception_fp_ieee_inexact 0
		.amdhsa_exception_int_div_zero 0
	.end_amdhsa_kernel
	.section	.text._ZN7rocprim17ROCPRIM_400000_NS6detail17trampoline_kernelINS0_14default_configENS1_25partition_config_selectorILNS1_17partition_subalgoE8ElNS0_10empty_typeEbEEZZNS1_14partition_implILS5_8ELb0ES3_jPlPS6_PKS6_NS0_5tupleIJS9_S6_EEENSD_IJSA_SA_EEENS0_18inequality_wrapperIZN2at6native12_GLOBAL__N_124unique_dim_cuda_templateIiEESt5tupleIJNSH_6TensorESM_SM_EERKSM_lbbbEUlllE0_EEPmJS6_EEE10hipError_tPvRmT3_T4_T5_T6_T7_T9_mT8_P12ihipStream_tbDpT10_ENKUlT_T0_E_clISt17integral_constantIbLb0EES1B_IbLb1EEEEDaS17_S18_EUlS17_E_NS1_11comp_targetILNS1_3genE0ELNS1_11target_archE4294967295ELNS1_3gpuE0ELNS1_3repE0EEENS1_30default_config_static_selectorELNS0_4arch9wavefront6targetE1EEEvT1_,"axG",@progbits,_ZN7rocprim17ROCPRIM_400000_NS6detail17trampoline_kernelINS0_14default_configENS1_25partition_config_selectorILNS1_17partition_subalgoE8ElNS0_10empty_typeEbEEZZNS1_14partition_implILS5_8ELb0ES3_jPlPS6_PKS6_NS0_5tupleIJS9_S6_EEENSD_IJSA_SA_EEENS0_18inequality_wrapperIZN2at6native12_GLOBAL__N_124unique_dim_cuda_templateIiEESt5tupleIJNSH_6TensorESM_SM_EERKSM_lbbbEUlllE0_EEPmJS6_EEE10hipError_tPvRmT3_T4_T5_T6_T7_T9_mT8_P12ihipStream_tbDpT10_ENKUlT_T0_E_clISt17integral_constantIbLb0EES1B_IbLb1EEEEDaS17_S18_EUlS17_E_NS1_11comp_targetILNS1_3genE0ELNS1_11target_archE4294967295ELNS1_3gpuE0ELNS1_3repE0EEENS1_30default_config_static_selectorELNS0_4arch9wavefront6targetE1EEEvT1_,comdat
.Lfunc_end465:
	.size	_ZN7rocprim17ROCPRIM_400000_NS6detail17trampoline_kernelINS0_14default_configENS1_25partition_config_selectorILNS1_17partition_subalgoE8ElNS0_10empty_typeEbEEZZNS1_14partition_implILS5_8ELb0ES3_jPlPS6_PKS6_NS0_5tupleIJS9_S6_EEENSD_IJSA_SA_EEENS0_18inequality_wrapperIZN2at6native12_GLOBAL__N_124unique_dim_cuda_templateIiEESt5tupleIJNSH_6TensorESM_SM_EERKSM_lbbbEUlllE0_EEPmJS6_EEE10hipError_tPvRmT3_T4_T5_T6_T7_T9_mT8_P12ihipStream_tbDpT10_ENKUlT_T0_E_clISt17integral_constantIbLb0EES1B_IbLb1EEEEDaS17_S18_EUlS17_E_NS1_11comp_targetILNS1_3genE0ELNS1_11target_archE4294967295ELNS1_3gpuE0ELNS1_3repE0EEENS1_30default_config_static_selectorELNS0_4arch9wavefront6targetE1EEEvT1_, .Lfunc_end465-_ZN7rocprim17ROCPRIM_400000_NS6detail17trampoline_kernelINS0_14default_configENS1_25partition_config_selectorILNS1_17partition_subalgoE8ElNS0_10empty_typeEbEEZZNS1_14partition_implILS5_8ELb0ES3_jPlPS6_PKS6_NS0_5tupleIJS9_S6_EEENSD_IJSA_SA_EEENS0_18inequality_wrapperIZN2at6native12_GLOBAL__N_124unique_dim_cuda_templateIiEESt5tupleIJNSH_6TensorESM_SM_EERKSM_lbbbEUlllE0_EEPmJS6_EEE10hipError_tPvRmT3_T4_T5_T6_T7_T9_mT8_P12ihipStream_tbDpT10_ENKUlT_T0_E_clISt17integral_constantIbLb0EES1B_IbLb1EEEEDaS17_S18_EUlS17_E_NS1_11comp_targetILNS1_3genE0ELNS1_11target_archE4294967295ELNS1_3gpuE0ELNS1_3repE0EEENS1_30default_config_static_selectorELNS0_4arch9wavefront6targetE1EEEvT1_
                                        ; -- End function
	.section	.AMDGPU.csdata,"",@progbits
; Kernel info:
; codeLenInByte = 0
; NumSgprs: 4
; NumVgprs: 0
; NumAgprs: 0
; TotalNumVgprs: 0
; ScratchSize: 0
; MemoryBound: 0
; FloatMode: 240
; IeeeMode: 1
; LDSByteSize: 0 bytes/workgroup (compile time only)
; SGPRBlocks: 0
; VGPRBlocks: 0
; NumSGPRsForWavesPerEU: 4
; NumVGPRsForWavesPerEU: 1
; AccumOffset: 4
; Occupancy: 8
; WaveLimiterHint : 0
; COMPUTE_PGM_RSRC2:SCRATCH_EN: 0
; COMPUTE_PGM_RSRC2:USER_SGPR: 6
; COMPUTE_PGM_RSRC2:TRAP_HANDLER: 0
; COMPUTE_PGM_RSRC2:TGID_X_EN: 1
; COMPUTE_PGM_RSRC2:TGID_Y_EN: 0
; COMPUTE_PGM_RSRC2:TGID_Z_EN: 0
; COMPUTE_PGM_RSRC2:TIDIG_COMP_CNT: 0
; COMPUTE_PGM_RSRC3_GFX90A:ACCUM_OFFSET: 0
; COMPUTE_PGM_RSRC3_GFX90A:TG_SPLIT: 0
	.section	.text._ZN7rocprim17ROCPRIM_400000_NS6detail17trampoline_kernelINS0_14default_configENS1_25partition_config_selectorILNS1_17partition_subalgoE8ElNS0_10empty_typeEbEEZZNS1_14partition_implILS5_8ELb0ES3_jPlPS6_PKS6_NS0_5tupleIJS9_S6_EEENSD_IJSA_SA_EEENS0_18inequality_wrapperIZN2at6native12_GLOBAL__N_124unique_dim_cuda_templateIiEESt5tupleIJNSH_6TensorESM_SM_EERKSM_lbbbEUlllE0_EEPmJS6_EEE10hipError_tPvRmT3_T4_T5_T6_T7_T9_mT8_P12ihipStream_tbDpT10_ENKUlT_T0_E_clISt17integral_constantIbLb0EES1B_IbLb1EEEEDaS17_S18_EUlS17_E_NS1_11comp_targetILNS1_3genE5ELNS1_11target_archE942ELNS1_3gpuE9ELNS1_3repE0EEENS1_30default_config_static_selectorELNS0_4arch9wavefront6targetE1EEEvT1_,"axG",@progbits,_ZN7rocprim17ROCPRIM_400000_NS6detail17trampoline_kernelINS0_14default_configENS1_25partition_config_selectorILNS1_17partition_subalgoE8ElNS0_10empty_typeEbEEZZNS1_14partition_implILS5_8ELb0ES3_jPlPS6_PKS6_NS0_5tupleIJS9_S6_EEENSD_IJSA_SA_EEENS0_18inequality_wrapperIZN2at6native12_GLOBAL__N_124unique_dim_cuda_templateIiEESt5tupleIJNSH_6TensorESM_SM_EERKSM_lbbbEUlllE0_EEPmJS6_EEE10hipError_tPvRmT3_T4_T5_T6_T7_T9_mT8_P12ihipStream_tbDpT10_ENKUlT_T0_E_clISt17integral_constantIbLb0EES1B_IbLb1EEEEDaS17_S18_EUlS17_E_NS1_11comp_targetILNS1_3genE5ELNS1_11target_archE942ELNS1_3gpuE9ELNS1_3repE0EEENS1_30default_config_static_selectorELNS0_4arch9wavefront6targetE1EEEvT1_,comdat
	.globl	_ZN7rocprim17ROCPRIM_400000_NS6detail17trampoline_kernelINS0_14default_configENS1_25partition_config_selectorILNS1_17partition_subalgoE8ElNS0_10empty_typeEbEEZZNS1_14partition_implILS5_8ELb0ES3_jPlPS6_PKS6_NS0_5tupleIJS9_S6_EEENSD_IJSA_SA_EEENS0_18inequality_wrapperIZN2at6native12_GLOBAL__N_124unique_dim_cuda_templateIiEESt5tupleIJNSH_6TensorESM_SM_EERKSM_lbbbEUlllE0_EEPmJS6_EEE10hipError_tPvRmT3_T4_T5_T6_T7_T9_mT8_P12ihipStream_tbDpT10_ENKUlT_T0_E_clISt17integral_constantIbLb0EES1B_IbLb1EEEEDaS17_S18_EUlS17_E_NS1_11comp_targetILNS1_3genE5ELNS1_11target_archE942ELNS1_3gpuE9ELNS1_3repE0EEENS1_30default_config_static_selectorELNS0_4arch9wavefront6targetE1EEEvT1_ ; -- Begin function _ZN7rocprim17ROCPRIM_400000_NS6detail17trampoline_kernelINS0_14default_configENS1_25partition_config_selectorILNS1_17partition_subalgoE8ElNS0_10empty_typeEbEEZZNS1_14partition_implILS5_8ELb0ES3_jPlPS6_PKS6_NS0_5tupleIJS9_S6_EEENSD_IJSA_SA_EEENS0_18inequality_wrapperIZN2at6native12_GLOBAL__N_124unique_dim_cuda_templateIiEESt5tupleIJNSH_6TensorESM_SM_EERKSM_lbbbEUlllE0_EEPmJS6_EEE10hipError_tPvRmT3_T4_T5_T6_T7_T9_mT8_P12ihipStream_tbDpT10_ENKUlT_T0_E_clISt17integral_constantIbLb0EES1B_IbLb1EEEEDaS17_S18_EUlS17_E_NS1_11comp_targetILNS1_3genE5ELNS1_11target_archE942ELNS1_3gpuE9ELNS1_3repE0EEENS1_30default_config_static_selectorELNS0_4arch9wavefront6targetE1EEEvT1_
	.p2align	8
	.type	_ZN7rocprim17ROCPRIM_400000_NS6detail17trampoline_kernelINS0_14default_configENS1_25partition_config_selectorILNS1_17partition_subalgoE8ElNS0_10empty_typeEbEEZZNS1_14partition_implILS5_8ELb0ES3_jPlPS6_PKS6_NS0_5tupleIJS9_S6_EEENSD_IJSA_SA_EEENS0_18inequality_wrapperIZN2at6native12_GLOBAL__N_124unique_dim_cuda_templateIiEESt5tupleIJNSH_6TensorESM_SM_EERKSM_lbbbEUlllE0_EEPmJS6_EEE10hipError_tPvRmT3_T4_T5_T6_T7_T9_mT8_P12ihipStream_tbDpT10_ENKUlT_T0_E_clISt17integral_constantIbLb0EES1B_IbLb1EEEEDaS17_S18_EUlS17_E_NS1_11comp_targetILNS1_3genE5ELNS1_11target_archE942ELNS1_3gpuE9ELNS1_3repE0EEENS1_30default_config_static_selectorELNS0_4arch9wavefront6targetE1EEEvT1_,@function
_ZN7rocprim17ROCPRIM_400000_NS6detail17trampoline_kernelINS0_14default_configENS1_25partition_config_selectorILNS1_17partition_subalgoE8ElNS0_10empty_typeEbEEZZNS1_14partition_implILS5_8ELb0ES3_jPlPS6_PKS6_NS0_5tupleIJS9_S6_EEENSD_IJSA_SA_EEENS0_18inequality_wrapperIZN2at6native12_GLOBAL__N_124unique_dim_cuda_templateIiEESt5tupleIJNSH_6TensorESM_SM_EERKSM_lbbbEUlllE0_EEPmJS6_EEE10hipError_tPvRmT3_T4_T5_T6_T7_T9_mT8_P12ihipStream_tbDpT10_ENKUlT_T0_E_clISt17integral_constantIbLb0EES1B_IbLb1EEEEDaS17_S18_EUlS17_E_NS1_11comp_targetILNS1_3genE5ELNS1_11target_archE942ELNS1_3gpuE9ELNS1_3repE0EEENS1_30default_config_static_selectorELNS0_4arch9wavefront6targetE1EEEvT1_: ; @_ZN7rocprim17ROCPRIM_400000_NS6detail17trampoline_kernelINS0_14default_configENS1_25partition_config_selectorILNS1_17partition_subalgoE8ElNS0_10empty_typeEbEEZZNS1_14partition_implILS5_8ELb0ES3_jPlPS6_PKS6_NS0_5tupleIJS9_S6_EEENSD_IJSA_SA_EEENS0_18inequality_wrapperIZN2at6native12_GLOBAL__N_124unique_dim_cuda_templateIiEESt5tupleIJNSH_6TensorESM_SM_EERKSM_lbbbEUlllE0_EEPmJS6_EEE10hipError_tPvRmT3_T4_T5_T6_T7_T9_mT8_P12ihipStream_tbDpT10_ENKUlT_T0_E_clISt17integral_constantIbLb0EES1B_IbLb1EEEEDaS17_S18_EUlS17_E_NS1_11comp_targetILNS1_3genE5ELNS1_11target_archE942ELNS1_3gpuE9ELNS1_3repE0EEENS1_30default_config_static_selectorELNS0_4arch9wavefront6targetE1EEEvT1_
; %bb.0:
	.section	.rodata,"a",@progbits
	.p2align	6, 0x0
	.amdhsa_kernel _ZN7rocprim17ROCPRIM_400000_NS6detail17trampoline_kernelINS0_14default_configENS1_25partition_config_selectorILNS1_17partition_subalgoE8ElNS0_10empty_typeEbEEZZNS1_14partition_implILS5_8ELb0ES3_jPlPS6_PKS6_NS0_5tupleIJS9_S6_EEENSD_IJSA_SA_EEENS0_18inequality_wrapperIZN2at6native12_GLOBAL__N_124unique_dim_cuda_templateIiEESt5tupleIJNSH_6TensorESM_SM_EERKSM_lbbbEUlllE0_EEPmJS6_EEE10hipError_tPvRmT3_T4_T5_T6_T7_T9_mT8_P12ihipStream_tbDpT10_ENKUlT_T0_E_clISt17integral_constantIbLb0EES1B_IbLb1EEEEDaS17_S18_EUlS17_E_NS1_11comp_targetILNS1_3genE5ELNS1_11target_archE942ELNS1_3gpuE9ELNS1_3repE0EEENS1_30default_config_static_selectorELNS0_4arch9wavefront6targetE1EEEvT1_
		.amdhsa_group_segment_fixed_size 0
		.amdhsa_private_segment_fixed_size 0
		.amdhsa_kernarg_size 136
		.amdhsa_user_sgpr_count 6
		.amdhsa_user_sgpr_private_segment_buffer 1
		.amdhsa_user_sgpr_dispatch_ptr 0
		.amdhsa_user_sgpr_queue_ptr 0
		.amdhsa_user_sgpr_kernarg_segment_ptr 1
		.amdhsa_user_sgpr_dispatch_id 0
		.amdhsa_user_sgpr_flat_scratch_init 0
		.amdhsa_user_sgpr_kernarg_preload_length 0
		.amdhsa_user_sgpr_kernarg_preload_offset 0
		.amdhsa_user_sgpr_private_segment_size 0
		.amdhsa_uses_dynamic_stack 0
		.amdhsa_system_sgpr_private_segment_wavefront_offset 0
		.amdhsa_system_sgpr_workgroup_id_x 1
		.amdhsa_system_sgpr_workgroup_id_y 0
		.amdhsa_system_sgpr_workgroup_id_z 0
		.amdhsa_system_sgpr_workgroup_info 0
		.amdhsa_system_vgpr_workitem_id 0
		.amdhsa_next_free_vgpr 1
		.amdhsa_next_free_sgpr 0
		.amdhsa_accum_offset 4
		.amdhsa_reserve_vcc 0
		.amdhsa_reserve_flat_scratch 0
		.amdhsa_float_round_mode_32 0
		.amdhsa_float_round_mode_16_64 0
		.amdhsa_float_denorm_mode_32 3
		.amdhsa_float_denorm_mode_16_64 3
		.amdhsa_dx10_clamp 1
		.amdhsa_ieee_mode 1
		.amdhsa_fp16_overflow 0
		.amdhsa_tg_split 0
		.amdhsa_exception_fp_ieee_invalid_op 0
		.amdhsa_exception_fp_denorm_src 0
		.amdhsa_exception_fp_ieee_div_zero 0
		.amdhsa_exception_fp_ieee_overflow 0
		.amdhsa_exception_fp_ieee_underflow 0
		.amdhsa_exception_fp_ieee_inexact 0
		.amdhsa_exception_int_div_zero 0
	.end_amdhsa_kernel
	.section	.text._ZN7rocprim17ROCPRIM_400000_NS6detail17trampoline_kernelINS0_14default_configENS1_25partition_config_selectorILNS1_17partition_subalgoE8ElNS0_10empty_typeEbEEZZNS1_14partition_implILS5_8ELb0ES3_jPlPS6_PKS6_NS0_5tupleIJS9_S6_EEENSD_IJSA_SA_EEENS0_18inequality_wrapperIZN2at6native12_GLOBAL__N_124unique_dim_cuda_templateIiEESt5tupleIJNSH_6TensorESM_SM_EERKSM_lbbbEUlllE0_EEPmJS6_EEE10hipError_tPvRmT3_T4_T5_T6_T7_T9_mT8_P12ihipStream_tbDpT10_ENKUlT_T0_E_clISt17integral_constantIbLb0EES1B_IbLb1EEEEDaS17_S18_EUlS17_E_NS1_11comp_targetILNS1_3genE5ELNS1_11target_archE942ELNS1_3gpuE9ELNS1_3repE0EEENS1_30default_config_static_selectorELNS0_4arch9wavefront6targetE1EEEvT1_,"axG",@progbits,_ZN7rocprim17ROCPRIM_400000_NS6detail17trampoline_kernelINS0_14default_configENS1_25partition_config_selectorILNS1_17partition_subalgoE8ElNS0_10empty_typeEbEEZZNS1_14partition_implILS5_8ELb0ES3_jPlPS6_PKS6_NS0_5tupleIJS9_S6_EEENSD_IJSA_SA_EEENS0_18inequality_wrapperIZN2at6native12_GLOBAL__N_124unique_dim_cuda_templateIiEESt5tupleIJNSH_6TensorESM_SM_EERKSM_lbbbEUlllE0_EEPmJS6_EEE10hipError_tPvRmT3_T4_T5_T6_T7_T9_mT8_P12ihipStream_tbDpT10_ENKUlT_T0_E_clISt17integral_constantIbLb0EES1B_IbLb1EEEEDaS17_S18_EUlS17_E_NS1_11comp_targetILNS1_3genE5ELNS1_11target_archE942ELNS1_3gpuE9ELNS1_3repE0EEENS1_30default_config_static_selectorELNS0_4arch9wavefront6targetE1EEEvT1_,comdat
.Lfunc_end466:
	.size	_ZN7rocprim17ROCPRIM_400000_NS6detail17trampoline_kernelINS0_14default_configENS1_25partition_config_selectorILNS1_17partition_subalgoE8ElNS0_10empty_typeEbEEZZNS1_14partition_implILS5_8ELb0ES3_jPlPS6_PKS6_NS0_5tupleIJS9_S6_EEENSD_IJSA_SA_EEENS0_18inequality_wrapperIZN2at6native12_GLOBAL__N_124unique_dim_cuda_templateIiEESt5tupleIJNSH_6TensorESM_SM_EERKSM_lbbbEUlllE0_EEPmJS6_EEE10hipError_tPvRmT3_T4_T5_T6_T7_T9_mT8_P12ihipStream_tbDpT10_ENKUlT_T0_E_clISt17integral_constantIbLb0EES1B_IbLb1EEEEDaS17_S18_EUlS17_E_NS1_11comp_targetILNS1_3genE5ELNS1_11target_archE942ELNS1_3gpuE9ELNS1_3repE0EEENS1_30default_config_static_selectorELNS0_4arch9wavefront6targetE1EEEvT1_, .Lfunc_end466-_ZN7rocprim17ROCPRIM_400000_NS6detail17trampoline_kernelINS0_14default_configENS1_25partition_config_selectorILNS1_17partition_subalgoE8ElNS0_10empty_typeEbEEZZNS1_14partition_implILS5_8ELb0ES3_jPlPS6_PKS6_NS0_5tupleIJS9_S6_EEENSD_IJSA_SA_EEENS0_18inequality_wrapperIZN2at6native12_GLOBAL__N_124unique_dim_cuda_templateIiEESt5tupleIJNSH_6TensorESM_SM_EERKSM_lbbbEUlllE0_EEPmJS6_EEE10hipError_tPvRmT3_T4_T5_T6_T7_T9_mT8_P12ihipStream_tbDpT10_ENKUlT_T0_E_clISt17integral_constantIbLb0EES1B_IbLb1EEEEDaS17_S18_EUlS17_E_NS1_11comp_targetILNS1_3genE5ELNS1_11target_archE942ELNS1_3gpuE9ELNS1_3repE0EEENS1_30default_config_static_selectorELNS0_4arch9wavefront6targetE1EEEvT1_
                                        ; -- End function
	.section	.AMDGPU.csdata,"",@progbits
; Kernel info:
; codeLenInByte = 0
; NumSgprs: 4
; NumVgprs: 0
; NumAgprs: 0
; TotalNumVgprs: 0
; ScratchSize: 0
; MemoryBound: 0
; FloatMode: 240
; IeeeMode: 1
; LDSByteSize: 0 bytes/workgroup (compile time only)
; SGPRBlocks: 0
; VGPRBlocks: 0
; NumSGPRsForWavesPerEU: 4
; NumVGPRsForWavesPerEU: 1
; AccumOffset: 4
; Occupancy: 8
; WaveLimiterHint : 0
; COMPUTE_PGM_RSRC2:SCRATCH_EN: 0
; COMPUTE_PGM_RSRC2:USER_SGPR: 6
; COMPUTE_PGM_RSRC2:TRAP_HANDLER: 0
; COMPUTE_PGM_RSRC2:TGID_X_EN: 1
; COMPUTE_PGM_RSRC2:TGID_Y_EN: 0
; COMPUTE_PGM_RSRC2:TGID_Z_EN: 0
; COMPUTE_PGM_RSRC2:TIDIG_COMP_CNT: 0
; COMPUTE_PGM_RSRC3_GFX90A:ACCUM_OFFSET: 0
; COMPUTE_PGM_RSRC3_GFX90A:TG_SPLIT: 0
	.section	.text._ZN7rocprim17ROCPRIM_400000_NS6detail17trampoline_kernelINS0_14default_configENS1_25partition_config_selectorILNS1_17partition_subalgoE8ElNS0_10empty_typeEbEEZZNS1_14partition_implILS5_8ELb0ES3_jPlPS6_PKS6_NS0_5tupleIJS9_S6_EEENSD_IJSA_SA_EEENS0_18inequality_wrapperIZN2at6native12_GLOBAL__N_124unique_dim_cuda_templateIiEESt5tupleIJNSH_6TensorESM_SM_EERKSM_lbbbEUlllE0_EEPmJS6_EEE10hipError_tPvRmT3_T4_T5_T6_T7_T9_mT8_P12ihipStream_tbDpT10_ENKUlT_T0_E_clISt17integral_constantIbLb0EES1B_IbLb1EEEEDaS17_S18_EUlS17_E_NS1_11comp_targetILNS1_3genE4ELNS1_11target_archE910ELNS1_3gpuE8ELNS1_3repE0EEENS1_30default_config_static_selectorELNS0_4arch9wavefront6targetE1EEEvT1_,"axG",@progbits,_ZN7rocprim17ROCPRIM_400000_NS6detail17trampoline_kernelINS0_14default_configENS1_25partition_config_selectorILNS1_17partition_subalgoE8ElNS0_10empty_typeEbEEZZNS1_14partition_implILS5_8ELb0ES3_jPlPS6_PKS6_NS0_5tupleIJS9_S6_EEENSD_IJSA_SA_EEENS0_18inequality_wrapperIZN2at6native12_GLOBAL__N_124unique_dim_cuda_templateIiEESt5tupleIJNSH_6TensorESM_SM_EERKSM_lbbbEUlllE0_EEPmJS6_EEE10hipError_tPvRmT3_T4_T5_T6_T7_T9_mT8_P12ihipStream_tbDpT10_ENKUlT_T0_E_clISt17integral_constantIbLb0EES1B_IbLb1EEEEDaS17_S18_EUlS17_E_NS1_11comp_targetILNS1_3genE4ELNS1_11target_archE910ELNS1_3gpuE8ELNS1_3repE0EEENS1_30default_config_static_selectorELNS0_4arch9wavefront6targetE1EEEvT1_,comdat
	.globl	_ZN7rocprim17ROCPRIM_400000_NS6detail17trampoline_kernelINS0_14default_configENS1_25partition_config_selectorILNS1_17partition_subalgoE8ElNS0_10empty_typeEbEEZZNS1_14partition_implILS5_8ELb0ES3_jPlPS6_PKS6_NS0_5tupleIJS9_S6_EEENSD_IJSA_SA_EEENS0_18inequality_wrapperIZN2at6native12_GLOBAL__N_124unique_dim_cuda_templateIiEESt5tupleIJNSH_6TensorESM_SM_EERKSM_lbbbEUlllE0_EEPmJS6_EEE10hipError_tPvRmT3_T4_T5_T6_T7_T9_mT8_P12ihipStream_tbDpT10_ENKUlT_T0_E_clISt17integral_constantIbLb0EES1B_IbLb1EEEEDaS17_S18_EUlS17_E_NS1_11comp_targetILNS1_3genE4ELNS1_11target_archE910ELNS1_3gpuE8ELNS1_3repE0EEENS1_30default_config_static_selectorELNS0_4arch9wavefront6targetE1EEEvT1_ ; -- Begin function _ZN7rocprim17ROCPRIM_400000_NS6detail17trampoline_kernelINS0_14default_configENS1_25partition_config_selectorILNS1_17partition_subalgoE8ElNS0_10empty_typeEbEEZZNS1_14partition_implILS5_8ELb0ES3_jPlPS6_PKS6_NS0_5tupleIJS9_S6_EEENSD_IJSA_SA_EEENS0_18inequality_wrapperIZN2at6native12_GLOBAL__N_124unique_dim_cuda_templateIiEESt5tupleIJNSH_6TensorESM_SM_EERKSM_lbbbEUlllE0_EEPmJS6_EEE10hipError_tPvRmT3_T4_T5_T6_T7_T9_mT8_P12ihipStream_tbDpT10_ENKUlT_T0_E_clISt17integral_constantIbLb0EES1B_IbLb1EEEEDaS17_S18_EUlS17_E_NS1_11comp_targetILNS1_3genE4ELNS1_11target_archE910ELNS1_3gpuE8ELNS1_3repE0EEENS1_30default_config_static_selectorELNS0_4arch9wavefront6targetE1EEEvT1_
	.p2align	8
	.type	_ZN7rocprim17ROCPRIM_400000_NS6detail17trampoline_kernelINS0_14default_configENS1_25partition_config_selectorILNS1_17partition_subalgoE8ElNS0_10empty_typeEbEEZZNS1_14partition_implILS5_8ELb0ES3_jPlPS6_PKS6_NS0_5tupleIJS9_S6_EEENSD_IJSA_SA_EEENS0_18inequality_wrapperIZN2at6native12_GLOBAL__N_124unique_dim_cuda_templateIiEESt5tupleIJNSH_6TensorESM_SM_EERKSM_lbbbEUlllE0_EEPmJS6_EEE10hipError_tPvRmT3_T4_T5_T6_T7_T9_mT8_P12ihipStream_tbDpT10_ENKUlT_T0_E_clISt17integral_constantIbLb0EES1B_IbLb1EEEEDaS17_S18_EUlS17_E_NS1_11comp_targetILNS1_3genE4ELNS1_11target_archE910ELNS1_3gpuE8ELNS1_3repE0EEENS1_30default_config_static_selectorELNS0_4arch9wavefront6targetE1EEEvT1_,@function
_ZN7rocprim17ROCPRIM_400000_NS6detail17trampoline_kernelINS0_14default_configENS1_25partition_config_selectorILNS1_17partition_subalgoE8ElNS0_10empty_typeEbEEZZNS1_14partition_implILS5_8ELb0ES3_jPlPS6_PKS6_NS0_5tupleIJS9_S6_EEENSD_IJSA_SA_EEENS0_18inequality_wrapperIZN2at6native12_GLOBAL__N_124unique_dim_cuda_templateIiEESt5tupleIJNSH_6TensorESM_SM_EERKSM_lbbbEUlllE0_EEPmJS6_EEE10hipError_tPvRmT3_T4_T5_T6_T7_T9_mT8_P12ihipStream_tbDpT10_ENKUlT_T0_E_clISt17integral_constantIbLb0EES1B_IbLb1EEEEDaS17_S18_EUlS17_E_NS1_11comp_targetILNS1_3genE4ELNS1_11target_archE910ELNS1_3gpuE8ELNS1_3repE0EEENS1_30default_config_static_selectorELNS0_4arch9wavefront6targetE1EEEvT1_: ; @_ZN7rocprim17ROCPRIM_400000_NS6detail17trampoline_kernelINS0_14default_configENS1_25partition_config_selectorILNS1_17partition_subalgoE8ElNS0_10empty_typeEbEEZZNS1_14partition_implILS5_8ELb0ES3_jPlPS6_PKS6_NS0_5tupleIJS9_S6_EEENSD_IJSA_SA_EEENS0_18inequality_wrapperIZN2at6native12_GLOBAL__N_124unique_dim_cuda_templateIiEESt5tupleIJNSH_6TensorESM_SM_EERKSM_lbbbEUlllE0_EEPmJS6_EEE10hipError_tPvRmT3_T4_T5_T6_T7_T9_mT8_P12ihipStream_tbDpT10_ENKUlT_T0_E_clISt17integral_constantIbLb0EES1B_IbLb1EEEEDaS17_S18_EUlS17_E_NS1_11comp_targetILNS1_3genE4ELNS1_11target_archE910ELNS1_3gpuE8ELNS1_3repE0EEENS1_30default_config_static_selectorELNS0_4arch9wavefront6targetE1EEEvT1_
; %bb.0:
	s_load_dwordx2 s[28:29], s[4:5], 0x28
	s_load_dwordx8 s[20:27], s[4:5], 0x40
	s_load_dwordx4 s[16:19], s[4:5], 0x60
	v_cmp_ne_u32_e64 s[2:3], 0, v0
	v_cmp_eq_u32_e64 s[0:1], 0, v0
	s_and_saveexec_b64 s[6:7], s[0:1]
	s_cbranch_execz .LBB467_4
; %bb.1:
	s_mov_b64 s[10:11], exec
	v_mbcnt_lo_u32_b32 v1, s10, 0
	v_mbcnt_hi_u32_b32 v1, s11, v1
	v_cmp_eq_u32_e32 vcc, 0, v1
                                        ; implicit-def: $vgpr2
	s_and_saveexec_b64 s[8:9], vcc
	s_cbranch_execz .LBB467_3
; %bb.2:
	s_load_dwordx2 s[12:13], s[4:5], 0x78
	s_bcnt1_i32_b64 s10, s[10:11]
	v_mov_b32_e32 v2, 0
	v_mov_b32_e32 v3, s10
	s_waitcnt lgkmcnt(0)
	global_atomic_add v2, v2, v3, s[12:13] glc
.LBB467_3:
	s_or_b64 exec, exec, s[8:9]
	s_waitcnt vmcnt(0)
	v_readfirstlane_b32 s8, v2
	v_add_u32_e32 v1, s8, v1
	v_mov_b32_e32 v2, 0
	ds_write_b32 v2, v1
.LBB467_4:
	s_or_b64 exec, exec, s[6:7]
	v_mov_b32_e32 v3, 0
	s_load_dwordx4 s[8:11], s[4:5], 0x8
	s_load_dword s12, s[4:5], 0x70
	s_waitcnt lgkmcnt(0)
	s_barrier
	ds_read_b32 v1, v3
	s_waitcnt lgkmcnt(0)
	s_barrier
	global_load_dwordx2 v[4:5], v3, s[22:23]
	s_lshl_b64 s[4:5], s[10:11], 3
	s_mul_i32 s14, s12, 0x500
	s_add_u32 s8, s8, s4
	s_addc_u32 s4, s9, s5
	s_add_i32 s5, s14, s10
	s_add_i32 s12, s12, -1
	s_sub_i32 s48, s24, s5
	v_mov_b32_e32 v8, s4
	s_add_u32 s4, s10, s14
	s_addc_u32 s5, s11, 0
	v_readfirstlane_b32 s33, v1
	v_mov_b32_e32 v6, s24
	v_mov_b32_e32 v7, s25
	s_movk_i32 s13, 0x500
	s_cmp_eq_u32 s33, s12
	v_mul_lo_u32 v2, v1, s13
	v_cmp_ge_u64_e32 vcc, s[4:5], v[6:7]
	s_cselect_b64 s[24:25], -1, 0
	v_lshlrev_b64 v[2:3], 3, v[2:3]
	s_and_b64 s[12:13], vcc, s[24:25]
	v_add_co_u32_e64 v18, s[4:5], s8, v2
	s_xor_b64 s[30:31], s[12:13], -1
	s_mov_b64 s[6:7], -1
	v_addc_co_u32_e64 v19, s[4:5], v8, v3, s[4:5]
	s_and_b64 vcc, exec, s[30:31]
	s_waitcnt vmcnt(0)
	v_readfirstlane_b32 s22, v4
	v_readfirstlane_b32 s23, v5
	s_cbranch_vccz .LBB467_6
; %bb.5:
	v_lshlrev_b32_e32 v1, 3, v0
	v_add_co_u32_e32 v12, vcc, v18, v1
	v_addc_co_u32_e32 v13, vcc, 0, v19, vcc
	v_add_co_u32_e32 v2, vcc, 0x1000, v12
	v_readfirstlane_b32 s4, v18
	v_readfirstlane_b32 s5, v19
	v_addc_co_u32_e32 v3, vcc, 0, v13, vcc
	s_nop 3
	global_load_dwordx2 v[4:5], v1, s[4:5]
	global_load_dwordx2 v[6:7], v1, s[4:5] offset:2048
	global_load_dwordx2 v[8:9], v[2:3], off
	global_load_dwordx2 v[10:11], v[2:3], off offset:2048
	v_add_co_u32_e32 v2, vcc, 0x2000, v12
	v_addc_co_u32_e32 v3, vcc, 0, v13, vcc
	global_load_dwordx2 v[2:3], v[2:3], off
	s_mov_b64 s[6:7], 0
	s_waitcnt vmcnt(3)
	ds_write2st64_b64 v1, v[4:5], v[6:7] offset1:4
	s_waitcnt vmcnt(1)
	ds_write2st64_b64 v1, v[8:9], v[10:11] offset0:8 offset1:12
	s_waitcnt vmcnt(0)
	ds_write_b64 v1, v[2:3] offset:8192
	s_waitcnt lgkmcnt(0)
	s_barrier
.LBB467_6:
	s_andn2_b64 vcc, exec, s[6:7]
	s_addk_i32 s48, 0x500
	s_cbranch_vccnz .LBB467_18
; %bb.7:
	v_cmp_gt_u32_e32 vcc, s48, v0
                                        ; implicit-def: $vgpr2_vgpr3_vgpr4_vgpr5_vgpr6_vgpr7_vgpr8_vgpr9_vgpr10_vgpr11_vgpr12_vgpr13_vgpr14_vgpr15_vgpr16_vgpr17
	s_and_saveexec_b64 s[4:5], vcc
	s_cbranch_execz .LBB467_9
; %bb.8:
	v_lshlrev_b32_e32 v1, 3, v0
	v_readfirstlane_b32 s6, v18
	v_readfirstlane_b32 s7, v19
	s_nop 4
	global_load_dwordx2 v[2:3], v1, s[6:7]
.LBB467_9:
	s_or_b64 exec, exec, s[4:5]
	v_or_b32_e32 v1, 0x100, v0
	v_cmp_gt_u32_e32 vcc, s48, v1
	s_and_saveexec_b64 s[4:5], vcc
	s_cbranch_execz .LBB467_11
; %bb.10:
	v_lshlrev_b32_e32 v1, 3, v0
	v_readfirstlane_b32 s6, v18
	v_readfirstlane_b32 s7, v19
	s_nop 4
	global_load_dwordx2 v[4:5], v1, s[6:7] offset:2048
.LBB467_11:
	s_or_b64 exec, exec, s[4:5]
	v_or_b32_e32 v1, 0x200, v0
	v_cmp_gt_u32_e32 vcc, s48, v1
	s_and_saveexec_b64 s[4:5], vcc
	s_cbranch_execz .LBB467_13
; %bb.12:
	v_lshlrev_b32_e32 v1, 3, v1
	v_readfirstlane_b32 s6, v18
	v_readfirstlane_b32 s7, v19
	s_nop 4
	global_load_dwordx2 v[6:7], v1, s[6:7]
.LBB467_13:
	s_or_b64 exec, exec, s[4:5]
	v_or_b32_e32 v1, 0x300, v0
	v_cmp_gt_u32_e32 vcc, s48, v1
	s_and_saveexec_b64 s[4:5], vcc
	s_cbranch_execz .LBB467_15
; %bb.14:
	v_lshlrev_b32_e32 v1, 3, v1
	v_readfirstlane_b32 s6, v18
	v_readfirstlane_b32 s7, v19
	s_nop 4
	global_load_dwordx2 v[8:9], v1, s[6:7]
.LBB467_15:
	;; [unrolled: 12-line block ×3, first 2 shown]
	s_or_b64 exec, exec, s[4:5]
	v_lshlrev_b32_e32 v1, 3, v0
	s_waitcnt vmcnt(0)
	ds_write2st64_b64 v1, v[2:3], v[4:5] offset1:4
	ds_write2st64_b64 v1, v[6:7], v[8:9] offset0:8 offset1:12
	ds_write_b64 v1, v[10:11] offset:8192
	s_waitcnt lgkmcnt(0)
	s_barrier
.LBB467_18:
	v_mul_u32_u24_e32 v1, 5, v0
	v_lshlrev_b32_e32 v26, 3, v1
	ds_read2_b64 v[6:9], v26 offset1:1
	ds_read2_b64 v[2:5], v26 offset0:2 offset1:3
	ds_read_b64 v[10:11], v26 offset:32
	s_cmp_lg_u32 s33, 0
	s_cselect_b64 s[34:35], -1, 0
	s_cmp_lg_u64 s[10:11], 0
	s_cselect_b64 s[4:5], -1, 0
	s_or_b64 s[4:5], s[4:5], s[34:35]
	v_mad_u32_u24 v24, v0, 5, 1
	v_mad_u32_u24 v22, v0, 5, 2
	;; [unrolled: 1-line block ×4, first 2 shown]
	s_mov_b64 s[14:15], 0
	s_and_b64 vcc, exec, s[4:5]
	v_cmp_gt_i64_e64 s[4:5], s[26:27], 0
	s_waitcnt lgkmcnt(0)
	s_barrier
	s_cbranch_vccz .LBB467_27
; %bb.19:
	global_load_dwordx2 v[14:15], v[18:19], off offset:-8
	v_cndmask_b32_e64 v12, 0, 1, s[4:5]
	v_lshlrev_b32_e32 v27, 3, v0
	s_mov_b64 s[10:11], 0
	s_and_b64 vcc, exec, s[30:31]
	v_cmp_ne_u32_e64 s[4:5], 1, v12
	ds_write_b64 v27, v[10:11]
	s_cbranch_vccz .LBB467_28
; %bb.20:
	v_mul_lo_u32 v16, v5, s26
	v_mul_lo_u32 v17, v4, s27
	v_mad_u64_u32 v[12:13], s[6:7], v4, s26, 0
	v_add3_u32 v13, v13, v17, v16
	s_and_b64 vcc, exec, s[4:5]
	v_lshlrev_b64 v[12:13], 2, v[12:13]
	s_cbranch_vccnz .LBB467_31
; %bb.21:
	v_mul_lo_u32 v18, v11, s26
	v_mul_lo_u32 v19, v10, s27
	v_mad_u64_u32 v[16:17], s[6:7], v10, s26, 0
	v_add3_u32 v17, v17, v19, v18
	v_mov_b32_e32 v19, s17
	v_add_co_u32_e32 v18, vcc, s16, v12
	v_addc_co_u32_e64 v19, s[6:7], v19, v13, vcc
	v_lshlrev_b64 v[16:17], 2, v[16:17]
	v_mov_b32_e32 v21, s17
	v_add_co_u32_e64 v20, s[6:7], s16, v16
	v_addc_co_u32_e64 v21, s[8:9], v21, v17, s[6:7]
	global_load_dword v16, v[18:19], off
	global_load_dword v28, v[20:21], off
	s_mov_b64 s[10:11], -1
	s_waitcnt vmcnt(0)
	v_cmp_eq_u32_e64 s[8:9], v16, v28
	s_and_saveexec_b64 s[14:15], s[8:9]
	s_cbranch_execz .LBB467_30
; %bb.22:
	v_mov_b32_e32 v16, s17
	v_addc_co_u32_e64 v17, s[6:7], v17, v16, s[6:7]
	v_add_co_u32_e64 v16, s[6:7], 4, v20
	v_mov_b32_e32 v19, s17
	v_addc_co_u32_e64 v17, s[6:7], 0, v17, s[6:7]
	v_addc_co_u32_e32 v19, vcc, v13, v19, vcc
	v_add_co_u32_e32 v18, vcc, 4, v18
	s_add_u32 s6, s26, -1
	v_addc_co_u32_e32 v19, vcc, 0, v19, vcc
	s_addc_u32 s7, s27, -1
	s_mov_b64 s[8:9], 0
	s_mov_b64 s[36:37], 0
                                        ; implicit-def: $sgpr10_sgpr11
	s_branch .LBB467_25
.LBB467_23:                             ;   in Loop: Header=BB467_25 Depth=1
	global_load_dword v20, v[18:19], off
	global_load_dword v21, v[16:17], off
	v_add_co_u32_e32 v16, vcc, 4, v16
	v_addc_co_u32_e32 v17, vcc, 0, v17, vcc
	v_add_co_u32_e32 v18, vcc, 4, v18
	v_addc_co_u32_e32 v19, vcc, 0, v19, vcc
	s_add_u32 s36, s36, 1
	s_addc_u32 s37, s37, 0
	s_andn2_b64 s[10:11], s[10:11], exec
	s_waitcnt vmcnt(0)
	v_cmp_ne_u32_e32 vcc, v20, v21
	s_and_b64 s[38:39], vcc, exec
	s_or_b64 s[10:11], s[10:11], s[38:39]
.LBB467_24:                             ;   in Loop: Header=BB467_25 Depth=1
	s_and_b64 s[38:39], exec, s[10:11]
	s_or_b64 s[8:9], s[38:39], s[8:9]
	v_pk_mov_b32 v[20:21], s[36:37], s[36:37] op_sel:[0,1]
	s_andn2_b64 exec, exec, s[8:9]
	s_cbranch_execz .LBB467_29
.LBB467_25:                             ; =>This Inner Loop Header: Depth=1
	s_or_b64 s[10:11], s[10:11], exec
	s_cmp_eq_u64 s[6:7], s[36:37]
	s_cbranch_scc0 .LBB467_23
; %bb.26:                               ;   in Loop: Header=BB467_25 Depth=1
                                        ; implicit-def: $vgpr16_vgpr17
                                        ; implicit-def: $vgpr18_vgpr19
	s_mov_b64 s[36:37], s[26:27]
	s_branch .LBB467_24
.LBB467_27:
                                        ; implicit-def: $sgpr36_sgpr37
                                        ; implicit-def: $vgpr13
                                        ; implicit-def: $vgpr16
	s_branch .LBB467_129
.LBB467_28:
                                        ; implicit-def: $sgpr36_sgpr37
                                        ; implicit-def: $vgpr13
                                        ; implicit-def: $vgpr16
	s_cbranch_execnz .LBB467_70
	s_branch .LBB467_128
.LBB467_29:
	s_or_b64 exec, exec, s[8:9]
	v_cmp_gt_i64_e32 vcc, s[26:27], v[20:21]
	s_orn2_b64 s[10:11], vcc, exec
.LBB467_30:
	s_or_b64 exec, exec, s[14:15]
.LBB467_31:
	v_mul_lo_u32 v18, v3, s26
	v_mul_lo_u32 v19, v2, s27
	v_mad_u64_u32 v[16:17], s[6:7], v2, s26, 0
	v_add3_u32 v17, v17, v19, v18
	s_mov_b64 s[14:15], 0
	s_and_b64 vcc, exec, s[4:5]
	v_lshlrev_b64 v[18:19], 2, v[16:17]
	s_mov_b64 s[36:37], 0
	s_cbranch_vccnz .LBB467_40
; %bb.32:
	v_mov_b32_e32 v17, s17
	v_add_co_u32_e32 v16, vcc, s16, v18
	v_addc_co_u32_e64 v17, s[6:7], v17, v19, vcc
	v_mov_b32_e32 v21, s17
	v_add_co_u32_e64 v20, s[6:7], s16, v12
	v_addc_co_u32_e64 v21, s[8:9], v21, v13, s[6:7]
	global_load_dword v12, v[16:17], off
	global_load_dword v28, v[20:21], off
	s_mov_b64 s[36:37], -1
	s_waitcnt vmcnt(0)
	v_cmp_eq_u32_e64 s[8:9], v12, v28
	s_and_saveexec_b64 s[38:39], s[8:9]
	s_cbranch_execz .LBB467_39
; %bb.33:
	v_mov_b32_e32 v12, s17
	v_addc_co_u32_e64 v13, s[6:7], v13, v12, s[6:7]
	v_add_co_u32_e64 v12, s[6:7], 4, v20
	v_mov_b32_e32 v17, s17
	v_addc_co_u32_e64 v13, s[6:7], 0, v13, s[6:7]
	v_addc_co_u32_e32 v17, vcc, v19, v17, vcc
	v_add_co_u32_e32 v16, vcc, 4, v16
	s_add_u32 s6, s26, -1
	v_addc_co_u32_e32 v17, vcc, 0, v17, vcc
	s_addc_u32 s7, s27, -1
	s_mov_b64 s[8:9], 0
	s_mov_b64 s[40:41], 0
                                        ; implicit-def: $sgpr36_sgpr37
	s_branch .LBB467_36
.LBB467_34:                             ;   in Loop: Header=BB467_36 Depth=1
	global_load_dword v20, v[16:17], off
	global_load_dword v21, v[12:13], off
	v_add_co_u32_e32 v12, vcc, 4, v12
	v_addc_co_u32_e32 v13, vcc, 0, v13, vcc
	v_add_co_u32_e32 v16, vcc, 4, v16
	v_addc_co_u32_e32 v17, vcc, 0, v17, vcc
	s_add_u32 s40, s40, 1
	s_addc_u32 s41, s41, 0
	s_andn2_b64 s[36:37], s[36:37], exec
	s_waitcnt vmcnt(0)
	v_cmp_ne_u32_e32 vcc, v20, v21
	s_and_b64 s[42:43], vcc, exec
	s_or_b64 s[36:37], s[36:37], s[42:43]
.LBB467_35:                             ;   in Loop: Header=BB467_36 Depth=1
	s_and_b64 s[42:43], exec, s[36:37]
	s_or_b64 s[8:9], s[42:43], s[8:9]
	v_pk_mov_b32 v[20:21], s[40:41], s[40:41] op_sel:[0,1]
	s_andn2_b64 exec, exec, s[8:9]
	s_cbranch_execz .LBB467_38
.LBB467_36:                             ; =>This Inner Loop Header: Depth=1
	s_or_b64 s[36:37], s[36:37], exec
	s_cmp_eq_u64 s[6:7], s[40:41]
	s_cbranch_scc0 .LBB467_34
; %bb.37:                               ;   in Loop: Header=BB467_36 Depth=1
                                        ; implicit-def: $vgpr12_vgpr13
                                        ; implicit-def: $vgpr16_vgpr17
	s_mov_b64 s[40:41], s[26:27]
	s_branch .LBB467_35
.LBB467_38:
	s_or_b64 exec, exec, s[8:9]
	v_cmp_gt_i64_e32 vcc, s[26:27], v[20:21]
	s_orn2_b64 s[36:37], vcc, exec
.LBB467_39:
	s_or_b64 exec, exec, s[38:39]
.LBB467_40:
	v_mul_lo_u32 v16, v9, s26
	v_mul_lo_u32 v17, v8, s27
	v_mad_u64_u32 v[12:13], s[6:7], v8, s26, 0
	v_add3_u32 v13, v13, v17, v16
	s_and_b64 vcc, exec, s[4:5]
	v_lshlrev_b64 v[16:17], 2, v[12:13]
	s_cbranch_vccnz .LBB467_49
; %bb.41:
	v_mov_b32_e32 v12, s17
	v_add_co_u32_e32 v20, vcc, s16, v16
	v_addc_co_u32_e64 v21, s[6:7], v12, v17, vcc
	v_mov_b32_e32 v13, s17
	v_add_co_u32_e64 v12, s[6:7], s16, v18
	v_addc_co_u32_e64 v13, s[8:9], v13, v19, s[6:7]
	global_load_dword v18, v[20:21], off
	global_load_dword v28, v[12:13], off
	s_mov_b64 s[14:15], -1
	s_waitcnt vmcnt(0)
	v_cmp_eq_u32_e64 s[8:9], v18, v28
	s_and_saveexec_b64 s[38:39], s[8:9]
	s_cbranch_execz .LBB467_48
; %bb.42:
	v_mov_b32_e32 v13, s17
	v_addc_co_u32_e64 v13, s[6:7], v19, v13, s[6:7]
	v_add_co_u32_e64 v12, s[6:7], 4, v12
	v_mov_b32_e32 v18, s17
	v_addc_co_u32_e64 v13, s[6:7], 0, v13, s[6:7]
	v_addc_co_u32_e32 v19, vcc, v17, v18, vcc
	v_add_co_u32_e32 v18, vcc, 4, v20
	s_add_u32 s6, s26, -1
	v_addc_co_u32_e32 v19, vcc, 0, v19, vcc
	s_addc_u32 s7, s27, -1
	s_mov_b64 s[8:9], 0
	s_mov_b64 s[40:41], 0
                                        ; implicit-def: $sgpr14_sgpr15
	s_branch .LBB467_45
.LBB467_43:                             ;   in Loop: Header=BB467_45 Depth=1
	global_load_dword v20, v[18:19], off
	global_load_dword v21, v[12:13], off
	v_add_co_u32_e32 v12, vcc, 4, v12
	v_addc_co_u32_e32 v13, vcc, 0, v13, vcc
	v_add_co_u32_e32 v18, vcc, 4, v18
	v_addc_co_u32_e32 v19, vcc, 0, v19, vcc
	s_add_u32 s40, s40, 1
	s_addc_u32 s41, s41, 0
	s_andn2_b64 s[14:15], s[14:15], exec
	s_waitcnt vmcnt(0)
	v_cmp_ne_u32_e32 vcc, v20, v21
	s_and_b64 s[42:43], vcc, exec
	s_or_b64 s[14:15], s[14:15], s[42:43]
.LBB467_44:                             ;   in Loop: Header=BB467_45 Depth=1
	s_and_b64 s[42:43], exec, s[14:15]
	s_or_b64 s[8:9], s[42:43], s[8:9]
	v_pk_mov_b32 v[20:21], s[40:41], s[40:41] op_sel:[0,1]
	s_andn2_b64 exec, exec, s[8:9]
	s_cbranch_execz .LBB467_47
.LBB467_45:                             ; =>This Inner Loop Header: Depth=1
	s_or_b64 s[14:15], s[14:15], exec
	s_cmp_eq_u64 s[6:7], s[40:41]
	s_cbranch_scc0 .LBB467_43
; %bb.46:                               ;   in Loop: Header=BB467_45 Depth=1
                                        ; implicit-def: $vgpr12_vgpr13
                                        ; implicit-def: $vgpr18_vgpr19
	s_mov_b64 s[40:41], s[26:27]
	s_branch .LBB467_44
.LBB467_47:
	s_or_b64 exec, exec, s[8:9]
	v_cmp_gt_i64_e32 vcc, s[26:27], v[20:21]
	s_orn2_b64 s[14:15], vcc, exec
.LBB467_48:
	s_or_b64 exec, exec, s[38:39]
.LBB467_49:
	v_mul_lo_u32 v18, v7, s26
	v_mul_lo_u32 v19, v6, s27
	v_mad_u64_u32 v[12:13], s[6:7], v6, s26, 0
	v_add3_u32 v13, v13, v19, v18
	s_mov_b64 s[40:41], 0
	s_and_b64 vcc, exec, s[4:5]
	v_lshlrev_b64 v[12:13], 2, v[12:13]
	s_cbranch_vccnz .LBB467_58
; %bb.50:
	v_mov_b32_e32 v19, s17
	v_add_co_u32_e32 v18, vcc, s16, v12
	v_addc_co_u32_e64 v19, s[6:7], v19, v13, vcc
	v_mov_b32_e32 v21, s17
	v_add_co_u32_e64 v20, s[6:7], s16, v16
	v_addc_co_u32_e64 v21, s[8:9], v21, v17, s[6:7]
	global_load_dword v16, v[18:19], off
	global_load_dword v28, v[20:21], off
	s_mov_b64 s[40:41], -1
	s_waitcnt vmcnt(0)
	v_cmp_eq_u32_e64 s[8:9], v16, v28
	s_and_saveexec_b64 s[38:39], s[8:9]
	s_cbranch_execz .LBB467_57
; %bb.51:
	v_mov_b32_e32 v16, s17
	v_addc_co_u32_e64 v17, s[6:7], v17, v16, s[6:7]
	v_add_co_u32_e64 v16, s[6:7], 4, v20
	v_mov_b32_e32 v19, s17
	v_addc_co_u32_e64 v17, s[6:7], 0, v17, s[6:7]
	v_addc_co_u32_e32 v19, vcc, v13, v19, vcc
	v_add_co_u32_e32 v18, vcc, 4, v18
	s_add_u32 s6, s26, -1
	v_addc_co_u32_e32 v19, vcc, 0, v19, vcc
	s_addc_u32 s7, s27, -1
	s_mov_b64 s[8:9], 0
	s_mov_b64 s[42:43], 0
                                        ; implicit-def: $sgpr40_sgpr41
	s_branch .LBB467_54
.LBB467_52:                             ;   in Loop: Header=BB467_54 Depth=1
	global_load_dword v20, v[18:19], off
	global_load_dword v21, v[16:17], off
	v_add_co_u32_e32 v16, vcc, 4, v16
	v_addc_co_u32_e32 v17, vcc, 0, v17, vcc
	v_add_co_u32_e32 v18, vcc, 4, v18
	v_addc_co_u32_e32 v19, vcc, 0, v19, vcc
	s_add_u32 s42, s42, 1
	s_addc_u32 s43, s43, 0
	s_andn2_b64 s[40:41], s[40:41], exec
	s_waitcnt vmcnt(0)
	v_cmp_ne_u32_e32 vcc, v20, v21
	s_and_b64 s[44:45], vcc, exec
	s_or_b64 s[40:41], s[40:41], s[44:45]
.LBB467_53:                             ;   in Loop: Header=BB467_54 Depth=1
	s_and_b64 s[44:45], exec, s[40:41]
	s_or_b64 s[8:9], s[44:45], s[8:9]
	v_pk_mov_b32 v[20:21], s[42:43], s[42:43] op_sel:[0,1]
	s_andn2_b64 exec, exec, s[8:9]
	s_cbranch_execz .LBB467_56
.LBB467_54:                             ; =>This Inner Loop Header: Depth=1
	s_or_b64 s[40:41], s[40:41], exec
	s_cmp_eq_u64 s[6:7], s[42:43]
	s_cbranch_scc0 .LBB467_52
; %bb.55:                               ;   in Loop: Header=BB467_54 Depth=1
                                        ; implicit-def: $vgpr16_vgpr17
                                        ; implicit-def: $vgpr18_vgpr19
	s_mov_b64 s[42:43], s[26:27]
	s_branch .LBB467_53
.LBB467_56:
	s_or_b64 exec, exec, s[8:9]
	v_cmp_gt_i64_e32 vcc, s[26:27], v[20:21]
	s_orn2_b64 s[40:41], vcc, exec
.LBB467_57:
	s_or_b64 exec, exec, s[38:39]
.LBB467_58:
	s_waitcnt vmcnt(0)
	v_pk_mov_b32 v[16:17], v[14:15], v[14:15] op_sel:[0,1]
	s_waitcnt lgkmcnt(0)
	s_barrier
	s_and_saveexec_b64 s[6:7], s[2:3]
	s_cbranch_execz .LBB467_60
; %bb.59:
	v_add_u32_e32 v16, -8, v27
	ds_read_b64 v[16:17], v16
.LBB467_60:
	s_or_b64 exec, exec, s[6:7]
	v_cndmask_b32_e64 v19, 0, 1, s[36:37]
	v_cndmask_b32_e64 v18, 0, 1, s[14:15]
	;; [unrolled: 1-line block ×3, first 2 shown]
	v_lshlrev_b16_e32 v19, 8, v19
	v_lshlrev_b16_e32 v28, 8, v20
	v_or_b32_sdwa v29, v18, v19 dst_sel:WORD_1 dst_unused:UNUSED_PAD src0_sel:DWORD src1_sel:DWORD
	s_mov_b64 s[14:15], 0
	s_and_b64 vcc, exec, s[4:5]
	s_mov_b64 s[36:37], 0
	s_cbranch_vccnz .LBB467_69
; %bb.61:
	s_waitcnt lgkmcnt(0)
	v_mul_lo_u32 v18, v17, s26
	v_mul_lo_u32 v19, v16, s27
	v_mad_u64_u32 v[16:17], s[6:7], v16, s26, 0
	v_add3_u32 v17, v17, v19, v18
	v_lshlrev_b64 v[16:17], 2, v[16:17]
	v_mov_b32_e32 v19, s17
	v_add_co_u32_e32 v18, vcc, s16, v16
	v_addc_co_u32_e64 v19, s[6:7], v19, v17, vcc
	v_mov_b32_e32 v16, s17
	v_add_co_u32_e64 v20, s[6:7], s16, v12
	v_addc_co_u32_e64 v21, s[8:9], v16, v13, s[6:7]
	global_load_dword v12, v[18:19], off
	global_load_dword v16, v[20:21], off
	s_mov_b64 s[36:37], -1
	s_waitcnt vmcnt(0)
	v_cmp_eq_u32_e64 s[8:9], v12, v16
	s_and_saveexec_b64 s[38:39], s[8:9]
	s_cbranch_execz .LBB467_68
; %bb.62:
	v_mov_b32_e32 v12, s17
	v_addc_co_u32_e64 v13, s[6:7], v13, v12, s[6:7]
	v_add_co_u32_e64 v12, s[6:7], 4, v20
	v_mov_b32_e32 v16, s17
	v_addc_co_u32_e64 v13, s[6:7], 0, v13, s[6:7]
	v_addc_co_u32_e32 v17, vcc, v17, v16, vcc
	v_add_co_u32_e32 v16, vcc, 4, v18
	s_add_u32 s6, s26, -1
	v_addc_co_u32_e32 v17, vcc, 0, v17, vcc
	s_addc_u32 s7, s27, -1
	s_mov_b64 s[8:9], 0
	s_mov_b64 s[40:41], 0
                                        ; implicit-def: $sgpr36_sgpr37
	s_branch .LBB467_65
.LBB467_63:                             ;   in Loop: Header=BB467_65 Depth=1
	global_load_dword v18, v[16:17], off
	global_load_dword v19, v[12:13], off
	v_add_co_u32_e32 v12, vcc, 4, v12
	v_addc_co_u32_e32 v13, vcc, 0, v13, vcc
	v_add_co_u32_e32 v16, vcc, 4, v16
	v_addc_co_u32_e32 v17, vcc, 0, v17, vcc
	s_add_u32 s40, s40, 1
	s_addc_u32 s41, s41, 0
	s_andn2_b64 s[36:37], s[36:37], exec
	s_waitcnt vmcnt(0)
	v_cmp_ne_u32_e32 vcc, v18, v19
	s_and_b64 s[42:43], vcc, exec
	s_or_b64 s[36:37], s[36:37], s[42:43]
.LBB467_64:                             ;   in Loop: Header=BB467_65 Depth=1
	s_and_b64 s[42:43], exec, s[36:37]
	s_or_b64 s[8:9], s[42:43], s[8:9]
	v_pk_mov_b32 v[18:19], s[40:41], s[40:41] op_sel:[0,1]
	s_andn2_b64 exec, exec, s[8:9]
	s_cbranch_execz .LBB467_67
.LBB467_65:                             ; =>This Inner Loop Header: Depth=1
	s_or_b64 s[36:37], s[36:37], exec
	s_cmp_eq_u64 s[6:7], s[40:41]
	s_cbranch_scc0 .LBB467_63
; %bb.66:                               ;   in Loop: Header=BB467_65 Depth=1
                                        ; implicit-def: $vgpr12_vgpr13
                                        ; implicit-def: $vgpr16_vgpr17
	s_mov_b64 s[40:41], s[26:27]
	s_branch .LBB467_64
.LBB467_67:
	s_or_b64 exec, exec, s[8:9]
	v_cmp_gt_i64_e32 vcc, s[26:27], v[18:19]
	s_orn2_b64 s[36:37], vcc, exec
.LBB467_68:
	s_or_b64 exec, exec, s[38:39]
.LBB467_69:
	v_cndmask_b32_e64 v13, 0, 1, s[10:11]
	s_waitcnt lgkmcnt(0)
	v_or_b32_e32 v16, v28, v29
	s_and_b64 vcc, exec, s[14:15]
	s_cbranch_vccz .LBB467_128
.LBB467_70:
	v_cmp_gt_u32_e32 vcc, s48, v23
	s_mov_b64 s[14:15], 0
	s_mov_b64 s[10:11], 0
	s_and_saveexec_b64 s[36:37], vcc
	s_cbranch_execz .LBB467_81
; %bb.71:
	s_and_b64 vcc, exec, s[4:5]
	s_mov_b64 s[38:39], 0
	s_cbranch_vccnz .LBB467_80
; %bb.72:
	v_mul_lo_u32 v16, v5, s26
	v_mul_lo_u32 v17, v4, s27
	v_mad_u64_u32 v[12:13], s[6:7], v4, s26, 0
	v_add3_u32 v13, v13, v17, v16
	v_mul_lo_u32 v16, v11, s26
	v_mul_lo_u32 v17, v10, s27
	v_mad_u64_u32 v[20:21], s[6:7], v10, s26, 0
	v_add3_u32 v21, v21, v17, v16
	v_lshlrev_b64 v[16:17], 2, v[12:13]
	v_mov_b32_e32 v12, s17
	v_add_co_u32_e32 v18, vcc, s16, v16
	v_addc_co_u32_e64 v19, s[6:7], v12, v17, vcc
	v_lshlrev_b64 v[12:13], 2, v[20:21]
	v_mov_b32_e32 v16, s17
	v_add_co_u32_e64 v20, s[6:7], s16, v12
	v_addc_co_u32_e64 v21, s[8:9], v16, v13, s[6:7]
	global_load_dword v12, v[18:19], off
	global_load_dword v16, v[20:21], off
	s_mov_b64 s[38:39], -1
	s_waitcnt vmcnt(0)
	v_cmp_eq_u32_e64 s[8:9], v12, v16
	s_and_saveexec_b64 s[10:11], s[8:9]
	s_cbranch_execz .LBB467_79
; %bb.73:
	v_mov_b32_e32 v12, s17
	v_addc_co_u32_e64 v13, s[6:7], v13, v12, s[6:7]
	v_add_co_u32_e64 v12, s[6:7], 4, v20
	v_mov_b32_e32 v16, s17
	v_addc_co_u32_e64 v13, s[6:7], 0, v13, s[6:7]
	v_addc_co_u32_e32 v17, vcc, v17, v16, vcc
	v_add_co_u32_e32 v16, vcc, 4, v18
	s_add_u32 s6, s26, -1
	v_addc_co_u32_e32 v17, vcc, 0, v17, vcc
	s_addc_u32 s7, s27, -1
	s_mov_b64 s[8:9], 0
	s_mov_b64 s[40:41], 0
                                        ; implicit-def: $sgpr38_sgpr39
	s_branch .LBB467_76
.LBB467_74:                             ;   in Loop: Header=BB467_76 Depth=1
	global_load_dword v18, v[16:17], off
	global_load_dword v19, v[12:13], off
	v_add_co_u32_e32 v12, vcc, 4, v12
	v_addc_co_u32_e32 v13, vcc, 0, v13, vcc
	v_add_co_u32_e32 v16, vcc, 4, v16
	v_addc_co_u32_e32 v17, vcc, 0, v17, vcc
	s_add_u32 s40, s40, 1
	s_addc_u32 s41, s41, 0
	s_andn2_b64 s[38:39], s[38:39], exec
	s_waitcnt vmcnt(0)
	v_cmp_ne_u32_e32 vcc, v18, v19
	s_and_b64 s[42:43], vcc, exec
	s_or_b64 s[38:39], s[38:39], s[42:43]
.LBB467_75:                             ;   in Loop: Header=BB467_76 Depth=1
	s_and_b64 s[42:43], exec, s[38:39]
	s_or_b64 s[8:9], s[42:43], s[8:9]
	v_pk_mov_b32 v[18:19], s[40:41], s[40:41] op_sel:[0,1]
	s_andn2_b64 exec, exec, s[8:9]
	s_cbranch_execz .LBB467_78
.LBB467_76:                             ; =>This Inner Loop Header: Depth=1
	s_or_b64 s[38:39], s[38:39], exec
	s_cmp_eq_u64 s[6:7], s[40:41]
	s_cbranch_scc0 .LBB467_74
; %bb.77:                               ;   in Loop: Header=BB467_76 Depth=1
                                        ; implicit-def: $vgpr12_vgpr13
                                        ; implicit-def: $vgpr16_vgpr17
	s_mov_b64 s[40:41], s[26:27]
	s_branch .LBB467_75
.LBB467_78:
	s_or_b64 exec, exec, s[8:9]
	v_cmp_gt_i64_e32 vcc, s[26:27], v[18:19]
	s_orn2_b64 s[38:39], vcc, exec
.LBB467_79:
	s_or_b64 exec, exec, s[10:11]
.LBB467_80:
	s_and_b64 s[10:11], s[38:39], exec
.LBB467_81:
	s_or_b64 exec, exec, s[36:37]
	v_cmp_gt_u32_e32 vcc, s48, v25
	s_and_saveexec_b64 s[36:37], vcc
	s_cbranch_execz .LBB467_92
; %bb.82:
	s_and_b64 vcc, exec, s[4:5]
	s_mov_b64 s[38:39], 0
	s_cbranch_vccnz .LBB467_91
; %bb.83:
	v_mul_lo_u32 v16, v3, s26
	v_mul_lo_u32 v17, v2, s27
	v_mad_u64_u32 v[12:13], s[6:7], v2, s26, 0
	v_add3_u32 v13, v13, v17, v16
	v_mul_lo_u32 v16, v5, s26
	v_mul_lo_u32 v17, v4, s27
	v_mad_u64_u32 v[20:21], s[6:7], v4, s26, 0
	v_add3_u32 v21, v21, v17, v16
	v_lshlrev_b64 v[16:17], 2, v[12:13]
	v_mov_b32_e32 v12, s17
	v_add_co_u32_e32 v18, vcc, s16, v16
	v_addc_co_u32_e64 v19, s[6:7], v12, v17, vcc
	v_lshlrev_b64 v[12:13], 2, v[20:21]
	v_mov_b32_e32 v16, s17
	v_add_co_u32_e64 v20, s[6:7], s16, v12
	v_addc_co_u32_e64 v21, s[8:9], v16, v13, s[6:7]
	global_load_dword v12, v[18:19], off
	global_load_dword v16, v[20:21], off
	s_mov_b64 s[38:39], -1
	s_waitcnt vmcnt(0)
	v_cmp_eq_u32_e64 s[8:9], v12, v16
	s_and_saveexec_b64 s[14:15], s[8:9]
	s_cbranch_execz .LBB467_90
; %bb.84:
	v_mov_b32_e32 v12, s17
	v_addc_co_u32_e64 v13, s[6:7], v13, v12, s[6:7]
	v_add_co_u32_e64 v12, s[6:7], 4, v20
	v_mov_b32_e32 v16, s17
	v_addc_co_u32_e64 v13, s[6:7], 0, v13, s[6:7]
	v_addc_co_u32_e32 v17, vcc, v17, v16, vcc
	v_add_co_u32_e32 v16, vcc, 4, v18
	s_add_u32 s6, s26, -1
	v_addc_co_u32_e32 v17, vcc, 0, v17, vcc
	s_addc_u32 s7, s27, -1
	s_mov_b64 s[8:9], 0
	s_mov_b64 s[40:41], 0
                                        ; implicit-def: $sgpr38_sgpr39
	s_branch .LBB467_87
.LBB467_85:                             ;   in Loop: Header=BB467_87 Depth=1
	global_load_dword v18, v[16:17], off
	global_load_dword v19, v[12:13], off
	v_add_co_u32_e32 v12, vcc, 4, v12
	v_addc_co_u32_e32 v13, vcc, 0, v13, vcc
	v_add_co_u32_e32 v16, vcc, 4, v16
	v_addc_co_u32_e32 v17, vcc, 0, v17, vcc
	s_add_u32 s40, s40, 1
	s_addc_u32 s41, s41, 0
	s_andn2_b64 s[38:39], s[38:39], exec
	s_waitcnt vmcnt(0)
	v_cmp_ne_u32_e32 vcc, v18, v19
	s_and_b64 s[42:43], vcc, exec
	s_or_b64 s[38:39], s[38:39], s[42:43]
.LBB467_86:                             ;   in Loop: Header=BB467_87 Depth=1
	s_and_b64 s[42:43], exec, s[38:39]
	s_or_b64 s[8:9], s[42:43], s[8:9]
	v_pk_mov_b32 v[18:19], s[40:41], s[40:41] op_sel:[0,1]
	s_andn2_b64 exec, exec, s[8:9]
	s_cbranch_execz .LBB467_89
.LBB467_87:                             ; =>This Inner Loop Header: Depth=1
	s_or_b64 s[38:39], s[38:39], exec
	s_cmp_eq_u64 s[6:7], s[40:41]
	s_cbranch_scc0 .LBB467_85
; %bb.88:                               ;   in Loop: Header=BB467_87 Depth=1
                                        ; implicit-def: $vgpr12_vgpr13
                                        ; implicit-def: $vgpr16_vgpr17
	s_mov_b64 s[40:41], s[26:27]
	s_branch .LBB467_86
.LBB467_89:
	s_or_b64 exec, exec, s[8:9]
	v_cmp_gt_i64_e32 vcc, s[26:27], v[18:19]
	s_orn2_b64 s[38:39], vcc, exec
.LBB467_90:
	s_or_b64 exec, exec, s[14:15]
.LBB467_91:
	s_and_b64 s[14:15], s[38:39], exec
.LBB467_92:
	s_or_b64 exec, exec, s[36:37]
	v_cmp_gt_u32_e32 vcc, s48, v22
	s_mov_b64 s[36:37], 0
	s_mov_b64 s[38:39], 0
	s_and_saveexec_b64 s[40:41], vcc
	s_cbranch_execz .LBB467_103
; %bb.93:
	s_and_b64 vcc, exec, s[4:5]
	s_mov_b64 s[42:43], 0
	s_cbranch_vccnz .LBB467_102
; %bb.94:
	v_mul_lo_u32 v16, v9, s26
	v_mul_lo_u32 v17, v8, s27
	v_mad_u64_u32 v[12:13], s[6:7], v8, s26, 0
	v_add3_u32 v13, v13, v17, v16
	v_mul_lo_u32 v16, v3, s26
	v_mul_lo_u32 v17, v2, s27
	v_mad_u64_u32 v[20:21], s[6:7], v2, s26, 0
	v_add3_u32 v21, v21, v17, v16
	v_lshlrev_b64 v[16:17], 2, v[12:13]
	v_mov_b32_e32 v12, s17
	v_add_co_u32_e32 v18, vcc, s16, v16
	v_addc_co_u32_e64 v19, s[6:7], v12, v17, vcc
	v_lshlrev_b64 v[12:13], 2, v[20:21]
	v_mov_b32_e32 v16, s17
	v_add_co_u32_e64 v20, s[6:7], s16, v12
	v_addc_co_u32_e64 v21, s[8:9], v16, v13, s[6:7]
	global_load_dword v12, v[18:19], off
	global_load_dword v16, v[20:21], off
	s_mov_b64 s[42:43], -1
	s_waitcnt vmcnt(0)
	v_cmp_eq_u32_e64 s[8:9], v12, v16
	s_and_saveexec_b64 s[38:39], s[8:9]
	s_cbranch_execz .LBB467_101
; %bb.95:
	v_mov_b32_e32 v12, s17
	v_addc_co_u32_e64 v13, s[6:7], v13, v12, s[6:7]
	v_add_co_u32_e64 v12, s[6:7], 4, v20
	v_mov_b32_e32 v16, s17
	v_addc_co_u32_e64 v13, s[6:7], 0, v13, s[6:7]
	v_addc_co_u32_e32 v17, vcc, v17, v16, vcc
	v_add_co_u32_e32 v16, vcc, 4, v18
	s_add_u32 s6, s26, -1
	v_addc_co_u32_e32 v17, vcc, 0, v17, vcc
	s_addc_u32 s7, s27, -1
	s_mov_b64 s[8:9], 0
	s_mov_b64 s[44:45], 0
                                        ; implicit-def: $sgpr42_sgpr43
	s_branch .LBB467_98
.LBB467_96:                             ;   in Loop: Header=BB467_98 Depth=1
	global_load_dword v18, v[16:17], off
	global_load_dword v19, v[12:13], off
	v_add_co_u32_e32 v12, vcc, 4, v12
	v_addc_co_u32_e32 v13, vcc, 0, v13, vcc
	v_add_co_u32_e32 v16, vcc, 4, v16
	v_addc_co_u32_e32 v17, vcc, 0, v17, vcc
	s_add_u32 s44, s44, 1
	s_addc_u32 s45, s45, 0
	s_andn2_b64 s[42:43], s[42:43], exec
	s_waitcnt vmcnt(0)
	v_cmp_ne_u32_e32 vcc, v18, v19
	s_and_b64 s[46:47], vcc, exec
	s_or_b64 s[42:43], s[42:43], s[46:47]
.LBB467_97:                             ;   in Loop: Header=BB467_98 Depth=1
	s_and_b64 s[46:47], exec, s[42:43]
	s_or_b64 s[8:9], s[46:47], s[8:9]
	v_pk_mov_b32 v[18:19], s[44:45], s[44:45] op_sel:[0,1]
	s_andn2_b64 exec, exec, s[8:9]
	s_cbranch_execz .LBB467_100
.LBB467_98:                             ; =>This Inner Loop Header: Depth=1
	s_or_b64 s[42:43], s[42:43], exec
	s_cmp_eq_u64 s[6:7], s[44:45]
	s_cbranch_scc0 .LBB467_96
; %bb.99:                               ;   in Loop: Header=BB467_98 Depth=1
                                        ; implicit-def: $vgpr12_vgpr13
                                        ; implicit-def: $vgpr16_vgpr17
	s_mov_b64 s[44:45], s[26:27]
	s_branch .LBB467_97
.LBB467_100:
	s_or_b64 exec, exec, s[8:9]
	v_cmp_gt_i64_e32 vcc, s[26:27], v[18:19]
	s_orn2_b64 s[42:43], vcc, exec
.LBB467_101:
	s_or_b64 exec, exec, s[38:39]
.LBB467_102:
	s_and_b64 s[38:39], s[42:43], exec
.LBB467_103:
	s_or_b64 exec, exec, s[40:41]
	v_cmp_gt_u32_e32 vcc, s48, v24
	s_and_saveexec_b64 s[40:41], vcc
	s_cbranch_execz .LBB467_114
; %bb.104:
	s_and_b64 vcc, exec, s[4:5]
	s_mov_b64 s[42:43], 0
	s_cbranch_vccnz .LBB467_113
; %bb.105:
	v_mul_lo_u32 v16, v7, s26
	v_mul_lo_u32 v17, v6, s27
	v_mad_u64_u32 v[12:13], s[6:7], v6, s26, 0
	v_add3_u32 v13, v13, v17, v16
	v_mul_lo_u32 v16, v9, s26
	v_mul_lo_u32 v17, v8, s27
	v_mad_u64_u32 v[20:21], s[6:7], v8, s26, 0
	v_add3_u32 v21, v21, v17, v16
	v_lshlrev_b64 v[16:17], 2, v[12:13]
	v_mov_b32_e32 v12, s17
	v_add_co_u32_e32 v18, vcc, s16, v16
	v_addc_co_u32_e64 v19, s[6:7], v12, v17, vcc
	v_lshlrev_b64 v[12:13], 2, v[20:21]
	v_mov_b32_e32 v16, s17
	v_add_co_u32_e64 v20, s[6:7], s16, v12
	v_addc_co_u32_e64 v21, s[8:9], v16, v13, s[6:7]
	global_load_dword v12, v[18:19], off
	global_load_dword v16, v[20:21], off
	s_mov_b64 s[42:43], -1
	s_waitcnt vmcnt(0)
	v_cmp_eq_u32_e64 s[8:9], v12, v16
	s_and_saveexec_b64 s[36:37], s[8:9]
	s_cbranch_execz .LBB467_112
; %bb.106:
	v_mov_b32_e32 v12, s17
	v_addc_co_u32_e64 v13, s[6:7], v13, v12, s[6:7]
	v_add_co_u32_e64 v12, s[6:7], 4, v20
	v_mov_b32_e32 v16, s17
	v_addc_co_u32_e64 v13, s[6:7], 0, v13, s[6:7]
	v_addc_co_u32_e32 v17, vcc, v17, v16, vcc
	v_add_co_u32_e32 v16, vcc, 4, v18
	s_add_u32 s6, s26, -1
	v_addc_co_u32_e32 v17, vcc, 0, v17, vcc
	s_addc_u32 s7, s27, -1
	s_mov_b64 s[8:9], 0
	s_mov_b64 s[44:45], 0
                                        ; implicit-def: $sgpr42_sgpr43
	s_branch .LBB467_109
.LBB467_107:                            ;   in Loop: Header=BB467_109 Depth=1
	global_load_dword v18, v[16:17], off
	global_load_dword v19, v[12:13], off
	v_add_co_u32_e32 v12, vcc, 4, v12
	v_addc_co_u32_e32 v13, vcc, 0, v13, vcc
	v_add_co_u32_e32 v16, vcc, 4, v16
	v_addc_co_u32_e32 v17, vcc, 0, v17, vcc
	s_add_u32 s44, s44, 1
	s_addc_u32 s45, s45, 0
	s_andn2_b64 s[42:43], s[42:43], exec
	s_waitcnt vmcnt(0)
	v_cmp_ne_u32_e32 vcc, v18, v19
	s_and_b64 s[46:47], vcc, exec
	s_or_b64 s[42:43], s[42:43], s[46:47]
.LBB467_108:                            ;   in Loop: Header=BB467_109 Depth=1
	s_and_b64 s[46:47], exec, s[42:43]
	s_or_b64 s[8:9], s[46:47], s[8:9]
	v_pk_mov_b32 v[18:19], s[44:45], s[44:45] op_sel:[0,1]
	s_andn2_b64 exec, exec, s[8:9]
	s_cbranch_execz .LBB467_111
.LBB467_109:                            ; =>This Inner Loop Header: Depth=1
	s_or_b64 s[42:43], s[42:43], exec
	s_cmp_eq_u64 s[6:7], s[44:45]
	s_cbranch_scc0 .LBB467_107
; %bb.110:                              ;   in Loop: Header=BB467_109 Depth=1
                                        ; implicit-def: $vgpr12_vgpr13
                                        ; implicit-def: $vgpr16_vgpr17
	s_mov_b64 s[44:45], s[26:27]
	s_branch .LBB467_108
.LBB467_111:
	s_or_b64 exec, exec, s[8:9]
	v_cmp_gt_i64_e32 vcc, s[26:27], v[18:19]
	s_orn2_b64 s[42:43], vcc, exec
.LBB467_112:
	s_or_b64 exec, exec, s[36:37]
.LBB467_113:
	s_and_b64 s[36:37], s[42:43], exec
.LBB467_114:
	s_or_b64 exec, exec, s[40:41]
	s_waitcnt lgkmcnt(0)
	s_barrier
	s_and_saveexec_b64 s[6:7], s[2:3]
	s_cbranch_execz .LBB467_116
; %bb.115:
	v_add_u32_e32 v12, -8, v27
	s_waitcnt vmcnt(0)
	ds_read_b64 v[14:15], v12
.LBB467_116:
	s_or_b64 exec, exec, s[6:7]
	v_cndmask_b32_e64 v13, 0, 1, s[14:15]
	v_cndmask_b32_e64 v12, 0, 1, s[38:39]
	;; [unrolled: 1-line block ×3, first 2 shown]
	v_lshlrev_b16_e32 v13, 8, v13
	v_cmp_gt_u32_e32 vcc, s48, v1
	v_lshlrev_b16_e32 v20, 8, v16
	v_or_b32_sdwa v21, v12, v13 dst_sel:WORD_1 dst_unused:UNUSED_PAD src0_sel:DWORD src1_sel:DWORD
	s_mov_b64 s[36:37], 0
	s_and_saveexec_b64 s[8:9], vcc
	s_cbranch_execz .LBB467_127
; %bb.117:
	s_and_b64 vcc, exec, s[4:5]
	s_cbranch_vccnz .LBB467_126
; %bb.118:
	s_waitcnt vmcnt(0) lgkmcnt(0)
	v_mul_lo_u32 v15, v15, s26
	v_mul_lo_u32 v16, v14, s27
	v_mad_u64_u32 v[12:13], s[4:5], v14, s26, 0
	v_add3_u32 v13, v13, v16, v15
	v_mul_lo_u32 v14, v7, s26
	v_mul_lo_u32 v15, v6, s27
	v_mad_u64_u32 v[18:19], s[4:5], v6, s26, 0
	v_add3_u32 v19, v19, v15, v14
	v_lshlrev_b64 v[14:15], 2, v[12:13]
	v_mov_b32_e32 v12, s17
	v_add_co_u32_e32 v16, vcc, s16, v14
	v_addc_co_u32_e64 v17, s[4:5], v12, v15, vcc
	v_lshlrev_b64 v[12:13], 2, v[18:19]
	v_mov_b32_e32 v14, s17
	v_add_co_u32_e64 v18, s[4:5], s16, v12
	v_addc_co_u32_e64 v19, s[6:7], v14, v13, s[4:5]
	global_load_dword v12, v[16:17], off
	global_load_dword v14, v[18:19], off
	s_mov_b64 s[36:37], -1
	s_waitcnt vmcnt(0)
	v_cmp_eq_u32_e64 s[6:7], v12, v14
	s_and_saveexec_b64 s[14:15], s[6:7]
	s_cbranch_execz .LBB467_125
; %bb.119:
	v_mov_b32_e32 v12, s17
	v_addc_co_u32_e64 v13, s[4:5], v13, v12, s[4:5]
	v_add_co_u32_e64 v12, s[4:5], 4, v18
	v_mov_b32_e32 v14, s17
	v_addc_co_u32_e64 v13, s[4:5], 0, v13, s[4:5]
	v_addc_co_u32_e32 v15, vcc, v15, v14, vcc
	v_add_co_u32_e32 v14, vcc, 4, v16
	s_add_u32 s4, s26, -1
	v_addc_co_u32_e32 v15, vcc, 0, v15, vcc
	s_addc_u32 s5, s27, -1
	s_mov_b64 s[6:7], 0
	s_mov_b64 s[38:39], 0
                                        ; implicit-def: $sgpr36_sgpr37
	s_branch .LBB467_122
.LBB467_120:                            ;   in Loop: Header=BB467_122 Depth=1
	global_load_dword v16, v[14:15], off
	global_load_dword v17, v[12:13], off
	v_add_co_u32_e32 v12, vcc, 4, v12
	v_addc_co_u32_e32 v13, vcc, 0, v13, vcc
	v_add_co_u32_e32 v14, vcc, 4, v14
	v_addc_co_u32_e32 v15, vcc, 0, v15, vcc
	s_add_u32 s38, s38, 1
	s_addc_u32 s39, s39, 0
	s_andn2_b64 s[36:37], s[36:37], exec
	s_waitcnt vmcnt(0)
	v_cmp_ne_u32_e32 vcc, v16, v17
	s_and_b64 s[40:41], vcc, exec
	s_or_b64 s[36:37], s[36:37], s[40:41]
.LBB467_121:                            ;   in Loop: Header=BB467_122 Depth=1
	s_and_b64 s[40:41], exec, s[36:37]
	s_or_b64 s[6:7], s[40:41], s[6:7]
	v_pk_mov_b32 v[16:17], s[38:39], s[38:39] op_sel:[0,1]
	s_andn2_b64 exec, exec, s[6:7]
	s_cbranch_execz .LBB467_124
.LBB467_122:                            ; =>This Inner Loop Header: Depth=1
	s_or_b64 s[36:37], s[36:37], exec
	s_cmp_eq_u64 s[4:5], s[38:39]
	s_cbranch_scc0 .LBB467_120
; %bb.123:                              ;   in Loop: Header=BB467_122 Depth=1
                                        ; implicit-def: $vgpr12_vgpr13
                                        ; implicit-def: $vgpr14_vgpr15
	s_mov_b64 s[38:39], s[26:27]
	s_branch .LBB467_121
.LBB467_124:
	s_or_b64 exec, exec, s[6:7]
	v_cmp_gt_i64_e32 vcc, s[26:27], v[16:17]
	s_orn2_b64 s[36:37], vcc, exec
.LBB467_125:
	s_or_b64 exec, exec, s[14:15]
.LBB467_126:
	s_and_b64 s[36:37], s[36:37], exec
.LBB467_127:
	s_or_b64 exec, exec, s[8:9]
	v_cndmask_b32_e64 v13, 0, 1, s[10:11]
	v_or_b32_e32 v16, v20, v21
.LBB467_128:
	s_mov_b64 s[14:15], -1
	s_cbranch_execnz .LBB467_237
.LBB467_129:
	v_lshlrev_b32_e32 v12, 5, v0
	v_sub_u32_e32 v26, v26, v12
	s_mov_b64 s[36:37], 0
	v_cmp_gt_i64_e64 s[10:11], s[26:27], 0
	s_and_b64 vcc, exec, s[30:31]
	ds_write_b64 v26, v[10:11]
	s_cbranch_vccz .LBB467_137
; %bb.130:
	s_waitcnt vmcnt(0) lgkmcnt(1)
	v_mul_lo_u32 v14, v5, s26
	v_mul_lo_u32 v15, v4, s27
	v_mad_u64_u32 v[12:13], s[4:5], v4, s26, 0
	v_add3_u32 v13, v13, v15, v14
	v_cndmask_b32_e64 v14, 0, 1, s[10:11]
	v_cmp_ne_u32_e64 s[4:5], 1, v14
	s_andn2_b64 vcc, exec, s[10:11]
	v_lshlrev_b64 v[12:13], 2, v[12:13]
	s_cbranch_vccnz .LBB467_140
; %bb.131:
	v_mul_lo_u32 v16, v11, s26
	v_mul_lo_u32 v17, v10, s27
	v_mad_u64_u32 v[14:15], s[6:7], v10, s26, 0
	v_add3_u32 v15, v15, v17, v16
	v_mov_b32_e32 v17, s17
	v_add_co_u32_e32 v16, vcc, s16, v12
	v_addc_co_u32_e64 v17, s[6:7], v17, v13, vcc
	v_lshlrev_b64 v[14:15], 2, v[14:15]
	v_mov_b32_e32 v19, s17
	v_add_co_u32_e64 v18, s[6:7], s16, v14
	v_addc_co_u32_e64 v19, s[8:9], v19, v15, s[6:7]
	global_load_dword v14, v[16:17], off
	global_load_dword v20, v[18:19], off
	s_mov_b64 s[36:37], -1
	s_waitcnt vmcnt(0)
	v_cmp_eq_u32_e64 s[8:9], v14, v20
	s_and_saveexec_b64 s[38:39], s[8:9]
	s_cbranch_execz .LBB467_139
; %bb.132:
	v_mov_b32_e32 v14, s17
	v_addc_co_u32_e64 v15, s[6:7], v15, v14, s[6:7]
	v_add_co_u32_e64 v14, s[6:7], 4, v18
	v_mov_b32_e32 v17, s17
	v_addc_co_u32_e64 v15, s[6:7], 0, v15, s[6:7]
	v_addc_co_u32_e32 v17, vcc, v13, v17, vcc
	v_add_co_u32_e32 v16, vcc, 4, v16
	s_add_u32 s6, s26, -1
	v_addc_co_u32_e32 v17, vcc, 0, v17, vcc
	s_addc_u32 s7, s27, -1
	s_mov_b64 s[8:9], 0
	s_mov_b64 s[40:41], 0
                                        ; implicit-def: $sgpr36_sgpr37
	s_branch .LBB467_135
.LBB467_133:                            ;   in Loop: Header=BB467_135 Depth=1
	global_load_dword v18, v[16:17], off
	global_load_dword v19, v[14:15], off
	v_add_co_u32_e32 v14, vcc, 4, v14
	v_addc_co_u32_e32 v15, vcc, 0, v15, vcc
	v_add_co_u32_e32 v16, vcc, 4, v16
	v_addc_co_u32_e32 v17, vcc, 0, v17, vcc
	s_add_u32 s40, s40, 1
	s_addc_u32 s41, s41, 0
	s_andn2_b64 s[36:37], s[36:37], exec
	s_waitcnt vmcnt(0)
	v_cmp_ne_u32_e32 vcc, v18, v19
	s_and_b64 s[42:43], vcc, exec
	s_or_b64 s[36:37], s[36:37], s[42:43]
.LBB467_134:                            ;   in Loop: Header=BB467_135 Depth=1
	s_and_b64 s[42:43], exec, s[36:37]
	s_or_b64 s[8:9], s[42:43], s[8:9]
	v_pk_mov_b32 v[18:19], s[40:41], s[40:41] op_sel:[0,1]
	s_andn2_b64 exec, exec, s[8:9]
	s_cbranch_execz .LBB467_138
.LBB467_135:                            ; =>This Inner Loop Header: Depth=1
	s_or_b64 s[36:37], s[36:37], exec
	s_cmp_eq_u64 s[6:7], s[40:41]
	s_cbranch_scc0 .LBB467_133
; %bb.136:                              ;   in Loop: Header=BB467_135 Depth=1
                                        ; implicit-def: $vgpr14_vgpr15
                                        ; implicit-def: $vgpr16_vgpr17
	s_mov_b64 s[40:41], s[26:27]
	s_branch .LBB467_134
.LBB467_137:
                                        ; implicit-def: $sgpr36_sgpr37
                                        ; implicit-def: $vgpr13
                                        ; implicit-def: $vgpr16
	s_cbranch_execnz .LBB467_179
	s_branch .LBB467_237
.LBB467_138:
	s_or_b64 exec, exec, s[8:9]
	v_cmp_gt_i64_e32 vcc, s[26:27], v[18:19]
	s_orn2_b64 s[36:37], vcc, exec
.LBB467_139:
	s_or_b64 exec, exec, s[38:39]
.LBB467_140:
	v_mul_lo_u32 v16, v3, s26
	v_mul_lo_u32 v17, v2, s27
	v_mad_u64_u32 v[14:15], s[6:7], v2, s26, 0
	v_add3_u32 v15, v15, v17, v16
	s_mov_b64 s[38:39], 0
	s_and_b64 vcc, exec, s[4:5]
	v_lshlrev_b64 v[14:15], 2, v[14:15]
	s_mov_b64 s[40:41], 0
	s_cbranch_vccnz .LBB467_149
; %bb.141:
	v_mov_b32_e32 v17, s17
	v_add_co_u32_e32 v16, vcc, s16, v14
	v_addc_co_u32_e64 v17, s[6:7], v17, v15, vcc
	v_mov_b32_e32 v19, s17
	v_add_co_u32_e64 v18, s[6:7], s16, v12
	v_addc_co_u32_e64 v19, s[8:9], v19, v13, s[6:7]
	global_load_dword v12, v[16:17], off
	global_load_dword v20, v[18:19], off
	s_mov_b64 s[40:41], -1
	s_waitcnt vmcnt(0)
	v_cmp_eq_u32_e64 s[8:9], v12, v20
	s_and_saveexec_b64 s[42:43], s[8:9]
	s_cbranch_execz .LBB467_148
; %bb.142:
	v_mov_b32_e32 v12, s17
	v_addc_co_u32_e64 v13, s[6:7], v13, v12, s[6:7]
	v_add_co_u32_e64 v12, s[6:7], 4, v18
	v_mov_b32_e32 v17, s17
	v_addc_co_u32_e64 v13, s[6:7], 0, v13, s[6:7]
	v_addc_co_u32_e32 v17, vcc, v15, v17, vcc
	v_add_co_u32_e32 v16, vcc, 4, v16
	s_add_u32 s6, s26, -1
	v_addc_co_u32_e32 v17, vcc, 0, v17, vcc
	s_addc_u32 s7, s27, -1
	s_mov_b64 s[8:9], 0
	s_mov_b64 s[44:45], 0
                                        ; implicit-def: $sgpr40_sgpr41
	s_branch .LBB467_145
.LBB467_143:                            ;   in Loop: Header=BB467_145 Depth=1
	global_load_dword v18, v[16:17], off
	global_load_dword v19, v[12:13], off
	v_add_co_u32_e32 v12, vcc, 4, v12
	v_addc_co_u32_e32 v13, vcc, 0, v13, vcc
	v_add_co_u32_e32 v16, vcc, 4, v16
	v_addc_co_u32_e32 v17, vcc, 0, v17, vcc
	s_add_u32 s44, s44, 1
	s_addc_u32 s45, s45, 0
	s_andn2_b64 s[40:41], s[40:41], exec
	s_waitcnt vmcnt(0)
	v_cmp_ne_u32_e32 vcc, v18, v19
	s_and_b64 s[46:47], vcc, exec
	s_or_b64 s[40:41], s[40:41], s[46:47]
.LBB467_144:                            ;   in Loop: Header=BB467_145 Depth=1
	s_and_b64 s[46:47], exec, s[40:41]
	s_or_b64 s[8:9], s[46:47], s[8:9]
	v_pk_mov_b32 v[18:19], s[44:45], s[44:45] op_sel:[0,1]
	s_andn2_b64 exec, exec, s[8:9]
	s_cbranch_execz .LBB467_147
.LBB467_145:                            ; =>This Inner Loop Header: Depth=1
	s_or_b64 s[40:41], s[40:41], exec
	s_cmp_eq_u64 s[6:7], s[44:45]
	s_cbranch_scc0 .LBB467_143
; %bb.146:                              ;   in Loop: Header=BB467_145 Depth=1
                                        ; implicit-def: $vgpr12_vgpr13
                                        ; implicit-def: $vgpr16_vgpr17
	s_mov_b64 s[44:45], s[26:27]
	s_branch .LBB467_144
.LBB467_147:
	s_or_b64 exec, exec, s[8:9]
	v_cmp_gt_i64_e32 vcc, s[26:27], v[18:19]
	s_orn2_b64 s[40:41], vcc, exec
.LBB467_148:
	s_or_b64 exec, exec, s[42:43]
.LBB467_149:
	v_mul_lo_u32 v16, v9, s26
	v_mul_lo_u32 v17, v8, s27
	v_mad_u64_u32 v[12:13], s[6:7], v8, s26, 0
	v_add3_u32 v13, v13, v17, v16
	s_and_b64 vcc, exec, s[4:5]
	v_lshlrev_b64 v[12:13], 2, v[12:13]
	s_cbranch_vccnz .LBB467_158
; %bb.150:
	v_mov_b32_e32 v17, s17
	v_add_co_u32_e32 v16, vcc, s16, v12
	v_addc_co_u32_e64 v17, s[6:7], v17, v13, vcc
	v_mov_b32_e32 v19, s17
	v_add_co_u32_e64 v18, s[6:7], s16, v14
	v_addc_co_u32_e64 v19, s[8:9], v19, v15, s[6:7]
	global_load_dword v14, v[16:17], off
	global_load_dword v20, v[18:19], off
	s_mov_b64 s[38:39], -1
	s_waitcnt vmcnt(0)
	v_cmp_eq_u32_e64 s[8:9], v14, v20
	s_and_saveexec_b64 s[42:43], s[8:9]
	s_cbranch_execz .LBB467_157
; %bb.151:
	v_mov_b32_e32 v14, s17
	v_addc_co_u32_e64 v15, s[6:7], v15, v14, s[6:7]
	v_add_co_u32_e64 v14, s[6:7], 4, v18
	v_mov_b32_e32 v17, s17
	v_addc_co_u32_e64 v15, s[6:7], 0, v15, s[6:7]
	v_addc_co_u32_e32 v17, vcc, v13, v17, vcc
	v_add_co_u32_e32 v16, vcc, 4, v16
	s_add_u32 s6, s26, -1
	v_addc_co_u32_e32 v17, vcc, 0, v17, vcc
	s_addc_u32 s7, s27, -1
	s_mov_b64 s[8:9], 0
	s_mov_b64 s[44:45], 0
                                        ; implicit-def: $sgpr38_sgpr39
	s_branch .LBB467_154
.LBB467_152:                            ;   in Loop: Header=BB467_154 Depth=1
	global_load_dword v18, v[16:17], off
	global_load_dword v19, v[14:15], off
	v_add_co_u32_e32 v14, vcc, 4, v14
	v_addc_co_u32_e32 v15, vcc, 0, v15, vcc
	v_add_co_u32_e32 v16, vcc, 4, v16
	v_addc_co_u32_e32 v17, vcc, 0, v17, vcc
	s_add_u32 s44, s44, 1
	s_addc_u32 s45, s45, 0
	s_andn2_b64 s[38:39], s[38:39], exec
	s_waitcnt vmcnt(0)
	v_cmp_ne_u32_e32 vcc, v18, v19
	s_and_b64 s[46:47], vcc, exec
	s_or_b64 s[38:39], s[38:39], s[46:47]
.LBB467_153:                            ;   in Loop: Header=BB467_154 Depth=1
	s_and_b64 s[46:47], exec, s[38:39]
	s_or_b64 s[8:9], s[46:47], s[8:9]
	v_pk_mov_b32 v[18:19], s[44:45], s[44:45] op_sel:[0,1]
	s_andn2_b64 exec, exec, s[8:9]
	s_cbranch_execz .LBB467_156
.LBB467_154:                            ; =>This Inner Loop Header: Depth=1
	s_or_b64 s[38:39], s[38:39], exec
	s_cmp_eq_u64 s[6:7], s[44:45]
	s_cbranch_scc0 .LBB467_152
; %bb.155:                              ;   in Loop: Header=BB467_154 Depth=1
                                        ; implicit-def: $vgpr14_vgpr15
                                        ; implicit-def: $vgpr16_vgpr17
	s_mov_b64 s[44:45], s[26:27]
	s_branch .LBB467_153
.LBB467_156:
	s_or_b64 exec, exec, s[8:9]
	v_cmp_gt_i64_e32 vcc, s[26:27], v[18:19]
	s_orn2_b64 s[38:39], vcc, exec
.LBB467_157:
	s_or_b64 exec, exec, s[42:43]
.LBB467_158:
	v_mul_lo_u32 v16, v7, s26
	v_mul_lo_u32 v17, v6, s27
	v_mad_u64_u32 v[14:15], s[6:7], v6, s26, 0
	v_add3_u32 v15, v15, v17, v16
	s_and_b64 vcc, exec, s[4:5]
	s_mov_b64 s[44:45], 0
	s_cbranch_vccnz .LBB467_167
; %bb.159:
	v_lshlrev_b64 v[16:17], 2, v[14:15]
	v_mov_b32_e32 v19, s17
	v_add_co_u32_e32 v18, vcc, s16, v16
	v_addc_co_u32_e64 v19, s[6:7], v19, v17, vcc
	v_mov_b32_e32 v16, s17
	v_add_co_u32_e64 v20, s[6:7], s16, v12
	v_addc_co_u32_e64 v21, s[8:9], v16, v13, s[6:7]
	global_load_dword v12, v[18:19], off
	global_load_dword v16, v[20:21], off
	s_mov_b64 s[44:45], -1
	s_waitcnt vmcnt(0)
	v_cmp_eq_u32_e64 s[8:9], v12, v16
	s_and_saveexec_b64 s[42:43], s[8:9]
	s_cbranch_execz .LBB467_166
; %bb.160:
	v_mov_b32_e32 v12, s17
	v_addc_co_u32_e64 v13, s[6:7], v13, v12, s[6:7]
	v_add_co_u32_e64 v12, s[6:7], 4, v20
	v_mov_b32_e32 v16, s17
	v_addc_co_u32_e64 v13, s[6:7], 0, v13, s[6:7]
	v_addc_co_u32_e32 v17, vcc, v17, v16, vcc
	v_add_co_u32_e32 v16, vcc, 4, v18
	s_add_u32 s6, s26, -1
	v_addc_co_u32_e32 v17, vcc, 0, v17, vcc
	s_addc_u32 s7, s27, -1
	s_mov_b64 s[8:9], 0
	s_mov_b64 s[46:47], 0
                                        ; implicit-def: $sgpr44_sgpr45
	s_branch .LBB467_163
.LBB467_161:                            ;   in Loop: Header=BB467_163 Depth=1
	global_load_dword v18, v[16:17], off
	global_load_dword v19, v[12:13], off
	v_add_co_u32_e32 v12, vcc, 4, v12
	v_addc_co_u32_e32 v13, vcc, 0, v13, vcc
	v_add_co_u32_e32 v16, vcc, 4, v16
	v_addc_co_u32_e32 v17, vcc, 0, v17, vcc
	s_add_u32 s46, s46, 1
	s_addc_u32 s47, s47, 0
	s_andn2_b64 s[44:45], s[44:45], exec
	s_waitcnt vmcnt(0)
	v_cmp_ne_u32_e32 vcc, v18, v19
	s_and_b64 s[50:51], vcc, exec
	s_or_b64 s[44:45], s[44:45], s[50:51]
.LBB467_162:                            ;   in Loop: Header=BB467_163 Depth=1
	s_and_b64 s[50:51], exec, s[44:45]
	s_or_b64 s[8:9], s[50:51], s[8:9]
	v_pk_mov_b32 v[18:19], s[46:47], s[46:47] op_sel:[0,1]
	s_andn2_b64 exec, exec, s[8:9]
	s_cbranch_execz .LBB467_165
.LBB467_163:                            ; =>This Inner Loop Header: Depth=1
	s_or_b64 s[44:45], s[44:45], exec
	s_cmp_eq_u64 s[6:7], s[46:47]
	s_cbranch_scc0 .LBB467_161
; %bb.164:                              ;   in Loop: Header=BB467_163 Depth=1
                                        ; implicit-def: $vgpr12_vgpr13
                                        ; implicit-def: $vgpr16_vgpr17
	s_mov_b64 s[46:47], s[26:27]
	s_branch .LBB467_162
.LBB467_165:
	s_or_b64 exec, exec, s[8:9]
	v_cmp_gt_i64_e32 vcc, s[26:27], v[18:19]
	s_orn2_b64 s[44:45], vcc, exec
.LBB467_166:
	s_or_b64 exec, exec, s[42:43]
.LBB467_167:
	v_cndmask_b32_e64 v13, 0, 1, s[40:41]
	v_cndmask_b32_e64 v16, 0, 1, s[44:45]
	v_cndmask_b32_e64 v12, 0, 1, s[38:39]
	v_lshlrev_b16_e32 v16, 8, v16
	v_lshlrev_b16_e32 v13, 8, v13
	v_or_b32_e32 v16, 1, v16
	v_or_b32_sdwa v12, v12, v13 dst_sel:WORD_1 dst_unused:UNUSED_PAD src0_sel:DWORD src1_sel:DWORD
	v_or_b32_sdwa v12, v16, v12 dst_sel:DWORD dst_unused:UNUSED_PAD src0_sel:WORD_0 src1_sel:DWORD
	v_cndmask_b32_e64 v13, 0, 1, s[36:37]
	s_waitcnt lgkmcnt(0)
	s_barrier
	s_waitcnt lgkmcnt(0)
                                        ; implicit-def: $sgpr36_sgpr37
                                        ; implicit-def: $vgpr16
	s_and_saveexec_b64 s[6:7], s[2:3]
	s_xor_b64 s[8:9], exec, s[6:7]
	s_cbranch_execz .LBB467_178
; %bb.168:
	s_mov_b32 s42, 0x3020104
	s_and_b64 vcc, exec, s[4:5]
	s_mov_b64 s[38:39], 0
	s_cbranch_vccnz .LBB467_177
; %bb.169:
	v_add_u32_e32 v16, -8, v26
	ds_read_b64 v[16:17], v16
	v_mov_b32_e32 v19, s17
	v_lshlrev_b64 v[14:15], 2, v[14:15]
	s_mov_b64 s[38:39], -1
	s_waitcnt lgkmcnt(0)
	v_mul_lo_u32 v18, v17, s26
	v_mul_lo_u32 v20, v16, s27
	v_mad_u64_u32 v[16:17], s[4:5], v16, s26, 0
	v_add3_u32 v17, v17, v20, v18
	v_lshlrev_b64 v[16:17], 2, v[16:17]
	v_add_co_u32_e32 v18, vcc, s16, v16
	v_addc_co_u32_e64 v19, s[4:5], v19, v17, vcc
	v_mov_b32_e32 v16, s17
	v_add_co_u32_e64 v20, s[4:5], s16, v14
	v_addc_co_u32_e64 v21, s[6:7], v16, v15, s[4:5]
	global_load_dword v14, v[18:19], off
	global_load_dword v16, v[20:21], off
	s_waitcnt vmcnt(0)
	v_cmp_eq_u32_e64 s[6:7], v14, v16
	s_and_saveexec_b64 s[36:37], s[6:7]
	s_cbranch_execz .LBB467_176
; %bb.170:
	v_mov_b32_e32 v14, s17
	v_addc_co_u32_e64 v15, s[4:5], v15, v14, s[4:5]
	v_add_co_u32_e64 v14, s[4:5], 4, v20
	v_mov_b32_e32 v16, s17
	v_addc_co_u32_e64 v15, s[4:5], 0, v15, s[4:5]
	v_addc_co_u32_e32 v17, vcc, v17, v16, vcc
	v_add_co_u32_e32 v16, vcc, 4, v18
	s_add_u32 s4, s26, -1
	v_addc_co_u32_e32 v17, vcc, 0, v17, vcc
	s_addc_u32 s5, s27, -1
	s_mov_b64 s[6:7], 0
	s_mov_b64 s[40:41], 0
                                        ; implicit-def: $sgpr38_sgpr39
	s_branch .LBB467_173
.LBB467_171:                            ;   in Loop: Header=BB467_173 Depth=1
	global_load_dword v18, v[16:17], off
	global_load_dword v19, v[14:15], off
	v_add_co_u32_e32 v14, vcc, 4, v14
	v_addc_co_u32_e32 v15, vcc, 0, v15, vcc
	v_add_co_u32_e32 v16, vcc, 4, v16
	v_addc_co_u32_e32 v17, vcc, 0, v17, vcc
	s_add_u32 s40, s40, 1
	s_addc_u32 s41, s41, 0
	s_andn2_b64 s[38:39], s[38:39], exec
	s_waitcnt vmcnt(0)
	v_cmp_ne_u32_e32 vcc, v18, v19
	s_and_b64 s[44:45], vcc, exec
	s_or_b64 s[38:39], s[38:39], s[44:45]
.LBB467_172:                            ;   in Loop: Header=BB467_173 Depth=1
	s_and_b64 s[44:45], exec, s[38:39]
	s_or_b64 s[6:7], s[44:45], s[6:7]
	v_pk_mov_b32 v[18:19], s[40:41], s[40:41] op_sel:[0,1]
	s_andn2_b64 exec, exec, s[6:7]
	s_cbranch_execz .LBB467_175
.LBB467_173:                            ; =>This Inner Loop Header: Depth=1
	s_or_b64 s[38:39], s[38:39], exec
	s_cmp_eq_u64 s[4:5], s[40:41]
	s_cbranch_scc0 .LBB467_171
; %bb.174:                              ;   in Loop: Header=BB467_173 Depth=1
                                        ; implicit-def: $vgpr14_vgpr15
                                        ; implicit-def: $vgpr16_vgpr17
	s_mov_b64 s[40:41], s[26:27]
	s_branch .LBB467_172
.LBB467_175:
	s_or_b64 exec, exec, s[6:7]
	v_cmp_gt_i64_e32 vcc, s[26:27], v[18:19]
	s_orn2_b64 s[38:39], vcc, exec
.LBB467_176:
	s_or_b64 exec, exec, s[36:37]
.LBB467_177:
	v_perm_b32 v16, v12, v12, s42
	s_and_b64 s[36:37], s[38:39], exec
	s_or_b64 s[14:15], s[14:15], exec
.LBB467_178:
	s_or_b64 exec, exec, s[8:9]
	s_branch .LBB467_237
.LBB467_179:
	v_cmp_gt_u32_e32 vcc, s48, v23
	s_mov_b64 s[36:37], 0
	s_mov_b64 s[8:9], 0
	s_and_saveexec_b64 s[38:39], vcc
	s_cbranch_execz .LBB467_190
; %bb.180:
	s_andn2_b64 vcc, exec, s[10:11]
	s_mov_b64 s[40:41], 0
	s_cbranch_vccnz .LBB467_189
; %bb.181:
	s_waitcnt vmcnt(0) lgkmcnt(1)
	v_mul_lo_u32 v14, v5, s26
	v_mul_lo_u32 v15, v4, s27
	v_mad_u64_u32 v[12:13], s[4:5], v4, s26, 0
	v_add3_u32 v13, v13, v15, v14
	v_mul_lo_u32 v14, v11, s26
	v_mul_lo_u32 v15, v10, s27
	v_mad_u64_u32 v[18:19], s[4:5], v10, s26, 0
	v_add3_u32 v19, v19, v15, v14
	v_lshlrev_b64 v[14:15], 2, v[12:13]
	v_mov_b32_e32 v12, s17
	v_add_co_u32_e32 v16, vcc, s16, v14
	v_addc_co_u32_e64 v17, s[4:5], v12, v15, vcc
	v_lshlrev_b64 v[12:13], 2, v[18:19]
	v_mov_b32_e32 v14, s17
	v_add_co_u32_e64 v18, s[4:5], s16, v12
	v_addc_co_u32_e64 v19, s[6:7], v14, v13, s[4:5]
	global_load_dword v12, v[16:17], off
	global_load_dword v14, v[18:19], off
	s_mov_b64 s[40:41], -1
	s_waitcnt vmcnt(0)
	v_cmp_eq_u32_e64 s[6:7], v12, v14
	s_and_saveexec_b64 s[8:9], s[6:7]
	s_cbranch_execz .LBB467_188
; %bb.182:
	v_mov_b32_e32 v12, s17
	v_addc_co_u32_e64 v13, s[4:5], v13, v12, s[4:5]
	v_add_co_u32_e64 v12, s[4:5], 4, v18
	v_mov_b32_e32 v14, s17
	v_addc_co_u32_e64 v13, s[4:5], 0, v13, s[4:5]
	v_addc_co_u32_e32 v15, vcc, v15, v14, vcc
	v_add_co_u32_e32 v14, vcc, 4, v16
	s_add_u32 s4, s26, -1
	v_addc_co_u32_e32 v15, vcc, 0, v15, vcc
	s_addc_u32 s5, s27, -1
	s_mov_b64 s[6:7], 0
	s_mov_b64 s[42:43], 0
                                        ; implicit-def: $sgpr40_sgpr41
	s_branch .LBB467_185
.LBB467_183:                            ;   in Loop: Header=BB467_185 Depth=1
	global_load_dword v16, v[14:15], off
	global_load_dword v17, v[12:13], off
	v_add_co_u32_e32 v12, vcc, 4, v12
	v_addc_co_u32_e32 v13, vcc, 0, v13, vcc
	v_add_co_u32_e32 v14, vcc, 4, v14
	v_addc_co_u32_e32 v15, vcc, 0, v15, vcc
	s_add_u32 s42, s42, 1
	s_addc_u32 s43, s43, 0
	s_andn2_b64 s[40:41], s[40:41], exec
	s_waitcnt vmcnt(0)
	v_cmp_ne_u32_e32 vcc, v16, v17
	s_and_b64 s[44:45], vcc, exec
	s_or_b64 s[40:41], s[40:41], s[44:45]
.LBB467_184:                            ;   in Loop: Header=BB467_185 Depth=1
	s_and_b64 s[44:45], exec, s[40:41]
	s_or_b64 s[6:7], s[44:45], s[6:7]
	v_pk_mov_b32 v[16:17], s[42:43], s[42:43] op_sel:[0,1]
	s_andn2_b64 exec, exec, s[6:7]
	s_cbranch_execz .LBB467_187
.LBB467_185:                            ; =>This Inner Loop Header: Depth=1
	s_or_b64 s[40:41], s[40:41], exec
	s_cmp_eq_u64 s[4:5], s[42:43]
	s_cbranch_scc0 .LBB467_183
; %bb.186:                              ;   in Loop: Header=BB467_185 Depth=1
                                        ; implicit-def: $vgpr12_vgpr13
                                        ; implicit-def: $vgpr14_vgpr15
	s_mov_b64 s[42:43], s[26:27]
	s_branch .LBB467_184
.LBB467_187:
	s_or_b64 exec, exec, s[6:7]
	v_cmp_gt_i64_e32 vcc, s[26:27], v[16:17]
	s_orn2_b64 s[40:41], vcc, exec
.LBB467_188:
	s_or_b64 exec, exec, s[8:9]
.LBB467_189:
	s_and_b64 s[8:9], s[40:41], exec
.LBB467_190:
	s_or_b64 exec, exec, s[38:39]
	v_cmp_gt_u32_e32 vcc, s48, v25
	s_and_saveexec_b64 s[38:39], vcc
	s_cbranch_execz .LBB467_201
; %bb.191:
	s_andn2_b64 vcc, exec, s[10:11]
	s_mov_b64 s[40:41], 0
	s_cbranch_vccnz .LBB467_200
; %bb.192:
	s_waitcnt vmcnt(0) lgkmcnt(1)
	v_mul_lo_u32 v14, v3, s26
	v_mul_lo_u32 v15, v2, s27
	v_mad_u64_u32 v[12:13], s[4:5], v2, s26, 0
	v_add3_u32 v13, v13, v15, v14
	v_mul_lo_u32 v14, v5, s26
	v_mul_lo_u32 v15, v4, s27
	v_mad_u64_u32 v[18:19], s[4:5], v4, s26, 0
	v_add3_u32 v19, v19, v15, v14
	v_lshlrev_b64 v[14:15], 2, v[12:13]
	v_mov_b32_e32 v12, s17
	v_add_co_u32_e32 v16, vcc, s16, v14
	v_addc_co_u32_e64 v17, s[4:5], v12, v15, vcc
	v_lshlrev_b64 v[12:13], 2, v[18:19]
	v_mov_b32_e32 v14, s17
	v_add_co_u32_e64 v18, s[4:5], s16, v12
	v_addc_co_u32_e64 v19, s[6:7], v14, v13, s[4:5]
	global_load_dword v12, v[16:17], off
	global_load_dword v14, v[18:19], off
	s_mov_b64 s[40:41], -1
	s_waitcnt vmcnt(0)
	v_cmp_eq_u32_e64 s[6:7], v12, v14
	s_and_saveexec_b64 s[36:37], s[6:7]
	s_cbranch_execz .LBB467_199
; %bb.193:
	v_mov_b32_e32 v12, s17
	v_addc_co_u32_e64 v13, s[4:5], v13, v12, s[4:5]
	v_add_co_u32_e64 v12, s[4:5], 4, v18
	v_mov_b32_e32 v14, s17
	v_addc_co_u32_e64 v13, s[4:5], 0, v13, s[4:5]
	v_addc_co_u32_e32 v15, vcc, v15, v14, vcc
	v_add_co_u32_e32 v14, vcc, 4, v16
	s_add_u32 s4, s26, -1
	v_addc_co_u32_e32 v15, vcc, 0, v15, vcc
	s_addc_u32 s5, s27, -1
	s_mov_b64 s[6:7], 0
	s_mov_b64 s[42:43], 0
                                        ; implicit-def: $sgpr40_sgpr41
	s_branch .LBB467_196
.LBB467_194:                            ;   in Loop: Header=BB467_196 Depth=1
	global_load_dword v16, v[14:15], off
	global_load_dword v17, v[12:13], off
	v_add_co_u32_e32 v12, vcc, 4, v12
	v_addc_co_u32_e32 v13, vcc, 0, v13, vcc
	v_add_co_u32_e32 v14, vcc, 4, v14
	v_addc_co_u32_e32 v15, vcc, 0, v15, vcc
	s_add_u32 s42, s42, 1
	s_addc_u32 s43, s43, 0
	s_andn2_b64 s[40:41], s[40:41], exec
	s_waitcnt vmcnt(0)
	v_cmp_ne_u32_e32 vcc, v16, v17
	s_and_b64 s[44:45], vcc, exec
	s_or_b64 s[40:41], s[40:41], s[44:45]
.LBB467_195:                            ;   in Loop: Header=BB467_196 Depth=1
	s_and_b64 s[44:45], exec, s[40:41]
	s_or_b64 s[6:7], s[44:45], s[6:7]
	v_pk_mov_b32 v[16:17], s[42:43], s[42:43] op_sel:[0,1]
	s_andn2_b64 exec, exec, s[6:7]
	s_cbranch_execz .LBB467_198
.LBB467_196:                            ; =>This Inner Loop Header: Depth=1
	s_or_b64 s[40:41], s[40:41], exec
	s_cmp_eq_u64 s[4:5], s[42:43]
	s_cbranch_scc0 .LBB467_194
; %bb.197:                              ;   in Loop: Header=BB467_196 Depth=1
                                        ; implicit-def: $vgpr12_vgpr13
                                        ; implicit-def: $vgpr14_vgpr15
	s_mov_b64 s[42:43], s[26:27]
	s_branch .LBB467_195
.LBB467_198:
	s_or_b64 exec, exec, s[6:7]
	v_cmp_gt_i64_e32 vcc, s[26:27], v[16:17]
	s_orn2_b64 s[40:41], vcc, exec
.LBB467_199:
	s_or_b64 exec, exec, s[36:37]
.LBB467_200:
	s_and_b64 s[36:37], s[40:41], exec
.LBB467_201:
	s_or_b64 exec, exec, s[38:39]
	v_cmp_gt_u32_e32 vcc, s48, v22
	s_mov_b64 s[38:39], 0
	s_mov_b64 s[40:41], 0
	s_and_saveexec_b64 s[42:43], vcc
	s_cbranch_execz .LBB467_212
; %bb.202:
	s_andn2_b64 vcc, exec, s[10:11]
	s_mov_b64 s[44:45], 0
	s_cbranch_vccnz .LBB467_211
; %bb.203:
	s_waitcnt vmcnt(0) lgkmcnt(1)
	v_mul_lo_u32 v14, v9, s26
	v_mul_lo_u32 v15, v8, s27
	v_mad_u64_u32 v[12:13], s[4:5], v8, s26, 0
	v_add3_u32 v13, v13, v15, v14
	v_mul_lo_u32 v14, v3, s26
	v_mul_lo_u32 v15, v2, s27
	v_mad_u64_u32 v[18:19], s[4:5], v2, s26, 0
	v_add3_u32 v19, v19, v15, v14
	v_lshlrev_b64 v[14:15], 2, v[12:13]
	v_mov_b32_e32 v12, s17
	v_add_co_u32_e32 v16, vcc, s16, v14
	v_addc_co_u32_e64 v17, s[4:5], v12, v15, vcc
	v_lshlrev_b64 v[12:13], 2, v[18:19]
	v_mov_b32_e32 v14, s17
	v_add_co_u32_e64 v18, s[4:5], s16, v12
	v_addc_co_u32_e64 v19, s[6:7], v14, v13, s[4:5]
	global_load_dword v12, v[16:17], off
	global_load_dword v14, v[18:19], off
	s_mov_b64 s[44:45], -1
	s_waitcnt vmcnt(0)
	v_cmp_eq_u32_e64 s[6:7], v12, v14
	s_and_saveexec_b64 s[40:41], s[6:7]
	s_cbranch_execz .LBB467_210
; %bb.204:
	v_mov_b32_e32 v12, s17
	v_addc_co_u32_e64 v13, s[4:5], v13, v12, s[4:5]
	v_add_co_u32_e64 v12, s[4:5], 4, v18
	v_mov_b32_e32 v14, s17
	v_addc_co_u32_e64 v13, s[4:5], 0, v13, s[4:5]
	v_addc_co_u32_e32 v15, vcc, v15, v14, vcc
	v_add_co_u32_e32 v14, vcc, 4, v16
	s_add_u32 s4, s26, -1
	v_addc_co_u32_e32 v15, vcc, 0, v15, vcc
	s_addc_u32 s5, s27, -1
	s_mov_b64 s[6:7], 0
	s_mov_b64 s[46:47], 0
                                        ; implicit-def: $sgpr44_sgpr45
	s_branch .LBB467_207
.LBB467_205:                            ;   in Loop: Header=BB467_207 Depth=1
	global_load_dword v16, v[14:15], off
	global_load_dword v17, v[12:13], off
	v_add_co_u32_e32 v12, vcc, 4, v12
	v_addc_co_u32_e32 v13, vcc, 0, v13, vcc
	v_add_co_u32_e32 v14, vcc, 4, v14
	v_addc_co_u32_e32 v15, vcc, 0, v15, vcc
	s_add_u32 s46, s46, 1
	s_addc_u32 s47, s47, 0
	s_andn2_b64 s[44:45], s[44:45], exec
	s_waitcnt vmcnt(0)
	v_cmp_ne_u32_e32 vcc, v16, v17
	s_and_b64 s[50:51], vcc, exec
	s_or_b64 s[44:45], s[44:45], s[50:51]
.LBB467_206:                            ;   in Loop: Header=BB467_207 Depth=1
	s_and_b64 s[50:51], exec, s[44:45]
	s_or_b64 s[6:7], s[50:51], s[6:7]
	v_pk_mov_b32 v[16:17], s[46:47], s[46:47] op_sel:[0,1]
	s_andn2_b64 exec, exec, s[6:7]
	s_cbranch_execz .LBB467_209
.LBB467_207:                            ; =>This Inner Loop Header: Depth=1
	s_or_b64 s[44:45], s[44:45], exec
	s_cmp_eq_u64 s[4:5], s[46:47]
	s_cbranch_scc0 .LBB467_205
; %bb.208:                              ;   in Loop: Header=BB467_207 Depth=1
                                        ; implicit-def: $vgpr12_vgpr13
                                        ; implicit-def: $vgpr14_vgpr15
	s_mov_b64 s[46:47], s[26:27]
	s_branch .LBB467_206
.LBB467_209:
	s_or_b64 exec, exec, s[6:7]
	v_cmp_gt_i64_e32 vcc, s[26:27], v[16:17]
	s_orn2_b64 s[44:45], vcc, exec
.LBB467_210:
	s_or_b64 exec, exec, s[40:41]
.LBB467_211:
	s_and_b64 s[40:41], s[44:45], exec
.LBB467_212:
	s_or_b64 exec, exec, s[42:43]
	v_cmp_gt_u32_e32 vcc, s48, v24
	s_and_saveexec_b64 s[42:43], vcc
	s_cbranch_execz .LBB467_223
; %bb.213:
	s_andn2_b64 vcc, exec, s[10:11]
	s_mov_b64 s[44:45], 0
	s_cbranch_vccnz .LBB467_222
; %bb.214:
	s_waitcnt vmcnt(0) lgkmcnt(1)
	v_mul_lo_u32 v14, v7, s26
	v_mul_lo_u32 v15, v6, s27
	v_mad_u64_u32 v[12:13], s[4:5], v6, s26, 0
	v_add3_u32 v13, v13, v15, v14
	v_mul_lo_u32 v14, v9, s26
	v_mul_lo_u32 v15, v8, s27
	v_mad_u64_u32 v[18:19], s[4:5], v8, s26, 0
	v_add3_u32 v19, v19, v15, v14
	v_lshlrev_b64 v[14:15], 2, v[12:13]
	v_mov_b32_e32 v12, s17
	v_add_co_u32_e32 v16, vcc, s16, v14
	v_addc_co_u32_e64 v17, s[4:5], v12, v15, vcc
	v_lshlrev_b64 v[12:13], 2, v[18:19]
	v_mov_b32_e32 v14, s17
	v_add_co_u32_e64 v18, s[4:5], s16, v12
	v_addc_co_u32_e64 v19, s[6:7], v14, v13, s[4:5]
	global_load_dword v12, v[16:17], off
	global_load_dword v14, v[18:19], off
	s_mov_b64 s[44:45], -1
	s_waitcnt vmcnt(0)
	v_cmp_eq_u32_e64 s[6:7], v12, v14
	s_and_saveexec_b64 s[38:39], s[6:7]
	s_cbranch_execz .LBB467_221
; %bb.215:
	v_mov_b32_e32 v12, s17
	v_addc_co_u32_e64 v13, s[4:5], v13, v12, s[4:5]
	v_add_co_u32_e64 v12, s[4:5], 4, v18
	v_mov_b32_e32 v14, s17
	v_addc_co_u32_e64 v13, s[4:5], 0, v13, s[4:5]
	v_addc_co_u32_e32 v15, vcc, v15, v14, vcc
	v_add_co_u32_e32 v14, vcc, 4, v16
	s_add_u32 s4, s26, -1
	v_addc_co_u32_e32 v15, vcc, 0, v15, vcc
	s_addc_u32 s5, s27, -1
	s_mov_b64 s[6:7], 0
	s_mov_b64 s[46:47], 0
                                        ; implicit-def: $sgpr44_sgpr45
	s_branch .LBB467_218
.LBB467_216:                            ;   in Loop: Header=BB467_218 Depth=1
	global_load_dword v16, v[14:15], off
	global_load_dword v17, v[12:13], off
	v_add_co_u32_e32 v12, vcc, 4, v12
	v_addc_co_u32_e32 v13, vcc, 0, v13, vcc
	v_add_co_u32_e32 v14, vcc, 4, v14
	v_addc_co_u32_e32 v15, vcc, 0, v15, vcc
	s_add_u32 s46, s46, 1
	s_addc_u32 s47, s47, 0
	s_andn2_b64 s[44:45], s[44:45], exec
	s_waitcnt vmcnt(0)
	v_cmp_ne_u32_e32 vcc, v16, v17
	s_and_b64 s[50:51], vcc, exec
	s_or_b64 s[44:45], s[44:45], s[50:51]
.LBB467_217:                            ;   in Loop: Header=BB467_218 Depth=1
	s_and_b64 s[50:51], exec, s[44:45]
	s_or_b64 s[6:7], s[50:51], s[6:7]
	v_pk_mov_b32 v[16:17], s[46:47], s[46:47] op_sel:[0,1]
	s_andn2_b64 exec, exec, s[6:7]
	s_cbranch_execz .LBB467_220
.LBB467_218:                            ; =>This Inner Loop Header: Depth=1
	s_or_b64 s[44:45], s[44:45], exec
	s_cmp_eq_u64 s[4:5], s[46:47]
	s_cbranch_scc0 .LBB467_216
; %bb.219:                              ;   in Loop: Header=BB467_218 Depth=1
                                        ; implicit-def: $vgpr12_vgpr13
                                        ; implicit-def: $vgpr14_vgpr15
	s_mov_b64 s[46:47], s[26:27]
	s_branch .LBB467_217
.LBB467_220:
	s_or_b64 exec, exec, s[6:7]
	v_cmp_gt_i64_e32 vcc, s[26:27], v[16:17]
	s_orn2_b64 s[44:45], vcc, exec
.LBB467_221:
	s_or_b64 exec, exec, s[38:39]
.LBB467_222:
	s_and_b64 s[38:39], s[44:45], exec
.LBB467_223:
	s_or_b64 exec, exec, s[42:43]
	v_cndmask_b32_e64 v13, 0, 1, s[36:37]
	s_waitcnt vmcnt(0) lgkmcnt(1)
	v_cndmask_b32_e64 v14, 0, 1, s[38:39]
	v_cndmask_b32_e64 v12, 0, 1, s[40:41]
	v_lshlrev_b16_e32 v14, 8, v14
	v_lshlrev_b16_e32 v13, 8, v13
	v_or_b32_e32 v14, 1, v14
	v_or_b32_sdwa v12, v12, v13 dst_sel:WORD_1 dst_unused:UNUSED_PAD src0_sel:DWORD src1_sel:DWORD
	v_or_b32_sdwa v12, v14, v12 dst_sel:DWORD dst_unused:UNUSED_PAD src0_sel:WORD_0 src1_sel:DWORD
	v_cndmask_b32_e64 v13, 0, 1, s[8:9]
	s_waitcnt lgkmcnt(0)
	s_barrier
	s_waitcnt lgkmcnt(0)
                                        ; implicit-def: $sgpr36_sgpr37
                                        ; implicit-def: $vgpr16
	s_and_saveexec_b64 s[6:7], s[2:3]
	s_cbranch_execz .LBB467_236
; %bb.224:
	v_cmp_gt_u32_e32 vcc, s48, v1
	s_mov_b32 s38, 0x3020104
	s_mov_b64 s[2:3], 0
	s_and_saveexec_b64 s[8:9], vcc
	s_cbranch_execz .LBB467_235
; %bb.225:
	s_andn2_b64 vcc, exec, s[10:11]
	s_mov_b64 s[36:37], 0
	s_cbranch_vccnz .LBB467_234
; %bb.226:
	v_add_u32_e32 v14, -8, v26
	ds_read_b64 v[14:15], v14
	v_mul_lo_u32 v16, v7, s26
	v_mad_u64_u32 v[20:21], s[2:3], v6, s26, 0
	s_mov_b64 s[36:37], -1
	s_waitcnt lgkmcnt(0)
	v_mul_lo_u32 v17, v15, s26
	v_mul_lo_u32 v18, v14, s27
	v_mad_u64_u32 v[14:15], s[2:3], v14, s26, 0
	v_add3_u32 v15, v15, v18, v17
	v_mul_lo_u32 v17, v6, s27
	v_add3_u32 v21, v21, v17, v16
	v_lshlrev_b64 v[16:17], 2, v[14:15]
	v_mov_b32_e32 v14, s17
	v_add_co_u32_e32 v18, vcc, s16, v16
	v_addc_co_u32_e64 v19, s[2:3], v14, v17, vcc
	v_lshlrev_b64 v[14:15], 2, v[20:21]
	v_mov_b32_e32 v16, s17
	v_add_co_u32_e64 v20, s[2:3], s16, v14
	v_addc_co_u32_e64 v21, s[4:5], v16, v15, s[2:3]
	global_load_dword v14, v[18:19], off
	global_load_dword v16, v[20:21], off
	s_waitcnt vmcnt(0)
	v_cmp_eq_u32_e64 s[4:5], v14, v16
	s_and_saveexec_b64 s[10:11], s[4:5]
	s_cbranch_execz .LBB467_233
; %bb.227:
	v_mov_b32_e32 v14, s17
	v_addc_co_u32_e64 v15, s[2:3], v15, v14, s[2:3]
	v_add_co_u32_e64 v14, s[2:3], 4, v20
	v_mov_b32_e32 v16, s17
	v_addc_co_u32_e64 v15, s[2:3], 0, v15, s[2:3]
	v_addc_co_u32_e32 v17, vcc, v17, v16, vcc
	v_add_co_u32_e32 v16, vcc, 4, v18
	s_add_u32 s2, s26, -1
	v_addc_co_u32_e32 v17, vcc, 0, v17, vcc
	s_addc_u32 s3, s27, -1
	s_mov_b64 s[4:5], 0
	s_mov_b64 s[36:37], 0
                                        ; implicit-def: $sgpr16_sgpr17
	s_branch .LBB467_230
.LBB467_228:                            ;   in Loop: Header=BB467_230 Depth=1
	global_load_dword v18, v[16:17], off
	global_load_dword v19, v[14:15], off
	v_add_co_u32_e32 v14, vcc, 4, v14
	v_addc_co_u32_e32 v15, vcc, 0, v15, vcc
	v_add_co_u32_e32 v16, vcc, 4, v16
	v_addc_co_u32_e32 v17, vcc, 0, v17, vcc
	s_add_u32 s36, s36, 1
	s_addc_u32 s37, s37, 0
	s_andn2_b64 s[16:17], s[16:17], exec
	s_waitcnt vmcnt(0)
	v_cmp_ne_u32_e32 vcc, v18, v19
	s_and_b64 s[40:41], vcc, exec
	s_or_b64 s[16:17], s[16:17], s[40:41]
.LBB467_229:                            ;   in Loop: Header=BB467_230 Depth=1
	s_and_b64 s[40:41], exec, s[16:17]
	s_or_b64 s[4:5], s[40:41], s[4:5]
	v_pk_mov_b32 v[18:19], s[36:37], s[36:37] op_sel:[0,1]
	s_andn2_b64 exec, exec, s[4:5]
	s_cbranch_execz .LBB467_232
.LBB467_230:                            ; =>This Inner Loop Header: Depth=1
	s_or_b64 s[16:17], s[16:17], exec
	s_cmp_eq_u64 s[2:3], s[36:37]
	s_cbranch_scc0 .LBB467_228
; %bb.231:                              ;   in Loop: Header=BB467_230 Depth=1
                                        ; implicit-def: $vgpr14_vgpr15
                                        ; implicit-def: $vgpr16_vgpr17
	s_mov_b64 s[36:37], s[26:27]
	s_branch .LBB467_229
.LBB467_232:
	s_or_b64 exec, exec, s[4:5]
	v_cmp_gt_i64_e32 vcc, s[26:27], v[18:19]
	s_orn2_b64 s[36:37], vcc, exec
.LBB467_233:
	s_or_b64 exec, exec, s[10:11]
.LBB467_234:
	s_and_b64 s[2:3], s[36:37], exec
.LBB467_235:
	s_or_b64 exec, exec, s[8:9]
	v_perm_b32 v16, v12, v12, s38
	s_and_b64 s[36:37], s[2:3], exec
	s_or_b64 s[14:15], s[14:15], exec
.LBB467_236:
	s_or_b64 exec, exec, s[6:7]
.LBB467_237:
	s_and_saveexec_b64 s[2:3], s[14:15]
	s_cbranch_execz .LBB467_239
; %bb.238:
	s_waitcnt vmcnt(0) lgkmcnt(0)
	v_lshrrev_b32_e32 v14, 24, v16
	s_movk_i32 s4, 0xff
	v_lshlrev_b16_e32 v14, 8, v14
	v_and_b32_sdwa v15, v16, s4 dst_sel:DWORD dst_unused:UNUSED_PAD src0_sel:WORD_1 src1_sel:DWORD
	v_or_b32_sdwa v14, v15, v14 dst_sel:WORD_1 dst_unused:UNUSED_PAD src0_sel:DWORD src1_sel:DWORD
	v_mov_b32_e32 v15, 8
	v_cndmask_b32_e64 v12, 0, 1, s[36:37]
	v_lshrrev_b32_sdwa v15, v15, v16 dst_sel:BYTE_1 dst_unused:UNUSED_PAD src0_sel:DWORD src1_sel:DWORD
	v_or_b32_e32 v12, v12, v15
	s_mov_b32 s4, 0xffff
	v_or_b32_sdwa v12, v12, v14 dst_sel:DWORD dst_unused:UNUSED_PAD src0_sel:WORD_0 src1_sel:DWORD
	v_and_b32_sdwa v13, s4, v13 dst_sel:DWORD dst_unused:UNUSED_PAD src0_sel:DWORD src1_sel:BYTE_0
.LBB467_239:
	s_or_b64 exec, exec, s[2:3]
	s_andn2_b64 vcc, exec, s[12:13]
	s_cbranch_vccnz .LBB467_241
; %bb.240:
	v_cmp_gt_u32_e32 vcc, s48, v1
	v_cndmask_b32_e32 v1, 0, v12, vcc
	v_and_b32_e32 v1, 0xffff00ff, v1
	v_cmp_gt_u32_e64 s[2:3], s48, v24
	v_cndmask_b32_e64 v1, v1, v12, s[2:3]
	s_waitcnt vmcnt(0) lgkmcnt(0)
	v_lshrrev_b32_e32 v14, 24, v1
	s_mov_b32 s4, 0x40c0100
	v_perm_b32 v1, v14, v1, s4
	v_cmp_gt_u32_e64 s[4:5], s48, v22
	v_cmp_gt_u32_e64 s[6:7], s48, v25
	v_cndmask_b32_e64 v1, v1, v12, s[4:5]
	s_or_b64 s[4:5], s[6:7], s[4:5]
	s_or_b64 s[2:3], s[4:5], s[2:3]
	s_or_b64 vcc, s[2:3], vcc
	v_and_b32_e32 v1, 0xffffff, v1
	v_cndmask_b32_e32 v14, 0, v13, vcc
	v_cndmask_b32_e64 v1, v1, v12, s[6:7]
	v_and_b32_e32 v14, 0xffffff00, v14
	v_cmp_gt_u32_e32 vcc, s48, v23
	v_cndmask_b32_e32 v1, v1, v12, vcc
	v_cndmask_b32_e32 v12, v14, v13, vcc
	s_mov_b32 s2, 0x3020104
	v_and_b32_e32 v13, 0xff, v12
	v_perm_b32 v12, v1, v1, s2
.LBB467_241:
	v_and_b32_e32 v1, 0xff, v12
	v_bfe_u32 v25, v12, 8, 8
	v_bfe_u32 v27, v12, 16, 8
	s_waitcnt vmcnt(0) lgkmcnt(0)
	v_alignbit_b32 v14, v13, v12, 24
	v_and_b32_e32 v28, 0xff, v14
	v_and_b32_e32 v14, 0xff, v13
	v_add3_u32 v15, v25, v1, v27
	v_add3_u32 v31, v15, v28, v14
	v_mbcnt_lo_u32_b32 v14, -1, 0
	v_mbcnt_hi_u32_b32 v29, -1, v14
	v_and_b32_e32 v14, 15, v29
	v_cmp_eq_u32_e64 s[14:15], 0, v14
	v_cmp_lt_u32_e64 s[12:13], 1, v14
	v_cmp_lt_u32_e64 s[10:11], 3, v14
	;; [unrolled: 1-line block ×3, first 2 shown]
	v_and_b32_e32 v14, 16, v29
	v_cmp_eq_u32_e64 s[6:7], 0, v14
	v_or_b32_e32 v14, 63, v0
	v_cmp_lt_u32_e64 s[2:3], 31, v29
	v_lshrrev_b32_e32 v30, 6, v0
	v_cmp_eq_u32_e64 s[4:5], v14, v0
	s_and_b64 vcc, exec, s[34:35]
	s_barrier
	s_cbranch_vccz .LBB467_268
; %bb.242:
	v_mov_b32_dpp v14, v31 row_shr:1 row_mask:0xf bank_mask:0xf
	v_cndmask_b32_e64 v14, v14, 0, s[14:15]
	v_add_u32_e32 v14, v14, v31
	s_nop 1
	v_mov_b32_dpp v15, v14 row_shr:2 row_mask:0xf bank_mask:0xf
	v_cndmask_b32_e64 v15, 0, v15, s[12:13]
	v_add_u32_e32 v14, v14, v15
	s_nop 1
	;; [unrolled: 4-line block ×4, first 2 shown]
	v_mov_b32_dpp v15, v14 row_bcast:15 row_mask:0xf bank_mask:0xf
	v_cndmask_b32_e64 v15, v15, 0, s[6:7]
	v_add_u32_e32 v14, v14, v15
	s_nop 1
	v_mov_b32_dpp v15, v14 row_bcast:31 row_mask:0xf bank_mask:0xf
	v_cndmask_b32_e64 v15, 0, v15, s[2:3]
	v_add_u32_e32 v14, v14, v15
	s_and_saveexec_b64 s[16:17], s[4:5]
	s_cbranch_execz .LBB467_244
; %bb.243:
	v_lshlrev_b32_e32 v15, 2, v30
	ds_write_b32 v15, v14
.LBB467_244:
	s_or_b64 exec, exec, s[16:17]
	v_cmp_gt_u32_e32 vcc, 4, v0
	s_waitcnt lgkmcnt(0)
	s_barrier
	s_and_saveexec_b64 s[16:17], vcc
	s_cbranch_execz .LBB467_246
; %bb.245:
	v_lshlrev_b32_e32 v15, 2, v0
	ds_read_b32 v16, v15
	v_and_b32_e32 v17, 3, v29
	v_cmp_ne_u32_e32 vcc, 0, v17
	s_waitcnt lgkmcnt(0)
	v_mov_b32_dpp v18, v16 row_shr:1 row_mask:0xf bank_mask:0xf
	v_cndmask_b32_e32 v18, 0, v18, vcc
	v_add_u32_e32 v16, v18, v16
	v_cmp_lt_u32_e32 vcc, 1, v17
	s_nop 0
	v_mov_b32_dpp v18, v16 row_shr:2 row_mask:0xf bank_mask:0xf
	v_cndmask_b32_e32 v17, 0, v18, vcc
	v_add_u32_e32 v16, v16, v17
	ds_write_b32 v15, v16
.LBB467_246:
	s_or_b64 exec, exec, s[16:17]
	v_cmp_gt_u32_e32 vcc, 64, v0
	v_cmp_lt_u32_e64 s[16:17], 63, v0
	s_waitcnt lgkmcnt(0)
	s_barrier
	s_waitcnt lgkmcnt(0)
                                        ; implicit-def: $vgpr24
	s_and_saveexec_b64 s[26:27], s[16:17]
	s_cbranch_execz .LBB467_248
; %bb.247:
	v_lshl_add_u32 v15, v30, 2, -4
	ds_read_b32 v24, v15
	s_waitcnt lgkmcnt(0)
	v_add_u32_e32 v14, v24, v14
.LBB467_248:
	s_or_b64 exec, exec, s[26:27]
	v_add_u32_e32 v15, -1, v29
	v_and_b32_e32 v16, 64, v29
	v_cmp_lt_i32_e64 s[16:17], v15, v16
	v_cndmask_b32_e64 v15, v15, v29, s[16:17]
	v_lshlrev_b32_e32 v15, 2, v15
	ds_bpermute_b32 v26, v15, v14
	v_cmp_eq_u32_e64 s[16:17], 0, v29
	s_and_saveexec_b64 s[26:27], vcc
	s_cbranch_execz .LBB467_267
; %bb.249:
	v_mov_b32_e32 v21, 0
	ds_read_b32 v14, v21 offset:12
	s_and_saveexec_b64 s[34:35], s[16:17]
	s_cbranch_execz .LBB467_251
; %bb.250:
	s_add_i32 s36, s33, 64
	s_mov_b32 s37, 0
	s_lshl_b64 s[36:37], s[36:37], 3
	s_add_u32 s36, s18, s36
	v_mov_b32_e32 v15, 1
	s_addc_u32 s37, s19, s37
	s_waitcnt lgkmcnt(0)
	global_store_dwordx2 v21, v[14:15], s[36:37]
.LBB467_251:
	s_or_b64 exec, exec, s[34:35]
	v_xad_u32 v16, v29, -1, s33
	v_add_u32_e32 v20, 64, v16
	v_lshlrev_b64 v[18:19], 3, v[20:21]
	v_mov_b32_e32 v15, s19
	v_add_co_u32_e32 v22, vcc, s18, v18
	v_addc_co_u32_e32 v23, vcc, v15, v19, vcc
	global_load_dwordx2 v[18:19], v[22:23], off glc
	s_waitcnt vmcnt(0)
	v_cmp_eq_u16_sdwa s[36:37], v19, v21 src0_sel:BYTE_0 src1_sel:DWORD
	s_and_saveexec_b64 s[34:35], s[36:37]
	s_cbranch_execz .LBB467_255
; %bb.252:
	s_mov_b64 s[36:37], 0
	v_mov_b32_e32 v15, 0
.LBB467_253:                            ; =>This Inner Loop Header: Depth=1
	global_load_dwordx2 v[18:19], v[22:23], off glc
	s_waitcnt vmcnt(0)
	v_cmp_ne_u16_sdwa s[38:39], v19, v15 src0_sel:BYTE_0 src1_sel:DWORD
	s_or_b64 s[36:37], s[38:39], s[36:37]
	s_andn2_b64 exec, exec, s[36:37]
	s_cbranch_execnz .LBB467_253
; %bb.254:
	s_or_b64 exec, exec, s[36:37]
.LBB467_255:
	s_or_b64 exec, exec, s[34:35]
	v_and_b32_e32 v32, 63, v29
	v_mov_b32_e32 v15, 2
	v_cmp_ne_u32_e32 vcc, 63, v32
	v_cmp_eq_u16_sdwa s[34:35], v19, v15 src0_sel:BYTE_0 src1_sel:DWORD
	v_lshlrev_b64 v[20:21], v29, -1
	v_addc_co_u32_e32 v23, vcc, 0, v29, vcc
	v_and_b32_e32 v17, s35, v21
	v_lshlrev_b32_e32 v33, 2, v23
	v_or_b32_e32 v17, 0x80000000, v17
	ds_bpermute_b32 v23, v33, v18
	v_and_b32_e32 v22, s34, v20
	v_ffbl_b32_e32 v17, v17
	v_add_u32_e32 v17, 32, v17
	v_ffbl_b32_e32 v22, v22
	v_min_u32_e32 v17, v22, v17
	v_cmp_lt_u32_e32 vcc, v32, v17
	s_waitcnt lgkmcnt(0)
	v_cndmask_b32_e32 v22, 0, v23, vcc
	v_cmp_gt_u32_e32 vcc, 62, v32
	v_add_u32_e32 v18, v22, v18
	v_cndmask_b32_e64 v22, 0, 1, vcc
	v_lshlrev_b32_e32 v22, 1, v22
	v_add_lshl_u32 v34, v22, v29, 2
	ds_bpermute_b32 v22, v34, v18
	v_add_u32_e32 v35, 2, v32
	v_cmp_le_u32_e32 vcc, v35, v17
	v_add_u32_e32 v37, 4, v32
	v_add_u32_e32 v39, 8, v32
	s_waitcnt lgkmcnt(0)
	v_cndmask_b32_e32 v22, 0, v22, vcc
	v_cmp_gt_u32_e32 vcc, 60, v32
	v_add_u32_e32 v18, v18, v22
	v_cndmask_b32_e64 v22, 0, 1, vcc
	v_lshlrev_b32_e32 v22, 2, v22
	v_add_lshl_u32 v36, v22, v29, 2
	ds_bpermute_b32 v22, v36, v18
	v_cmp_le_u32_e32 vcc, v37, v17
	v_add_u32_e32 v42, 16, v32
	v_add_u32_e32 v44, 32, v32
	s_waitcnt lgkmcnt(0)
	v_cndmask_b32_e32 v22, 0, v22, vcc
	v_cmp_gt_u32_e32 vcc, 56, v32
	v_add_u32_e32 v18, v18, v22
	v_cndmask_b32_e64 v22, 0, 1, vcc
	v_lshlrev_b32_e32 v22, 3, v22
	v_add_lshl_u32 v38, v22, v29, 2
	ds_bpermute_b32 v22, v38, v18
	v_cmp_le_u32_e32 vcc, v39, v17
	s_waitcnt lgkmcnt(0)
	v_cndmask_b32_e32 v22, 0, v22, vcc
	v_cmp_gt_u32_e32 vcc, 48, v32
	v_add_u32_e32 v18, v18, v22
	v_cndmask_b32_e64 v22, 0, 1, vcc
	v_lshlrev_b32_e32 v22, 4, v22
	v_add_lshl_u32 v41, v22, v29, 2
	ds_bpermute_b32 v22, v41, v18
	v_cmp_le_u32_e32 vcc, v42, v17
	;; [unrolled: 9-line block ×3, first 2 shown]
	s_waitcnt lgkmcnt(0)
	v_cndmask_b32_e32 v17, 0, v22, vcc
	v_add_u32_e32 v18, v18, v17
	v_mov_b32_e32 v17, 0
	s_branch .LBB467_257
.LBB467_256:                            ;   in Loop: Header=BB467_257 Depth=1
	s_or_b64 exec, exec, s[34:35]
	v_cmp_eq_u16_sdwa s[34:35], v19, v15 src0_sel:BYTE_0 src1_sel:DWORD
	v_and_b32_e32 v22, s35, v21
	v_or_b32_e32 v22, 0x80000000, v22
	ds_bpermute_b32 v45, v33, v18
	v_and_b32_e32 v23, s34, v20
	v_ffbl_b32_e32 v22, v22
	v_add_u32_e32 v22, 32, v22
	v_ffbl_b32_e32 v23, v23
	v_min_u32_e32 v22, v23, v22
	v_cmp_lt_u32_e32 vcc, v32, v22
	s_waitcnt lgkmcnt(0)
	v_cndmask_b32_e32 v23, 0, v45, vcc
	v_add_u32_e32 v18, v23, v18
	ds_bpermute_b32 v23, v34, v18
	v_cmp_le_u32_e32 vcc, v35, v22
	v_subrev_u32_e32 v16, 64, v16
	s_waitcnt lgkmcnt(0)
	v_cndmask_b32_e32 v23, 0, v23, vcc
	v_add_u32_e32 v18, v18, v23
	ds_bpermute_b32 v23, v36, v18
	v_cmp_le_u32_e32 vcc, v37, v22
	s_waitcnt lgkmcnt(0)
	v_cndmask_b32_e32 v23, 0, v23, vcc
	v_add_u32_e32 v18, v18, v23
	ds_bpermute_b32 v23, v38, v18
	v_cmp_le_u32_e32 vcc, v39, v22
	;; [unrolled: 5-line block ×4, first 2 shown]
	s_waitcnt lgkmcnt(0)
	v_cndmask_b32_e32 v22, 0, v23, vcc
	v_add3_u32 v18, v22, v40, v18
.LBB467_257:                            ; =>This Loop Header: Depth=1
                                        ;     Child Loop BB467_260 Depth 2
	v_cmp_ne_u16_sdwa s[34:35], v19, v15 src0_sel:BYTE_0 src1_sel:DWORD
	v_cndmask_b32_e64 v19, 0, 1, s[34:35]
	;;#ASMSTART
	;;#ASMEND
	v_cmp_ne_u32_e32 vcc, 0, v19
	s_cmp_lg_u64 vcc, exec
	v_mov_b32_e32 v40, v18
	s_cbranch_scc1 .LBB467_262
; %bb.258:                              ;   in Loop: Header=BB467_257 Depth=1
	v_lshlrev_b64 v[18:19], 3, v[16:17]
	v_mov_b32_e32 v23, s19
	v_add_co_u32_e32 v22, vcc, s18, v18
	v_addc_co_u32_e32 v23, vcc, v23, v19, vcc
	global_load_dwordx2 v[18:19], v[22:23], off glc
	s_waitcnt vmcnt(0)
	v_cmp_eq_u16_sdwa s[36:37], v19, v17 src0_sel:BYTE_0 src1_sel:DWORD
	s_and_saveexec_b64 s[34:35], s[36:37]
	s_cbranch_execz .LBB467_256
; %bb.259:                              ;   in Loop: Header=BB467_257 Depth=1
	s_mov_b64 s[36:37], 0
.LBB467_260:                            ;   Parent Loop BB467_257 Depth=1
                                        ; =>  This Inner Loop Header: Depth=2
	global_load_dwordx2 v[18:19], v[22:23], off glc
	s_waitcnt vmcnt(0)
	v_cmp_ne_u16_sdwa s[38:39], v19, v17 src0_sel:BYTE_0 src1_sel:DWORD
	s_or_b64 s[36:37], s[38:39], s[36:37]
	s_andn2_b64 exec, exec, s[36:37]
	s_cbranch_execnz .LBB467_260
; %bb.261:                              ;   in Loop: Header=BB467_257 Depth=1
	s_or_b64 exec, exec, s[36:37]
	s_branch .LBB467_256
.LBB467_262:                            ;   in Loop: Header=BB467_257 Depth=1
                                        ; implicit-def: $vgpr18
                                        ; implicit-def: $vgpr19
	s_cbranch_execz .LBB467_257
; %bb.263:
	s_and_saveexec_b64 s[34:35], s[16:17]
	s_cbranch_execz .LBB467_265
; %bb.264:
	s_add_i32 s36, s33, 64
	s_mov_b32 s37, 0
	s_lshl_b64 s[36:37], s[36:37], 3
	s_add_u32 s36, s18, s36
	v_add_u32_e32 v16, v40, v14
	v_mov_b32_e32 v17, 2
	s_addc_u32 s37, s19, s37
	v_mov_b32_e32 v15, 0
	s_movk_i32 s33, 0x2800
	global_store_dwordx2 v15, v[16:17], s[36:37]
	v_add_u32_e64 v15, s33, 0
	ds_write2_b32 v15, v14, v40 offset1:2
.LBB467_265:
	s_or_b64 exec, exec, s[34:35]
	s_and_b64 exec, exec, s[0:1]
	s_cbranch_execz .LBB467_267
; %bb.266:
	v_mov_b32_e32 v14, 0
	ds_write_b32 v14, v40 offset:12
.LBB467_267:
	s_or_b64 exec, exec, s[26:27]
	v_mov_b32_e32 v14, 0
	s_waitcnt lgkmcnt(0)
	s_barrier
	ds_read_b32 v14, v14 offset:12
	v_cndmask_b32_e64 v15, v26, v24, s[16:17]
	v_cndmask_b32_e64 v15, v15, 0, s[0:1]
	s_movk_i32 s16, 0x2800
	s_waitcnt lgkmcnt(0)
	v_add_u32_e32 v26, v14, v15
	v_add_u32_e64 v14, s16, 0
	s_barrier
	ds_read2_b32 v[14:15], v14 offset1:2
	v_add_u32_e32 v24, v26, v1
	v_add_u32_e32 v22, v24, v25
	;; [unrolled: 1-line block ×4, first 2 shown]
	v_lshrrev_b64 v[16:17], 24, v[12:13]
	s_branch .LBB467_278
.LBB467_268:
                                        ; implicit-def: $vgpr18
                                        ; implicit-def: $vgpr20
                                        ; implicit-def: $vgpr22
                                        ; implicit-def: $vgpr24
                                        ; implicit-def: $vgpr26
                                        ; implicit-def: $vgpr15
	v_lshrrev_b64 v[16:17], 24, v[12:13]
	s_cbranch_execz .LBB467_278
; %bb.269:
	s_waitcnt lgkmcnt(0)
	v_mov_b32_dpp v14, v31 row_shr:1 row_mask:0xf bank_mask:0xf
	v_cndmask_b32_e64 v14, v14, 0, s[14:15]
	v_add_u32_e32 v14, v14, v31
	s_nop 1
	v_mov_b32_dpp v15, v14 row_shr:2 row_mask:0xf bank_mask:0xf
	v_cndmask_b32_e64 v15, 0, v15, s[12:13]
	v_add_u32_e32 v14, v14, v15
	s_nop 1
	v_mov_b32_dpp v15, v14 row_shr:4 row_mask:0xf bank_mask:0xf
	v_cndmask_b32_e64 v15, 0, v15, s[10:11]
	v_add_u32_e32 v14, v14, v15
	s_nop 1
	v_mov_b32_dpp v15, v14 row_shr:8 row_mask:0xf bank_mask:0xf
	v_cndmask_b32_e64 v15, 0, v15, s[8:9]
	v_add_u32_e32 v14, v14, v15
	s_nop 1
	v_mov_b32_dpp v15, v14 row_bcast:15 row_mask:0xf bank_mask:0xf
	v_cndmask_b32_e64 v15, v15, 0, s[6:7]
	v_add_u32_e32 v14, v14, v15
	s_nop 1
	v_mov_b32_dpp v15, v14 row_bcast:31 row_mask:0xf bank_mask:0xf
	v_cndmask_b32_e64 v15, 0, v15, s[2:3]
	v_add_u32_e32 v14, v14, v15
	s_and_saveexec_b64 s[2:3], s[4:5]
	s_cbranch_execz .LBB467_271
; %bb.270:
	v_lshlrev_b32_e32 v15, 2, v30
	ds_write_b32 v15, v14
.LBB467_271:
	s_or_b64 exec, exec, s[2:3]
	v_cmp_gt_u32_e32 vcc, 4, v0
	s_waitcnt lgkmcnt(0)
	s_barrier
	s_and_saveexec_b64 s[2:3], vcc
	s_cbranch_execz .LBB467_273
; %bb.272:
	v_lshlrev_b32_e32 v15, 2, v0
	ds_read_b32 v17, v15
	v_and_b32_e32 v18, 3, v29
	v_cmp_ne_u32_e32 vcc, 0, v18
	s_waitcnt lgkmcnt(0)
	v_mov_b32_dpp v19, v17 row_shr:1 row_mask:0xf bank_mask:0xf
	v_cndmask_b32_e32 v19, 0, v19, vcc
	v_add_u32_e32 v17, v19, v17
	v_cmp_lt_u32_e32 vcc, 1, v18
	s_nop 0
	v_mov_b32_dpp v19, v17 row_shr:2 row_mask:0xf bank_mask:0xf
	v_cndmask_b32_e32 v18, 0, v19, vcc
	v_add_u32_e32 v17, v17, v18
	ds_write_b32 v15, v17
.LBB467_273:
	s_or_b64 exec, exec, s[2:3]
	v_cmp_lt_u32_e32 vcc, 63, v0
	v_mov_b32_e32 v15, 0
	v_mov_b32_e32 v17, 0
	s_waitcnt lgkmcnt(0)
	s_barrier
	s_and_saveexec_b64 s[2:3], vcc
	s_cbranch_execz .LBB467_275
; %bb.274:
	v_lshl_add_u32 v17, v30, 2, -4
	ds_read_b32 v17, v17
.LBB467_275:
	s_or_b64 exec, exec, s[2:3]
	v_add_u32_e32 v18, -1, v29
	v_and_b32_e32 v19, 64, v29
	v_cmp_lt_i32_e32 vcc, v18, v19
	v_cndmask_b32_e32 v18, v18, v29, vcc
	s_waitcnt lgkmcnt(0)
	v_add_u32_e32 v14, v17, v14
	v_lshlrev_b32_e32 v18, 2, v18
	ds_bpermute_b32 v18, v18, v14
	ds_read_b32 v14, v15 offset:12
	s_and_saveexec_b64 s[2:3], s[0:1]
	s_cbranch_execz .LBB467_277
; %bb.276:
	v_mov_b32_e32 v19, 0
	v_mov_b32_e32 v15, 2
	s_waitcnt lgkmcnt(0)
	global_store_dwordx2 v19, v[14:15], s[18:19] offset:512
.LBB467_277:
	s_or_b64 exec, exec, s[2:3]
	v_cmp_eq_u32_e32 vcc, 0, v29
	s_waitcnt lgkmcnt(1)
	v_cndmask_b32_e32 v17, v18, v17, vcc
	v_cndmask_b32_e64 v26, v17, 0, s[0:1]
	v_add_u32_e32 v24, v26, v1
	v_add_u32_e32 v22, v24, v25
	;; [unrolled: 1-line block ×3, first 2 shown]
	v_mov_b32_e32 v15, 0
	v_add_u32_e32 v18, v20, v28
	s_waitcnt lgkmcnt(0)
	s_barrier
.LBB467_278:
	s_movk_i32 s2, 0x101
	s_waitcnt lgkmcnt(0)
	v_cmp_gt_u32_e32 vcc, s2, v14
	v_lshrrev_b32_e32 v1, 8, v12
	s_mov_b64 s[2:3], -1
	s_cbranch_vccnz .LBB467_282
; %bb.279:
	s_and_b64 vcc, exec, s[2:3]
	s_cbranch_vccnz .LBB467_298
.LBB467_280:
	s_and_b64 s[0:1], s[0:1], s[24:25]
	s_and_saveexec_b64 s[2:3], s[0:1]
	s_cbranch_execnz .LBB467_312
.LBB467_281:
	s_endpgm
.LBB467_282:
	v_add_u32_e32 v17, v15, v14
	v_cmp_lt_u32_e32 vcc, v26, v17
	s_or_b64 s[4:5], s[30:31], vcc
	s_and_saveexec_b64 s[2:3], s[4:5]
	s_cbranch_execz .LBB467_285
; %bb.283:
	v_and_b32_e32 v19, 1, v12
	v_cmp_eq_u32_e32 vcc, 1, v19
	s_and_b64 exec, exec, vcc
	s_cbranch_execz .LBB467_285
; %bb.284:
	s_lshl_b64 s[4:5], s[22:23], 3
	s_add_u32 s4, s28, s4
	v_mov_b32_e32 v27, 0
	s_addc_u32 s5, s29, s5
	v_lshlrev_b64 v[28:29], 3, v[26:27]
	v_mov_b32_e32 v19, s5
	v_add_co_u32_e32 v28, vcc, s4, v28
	v_addc_co_u32_e32 v29, vcc, v19, v29, vcc
	global_store_dwordx2 v[28:29], v[6:7], off
.LBB467_285:
	s_or_b64 exec, exec, s[2:3]
	v_cmp_lt_u32_e32 vcc, v24, v17
	s_or_b64 s[4:5], s[30:31], vcc
	s_and_saveexec_b64 s[2:3], s[4:5]
	s_cbranch_execz .LBB467_288
; %bb.286:
	v_and_b32_e32 v19, 1, v1
	v_cmp_eq_u32_e32 vcc, 1, v19
	s_and_b64 exec, exec, vcc
	s_cbranch_execz .LBB467_288
; %bb.287:
	s_lshl_b64 s[4:5], s[22:23], 3
	s_add_u32 s4, s28, s4
	v_mov_b32_e32 v25, 0
	s_addc_u32 s5, s29, s5
	v_lshlrev_b64 v[28:29], 3, v[24:25]
	v_mov_b32_e32 v19, s5
	v_add_co_u32_e32 v28, vcc, s4, v28
	v_addc_co_u32_e32 v29, vcc, v19, v29, vcc
	global_store_dwordx2 v[28:29], v[8:9], off
.LBB467_288:
	s_or_b64 exec, exec, s[2:3]
	v_cmp_lt_u32_e32 vcc, v22, v17
	s_or_b64 s[4:5], s[30:31], vcc
	s_and_saveexec_b64 s[2:3], s[4:5]
	s_cbranch_execz .LBB467_291
; %bb.289:
	v_mov_b32_e32 v19, 1
	v_and_b32_sdwa v19, v19, v12 dst_sel:DWORD dst_unused:UNUSED_PAD src0_sel:DWORD src1_sel:WORD_1
	v_cmp_eq_u32_e32 vcc, 1, v19
	s_and_b64 exec, exec, vcc
	s_cbranch_execz .LBB467_291
; %bb.290:
	s_lshl_b64 s[4:5], s[22:23], 3
	s_add_u32 s4, s28, s4
	v_mov_b32_e32 v23, 0
	s_addc_u32 s5, s29, s5
	v_lshlrev_b64 v[28:29], 3, v[22:23]
	v_mov_b32_e32 v19, s5
	v_add_co_u32_e32 v28, vcc, s4, v28
	v_addc_co_u32_e32 v29, vcc, v19, v29, vcc
	global_store_dwordx2 v[28:29], v[2:3], off
.LBB467_291:
	s_or_b64 exec, exec, s[2:3]
	v_cmp_lt_u32_e32 vcc, v20, v17
	s_or_b64 s[4:5], s[30:31], vcc
	s_and_saveexec_b64 s[2:3], s[4:5]
	s_cbranch_execz .LBB467_294
; %bb.292:
	v_and_b32_e32 v19, 1, v16
	v_cmp_eq_u32_e32 vcc, 1, v19
	s_and_b64 exec, exec, vcc
	s_cbranch_execz .LBB467_294
; %bb.293:
	s_lshl_b64 s[4:5], s[22:23], 3
	s_add_u32 s4, s28, s4
	v_mov_b32_e32 v21, 0
	s_addc_u32 s5, s29, s5
	v_lshlrev_b64 v[28:29], 3, v[20:21]
	v_mov_b32_e32 v19, s5
	v_add_co_u32_e32 v28, vcc, s4, v28
	v_addc_co_u32_e32 v29, vcc, v19, v29, vcc
	global_store_dwordx2 v[28:29], v[4:5], off
.LBB467_294:
	s_or_b64 exec, exec, s[2:3]
	v_cmp_lt_u32_e32 vcc, v18, v17
	s_or_b64 s[4:5], s[30:31], vcc
	s_and_saveexec_b64 s[2:3], s[4:5]
	s_cbranch_execz .LBB467_297
; %bb.295:
	v_and_b32_e32 v17, 1, v13
	v_cmp_eq_u32_e32 vcc, 1, v17
	s_and_b64 exec, exec, vcc
	s_cbranch_execz .LBB467_297
; %bb.296:
	s_lshl_b64 s[4:5], s[22:23], 3
	s_add_u32 s4, s28, s4
	v_mov_b32_e32 v19, 0
	s_addc_u32 s5, s29, s5
	v_lshlrev_b64 v[28:29], 3, v[18:19]
	v_mov_b32_e32 v17, s5
	v_add_co_u32_e32 v28, vcc, s4, v28
	v_addc_co_u32_e32 v29, vcc, v17, v29, vcc
	global_store_dwordx2 v[28:29], v[10:11], off
.LBB467_297:
	s_or_b64 exec, exec, s[2:3]
	s_branch .LBB467_280
.LBB467_298:
	v_and_b32_e32 v17, 1, v12
	v_cmp_eq_u32_e32 vcc, 1, v17
	s_and_saveexec_b64 s[2:3], vcc
	s_cbranch_execz .LBB467_300
; %bb.299:
	v_sub_u32_e32 v17, v26, v15
	v_lshlrev_b32_e32 v17, 3, v17
	ds_write_b64 v17, v[6:7]
.LBB467_300:
	s_or_b64 exec, exec, s[2:3]
	v_and_b32_e32 v1, 1, v1
	v_cmp_eq_u32_e32 vcc, 1, v1
	s_and_saveexec_b64 s[2:3], vcc
	s_cbranch_execz .LBB467_302
; %bb.301:
	v_sub_u32_e32 v1, v24, v15
	v_lshlrev_b32_e32 v1, 3, v1
	ds_write_b64 v1, v[8:9]
.LBB467_302:
	s_or_b64 exec, exec, s[2:3]
	v_mov_b32_e32 v1, 1
	v_and_b32_sdwa v1, v1, v12 dst_sel:DWORD dst_unused:UNUSED_PAD src0_sel:DWORD src1_sel:WORD_1
	v_cmp_eq_u32_e32 vcc, 1, v1
	s_and_saveexec_b64 s[2:3], vcc
	s_cbranch_execz .LBB467_304
; %bb.303:
	v_sub_u32_e32 v1, v22, v15
	v_lshlrev_b32_e32 v1, 3, v1
	ds_write_b64 v1, v[2:3]
.LBB467_304:
	s_or_b64 exec, exec, s[2:3]
	v_and_b32_e32 v1, 1, v16
	v_cmp_eq_u32_e32 vcc, 1, v1
	s_and_saveexec_b64 s[2:3], vcc
	s_cbranch_execz .LBB467_306
; %bb.305:
	v_sub_u32_e32 v1, v20, v15
	v_lshlrev_b32_e32 v1, 3, v1
	ds_write_b64 v1, v[4:5]
.LBB467_306:
	s_or_b64 exec, exec, s[2:3]
	v_and_b32_e32 v1, 1, v13
	v_cmp_eq_u32_e32 vcc, 1, v1
	s_and_saveexec_b64 s[2:3], vcc
	s_cbranch_execz .LBB467_308
; %bb.307:
	v_sub_u32_e32 v1, v18, v15
	v_lshlrev_b32_e32 v1, 3, v1
	ds_write_b64 v1, v[10:11]
.LBB467_308:
	s_or_b64 exec, exec, s[2:3]
	v_cmp_lt_u32_e32 vcc, v0, v14
	s_waitcnt lgkmcnt(0)
	s_barrier
	s_and_saveexec_b64 s[2:3], vcc
	s_cbranch_execz .LBB467_311
; %bb.309:
	v_mov_b32_e32 v1, 0
	v_mov_b32_e32 v2, v15
	v_mov_b32_e32 v3, v1
	v_lshlrev_b64 v[2:3], 3, v[2:3]
	v_mov_b32_e32 v4, s29
	v_add_co_u32_e32 v2, vcc, s28, v2
	v_addc_co_u32_e32 v3, vcc, v4, v3, vcc
	s_lshl_b64 s[4:5], s[22:23], 3
	v_mov_b32_e32 v4, s5
	v_add_co_u32_e32 v2, vcc, s4, v2
	v_addc_co_u32_e32 v3, vcc, v3, v4, vcc
	v_lshlrev_b32_e32 v4, 3, v0
	s_mov_b64 s[4:5], 0
.LBB467_310:                            ; =>This Inner Loop Header: Depth=1
	ds_read_b64 v[6:7], v4
	v_lshlrev_b64 v[8:9], 3, v[0:1]
	v_add_co_u32_e32 v8, vcc, v2, v8
	v_add_u32_e32 v0, 0x100, v0
	v_addc_co_u32_e32 v9, vcc, v3, v9, vcc
	v_cmp_ge_u32_e32 vcc, v0, v14
	v_add_u32_e32 v4, 0x800, v4
	s_or_b64 s[4:5], vcc, s[4:5]
	s_waitcnt lgkmcnt(0)
	global_store_dwordx2 v[8:9], v[6:7], off
	s_andn2_b64 exec, exec, s[4:5]
	s_cbranch_execnz .LBB467_310
.LBB467_311:
	s_or_b64 exec, exec, s[2:3]
	s_and_b64 s[0:1], s[0:1], s[24:25]
	s_and_saveexec_b64 s[2:3], s[0:1]
	s_cbranch_execz .LBB467_281
.LBB467_312:
	v_mov_b32_e32 v0, s23
	v_add_co_u32_e32 v1, vcc, s22, v14
	v_addc_co_u32_e32 v3, vcc, 0, v0, vcc
	v_add_co_u32_e32 v0, vcc, v1, v15
	v_mov_b32_e32 v2, 0
	v_addc_co_u32_e32 v1, vcc, 0, v3, vcc
	global_store_dwordx2 v2, v[0:1], s[20:21]
	s_endpgm
	.section	.rodata,"a",@progbits
	.p2align	6, 0x0
	.amdhsa_kernel _ZN7rocprim17ROCPRIM_400000_NS6detail17trampoline_kernelINS0_14default_configENS1_25partition_config_selectorILNS1_17partition_subalgoE8ElNS0_10empty_typeEbEEZZNS1_14partition_implILS5_8ELb0ES3_jPlPS6_PKS6_NS0_5tupleIJS9_S6_EEENSD_IJSA_SA_EEENS0_18inequality_wrapperIZN2at6native12_GLOBAL__N_124unique_dim_cuda_templateIiEESt5tupleIJNSH_6TensorESM_SM_EERKSM_lbbbEUlllE0_EEPmJS6_EEE10hipError_tPvRmT3_T4_T5_T6_T7_T9_mT8_P12ihipStream_tbDpT10_ENKUlT_T0_E_clISt17integral_constantIbLb0EES1B_IbLb1EEEEDaS17_S18_EUlS17_E_NS1_11comp_targetILNS1_3genE4ELNS1_11target_archE910ELNS1_3gpuE8ELNS1_3repE0EEENS1_30default_config_static_selectorELNS0_4arch9wavefront6targetE1EEEvT1_
		.amdhsa_group_segment_fixed_size 10252
		.amdhsa_private_segment_fixed_size 0
		.amdhsa_kernarg_size 136
		.amdhsa_user_sgpr_count 6
		.amdhsa_user_sgpr_private_segment_buffer 1
		.amdhsa_user_sgpr_dispatch_ptr 0
		.amdhsa_user_sgpr_queue_ptr 0
		.amdhsa_user_sgpr_kernarg_segment_ptr 1
		.amdhsa_user_sgpr_dispatch_id 0
		.amdhsa_user_sgpr_flat_scratch_init 0
		.amdhsa_user_sgpr_kernarg_preload_length 0
		.amdhsa_user_sgpr_kernarg_preload_offset 0
		.amdhsa_user_sgpr_private_segment_size 0
		.amdhsa_uses_dynamic_stack 0
		.amdhsa_system_sgpr_private_segment_wavefront_offset 0
		.amdhsa_system_sgpr_workgroup_id_x 1
		.amdhsa_system_sgpr_workgroup_id_y 0
		.amdhsa_system_sgpr_workgroup_id_z 0
		.amdhsa_system_sgpr_workgroup_info 0
		.amdhsa_system_vgpr_workitem_id 0
		.amdhsa_next_free_vgpr 46
		.amdhsa_next_free_sgpr 52
		.amdhsa_accum_offset 48
		.amdhsa_reserve_vcc 1
		.amdhsa_reserve_flat_scratch 0
		.amdhsa_float_round_mode_32 0
		.amdhsa_float_round_mode_16_64 0
		.amdhsa_float_denorm_mode_32 3
		.amdhsa_float_denorm_mode_16_64 3
		.amdhsa_dx10_clamp 1
		.amdhsa_ieee_mode 1
		.amdhsa_fp16_overflow 0
		.amdhsa_tg_split 0
		.amdhsa_exception_fp_ieee_invalid_op 0
		.amdhsa_exception_fp_denorm_src 0
		.amdhsa_exception_fp_ieee_div_zero 0
		.amdhsa_exception_fp_ieee_overflow 0
		.amdhsa_exception_fp_ieee_underflow 0
		.amdhsa_exception_fp_ieee_inexact 0
		.amdhsa_exception_int_div_zero 0
	.end_amdhsa_kernel
	.section	.text._ZN7rocprim17ROCPRIM_400000_NS6detail17trampoline_kernelINS0_14default_configENS1_25partition_config_selectorILNS1_17partition_subalgoE8ElNS0_10empty_typeEbEEZZNS1_14partition_implILS5_8ELb0ES3_jPlPS6_PKS6_NS0_5tupleIJS9_S6_EEENSD_IJSA_SA_EEENS0_18inequality_wrapperIZN2at6native12_GLOBAL__N_124unique_dim_cuda_templateIiEESt5tupleIJNSH_6TensorESM_SM_EERKSM_lbbbEUlllE0_EEPmJS6_EEE10hipError_tPvRmT3_T4_T5_T6_T7_T9_mT8_P12ihipStream_tbDpT10_ENKUlT_T0_E_clISt17integral_constantIbLb0EES1B_IbLb1EEEEDaS17_S18_EUlS17_E_NS1_11comp_targetILNS1_3genE4ELNS1_11target_archE910ELNS1_3gpuE8ELNS1_3repE0EEENS1_30default_config_static_selectorELNS0_4arch9wavefront6targetE1EEEvT1_,"axG",@progbits,_ZN7rocprim17ROCPRIM_400000_NS6detail17trampoline_kernelINS0_14default_configENS1_25partition_config_selectorILNS1_17partition_subalgoE8ElNS0_10empty_typeEbEEZZNS1_14partition_implILS5_8ELb0ES3_jPlPS6_PKS6_NS0_5tupleIJS9_S6_EEENSD_IJSA_SA_EEENS0_18inequality_wrapperIZN2at6native12_GLOBAL__N_124unique_dim_cuda_templateIiEESt5tupleIJNSH_6TensorESM_SM_EERKSM_lbbbEUlllE0_EEPmJS6_EEE10hipError_tPvRmT3_T4_T5_T6_T7_T9_mT8_P12ihipStream_tbDpT10_ENKUlT_T0_E_clISt17integral_constantIbLb0EES1B_IbLb1EEEEDaS17_S18_EUlS17_E_NS1_11comp_targetILNS1_3genE4ELNS1_11target_archE910ELNS1_3gpuE8ELNS1_3repE0EEENS1_30default_config_static_selectorELNS0_4arch9wavefront6targetE1EEEvT1_,comdat
.Lfunc_end467:
	.size	_ZN7rocprim17ROCPRIM_400000_NS6detail17trampoline_kernelINS0_14default_configENS1_25partition_config_selectorILNS1_17partition_subalgoE8ElNS0_10empty_typeEbEEZZNS1_14partition_implILS5_8ELb0ES3_jPlPS6_PKS6_NS0_5tupleIJS9_S6_EEENSD_IJSA_SA_EEENS0_18inequality_wrapperIZN2at6native12_GLOBAL__N_124unique_dim_cuda_templateIiEESt5tupleIJNSH_6TensorESM_SM_EERKSM_lbbbEUlllE0_EEPmJS6_EEE10hipError_tPvRmT3_T4_T5_T6_T7_T9_mT8_P12ihipStream_tbDpT10_ENKUlT_T0_E_clISt17integral_constantIbLb0EES1B_IbLb1EEEEDaS17_S18_EUlS17_E_NS1_11comp_targetILNS1_3genE4ELNS1_11target_archE910ELNS1_3gpuE8ELNS1_3repE0EEENS1_30default_config_static_selectorELNS0_4arch9wavefront6targetE1EEEvT1_, .Lfunc_end467-_ZN7rocprim17ROCPRIM_400000_NS6detail17trampoline_kernelINS0_14default_configENS1_25partition_config_selectorILNS1_17partition_subalgoE8ElNS0_10empty_typeEbEEZZNS1_14partition_implILS5_8ELb0ES3_jPlPS6_PKS6_NS0_5tupleIJS9_S6_EEENSD_IJSA_SA_EEENS0_18inequality_wrapperIZN2at6native12_GLOBAL__N_124unique_dim_cuda_templateIiEESt5tupleIJNSH_6TensorESM_SM_EERKSM_lbbbEUlllE0_EEPmJS6_EEE10hipError_tPvRmT3_T4_T5_T6_T7_T9_mT8_P12ihipStream_tbDpT10_ENKUlT_T0_E_clISt17integral_constantIbLb0EES1B_IbLb1EEEEDaS17_S18_EUlS17_E_NS1_11comp_targetILNS1_3genE4ELNS1_11target_archE910ELNS1_3gpuE8ELNS1_3repE0EEENS1_30default_config_static_selectorELNS0_4arch9wavefront6targetE1EEEvT1_
                                        ; -- End function
	.section	.AMDGPU.csdata,"",@progbits
; Kernel info:
; codeLenInByte = 11572
; NumSgprs: 56
; NumVgprs: 46
; NumAgprs: 0
; TotalNumVgprs: 46
; ScratchSize: 0
; MemoryBound: 0
; FloatMode: 240
; IeeeMode: 1
; LDSByteSize: 10252 bytes/workgroup (compile time only)
; SGPRBlocks: 6
; VGPRBlocks: 5
; NumSGPRsForWavesPerEU: 56
; NumVGPRsForWavesPerEU: 46
; AccumOffset: 48
; Occupancy: 6
; WaveLimiterHint : 1
; COMPUTE_PGM_RSRC2:SCRATCH_EN: 0
; COMPUTE_PGM_RSRC2:USER_SGPR: 6
; COMPUTE_PGM_RSRC2:TRAP_HANDLER: 0
; COMPUTE_PGM_RSRC2:TGID_X_EN: 1
; COMPUTE_PGM_RSRC2:TGID_Y_EN: 0
; COMPUTE_PGM_RSRC2:TGID_Z_EN: 0
; COMPUTE_PGM_RSRC2:TIDIG_COMP_CNT: 0
; COMPUTE_PGM_RSRC3_GFX90A:ACCUM_OFFSET: 11
; COMPUTE_PGM_RSRC3_GFX90A:TG_SPLIT: 0
	.section	.text._ZN7rocprim17ROCPRIM_400000_NS6detail17trampoline_kernelINS0_14default_configENS1_25partition_config_selectorILNS1_17partition_subalgoE8ElNS0_10empty_typeEbEEZZNS1_14partition_implILS5_8ELb0ES3_jPlPS6_PKS6_NS0_5tupleIJS9_S6_EEENSD_IJSA_SA_EEENS0_18inequality_wrapperIZN2at6native12_GLOBAL__N_124unique_dim_cuda_templateIiEESt5tupleIJNSH_6TensorESM_SM_EERKSM_lbbbEUlllE0_EEPmJS6_EEE10hipError_tPvRmT3_T4_T5_T6_T7_T9_mT8_P12ihipStream_tbDpT10_ENKUlT_T0_E_clISt17integral_constantIbLb0EES1B_IbLb1EEEEDaS17_S18_EUlS17_E_NS1_11comp_targetILNS1_3genE3ELNS1_11target_archE908ELNS1_3gpuE7ELNS1_3repE0EEENS1_30default_config_static_selectorELNS0_4arch9wavefront6targetE1EEEvT1_,"axG",@progbits,_ZN7rocprim17ROCPRIM_400000_NS6detail17trampoline_kernelINS0_14default_configENS1_25partition_config_selectorILNS1_17partition_subalgoE8ElNS0_10empty_typeEbEEZZNS1_14partition_implILS5_8ELb0ES3_jPlPS6_PKS6_NS0_5tupleIJS9_S6_EEENSD_IJSA_SA_EEENS0_18inequality_wrapperIZN2at6native12_GLOBAL__N_124unique_dim_cuda_templateIiEESt5tupleIJNSH_6TensorESM_SM_EERKSM_lbbbEUlllE0_EEPmJS6_EEE10hipError_tPvRmT3_T4_T5_T6_T7_T9_mT8_P12ihipStream_tbDpT10_ENKUlT_T0_E_clISt17integral_constantIbLb0EES1B_IbLb1EEEEDaS17_S18_EUlS17_E_NS1_11comp_targetILNS1_3genE3ELNS1_11target_archE908ELNS1_3gpuE7ELNS1_3repE0EEENS1_30default_config_static_selectorELNS0_4arch9wavefront6targetE1EEEvT1_,comdat
	.globl	_ZN7rocprim17ROCPRIM_400000_NS6detail17trampoline_kernelINS0_14default_configENS1_25partition_config_selectorILNS1_17partition_subalgoE8ElNS0_10empty_typeEbEEZZNS1_14partition_implILS5_8ELb0ES3_jPlPS6_PKS6_NS0_5tupleIJS9_S6_EEENSD_IJSA_SA_EEENS0_18inequality_wrapperIZN2at6native12_GLOBAL__N_124unique_dim_cuda_templateIiEESt5tupleIJNSH_6TensorESM_SM_EERKSM_lbbbEUlllE0_EEPmJS6_EEE10hipError_tPvRmT3_T4_T5_T6_T7_T9_mT8_P12ihipStream_tbDpT10_ENKUlT_T0_E_clISt17integral_constantIbLb0EES1B_IbLb1EEEEDaS17_S18_EUlS17_E_NS1_11comp_targetILNS1_3genE3ELNS1_11target_archE908ELNS1_3gpuE7ELNS1_3repE0EEENS1_30default_config_static_selectorELNS0_4arch9wavefront6targetE1EEEvT1_ ; -- Begin function _ZN7rocprim17ROCPRIM_400000_NS6detail17trampoline_kernelINS0_14default_configENS1_25partition_config_selectorILNS1_17partition_subalgoE8ElNS0_10empty_typeEbEEZZNS1_14partition_implILS5_8ELb0ES3_jPlPS6_PKS6_NS0_5tupleIJS9_S6_EEENSD_IJSA_SA_EEENS0_18inequality_wrapperIZN2at6native12_GLOBAL__N_124unique_dim_cuda_templateIiEESt5tupleIJNSH_6TensorESM_SM_EERKSM_lbbbEUlllE0_EEPmJS6_EEE10hipError_tPvRmT3_T4_T5_T6_T7_T9_mT8_P12ihipStream_tbDpT10_ENKUlT_T0_E_clISt17integral_constantIbLb0EES1B_IbLb1EEEEDaS17_S18_EUlS17_E_NS1_11comp_targetILNS1_3genE3ELNS1_11target_archE908ELNS1_3gpuE7ELNS1_3repE0EEENS1_30default_config_static_selectorELNS0_4arch9wavefront6targetE1EEEvT1_
	.p2align	8
	.type	_ZN7rocprim17ROCPRIM_400000_NS6detail17trampoline_kernelINS0_14default_configENS1_25partition_config_selectorILNS1_17partition_subalgoE8ElNS0_10empty_typeEbEEZZNS1_14partition_implILS5_8ELb0ES3_jPlPS6_PKS6_NS0_5tupleIJS9_S6_EEENSD_IJSA_SA_EEENS0_18inequality_wrapperIZN2at6native12_GLOBAL__N_124unique_dim_cuda_templateIiEESt5tupleIJNSH_6TensorESM_SM_EERKSM_lbbbEUlllE0_EEPmJS6_EEE10hipError_tPvRmT3_T4_T5_T6_T7_T9_mT8_P12ihipStream_tbDpT10_ENKUlT_T0_E_clISt17integral_constantIbLb0EES1B_IbLb1EEEEDaS17_S18_EUlS17_E_NS1_11comp_targetILNS1_3genE3ELNS1_11target_archE908ELNS1_3gpuE7ELNS1_3repE0EEENS1_30default_config_static_selectorELNS0_4arch9wavefront6targetE1EEEvT1_,@function
_ZN7rocprim17ROCPRIM_400000_NS6detail17trampoline_kernelINS0_14default_configENS1_25partition_config_selectorILNS1_17partition_subalgoE8ElNS0_10empty_typeEbEEZZNS1_14partition_implILS5_8ELb0ES3_jPlPS6_PKS6_NS0_5tupleIJS9_S6_EEENSD_IJSA_SA_EEENS0_18inequality_wrapperIZN2at6native12_GLOBAL__N_124unique_dim_cuda_templateIiEESt5tupleIJNSH_6TensorESM_SM_EERKSM_lbbbEUlllE0_EEPmJS6_EEE10hipError_tPvRmT3_T4_T5_T6_T7_T9_mT8_P12ihipStream_tbDpT10_ENKUlT_T0_E_clISt17integral_constantIbLb0EES1B_IbLb1EEEEDaS17_S18_EUlS17_E_NS1_11comp_targetILNS1_3genE3ELNS1_11target_archE908ELNS1_3gpuE7ELNS1_3repE0EEENS1_30default_config_static_selectorELNS0_4arch9wavefront6targetE1EEEvT1_: ; @_ZN7rocprim17ROCPRIM_400000_NS6detail17trampoline_kernelINS0_14default_configENS1_25partition_config_selectorILNS1_17partition_subalgoE8ElNS0_10empty_typeEbEEZZNS1_14partition_implILS5_8ELb0ES3_jPlPS6_PKS6_NS0_5tupleIJS9_S6_EEENSD_IJSA_SA_EEENS0_18inequality_wrapperIZN2at6native12_GLOBAL__N_124unique_dim_cuda_templateIiEESt5tupleIJNSH_6TensorESM_SM_EERKSM_lbbbEUlllE0_EEPmJS6_EEE10hipError_tPvRmT3_T4_T5_T6_T7_T9_mT8_P12ihipStream_tbDpT10_ENKUlT_T0_E_clISt17integral_constantIbLb0EES1B_IbLb1EEEEDaS17_S18_EUlS17_E_NS1_11comp_targetILNS1_3genE3ELNS1_11target_archE908ELNS1_3gpuE7ELNS1_3repE0EEENS1_30default_config_static_selectorELNS0_4arch9wavefront6targetE1EEEvT1_
; %bb.0:
	.section	.rodata,"a",@progbits
	.p2align	6, 0x0
	.amdhsa_kernel _ZN7rocprim17ROCPRIM_400000_NS6detail17trampoline_kernelINS0_14default_configENS1_25partition_config_selectorILNS1_17partition_subalgoE8ElNS0_10empty_typeEbEEZZNS1_14partition_implILS5_8ELb0ES3_jPlPS6_PKS6_NS0_5tupleIJS9_S6_EEENSD_IJSA_SA_EEENS0_18inequality_wrapperIZN2at6native12_GLOBAL__N_124unique_dim_cuda_templateIiEESt5tupleIJNSH_6TensorESM_SM_EERKSM_lbbbEUlllE0_EEPmJS6_EEE10hipError_tPvRmT3_T4_T5_T6_T7_T9_mT8_P12ihipStream_tbDpT10_ENKUlT_T0_E_clISt17integral_constantIbLb0EES1B_IbLb1EEEEDaS17_S18_EUlS17_E_NS1_11comp_targetILNS1_3genE3ELNS1_11target_archE908ELNS1_3gpuE7ELNS1_3repE0EEENS1_30default_config_static_selectorELNS0_4arch9wavefront6targetE1EEEvT1_
		.amdhsa_group_segment_fixed_size 0
		.amdhsa_private_segment_fixed_size 0
		.amdhsa_kernarg_size 136
		.amdhsa_user_sgpr_count 6
		.amdhsa_user_sgpr_private_segment_buffer 1
		.amdhsa_user_sgpr_dispatch_ptr 0
		.amdhsa_user_sgpr_queue_ptr 0
		.amdhsa_user_sgpr_kernarg_segment_ptr 1
		.amdhsa_user_sgpr_dispatch_id 0
		.amdhsa_user_sgpr_flat_scratch_init 0
		.amdhsa_user_sgpr_kernarg_preload_length 0
		.amdhsa_user_sgpr_kernarg_preload_offset 0
		.amdhsa_user_sgpr_private_segment_size 0
		.amdhsa_uses_dynamic_stack 0
		.amdhsa_system_sgpr_private_segment_wavefront_offset 0
		.amdhsa_system_sgpr_workgroup_id_x 1
		.amdhsa_system_sgpr_workgroup_id_y 0
		.amdhsa_system_sgpr_workgroup_id_z 0
		.amdhsa_system_sgpr_workgroup_info 0
		.amdhsa_system_vgpr_workitem_id 0
		.amdhsa_next_free_vgpr 1
		.amdhsa_next_free_sgpr 0
		.amdhsa_accum_offset 4
		.amdhsa_reserve_vcc 0
		.amdhsa_reserve_flat_scratch 0
		.amdhsa_float_round_mode_32 0
		.amdhsa_float_round_mode_16_64 0
		.amdhsa_float_denorm_mode_32 3
		.amdhsa_float_denorm_mode_16_64 3
		.amdhsa_dx10_clamp 1
		.amdhsa_ieee_mode 1
		.amdhsa_fp16_overflow 0
		.amdhsa_tg_split 0
		.amdhsa_exception_fp_ieee_invalid_op 0
		.amdhsa_exception_fp_denorm_src 0
		.amdhsa_exception_fp_ieee_div_zero 0
		.amdhsa_exception_fp_ieee_overflow 0
		.amdhsa_exception_fp_ieee_underflow 0
		.amdhsa_exception_fp_ieee_inexact 0
		.amdhsa_exception_int_div_zero 0
	.end_amdhsa_kernel
	.section	.text._ZN7rocprim17ROCPRIM_400000_NS6detail17trampoline_kernelINS0_14default_configENS1_25partition_config_selectorILNS1_17partition_subalgoE8ElNS0_10empty_typeEbEEZZNS1_14partition_implILS5_8ELb0ES3_jPlPS6_PKS6_NS0_5tupleIJS9_S6_EEENSD_IJSA_SA_EEENS0_18inequality_wrapperIZN2at6native12_GLOBAL__N_124unique_dim_cuda_templateIiEESt5tupleIJNSH_6TensorESM_SM_EERKSM_lbbbEUlllE0_EEPmJS6_EEE10hipError_tPvRmT3_T4_T5_T6_T7_T9_mT8_P12ihipStream_tbDpT10_ENKUlT_T0_E_clISt17integral_constantIbLb0EES1B_IbLb1EEEEDaS17_S18_EUlS17_E_NS1_11comp_targetILNS1_3genE3ELNS1_11target_archE908ELNS1_3gpuE7ELNS1_3repE0EEENS1_30default_config_static_selectorELNS0_4arch9wavefront6targetE1EEEvT1_,"axG",@progbits,_ZN7rocprim17ROCPRIM_400000_NS6detail17trampoline_kernelINS0_14default_configENS1_25partition_config_selectorILNS1_17partition_subalgoE8ElNS0_10empty_typeEbEEZZNS1_14partition_implILS5_8ELb0ES3_jPlPS6_PKS6_NS0_5tupleIJS9_S6_EEENSD_IJSA_SA_EEENS0_18inequality_wrapperIZN2at6native12_GLOBAL__N_124unique_dim_cuda_templateIiEESt5tupleIJNSH_6TensorESM_SM_EERKSM_lbbbEUlllE0_EEPmJS6_EEE10hipError_tPvRmT3_T4_T5_T6_T7_T9_mT8_P12ihipStream_tbDpT10_ENKUlT_T0_E_clISt17integral_constantIbLb0EES1B_IbLb1EEEEDaS17_S18_EUlS17_E_NS1_11comp_targetILNS1_3genE3ELNS1_11target_archE908ELNS1_3gpuE7ELNS1_3repE0EEENS1_30default_config_static_selectorELNS0_4arch9wavefront6targetE1EEEvT1_,comdat
.Lfunc_end468:
	.size	_ZN7rocprim17ROCPRIM_400000_NS6detail17trampoline_kernelINS0_14default_configENS1_25partition_config_selectorILNS1_17partition_subalgoE8ElNS0_10empty_typeEbEEZZNS1_14partition_implILS5_8ELb0ES3_jPlPS6_PKS6_NS0_5tupleIJS9_S6_EEENSD_IJSA_SA_EEENS0_18inequality_wrapperIZN2at6native12_GLOBAL__N_124unique_dim_cuda_templateIiEESt5tupleIJNSH_6TensorESM_SM_EERKSM_lbbbEUlllE0_EEPmJS6_EEE10hipError_tPvRmT3_T4_T5_T6_T7_T9_mT8_P12ihipStream_tbDpT10_ENKUlT_T0_E_clISt17integral_constantIbLb0EES1B_IbLb1EEEEDaS17_S18_EUlS17_E_NS1_11comp_targetILNS1_3genE3ELNS1_11target_archE908ELNS1_3gpuE7ELNS1_3repE0EEENS1_30default_config_static_selectorELNS0_4arch9wavefront6targetE1EEEvT1_, .Lfunc_end468-_ZN7rocprim17ROCPRIM_400000_NS6detail17trampoline_kernelINS0_14default_configENS1_25partition_config_selectorILNS1_17partition_subalgoE8ElNS0_10empty_typeEbEEZZNS1_14partition_implILS5_8ELb0ES3_jPlPS6_PKS6_NS0_5tupleIJS9_S6_EEENSD_IJSA_SA_EEENS0_18inequality_wrapperIZN2at6native12_GLOBAL__N_124unique_dim_cuda_templateIiEESt5tupleIJNSH_6TensorESM_SM_EERKSM_lbbbEUlllE0_EEPmJS6_EEE10hipError_tPvRmT3_T4_T5_T6_T7_T9_mT8_P12ihipStream_tbDpT10_ENKUlT_T0_E_clISt17integral_constantIbLb0EES1B_IbLb1EEEEDaS17_S18_EUlS17_E_NS1_11comp_targetILNS1_3genE3ELNS1_11target_archE908ELNS1_3gpuE7ELNS1_3repE0EEENS1_30default_config_static_selectorELNS0_4arch9wavefront6targetE1EEEvT1_
                                        ; -- End function
	.section	.AMDGPU.csdata,"",@progbits
; Kernel info:
; codeLenInByte = 0
; NumSgprs: 4
; NumVgprs: 0
; NumAgprs: 0
; TotalNumVgprs: 0
; ScratchSize: 0
; MemoryBound: 0
; FloatMode: 240
; IeeeMode: 1
; LDSByteSize: 0 bytes/workgroup (compile time only)
; SGPRBlocks: 0
; VGPRBlocks: 0
; NumSGPRsForWavesPerEU: 4
; NumVGPRsForWavesPerEU: 1
; AccumOffset: 4
; Occupancy: 8
; WaveLimiterHint : 0
; COMPUTE_PGM_RSRC2:SCRATCH_EN: 0
; COMPUTE_PGM_RSRC2:USER_SGPR: 6
; COMPUTE_PGM_RSRC2:TRAP_HANDLER: 0
; COMPUTE_PGM_RSRC2:TGID_X_EN: 1
; COMPUTE_PGM_RSRC2:TGID_Y_EN: 0
; COMPUTE_PGM_RSRC2:TGID_Z_EN: 0
; COMPUTE_PGM_RSRC2:TIDIG_COMP_CNT: 0
; COMPUTE_PGM_RSRC3_GFX90A:ACCUM_OFFSET: 0
; COMPUTE_PGM_RSRC3_GFX90A:TG_SPLIT: 0
	.section	.text._ZN7rocprim17ROCPRIM_400000_NS6detail17trampoline_kernelINS0_14default_configENS1_25partition_config_selectorILNS1_17partition_subalgoE8ElNS0_10empty_typeEbEEZZNS1_14partition_implILS5_8ELb0ES3_jPlPS6_PKS6_NS0_5tupleIJS9_S6_EEENSD_IJSA_SA_EEENS0_18inequality_wrapperIZN2at6native12_GLOBAL__N_124unique_dim_cuda_templateIiEESt5tupleIJNSH_6TensorESM_SM_EERKSM_lbbbEUlllE0_EEPmJS6_EEE10hipError_tPvRmT3_T4_T5_T6_T7_T9_mT8_P12ihipStream_tbDpT10_ENKUlT_T0_E_clISt17integral_constantIbLb0EES1B_IbLb1EEEEDaS17_S18_EUlS17_E_NS1_11comp_targetILNS1_3genE2ELNS1_11target_archE906ELNS1_3gpuE6ELNS1_3repE0EEENS1_30default_config_static_selectorELNS0_4arch9wavefront6targetE1EEEvT1_,"axG",@progbits,_ZN7rocprim17ROCPRIM_400000_NS6detail17trampoline_kernelINS0_14default_configENS1_25partition_config_selectorILNS1_17partition_subalgoE8ElNS0_10empty_typeEbEEZZNS1_14partition_implILS5_8ELb0ES3_jPlPS6_PKS6_NS0_5tupleIJS9_S6_EEENSD_IJSA_SA_EEENS0_18inequality_wrapperIZN2at6native12_GLOBAL__N_124unique_dim_cuda_templateIiEESt5tupleIJNSH_6TensorESM_SM_EERKSM_lbbbEUlllE0_EEPmJS6_EEE10hipError_tPvRmT3_T4_T5_T6_T7_T9_mT8_P12ihipStream_tbDpT10_ENKUlT_T0_E_clISt17integral_constantIbLb0EES1B_IbLb1EEEEDaS17_S18_EUlS17_E_NS1_11comp_targetILNS1_3genE2ELNS1_11target_archE906ELNS1_3gpuE6ELNS1_3repE0EEENS1_30default_config_static_selectorELNS0_4arch9wavefront6targetE1EEEvT1_,comdat
	.globl	_ZN7rocprim17ROCPRIM_400000_NS6detail17trampoline_kernelINS0_14default_configENS1_25partition_config_selectorILNS1_17partition_subalgoE8ElNS0_10empty_typeEbEEZZNS1_14partition_implILS5_8ELb0ES3_jPlPS6_PKS6_NS0_5tupleIJS9_S6_EEENSD_IJSA_SA_EEENS0_18inequality_wrapperIZN2at6native12_GLOBAL__N_124unique_dim_cuda_templateIiEESt5tupleIJNSH_6TensorESM_SM_EERKSM_lbbbEUlllE0_EEPmJS6_EEE10hipError_tPvRmT3_T4_T5_T6_T7_T9_mT8_P12ihipStream_tbDpT10_ENKUlT_T0_E_clISt17integral_constantIbLb0EES1B_IbLb1EEEEDaS17_S18_EUlS17_E_NS1_11comp_targetILNS1_3genE2ELNS1_11target_archE906ELNS1_3gpuE6ELNS1_3repE0EEENS1_30default_config_static_selectorELNS0_4arch9wavefront6targetE1EEEvT1_ ; -- Begin function _ZN7rocprim17ROCPRIM_400000_NS6detail17trampoline_kernelINS0_14default_configENS1_25partition_config_selectorILNS1_17partition_subalgoE8ElNS0_10empty_typeEbEEZZNS1_14partition_implILS5_8ELb0ES3_jPlPS6_PKS6_NS0_5tupleIJS9_S6_EEENSD_IJSA_SA_EEENS0_18inequality_wrapperIZN2at6native12_GLOBAL__N_124unique_dim_cuda_templateIiEESt5tupleIJNSH_6TensorESM_SM_EERKSM_lbbbEUlllE0_EEPmJS6_EEE10hipError_tPvRmT3_T4_T5_T6_T7_T9_mT8_P12ihipStream_tbDpT10_ENKUlT_T0_E_clISt17integral_constantIbLb0EES1B_IbLb1EEEEDaS17_S18_EUlS17_E_NS1_11comp_targetILNS1_3genE2ELNS1_11target_archE906ELNS1_3gpuE6ELNS1_3repE0EEENS1_30default_config_static_selectorELNS0_4arch9wavefront6targetE1EEEvT1_
	.p2align	8
	.type	_ZN7rocprim17ROCPRIM_400000_NS6detail17trampoline_kernelINS0_14default_configENS1_25partition_config_selectorILNS1_17partition_subalgoE8ElNS0_10empty_typeEbEEZZNS1_14partition_implILS5_8ELb0ES3_jPlPS6_PKS6_NS0_5tupleIJS9_S6_EEENSD_IJSA_SA_EEENS0_18inequality_wrapperIZN2at6native12_GLOBAL__N_124unique_dim_cuda_templateIiEESt5tupleIJNSH_6TensorESM_SM_EERKSM_lbbbEUlllE0_EEPmJS6_EEE10hipError_tPvRmT3_T4_T5_T6_T7_T9_mT8_P12ihipStream_tbDpT10_ENKUlT_T0_E_clISt17integral_constantIbLb0EES1B_IbLb1EEEEDaS17_S18_EUlS17_E_NS1_11comp_targetILNS1_3genE2ELNS1_11target_archE906ELNS1_3gpuE6ELNS1_3repE0EEENS1_30default_config_static_selectorELNS0_4arch9wavefront6targetE1EEEvT1_,@function
_ZN7rocprim17ROCPRIM_400000_NS6detail17trampoline_kernelINS0_14default_configENS1_25partition_config_selectorILNS1_17partition_subalgoE8ElNS0_10empty_typeEbEEZZNS1_14partition_implILS5_8ELb0ES3_jPlPS6_PKS6_NS0_5tupleIJS9_S6_EEENSD_IJSA_SA_EEENS0_18inequality_wrapperIZN2at6native12_GLOBAL__N_124unique_dim_cuda_templateIiEESt5tupleIJNSH_6TensorESM_SM_EERKSM_lbbbEUlllE0_EEPmJS6_EEE10hipError_tPvRmT3_T4_T5_T6_T7_T9_mT8_P12ihipStream_tbDpT10_ENKUlT_T0_E_clISt17integral_constantIbLb0EES1B_IbLb1EEEEDaS17_S18_EUlS17_E_NS1_11comp_targetILNS1_3genE2ELNS1_11target_archE906ELNS1_3gpuE6ELNS1_3repE0EEENS1_30default_config_static_selectorELNS0_4arch9wavefront6targetE1EEEvT1_: ; @_ZN7rocprim17ROCPRIM_400000_NS6detail17trampoline_kernelINS0_14default_configENS1_25partition_config_selectorILNS1_17partition_subalgoE8ElNS0_10empty_typeEbEEZZNS1_14partition_implILS5_8ELb0ES3_jPlPS6_PKS6_NS0_5tupleIJS9_S6_EEENSD_IJSA_SA_EEENS0_18inequality_wrapperIZN2at6native12_GLOBAL__N_124unique_dim_cuda_templateIiEESt5tupleIJNSH_6TensorESM_SM_EERKSM_lbbbEUlllE0_EEPmJS6_EEE10hipError_tPvRmT3_T4_T5_T6_T7_T9_mT8_P12ihipStream_tbDpT10_ENKUlT_T0_E_clISt17integral_constantIbLb0EES1B_IbLb1EEEEDaS17_S18_EUlS17_E_NS1_11comp_targetILNS1_3genE2ELNS1_11target_archE906ELNS1_3gpuE6ELNS1_3repE0EEENS1_30default_config_static_selectorELNS0_4arch9wavefront6targetE1EEEvT1_
; %bb.0:
	.section	.rodata,"a",@progbits
	.p2align	6, 0x0
	.amdhsa_kernel _ZN7rocprim17ROCPRIM_400000_NS6detail17trampoline_kernelINS0_14default_configENS1_25partition_config_selectorILNS1_17partition_subalgoE8ElNS0_10empty_typeEbEEZZNS1_14partition_implILS5_8ELb0ES3_jPlPS6_PKS6_NS0_5tupleIJS9_S6_EEENSD_IJSA_SA_EEENS0_18inequality_wrapperIZN2at6native12_GLOBAL__N_124unique_dim_cuda_templateIiEESt5tupleIJNSH_6TensorESM_SM_EERKSM_lbbbEUlllE0_EEPmJS6_EEE10hipError_tPvRmT3_T4_T5_T6_T7_T9_mT8_P12ihipStream_tbDpT10_ENKUlT_T0_E_clISt17integral_constantIbLb0EES1B_IbLb1EEEEDaS17_S18_EUlS17_E_NS1_11comp_targetILNS1_3genE2ELNS1_11target_archE906ELNS1_3gpuE6ELNS1_3repE0EEENS1_30default_config_static_selectorELNS0_4arch9wavefront6targetE1EEEvT1_
		.amdhsa_group_segment_fixed_size 0
		.amdhsa_private_segment_fixed_size 0
		.amdhsa_kernarg_size 136
		.amdhsa_user_sgpr_count 6
		.amdhsa_user_sgpr_private_segment_buffer 1
		.amdhsa_user_sgpr_dispatch_ptr 0
		.amdhsa_user_sgpr_queue_ptr 0
		.amdhsa_user_sgpr_kernarg_segment_ptr 1
		.amdhsa_user_sgpr_dispatch_id 0
		.amdhsa_user_sgpr_flat_scratch_init 0
		.amdhsa_user_sgpr_kernarg_preload_length 0
		.amdhsa_user_sgpr_kernarg_preload_offset 0
		.amdhsa_user_sgpr_private_segment_size 0
		.amdhsa_uses_dynamic_stack 0
		.amdhsa_system_sgpr_private_segment_wavefront_offset 0
		.amdhsa_system_sgpr_workgroup_id_x 1
		.amdhsa_system_sgpr_workgroup_id_y 0
		.amdhsa_system_sgpr_workgroup_id_z 0
		.amdhsa_system_sgpr_workgroup_info 0
		.amdhsa_system_vgpr_workitem_id 0
		.amdhsa_next_free_vgpr 1
		.amdhsa_next_free_sgpr 0
		.amdhsa_accum_offset 4
		.amdhsa_reserve_vcc 0
		.amdhsa_reserve_flat_scratch 0
		.amdhsa_float_round_mode_32 0
		.amdhsa_float_round_mode_16_64 0
		.amdhsa_float_denorm_mode_32 3
		.amdhsa_float_denorm_mode_16_64 3
		.amdhsa_dx10_clamp 1
		.amdhsa_ieee_mode 1
		.amdhsa_fp16_overflow 0
		.amdhsa_tg_split 0
		.amdhsa_exception_fp_ieee_invalid_op 0
		.amdhsa_exception_fp_denorm_src 0
		.amdhsa_exception_fp_ieee_div_zero 0
		.amdhsa_exception_fp_ieee_overflow 0
		.amdhsa_exception_fp_ieee_underflow 0
		.amdhsa_exception_fp_ieee_inexact 0
		.amdhsa_exception_int_div_zero 0
	.end_amdhsa_kernel
	.section	.text._ZN7rocprim17ROCPRIM_400000_NS6detail17trampoline_kernelINS0_14default_configENS1_25partition_config_selectorILNS1_17partition_subalgoE8ElNS0_10empty_typeEbEEZZNS1_14partition_implILS5_8ELb0ES3_jPlPS6_PKS6_NS0_5tupleIJS9_S6_EEENSD_IJSA_SA_EEENS0_18inequality_wrapperIZN2at6native12_GLOBAL__N_124unique_dim_cuda_templateIiEESt5tupleIJNSH_6TensorESM_SM_EERKSM_lbbbEUlllE0_EEPmJS6_EEE10hipError_tPvRmT3_T4_T5_T6_T7_T9_mT8_P12ihipStream_tbDpT10_ENKUlT_T0_E_clISt17integral_constantIbLb0EES1B_IbLb1EEEEDaS17_S18_EUlS17_E_NS1_11comp_targetILNS1_3genE2ELNS1_11target_archE906ELNS1_3gpuE6ELNS1_3repE0EEENS1_30default_config_static_selectorELNS0_4arch9wavefront6targetE1EEEvT1_,"axG",@progbits,_ZN7rocprim17ROCPRIM_400000_NS6detail17trampoline_kernelINS0_14default_configENS1_25partition_config_selectorILNS1_17partition_subalgoE8ElNS0_10empty_typeEbEEZZNS1_14partition_implILS5_8ELb0ES3_jPlPS6_PKS6_NS0_5tupleIJS9_S6_EEENSD_IJSA_SA_EEENS0_18inequality_wrapperIZN2at6native12_GLOBAL__N_124unique_dim_cuda_templateIiEESt5tupleIJNSH_6TensorESM_SM_EERKSM_lbbbEUlllE0_EEPmJS6_EEE10hipError_tPvRmT3_T4_T5_T6_T7_T9_mT8_P12ihipStream_tbDpT10_ENKUlT_T0_E_clISt17integral_constantIbLb0EES1B_IbLb1EEEEDaS17_S18_EUlS17_E_NS1_11comp_targetILNS1_3genE2ELNS1_11target_archE906ELNS1_3gpuE6ELNS1_3repE0EEENS1_30default_config_static_selectorELNS0_4arch9wavefront6targetE1EEEvT1_,comdat
.Lfunc_end469:
	.size	_ZN7rocprim17ROCPRIM_400000_NS6detail17trampoline_kernelINS0_14default_configENS1_25partition_config_selectorILNS1_17partition_subalgoE8ElNS0_10empty_typeEbEEZZNS1_14partition_implILS5_8ELb0ES3_jPlPS6_PKS6_NS0_5tupleIJS9_S6_EEENSD_IJSA_SA_EEENS0_18inequality_wrapperIZN2at6native12_GLOBAL__N_124unique_dim_cuda_templateIiEESt5tupleIJNSH_6TensorESM_SM_EERKSM_lbbbEUlllE0_EEPmJS6_EEE10hipError_tPvRmT3_T4_T5_T6_T7_T9_mT8_P12ihipStream_tbDpT10_ENKUlT_T0_E_clISt17integral_constantIbLb0EES1B_IbLb1EEEEDaS17_S18_EUlS17_E_NS1_11comp_targetILNS1_3genE2ELNS1_11target_archE906ELNS1_3gpuE6ELNS1_3repE0EEENS1_30default_config_static_selectorELNS0_4arch9wavefront6targetE1EEEvT1_, .Lfunc_end469-_ZN7rocprim17ROCPRIM_400000_NS6detail17trampoline_kernelINS0_14default_configENS1_25partition_config_selectorILNS1_17partition_subalgoE8ElNS0_10empty_typeEbEEZZNS1_14partition_implILS5_8ELb0ES3_jPlPS6_PKS6_NS0_5tupleIJS9_S6_EEENSD_IJSA_SA_EEENS0_18inequality_wrapperIZN2at6native12_GLOBAL__N_124unique_dim_cuda_templateIiEESt5tupleIJNSH_6TensorESM_SM_EERKSM_lbbbEUlllE0_EEPmJS6_EEE10hipError_tPvRmT3_T4_T5_T6_T7_T9_mT8_P12ihipStream_tbDpT10_ENKUlT_T0_E_clISt17integral_constantIbLb0EES1B_IbLb1EEEEDaS17_S18_EUlS17_E_NS1_11comp_targetILNS1_3genE2ELNS1_11target_archE906ELNS1_3gpuE6ELNS1_3repE0EEENS1_30default_config_static_selectorELNS0_4arch9wavefront6targetE1EEEvT1_
                                        ; -- End function
	.section	.AMDGPU.csdata,"",@progbits
; Kernel info:
; codeLenInByte = 0
; NumSgprs: 4
; NumVgprs: 0
; NumAgprs: 0
; TotalNumVgprs: 0
; ScratchSize: 0
; MemoryBound: 0
; FloatMode: 240
; IeeeMode: 1
; LDSByteSize: 0 bytes/workgroup (compile time only)
; SGPRBlocks: 0
; VGPRBlocks: 0
; NumSGPRsForWavesPerEU: 4
; NumVGPRsForWavesPerEU: 1
; AccumOffset: 4
; Occupancy: 8
; WaveLimiterHint : 0
; COMPUTE_PGM_RSRC2:SCRATCH_EN: 0
; COMPUTE_PGM_RSRC2:USER_SGPR: 6
; COMPUTE_PGM_RSRC2:TRAP_HANDLER: 0
; COMPUTE_PGM_RSRC2:TGID_X_EN: 1
; COMPUTE_PGM_RSRC2:TGID_Y_EN: 0
; COMPUTE_PGM_RSRC2:TGID_Z_EN: 0
; COMPUTE_PGM_RSRC2:TIDIG_COMP_CNT: 0
; COMPUTE_PGM_RSRC3_GFX90A:ACCUM_OFFSET: 0
; COMPUTE_PGM_RSRC3_GFX90A:TG_SPLIT: 0
	.section	.text._ZN7rocprim17ROCPRIM_400000_NS6detail17trampoline_kernelINS0_14default_configENS1_25partition_config_selectorILNS1_17partition_subalgoE8ElNS0_10empty_typeEbEEZZNS1_14partition_implILS5_8ELb0ES3_jPlPS6_PKS6_NS0_5tupleIJS9_S6_EEENSD_IJSA_SA_EEENS0_18inequality_wrapperIZN2at6native12_GLOBAL__N_124unique_dim_cuda_templateIiEESt5tupleIJNSH_6TensorESM_SM_EERKSM_lbbbEUlllE0_EEPmJS6_EEE10hipError_tPvRmT3_T4_T5_T6_T7_T9_mT8_P12ihipStream_tbDpT10_ENKUlT_T0_E_clISt17integral_constantIbLb0EES1B_IbLb1EEEEDaS17_S18_EUlS17_E_NS1_11comp_targetILNS1_3genE10ELNS1_11target_archE1200ELNS1_3gpuE4ELNS1_3repE0EEENS1_30default_config_static_selectorELNS0_4arch9wavefront6targetE1EEEvT1_,"axG",@progbits,_ZN7rocprim17ROCPRIM_400000_NS6detail17trampoline_kernelINS0_14default_configENS1_25partition_config_selectorILNS1_17partition_subalgoE8ElNS0_10empty_typeEbEEZZNS1_14partition_implILS5_8ELb0ES3_jPlPS6_PKS6_NS0_5tupleIJS9_S6_EEENSD_IJSA_SA_EEENS0_18inequality_wrapperIZN2at6native12_GLOBAL__N_124unique_dim_cuda_templateIiEESt5tupleIJNSH_6TensorESM_SM_EERKSM_lbbbEUlllE0_EEPmJS6_EEE10hipError_tPvRmT3_T4_T5_T6_T7_T9_mT8_P12ihipStream_tbDpT10_ENKUlT_T0_E_clISt17integral_constantIbLb0EES1B_IbLb1EEEEDaS17_S18_EUlS17_E_NS1_11comp_targetILNS1_3genE10ELNS1_11target_archE1200ELNS1_3gpuE4ELNS1_3repE0EEENS1_30default_config_static_selectorELNS0_4arch9wavefront6targetE1EEEvT1_,comdat
	.globl	_ZN7rocprim17ROCPRIM_400000_NS6detail17trampoline_kernelINS0_14default_configENS1_25partition_config_selectorILNS1_17partition_subalgoE8ElNS0_10empty_typeEbEEZZNS1_14partition_implILS5_8ELb0ES3_jPlPS6_PKS6_NS0_5tupleIJS9_S6_EEENSD_IJSA_SA_EEENS0_18inequality_wrapperIZN2at6native12_GLOBAL__N_124unique_dim_cuda_templateIiEESt5tupleIJNSH_6TensorESM_SM_EERKSM_lbbbEUlllE0_EEPmJS6_EEE10hipError_tPvRmT3_T4_T5_T6_T7_T9_mT8_P12ihipStream_tbDpT10_ENKUlT_T0_E_clISt17integral_constantIbLb0EES1B_IbLb1EEEEDaS17_S18_EUlS17_E_NS1_11comp_targetILNS1_3genE10ELNS1_11target_archE1200ELNS1_3gpuE4ELNS1_3repE0EEENS1_30default_config_static_selectorELNS0_4arch9wavefront6targetE1EEEvT1_ ; -- Begin function _ZN7rocprim17ROCPRIM_400000_NS6detail17trampoline_kernelINS0_14default_configENS1_25partition_config_selectorILNS1_17partition_subalgoE8ElNS0_10empty_typeEbEEZZNS1_14partition_implILS5_8ELb0ES3_jPlPS6_PKS6_NS0_5tupleIJS9_S6_EEENSD_IJSA_SA_EEENS0_18inequality_wrapperIZN2at6native12_GLOBAL__N_124unique_dim_cuda_templateIiEESt5tupleIJNSH_6TensorESM_SM_EERKSM_lbbbEUlllE0_EEPmJS6_EEE10hipError_tPvRmT3_T4_T5_T6_T7_T9_mT8_P12ihipStream_tbDpT10_ENKUlT_T0_E_clISt17integral_constantIbLb0EES1B_IbLb1EEEEDaS17_S18_EUlS17_E_NS1_11comp_targetILNS1_3genE10ELNS1_11target_archE1200ELNS1_3gpuE4ELNS1_3repE0EEENS1_30default_config_static_selectorELNS0_4arch9wavefront6targetE1EEEvT1_
	.p2align	8
	.type	_ZN7rocprim17ROCPRIM_400000_NS6detail17trampoline_kernelINS0_14default_configENS1_25partition_config_selectorILNS1_17partition_subalgoE8ElNS0_10empty_typeEbEEZZNS1_14partition_implILS5_8ELb0ES3_jPlPS6_PKS6_NS0_5tupleIJS9_S6_EEENSD_IJSA_SA_EEENS0_18inequality_wrapperIZN2at6native12_GLOBAL__N_124unique_dim_cuda_templateIiEESt5tupleIJNSH_6TensorESM_SM_EERKSM_lbbbEUlllE0_EEPmJS6_EEE10hipError_tPvRmT3_T4_T5_T6_T7_T9_mT8_P12ihipStream_tbDpT10_ENKUlT_T0_E_clISt17integral_constantIbLb0EES1B_IbLb1EEEEDaS17_S18_EUlS17_E_NS1_11comp_targetILNS1_3genE10ELNS1_11target_archE1200ELNS1_3gpuE4ELNS1_3repE0EEENS1_30default_config_static_selectorELNS0_4arch9wavefront6targetE1EEEvT1_,@function
_ZN7rocprim17ROCPRIM_400000_NS6detail17trampoline_kernelINS0_14default_configENS1_25partition_config_selectorILNS1_17partition_subalgoE8ElNS0_10empty_typeEbEEZZNS1_14partition_implILS5_8ELb0ES3_jPlPS6_PKS6_NS0_5tupleIJS9_S6_EEENSD_IJSA_SA_EEENS0_18inequality_wrapperIZN2at6native12_GLOBAL__N_124unique_dim_cuda_templateIiEESt5tupleIJNSH_6TensorESM_SM_EERKSM_lbbbEUlllE0_EEPmJS6_EEE10hipError_tPvRmT3_T4_T5_T6_T7_T9_mT8_P12ihipStream_tbDpT10_ENKUlT_T0_E_clISt17integral_constantIbLb0EES1B_IbLb1EEEEDaS17_S18_EUlS17_E_NS1_11comp_targetILNS1_3genE10ELNS1_11target_archE1200ELNS1_3gpuE4ELNS1_3repE0EEENS1_30default_config_static_selectorELNS0_4arch9wavefront6targetE1EEEvT1_: ; @_ZN7rocprim17ROCPRIM_400000_NS6detail17trampoline_kernelINS0_14default_configENS1_25partition_config_selectorILNS1_17partition_subalgoE8ElNS0_10empty_typeEbEEZZNS1_14partition_implILS5_8ELb0ES3_jPlPS6_PKS6_NS0_5tupleIJS9_S6_EEENSD_IJSA_SA_EEENS0_18inequality_wrapperIZN2at6native12_GLOBAL__N_124unique_dim_cuda_templateIiEESt5tupleIJNSH_6TensorESM_SM_EERKSM_lbbbEUlllE0_EEPmJS6_EEE10hipError_tPvRmT3_T4_T5_T6_T7_T9_mT8_P12ihipStream_tbDpT10_ENKUlT_T0_E_clISt17integral_constantIbLb0EES1B_IbLb1EEEEDaS17_S18_EUlS17_E_NS1_11comp_targetILNS1_3genE10ELNS1_11target_archE1200ELNS1_3gpuE4ELNS1_3repE0EEENS1_30default_config_static_selectorELNS0_4arch9wavefront6targetE1EEEvT1_
; %bb.0:
	.section	.rodata,"a",@progbits
	.p2align	6, 0x0
	.amdhsa_kernel _ZN7rocprim17ROCPRIM_400000_NS6detail17trampoline_kernelINS0_14default_configENS1_25partition_config_selectorILNS1_17partition_subalgoE8ElNS0_10empty_typeEbEEZZNS1_14partition_implILS5_8ELb0ES3_jPlPS6_PKS6_NS0_5tupleIJS9_S6_EEENSD_IJSA_SA_EEENS0_18inequality_wrapperIZN2at6native12_GLOBAL__N_124unique_dim_cuda_templateIiEESt5tupleIJNSH_6TensorESM_SM_EERKSM_lbbbEUlllE0_EEPmJS6_EEE10hipError_tPvRmT3_T4_T5_T6_T7_T9_mT8_P12ihipStream_tbDpT10_ENKUlT_T0_E_clISt17integral_constantIbLb0EES1B_IbLb1EEEEDaS17_S18_EUlS17_E_NS1_11comp_targetILNS1_3genE10ELNS1_11target_archE1200ELNS1_3gpuE4ELNS1_3repE0EEENS1_30default_config_static_selectorELNS0_4arch9wavefront6targetE1EEEvT1_
		.amdhsa_group_segment_fixed_size 0
		.amdhsa_private_segment_fixed_size 0
		.amdhsa_kernarg_size 136
		.amdhsa_user_sgpr_count 6
		.amdhsa_user_sgpr_private_segment_buffer 1
		.amdhsa_user_sgpr_dispatch_ptr 0
		.amdhsa_user_sgpr_queue_ptr 0
		.amdhsa_user_sgpr_kernarg_segment_ptr 1
		.amdhsa_user_sgpr_dispatch_id 0
		.amdhsa_user_sgpr_flat_scratch_init 0
		.amdhsa_user_sgpr_kernarg_preload_length 0
		.amdhsa_user_sgpr_kernarg_preload_offset 0
		.amdhsa_user_sgpr_private_segment_size 0
		.amdhsa_uses_dynamic_stack 0
		.amdhsa_system_sgpr_private_segment_wavefront_offset 0
		.amdhsa_system_sgpr_workgroup_id_x 1
		.amdhsa_system_sgpr_workgroup_id_y 0
		.amdhsa_system_sgpr_workgroup_id_z 0
		.amdhsa_system_sgpr_workgroup_info 0
		.amdhsa_system_vgpr_workitem_id 0
		.amdhsa_next_free_vgpr 1
		.amdhsa_next_free_sgpr 0
		.amdhsa_accum_offset 4
		.amdhsa_reserve_vcc 0
		.amdhsa_reserve_flat_scratch 0
		.amdhsa_float_round_mode_32 0
		.amdhsa_float_round_mode_16_64 0
		.amdhsa_float_denorm_mode_32 3
		.amdhsa_float_denorm_mode_16_64 3
		.amdhsa_dx10_clamp 1
		.amdhsa_ieee_mode 1
		.amdhsa_fp16_overflow 0
		.amdhsa_tg_split 0
		.amdhsa_exception_fp_ieee_invalid_op 0
		.amdhsa_exception_fp_denorm_src 0
		.amdhsa_exception_fp_ieee_div_zero 0
		.amdhsa_exception_fp_ieee_overflow 0
		.amdhsa_exception_fp_ieee_underflow 0
		.amdhsa_exception_fp_ieee_inexact 0
		.amdhsa_exception_int_div_zero 0
	.end_amdhsa_kernel
	.section	.text._ZN7rocprim17ROCPRIM_400000_NS6detail17trampoline_kernelINS0_14default_configENS1_25partition_config_selectorILNS1_17partition_subalgoE8ElNS0_10empty_typeEbEEZZNS1_14partition_implILS5_8ELb0ES3_jPlPS6_PKS6_NS0_5tupleIJS9_S6_EEENSD_IJSA_SA_EEENS0_18inequality_wrapperIZN2at6native12_GLOBAL__N_124unique_dim_cuda_templateIiEESt5tupleIJNSH_6TensorESM_SM_EERKSM_lbbbEUlllE0_EEPmJS6_EEE10hipError_tPvRmT3_T4_T5_T6_T7_T9_mT8_P12ihipStream_tbDpT10_ENKUlT_T0_E_clISt17integral_constantIbLb0EES1B_IbLb1EEEEDaS17_S18_EUlS17_E_NS1_11comp_targetILNS1_3genE10ELNS1_11target_archE1200ELNS1_3gpuE4ELNS1_3repE0EEENS1_30default_config_static_selectorELNS0_4arch9wavefront6targetE1EEEvT1_,"axG",@progbits,_ZN7rocprim17ROCPRIM_400000_NS6detail17trampoline_kernelINS0_14default_configENS1_25partition_config_selectorILNS1_17partition_subalgoE8ElNS0_10empty_typeEbEEZZNS1_14partition_implILS5_8ELb0ES3_jPlPS6_PKS6_NS0_5tupleIJS9_S6_EEENSD_IJSA_SA_EEENS0_18inequality_wrapperIZN2at6native12_GLOBAL__N_124unique_dim_cuda_templateIiEESt5tupleIJNSH_6TensorESM_SM_EERKSM_lbbbEUlllE0_EEPmJS6_EEE10hipError_tPvRmT3_T4_T5_T6_T7_T9_mT8_P12ihipStream_tbDpT10_ENKUlT_T0_E_clISt17integral_constantIbLb0EES1B_IbLb1EEEEDaS17_S18_EUlS17_E_NS1_11comp_targetILNS1_3genE10ELNS1_11target_archE1200ELNS1_3gpuE4ELNS1_3repE0EEENS1_30default_config_static_selectorELNS0_4arch9wavefront6targetE1EEEvT1_,comdat
.Lfunc_end470:
	.size	_ZN7rocprim17ROCPRIM_400000_NS6detail17trampoline_kernelINS0_14default_configENS1_25partition_config_selectorILNS1_17partition_subalgoE8ElNS0_10empty_typeEbEEZZNS1_14partition_implILS5_8ELb0ES3_jPlPS6_PKS6_NS0_5tupleIJS9_S6_EEENSD_IJSA_SA_EEENS0_18inequality_wrapperIZN2at6native12_GLOBAL__N_124unique_dim_cuda_templateIiEESt5tupleIJNSH_6TensorESM_SM_EERKSM_lbbbEUlllE0_EEPmJS6_EEE10hipError_tPvRmT3_T4_T5_T6_T7_T9_mT8_P12ihipStream_tbDpT10_ENKUlT_T0_E_clISt17integral_constantIbLb0EES1B_IbLb1EEEEDaS17_S18_EUlS17_E_NS1_11comp_targetILNS1_3genE10ELNS1_11target_archE1200ELNS1_3gpuE4ELNS1_3repE0EEENS1_30default_config_static_selectorELNS0_4arch9wavefront6targetE1EEEvT1_, .Lfunc_end470-_ZN7rocprim17ROCPRIM_400000_NS6detail17trampoline_kernelINS0_14default_configENS1_25partition_config_selectorILNS1_17partition_subalgoE8ElNS0_10empty_typeEbEEZZNS1_14partition_implILS5_8ELb0ES3_jPlPS6_PKS6_NS0_5tupleIJS9_S6_EEENSD_IJSA_SA_EEENS0_18inequality_wrapperIZN2at6native12_GLOBAL__N_124unique_dim_cuda_templateIiEESt5tupleIJNSH_6TensorESM_SM_EERKSM_lbbbEUlllE0_EEPmJS6_EEE10hipError_tPvRmT3_T4_T5_T6_T7_T9_mT8_P12ihipStream_tbDpT10_ENKUlT_T0_E_clISt17integral_constantIbLb0EES1B_IbLb1EEEEDaS17_S18_EUlS17_E_NS1_11comp_targetILNS1_3genE10ELNS1_11target_archE1200ELNS1_3gpuE4ELNS1_3repE0EEENS1_30default_config_static_selectorELNS0_4arch9wavefront6targetE1EEEvT1_
                                        ; -- End function
	.section	.AMDGPU.csdata,"",@progbits
; Kernel info:
; codeLenInByte = 0
; NumSgprs: 4
; NumVgprs: 0
; NumAgprs: 0
; TotalNumVgprs: 0
; ScratchSize: 0
; MemoryBound: 0
; FloatMode: 240
; IeeeMode: 1
; LDSByteSize: 0 bytes/workgroup (compile time only)
; SGPRBlocks: 0
; VGPRBlocks: 0
; NumSGPRsForWavesPerEU: 4
; NumVGPRsForWavesPerEU: 1
; AccumOffset: 4
; Occupancy: 8
; WaveLimiterHint : 0
; COMPUTE_PGM_RSRC2:SCRATCH_EN: 0
; COMPUTE_PGM_RSRC2:USER_SGPR: 6
; COMPUTE_PGM_RSRC2:TRAP_HANDLER: 0
; COMPUTE_PGM_RSRC2:TGID_X_EN: 1
; COMPUTE_PGM_RSRC2:TGID_Y_EN: 0
; COMPUTE_PGM_RSRC2:TGID_Z_EN: 0
; COMPUTE_PGM_RSRC2:TIDIG_COMP_CNT: 0
; COMPUTE_PGM_RSRC3_GFX90A:ACCUM_OFFSET: 0
; COMPUTE_PGM_RSRC3_GFX90A:TG_SPLIT: 0
	.section	.text._ZN7rocprim17ROCPRIM_400000_NS6detail17trampoline_kernelINS0_14default_configENS1_25partition_config_selectorILNS1_17partition_subalgoE8ElNS0_10empty_typeEbEEZZNS1_14partition_implILS5_8ELb0ES3_jPlPS6_PKS6_NS0_5tupleIJS9_S6_EEENSD_IJSA_SA_EEENS0_18inequality_wrapperIZN2at6native12_GLOBAL__N_124unique_dim_cuda_templateIiEESt5tupleIJNSH_6TensorESM_SM_EERKSM_lbbbEUlllE0_EEPmJS6_EEE10hipError_tPvRmT3_T4_T5_T6_T7_T9_mT8_P12ihipStream_tbDpT10_ENKUlT_T0_E_clISt17integral_constantIbLb0EES1B_IbLb1EEEEDaS17_S18_EUlS17_E_NS1_11comp_targetILNS1_3genE9ELNS1_11target_archE1100ELNS1_3gpuE3ELNS1_3repE0EEENS1_30default_config_static_selectorELNS0_4arch9wavefront6targetE1EEEvT1_,"axG",@progbits,_ZN7rocprim17ROCPRIM_400000_NS6detail17trampoline_kernelINS0_14default_configENS1_25partition_config_selectorILNS1_17partition_subalgoE8ElNS0_10empty_typeEbEEZZNS1_14partition_implILS5_8ELb0ES3_jPlPS6_PKS6_NS0_5tupleIJS9_S6_EEENSD_IJSA_SA_EEENS0_18inequality_wrapperIZN2at6native12_GLOBAL__N_124unique_dim_cuda_templateIiEESt5tupleIJNSH_6TensorESM_SM_EERKSM_lbbbEUlllE0_EEPmJS6_EEE10hipError_tPvRmT3_T4_T5_T6_T7_T9_mT8_P12ihipStream_tbDpT10_ENKUlT_T0_E_clISt17integral_constantIbLb0EES1B_IbLb1EEEEDaS17_S18_EUlS17_E_NS1_11comp_targetILNS1_3genE9ELNS1_11target_archE1100ELNS1_3gpuE3ELNS1_3repE0EEENS1_30default_config_static_selectorELNS0_4arch9wavefront6targetE1EEEvT1_,comdat
	.globl	_ZN7rocprim17ROCPRIM_400000_NS6detail17trampoline_kernelINS0_14default_configENS1_25partition_config_selectorILNS1_17partition_subalgoE8ElNS0_10empty_typeEbEEZZNS1_14partition_implILS5_8ELb0ES3_jPlPS6_PKS6_NS0_5tupleIJS9_S6_EEENSD_IJSA_SA_EEENS0_18inequality_wrapperIZN2at6native12_GLOBAL__N_124unique_dim_cuda_templateIiEESt5tupleIJNSH_6TensorESM_SM_EERKSM_lbbbEUlllE0_EEPmJS6_EEE10hipError_tPvRmT3_T4_T5_T6_T7_T9_mT8_P12ihipStream_tbDpT10_ENKUlT_T0_E_clISt17integral_constantIbLb0EES1B_IbLb1EEEEDaS17_S18_EUlS17_E_NS1_11comp_targetILNS1_3genE9ELNS1_11target_archE1100ELNS1_3gpuE3ELNS1_3repE0EEENS1_30default_config_static_selectorELNS0_4arch9wavefront6targetE1EEEvT1_ ; -- Begin function _ZN7rocprim17ROCPRIM_400000_NS6detail17trampoline_kernelINS0_14default_configENS1_25partition_config_selectorILNS1_17partition_subalgoE8ElNS0_10empty_typeEbEEZZNS1_14partition_implILS5_8ELb0ES3_jPlPS6_PKS6_NS0_5tupleIJS9_S6_EEENSD_IJSA_SA_EEENS0_18inequality_wrapperIZN2at6native12_GLOBAL__N_124unique_dim_cuda_templateIiEESt5tupleIJNSH_6TensorESM_SM_EERKSM_lbbbEUlllE0_EEPmJS6_EEE10hipError_tPvRmT3_T4_T5_T6_T7_T9_mT8_P12ihipStream_tbDpT10_ENKUlT_T0_E_clISt17integral_constantIbLb0EES1B_IbLb1EEEEDaS17_S18_EUlS17_E_NS1_11comp_targetILNS1_3genE9ELNS1_11target_archE1100ELNS1_3gpuE3ELNS1_3repE0EEENS1_30default_config_static_selectorELNS0_4arch9wavefront6targetE1EEEvT1_
	.p2align	8
	.type	_ZN7rocprim17ROCPRIM_400000_NS6detail17trampoline_kernelINS0_14default_configENS1_25partition_config_selectorILNS1_17partition_subalgoE8ElNS0_10empty_typeEbEEZZNS1_14partition_implILS5_8ELb0ES3_jPlPS6_PKS6_NS0_5tupleIJS9_S6_EEENSD_IJSA_SA_EEENS0_18inequality_wrapperIZN2at6native12_GLOBAL__N_124unique_dim_cuda_templateIiEESt5tupleIJNSH_6TensorESM_SM_EERKSM_lbbbEUlllE0_EEPmJS6_EEE10hipError_tPvRmT3_T4_T5_T6_T7_T9_mT8_P12ihipStream_tbDpT10_ENKUlT_T0_E_clISt17integral_constantIbLb0EES1B_IbLb1EEEEDaS17_S18_EUlS17_E_NS1_11comp_targetILNS1_3genE9ELNS1_11target_archE1100ELNS1_3gpuE3ELNS1_3repE0EEENS1_30default_config_static_selectorELNS0_4arch9wavefront6targetE1EEEvT1_,@function
_ZN7rocprim17ROCPRIM_400000_NS6detail17trampoline_kernelINS0_14default_configENS1_25partition_config_selectorILNS1_17partition_subalgoE8ElNS0_10empty_typeEbEEZZNS1_14partition_implILS5_8ELb0ES3_jPlPS6_PKS6_NS0_5tupleIJS9_S6_EEENSD_IJSA_SA_EEENS0_18inequality_wrapperIZN2at6native12_GLOBAL__N_124unique_dim_cuda_templateIiEESt5tupleIJNSH_6TensorESM_SM_EERKSM_lbbbEUlllE0_EEPmJS6_EEE10hipError_tPvRmT3_T4_T5_T6_T7_T9_mT8_P12ihipStream_tbDpT10_ENKUlT_T0_E_clISt17integral_constantIbLb0EES1B_IbLb1EEEEDaS17_S18_EUlS17_E_NS1_11comp_targetILNS1_3genE9ELNS1_11target_archE1100ELNS1_3gpuE3ELNS1_3repE0EEENS1_30default_config_static_selectorELNS0_4arch9wavefront6targetE1EEEvT1_: ; @_ZN7rocprim17ROCPRIM_400000_NS6detail17trampoline_kernelINS0_14default_configENS1_25partition_config_selectorILNS1_17partition_subalgoE8ElNS0_10empty_typeEbEEZZNS1_14partition_implILS5_8ELb0ES3_jPlPS6_PKS6_NS0_5tupleIJS9_S6_EEENSD_IJSA_SA_EEENS0_18inequality_wrapperIZN2at6native12_GLOBAL__N_124unique_dim_cuda_templateIiEESt5tupleIJNSH_6TensorESM_SM_EERKSM_lbbbEUlllE0_EEPmJS6_EEE10hipError_tPvRmT3_T4_T5_T6_T7_T9_mT8_P12ihipStream_tbDpT10_ENKUlT_T0_E_clISt17integral_constantIbLb0EES1B_IbLb1EEEEDaS17_S18_EUlS17_E_NS1_11comp_targetILNS1_3genE9ELNS1_11target_archE1100ELNS1_3gpuE3ELNS1_3repE0EEENS1_30default_config_static_selectorELNS0_4arch9wavefront6targetE1EEEvT1_
; %bb.0:
	.section	.rodata,"a",@progbits
	.p2align	6, 0x0
	.amdhsa_kernel _ZN7rocprim17ROCPRIM_400000_NS6detail17trampoline_kernelINS0_14default_configENS1_25partition_config_selectorILNS1_17partition_subalgoE8ElNS0_10empty_typeEbEEZZNS1_14partition_implILS5_8ELb0ES3_jPlPS6_PKS6_NS0_5tupleIJS9_S6_EEENSD_IJSA_SA_EEENS0_18inequality_wrapperIZN2at6native12_GLOBAL__N_124unique_dim_cuda_templateIiEESt5tupleIJNSH_6TensorESM_SM_EERKSM_lbbbEUlllE0_EEPmJS6_EEE10hipError_tPvRmT3_T4_T5_T6_T7_T9_mT8_P12ihipStream_tbDpT10_ENKUlT_T0_E_clISt17integral_constantIbLb0EES1B_IbLb1EEEEDaS17_S18_EUlS17_E_NS1_11comp_targetILNS1_3genE9ELNS1_11target_archE1100ELNS1_3gpuE3ELNS1_3repE0EEENS1_30default_config_static_selectorELNS0_4arch9wavefront6targetE1EEEvT1_
		.amdhsa_group_segment_fixed_size 0
		.amdhsa_private_segment_fixed_size 0
		.amdhsa_kernarg_size 136
		.amdhsa_user_sgpr_count 6
		.amdhsa_user_sgpr_private_segment_buffer 1
		.amdhsa_user_sgpr_dispatch_ptr 0
		.amdhsa_user_sgpr_queue_ptr 0
		.amdhsa_user_sgpr_kernarg_segment_ptr 1
		.amdhsa_user_sgpr_dispatch_id 0
		.amdhsa_user_sgpr_flat_scratch_init 0
		.amdhsa_user_sgpr_kernarg_preload_length 0
		.amdhsa_user_sgpr_kernarg_preload_offset 0
		.amdhsa_user_sgpr_private_segment_size 0
		.amdhsa_uses_dynamic_stack 0
		.amdhsa_system_sgpr_private_segment_wavefront_offset 0
		.amdhsa_system_sgpr_workgroup_id_x 1
		.amdhsa_system_sgpr_workgroup_id_y 0
		.amdhsa_system_sgpr_workgroup_id_z 0
		.amdhsa_system_sgpr_workgroup_info 0
		.amdhsa_system_vgpr_workitem_id 0
		.amdhsa_next_free_vgpr 1
		.amdhsa_next_free_sgpr 0
		.amdhsa_accum_offset 4
		.amdhsa_reserve_vcc 0
		.amdhsa_reserve_flat_scratch 0
		.amdhsa_float_round_mode_32 0
		.amdhsa_float_round_mode_16_64 0
		.amdhsa_float_denorm_mode_32 3
		.amdhsa_float_denorm_mode_16_64 3
		.amdhsa_dx10_clamp 1
		.amdhsa_ieee_mode 1
		.amdhsa_fp16_overflow 0
		.amdhsa_tg_split 0
		.amdhsa_exception_fp_ieee_invalid_op 0
		.amdhsa_exception_fp_denorm_src 0
		.amdhsa_exception_fp_ieee_div_zero 0
		.amdhsa_exception_fp_ieee_overflow 0
		.amdhsa_exception_fp_ieee_underflow 0
		.amdhsa_exception_fp_ieee_inexact 0
		.amdhsa_exception_int_div_zero 0
	.end_amdhsa_kernel
	.section	.text._ZN7rocprim17ROCPRIM_400000_NS6detail17trampoline_kernelINS0_14default_configENS1_25partition_config_selectorILNS1_17partition_subalgoE8ElNS0_10empty_typeEbEEZZNS1_14partition_implILS5_8ELb0ES3_jPlPS6_PKS6_NS0_5tupleIJS9_S6_EEENSD_IJSA_SA_EEENS0_18inequality_wrapperIZN2at6native12_GLOBAL__N_124unique_dim_cuda_templateIiEESt5tupleIJNSH_6TensorESM_SM_EERKSM_lbbbEUlllE0_EEPmJS6_EEE10hipError_tPvRmT3_T4_T5_T6_T7_T9_mT8_P12ihipStream_tbDpT10_ENKUlT_T0_E_clISt17integral_constantIbLb0EES1B_IbLb1EEEEDaS17_S18_EUlS17_E_NS1_11comp_targetILNS1_3genE9ELNS1_11target_archE1100ELNS1_3gpuE3ELNS1_3repE0EEENS1_30default_config_static_selectorELNS0_4arch9wavefront6targetE1EEEvT1_,"axG",@progbits,_ZN7rocprim17ROCPRIM_400000_NS6detail17trampoline_kernelINS0_14default_configENS1_25partition_config_selectorILNS1_17partition_subalgoE8ElNS0_10empty_typeEbEEZZNS1_14partition_implILS5_8ELb0ES3_jPlPS6_PKS6_NS0_5tupleIJS9_S6_EEENSD_IJSA_SA_EEENS0_18inequality_wrapperIZN2at6native12_GLOBAL__N_124unique_dim_cuda_templateIiEESt5tupleIJNSH_6TensorESM_SM_EERKSM_lbbbEUlllE0_EEPmJS6_EEE10hipError_tPvRmT3_T4_T5_T6_T7_T9_mT8_P12ihipStream_tbDpT10_ENKUlT_T0_E_clISt17integral_constantIbLb0EES1B_IbLb1EEEEDaS17_S18_EUlS17_E_NS1_11comp_targetILNS1_3genE9ELNS1_11target_archE1100ELNS1_3gpuE3ELNS1_3repE0EEENS1_30default_config_static_selectorELNS0_4arch9wavefront6targetE1EEEvT1_,comdat
.Lfunc_end471:
	.size	_ZN7rocprim17ROCPRIM_400000_NS6detail17trampoline_kernelINS0_14default_configENS1_25partition_config_selectorILNS1_17partition_subalgoE8ElNS0_10empty_typeEbEEZZNS1_14partition_implILS5_8ELb0ES3_jPlPS6_PKS6_NS0_5tupleIJS9_S6_EEENSD_IJSA_SA_EEENS0_18inequality_wrapperIZN2at6native12_GLOBAL__N_124unique_dim_cuda_templateIiEESt5tupleIJNSH_6TensorESM_SM_EERKSM_lbbbEUlllE0_EEPmJS6_EEE10hipError_tPvRmT3_T4_T5_T6_T7_T9_mT8_P12ihipStream_tbDpT10_ENKUlT_T0_E_clISt17integral_constantIbLb0EES1B_IbLb1EEEEDaS17_S18_EUlS17_E_NS1_11comp_targetILNS1_3genE9ELNS1_11target_archE1100ELNS1_3gpuE3ELNS1_3repE0EEENS1_30default_config_static_selectorELNS0_4arch9wavefront6targetE1EEEvT1_, .Lfunc_end471-_ZN7rocprim17ROCPRIM_400000_NS6detail17trampoline_kernelINS0_14default_configENS1_25partition_config_selectorILNS1_17partition_subalgoE8ElNS0_10empty_typeEbEEZZNS1_14partition_implILS5_8ELb0ES3_jPlPS6_PKS6_NS0_5tupleIJS9_S6_EEENSD_IJSA_SA_EEENS0_18inequality_wrapperIZN2at6native12_GLOBAL__N_124unique_dim_cuda_templateIiEESt5tupleIJNSH_6TensorESM_SM_EERKSM_lbbbEUlllE0_EEPmJS6_EEE10hipError_tPvRmT3_T4_T5_T6_T7_T9_mT8_P12ihipStream_tbDpT10_ENKUlT_T0_E_clISt17integral_constantIbLb0EES1B_IbLb1EEEEDaS17_S18_EUlS17_E_NS1_11comp_targetILNS1_3genE9ELNS1_11target_archE1100ELNS1_3gpuE3ELNS1_3repE0EEENS1_30default_config_static_selectorELNS0_4arch9wavefront6targetE1EEEvT1_
                                        ; -- End function
	.section	.AMDGPU.csdata,"",@progbits
; Kernel info:
; codeLenInByte = 0
; NumSgprs: 4
; NumVgprs: 0
; NumAgprs: 0
; TotalNumVgprs: 0
; ScratchSize: 0
; MemoryBound: 0
; FloatMode: 240
; IeeeMode: 1
; LDSByteSize: 0 bytes/workgroup (compile time only)
; SGPRBlocks: 0
; VGPRBlocks: 0
; NumSGPRsForWavesPerEU: 4
; NumVGPRsForWavesPerEU: 1
; AccumOffset: 4
; Occupancy: 8
; WaveLimiterHint : 0
; COMPUTE_PGM_RSRC2:SCRATCH_EN: 0
; COMPUTE_PGM_RSRC2:USER_SGPR: 6
; COMPUTE_PGM_RSRC2:TRAP_HANDLER: 0
; COMPUTE_PGM_RSRC2:TGID_X_EN: 1
; COMPUTE_PGM_RSRC2:TGID_Y_EN: 0
; COMPUTE_PGM_RSRC2:TGID_Z_EN: 0
; COMPUTE_PGM_RSRC2:TIDIG_COMP_CNT: 0
; COMPUTE_PGM_RSRC3_GFX90A:ACCUM_OFFSET: 0
; COMPUTE_PGM_RSRC3_GFX90A:TG_SPLIT: 0
	.section	.text._ZN7rocprim17ROCPRIM_400000_NS6detail17trampoline_kernelINS0_14default_configENS1_25partition_config_selectorILNS1_17partition_subalgoE8ElNS0_10empty_typeEbEEZZNS1_14partition_implILS5_8ELb0ES3_jPlPS6_PKS6_NS0_5tupleIJS9_S6_EEENSD_IJSA_SA_EEENS0_18inequality_wrapperIZN2at6native12_GLOBAL__N_124unique_dim_cuda_templateIiEESt5tupleIJNSH_6TensorESM_SM_EERKSM_lbbbEUlllE0_EEPmJS6_EEE10hipError_tPvRmT3_T4_T5_T6_T7_T9_mT8_P12ihipStream_tbDpT10_ENKUlT_T0_E_clISt17integral_constantIbLb0EES1B_IbLb1EEEEDaS17_S18_EUlS17_E_NS1_11comp_targetILNS1_3genE8ELNS1_11target_archE1030ELNS1_3gpuE2ELNS1_3repE0EEENS1_30default_config_static_selectorELNS0_4arch9wavefront6targetE1EEEvT1_,"axG",@progbits,_ZN7rocprim17ROCPRIM_400000_NS6detail17trampoline_kernelINS0_14default_configENS1_25partition_config_selectorILNS1_17partition_subalgoE8ElNS0_10empty_typeEbEEZZNS1_14partition_implILS5_8ELb0ES3_jPlPS6_PKS6_NS0_5tupleIJS9_S6_EEENSD_IJSA_SA_EEENS0_18inequality_wrapperIZN2at6native12_GLOBAL__N_124unique_dim_cuda_templateIiEESt5tupleIJNSH_6TensorESM_SM_EERKSM_lbbbEUlllE0_EEPmJS6_EEE10hipError_tPvRmT3_T4_T5_T6_T7_T9_mT8_P12ihipStream_tbDpT10_ENKUlT_T0_E_clISt17integral_constantIbLb0EES1B_IbLb1EEEEDaS17_S18_EUlS17_E_NS1_11comp_targetILNS1_3genE8ELNS1_11target_archE1030ELNS1_3gpuE2ELNS1_3repE0EEENS1_30default_config_static_selectorELNS0_4arch9wavefront6targetE1EEEvT1_,comdat
	.globl	_ZN7rocprim17ROCPRIM_400000_NS6detail17trampoline_kernelINS0_14default_configENS1_25partition_config_selectorILNS1_17partition_subalgoE8ElNS0_10empty_typeEbEEZZNS1_14partition_implILS5_8ELb0ES3_jPlPS6_PKS6_NS0_5tupleIJS9_S6_EEENSD_IJSA_SA_EEENS0_18inequality_wrapperIZN2at6native12_GLOBAL__N_124unique_dim_cuda_templateIiEESt5tupleIJNSH_6TensorESM_SM_EERKSM_lbbbEUlllE0_EEPmJS6_EEE10hipError_tPvRmT3_T4_T5_T6_T7_T9_mT8_P12ihipStream_tbDpT10_ENKUlT_T0_E_clISt17integral_constantIbLb0EES1B_IbLb1EEEEDaS17_S18_EUlS17_E_NS1_11comp_targetILNS1_3genE8ELNS1_11target_archE1030ELNS1_3gpuE2ELNS1_3repE0EEENS1_30default_config_static_selectorELNS0_4arch9wavefront6targetE1EEEvT1_ ; -- Begin function _ZN7rocprim17ROCPRIM_400000_NS6detail17trampoline_kernelINS0_14default_configENS1_25partition_config_selectorILNS1_17partition_subalgoE8ElNS0_10empty_typeEbEEZZNS1_14partition_implILS5_8ELb0ES3_jPlPS6_PKS6_NS0_5tupleIJS9_S6_EEENSD_IJSA_SA_EEENS0_18inequality_wrapperIZN2at6native12_GLOBAL__N_124unique_dim_cuda_templateIiEESt5tupleIJNSH_6TensorESM_SM_EERKSM_lbbbEUlllE0_EEPmJS6_EEE10hipError_tPvRmT3_T4_T5_T6_T7_T9_mT8_P12ihipStream_tbDpT10_ENKUlT_T0_E_clISt17integral_constantIbLb0EES1B_IbLb1EEEEDaS17_S18_EUlS17_E_NS1_11comp_targetILNS1_3genE8ELNS1_11target_archE1030ELNS1_3gpuE2ELNS1_3repE0EEENS1_30default_config_static_selectorELNS0_4arch9wavefront6targetE1EEEvT1_
	.p2align	8
	.type	_ZN7rocprim17ROCPRIM_400000_NS6detail17trampoline_kernelINS0_14default_configENS1_25partition_config_selectorILNS1_17partition_subalgoE8ElNS0_10empty_typeEbEEZZNS1_14partition_implILS5_8ELb0ES3_jPlPS6_PKS6_NS0_5tupleIJS9_S6_EEENSD_IJSA_SA_EEENS0_18inequality_wrapperIZN2at6native12_GLOBAL__N_124unique_dim_cuda_templateIiEESt5tupleIJNSH_6TensorESM_SM_EERKSM_lbbbEUlllE0_EEPmJS6_EEE10hipError_tPvRmT3_T4_T5_T6_T7_T9_mT8_P12ihipStream_tbDpT10_ENKUlT_T0_E_clISt17integral_constantIbLb0EES1B_IbLb1EEEEDaS17_S18_EUlS17_E_NS1_11comp_targetILNS1_3genE8ELNS1_11target_archE1030ELNS1_3gpuE2ELNS1_3repE0EEENS1_30default_config_static_selectorELNS0_4arch9wavefront6targetE1EEEvT1_,@function
_ZN7rocprim17ROCPRIM_400000_NS6detail17trampoline_kernelINS0_14default_configENS1_25partition_config_selectorILNS1_17partition_subalgoE8ElNS0_10empty_typeEbEEZZNS1_14partition_implILS5_8ELb0ES3_jPlPS6_PKS6_NS0_5tupleIJS9_S6_EEENSD_IJSA_SA_EEENS0_18inequality_wrapperIZN2at6native12_GLOBAL__N_124unique_dim_cuda_templateIiEESt5tupleIJNSH_6TensorESM_SM_EERKSM_lbbbEUlllE0_EEPmJS6_EEE10hipError_tPvRmT3_T4_T5_T6_T7_T9_mT8_P12ihipStream_tbDpT10_ENKUlT_T0_E_clISt17integral_constantIbLb0EES1B_IbLb1EEEEDaS17_S18_EUlS17_E_NS1_11comp_targetILNS1_3genE8ELNS1_11target_archE1030ELNS1_3gpuE2ELNS1_3repE0EEENS1_30default_config_static_selectorELNS0_4arch9wavefront6targetE1EEEvT1_: ; @_ZN7rocprim17ROCPRIM_400000_NS6detail17trampoline_kernelINS0_14default_configENS1_25partition_config_selectorILNS1_17partition_subalgoE8ElNS0_10empty_typeEbEEZZNS1_14partition_implILS5_8ELb0ES3_jPlPS6_PKS6_NS0_5tupleIJS9_S6_EEENSD_IJSA_SA_EEENS0_18inequality_wrapperIZN2at6native12_GLOBAL__N_124unique_dim_cuda_templateIiEESt5tupleIJNSH_6TensorESM_SM_EERKSM_lbbbEUlllE0_EEPmJS6_EEE10hipError_tPvRmT3_T4_T5_T6_T7_T9_mT8_P12ihipStream_tbDpT10_ENKUlT_T0_E_clISt17integral_constantIbLb0EES1B_IbLb1EEEEDaS17_S18_EUlS17_E_NS1_11comp_targetILNS1_3genE8ELNS1_11target_archE1030ELNS1_3gpuE2ELNS1_3repE0EEENS1_30default_config_static_selectorELNS0_4arch9wavefront6targetE1EEEvT1_
; %bb.0:
	.section	.rodata,"a",@progbits
	.p2align	6, 0x0
	.amdhsa_kernel _ZN7rocprim17ROCPRIM_400000_NS6detail17trampoline_kernelINS0_14default_configENS1_25partition_config_selectorILNS1_17partition_subalgoE8ElNS0_10empty_typeEbEEZZNS1_14partition_implILS5_8ELb0ES3_jPlPS6_PKS6_NS0_5tupleIJS9_S6_EEENSD_IJSA_SA_EEENS0_18inequality_wrapperIZN2at6native12_GLOBAL__N_124unique_dim_cuda_templateIiEESt5tupleIJNSH_6TensorESM_SM_EERKSM_lbbbEUlllE0_EEPmJS6_EEE10hipError_tPvRmT3_T4_T5_T6_T7_T9_mT8_P12ihipStream_tbDpT10_ENKUlT_T0_E_clISt17integral_constantIbLb0EES1B_IbLb1EEEEDaS17_S18_EUlS17_E_NS1_11comp_targetILNS1_3genE8ELNS1_11target_archE1030ELNS1_3gpuE2ELNS1_3repE0EEENS1_30default_config_static_selectorELNS0_4arch9wavefront6targetE1EEEvT1_
		.amdhsa_group_segment_fixed_size 0
		.amdhsa_private_segment_fixed_size 0
		.amdhsa_kernarg_size 136
		.amdhsa_user_sgpr_count 6
		.amdhsa_user_sgpr_private_segment_buffer 1
		.amdhsa_user_sgpr_dispatch_ptr 0
		.amdhsa_user_sgpr_queue_ptr 0
		.amdhsa_user_sgpr_kernarg_segment_ptr 1
		.amdhsa_user_sgpr_dispatch_id 0
		.amdhsa_user_sgpr_flat_scratch_init 0
		.amdhsa_user_sgpr_kernarg_preload_length 0
		.amdhsa_user_sgpr_kernarg_preload_offset 0
		.amdhsa_user_sgpr_private_segment_size 0
		.amdhsa_uses_dynamic_stack 0
		.amdhsa_system_sgpr_private_segment_wavefront_offset 0
		.amdhsa_system_sgpr_workgroup_id_x 1
		.amdhsa_system_sgpr_workgroup_id_y 0
		.amdhsa_system_sgpr_workgroup_id_z 0
		.amdhsa_system_sgpr_workgroup_info 0
		.amdhsa_system_vgpr_workitem_id 0
		.amdhsa_next_free_vgpr 1
		.amdhsa_next_free_sgpr 0
		.amdhsa_accum_offset 4
		.amdhsa_reserve_vcc 0
		.amdhsa_reserve_flat_scratch 0
		.amdhsa_float_round_mode_32 0
		.amdhsa_float_round_mode_16_64 0
		.amdhsa_float_denorm_mode_32 3
		.amdhsa_float_denorm_mode_16_64 3
		.amdhsa_dx10_clamp 1
		.amdhsa_ieee_mode 1
		.amdhsa_fp16_overflow 0
		.amdhsa_tg_split 0
		.amdhsa_exception_fp_ieee_invalid_op 0
		.amdhsa_exception_fp_denorm_src 0
		.amdhsa_exception_fp_ieee_div_zero 0
		.amdhsa_exception_fp_ieee_overflow 0
		.amdhsa_exception_fp_ieee_underflow 0
		.amdhsa_exception_fp_ieee_inexact 0
		.amdhsa_exception_int_div_zero 0
	.end_amdhsa_kernel
	.section	.text._ZN7rocprim17ROCPRIM_400000_NS6detail17trampoline_kernelINS0_14default_configENS1_25partition_config_selectorILNS1_17partition_subalgoE8ElNS0_10empty_typeEbEEZZNS1_14partition_implILS5_8ELb0ES3_jPlPS6_PKS6_NS0_5tupleIJS9_S6_EEENSD_IJSA_SA_EEENS0_18inequality_wrapperIZN2at6native12_GLOBAL__N_124unique_dim_cuda_templateIiEESt5tupleIJNSH_6TensorESM_SM_EERKSM_lbbbEUlllE0_EEPmJS6_EEE10hipError_tPvRmT3_T4_T5_T6_T7_T9_mT8_P12ihipStream_tbDpT10_ENKUlT_T0_E_clISt17integral_constantIbLb0EES1B_IbLb1EEEEDaS17_S18_EUlS17_E_NS1_11comp_targetILNS1_3genE8ELNS1_11target_archE1030ELNS1_3gpuE2ELNS1_3repE0EEENS1_30default_config_static_selectorELNS0_4arch9wavefront6targetE1EEEvT1_,"axG",@progbits,_ZN7rocprim17ROCPRIM_400000_NS6detail17trampoline_kernelINS0_14default_configENS1_25partition_config_selectorILNS1_17partition_subalgoE8ElNS0_10empty_typeEbEEZZNS1_14partition_implILS5_8ELb0ES3_jPlPS6_PKS6_NS0_5tupleIJS9_S6_EEENSD_IJSA_SA_EEENS0_18inequality_wrapperIZN2at6native12_GLOBAL__N_124unique_dim_cuda_templateIiEESt5tupleIJNSH_6TensorESM_SM_EERKSM_lbbbEUlllE0_EEPmJS6_EEE10hipError_tPvRmT3_T4_T5_T6_T7_T9_mT8_P12ihipStream_tbDpT10_ENKUlT_T0_E_clISt17integral_constantIbLb0EES1B_IbLb1EEEEDaS17_S18_EUlS17_E_NS1_11comp_targetILNS1_3genE8ELNS1_11target_archE1030ELNS1_3gpuE2ELNS1_3repE0EEENS1_30default_config_static_selectorELNS0_4arch9wavefront6targetE1EEEvT1_,comdat
.Lfunc_end472:
	.size	_ZN7rocprim17ROCPRIM_400000_NS6detail17trampoline_kernelINS0_14default_configENS1_25partition_config_selectorILNS1_17partition_subalgoE8ElNS0_10empty_typeEbEEZZNS1_14partition_implILS5_8ELb0ES3_jPlPS6_PKS6_NS0_5tupleIJS9_S6_EEENSD_IJSA_SA_EEENS0_18inequality_wrapperIZN2at6native12_GLOBAL__N_124unique_dim_cuda_templateIiEESt5tupleIJNSH_6TensorESM_SM_EERKSM_lbbbEUlllE0_EEPmJS6_EEE10hipError_tPvRmT3_T4_T5_T6_T7_T9_mT8_P12ihipStream_tbDpT10_ENKUlT_T0_E_clISt17integral_constantIbLb0EES1B_IbLb1EEEEDaS17_S18_EUlS17_E_NS1_11comp_targetILNS1_3genE8ELNS1_11target_archE1030ELNS1_3gpuE2ELNS1_3repE0EEENS1_30default_config_static_selectorELNS0_4arch9wavefront6targetE1EEEvT1_, .Lfunc_end472-_ZN7rocprim17ROCPRIM_400000_NS6detail17trampoline_kernelINS0_14default_configENS1_25partition_config_selectorILNS1_17partition_subalgoE8ElNS0_10empty_typeEbEEZZNS1_14partition_implILS5_8ELb0ES3_jPlPS6_PKS6_NS0_5tupleIJS9_S6_EEENSD_IJSA_SA_EEENS0_18inequality_wrapperIZN2at6native12_GLOBAL__N_124unique_dim_cuda_templateIiEESt5tupleIJNSH_6TensorESM_SM_EERKSM_lbbbEUlllE0_EEPmJS6_EEE10hipError_tPvRmT3_T4_T5_T6_T7_T9_mT8_P12ihipStream_tbDpT10_ENKUlT_T0_E_clISt17integral_constantIbLb0EES1B_IbLb1EEEEDaS17_S18_EUlS17_E_NS1_11comp_targetILNS1_3genE8ELNS1_11target_archE1030ELNS1_3gpuE2ELNS1_3repE0EEENS1_30default_config_static_selectorELNS0_4arch9wavefront6targetE1EEEvT1_
                                        ; -- End function
	.section	.AMDGPU.csdata,"",@progbits
; Kernel info:
; codeLenInByte = 0
; NumSgprs: 4
; NumVgprs: 0
; NumAgprs: 0
; TotalNumVgprs: 0
; ScratchSize: 0
; MemoryBound: 0
; FloatMode: 240
; IeeeMode: 1
; LDSByteSize: 0 bytes/workgroup (compile time only)
; SGPRBlocks: 0
; VGPRBlocks: 0
; NumSGPRsForWavesPerEU: 4
; NumVGPRsForWavesPerEU: 1
; AccumOffset: 4
; Occupancy: 8
; WaveLimiterHint : 0
; COMPUTE_PGM_RSRC2:SCRATCH_EN: 0
; COMPUTE_PGM_RSRC2:USER_SGPR: 6
; COMPUTE_PGM_RSRC2:TRAP_HANDLER: 0
; COMPUTE_PGM_RSRC2:TGID_X_EN: 1
; COMPUTE_PGM_RSRC2:TGID_Y_EN: 0
; COMPUTE_PGM_RSRC2:TGID_Z_EN: 0
; COMPUTE_PGM_RSRC2:TIDIG_COMP_CNT: 0
; COMPUTE_PGM_RSRC3_GFX90A:ACCUM_OFFSET: 0
; COMPUTE_PGM_RSRC3_GFX90A:TG_SPLIT: 0
	.section	.text._ZN7rocprim17ROCPRIM_400000_NS6detail17trampoline_kernelINS0_14default_configENS1_25partition_config_selectorILNS1_17partition_subalgoE9EllbEEZZNS1_14partition_implILS5_9ELb0ES3_jPlS8_PNS0_10empty_typeENS0_5tupleIJS8_S9_EEENSB_IJS8_SA_EEENS0_18inequality_wrapperIZN2at6native12_GLOBAL__N_124unique_dim_cuda_templateIiEESt5tupleIJNSF_6TensorESK_SK_EERKSK_lbbbEUlllE0_EEPmJS9_EEE10hipError_tPvRmT3_T4_T5_T6_T7_T9_mT8_P12ihipStream_tbDpT10_ENKUlT_T0_E_clISt17integral_constantIbLb0EES1A_EEDaS15_S16_EUlS15_E_NS1_11comp_targetILNS1_3genE0ELNS1_11target_archE4294967295ELNS1_3gpuE0ELNS1_3repE0EEENS1_30default_config_static_selectorELNS0_4arch9wavefront6targetE1EEEvT1_,"axG",@progbits,_ZN7rocprim17ROCPRIM_400000_NS6detail17trampoline_kernelINS0_14default_configENS1_25partition_config_selectorILNS1_17partition_subalgoE9EllbEEZZNS1_14partition_implILS5_9ELb0ES3_jPlS8_PNS0_10empty_typeENS0_5tupleIJS8_S9_EEENSB_IJS8_SA_EEENS0_18inequality_wrapperIZN2at6native12_GLOBAL__N_124unique_dim_cuda_templateIiEESt5tupleIJNSF_6TensorESK_SK_EERKSK_lbbbEUlllE0_EEPmJS9_EEE10hipError_tPvRmT3_T4_T5_T6_T7_T9_mT8_P12ihipStream_tbDpT10_ENKUlT_T0_E_clISt17integral_constantIbLb0EES1A_EEDaS15_S16_EUlS15_E_NS1_11comp_targetILNS1_3genE0ELNS1_11target_archE4294967295ELNS1_3gpuE0ELNS1_3repE0EEENS1_30default_config_static_selectorELNS0_4arch9wavefront6targetE1EEEvT1_,comdat
	.globl	_ZN7rocprim17ROCPRIM_400000_NS6detail17trampoline_kernelINS0_14default_configENS1_25partition_config_selectorILNS1_17partition_subalgoE9EllbEEZZNS1_14partition_implILS5_9ELb0ES3_jPlS8_PNS0_10empty_typeENS0_5tupleIJS8_S9_EEENSB_IJS8_SA_EEENS0_18inequality_wrapperIZN2at6native12_GLOBAL__N_124unique_dim_cuda_templateIiEESt5tupleIJNSF_6TensorESK_SK_EERKSK_lbbbEUlllE0_EEPmJS9_EEE10hipError_tPvRmT3_T4_T5_T6_T7_T9_mT8_P12ihipStream_tbDpT10_ENKUlT_T0_E_clISt17integral_constantIbLb0EES1A_EEDaS15_S16_EUlS15_E_NS1_11comp_targetILNS1_3genE0ELNS1_11target_archE4294967295ELNS1_3gpuE0ELNS1_3repE0EEENS1_30default_config_static_selectorELNS0_4arch9wavefront6targetE1EEEvT1_ ; -- Begin function _ZN7rocprim17ROCPRIM_400000_NS6detail17trampoline_kernelINS0_14default_configENS1_25partition_config_selectorILNS1_17partition_subalgoE9EllbEEZZNS1_14partition_implILS5_9ELb0ES3_jPlS8_PNS0_10empty_typeENS0_5tupleIJS8_S9_EEENSB_IJS8_SA_EEENS0_18inequality_wrapperIZN2at6native12_GLOBAL__N_124unique_dim_cuda_templateIiEESt5tupleIJNSF_6TensorESK_SK_EERKSK_lbbbEUlllE0_EEPmJS9_EEE10hipError_tPvRmT3_T4_T5_T6_T7_T9_mT8_P12ihipStream_tbDpT10_ENKUlT_T0_E_clISt17integral_constantIbLb0EES1A_EEDaS15_S16_EUlS15_E_NS1_11comp_targetILNS1_3genE0ELNS1_11target_archE4294967295ELNS1_3gpuE0ELNS1_3repE0EEENS1_30default_config_static_selectorELNS0_4arch9wavefront6targetE1EEEvT1_
	.p2align	8
	.type	_ZN7rocprim17ROCPRIM_400000_NS6detail17trampoline_kernelINS0_14default_configENS1_25partition_config_selectorILNS1_17partition_subalgoE9EllbEEZZNS1_14partition_implILS5_9ELb0ES3_jPlS8_PNS0_10empty_typeENS0_5tupleIJS8_S9_EEENSB_IJS8_SA_EEENS0_18inequality_wrapperIZN2at6native12_GLOBAL__N_124unique_dim_cuda_templateIiEESt5tupleIJNSF_6TensorESK_SK_EERKSK_lbbbEUlllE0_EEPmJS9_EEE10hipError_tPvRmT3_T4_T5_T6_T7_T9_mT8_P12ihipStream_tbDpT10_ENKUlT_T0_E_clISt17integral_constantIbLb0EES1A_EEDaS15_S16_EUlS15_E_NS1_11comp_targetILNS1_3genE0ELNS1_11target_archE4294967295ELNS1_3gpuE0ELNS1_3repE0EEENS1_30default_config_static_selectorELNS0_4arch9wavefront6targetE1EEEvT1_,@function
_ZN7rocprim17ROCPRIM_400000_NS6detail17trampoline_kernelINS0_14default_configENS1_25partition_config_selectorILNS1_17partition_subalgoE9EllbEEZZNS1_14partition_implILS5_9ELb0ES3_jPlS8_PNS0_10empty_typeENS0_5tupleIJS8_S9_EEENSB_IJS8_SA_EEENS0_18inequality_wrapperIZN2at6native12_GLOBAL__N_124unique_dim_cuda_templateIiEESt5tupleIJNSF_6TensorESK_SK_EERKSK_lbbbEUlllE0_EEPmJS9_EEE10hipError_tPvRmT3_T4_T5_T6_T7_T9_mT8_P12ihipStream_tbDpT10_ENKUlT_T0_E_clISt17integral_constantIbLb0EES1A_EEDaS15_S16_EUlS15_E_NS1_11comp_targetILNS1_3genE0ELNS1_11target_archE4294967295ELNS1_3gpuE0ELNS1_3repE0EEENS1_30default_config_static_selectorELNS0_4arch9wavefront6targetE1EEEvT1_: ; @_ZN7rocprim17ROCPRIM_400000_NS6detail17trampoline_kernelINS0_14default_configENS1_25partition_config_selectorILNS1_17partition_subalgoE9EllbEEZZNS1_14partition_implILS5_9ELb0ES3_jPlS8_PNS0_10empty_typeENS0_5tupleIJS8_S9_EEENSB_IJS8_SA_EEENS0_18inequality_wrapperIZN2at6native12_GLOBAL__N_124unique_dim_cuda_templateIiEESt5tupleIJNSF_6TensorESK_SK_EERKSK_lbbbEUlllE0_EEPmJS9_EEE10hipError_tPvRmT3_T4_T5_T6_T7_T9_mT8_P12ihipStream_tbDpT10_ENKUlT_T0_E_clISt17integral_constantIbLb0EES1A_EEDaS15_S16_EUlS15_E_NS1_11comp_targetILNS1_3genE0ELNS1_11target_archE4294967295ELNS1_3gpuE0ELNS1_3repE0EEENS1_30default_config_static_selectorELNS0_4arch9wavefront6targetE1EEEvT1_
; %bb.0:
	.section	.rodata,"a",@progbits
	.p2align	6, 0x0
	.amdhsa_kernel _ZN7rocprim17ROCPRIM_400000_NS6detail17trampoline_kernelINS0_14default_configENS1_25partition_config_selectorILNS1_17partition_subalgoE9EllbEEZZNS1_14partition_implILS5_9ELb0ES3_jPlS8_PNS0_10empty_typeENS0_5tupleIJS8_S9_EEENSB_IJS8_SA_EEENS0_18inequality_wrapperIZN2at6native12_GLOBAL__N_124unique_dim_cuda_templateIiEESt5tupleIJNSF_6TensorESK_SK_EERKSK_lbbbEUlllE0_EEPmJS9_EEE10hipError_tPvRmT3_T4_T5_T6_T7_T9_mT8_P12ihipStream_tbDpT10_ENKUlT_T0_E_clISt17integral_constantIbLb0EES1A_EEDaS15_S16_EUlS15_E_NS1_11comp_targetILNS1_3genE0ELNS1_11target_archE4294967295ELNS1_3gpuE0ELNS1_3repE0EEENS1_30default_config_static_selectorELNS0_4arch9wavefront6targetE1EEEvT1_
		.amdhsa_group_segment_fixed_size 0
		.amdhsa_private_segment_fixed_size 0
		.amdhsa_kernarg_size 120
		.amdhsa_user_sgpr_count 6
		.amdhsa_user_sgpr_private_segment_buffer 1
		.amdhsa_user_sgpr_dispatch_ptr 0
		.amdhsa_user_sgpr_queue_ptr 0
		.amdhsa_user_sgpr_kernarg_segment_ptr 1
		.amdhsa_user_sgpr_dispatch_id 0
		.amdhsa_user_sgpr_flat_scratch_init 0
		.amdhsa_user_sgpr_kernarg_preload_length 0
		.amdhsa_user_sgpr_kernarg_preload_offset 0
		.amdhsa_user_sgpr_private_segment_size 0
		.amdhsa_uses_dynamic_stack 0
		.amdhsa_system_sgpr_private_segment_wavefront_offset 0
		.amdhsa_system_sgpr_workgroup_id_x 1
		.amdhsa_system_sgpr_workgroup_id_y 0
		.amdhsa_system_sgpr_workgroup_id_z 0
		.amdhsa_system_sgpr_workgroup_info 0
		.amdhsa_system_vgpr_workitem_id 0
		.amdhsa_next_free_vgpr 1
		.amdhsa_next_free_sgpr 0
		.amdhsa_accum_offset 4
		.amdhsa_reserve_vcc 0
		.amdhsa_reserve_flat_scratch 0
		.amdhsa_float_round_mode_32 0
		.amdhsa_float_round_mode_16_64 0
		.amdhsa_float_denorm_mode_32 3
		.amdhsa_float_denorm_mode_16_64 3
		.amdhsa_dx10_clamp 1
		.amdhsa_ieee_mode 1
		.amdhsa_fp16_overflow 0
		.amdhsa_tg_split 0
		.amdhsa_exception_fp_ieee_invalid_op 0
		.amdhsa_exception_fp_denorm_src 0
		.amdhsa_exception_fp_ieee_div_zero 0
		.amdhsa_exception_fp_ieee_overflow 0
		.amdhsa_exception_fp_ieee_underflow 0
		.amdhsa_exception_fp_ieee_inexact 0
		.amdhsa_exception_int_div_zero 0
	.end_amdhsa_kernel
	.section	.text._ZN7rocprim17ROCPRIM_400000_NS6detail17trampoline_kernelINS0_14default_configENS1_25partition_config_selectorILNS1_17partition_subalgoE9EllbEEZZNS1_14partition_implILS5_9ELb0ES3_jPlS8_PNS0_10empty_typeENS0_5tupleIJS8_S9_EEENSB_IJS8_SA_EEENS0_18inequality_wrapperIZN2at6native12_GLOBAL__N_124unique_dim_cuda_templateIiEESt5tupleIJNSF_6TensorESK_SK_EERKSK_lbbbEUlllE0_EEPmJS9_EEE10hipError_tPvRmT3_T4_T5_T6_T7_T9_mT8_P12ihipStream_tbDpT10_ENKUlT_T0_E_clISt17integral_constantIbLb0EES1A_EEDaS15_S16_EUlS15_E_NS1_11comp_targetILNS1_3genE0ELNS1_11target_archE4294967295ELNS1_3gpuE0ELNS1_3repE0EEENS1_30default_config_static_selectorELNS0_4arch9wavefront6targetE1EEEvT1_,"axG",@progbits,_ZN7rocprim17ROCPRIM_400000_NS6detail17trampoline_kernelINS0_14default_configENS1_25partition_config_selectorILNS1_17partition_subalgoE9EllbEEZZNS1_14partition_implILS5_9ELb0ES3_jPlS8_PNS0_10empty_typeENS0_5tupleIJS8_S9_EEENSB_IJS8_SA_EEENS0_18inequality_wrapperIZN2at6native12_GLOBAL__N_124unique_dim_cuda_templateIiEESt5tupleIJNSF_6TensorESK_SK_EERKSK_lbbbEUlllE0_EEPmJS9_EEE10hipError_tPvRmT3_T4_T5_T6_T7_T9_mT8_P12ihipStream_tbDpT10_ENKUlT_T0_E_clISt17integral_constantIbLb0EES1A_EEDaS15_S16_EUlS15_E_NS1_11comp_targetILNS1_3genE0ELNS1_11target_archE4294967295ELNS1_3gpuE0ELNS1_3repE0EEENS1_30default_config_static_selectorELNS0_4arch9wavefront6targetE1EEEvT1_,comdat
.Lfunc_end473:
	.size	_ZN7rocprim17ROCPRIM_400000_NS6detail17trampoline_kernelINS0_14default_configENS1_25partition_config_selectorILNS1_17partition_subalgoE9EllbEEZZNS1_14partition_implILS5_9ELb0ES3_jPlS8_PNS0_10empty_typeENS0_5tupleIJS8_S9_EEENSB_IJS8_SA_EEENS0_18inequality_wrapperIZN2at6native12_GLOBAL__N_124unique_dim_cuda_templateIiEESt5tupleIJNSF_6TensorESK_SK_EERKSK_lbbbEUlllE0_EEPmJS9_EEE10hipError_tPvRmT3_T4_T5_T6_T7_T9_mT8_P12ihipStream_tbDpT10_ENKUlT_T0_E_clISt17integral_constantIbLb0EES1A_EEDaS15_S16_EUlS15_E_NS1_11comp_targetILNS1_3genE0ELNS1_11target_archE4294967295ELNS1_3gpuE0ELNS1_3repE0EEENS1_30default_config_static_selectorELNS0_4arch9wavefront6targetE1EEEvT1_, .Lfunc_end473-_ZN7rocprim17ROCPRIM_400000_NS6detail17trampoline_kernelINS0_14default_configENS1_25partition_config_selectorILNS1_17partition_subalgoE9EllbEEZZNS1_14partition_implILS5_9ELb0ES3_jPlS8_PNS0_10empty_typeENS0_5tupleIJS8_S9_EEENSB_IJS8_SA_EEENS0_18inequality_wrapperIZN2at6native12_GLOBAL__N_124unique_dim_cuda_templateIiEESt5tupleIJNSF_6TensorESK_SK_EERKSK_lbbbEUlllE0_EEPmJS9_EEE10hipError_tPvRmT3_T4_T5_T6_T7_T9_mT8_P12ihipStream_tbDpT10_ENKUlT_T0_E_clISt17integral_constantIbLb0EES1A_EEDaS15_S16_EUlS15_E_NS1_11comp_targetILNS1_3genE0ELNS1_11target_archE4294967295ELNS1_3gpuE0ELNS1_3repE0EEENS1_30default_config_static_selectorELNS0_4arch9wavefront6targetE1EEEvT1_
                                        ; -- End function
	.section	.AMDGPU.csdata,"",@progbits
; Kernel info:
; codeLenInByte = 0
; NumSgprs: 4
; NumVgprs: 0
; NumAgprs: 0
; TotalNumVgprs: 0
; ScratchSize: 0
; MemoryBound: 0
; FloatMode: 240
; IeeeMode: 1
; LDSByteSize: 0 bytes/workgroup (compile time only)
; SGPRBlocks: 0
; VGPRBlocks: 0
; NumSGPRsForWavesPerEU: 4
; NumVGPRsForWavesPerEU: 1
; AccumOffset: 4
; Occupancy: 8
; WaveLimiterHint : 0
; COMPUTE_PGM_RSRC2:SCRATCH_EN: 0
; COMPUTE_PGM_RSRC2:USER_SGPR: 6
; COMPUTE_PGM_RSRC2:TRAP_HANDLER: 0
; COMPUTE_PGM_RSRC2:TGID_X_EN: 1
; COMPUTE_PGM_RSRC2:TGID_Y_EN: 0
; COMPUTE_PGM_RSRC2:TGID_Z_EN: 0
; COMPUTE_PGM_RSRC2:TIDIG_COMP_CNT: 0
; COMPUTE_PGM_RSRC3_GFX90A:ACCUM_OFFSET: 0
; COMPUTE_PGM_RSRC3_GFX90A:TG_SPLIT: 0
	.section	.text._ZN7rocprim17ROCPRIM_400000_NS6detail17trampoline_kernelINS0_14default_configENS1_25partition_config_selectorILNS1_17partition_subalgoE9EllbEEZZNS1_14partition_implILS5_9ELb0ES3_jPlS8_PNS0_10empty_typeENS0_5tupleIJS8_S9_EEENSB_IJS8_SA_EEENS0_18inequality_wrapperIZN2at6native12_GLOBAL__N_124unique_dim_cuda_templateIiEESt5tupleIJNSF_6TensorESK_SK_EERKSK_lbbbEUlllE0_EEPmJS9_EEE10hipError_tPvRmT3_T4_T5_T6_T7_T9_mT8_P12ihipStream_tbDpT10_ENKUlT_T0_E_clISt17integral_constantIbLb0EES1A_EEDaS15_S16_EUlS15_E_NS1_11comp_targetILNS1_3genE5ELNS1_11target_archE942ELNS1_3gpuE9ELNS1_3repE0EEENS1_30default_config_static_selectorELNS0_4arch9wavefront6targetE1EEEvT1_,"axG",@progbits,_ZN7rocprim17ROCPRIM_400000_NS6detail17trampoline_kernelINS0_14default_configENS1_25partition_config_selectorILNS1_17partition_subalgoE9EllbEEZZNS1_14partition_implILS5_9ELb0ES3_jPlS8_PNS0_10empty_typeENS0_5tupleIJS8_S9_EEENSB_IJS8_SA_EEENS0_18inequality_wrapperIZN2at6native12_GLOBAL__N_124unique_dim_cuda_templateIiEESt5tupleIJNSF_6TensorESK_SK_EERKSK_lbbbEUlllE0_EEPmJS9_EEE10hipError_tPvRmT3_T4_T5_T6_T7_T9_mT8_P12ihipStream_tbDpT10_ENKUlT_T0_E_clISt17integral_constantIbLb0EES1A_EEDaS15_S16_EUlS15_E_NS1_11comp_targetILNS1_3genE5ELNS1_11target_archE942ELNS1_3gpuE9ELNS1_3repE0EEENS1_30default_config_static_selectorELNS0_4arch9wavefront6targetE1EEEvT1_,comdat
	.globl	_ZN7rocprim17ROCPRIM_400000_NS6detail17trampoline_kernelINS0_14default_configENS1_25partition_config_selectorILNS1_17partition_subalgoE9EllbEEZZNS1_14partition_implILS5_9ELb0ES3_jPlS8_PNS0_10empty_typeENS0_5tupleIJS8_S9_EEENSB_IJS8_SA_EEENS0_18inequality_wrapperIZN2at6native12_GLOBAL__N_124unique_dim_cuda_templateIiEESt5tupleIJNSF_6TensorESK_SK_EERKSK_lbbbEUlllE0_EEPmJS9_EEE10hipError_tPvRmT3_T4_T5_T6_T7_T9_mT8_P12ihipStream_tbDpT10_ENKUlT_T0_E_clISt17integral_constantIbLb0EES1A_EEDaS15_S16_EUlS15_E_NS1_11comp_targetILNS1_3genE5ELNS1_11target_archE942ELNS1_3gpuE9ELNS1_3repE0EEENS1_30default_config_static_selectorELNS0_4arch9wavefront6targetE1EEEvT1_ ; -- Begin function _ZN7rocprim17ROCPRIM_400000_NS6detail17trampoline_kernelINS0_14default_configENS1_25partition_config_selectorILNS1_17partition_subalgoE9EllbEEZZNS1_14partition_implILS5_9ELb0ES3_jPlS8_PNS0_10empty_typeENS0_5tupleIJS8_S9_EEENSB_IJS8_SA_EEENS0_18inequality_wrapperIZN2at6native12_GLOBAL__N_124unique_dim_cuda_templateIiEESt5tupleIJNSF_6TensorESK_SK_EERKSK_lbbbEUlllE0_EEPmJS9_EEE10hipError_tPvRmT3_T4_T5_T6_T7_T9_mT8_P12ihipStream_tbDpT10_ENKUlT_T0_E_clISt17integral_constantIbLb0EES1A_EEDaS15_S16_EUlS15_E_NS1_11comp_targetILNS1_3genE5ELNS1_11target_archE942ELNS1_3gpuE9ELNS1_3repE0EEENS1_30default_config_static_selectorELNS0_4arch9wavefront6targetE1EEEvT1_
	.p2align	8
	.type	_ZN7rocprim17ROCPRIM_400000_NS6detail17trampoline_kernelINS0_14default_configENS1_25partition_config_selectorILNS1_17partition_subalgoE9EllbEEZZNS1_14partition_implILS5_9ELb0ES3_jPlS8_PNS0_10empty_typeENS0_5tupleIJS8_S9_EEENSB_IJS8_SA_EEENS0_18inequality_wrapperIZN2at6native12_GLOBAL__N_124unique_dim_cuda_templateIiEESt5tupleIJNSF_6TensorESK_SK_EERKSK_lbbbEUlllE0_EEPmJS9_EEE10hipError_tPvRmT3_T4_T5_T6_T7_T9_mT8_P12ihipStream_tbDpT10_ENKUlT_T0_E_clISt17integral_constantIbLb0EES1A_EEDaS15_S16_EUlS15_E_NS1_11comp_targetILNS1_3genE5ELNS1_11target_archE942ELNS1_3gpuE9ELNS1_3repE0EEENS1_30default_config_static_selectorELNS0_4arch9wavefront6targetE1EEEvT1_,@function
_ZN7rocprim17ROCPRIM_400000_NS6detail17trampoline_kernelINS0_14default_configENS1_25partition_config_selectorILNS1_17partition_subalgoE9EllbEEZZNS1_14partition_implILS5_9ELb0ES3_jPlS8_PNS0_10empty_typeENS0_5tupleIJS8_S9_EEENSB_IJS8_SA_EEENS0_18inequality_wrapperIZN2at6native12_GLOBAL__N_124unique_dim_cuda_templateIiEESt5tupleIJNSF_6TensorESK_SK_EERKSK_lbbbEUlllE0_EEPmJS9_EEE10hipError_tPvRmT3_T4_T5_T6_T7_T9_mT8_P12ihipStream_tbDpT10_ENKUlT_T0_E_clISt17integral_constantIbLb0EES1A_EEDaS15_S16_EUlS15_E_NS1_11comp_targetILNS1_3genE5ELNS1_11target_archE942ELNS1_3gpuE9ELNS1_3repE0EEENS1_30default_config_static_selectorELNS0_4arch9wavefront6targetE1EEEvT1_: ; @_ZN7rocprim17ROCPRIM_400000_NS6detail17trampoline_kernelINS0_14default_configENS1_25partition_config_selectorILNS1_17partition_subalgoE9EllbEEZZNS1_14partition_implILS5_9ELb0ES3_jPlS8_PNS0_10empty_typeENS0_5tupleIJS8_S9_EEENSB_IJS8_SA_EEENS0_18inequality_wrapperIZN2at6native12_GLOBAL__N_124unique_dim_cuda_templateIiEESt5tupleIJNSF_6TensorESK_SK_EERKSK_lbbbEUlllE0_EEPmJS9_EEE10hipError_tPvRmT3_T4_T5_T6_T7_T9_mT8_P12ihipStream_tbDpT10_ENKUlT_T0_E_clISt17integral_constantIbLb0EES1A_EEDaS15_S16_EUlS15_E_NS1_11comp_targetILNS1_3genE5ELNS1_11target_archE942ELNS1_3gpuE9ELNS1_3repE0EEENS1_30default_config_static_selectorELNS0_4arch9wavefront6targetE1EEEvT1_
; %bb.0:
	.section	.rodata,"a",@progbits
	.p2align	6, 0x0
	.amdhsa_kernel _ZN7rocprim17ROCPRIM_400000_NS6detail17trampoline_kernelINS0_14default_configENS1_25partition_config_selectorILNS1_17partition_subalgoE9EllbEEZZNS1_14partition_implILS5_9ELb0ES3_jPlS8_PNS0_10empty_typeENS0_5tupleIJS8_S9_EEENSB_IJS8_SA_EEENS0_18inequality_wrapperIZN2at6native12_GLOBAL__N_124unique_dim_cuda_templateIiEESt5tupleIJNSF_6TensorESK_SK_EERKSK_lbbbEUlllE0_EEPmJS9_EEE10hipError_tPvRmT3_T4_T5_T6_T7_T9_mT8_P12ihipStream_tbDpT10_ENKUlT_T0_E_clISt17integral_constantIbLb0EES1A_EEDaS15_S16_EUlS15_E_NS1_11comp_targetILNS1_3genE5ELNS1_11target_archE942ELNS1_3gpuE9ELNS1_3repE0EEENS1_30default_config_static_selectorELNS0_4arch9wavefront6targetE1EEEvT1_
		.amdhsa_group_segment_fixed_size 0
		.amdhsa_private_segment_fixed_size 0
		.amdhsa_kernarg_size 120
		.amdhsa_user_sgpr_count 6
		.amdhsa_user_sgpr_private_segment_buffer 1
		.amdhsa_user_sgpr_dispatch_ptr 0
		.amdhsa_user_sgpr_queue_ptr 0
		.amdhsa_user_sgpr_kernarg_segment_ptr 1
		.amdhsa_user_sgpr_dispatch_id 0
		.amdhsa_user_sgpr_flat_scratch_init 0
		.amdhsa_user_sgpr_kernarg_preload_length 0
		.amdhsa_user_sgpr_kernarg_preload_offset 0
		.amdhsa_user_sgpr_private_segment_size 0
		.amdhsa_uses_dynamic_stack 0
		.amdhsa_system_sgpr_private_segment_wavefront_offset 0
		.amdhsa_system_sgpr_workgroup_id_x 1
		.amdhsa_system_sgpr_workgroup_id_y 0
		.amdhsa_system_sgpr_workgroup_id_z 0
		.amdhsa_system_sgpr_workgroup_info 0
		.amdhsa_system_vgpr_workitem_id 0
		.amdhsa_next_free_vgpr 1
		.amdhsa_next_free_sgpr 0
		.amdhsa_accum_offset 4
		.amdhsa_reserve_vcc 0
		.amdhsa_reserve_flat_scratch 0
		.amdhsa_float_round_mode_32 0
		.amdhsa_float_round_mode_16_64 0
		.amdhsa_float_denorm_mode_32 3
		.amdhsa_float_denorm_mode_16_64 3
		.amdhsa_dx10_clamp 1
		.amdhsa_ieee_mode 1
		.amdhsa_fp16_overflow 0
		.amdhsa_tg_split 0
		.amdhsa_exception_fp_ieee_invalid_op 0
		.amdhsa_exception_fp_denorm_src 0
		.amdhsa_exception_fp_ieee_div_zero 0
		.amdhsa_exception_fp_ieee_overflow 0
		.amdhsa_exception_fp_ieee_underflow 0
		.amdhsa_exception_fp_ieee_inexact 0
		.amdhsa_exception_int_div_zero 0
	.end_amdhsa_kernel
	.section	.text._ZN7rocprim17ROCPRIM_400000_NS6detail17trampoline_kernelINS0_14default_configENS1_25partition_config_selectorILNS1_17partition_subalgoE9EllbEEZZNS1_14partition_implILS5_9ELb0ES3_jPlS8_PNS0_10empty_typeENS0_5tupleIJS8_S9_EEENSB_IJS8_SA_EEENS0_18inequality_wrapperIZN2at6native12_GLOBAL__N_124unique_dim_cuda_templateIiEESt5tupleIJNSF_6TensorESK_SK_EERKSK_lbbbEUlllE0_EEPmJS9_EEE10hipError_tPvRmT3_T4_T5_T6_T7_T9_mT8_P12ihipStream_tbDpT10_ENKUlT_T0_E_clISt17integral_constantIbLb0EES1A_EEDaS15_S16_EUlS15_E_NS1_11comp_targetILNS1_3genE5ELNS1_11target_archE942ELNS1_3gpuE9ELNS1_3repE0EEENS1_30default_config_static_selectorELNS0_4arch9wavefront6targetE1EEEvT1_,"axG",@progbits,_ZN7rocprim17ROCPRIM_400000_NS6detail17trampoline_kernelINS0_14default_configENS1_25partition_config_selectorILNS1_17partition_subalgoE9EllbEEZZNS1_14partition_implILS5_9ELb0ES3_jPlS8_PNS0_10empty_typeENS0_5tupleIJS8_S9_EEENSB_IJS8_SA_EEENS0_18inequality_wrapperIZN2at6native12_GLOBAL__N_124unique_dim_cuda_templateIiEESt5tupleIJNSF_6TensorESK_SK_EERKSK_lbbbEUlllE0_EEPmJS9_EEE10hipError_tPvRmT3_T4_T5_T6_T7_T9_mT8_P12ihipStream_tbDpT10_ENKUlT_T0_E_clISt17integral_constantIbLb0EES1A_EEDaS15_S16_EUlS15_E_NS1_11comp_targetILNS1_3genE5ELNS1_11target_archE942ELNS1_3gpuE9ELNS1_3repE0EEENS1_30default_config_static_selectorELNS0_4arch9wavefront6targetE1EEEvT1_,comdat
.Lfunc_end474:
	.size	_ZN7rocprim17ROCPRIM_400000_NS6detail17trampoline_kernelINS0_14default_configENS1_25partition_config_selectorILNS1_17partition_subalgoE9EllbEEZZNS1_14partition_implILS5_9ELb0ES3_jPlS8_PNS0_10empty_typeENS0_5tupleIJS8_S9_EEENSB_IJS8_SA_EEENS0_18inequality_wrapperIZN2at6native12_GLOBAL__N_124unique_dim_cuda_templateIiEESt5tupleIJNSF_6TensorESK_SK_EERKSK_lbbbEUlllE0_EEPmJS9_EEE10hipError_tPvRmT3_T4_T5_T6_T7_T9_mT8_P12ihipStream_tbDpT10_ENKUlT_T0_E_clISt17integral_constantIbLb0EES1A_EEDaS15_S16_EUlS15_E_NS1_11comp_targetILNS1_3genE5ELNS1_11target_archE942ELNS1_3gpuE9ELNS1_3repE0EEENS1_30default_config_static_selectorELNS0_4arch9wavefront6targetE1EEEvT1_, .Lfunc_end474-_ZN7rocprim17ROCPRIM_400000_NS6detail17trampoline_kernelINS0_14default_configENS1_25partition_config_selectorILNS1_17partition_subalgoE9EllbEEZZNS1_14partition_implILS5_9ELb0ES3_jPlS8_PNS0_10empty_typeENS0_5tupleIJS8_S9_EEENSB_IJS8_SA_EEENS0_18inequality_wrapperIZN2at6native12_GLOBAL__N_124unique_dim_cuda_templateIiEESt5tupleIJNSF_6TensorESK_SK_EERKSK_lbbbEUlllE0_EEPmJS9_EEE10hipError_tPvRmT3_T4_T5_T6_T7_T9_mT8_P12ihipStream_tbDpT10_ENKUlT_T0_E_clISt17integral_constantIbLb0EES1A_EEDaS15_S16_EUlS15_E_NS1_11comp_targetILNS1_3genE5ELNS1_11target_archE942ELNS1_3gpuE9ELNS1_3repE0EEENS1_30default_config_static_selectorELNS0_4arch9wavefront6targetE1EEEvT1_
                                        ; -- End function
	.section	.AMDGPU.csdata,"",@progbits
; Kernel info:
; codeLenInByte = 0
; NumSgprs: 4
; NumVgprs: 0
; NumAgprs: 0
; TotalNumVgprs: 0
; ScratchSize: 0
; MemoryBound: 0
; FloatMode: 240
; IeeeMode: 1
; LDSByteSize: 0 bytes/workgroup (compile time only)
; SGPRBlocks: 0
; VGPRBlocks: 0
; NumSGPRsForWavesPerEU: 4
; NumVGPRsForWavesPerEU: 1
; AccumOffset: 4
; Occupancy: 8
; WaveLimiterHint : 0
; COMPUTE_PGM_RSRC2:SCRATCH_EN: 0
; COMPUTE_PGM_RSRC2:USER_SGPR: 6
; COMPUTE_PGM_RSRC2:TRAP_HANDLER: 0
; COMPUTE_PGM_RSRC2:TGID_X_EN: 1
; COMPUTE_PGM_RSRC2:TGID_Y_EN: 0
; COMPUTE_PGM_RSRC2:TGID_Z_EN: 0
; COMPUTE_PGM_RSRC2:TIDIG_COMP_CNT: 0
; COMPUTE_PGM_RSRC3_GFX90A:ACCUM_OFFSET: 0
; COMPUTE_PGM_RSRC3_GFX90A:TG_SPLIT: 0
	.section	.text._ZN7rocprim17ROCPRIM_400000_NS6detail17trampoline_kernelINS0_14default_configENS1_25partition_config_selectorILNS1_17partition_subalgoE9EllbEEZZNS1_14partition_implILS5_9ELb0ES3_jPlS8_PNS0_10empty_typeENS0_5tupleIJS8_S9_EEENSB_IJS8_SA_EEENS0_18inequality_wrapperIZN2at6native12_GLOBAL__N_124unique_dim_cuda_templateIiEESt5tupleIJNSF_6TensorESK_SK_EERKSK_lbbbEUlllE0_EEPmJS9_EEE10hipError_tPvRmT3_T4_T5_T6_T7_T9_mT8_P12ihipStream_tbDpT10_ENKUlT_T0_E_clISt17integral_constantIbLb0EES1A_EEDaS15_S16_EUlS15_E_NS1_11comp_targetILNS1_3genE4ELNS1_11target_archE910ELNS1_3gpuE8ELNS1_3repE0EEENS1_30default_config_static_selectorELNS0_4arch9wavefront6targetE1EEEvT1_,"axG",@progbits,_ZN7rocprim17ROCPRIM_400000_NS6detail17trampoline_kernelINS0_14default_configENS1_25partition_config_selectorILNS1_17partition_subalgoE9EllbEEZZNS1_14partition_implILS5_9ELb0ES3_jPlS8_PNS0_10empty_typeENS0_5tupleIJS8_S9_EEENSB_IJS8_SA_EEENS0_18inequality_wrapperIZN2at6native12_GLOBAL__N_124unique_dim_cuda_templateIiEESt5tupleIJNSF_6TensorESK_SK_EERKSK_lbbbEUlllE0_EEPmJS9_EEE10hipError_tPvRmT3_T4_T5_T6_T7_T9_mT8_P12ihipStream_tbDpT10_ENKUlT_T0_E_clISt17integral_constantIbLb0EES1A_EEDaS15_S16_EUlS15_E_NS1_11comp_targetILNS1_3genE4ELNS1_11target_archE910ELNS1_3gpuE8ELNS1_3repE0EEENS1_30default_config_static_selectorELNS0_4arch9wavefront6targetE1EEEvT1_,comdat
	.globl	_ZN7rocprim17ROCPRIM_400000_NS6detail17trampoline_kernelINS0_14default_configENS1_25partition_config_selectorILNS1_17partition_subalgoE9EllbEEZZNS1_14partition_implILS5_9ELb0ES3_jPlS8_PNS0_10empty_typeENS0_5tupleIJS8_S9_EEENSB_IJS8_SA_EEENS0_18inequality_wrapperIZN2at6native12_GLOBAL__N_124unique_dim_cuda_templateIiEESt5tupleIJNSF_6TensorESK_SK_EERKSK_lbbbEUlllE0_EEPmJS9_EEE10hipError_tPvRmT3_T4_T5_T6_T7_T9_mT8_P12ihipStream_tbDpT10_ENKUlT_T0_E_clISt17integral_constantIbLb0EES1A_EEDaS15_S16_EUlS15_E_NS1_11comp_targetILNS1_3genE4ELNS1_11target_archE910ELNS1_3gpuE8ELNS1_3repE0EEENS1_30default_config_static_selectorELNS0_4arch9wavefront6targetE1EEEvT1_ ; -- Begin function _ZN7rocprim17ROCPRIM_400000_NS6detail17trampoline_kernelINS0_14default_configENS1_25partition_config_selectorILNS1_17partition_subalgoE9EllbEEZZNS1_14partition_implILS5_9ELb0ES3_jPlS8_PNS0_10empty_typeENS0_5tupleIJS8_S9_EEENSB_IJS8_SA_EEENS0_18inequality_wrapperIZN2at6native12_GLOBAL__N_124unique_dim_cuda_templateIiEESt5tupleIJNSF_6TensorESK_SK_EERKSK_lbbbEUlllE0_EEPmJS9_EEE10hipError_tPvRmT3_T4_T5_T6_T7_T9_mT8_P12ihipStream_tbDpT10_ENKUlT_T0_E_clISt17integral_constantIbLb0EES1A_EEDaS15_S16_EUlS15_E_NS1_11comp_targetILNS1_3genE4ELNS1_11target_archE910ELNS1_3gpuE8ELNS1_3repE0EEENS1_30default_config_static_selectorELNS0_4arch9wavefront6targetE1EEEvT1_
	.p2align	8
	.type	_ZN7rocprim17ROCPRIM_400000_NS6detail17trampoline_kernelINS0_14default_configENS1_25partition_config_selectorILNS1_17partition_subalgoE9EllbEEZZNS1_14partition_implILS5_9ELb0ES3_jPlS8_PNS0_10empty_typeENS0_5tupleIJS8_S9_EEENSB_IJS8_SA_EEENS0_18inequality_wrapperIZN2at6native12_GLOBAL__N_124unique_dim_cuda_templateIiEESt5tupleIJNSF_6TensorESK_SK_EERKSK_lbbbEUlllE0_EEPmJS9_EEE10hipError_tPvRmT3_T4_T5_T6_T7_T9_mT8_P12ihipStream_tbDpT10_ENKUlT_T0_E_clISt17integral_constantIbLb0EES1A_EEDaS15_S16_EUlS15_E_NS1_11comp_targetILNS1_3genE4ELNS1_11target_archE910ELNS1_3gpuE8ELNS1_3repE0EEENS1_30default_config_static_selectorELNS0_4arch9wavefront6targetE1EEEvT1_,@function
_ZN7rocprim17ROCPRIM_400000_NS6detail17trampoline_kernelINS0_14default_configENS1_25partition_config_selectorILNS1_17partition_subalgoE9EllbEEZZNS1_14partition_implILS5_9ELb0ES3_jPlS8_PNS0_10empty_typeENS0_5tupleIJS8_S9_EEENSB_IJS8_SA_EEENS0_18inequality_wrapperIZN2at6native12_GLOBAL__N_124unique_dim_cuda_templateIiEESt5tupleIJNSF_6TensorESK_SK_EERKSK_lbbbEUlllE0_EEPmJS9_EEE10hipError_tPvRmT3_T4_T5_T6_T7_T9_mT8_P12ihipStream_tbDpT10_ENKUlT_T0_E_clISt17integral_constantIbLb0EES1A_EEDaS15_S16_EUlS15_E_NS1_11comp_targetILNS1_3genE4ELNS1_11target_archE910ELNS1_3gpuE8ELNS1_3repE0EEENS1_30default_config_static_selectorELNS0_4arch9wavefront6targetE1EEEvT1_: ; @_ZN7rocprim17ROCPRIM_400000_NS6detail17trampoline_kernelINS0_14default_configENS1_25partition_config_selectorILNS1_17partition_subalgoE9EllbEEZZNS1_14partition_implILS5_9ELb0ES3_jPlS8_PNS0_10empty_typeENS0_5tupleIJS8_S9_EEENSB_IJS8_SA_EEENS0_18inequality_wrapperIZN2at6native12_GLOBAL__N_124unique_dim_cuda_templateIiEESt5tupleIJNSF_6TensorESK_SK_EERKSK_lbbbEUlllE0_EEPmJS9_EEE10hipError_tPvRmT3_T4_T5_T6_T7_T9_mT8_P12ihipStream_tbDpT10_ENKUlT_T0_E_clISt17integral_constantIbLb0EES1A_EEDaS15_S16_EUlS15_E_NS1_11comp_targetILNS1_3genE4ELNS1_11target_archE910ELNS1_3gpuE8ELNS1_3repE0EEENS1_30default_config_static_selectorELNS0_4arch9wavefront6targetE1EEEvT1_
; %bb.0:
	s_load_dwordx8 s[20:27], s[4:5], 0x40
	s_load_dwordx4 s[0:3], s[4:5], 0x8
	s_load_dwordx2 s[12:13], s[4:5], 0x18
	s_load_dword s9, s[4:5], 0x70
	v_lshrrev_b32_e32 v18, 2, v0
	s_waitcnt lgkmcnt(0)
	v_mov_b32_e32 v2, s24
	s_lshl_b64 s[14:15], s[2:3], 3
	s_add_u32 s18, s0, s14
	s_addc_u32 s19, s1, s15
	s_add_i32 s10, s9, -1
	s_lshl_b32 s0, s10, 9
	s_add_i32 s0, s2, s0
	s_lshl_b32 s8, s6, 9
	s_sub_i32 s7, s24, s0
	s_lshl_b32 s0, s9, 9
	s_add_u32 s0, s2, s0
	s_addc_u32 s1, s3, 0
	v_mov_b32_e32 v3, s25
	s_cmp_eq_u32 s6, s10
	s_load_dwordx2 s[22:23], s[22:23], 0x0
	v_cmp_ge_u64_e32 vcc, s[0:1], v[2:3]
	s_cselect_b64 s[24:25], -1, 0
	s_mov_b32 s9, 0
	s_and_b64 s[10:11], s[24:25], vcc
	s_xor_b64 s[34:35], s[10:11], -1
	s_lshl_b64 s[16:17], s[8:9], 3
	s_add_u32 s8, s18, s16
	s_mov_b64 s[0:1], -1
	s_addc_u32 s9, s19, s17
	s_and_b64 vcc, exec, s[34:35]
	s_cbranch_vccz .LBB475_2
; %bb.1:
	v_lshlrev_b32_e32 v1, 3, v0
	global_load_dwordx2 v[2:3], v1, s[8:9]
	global_load_dwordx2 v[4:5], v1, s[8:9] offset:1024
	global_load_dwordx2 v[6:7], v1, s[8:9] offset:2048
	;; [unrolled: 1-line block ×3, first 2 shown]
	v_or_b32_e32 v11, 0x80, v0
	v_or_b32_e32 v12, 0x100, v0
	;; [unrolled: 1-line block ×3, first 2 shown]
	v_and_b32_e32 v10, 24, v18
	v_lshrrev_b32_e32 v11, 2, v11
	v_lshrrev_b32_e32 v12, 2, v12
	;; [unrolled: 1-line block ×3, first 2 shown]
	v_add_u32_e32 v10, v10, v1
	v_and_b32_e32 v11, 56, v11
	v_and_b32_e32 v12, 0x58, v12
	;; [unrolled: 1-line block ×3, first 2 shown]
	v_add_u32_e32 v11, v11, v1
	v_add_u32_e32 v12, v12, v1
	;; [unrolled: 1-line block ×3, first 2 shown]
	s_mov_b64 s[0:1], 0
	s_waitcnt vmcnt(3)
	ds_write_b64 v10, v[2:3]
	s_waitcnt vmcnt(2)
	ds_write_b64 v11, v[4:5] offset:1024
	s_waitcnt vmcnt(1)
	ds_write_b64 v12, v[6:7] offset:2048
	;; [unrolled: 2-line block ×3, first 2 shown]
	s_waitcnt lgkmcnt(0)
	s_barrier
.LBB475_2:
	s_load_dwordx4 s[28:31], s[4:5], 0x60
	s_andn2_b64 vcc, exec, s[0:1]
	v_cmp_gt_u32_e64 s[0:1], s7, v0
	s_cbranch_vccnz .LBB475_12
; %bb.3:
                                        ; implicit-def: $vgpr2_vgpr3_vgpr4_vgpr5_vgpr6_vgpr7_vgpr8_vgpr9
	s_and_saveexec_b64 s[18:19], s[0:1]
	s_cbranch_execz .LBB475_5
; %bb.4:
	v_lshlrev_b32_e32 v1, 3, v0
	global_load_dwordx2 v[2:3], v1, s[8:9]
.LBB475_5:
	s_or_b64 exec, exec, s[18:19]
	v_or_b32_e32 v1, 0x80, v0
	v_cmp_gt_u32_e32 vcc, s7, v1
	s_and_saveexec_b64 s[0:1], vcc
	s_cbranch_execz .LBB475_7
; %bb.6:
	v_lshlrev_b32_e32 v4, 3, v0
	global_load_dwordx2 v[4:5], v4, s[8:9] offset:1024
.LBB475_7:
	s_or_b64 exec, exec, s[0:1]
	v_or_b32_e32 v10, 0x100, v0
	v_cmp_gt_u32_e32 vcc, s7, v10
	s_and_saveexec_b64 s[0:1], vcc
	s_cbranch_execz .LBB475_9
; %bb.8:
	v_lshlrev_b32_e32 v6, 3, v0
	global_load_dwordx2 v[6:7], v6, s[8:9] offset:2048
.LBB475_9:
	;; [unrolled: 9-line block ×3, first 2 shown]
	s_or_b64 exec, exec, s[0:1]
	v_lshrrev_b32_e32 v1, 2, v1
	v_lshlrev_b32_e32 v13, 3, v0
	v_and_b32_e32 v1, 56, v1
	v_add_u32_e32 v1, v1, v13
	s_waitcnt vmcnt(0)
	ds_write_b64 v1, v[4:5] offset:1024
	v_lshrrev_b32_e32 v1, 2, v10
	v_and_b32_e32 v1, 0x78, v1
	v_add_u32_e32 v1, v1, v13
	ds_write_b64 v1, v[6:7] offset:2048
	v_lshrrev_b32_e32 v1, 2, v11
	v_and_b32_e32 v12, 24, v18
	v_and_b32_e32 v1, 0x78, v1
	v_add_u32_e32 v12, v12, v13
	v_add_u32_e32 v1, v1, v13
	ds_write_b64 v12, v[2:3]
	ds_write_b64 v1, v[8:9] offset:3072
	s_waitcnt lgkmcnt(0)
	s_barrier
.LBB475_12:
	v_lshlrev_b32_e32 v1, 2, v0
	v_lshrrev_b32_e32 v2, 3, v0
	v_add_lshl_u32 v19, v2, v1, 3
	s_waitcnt lgkmcnt(0)
	ds_read2_b64 v[14:17], v19 offset1:1
	ds_read2_b64 v[10:13], v19 offset0:2 offset1:3
	s_add_u32 s0, s12, s14
	s_addc_u32 s1, s13, s15
	s_add_u32 s0, s0, s16
	s_addc_u32 s1, s1, s17
	s_mov_b64 s[12:13], -1
	s_and_b64 vcc, exec, s[34:35]
	s_waitcnt lgkmcnt(0)
	s_barrier
	s_cbranch_vccz .LBB475_14
; %bb.13:
	v_lshlrev_b32_e32 v20, 3, v0
	global_load_dwordx2 v[2:3], v20, s[0:1]
	global_load_dwordx2 v[4:5], v20, s[0:1] offset:1024
	global_load_dwordx2 v[6:7], v20, s[0:1] offset:2048
	;; [unrolled: 1-line block ×3, first 2 shown]
	v_or_b32_e32 v22, 0x80, v0
	v_or_b32_e32 v23, 0x100, v0
	v_or_b32_e32 v24, 0x180, v0
	v_and_b32_e32 v21, 24, v18
	v_lshrrev_b32_e32 v22, 2, v22
	v_lshrrev_b32_e32 v23, 2, v23
	;; [unrolled: 1-line block ×3, first 2 shown]
	v_add_u32_e32 v21, v21, v20
	v_and_b32_e32 v22, 56, v22
	v_and_b32_e32 v23, 0x58, v23
	;; [unrolled: 1-line block ×3, first 2 shown]
	v_add_u32_e32 v22, v22, v20
	v_add_u32_e32 v23, v23, v20
	;; [unrolled: 1-line block ×3, first 2 shown]
	s_mov_b64 s[12:13], 0
	s_waitcnt vmcnt(3)
	ds_write_b64 v21, v[2:3]
	s_waitcnt vmcnt(2)
	ds_write_b64 v22, v[4:5] offset:1024
	s_waitcnt vmcnt(1)
	ds_write_b64 v23, v[6:7] offset:2048
	;; [unrolled: 2-line block ×3, first 2 shown]
	s_waitcnt lgkmcnt(0)
	s_barrier
.LBB475_14:
	s_andn2_b64 vcc, exec, s[12:13]
	s_cbranch_vccnz .LBB475_24
; %bb.15:
	v_cmp_gt_u32_e32 vcc, s7, v0
                                        ; implicit-def: $vgpr2_vgpr3
	s_and_saveexec_b64 s[12:13], vcc
	s_cbranch_execz .LBB475_17
; %bb.16:
	v_lshlrev_b32_e32 v2, 3, v0
	global_load_dwordx2 v[2:3], v2, s[0:1]
.LBB475_17:
	s_or_b64 exec, exec, s[12:13]
	v_or_b32_e32 v20, 0x80, v0
	v_cmp_gt_u32_e32 vcc, s7, v20
                                        ; implicit-def: $vgpr4_vgpr5
	s_and_saveexec_b64 s[12:13], vcc
	s_cbranch_execz .LBB475_19
; %bb.18:
	v_lshlrev_b32_e32 v4, 3, v0
	global_load_dwordx2 v[4:5], v4, s[0:1] offset:1024
.LBB475_19:
	s_or_b64 exec, exec, s[12:13]
	v_or_b32_e32 v21, 0x100, v0
	v_cmp_gt_u32_e32 vcc, s7, v21
                                        ; implicit-def: $vgpr6_vgpr7
	s_and_saveexec_b64 s[12:13], vcc
	s_cbranch_execz .LBB475_21
; %bb.20:
	v_lshlrev_b32_e32 v6, 3, v0
	global_load_dwordx2 v[6:7], v6, s[0:1] offset:2048
.LBB475_21:
	s_or_b64 exec, exec, s[12:13]
	v_or_b32_e32 v22, 0x180, v0
	v_cmp_gt_u32_e32 vcc, s7, v22
                                        ; implicit-def: $vgpr8_vgpr9
	s_and_saveexec_b64 s[12:13], vcc
	s_cbranch_execz .LBB475_23
; %bb.22:
	v_lshlrev_b32_e32 v8, 3, v0
	global_load_dwordx2 v[8:9], v8, s[0:1] offset:3072
.LBB475_23:
	s_or_b64 exec, exec, s[12:13]
	v_and_b32_e32 v18, 24, v18
	v_lshlrev_b32_e32 v23, 3, v0
	v_add_u32_e32 v18, v18, v23
	s_waitcnt vmcnt(0)
	ds_write_b64 v18, v[2:3]
	v_lshrrev_b32_e32 v2, 2, v20
	v_and_b32_e32 v2, 56, v2
	v_add_u32_e32 v2, v2, v23
	ds_write_b64 v2, v[4:5] offset:1024
	v_lshrrev_b32_e32 v2, 2, v21
	v_and_b32_e32 v2, 0x78, v2
	v_add_u32_e32 v2, v2, v23
	ds_write_b64 v2, v[6:7] offset:2048
	;; [unrolled: 4-line block ×3, first 2 shown]
	s_waitcnt lgkmcnt(0)
	s_barrier
.LBB475_24:
	ds_read2_b64 v[6:9], v19 offset1:1
	ds_read2_b64 v[2:5], v19 offset0:2 offset1:3
	s_cmp_lg_u32 s6, 0
	s_cselect_b64 s[16:17], -1, 0
	s_cmp_lg_u64 s[2:3], 0
	s_cselect_b64 s[0:1], -1, 0
	s_or_b64 s[0:1], s[16:17], s[0:1]
	s_mov_b64 s[12:13], 0
	s_and_b64 vcc, exec, s[0:1]
	v_cmp_gt_i64_e64 s[0:1], s[26:27], 0
	s_waitcnt lgkmcnt(0)
	s_barrier
	s_cbranch_vccz .LBB475_33
; %bb.25:
	s_add_u32 s2, s8, -8
	s_addc_u32 s3, s9, -1
	s_load_dwordx2 s[12:13], s[2:3], 0x0
	v_cndmask_b32_e64 v18, 0, 1, s[0:1]
	v_lshlrev_b32_e32 v26, 3, v0
	s_mov_b64 s[14:15], 0
	s_and_b64 vcc, exec, s[34:35]
	v_cmp_ne_u32_e64 s[0:1], 1, v18
	ds_write_b64 v26, v[12:13]
	s_cbranch_vccz .LBB475_34
; %bb.26:
	v_mul_lo_u32 v20, v11, s26
	v_mul_lo_u32 v21, v10, s27
	v_mad_u64_u32 v[18:19], s[2:3], v10, s26, 0
	v_add3_u32 v19, v19, v21, v20
	s_and_b64 vcc, exec, s[0:1]
	v_lshlrev_b64 v[18:19], 2, v[18:19]
	s_cbranch_vccnz .LBB475_37
; %bb.27:
	v_mul_lo_u32 v22, v13, s26
	v_mul_lo_u32 v23, v12, s27
	v_mad_u64_u32 v[20:21], s[2:3], v12, s26, 0
	v_add3_u32 v21, v21, v23, v22
	v_mov_b32_e32 v23, s29
	v_add_co_u32_e32 v22, vcc, s28, v18
	v_addc_co_u32_e64 v23, s[2:3], v23, v19, vcc
	v_lshlrev_b64 v[20:21], 2, v[20:21]
	v_mov_b32_e32 v25, s29
	v_add_co_u32_e64 v24, s[2:3], s28, v20
	v_addc_co_u32_e64 v25, s[8:9], v25, v21, s[2:3]
	global_load_dword v20, v[22:23], off
	global_load_dword v27, v[24:25], off
	s_mov_b64 s[14:15], -1
	s_waitcnt vmcnt(0)
	v_cmp_eq_u32_e64 s[8:9], v20, v27
	s_and_saveexec_b64 s[18:19], s[8:9]
	s_cbranch_execz .LBB475_36
; %bb.28:
	v_mov_b32_e32 v20, s29
	v_addc_co_u32_e64 v21, s[2:3], v21, v20, s[2:3]
	v_add_co_u32_e64 v20, s[2:3], 4, v24
	v_mov_b32_e32 v23, s29
	v_addc_co_u32_e64 v21, s[2:3], 0, v21, s[2:3]
	v_addc_co_u32_e32 v23, vcc, v19, v23, vcc
	v_add_co_u32_e32 v22, vcc, 4, v22
	s_add_u32 s2, s26, -1
	v_addc_co_u32_e32 v23, vcc, 0, v23, vcc
	s_addc_u32 s3, s27, -1
	s_mov_b64 s[8:9], 0
	s_mov_b64 s[36:37], 0
                                        ; implicit-def: $sgpr14_sgpr15
	s_branch .LBB475_31
.LBB475_29:                             ;   in Loop: Header=BB475_31 Depth=1
	global_load_dword v24, v[22:23], off
	global_load_dword v25, v[20:21], off
	v_add_co_u32_e32 v20, vcc, 4, v20
	v_addc_co_u32_e32 v21, vcc, 0, v21, vcc
	v_add_co_u32_e32 v22, vcc, 4, v22
	v_addc_co_u32_e32 v23, vcc, 0, v23, vcc
	s_add_u32 s36, s36, 1
	s_addc_u32 s37, s37, 0
	s_andn2_b64 s[14:15], s[14:15], exec
	s_waitcnt vmcnt(0)
	v_cmp_ne_u32_e32 vcc, v24, v25
	s_and_b64 s[38:39], vcc, exec
	s_or_b64 s[14:15], s[14:15], s[38:39]
.LBB475_30:                             ;   in Loop: Header=BB475_31 Depth=1
	s_and_b64 s[38:39], exec, s[14:15]
	s_or_b64 s[8:9], s[38:39], s[8:9]
	v_pk_mov_b32 v[24:25], s[36:37], s[36:37] op_sel:[0,1]
	s_andn2_b64 exec, exec, s[8:9]
	s_cbranch_execz .LBB475_35
.LBB475_31:                             ; =>This Inner Loop Header: Depth=1
	s_or_b64 s[14:15], s[14:15], exec
	s_cmp_eq_u64 s[2:3], s[36:37]
	s_cbranch_scc0 .LBB475_29
; %bb.32:                               ;   in Loop: Header=BB475_31 Depth=1
                                        ; implicit-def: $vgpr20_vgpr21
                                        ; implicit-def: $vgpr22_vgpr23
	s_mov_b64 s[36:37], s[26:27]
	s_branch .LBB475_30
.LBB475_33:
                                        ; implicit-def: $sgpr18_sgpr19
                                        ; implicit-def: $vgpr28
	s_branch .LBB475_115
.LBB475_34:
                                        ; implicit-def: $sgpr18_sgpr19
                                        ; implicit-def: $vgpr28
	s_cbranch_execnz .LBB475_67
	s_branch .LBB475_114
.LBB475_35:
	s_or_b64 exec, exec, s[8:9]
	v_cmp_gt_i64_e32 vcc, s[26:27], v[24:25]
	s_orn2_b64 s[14:15], vcc, exec
.LBB475_36:
	s_or_b64 exec, exec, s[18:19]
.LBB475_37:
	v_mul_lo_u32 v22, v17, s26
	v_mul_lo_u32 v23, v16, s27
	v_mad_u64_u32 v[20:21], s[2:3], v16, s26, 0
	v_add3_u32 v21, v21, v23, v22
	s_mov_b64 s[18:19], 0
	s_and_b64 vcc, exec, s[0:1]
	v_lshlrev_b64 v[20:21], 2, v[20:21]
	s_mov_b64 s[36:37], 0
	s_cbranch_vccnz .LBB475_46
; %bb.38:
	v_mov_b32_e32 v23, s29
	v_add_co_u32_e32 v22, vcc, s28, v20
	v_addc_co_u32_e64 v23, s[2:3], v23, v21, vcc
	v_mov_b32_e32 v25, s29
	v_add_co_u32_e64 v24, s[2:3], s28, v18
	v_addc_co_u32_e64 v25, s[8:9], v25, v19, s[2:3]
	global_load_dword v18, v[22:23], off
	global_load_dword v27, v[24:25], off
	s_mov_b64 s[36:37], -1
	s_waitcnt vmcnt(0)
	v_cmp_eq_u32_e64 s[8:9], v18, v27
	s_and_saveexec_b64 s[38:39], s[8:9]
	s_cbranch_execz .LBB475_45
; %bb.39:
	v_mov_b32_e32 v18, s29
	v_addc_co_u32_e64 v19, s[2:3], v19, v18, s[2:3]
	v_add_co_u32_e64 v18, s[2:3], 4, v24
	v_mov_b32_e32 v23, s29
	v_addc_co_u32_e64 v19, s[2:3], 0, v19, s[2:3]
	v_addc_co_u32_e32 v23, vcc, v21, v23, vcc
	v_add_co_u32_e32 v22, vcc, 4, v22
	s_add_u32 s2, s26, -1
	v_addc_co_u32_e32 v23, vcc, 0, v23, vcc
	s_addc_u32 s3, s27, -1
	s_mov_b64 s[8:9], 0
	s_mov_b64 s[40:41], 0
                                        ; implicit-def: $sgpr36_sgpr37
	s_branch .LBB475_42
.LBB475_40:                             ;   in Loop: Header=BB475_42 Depth=1
	global_load_dword v24, v[22:23], off
	global_load_dword v25, v[18:19], off
	v_add_co_u32_e32 v18, vcc, 4, v18
	v_addc_co_u32_e32 v19, vcc, 0, v19, vcc
	v_add_co_u32_e32 v22, vcc, 4, v22
	v_addc_co_u32_e32 v23, vcc, 0, v23, vcc
	s_add_u32 s40, s40, 1
	s_addc_u32 s41, s41, 0
	s_andn2_b64 s[36:37], s[36:37], exec
	s_waitcnt vmcnt(0)
	v_cmp_ne_u32_e32 vcc, v24, v25
	s_and_b64 s[42:43], vcc, exec
	s_or_b64 s[36:37], s[36:37], s[42:43]
.LBB475_41:                             ;   in Loop: Header=BB475_42 Depth=1
	s_and_b64 s[42:43], exec, s[36:37]
	s_or_b64 s[8:9], s[42:43], s[8:9]
	v_pk_mov_b32 v[24:25], s[40:41], s[40:41] op_sel:[0,1]
	s_andn2_b64 exec, exec, s[8:9]
	s_cbranch_execz .LBB475_44
.LBB475_42:                             ; =>This Inner Loop Header: Depth=1
	s_or_b64 s[36:37], s[36:37], exec
	s_cmp_eq_u64 s[2:3], s[40:41]
	s_cbranch_scc0 .LBB475_40
; %bb.43:                               ;   in Loop: Header=BB475_42 Depth=1
                                        ; implicit-def: $vgpr18_vgpr19
                                        ; implicit-def: $vgpr22_vgpr23
	s_mov_b64 s[40:41], s[26:27]
	s_branch .LBB475_41
.LBB475_44:
	s_or_b64 exec, exec, s[8:9]
	v_cmp_gt_i64_e32 vcc, s[26:27], v[24:25]
	s_orn2_b64 s[36:37], vcc, exec
.LBB475_45:
	s_or_b64 exec, exec, s[38:39]
.LBB475_46:
	v_mul_lo_u32 v22, v15, s26
	v_mul_lo_u32 v23, v14, s27
	v_mad_u64_u32 v[18:19], s[2:3], v14, s26, 0
	v_add3_u32 v19, v19, v23, v22
	s_and_b64 vcc, exec, s[0:1]
	v_lshlrev_b64 v[18:19], 2, v[18:19]
	s_cbranch_vccnz .LBB475_55
; %bb.47:
	v_mov_b32_e32 v23, s29
	v_add_co_u32_e32 v22, vcc, s28, v18
	v_addc_co_u32_e64 v23, s[2:3], v23, v19, vcc
	v_mov_b32_e32 v25, s29
	v_add_co_u32_e64 v24, s[2:3], s28, v20
	v_addc_co_u32_e64 v25, s[8:9], v25, v21, s[2:3]
	global_load_dword v20, v[22:23], off
	global_load_dword v27, v[24:25], off
	s_mov_b64 s[18:19], -1
	s_waitcnt vmcnt(0)
	v_cmp_eq_u32_e64 s[8:9], v20, v27
	s_and_saveexec_b64 s[38:39], s[8:9]
	s_cbranch_execz .LBB475_54
; %bb.48:
	v_mov_b32_e32 v20, s29
	v_addc_co_u32_e64 v21, s[2:3], v21, v20, s[2:3]
	v_add_co_u32_e64 v20, s[2:3], 4, v24
	v_mov_b32_e32 v23, s29
	v_addc_co_u32_e64 v21, s[2:3], 0, v21, s[2:3]
	v_addc_co_u32_e32 v23, vcc, v19, v23, vcc
	v_add_co_u32_e32 v22, vcc, 4, v22
	s_add_u32 s2, s26, -1
	v_addc_co_u32_e32 v23, vcc, 0, v23, vcc
	s_addc_u32 s3, s27, -1
	s_mov_b64 s[8:9], 0
	s_mov_b64 s[40:41], 0
                                        ; implicit-def: $sgpr18_sgpr19
	s_branch .LBB475_51
.LBB475_49:                             ;   in Loop: Header=BB475_51 Depth=1
	global_load_dword v24, v[22:23], off
	global_load_dword v25, v[20:21], off
	v_add_co_u32_e32 v20, vcc, 4, v20
	v_addc_co_u32_e32 v21, vcc, 0, v21, vcc
	v_add_co_u32_e32 v22, vcc, 4, v22
	v_addc_co_u32_e32 v23, vcc, 0, v23, vcc
	s_add_u32 s40, s40, 1
	s_addc_u32 s41, s41, 0
	s_andn2_b64 s[18:19], s[18:19], exec
	s_waitcnt vmcnt(0)
	v_cmp_ne_u32_e32 vcc, v24, v25
	s_and_b64 s[42:43], vcc, exec
	s_or_b64 s[18:19], s[18:19], s[42:43]
.LBB475_50:                             ;   in Loop: Header=BB475_51 Depth=1
	s_and_b64 s[42:43], exec, s[18:19]
	s_or_b64 s[8:9], s[42:43], s[8:9]
	v_pk_mov_b32 v[24:25], s[40:41], s[40:41] op_sel:[0,1]
	s_andn2_b64 exec, exec, s[8:9]
	s_cbranch_execz .LBB475_53
.LBB475_51:                             ; =>This Inner Loop Header: Depth=1
	s_or_b64 s[18:19], s[18:19], exec
	s_cmp_eq_u64 s[2:3], s[40:41]
	s_cbranch_scc0 .LBB475_49
; %bb.52:                               ;   in Loop: Header=BB475_51 Depth=1
                                        ; implicit-def: $vgpr20_vgpr21
                                        ; implicit-def: $vgpr22_vgpr23
	s_mov_b64 s[40:41], s[26:27]
	s_branch .LBB475_50
.LBB475_53:
	s_or_b64 exec, exec, s[8:9]
	v_cmp_gt_i64_e32 vcc, s[26:27], v[24:25]
	s_orn2_b64 s[18:19], vcc, exec
.LBB475_54:
	s_or_b64 exec, exec, s[38:39]
.LBB475_55:
	v_cmp_ne_u32_e32 vcc, 0, v0
	s_waitcnt lgkmcnt(0)
	v_pk_mov_b32 v[20:21], s[12:13], s[12:13] op_sel:[0,1]
	s_barrier
	s_and_saveexec_b64 s[2:3], vcc
	s_cbranch_execz .LBB475_57
; %bb.56:
	v_add_u32_e32 v20, -8, v26
	ds_read_b64 v[20:21], v20
.LBB475_57:
	s_or_b64 exec, exec, s[2:3]
	v_cndmask_b32_e64 v23, 0, 1, s[14:15]
	v_cndmask_b32_e64 v22, 0, 1, s[36:37]
	;; [unrolled: 1-line block ×3, first 2 shown]
	v_lshlrev_b16_e32 v23, 8, v23
	v_lshlrev_b16_e32 v27, 8, v24
	v_or_b32_sdwa v28, v22, v23 dst_sel:WORD_1 dst_unused:UNUSED_PAD src0_sel:DWORD src1_sel:DWORD
	s_mov_b64 s[14:15], 0
	s_and_b64 vcc, exec, s[0:1]
	s_mov_b64 s[18:19], 0
	s_cbranch_vccnz .LBB475_66
; %bb.58:
	s_waitcnt lgkmcnt(0)
	v_mul_lo_u32 v22, v21, s26
	v_mul_lo_u32 v23, v20, s27
	v_mad_u64_u32 v[20:21], s[2:3], v20, s26, 0
	v_add3_u32 v21, v21, v23, v22
	v_lshlrev_b64 v[20:21], 2, v[20:21]
	v_mov_b32_e32 v23, s29
	v_add_co_u32_e32 v22, vcc, s28, v20
	v_addc_co_u32_e64 v23, s[2:3], v23, v21, vcc
	v_mov_b32_e32 v20, s29
	v_add_co_u32_e64 v24, s[2:3], s28, v18
	v_addc_co_u32_e64 v25, s[8:9], v20, v19, s[2:3]
	global_load_dword v18, v[22:23], off
	global_load_dword v20, v[24:25], off
	s_mov_b64 s[18:19], -1
	s_waitcnt vmcnt(0)
	v_cmp_eq_u32_e64 s[8:9], v18, v20
	s_and_saveexec_b64 s[36:37], s[8:9]
	s_cbranch_execz .LBB475_65
; %bb.59:
	v_mov_b32_e32 v18, s29
	v_addc_co_u32_e64 v19, s[2:3], v19, v18, s[2:3]
	v_add_co_u32_e64 v18, s[2:3], 4, v24
	v_mov_b32_e32 v20, s29
	v_addc_co_u32_e64 v19, s[2:3], 0, v19, s[2:3]
	v_addc_co_u32_e32 v21, vcc, v21, v20, vcc
	v_add_co_u32_e32 v20, vcc, 4, v22
	s_add_u32 s2, s26, -1
	v_addc_co_u32_e32 v21, vcc, 0, v21, vcc
	s_addc_u32 s3, s27, -1
	s_mov_b64 s[8:9], 0
	s_mov_b64 s[38:39], 0
                                        ; implicit-def: $sgpr18_sgpr19
	s_branch .LBB475_62
.LBB475_60:                             ;   in Loop: Header=BB475_62 Depth=1
	global_load_dword v22, v[20:21], off
	global_load_dword v23, v[18:19], off
	v_add_co_u32_e32 v18, vcc, 4, v18
	v_addc_co_u32_e32 v19, vcc, 0, v19, vcc
	v_add_co_u32_e32 v20, vcc, 4, v20
	v_addc_co_u32_e32 v21, vcc, 0, v21, vcc
	s_add_u32 s38, s38, 1
	s_addc_u32 s39, s39, 0
	s_andn2_b64 s[18:19], s[18:19], exec
	s_waitcnt vmcnt(0)
	v_cmp_ne_u32_e32 vcc, v22, v23
	s_and_b64 s[40:41], vcc, exec
	s_or_b64 s[18:19], s[18:19], s[40:41]
.LBB475_61:                             ;   in Loop: Header=BB475_62 Depth=1
	s_and_b64 s[40:41], exec, s[18:19]
	s_or_b64 s[8:9], s[40:41], s[8:9]
	v_pk_mov_b32 v[22:23], s[38:39], s[38:39] op_sel:[0,1]
	s_andn2_b64 exec, exec, s[8:9]
	s_cbranch_execz .LBB475_64
.LBB475_62:                             ; =>This Inner Loop Header: Depth=1
	s_or_b64 s[18:19], s[18:19], exec
	s_cmp_eq_u64 s[2:3], s[38:39]
	s_cbranch_scc0 .LBB475_60
; %bb.63:                               ;   in Loop: Header=BB475_62 Depth=1
                                        ; implicit-def: $vgpr18_vgpr19
                                        ; implicit-def: $vgpr20_vgpr21
	s_mov_b64 s[38:39], s[26:27]
	s_branch .LBB475_61
.LBB475_64:
	s_or_b64 exec, exec, s[8:9]
	v_cmp_gt_i64_e32 vcc, s[26:27], v[22:23]
	s_orn2_b64 s[18:19], vcc, exec
.LBB475_65:
	s_or_b64 exec, exec, s[36:37]
.LBB475_66:
	v_or_b32_e32 v28, v27, v28
	s_and_b64 vcc, exec, s[14:15]
	s_cbranch_vccz .LBB475_114
.LBB475_67:
	v_or_b32_e32 v18, 3, v1
	v_cmp_gt_u32_e32 vcc, s7, v18
	s_mov_b64 s[18:19], 0
	s_mov_b64 s[14:15], 0
	s_and_saveexec_b64 s[36:37], vcc
	s_cbranch_execz .LBB475_78
; %bb.68:
	s_and_b64 vcc, exec, s[0:1]
	s_mov_b64 s[38:39], 0
	s_cbranch_vccnz .LBB475_77
; %bb.69:
	s_waitcnt lgkmcnt(0)
	v_mul_lo_u32 v20, v11, s26
	v_mul_lo_u32 v21, v10, s27
	v_mad_u64_u32 v[18:19], s[2:3], v10, s26, 0
	v_add3_u32 v19, v19, v21, v20
	v_mul_lo_u32 v20, v13, s26
	v_mul_lo_u32 v21, v12, s27
	v_mad_u64_u32 v[24:25], s[2:3], v12, s26, 0
	v_add3_u32 v25, v25, v21, v20
	v_lshlrev_b64 v[20:21], 2, v[18:19]
	v_mov_b32_e32 v18, s29
	v_add_co_u32_e32 v22, vcc, s28, v20
	v_addc_co_u32_e64 v23, s[2:3], v18, v21, vcc
	v_lshlrev_b64 v[18:19], 2, v[24:25]
	v_mov_b32_e32 v20, s29
	v_add_co_u32_e64 v24, s[2:3], s28, v18
	v_addc_co_u32_e64 v25, s[8:9], v20, v19, s[2:3]
	global_load_dword v18, v[22:23], off
	global_load_dword v20, v[24:25], off
	s_mov_b64 s[38:39], -1
	s_waitcnt vmcnt(0)
	v_cmp_eq_u32_e64 s[8:9], v18, v20
	s_and_saveexec_b64 s[14:15], s[8:9]
	s_cbranch_execz .LBB475_76
; %bb.70:
	v_mov_b32_e32 v18, s29
	v_addc_co_u32_e64 v19, s[2:3], v19, v18, s[2:3]
	v_add_co_u32_e64 v18, s[2:3], 4, v24
	v_mov_b32_e32 v20, s29
	v_addc_co_u32_e64 v19, s[2:3], 0, v19, s[2:3]
	v_addc_co_u32_e32 v21, vcc, v21, v20, vcc
	v_add_co_u32_e32 v20, vcc, 4, v22
	s_add_u32 s2, s26, -1
	v_addc_co_u32_e32 v21, vcc, 0, v21, vcc
	s_addc_u32 s3, s27, -1
	s_mov_b64 s[8:9], 0
	s_mov_b64 s[40:41], 0
                                        ; implicit-def: $sgpr38_sgpr39
	s_branch .LBB475_73
.LBB475_71:                             ;   in Loop: Header=BB475_73 Depth=1
	global_load_dword v22, v[20:21], off
	global_load_dword v23, v[18:19], off
	v_add_co_u32_e32 v18, vcc, 4, v18
	v_addc_co_u32_e32 v19, vcc, 0, v19, vcc
	v_add_co_u32_e32 v20, vcc, 4, v20
	v_addc_co_u32_e32 v21, vcc, 0, v21, vcc
	s_add_u32 s40, s40, 1
	s_addc_u32 s41, s41, 0
	s_andn2_b64 s[38:39], s[38:39], exec
	s_waitcnt vmcnt(0)
	v_cmp_ne_u32_e32 vcc, v22, v23
	s_and_b64 s[42:43], vcc, exec
	s_or_b64 s[38:39], s[38:39], s[42:43]
.LBB475_72:                             ;   in Loop: Header=BB475_73 Depth=1
	s_and_b64 s[42:43], exec, s[38:39]
	s_or_b64 s[8:9], s[42:43], s[8:9]
	v_pk_mov_b32 v[22:23], s[40:41], s[40:41] op_sel:[0,1]
	s_andn2_b64 exec, exec, s[8:9]
	s_cbranch_execz .LBB475_75
.LBB475_73:                             ; =>This Inner Loop Header: Depth=1
	s_or_b64 s[38:39], s[38:39], exec
	s_cmp_eq_u64 s[2:3], s[40:41]
	s_cbranch_scc0 .LBB475_71
; %bb.74:                               ;   in Loop: Header=BB475_73 Depth=1
                                        ; implicit-def: $vgpr18_vgpr19
                                        ; implicit-def: $vgpr20_vgpr21
	s_mov_b64 s[40:41], s[26:27]
	s_branch .LBB475_72
.LBB475_75:
	s_or_b64 exec, exec, s[8:9]
	v_cmp_gt_i64_e32 vcc, s[26:27], v[22:23]
	s_orn2_b64 s[38:39], vcc, exec
.LBB475_76:
	s_or_b64 exec, exec, s[14:15]
.LBB475_77:
	s_and_b64 s[14:15], s[38:39], exec
.LBB475_78:
	s_or_b64 exec, exec, s[36:37]
	v_or_b32_e32 v18, 2, v1
	v_cmp_gt_u32_e32 vcc, s7, v18
	s_and_saveexec_b64 s[36:37], vcc
	s_cbranch_execz .LBB475_89
; %bb.79:
	s_and_b64 vcc, exec, s[0:1]
	s_mov_b64 s[38:39], 0
	s_cbranch_vccnz .LBB475_88
; %bb.80:
	s_waitcnt lgkmcnt(0)
	v_mul_lo_u32 v20, v17, s26
	v_mul_lo_u32 v21, v16, s27
	v_mad_u64_u32 v[18:19], s[2:3], v16, s26, 0
	v_add3_u32 v19, v19, v21, v20
	v_mul_lo_u32 v20, v11, s26
	v_mul_lo_u32 v21, v10, s27
	v_mad_u64_u32 v[24:25], s[2:3], v10, s26, 0
	v_add3_u32 v25, v25, v21, v20
	v_lshlrev_b64 v[20:21], 2, v[18:19]
	v_mov_b32_e32 v18, s29
	v_add_co_u32_e32 v22, vcc, s28, v20
	v_addc_co_u32_e64 v23, s[2:3], v18, v21, vcc
	v_lshlrev_b64 v[18:19], 2, v[24:25]
	v_mov_b32_e32 v20, s29
	v_add_co_u32_e64 v24, s[2:3], s28, v18
	v_addc_co_u32_e64 v25, s[8:9], v20, v19, s[2:3]
	global_load_dword v18, v[22:23], off
	global_load_dword v20, v[24:25], off
	s_mov_b64 s[38:39], -1
	s_waitcnt vmcnt(0)
	v_cmp_eq_u32_e64 s[8:9], v18, v20
	s_and_saveexec_b64 s[18:19], s[8:9]
	s_cbranch_execz .LBB475_87
; %bb.81:
	v_mov_b32_e32 v18, s29
	v_addc_co_u32_e64 v19, s[2:3], v19, v18, s[2:3]
	v_add_co_u32_e64 v18, s[2:3], 4, v24
	v_mov_b32_e32 v20, s29
	v_addc_co_u32_e64 v19, s[2:3], 0, v19, s[2:3]
	v_addc_co_u32_e32 v21, vcc, v21, v20, vcc
	v_add_co_u32_e32 v20, vcc, 4, v22
	s_add_u32 s2, s26, -1
	v_addc_co_u32_e32 v21, vcc, 0, v21, vcc
	s_addc_u32 s3, s27, -1
	s_mov_b64 s[8:9], 0
	s_mov_b64 s[40:41], 0
                                        ; implicit-def: $sgpr38_sgpr39
	s_branch .LBB475_84
.LBB475_82:                             ;   in Loop: Header=BB475_84 Depth=1
	global_load_dword v22, v[20:21], off
	global_load_dword v23, v[18:19], off
	v_add_co_u32_e32 v18, vcc, 4, v18
	v_addc_co_u32_e32 v19, vcc, 0, v19, vcc
	v_add_co_u32_e32 v20, vcc, 4, v20
	v_addc_co_u32_e32 v21, vcc, 0, v21, vcc
	s_add_u32 s40, s40, 1
	s_addc_u32 s41, s41, 0
	s_andn2_b64 s[38:39], s[38:39], exec
	s_waitcnt vmcnt(0)
	v_cmp_ne_u32_e32 vcc, v22, v23
	s_and_b64 s[42:43], vcc, exec
	s_or_b64 s[38:39], s[38:39], s[42:43]
.LBB475_83:                             ;   in Loop: Header=BB475_84 Depth=1
	s_and_b64 s[42:43], exec, s[38:39]
	s_or_b64 s[8:9], s[42:43], s[8:9]
	v_pk_mov_b32 v[22:23], s[40:41], s[40:41] op_sel:[0,1]
	s_andn2_b64 exec, exec, s[8:9]
	s_cbranch_execz .LBB475_86
.LBB475_84:                             ; =>This Inner Loop Header: Depth=1
	s_or_b64 s[38:39], s[38:39], exec
	s_cmp_eq_u64 s[2:3], s[40:41]
	s_cbranch_scc0 .LBB475_82
; %bb.85:                               ;   in Loop: Header=BB475_84 Depth=1
                                        ; implicit-def: $vgpr18_vgpr19
                                        ; implicit-def: $vgpr20_vgpr21
	s_mov_b64 s[40:41], s[26:27]
	s_branch .LBB475_83
.LBB475_86:
	s_or_b64 exec, exec, s[8:9]
	v_cmp_gt_i64_e32 vcc, s[26:27], v[22:23]
	s_orn2_b64 s[38:39], vcc, exec
.LBB475_87:
	s_or_b64 exec, exec, s[18:19]
.LBB475_88:
	s_and_b64 s[18:19], s[38:39], exec
.LBB475_89:
	s_or_b64 exec, exec, s[36:37]
	v_or_b32_e32 v18, 1, v1
	v_cmp_gt_u32_e32 vcc, s7, v18
	s_mov_b64 s[2:3], 0
	s_and_saveexec_b64 s[36:37], vcc
	s_cbranch_execz .LBB475_100
; %bb.90:
	s_and_b64 vcc, exec, s[0:1]
	s_mov_b64 s[40:41], 0
	s_cbranch_vccnz .LBB475_99
; %bb.91:
	s_waitcnt lgkmcnt(0)
	v_mul_lo_u32 v20, v15, s26
	v_mul_lo_u32 v21, v14, s27
	v_mad_u64_u32 v[18:19], s[2:3], v14, s26, 0
	v_add3_u32 v19, v19, v21, v20
	v_mul_lo_u32 v20, v17, s26
	v_mul_lo_u32 v21, v16, s27
	v_mad_u64_u32 v[24:25], s[2:3], v16, s26, 0
	v_add3_u32 v25, v25, v21, v20
	v_lshlrev_b64 v[20:21], 2, v[18:19]
	v_mov_b32_e32 v18, s29
	v_add_co_u32_e32 v22, vcc, s28, v20
	v_addc_co_u32_e64 v23, s[2:3], v18, v21, vcc
	v_lshlrev_b64 v[18:19], 2, v[24:25]
	v_mov_b32_e32 v20, s29
	v_add_co_u32_e64 v24, s[2:3], s28, v18
	v_addc_co_u32_e64 v25, s[8:9], v20, v19, s[2:3]
	global_load_dword v18, v[22:23], off
	global_load_dword v20, v[24:25], off
	s_mov_b64 s[40:41], -1
	s_waitcnt vmcnt(0)
	v_cmp_eq_u32_e64 s[8:9], v18, v20
	s_and_saveexec_b64 s[38:39], s[8:9]
	s_cbranch_execz .LBB475_98
; %bb.92:
	v_mov_b32_e32 v18, s29
	v_addc_co_u32_e64 v19, s[2:3], v19, v18, s[2:3]
	v_add_co_u32_e64 v18, s[2:3], 4, v24
	v_mov_b32_e32 v20, s29
	v_addc_co_u32_e64 v19, s[2:3], 0, v19, s[2:3]
	v_addc_co_u32_e32 v21, vcc, v21, v20, vcc
	v_add_co_u32_e32 v20, vcc, 4, v22
	s_add_u32 s2, s26, -1
	v_addc_co_u32_e32 v21, vcc, 0, v21, vcc
	s_addc_u32 s3, s27, -1
	s_mov_b64 s[8:9], 0
	s_mov_b64 s[42:43], 0
                                        ; implicit-def: $sgpr40_sgpr41
	s_branch .LBB475_95
.LBB475_93:                             ;   in Loop: Header=BB475_95 Depth=1
	global_load_dword v22, v[20:21], off
	global_load_dword v23, v[18:19], off
	v_add_co_u32_e32 v18, vcc, 4, v18
	v_addc_co_u32_e32 v19, vcc, 0, v19, vcc
	v_add_co_u32_e32 v20, vcc, 4, v20
	v_addc_co_u32_e32 v21, vcc, 0, v21, vcc
	s_add_u32 s42, s42, 1
	s_addc_u32 s43, s43, 0
	s_andn2_b64 s[40:41], s[40:41], exec
	s_waitcnt vmcnt(0)
	v_cmp_ne_u32_e32 vcc, v22, v23
	s_and_b64 s[44:45], vcc, exec
	s_or_b64 s[40:41], s[40:41], s[44:45]
.LBB475_94:                             ;   in Loop: Header=BB475_95 Depth=1
	s_and_b64 s[44:45], exec, s[40:41]
	s_or_b64 s[8:9], s[44:45], s[8:9]
	v_pk_mov_b32 v[22:23], s[42:43], s[42:43] op_sel:[0,1]
	s_andn2_b64 exec, exec, s[8:9]
	s_cbranch_execz .LBB475_97
.LBB475_95:                             ; =>This Inner Loop Header: Depth=1
	s_or_b64 s[40:41], s[40:41], exec
	s_cmp_eq_u64 s[2:3], s[42:43]
	s_cbranch_scc0 .LBB475_93
; %bb.96:                               ;   in Loop: Header=BB475_95 Depth=1
                                        ; implicit-def: $vgpr18_vgpr19
                                        ; implicit-def: $vgpr20_vgpr21
	s_mov_b64 s[42:43], s[26:27]
	s_branch .LBB475_94
.LBB475_97:
	s_or_b64 exec, exec, s[8:9]
	v_cmp_gt_i64_e32 vcc, s[26:27], v[22:23]
	s_orn2_b64 s[40:41], vcc, exec
.LBB475_98:
	s_or_b64 exec, exec, s[38:39]
.LBB475_99:
	s_and_b64 s[2:3], s[40:41], exec
.LBB475_100:
	s_or_b64 exec, exec, s[36:37]
	v_cmp_ne_u32_e32 vcc, 0, v0
	s_waitcnt lgkmcnt(0)
	v_pk_mov_b32 v[18:19], s[12:13], s[12:13] op_sel:[0,1]
	s_barrier
	s_and_saveexec_b64 s[8:9], vcc
	s_cbranch_execz .LBB475_102
; %bb.101:
	v_add_u32_e32 v18, -8, v26
	ds_read_b64 v[18:19], v18
.LBB475_102:
	s_or_b64 exec, exec, s[8:9]
	v_cndmask_b32_e64 v21, 0, 1, s[14:15]
	v_cndmask_b32_e64 v20, 0, 1, s[18:19]
	;; [unrolled: 1-line block ×3, first 2 shown]
	v_lshlrev_b16_e32 v21, 8, v21
	v_lshlrev_b16_e32 v26, 8, v22
	v_or_b32_sdwa v27, v20, v21 dst_sel:WORD_1 dst_unused:UNUSED_PAD src0_sel:DWORD src1_sel:DWORD
	v_cmp_gt_u32_e32 vcc, s7, v1
	s_mov_b64 s[18:19], 0
	s_and_saveexec_b64 s[8:9], vcc
	s_cbranch_execz .LBB475_113
; %bb.103:
	s_and_b64 vcc, exec, s[0:1]
	s_mov_b64 s[14:15], 0
	s_cbranch_vccnz .LBB475_112
; %bb.104:
	s_waitcnt lgkmcnt(0)
	v_mul_lo_u32 v20, v19, s26
	v_mul_lo_u32 v21, v18, s27
	v_mad_u64_u32 v[18:19], s[0:1], v18, s26, 0
	v_add3_u32 v19, v19, v21, v20
	v_mul_lo_u32 v20, v15, s26
	v_mul_lo_u32 v21, v14, s27
	v_mad_u64_u32 v[24:25], s[0:1], v14, s26, 0
	v_add3_u32 v25, v25, v21, v20
	v_lshlrev_b64 v[20:21], 2, v[18:19]
	v_mov_b32_e32 v18, s29
	v_add_co_u32_e32 v22, vcc, s28, v20
	v_addc_co_u32_e64 v23, s[0:1], v18, v21, vcc
	v_lshlrev_b64 v[18:19], 2, v[24:25]
	v_mov_b32_e32 v20, s29
	v_add_co_u32_e64 v24, s[0:1], s28, v18
	v_addc_co_u32_e64 v25, s[2:3], v20, v19, s[0:1]
	global_load_dword v18, v[22:23], off
	global_load_dword v20, v[24:25], off
	s_mov_b64 s[14:15], -1
	s_waitcnt vmcnt(0)
	v_cmp_eq_u32_e64 s[2:3], v18, v20
	s_and_saveexec_b64 s[12:13], s[2:3]
	s_cbranch_execz .LBB475_111
; %bb.105:
	v_mov_b32_e32 v18, s29
	v_addc_co_u32_e64 v19, s[0:1], v19, v18, s[0:1]
	v_add_co_u32_e64 v18, s[0:1], 4, v24
	v_mov_b32_e32 v20, s29
	v_addc_co_u32_e64 v19, s[0:1], 0, v19, s[0:1]
	v_addc_co_u32_e32 v21, vcc, v21, v20, vcc
	v_add_co_u32_e32 v20, vcc, 4, v22
	s_add_u32 s0, s26, -1
	v_addc_co_u32_e32 v21, vcc, 0, v21, vcc
	s_addc_u32 s1, s27, -1
	s_mov_b64 s[2:3], 0
                                        ; implicit-def: $sgpr14_sgpr15
	s_branch .LBB475_108
.LBB475_106:                            ;   in Loop: Header=BB475_108 Depth=1
	global_load_dword v22, v[20:21], off
	global_load_dword v23, v[18:19], off
	v_add_co_u32_e32 v18, vcc, 4, v18
	v_addc_co_u32_e32 v19, vcc, 0, v19, vcc
	v_add_co_u32_e32 v20, vcc, 4, v20
	v_addc_co_u32_e32 v21, vcc, 0, v21, vcc
	s_add_u32 s18, s18, 1
	s_addc_u32 s19, s19, 0
	s_andn2_b64 s[14:15], s[14:15], exec
	s_waitcnt vmcnt(0)
	v_cmp_ne_u32_e32 vcc, v22, v23
	s_and_b64 s[36:37], vcc, exec
	s_or_b64 s[14:15], s[14:15], s[36:37]
.LBB475_107:                            ;   in Loop: Header=BB475_108 Depth=1
	s_and_b64 s[36:37], exec, s[14:15]
	s_or_b64 s[2:3], s[36:37], s[2:3]
	v_pk_mov_b32 v[22:23], s[18:19], s[18:19] op_sel:[0,1]
	s_andn2_b64 exec, exec, s[2:3]
	s_cbranch_execz .LBB475_110
.LBB475_108:                            ; =>This Inner Loop Header: Depth=1
	s_or_b64 s[14:15], s[14:15], exec
	s_cmp_eq_u64 s[0:1], s[18:19]
	s_cbranch_scc0 .LBB475_106
; %bb.109:                              ;   in Loop: Header=BB475_108 Depth=1
                                        ; implicit-def: $vgpr18_vgpr19
                                        ; implicit-def: $vgpr20_vgpr21
	s_mov_b64 s[18:19], s[26:27]
	s_branch .LBB475_107
.LBB475_110:
	s_or_b64 exec, exec, s[2:3]
	v_cmp_gt_i64_e32 vcc, s[26:27], v[22:23]
	s_orn2_b64 s[14:15], vcc, exec
.LBB475_111:
	s_or_b64 exec, exec, s[12:13]
.LBB475_112:
	s_and_b64 s[18:19], s[14:15], exec
.LBB475_113:
	s_or_b64 exec, exec, s[8:9]
	v_or_b32_e32 v28, v26, v27
.LBB475_114:
	s_waitcnt lgkmcnt(0)
	s_mov_b64 s[12:13], -1
	s_cbranch_execnz .LBB475_203
.LBB475_115:
	v_lshlrev_b32_e32 v29, 3, v0
	s_mov_b64 s[18:19], 0
	v_cmp_gt_i64_e64 s[14:15], s[26:27], 0
	s_and_b64 vcc, exec, s[34:35]
	ds_write_b64 v29, v[12:13]
	s_cbranch_vccz .LBB475_123
; %bb.116:
	v_mul_lo_u32 v20, v11, s26
	v_mul_lo_u32 v21, v10, s27
	v_mad_u64_u32 v[18:19], s[0:1], v10, s26, 0
	v_add3_u32 v19, v19, v21, v20
	v_cndmask_b32_e64 v20, 0, 1, s[14:15]
	v_cmp_ne_u32_e64 s[0:1], 1, v20
	s_andn2_b64 vcc, exec, s[14:15]
	v_lshlrev_b64 v[18:19], 2, v[18:19]
	s_cbranch_vccnz .LBB475_126
; %bb.117:
	v_mul_lo_u32 v22, v13, s26
	v_mul_lo_u32 v23, v12, s27
	v_mad_u64_u32 v[20:21], s[2:3], v12, s26, 0
	v_add3_u32 v21, v21, v23, v22
	v_mov_b32_e32 v23, s29
	v_add_co_u32_e32 v22, vcc, s28, v18
	v_addc_co_u32_e64 v23, s[2:3], v23, v19, vcc
	v_lshlrev_b64 v[20:21], 2, v[20:21]
	v_mov_b32_e32 v25, s29
	v_add_co_u32_e64 v24, s[2:3], s28, v20
	v_addc_co_u32_e64 v25, s[8:9], v25, v21, s[2:3]
	global_load_dword v20, v[22:23], off
	global_load_dword v26, v[24:25], off
	s_mov_b64 s[18:19], -1
	s_waitcnt vmcnt(0)
	v_cmp_eq_u32_e64 s[8:9], v20, v26
	s_and_saveexec_b64 s[36:37], s[8:9]
	s_cbranch_execz .LBB475_125
; %bb.118:
	v_mov_b32_e32 v20, s29
	v_addc_co_u32_e64 v21, s[2:3], v21, v20, s[2:3]
	v_add_co_u32_e64 v20, s[2:3], 4, v24
	v_mov_b32_e32 v23, s29
	v_addc_co_u32_e64 v21, s[2:3], 0, v21, s[2:3]
	v_addc_co_u32_e32 v23, vcc, v19, v23, vcc
	v_add_co_u32_e32 v22, vcc, 4, v22
	s_add_u32 s2, s26, -1
	v_addc_co_u32_e32 v23, vcc, 0, v23, vcc
	s_addc_u32 s3, s27, -1
	s_mov_b64 s[8:9], 0
	s_mov_b64 s[38:39], 0
                                        ; implicit-def: $sgpr18_sgpr19
	s_branch .LBB475_121
.LBB475_119:                            ;   in Loop: Header=BB475_121 Depth=1
	global_load_dword v24, v[22:23], off
	global_load_dword v25, v[20:21], off
	v_add_co_u32_e32 v20, vcc, 4, v20
	v_addc_co_u32_e32 v21, vcc, 0, v21, vcc
	v_add_co_u32_e32 v22, vcc, 4, v22
	v_addc_co_u32_e32 v23, vcc, 0, v23, vcc
	s_add_u32 s38, s38, 1
	s_addc_u32 s39, s39, 0
	s_andn2_b64 s[18:19], s[18:19], exec
	s_waitcnt vmcnt(0)
	v_cmp_ne_u32_e32 vcc, v24, v25
	s_and_b64 s[40:41], vcc, exec
	s_or_b64 s[18:19], s[18:19], s[40:41]
.LBB475_120:                            ;   in Loop: Header=BB475_121 Depth=1
	s_and_b64 s[40:41], exec, s[18:19]
	s_or_b64 s[8:9], s[40:41], s[8:9]
	v_pk_mov_b32 v[24:25], s[38:39], s[38:39] op_sel:[0,1]
	s_andn2_b64 exec, exec, s[8:9]
	s_cbranch_execz .LBB475_124
.LBB475_121:                            ; =>This Inner Loop Header: Depth=1
	s_or_b64 s[18:19], s[18:19], exec
	s_cmp_eq_u64 s[2:3], s[38:39]
	s_cbranch_scc0 .LBB475_119
; %bb.122:                              ;   in Loop: Header=BB475_121 Depth=1
                                        ; implicit-def: $vgpr20_vgpr21
                                        ; implicit-def: $vgpr22_vgpr23
	s_mov_b64 s[38:39], s[26:27]
	s_branch .LBB475_120
.LBB475_123:
                                        ; implicit-def: $sgpr18_sgpr19
                                        ; implicit-def: $vgpr28
	s_cbranch_execnz .LBB475_156
	s_branch .LBB475_203
.LBB475_124:
	s_or_b64 exec, exec, s[8:9]
	v_cmp_gt_i64_e32 vcc, s[26:27], v[24:25]
	s_orn2_b64 s[18:19], vcc, exec
.LBB475_125:
	s_or_b64 exec, exec, s[36:37]
.LBB475_126:
	v_mul_lo_u32 v22, v17, s26
	v_mul_lo_u32 v23, v16, s27
	v_mad_u64_u32 v[20:21], s[2:3], v16, s26, 0
	v_add3_u32 v21, v21, v23, v22
	s_mov_b64 s[36:37], 0
	s_and_b64 vcc, exec, s[0:1]
	v_lshlrev_b64 v[20:21], 2, v[20:21]
	s_mov_b64 s[38:39], 0
	s_cbranch_vccnz .LBB475_135
; %bb.127:
	v_mov_b32_e32 v23, s29
	v_add_co_u32_e32 v22, vcc, s28, v20
	v_addc_co_u32_e64 v23, s[2:3], v23, v21, vcc
	v_mov_b32_e32 v25, s29
	v_add_co_u32_e64 v24, s[2:3], s28, v18
	v_addc_co_u32_e64 v25, s[8:9], v25, v19, s[2:3]
	global_load_dword v18, v[22:23], off
	global_load_dword v26, v[24:25], off
	s_mov_b64 s[38:39], -1
	s_waitcnt vmcnt(0)
	v_cmp_eq_u32_e64 s[8:9], v18, v26
	s_and_saveexec_b64 s[40:41], s[8:9]
	s_cbranch_execz .LBB475_134
; %bb.128:
	v_mov_b32_e32 v18, s29
	v_addc_co_u32_e64 v19, s[2:3], v19, v18, s[2:3]
	v_add_co_u32_e64 v18, s[2:3], 4, v24
	v_mov_b32_e32 v23, s29
	v_addc_co_u32_e64 v19, s[2:3], 0, v19, s[2:3]
	v_addc_co_u32_e32 v23, vcc, v21, v23, vcc
	v_add_co_u32_e32 v22, vcc, 4, v22
	s_add_u32 s2, s26, -1
	v_addc_co_u32_e32 v23, vcc, 0, v23, vcc
	s_addc_u32 s3, s27, -1
	s_mov_b64 s[8:9], 0
	s_mov_b64 s[42:43], 0
                                        ; implicit-def: $sgpr38_sgpr39
	s_branch .LBB475_131
.LBB475_129:                            ;   in Loop: Header=BB475_131 Depth=1
	global_load_dword v24, v[22:23], off
	global_load_dword v25, v[18:19], off
	v_add_co_u32_e32 v18, vcc, 4, v18
	v_addc_co_u32_e32 v19, vcc, 0, v19, vcc
	v_add_co_u32_e32 v22, vcc, 4, v22
	v_addc_co_u32_e32 v23, vcc, 0, v23, vcc
	s_add_u32 s42, s42, 1
	s_addc_u32 s43, s43, 0
	s_andn2_b64 s[38:39], s[38:39], exec
	s_waitcnt vmcnt(0)
	v_cmp_ne_u32_e32 vcc, v24, v25
	s_and_b64 s[44:45], vcc, exec
	s_or_b64 s[38:39], s[38:39], s[44:45]
.LBB475_130:                            ;   in Loop: Header=BB475_131 Depth=1
	s_and_b64 s[44:45], exec, s[38:39]
	s_or_b64 s[8:9], s[44:45], s[8:9]
	v_pk_mov_b32 v[24:25], s[42:43], s[42:43] op_sel:[0,1]
	s_andn2_b64 exec, exec, s[8:9]
	s_cbranch_execz .LBB475_133
.LBB475_131:                            ; =>This Inner Loop Header: Depth=1
	s_or_b64 s[38:39], s[38:39], exec
	s_cmp_eq_u64 s[2:3], s[42:43]
	s_cbranch_scc0 .LBB475_129
; %bb.132:                              ;   in Loop: Header=BB475_131 Depth=1
                                        ; implicit-def: $vgpr18_vgpr19
                                        ; implicit-def: $vgpr22_vgpr23
	s_mov_b64 s[42:43], s[26:27]
	s_branch .LBB475_130
.LBB475_133:
	s_or_b64 exec, exec, s[8:9]
	v_cmp_gt_i64_e32 vcc, s[26:27], v[24:25]
	s_orn2_b64 s[38:39], vcc, exec
.LBB475_134:
	s_or_b64 exec, exec, s[40:41]
.LBB475_135:
	v_mul_lo_u32 v22, v15, s26
	v_mul_lo_u32 v23, v14, s27
	v_mad_u64_u32 v[18:19], s[2:3], v14, s26, 0
	s_and_b64 vcc, exec, s[0:1]
	v_add3_u32 v19, v19, v23, v22
	s_cbranch_vccnz .LBB475_144
; %bb.136:
	v_lshlrev_b64 v[22:23], 2, v[18:19]
	v_mov_b32_e32 v25, s29
	v_add_co_u32_e32 v24, vcc, s28, v22
	v_addc_co_u32_e64 v25, s[2:3], v25, v23, vcc
	v_mov_b32_e32 v22, s29
	v_add_co_u32_e64 v26, s[2:3], s28, v20
	v_addc_co_u32_e64 v27, s[8:9], v22, v21, s[2:3]
	global_load_dword v20, v[24:25], off
	global_load_dword v22, v[26:27], off
	s_mov_b64 s[36:37], -1
	s_waitcnt vmcnt(0)
	v_cmp_eq_u32_e64 s[8:9], v20, v22
	s_and_saveexec_b64 s[40:41], s[8:9]
	s_cbranch_execz .LBB475_143
; %bb.137:
	v_mov_b32_e32 v20, s29
	v_addc_co_u32_e64 v21, s[2:3], v21, v20, s[2:3]
	v_add_co_u32_e64 v20, s[2:3], 4, v26
	v_mov_b32_e32 v22, s29
	v_addc_co_u32_e64 v21, s[2:3], 0, v21, s[2:3]
	v_addc_co_u32_e32 v23, vcc, v23, v22, vcc
	v_add_co_u32_e32 v22, vcc, 4, v24
	s_add_u32 s2, s26, -1
	v_addc_co_u32_e32 v23, vcc, 0, v23, vcc
	s_addc_u32 s3, s27, -1
	s_mov_b64 s[8:9], 0
	s_mov_b64 s[42:43], 0
                                        ; implicit-def: $sgpr36_sgpr37
	s_branch .LBB475_140
.LBB475_138:                            ;   in Loop: Header=BB475_140 Depth=1
	global_load_dword v24, v[22:23], off
	global_load_dword v25, v[20:21], off
	v_add_co_u32_e32 v20, vcc, 4, v20
	v_addc_co_u32_e32 v21, vcc, 0, v21, vcc
	v_add_co_u32_e32 v22, vcc, 4, v22
	v_addc_co_u32_e32 v23, vcc, 0, v23, vcc
	s_add_u32 s42, s42, 1
	s_addc_u32 s43, s43, 0
	s_andn2_b64 s[36:37], s[36:37], exec
	s_waitcnt vmcnt(0)
	v_cmp_ne_u32_e32 vcc, v24, v25
	s_and_b64 s[44:45], vcc, exec
	s_or_b64 s[36:37], s[36:37], s[44:45]
.LBB475_139:                            ;   in Loop: Header=BB475_140 Depth=1
	s_and_b64 s[44:45], exec, s[36:37]
	s_or_b64 s[8:9], s[44:45], s[8:9]
	v_pk_mov_b32 v[24:25], s[42:43], s[42:43] op_sel:[0,1]
	s_andn2_b64 exec, exec, s[8:9]
	s_cbranch_execz .LBB475_142
.LBB475_140:                            ; =>This Inner Loop Header: Depth=1
	s_or_b64 s[36:37], s[36:37], exec
	s_cmp_eq_u64 s[2:3], s[42:43]
	s_cbranch_scc0 .LBB475_138
; %bb.141:                              ;   in Loop: Header=BB475_140 Depth=1
                                        ; implicit-def: $vgpr20_vgpr21
                                        ; implicit-def: $vgpr22_vgpr23
	s_mov_b64 s[42:43], s[26:27]
	s_branch .LBB475_139
.LBB475_142:
	s_or_b64 exec, exec, s[8:9]
	v_cmp_gt_i64_e32 vcc, s[26:27], v[24:25]
	s_orn2_b64 s[36:37], vcc, exec
.LBB475_143:
	s_or_b64 exec, exec, s[40:41]
.LBB475_144:
	v_cndmask_b32_e64 v21, 0, 1, s[18:19]
	v_cndmask_b32_e64 v22, 0, 1, s[36:37]
	;; [unrolled: 1-line block ×3, first 2 shown]
	v_lshlrev_b16_e32 v22, 8, v22
	v_lshlrev_b16_e32 v21, 8, v21
	v_or_b32_e32 v22, 1, v22
	v_or_b32_sdwa v20, v20, v21 dst_sel:WORD_1 dst_unused:UNUSED_PAD src0_sel:DWORD src1_sel:DWORD
	v_or_b32_sdwa v28, v22, v20 dst_sel:DWORD dst_unused:UNUSED_PAD src0_sel:WORD_0 src1_sel:DWORD
	v_cmp_ne_u32_e32 vcc, 0, v0
	s_waitcnt lgkmcnt(0)
	s_barrier
	s_waitcnt lgkmcnt(0)
                                        ; implicit-def: $sgpr18_sgpr19
	s_and_saveexec_b64 s[2:3], vcc
	s_xor_b64 s[8:9], exec, s[2:3]
	s_cbranch_execz .LBB475_155
; %bb.145:
	s_and_b64 vcc, exec, s[0:1]
	s_mov_b64 s[36:37], 0
	s_cbranch_vccnz .LBB475_154
; %bb.146:
	v_add_u32_e32 v20, -8, v29
	ds_read_b64 v[20:21], v20
	v_mov_b32_e32 v23, s29
	v_lshlrev_b64 v[18:19], 2, v[18:19]
	s_mov_b64 s[36:37], -1
	s_waitcnt lgkmcnt(0)
	v_mul_lo_u32 v22, v21, s26
	v_mul_lo_u32 v24, v20, s27
	v_mad_u64_u32 v[20:21], s[0:1], v20, s26, 0
	v_add3_u32 v21, v21, v24, v22
	v_lshlrev_b64 v[20:21], 2, v[20:21]
	v_add_co_u32_e32 v22, vcc, s28, v20
	v_addc_co_u32_e64 v23, s[0:1], v23, v21, vcc
	v_mov_b32_e32 v20, s29
	v_add_co_u32_e64 v24, s[0:1], s28, v18
	v_addc_co_u32_e64 v25, s[2:3], v20, v19, s[0:1]
	global_load_dword v18, v[22:23], off
	global_load_dword v20, v[24:25], off
	s_waitcnt vmcnt(0)
	v_cmp_eq_u32_e64 s[2:3], v18, v20
	s_and_saveexec_b64 s[18:19], s[2:3]
	s_cbranch_execz .LBB475_153
; %bb.147:
	v_mov_b32_e32 v18, s29
	v_addc_co_u32_e64 v19, s[0:1], v19, v18, s[0:1]
	v_add_co_u32_e64 v18, s[0:1], 4, v24
	v_mov_b32_e32 v20, s29
	v_addc_co_u32_e64 v19, s[0:1], 0, v19, s[0:1]
	v_addc_co_u32_e32 v21, vcc, v21, v20, vcc
	v_add_co_u32_e32 v20, vcc, 4, v22
	s_add_u32 s0, s26, -1
	v_addc_co_u32_e32 v21, vcc, 0, v21, vcc
	s_addc_u32 s1, s27, -1
	s_mov_b64 s[2:3], 0
	s_mov_b64 s[38:39], 0
                                        ; implicit-def: $sgpr36_sgpr37
	s_branch .LBB475_150
.LBB475_148:                            ;   in Loop: Header=BB475_150 Depth=1
	global_load_dword v22, v[20:21], off
	global_load_dword v23, v[18:19], off
	v_add_co_u32_e32 v18, vcc, 4, v18
	v_addc_co_u32_e32 v19, vcc, 0, v19, vcc
	v_add_co_u32_e32 v20, vcc, 4, v20
	v_addc_co_u32_e32 v21, vcc, 0, v21, vcc
	s_add_u32 s38, s38, 1
	s_addc_u32 s39, s39, 0
	s_andn2_b64 s[36:37], s[36:37], exec
	s_waitcnt vmcnt(0)
	v_cmp_ne_u32_e32 vcc, v22, v23
	s_and_b64 s[40:41], vcc, exec
	s_or_b64 s[36:37], s[36:37], s[40:41]
.LBB475_149:                            ;   in Loop: Header=BB475_150 Depth=1
	s_and_b64 s[40:41], exec, s[36:37]
	s_or_b64 s[2:3], s[40:41], s[2:3]
	v_pk_mov_b32 v[22:23], s[38:39], s[38:39] op_sel:[0,1]
	s_andn2_b64 exec, exec, s[2:3]
	s_cbranch_execz .LBB475_152
.LBB475_150:                            ; =>This Inner Loop Header: Depth=1
	s_or_b64 s[36:37], s[36:37], exec
	s_cmp_eq_u64 s[0:1], s[38:39]
	s_cbranch_scc0 .LBB475_148
; %bb.151:                              ;   in Loop: Header=BB475_150 Depth=1
                                        ; implicit-def: $vgpr18_vgpr19
                                        ; implicit-def: $vgpr20_vgpr21
	s_mov_b64 s[38:39], s[26:27]
	s_branch .LBB475_149
.LBB475_152:
	s_or_b64 exec, exec, s[2:3]
	v_cmp_gt_i64_e32 vcc, s[26:27], v[22:23]
	s_orn2_b64 s[36:37], vcc, exec
.LBB475_153:
	s_or_b64 exec, exec, s[18:19]
.LBB475_154:
	s_and_b64 s[18:19], s[36:37], exec
	s_or_b64 s[12:13], s[12:13], exec
.LBB475_155:
	s_or_b64 exec, exec, s[8:9]
	s_branch .LBB475_203
.LBB475_156:
	v_or_b32_e32 v18, 3, v1
	v_cmp_gt_u32_e32 vcc, s7, v18
	s_mov_b64 s[18:19], 0
	s_mov_b64 s[8:9], 0
	s_and_saveexec_b64 s[36:37], vcc
	s_cbranch_execz .LBB475_167
; %bb.157:
	s_andn2_b64 vcc, exec, s[14:15]
	s_mov_b64 s[38:39], 0
	s_cbranch_vccnz .LBB475_166
; %bb.158:
	v_mul_lo_u32 v20, v11, s26
	v_mul_lo_u32 v21, v10, s27
	v_mad_u64_u32 v[18:19], s[0:1], v10, s26, 0
	v_add3_u32 v19, v19, v21, v20
	v_mul_lo_u32 v20, v13, s26
	v_mul_lo_u32 v21, v12, s27
	v_mad_u64_u32 v[24:25], s[0:1], v12, s26, 0
	v_add3_u32 v25, v25, v21, v20
	v_lshlrev_b64 v[20:21], 2, v[18:19]
	v_mov_b32_e32 v18, s29
	v_add_co_u32_e32 v22, vcc, s28, v20
	v_addc_co_u32_e64 v23, s[0:1], v18, v21, vcc
	v_lshlrev_b64 v[18:19], 2, v[24:25]
	v_mov_b32_e32 v20, s29
	v_add_co_u32_e64 v24, s[0:1], s28, v18
	v_addc_co_u32_e64 v25, s[2:3], v20, v19, s[0:1]
	global_load_dword v18, v[22:23], off
	global_load_dword v20, v[24:25], off
	s_mov_b64 s[38:39], -1
	s_waitcnt vmcnt(0)
	v_cmp_eq_u32_e64 s[2:3], v18, v20
	s_and_saveexec_b64 s[8:9], s[2:3]
	s_cbranch_execz .LBB475_165
; %bb.159:
	v_mov_b32_e32 v18, s29
	v_addc_co_u32_e64 v19, s[0:1], v19, v18, s[0:1]
	v_add_co_u32_e64 v18, s[0:1], 4, v24
	v_mov_b32_e32 v20, s29
	v_addc_co_u32_e64 v19, s[0:1], 0, v19, s[0:1]
	v_addc_co_u32_e32 v21, vcc, v21, v20, vcc
	v_add_co_u32_e32 v20, vcc, 4, v22
	s_add_u32 s0, s26, -1
	v_addc_co_u32_e32 v21, vcc, 0, v21, vcc
	s_addc_u32 s1, s27, -1
	s_mov_b64 s[2:3], 0
	s_mov_b64 s[40:41], 0
                                        ; implicit-def: $sgpr38_sgpr39
	s_branch .LBB475_162
.LBB475_160:                            ;   in Loop: Header=BB475_162 Depth=1
	global_load_dword v22, v[20:21], off
	global_load_dword v23, v[18:19], off
	v_add_co_u32_e32 v18, vcc, 4, v18
	v_addc_co_u32_e32 v19, vcc, 0, v19, vcc
	v_add_co_u32_e32 v20, vcc, 4, v20
	v_addc_co_u32_e32 v21, vcc, 0, v21, vcc
	s_add_u32 s40, s40, 1
	s_addc_u32 s41, s41, 0
	s_andn2_b64 s[38:39], s[38:39], exec
	s_waitcnt vmcnt(0)
	v_cmp_ne_u32_e32 vcc, v22, v23
	s_and_b64 s[42:43], vcc, exec
	s_or_b64 s[38:39], s[38:39], s[42:43]
.LBB475_161:                            ;   in Loop: Header=BB475_162 Depth=1
	s_and_b64 s[42:43], exec, s[38:39]
	s_or_b64 s[2:3], s[42:43], s[2:3]
	v_pk_mov_b32 v[22:23], s[40:41], s[40:41] op_sel:[0,1]
	s_andn2_b64 exec, exec, s[2:3]
	s_cbranch_execz .LBB475_164
.LBB475_162:                            ; =>This Inner Loop Header: Depth=1
	s_or_b64 s[38:39], s[38:39], exec
	s_cmp_eq_u64 s[0:1], s[40:41]
	s_cbranch_scc0 .LBB475_160
; %bb.163:                              ;   in Loop: Header=BB475_162 Depth=1
                                        ; implicit-def: $vgpr18_vgpr19
                                        ; implicit-def: $vgpr20_vgpr21
	s_mov_b64 s[40:41], s[26:27]
	s_branch .LBB475_161
.LBB475_164:
	s_or_b64 exec, exec, s[2:3]
	v_cmp_gt_i64_e32 vcc, s[26:27], v[22:23]
	s_orn2_b64 s[38:39], vcc, exec
.LBB475_165:
	s_or_b64 exec, exec, s[8:9]
.LBB475_166:
	s_and_b64 s[8:9], s[38:39], exec
.LBB475_167:
	s_or_b64 exec, exec, s[36:37]
	v_or_b32_e32 v18, 2, v1
	v_cmp_gt_u32_e32 vcc, s7, v18
	s_and_saveexec_b64 s[36:37], vcc
	s_cbranch_execz .LBB475_178
; %bb.168:
	s_andn2_b64 vcc, exec, s[14:15]
	s_mov_b64 s[38:39], 0
	s_cbranch_vccnz .LBB475_177
; %bb.169:
	v_mul_lo_u32 v20, v17, s26
	v_mul_lo_u32 v21, v16, s27
	v_mad_u64_u32 v[18:19], s[0:1], v16, s26, 0
	v_add3_u32 v19, v19, v21, v20
	v_mul_lo_u32 v20, v11, s26
	v_mul_lo_u32 v21, v10, s27
	v_mad_u64_u32 v[24:25], s[0:1], v10, s26, 0
	v_add3_u32 v25, v25, v21, v20
	v_lshlrev_b64 v[20:21], 2, v[18:19]
	v_mov_b32_e32 v18, s29
	v_add_co_u32_e32 v22, vcc, s28, v20
	v_addc_co_u32_e64 v23, s[0:1], v18, v21, vcc
	v_lshlrev_b64 v[18:19], 2, v[24:25]
	v_mov_b32_e32 v20, s29
	v_add_co_u32_e64 v24, s[0:1], s28, v18
	v_addc_co_u32_e64 v25, s[2:3], v20, v19, s[0:1]
	global_load_dword v18, v[22:23], off
	global_load_dword v20, v[24:25], off
	s_mov_b64 s[38:39], -1
	s_waitcnt vmcnt(0)
	v_cmp_eq_u32_e64 s[2:3], v18, v20
	s_and_saveexec_b64 s[18:19], s[2:3]
	s_cbranch_execz .LBB475_176
; %bb.170:
	v_mov_b32_e32 v18, s29
	v_addc_co_u32_e64 v19, s[0:1], v19, v18, s[0:1]
	v_add_co_u32_e64 v18, s[0:1], 4, v24
	v_mov_b32_e32 v20, s29
	v_addc_co_u32_e64 v19, s[0:1], 0, v19, s[0:1]
	v_addc_co_u32_e32 v21, vcc, v21, v20, vcc
	v_add_co_u32_e32 v20, vcc, 4, v22
	s_add_u32 s0, s26, -1
	v_addc_co_u32_e32 v21, vcc, 0, v21, vcc
	s_addc_u32 s1, s27, -1
	s_mov_b64 s[2:3], 0
	s_mov_b64 s[40:41], 0
                                        ; implicit-def: $sgpr38_sgpr39
	s_branch .LBB475_173
.LBB475_171:                            ;   in Loop: Header=BB475_173 Depth=1
	global_load_dword v22, v[20:21], off
	global_load_dword v23, v[18:19], off
	v_add_co_u32_e32 v18, vcc, 4, v18
	v_addc_co_u32_e32 v19, vcc, 0, v19, vcc
	v_add_co_u32_e32 v20, vcc, 4, v20
	v_addc_co_u32_e32 v21, vcc, 0, v21, vcc
	s_add_u32 s40, s40, 1
	s_addc_u32 s41, s41, 0
	s_andn2_b64 s[38:39], s[38:39], exec
	s_waitcnt vmcnt(0)
	v_cmp_ne_u32_e32 vcc, v22, v23
	s_and_b64 s[42:43], vcc, exec
	s_or_b64 s[38:39], s[38:39], s[42:43]
.LBB475_172:                            ;   in Loop: Header=BB475_173 Depth=1
	s_and_b64 s[42:43], exec, s[38:39]
	s_or_b64 s[2:3], s[42:43], s[2:3]
	v_pk_mov_b32 v[22:23], s[40:41], s[40:41] op_sel:[0,1]
	s_andn2_b64 exec, exec, s[2:3]
	s_cbranch_execz .LBB475_175
.LBB475_173:                            ; =>This Inner Loop Header: Depth=1
	s_or_b64 s[38:39], s[38:39], exec
	s_cmp_eq_u64 s[0:1], s[40:41]
	s_cbranch_scc0 .LBB475_171
; %bb.174:                              ;   in Loop: Header=BB475_173 Depth=1
                                        ; implicit-def: $vgpr18_vgpr19
                                        ; implicit-def: $vgpr20_vgpr21
	s_mov_b64 s[40:41], s[26:27]
	s_branch .LBB475_172
.LBB475_175:
	s_or_b64 exec, exec, s[2:3]
	v_cmp_gt_i64_e32 vcc, s[26:27], v[22:23]
	s_orn2_b64 s[38:39], vcc, exec
.LBB475_176:
	s_or_b64 exec, exec, s[18:19]
.LBB475_177:
	s_and_b64 s[18:19], s[38:39], exec
.LBB475_178:
	s_or_b64 exec, exec, s[36:37]
	v_or_b32_e32 v18, 1, v1
	v_cmp_gt_u32_e32 vcc, s7, v18
	s_mov_b64 s[0:1], 0
	s_and_saveexec_b64 s[36:37], vcc
	s_cbranch_execz .LBB475_189
; %bb.179:
	s_andn2_b64 vcc, exec, s[14:15]
	s_mov_b64 s[40:41], 0
	s_cbranch_vccnz .LBB475_188
; %bb.180:
	v_mul_lo_u32 v20, v15, s26
	v_mul_lo_u32 v21, v14, s27
	v_mad_u64_u32 v[18:19], s[0:1], v14, s26, 0
	v_add3_u32 v19, v19, v21, v20
	v_mul_lo_u32 v20, v17, s26
	v_mul_lo_u32 v21, v16, s27
	v_mad_u64_u32 v[24:25], s[0:1], v16, s26, 0
	v_add3_u32 v25, v25, v21, v20
	v_lshlrev_b64 v[20:21], 2, v[18:19]
	v_mov_b32_e32 v18, s29
	v_add_co_u32_e32 v22, vcc, s28, v20
	v_addc_co_u32_e64 v23, s[0:1], v18, v21, vcc
	v_lshlrev_b64 v[18:19], 2, v[24:25]
	v_mov_b32_e32 v20, s29
	v_add_co_u32_e64 v24, s[0:1], s28, v18
	v_addc_co_u32_e64 v25, s[2:3], v20, v19, s[0:1]
	global_load_dword v18, v[22:23], off
	global_load_dword v20, v[24:25], off
	s_mov_b64 s[40:41], -1
	s_waitcnt vmcnt(0)
	v_cmp_eq_u32_e64 s[2:3], v18, v20
	s_and_saveexec_b64 s[38:39], s[2:3]
	s_cbranch_execz .LBB475_187
; %bb.181:
	v_mov_b32_e32 v18, s29
	v_addc_co_u32_e64 v19, s[0:1], v19, v18, s[0:1]
	v_add_co_u32_e64 v18, s[0:1], 4, v24
	v_mov_b32_e32 v20, s29
	v_addc_co_u32_e64 v19, s[0:1], 0, v19, s[0:1]
	v_addc_co_u32_e32 v21, vcc, v21, v20, vcc
	v_add_co_u32_e32 v20, vcc, 4, v22
	s_add_u32 s0, s26, -1
	v_addc_co_u32_e32 v21, vcc, 0, v21, vcc
	s_addc_u32 s1, s27, -1
	s_mov_b64 s[2:3], 0
	s_mov_b64 s[42:43], 0
                                        ; implicit-def: $sgpr40_sgpr41
	s_branch .LBB475_184
.LBB475_182:                            ;   in Loop: Header=BB475_184 Depth=1
	global_load_dword v22, v[20:21], off
	global_load_dword v23, v[18:19], off
	v_add_co_u32_e32 v18, vcc, 4, v18
	v_addc_co_u32_e32 v19, vcc, 0, v19, vcc
	v_add_co_u32_e32 v20, vcc, 4, v20
	v_addc_co_u32_e32 v21, vcc, 0, v21, vcc
	s_add_u32 s42, s42, 1
	s_addc_u32 s43, s43, 0
	s_andn2_b64 s[40:41], s[40:41], exec
	s_waitcnt vmcnt(0)
	v_cmp_ne_u32_e32 vcc, v22, v23
	s_and_b64 s[44:45], vcc, exec
	s_or_b64 s[40:41], s[40:41], s[44:45]
.LBB475_183:                            ;   in Loop: Header=BB475_184 Depth=1
	s_and_b64 s[44:45], exec, s[40:41]
	s_or_b64 s[2:3], s[44:45], s[2:3]
	v_pk_mov_b32 v[22:23], s[42:43], s[42:43] op_sel:[0,1]
	s_andn2_b64 exec, exec, s[2:3]
	s_cbranch_execz .LBB475_186
.LBB475_184:                            ; =>This Inner Loop Header: Depth=1
	s_or_b64 s[40:41], s[40:41], exec
	s_cmp_eq_u64 s[0:1], s[42:43]
	s_cbranch_scc0 .LBB475_182
; %bb.185:                              ;   in Loop: Header=BB475_184 Depth=1
                                        ; implicit-def: $vgpr18_vgpr19
                                        ; implicit-def: $vgpr20_vgpr21
	s_mov_b64 s[42:43], s[26:27]
	s_branch .LBB475_183
.LBB475_186:
	s_or_b64 exec, exec, s[2:3]
	v_cmp_gt_i64_e32 vcc, s[26:27], v[22:23]
	s_orn2_b64 s[40:41], vcc, exec
.LBB475_187:
	s_or_b64 exec, exec, s[38:39]
.LBB475_188:
	s_and_b64 s[0:1], s[40:41], exec
.LBB475_189:
	s_or_b64 exec, exec, s[36:37]
	v_cndmask_b32_e64 v19, 0, 1, s[8:9]
	v_cndmask_b32_e64 v20, 0, 1, s[0:1]
	;; [unrolled: 1-line block ×3, first 2 shown]
	v_lshlrev_b16_e32 v20, 8, v20
	v_lshlrev_b16_e32 v19, 8, v19
	v_or_b32_e32 v20, 1, v20
	v_or_b32_sdwa v18, v18, v19 dst_sel:WORD_1 dst_unused:UNUSED_PAD src0_sel:DWORD src1_sel:DWORD
	v_or_b32_sdwa v28, v20, v18 dst_sel:DWORD dst_unused:UNUSED_PAD src0_sel:WORD_0 src1_sel:DWORD
	v_cmp_ne_u32_e32 vcc, 0, v0
	s_waitcnt lgkmcnt(0)
	s_barrier
	s_waitcnt lgkmcnt(0)
                                        ; implicit-def: $sgpr18_sgpr19
	s_and_saveexec_b64 s[8:9], vcc
	s_cbranch_execz .LBB475_202
; %bb.190:
	v_cmp_gt_u32_e32 vcc, s7, v1
	s_mov_b64 s[0:1], 0
	s_and_saveexec_b64 s[18:19], vcc
	s_cbranch_execz .LBB475_201
; %bb.191:
	s_andn2_b64 vcc, exec, s[14:15]
	s_mov_b64 s[36:37], 0
	s_cbranch_vccnz .LBB475_200
; %bb.192:
	v_add_u32_e32 v18, -8, v29
	ds_read_b64 v[18:19], v18
	v_mul_lo_u32 v20, v15, s26
	v_mad_u64_u32 v[24:25], s[0:1], v14, s26, 0
	s_mov_b64 s[36:37], -1
	s_waitcnt lgkmcnt(0)
	v_mul_lo_u32 v21, v19, s26
	v_mul_lo_u32 v22, v18, s27
	v_mad_u64_u32 v[18:19], s[0:1], v18, s26, 0
	v_add3_u32 v19, v19, v22, v21
	v_mul_lo_u32 v21, v14, s27
	v_add3_u32 v25, v25, v21, v20
	v_lshlrev_b64 v[20:21], 2, v[18:19]
	v_mov_b32_e32 v18, s29
	v_add_co_u32_e32 v22, vcc, s28, v20
	v_addc_co_u32_e64 v23, s[0:1], v18, v21, vcc
	v_lshlrev_b64 v[18:19], 2, v[24:25]
	v_mov_b32_e32 v20, s29
	v_add_co_u32_e64 v24, s[0:1], s28, v18
	v_addc_co_u32_e64 v25, s[2:3], v20, v19, s[0:1]
	global_load_dword v18, v[22:23], off
	global_load_dword v20, v[24:25], off
	s_waitcnt vmcnt(0)
	v_cmp_eq_u32_e64 s[2:3], v18, v20
	s_and_saveexec_b64 s[14:15], s[2:3]
	s_cbranch_execz .LBB475_199
; %bb.193:
	v_mov_b32_e32 v18, s29
	v_addc_co_u32_e64 v19, s[0:1], v19, v18, s[0:1]
	v_add_co_u32_e64 v18, s[0:1], 4, v24
	v_mov_b32_e32 v20, s29
	v_addc_co_u32_e64 v19, s[0:1], 0, v19, s[0:1]
	v_addc_co_u32_e32 v21, vcc, v21, v20, vcc
	v_add_co_u32_e32 v20, vcc, 4, v22
	s_add_u32 s0, s26, -1
	v_addc_co_u32_e32 v21, vcc, 0, v21, vcc
	s_addc_u32 s1, s27, -1
	s_mov_b64 s[2:3], 0
	s_mov_b64 s[36:37], 0
                                        ; implicit-def: $sgpr28_sgpr29
	s_branch .LBB475_196
.LBB475_194:                            ;   in Loop: Header=BB475_196 Depth=1
	global_load_dword v22, v[20:21], off
	global_load_dword v23, v[18:19], off
	v_add_co_u32_e32 v18, vcc, 4, v18
	v_addc_co_u32_e32 v19, vcc, 0, v19, vcc
	v_add_co_u32_e32 v20, vcc, 4, v20
	v_addc_co_u32_e32 v21, vcc, 0, v21, vcc
	s_add_u32 s36, s36, 1
	s_addc_u32 s37, s37, 0
	s_andn2_b64 s[28:29], s[28:29], exec
	s_waitcnt vmcnt(0)
	v_cmp_ne_u32_e32 vcc, v22, v23
	s_and_b64 s[38:39], vcc, exec
	s_or_b64 s[28:29], s[28:29], s[38:39]
.LBB475_195:                            ;   in Loop: Header=BB475_196 Depth=1
	s_and_b64 s[38:39], exec, s[28:29]
	s_or_b64 s[2:3], s[38:39], s[2:3]
	v_pk_mov_b32 v[22:23], s[36:37], s[36:37] op_sel:[0,1]
	s_andn2_b64 exec, exec, s[2:3]
	s_cbranch_execz .LBB475_198
.LBB475_196:                            ; =>This Inner Loop Header: Depth=1
	s_or_b64 s[28:29], s[28:29], exec
	s_cmp_eq_u64 s[0:1], s[36:37]
	s_cbranch_scc0 .LBB475_194
; %bb.197:                              ;   in Loop: Header=BB475_196 Depth=1
                                        ; implicit-def: $vgpr18_vgpr19
                                        ; implicit-def: $vgpr20_vgpr21
	s_mov_b64 s[36:37], s[26:27]
	s_branch .LBB475_195
.LBB475_198:
	s_or_b64 exec, exec, s[2:3]
	v_cmp_gt_i64_e32 vcc, s[26:27], v[22:23]
	s_orn2_b64 s[36:37], vcc, exec
.LBB475_199:
	s_or_b64 exec, exec, s[14:15]
.LBB475_200:
	s_and_b64 s[0:1], s[36:37], exec
.LBB475_201:
	s_or_b64 exec, exec, s[18:19]
	s_and_b64 s[18:19], s[0:1], exec
	s_or_b64 s[12:13], s[12:13], exec
.LBB475_202:
	s_or_b64 exec, exec, s[8:9]
.LBB475_203:
	s_and_saveexec_b64 s[0:1], s[12:13]
; %bb.204:
	v_and_b32_e32 v18, 0xffffff00, v28
	v_cndmask_b32_e64 v19, 0, 1, s[18:19]
	v_or_b32_e32 v18, v19, v18
	v_and_b32_e32 v18, 0xffff, v18
	s_mov_b32 s2, 0xffff0000
	v_and_or_b32 v28, v28, s2, v18
; %bb.205:
	s_or_b64 exec, exec, s[0:1]
	s_andn2_b64 vcc, exec, s[10:11]
	s_cbranch_vccnz .LBB475_207
; %bb.206:
	v_cmp_gt_u32_e32 vcc, s7, v1
	v_cndmask_b32_e32 v18, 0, v28, vcc
	v_or_b32_e32 v19, 1, v1
	v_and_b32_e32 v18, 0xff, v18
	v_cmp_gt_u32_e32 vcc, s7, v19
	v_cndmask_b32_e32 v18, v18, v28, vcc
	v_or_b32_e32 v19, 2, v1
	v_and_b32_e32 v18, 0xffff, v18
	;; [unrolled: 4-line block ×3, first 2 shown]
	v_cmp_gt_u32_e32 vcc, s7, v19
	v_cndmask_b32_e32 v28, v18, v28, vcc
.LBB475_207:
	v_bfe_u32 v30, v28, 16, 8
	v_lshrrev_b32_e32 v29, 24, v28
	v_add_u32_sdwa v18, v28, v28 dst_sel:DWORD dst_unused:UNUSED_PAD src0_sel:BYTE_1 src1_sel:BYTE_0
	v_add3_u32 v33, v18, v30, v29
	v_mbcnt_lo_u32_b32 v18, -1, 0
	v_mbcnt_hi_u32_b32 v31, -1, v18
	v_and_b32_e32 v18, 15, v31
	v_cmp_eq_u32_e64 s[14:15], 0, v18
	v_cmp_lt_u32_e64 s[12:13], 1, v18
	v_cmp_lt_u32_e64 s[10:11], 3, v18
	;; [unrolled: 1-line block ×3, first 2 shown]
	v_and_b32_e32 v18, 16, v31
	v_cmp_eq_u32_e64 s[18:19], 0, v18
	v_or_b32_e32 v18, 63, v0
	v_cmp_lt_u32_e64 s[0:1], 31, v31
	v_lshrrev_b32_e32 v32, 6, v0
	v_cmp_eq_u32_e64 s[2:3], v18, v0
	s_and_b64 vcc, exec, s[16:17]
	s_waitcnt lgkmcnt(0)
	s_barrier
	s_cbranch_vccz .LBB475_234
; %bb.208:
	v_mov_b32_dpp v18, v33 row_shr:1 row_mask:0xf bank_mask:0xf
	v_cndmask_b32_e64 v18, v18, 0, s[14:15]
	v_add_u32_e32 v18, v18, v33
	s_nop 1
	v_mov_b32_dpp v19, v18 row_shr:2 row_mask:0xf bank_mask:0xf
	v_cndmask_b32_e64 v19, 0, v19, s[12:13]
	v_add_u32_e32 v18, v18, v19
	s_nop 1
	;; [unrolled: 4-line block ×4, first 2 shown]
	v_mov_b32_dpp v19, v18 row_bcast:15 row_mask:0xf bank_mask:0xf
	v_cndmask_b32_e64 v19, v19, 0, s[18:19]
	v_add_u32_e32 v18, v18, v19
	s_nop 1
	v_mov_b32_dpp v19, v18 row_bcast:31 row_mask:0xf bank_mask:0xf
	v_cndmask_b32_e64 v19, 0, v19, s[0:1]
	v_add_u32_e32 v18, v18, v19
	s_and_saveexec_b64 s[16:17], s[2:3]
	s_cbranch_execz .LBB475_210
; %bb.209:
	v_lshlrev_b32_e32 v19, 2, v32
	ds_write_b32 v19, v18
.LBB475_210:
	s_or_b64 exec, exec, s[16:17]
	v_cmp_gt_u32_e32 vcc, 2, v0
	s_waitcnt lgkmcnt(0)
	s_barrier
	s_and_saveexec_b64 s[16:17], vcc
	s_cbranch_execz .LBB475_212
; %bb.211:
	ds_read_b32 v19, v1
	v_bfe_i32 v20, v31, 0, 1
	s_waitcnt lgkmcnt(0)
	v_mov_b32_dpp v21, v19 row_shr:1 row_mask:0xf bank_mask:0xf
	v_and_b32_e32 v20, v20, v21
	v_add_u32_e32 v19, v20, v19
	ds_write_b32 v1, v19
.LBB475_212:
	s_or_b64 exec, exec, s[16:17]
	v_cmp_gt_u32_e32 vcc, 64, v0
	v_cmp_lt_u32_e64 s[16:17], 63, v0
	s_waitcnt lgkmcnt(0)
	s_barrier
	s_waitcnt lgkmcnt(0)
                                        ; implicit-def: $vgpr34
	s_and_saveexec_b64 s[26:27], s[16:17]
	s_cbranch_execz .LBB475_214
; %bb.213:
	v_lshl_add_u32 v19, v32, 2, -4
	ds_read_b32 v34, v19
	s_waitcnt lgkmcnt(0)
	v_add_u32_e32 v18, v34, v18
.LBB475_214:
	s_or_b64 exec, exec, s[26:27]
	v_add_u32_e32 v19, -1, v31
	v_and_b32_e32 v20, 64, v31
	v_cmp_lt_i32_e64 s[16:17], v19, v20
	v_cndmask_b32_e64 v19, v19, v31, s[16:17]
	v_lshlrev_b32_e32 v19, 2, v19
	ds_bpermute_b32 v35, v19, v18
	v_cmp_eq_u32_e64 s[16:17], 0, v31
	s_and_saveexec_b64 s[26:27], vcc
	s_cbranch_execz .LBB475_233
; %bb.215:
	v_mov_b32_e32 v25, 0
	ds_read_b32 v18, v25 offset:4
	s_and_saveexec_b64 s[28:29], s[16:17]
	s_cbranch_execz .LBB475_217
; %bb.216:
	s_add_i32 s36, s6, 64
	s_mov_b32 s37, 0
	s_lshl_b64 s[36:37], s[36:37], 3
	s_add_u32 s36, s30, s36
	v_mov_b32_e32 v19, 1
	s_addc_u32 s37, s31, s37
	s_waitcnt lgkmcnt(0)
	global_store_dwordx2 v25, v[18:19], s[36:37]
.LBB475_217:
	s_or_b64 exec, exec, s[28:29]
	v_xad_u32 v20, v31, -1, s6
	v_add_u32_e32 v24, 64, v20
	v_lshlrev_b64 v[22:23], 3, v[24:25]
	v_mov_b32_e32 v19, s31
	v_add_co_u32_e32 v26, vcc, s30, v22
	v_addc_co_u32_e32 v27, vcc, v19, v23, vcc
	global_load_dwordx2 v[22:23], v[26:27], off glc
	s_waitcnt vmcnt(0)
	v_cmp_eq_u16_sdwa s[36:37], v23, v25 src0_sel:BYTE_0 src1_sel:DWORD
	s_and_saveexec_b64 s[28:29], s[36:37]
	s_cbranch_execz .LBB475_221
; %bb.218:
	s_mov_b64 s[36:37], 0
	v_mov_b32_e32 v19, 0
.LBB475_219:                            ; =>This Inner Loop Header: Depth=1
	global_load_dwordx2 v[22:23], v[26:27], off glc
	s_waitcnt vmcnt(0)
	v_cmp_ne_u16_sdwa s[38:39], v23, v19 src0_sel:BYTE_0 src1_sel:DWORD
	s_or_b64 s[36:37], s[38:39], s[36:37]
	s_andn2_b64 exec, exec, s[36:37]
	s_cbranch_execnz .LBB475_219
; %bb.220:
	s_or_b64 exec, exec, s[36:37]
.LBB475_221:
	s_or_b64 exec, exec, s[28:29]
	v_and_b32_e32 v36, 63, v31
	v_mov_b32_e32 v19, 2
	v_cmp_ne_u32_e32 vcc, 63, v36
	v_cmp_eq_u16_sdwa s[28:29], v23, v19 src0_sel:BYTE_0 src1_sel:DWORD
	v_lshlrev_b64 v[24:25], v31, -1
	v_addc_co_u32_e32 v27, vcc, 0, v31, vcc
	v_and_b32_e32 v21, s29, v25
	v_lshlrev_b32_e32 v37, 2, v27
	v_or_b32_e32 v21, 0x80000000, v21
	ds_bpermute_b32 v27, v37, v22
	v_and_b32_e32 v26, s28, v24
	v_ffbl_b32_e32 v21, v21
	v_add_u32_e32 v21, 32, v21
	v_ffbl_b32_e32 v26, v26
	v_min_u32_e32 v21, v26, v21
	v_cmp_lt_u32_e32 vcc, v36, v21
	s_waitcnt lgkmcnt(0)
	v_cndmask_b32_e32 v26, 0, v27, vcc
	v_cmp_gt_u32_e32 vcc, 62, v36
	v_add_u32_e32 v22, v26, v22
	v_cndmask_b32_e64 v26, 0, 1, vcc
	v_lshlrev_b32_e32 v26, 1, v26
	v_add_lshl_u32 v38, v26, v31, 2
	ds_bpermute_b32 v26, v38, v22
	v_add_u32_e32 v39, 2, v36
	v_cmp_le_u32_e32 vcc, v39, v21
	v_add_u32_e32 v41, 4, v36
	v_add_u32_e32 v43, 8, v36
	s_waitcnt lgkmcnt(0)
	v_cndmask_b32_e32 v26, 0, v26, vcc
	v_cmp_gt_u32_e32 vcc, 60, v36
	v_add_u32_e32 v22, v22, v26
	v_cndmask_b32_e64 v26, 0, 1, vcc
	v_lshlrev_b32_e32 v26, 2, v26
	v_add_lshl_u32 v40, v26, v31, 2
	ds_bpermute_b32 v26, v40, v22
	v_cmp_le_u32_e32 vcc, v41, v21
	v_add_u32_e32 v46, 16, v36
	v_add_u32_e32 v48, 32, v36
	s_waitcnt lgkmcnt(0)
	v_cndmask_b32_e32 v26, 0, v26, vcc
	v_cmp_gt_u32_e32 vcc, 56, v36
	v_add_u32_e32 v22, v22, v26
	v_cndmask_b32_e64 v26, 0, 1, vcc
	v_lshlrev_b32_e32 v26, 3, v26
	v_add_lshl_u32 v42, v26, v31, 2
	ds_bpermute_b32 v26, v42, v22
	v_cmp_le_u32_e32 vcc, v43, v21
	s_waitcnt lgkmcnt(0)
	v_cndmask_b32_e32 v26, 0, v26, vcc
	v_cmp_gt_u32_e32 vcc, 48, v36
	v_add_u32_e32 v22, v22, v26
	v_cndmask_b32_e64 v26, 0, 1, vcc
	v_lshlrev_b32_e32 v26, 4, v26
	v_add_lshl_u32 v45, v26, v31, 2
	ds_bpermute_b32 v26, v45, v22
	v_cmp_le_u32_e32 vcc, v46, v21
	;; [unrolled: 9-line block ×3, first 2 shown]
	s_waitcnt lgkmcnt(0)
	v_cndmask_b32_e32 v21, 0, v26, vcc
	v_add_u32_e32 v22, v22, v21
	v_mov_b32_e32 v21, 0
	s_branch .LBB475_223
.LBB475_222:                            ;   in Loop: Header=BB475_223 Depth=1
	s_or_b64 exec, exec, s[28:29]
	v_cmp_eq_u16_sdwa s[28:29], v23, v19 src0_sel:BYTE_0 src1_sel:DWORD
	v_and_b32_e32 v26, s29, v25
	v_or_b32_e32 v26, 0x80000000, v26
	ds_bpermute_b32 v49, v37, v22
	v_and_b32_e32 v27, s28, v24
	v_ffbl_b32_e32 v26, v26
	v_add_u32_e32 v26, 32, v26
	v_ffbl_b32_e32 v27, v27
	v_min_u32_e32 v26, v27, v26
	v_cmp_lt_u32_e32 vcc, v36, v26
	s_waitcnt lgkmcnt(0)
	v_cndmask_b32_e32 v27, 0, v49, vcc
	v_add_u32_e32 v22, v27, v22
	ds_bpermute_b32 v27, v38, v22
	v_cmp_le_u32_e32 vcc, v39, v26
	v_subrev_u32_e32 v20, 64, v20
	s_waitcnt lgkmcnt(0)
	v_cndmask_b32_e32 v27, 0, v27, vcc
	v_add_u32_e32 v22, v22, v27
	ds_bpermute_b32 v27, v40, v22
	v_cmp_le_u32_e32 vcc, v41, v26
	s_waitcnt lgkmcnt(0)
	v_cndmask_b32_e32 v27, 0, v27, vcc
	v_add_u32_e32 v22, v22, v27
	ds_bpermute_b32 v27, v42, v22
	v_cmp_le_u32_e32 vcc, v43, v26
	s_waitcnt lgkmcnt(0)
	v_cndmask_b32_e32 v27, 0, v27, vcc
	v_add_u32_e32 v22, v22, v27
	ds_bpermute_b32 v27, v45, v22
	v_cmp_le_u32_e32 vcc, v46, v26
	s_waitcnt lgkmcnt(0)
	v_cndmask_b32_e32 v27, 0, v27, vcc
	v_add_u32_e32 v22, v22, v27
	ds_bpermute_b32 v27, v47, v22
	v_cmp_le_u32_e32 vcc, v48, v26
	s_waitcnt lgkmcnt(0)
	v_cndmask_b32_e32 v26, 0, v27, vcc
	v_add3_u32 v22, v26, v44, v22
.LBB475_223:                            ; =>This Loop Header: Depth=1
                                        ;     Child Loop BB475_226 Depth 2
	v_cmp_ne_u16_sdwa s[28:29], v23, v19 src0_sel:BYTE_0 src1_sel:DWORD
	v_cndmask_b32_e64 v23, 0, 1, s[28:29]
	;;#ASMSTART
	;;#ASMEND
	v_cmp_ne_u32_e32 vcc, 0, v23
	s_cmp_lg_u64 vcc, exec
	v_mov_b32_e32 v44, v22
	s_cbranch_scc1 .LBB475_228
; %bb.224:                              ;   in Loop: Header=BB475_223 Depth=1
	v_lshlrev_b64 v[22:23], 3, v[20:21]
	v_mov_b32_e32 v27, s31
	v_add_co_u32_e32 v26, vcc, s30, v22
	v_addc_co_u32_e32 v27, vcc, v27, v23, vcc
	global_load_dwordx2 v[22:23], v[26:27], off glc
	s_waitcnt vmcnt(0)
	v_cmp_eq_u16_sdwa s[36:37], v23, v21 src0_sel:BYTE_0 src1_sel:DWORD
	s_and_saveexec_b64 s[28:29], s[36:37]
	s_cbranch_execz .LBB475_222
; %bb.225:                              ;   in Loop: Header=BB475_223 Depth=1
	s_mov_b64 s[36:37], 0
.LBB475_226:                            ;   Parent Loop BB475_223 Depth=1
                                        ; =>  This Inner Loop Header: Depth=2
	global_load_dwordx2 v[22:23], v[26:27], off glc
	s_waitcnt vmcnt(0)
	v_cmp_ne_u16_sdwa s[38:39], v23, v21 src0_sel:BYTE_0 src1_sel:DWORD
	s_or_b64 s[36:37], s[38:39], s[36:37]
	s_andn2_b64 exec, exec, s[36:37]
	s_cbranch_execnz .LBB475_226
; %bb.227:                              ;   in Loop: Header=BB475_223 Depth=1
	s_or_b64 exec, exec, s[36:37]
	s_branch .LBB475_222
.LBB475_228:                            ;   in Loop: Header=BB475_223 Depth=1
                                        ; implicit-def: $vgpr22
                                        ; implicit-def: $vgpr23
	s_cbranch_execz .LBB475_223
; %bb.229:
	s_and_saveexec_b64 s[28:29], s[16:17]
	s_cbranch_execz .LBB475_231
; %bb.230:
	s_add_i32 s6, s6, 64
	s_mov_b32 s7, 0
	s_lshl_b64 s[6:7], s[6:7], 3
	s_add_u32 s6, s30, s6
	v_add_u32_e32 v20, v44, v18
	v_mov_b32_e32 v21, 2
	s_addc_u32 s7, s31, s7
	v_mov_b32_e32 v19, 0
	global_store_dwordx2 v19, v[20:21], s[6:7]
	s_movk_i32 s6, 0x1000
	v_add_u32_e64 v19, s6, 0
	ds_write2_b32 v19, v18, v44 offset0:32 offset1:34
.LBB475_231:
	s_or_b64 exec, exec, s[28:29]
	v_cmp_eq_u32_e32 vcc, 0, v0
	s_and_b64 exec, exec, vcc
	s_cbranch_execz .LBB475_233
; %bb.232:
	v_mov_b32_e32 v18, 0
	ds_write_b32 v18, v44 offset:4
.LBB475_233:
	s_or_b64 exec, exec, s[26:27]
	v_mov_b32_e32 v19, 0
	s_waitcnt lgkmcnt(0)
	s_barrier
	ds_read_b32 v19, v19 offset:4
	s_movk_i32 s6, 0x1000
	v_add_u32_e64 v20, s6, 0
	v_cndmask_b32_e64 v18, v35, v34, s[16:17]
	v_cmp_ne_u32_e32 vcc, 0, v0
	s_waitcnt lgkmcnt(0)
	s_barrier
	ds_read2_b32 v[26:27], v20 offset0:32 offset1:34
	v_cndmask_b32_e32 v18, 0, v18, vcc
	v_add_u32_e32 v24, v19, v18
	v_add_u32_sdwa v22, v24, v28 dst_sel:DWORD dst_unused:UNUSED_PAD src0_sel:DWORD src1_sel:BYTE_0
	v_add_u32_sdwa v20, v22, v28 dst_sel:DWORD dst_unused:UNUSED_PAD src0_sel:DWORD src1_sel:BYTE_1
	v_add_u32_e32 v18, v20, v30
	s_waitcnt lgkmcnt(0)
	v_readfirstlane_b32 s26, v26
	v_readfirstlane_b32 s16, v27
	s_branch .LBB475_244
.LBB475_234:
                                        ; implicit-def: $vgpr18
                                        ; implicit-def: $vgpr20
                                        ; implicit-def: $vgpr22
                                        ; implicit-def: $vgpr24
                                        ; implicit-def: $sgpr16
                                        ; implicit-def: $sgpr26
	s_cbranch_execz .LBB475_244
; %bb.235:
	s_nop 0
	v_mov_b32_dpp v18, v33 row_shr:1 row_mask:0xf bank_mask:0xf
	v_cndmask_b32_e64 v18, v18, 0, s[14:15]
	v_add_u32_e32 v18, v18, v33
	s_nop 1
	v_mov_b32_dpp v19, v18 row_shr:2 row_mask:0xf bank_mask:0xf
	v_cndmask_b32_e64 v19, 0, v19, s[12:13]
	v_add_u32_e32 v18, v18, v19
	;; [unrolled: 4-line block ×4, first 2 shown]
	s_nop 1
	v_mov_b32_dpp v19, v18 row_bcast:15 row_mask:0xf bank_mask:0xf
	v_cndmask_b32_e64 v19, v19, 0, s[18:19]
	v_add_u32_e32 v18, v18, v19
	s_nop 1
	v_mov_b32_dpp v19, v18 row_bcast:31 row_mask:0xf bank_mask:0xf
	v_cndmask_b32_e64 v19, 0, v19, s[0:1]
	v_add_u32_e32 v18, v18, v19
	s_and_saveexec_b64 s[0:1], s[2:3]
	s_cbranch_execz .LBB475_237
; %bb.236:
	v_lshlrev_b32_e32 v19, 2, v32
	ds_write_b32 v19, v18
.LBB475_237:
	s_or_b64 exec, exec, s[0:1]
	v_cmp_gt_u32_e32 vcc, 2, v0
	s_waitcnt lgkmcnt(0)
	s_barrier
	s_and_saveexec_b64 s[0:1], vcc
	s_cbranch_execz .LBB475_239
; %bb.238:
	ds_read_b32 v19, v1
	v_bfe_i32 v20, v31, 0, 1
	s_waitcnt lgkmcnt(0)
	v_mov_b32_dpp v21, v19 row_shr:1 row_mask:0xf bank_mask:0xf
	v_and_b32_e32 v20, v20, v21
	v_add_u32_e32 v19, v20, v19
	ds_write_b32 v1, v19
.LBB475_239:
	s_or_b64 exec, exec, s[0:1]
	v_cmp_lt_u32_e32 vcc, 63, v0
	v_mov_b32_e32 v19, 0
	v_mov_b32_e32 v1, 0
	s_waitcnt lgkmcnt(0)
	s_barrier
	s_and_saveexec_b64 s[0:1], vcc
	s_cbranch_execz .LBB475_241
; %bb.240:
	v_lshl_add_u32 v1, v32, 2, -4
	ds_read_b32 v1, v1
.LBB475_241:
	s_or_b64 exec, exec, s[0:1]
	v_add_u32_e32 v20, -1, v31
	v_and_b32_e32 v21, 64, v31
	v_cmp_lt_i32_e32 vcc, v20, v21
	v_cndmask_b32_e32 v20, v20, v31, vcc
	s_waitcnt lgkmcnt(0)
	v_add_u32_e32 v18, v1, v18
	v_lshlrev_b32_e32 v20, 2, v20
	ds_read_b32 v19, v19 offset:4
	ds_bpermute_b32 v18, v20, v18
	s_mov_b32 s16, 0
	v_cmp_eq_u32_e32 vcc, 0, v0
	s_waitcnt lgkmcnt(1)
	v_readfirstlane_b32 s26, v19
	s_and_saveexec_b64 s[0:1], vcc
	s_cbranch_execz .LBB475_243
; %bb.242:
	v_mov_b32_e32 v19, 0
	v_mov_b32_e32 v20, s26
	;; [unrolled: 1-line block ×3, first 2 shown]
	global_store_dwordx2 v19, v[20:21], s[30:31] offset:512
.LBB475_243:
	s_or_b64 exec, exec, s[0:1]
	v_cmp_eq_u32_e64 s[0:1], 0, v31
	s_waitcnt lgkmcnt(0)
	v_cndmask_b32_e64 v1, v18, v1, s[0:1]
	v_cndmask_b32_e64 v24, v1, 0, vcc
	v_add_u32_sdwa v22, v24, v28 dst_sel:DWORD dst_unused:UNUSED_PAD src0_sel:DWORD src1_sel:BYTE_0
	v_add_u32_sdwa v20, v22, v28 dst_sel:DWORD dst_unused:UNUSED_PAD src0_sel:DWORD src1_sel:BYTE_1
	v_add_u32_e32 v18, v20, v30
	s_barrier
.LBB475_244:
	s_load_dwordx4 s[4:7], s[4:5], 0x28
	s_cmpk_lt_u32 s26, 0x81
	s_cselect_b64 s[2:3], -1, 0
	v_lshrrev_b32_e32 v1, 8, v28
	s_mov_b64 s[0:1], -1
	s_and_b64 vcc, exec, s[2:3]
	s_cbranch_vccz .LBB475_258
; %bb.245:
	s_add_i32 s8, s16, s26
	v_cmp_gt_u32_e32 vcc, s8, v24
	s_or_b64 s[10:11], s[34:35], vcc
	s_and_saveexec_b64 s[0:1], s[10:11]
	s_cbranch_execz .LBB475_248
; %bb.246:
	v_and_b32_e32 v19, 1, v28
	v_cmp_eq_u32_e32 vcc, 1, v19
	s_and_b64 exec, exec, vcc
	s_cbranch_execz .LBB475_248
; %bb.247:
	s_lshl_b64 s[10:11], s[22:23], 3
	s_waitcnt lgkmcnt(0)
	s_add_u32 s9, s4, s10
	v_mov_b32_e32 v25, 0
	s_addc_u32 s10, s5, s11
	v_lshlrev_b64 v[26:27], 3, v[24:25]
	v_mov_b32_e32 v19, s10
	v_add_co_u32_e32 v26, vcc, s9, v26
	v_addc_co_u32_e32 v27, vcc, v19, v27, vcc
	global_store_dwordx2 v[26:27], v[14:15], off
.LBB475_248:
	s_or_b64 exec, exec, s[0:1]
	v_cmp_gt_u32_e32 vcc, s8, v22
	s_or_b64 s[10:11], s[34:35], vcc
	s_and_saveexec_b64 s[0:1], s[10:11]
	s_cbranch_execz .LBB475_251
; %bb.249:
	v_and_b32_e32 v19, 1, v1
	v_cmp_eq_u32_e32 vcc, 1, v19
	s_and_b64 exec, exec, vcc
	s_cbranch_execz .LBB475_251
; %bb.250:
	s_lshl_b64 s[10:11], s[22:23], 3
	s_waitcnt lgkmcnt(0)
	s_add_u32 s9, s4, s10
	v_mov_b32_e32 v23, 0
	s_addc_u32 s10, s5, s11
	v_lshlrev_b64 v[26:27], 3, v[22:23]
	v_mov_b32_e32 v19, s10
	v_add_co_u32_e32 v26, vcc, s9, v26
	v_addc_co_u32_e32 v27, vcc, v19, v27, vcc
	global_store_dwordx2 v[26:27], v[16:17], off
.LBB475_251:
	s_or_b64 exec, exec, s[0:1]
	v_cmp_gt_u32_e32 vcc, s8, v20
	s_or_b64 s[10:11], s[34:35], vcc
	s_and_saveexec_b64 s[0:1], s[10:11]
	s_cbranch_execz .LBB475_254
; %bb.252:
	v_mov_b32_e32 v19, 1
	v_and_b32_sdwa v19, v19, v28 dst_sel:DWORD dst_unused:UNUSED_PAD src0_sel:DWORD src1_sel:WORD_1
	v_cmp_eq_u32_e32 vcc, 1, v19
	s_and_b64 exec, exec, vcc
	s_cbranch_execz .LBB475_254
; %bb.253:
	s_lshl_b64 s[10:11], s[22:23], 3
	s_waitcnt lgkmcnt(0)
	s_add_u32 s9, s4, s10
	v_mov_b32_e32 v21, 0
	s_addc_u32 s10, s5, s11
	v_lshlrev_b64 v[26:27], 3, v[20:21]
	v_mov_b32_e32 v19, s10
	v_add_co_u32_e32 v26, vcc, s9, v26
	v_addc_co_u32_e32 v27, vcc, v19, v27, vcc
	global_store_dwordx2 v[26:27], v[10:11], off
.LBB475_254:
	s_or_b64 exec, exec, s[0:1]
	v_cmp_gt_u32_e32 vcc, s8, v18
	s_or_b64 s[8:9], s[34:35], vcc
	s_and_saveexec_b64 s[0:1], s[8:9]
	s_cbranch_execz .LBB475_257
; %bb.255:
	v_and_b32_e32 v19, 1, v29
	v_cmp_eq_u32_e32 vcc, 1, v19
	s_and_b64 exec, exec, vcc
	s_cbranch_execz .LBB475_257
; %bb.256:
	s_lshl_b64 s[8:9], s[22:23], 3
	s_waitcnt lgkmcnt(0)
	s_add_u32 s8, s4, s8
	v_mov_b32_e32 v19, 0
	s_addc_u32 s9, s5, s9
	v_lshlrev_b64 v[26:27], 3, v[18:19]
	v_mov_b32_e32 v19, s9
	v_add_co_u32_e32 v26, vcc, s8, v26
	v_addc_co_u32_e32 v27, vcc, v19, v27, vcc
	global_store_dwordx2 v[26:27], v[12:13], off
.LBB475_257:
	s_or_b64 exec, exec, s[0:1]
	s_mov_b64 s[0:1], 0
.LBB475_258:
	v_and_b32_e32 v26, 1, v28
	s_and_b64 vcc, exec, s[0:1]
	v_cmp_eq_u32_e64 s[0:1], 1, v26
	s_cbranch_vccz .LBB475_271
; %bb.259:
	s_and_saveexec_b64 s[8:9], s[0:1]
	s_cbranch_execz .LBB475_261
; %bb.260:
	v_subrev_u32_e32 v19, s16, v24
	v_lshlrev_b32_e32 v19, 3, v19
	ds_write_b64 v19, v[14:15]
.LBB475_261:
	s_or_b64 exec, exec, s[8:9]
	v_and_b32_e32 v14, 1, v1
	v_cmp_eq_u32_e32 vcc, 1, v14
	s_and_saveexec_b64 s[0:1], vcc
	s_cbranch_execz .LBB475_263
; %bb.262:
	v_subrev_u32_e32 v14, s16, v22
	v_lshlrev_b32_e32 v14, 3, v14
	ds_write_b64 v14, v[16:17]
.LBB475_263:
	s_or_b64 exec, exec, s[0:1]
	v_mov_b32_e32 v14, 1
	v_and_b32_sdwa v14, v14, v28 dst_sel:DWORD dst_unused:UNUSED_PAD src0_sel:DWORD src1_sel:WORD_1
	v_cmp_eq_u32_e32 vcc, 1, v14
	s_and_saveexec_b64 s[0:1], vcc
	s_cbranch_execz .LBB475_265
; %bb.264:
	v_subrev_u32_e32 v14, s16, v20
	v_lshlrev_b32_e32 v14, 3, v14
	ds_write_b64 v14, v[10:11]
.LBB475_265:
	s_or_b64 exec, exec, s[0:1]
	v_and_b32_e32 v10, 1, v29
	v_cmp_eq_u32_e32 vcc, 1, v10
	s_and_saveexec_b64 s[0:1], vcc
	s_cbranch_execz .LBB475_267
; %bb.266:
	v_subrev_u32_e32 v10, s16, v18
	v_lshlrev_b32_e32 v10, 3, v10
	ds_write_b64 v10, v[12:13]
.LBB475_267:
	s_or_b64 exec, exec, s[0:1]
	v_cmp_gt_u32_e32 vcc, s26, v0
	s_waitcnt lgkmcnt(0)
	s_barrier
	s_and_saveexec_b64 s[0:1], vcc
	s_cbranch_execz .LBB475_270
; %bb.268:
	s_mov_b32 s17, 0
	s_lshl_b64 s[8:9], s[16:17], 3
	s_add_u32 s8, s4, s8
	s_addc_u32 s9, s5, s9
	s_lshl_b64 s[4:5], s[22:23], 3
	s_add_u32 s8, s8, s4
	s_addc_u32 s9, s9, s5
	v_lshlrev_b32_e32 v12, 3, v0
	s_mov_b64 s[4:5], 0
	v_mov_b32_e32 v11, 0
	v_mov_b32_e32 v13, s9
	v_mov_b32_e32 v10, v0
.LBB475_269:                            ; =>This Inner Loop Header: Depth=1
	ds_read_b64 v[14:15], v12
	v_lshlrev_b64 v[16:17], 3, v[10:11]
	v_add_co_u32_e32 v16, vcc, s8, v16
	v_add_u32_e32 v10, 0x80, v10
	v_addc_co_u32_e32 v17, vcc, v13, v17, vcc
	v_cmp_le_u32_e32 vcc, s26, v10
	v_add_u32_e32 v12, 0x400, v12
	s_or_b64 s[4:5], vcc, s[4:5]
	s_waitcnt lgkmcnt(0)
	global_store_dwordx2 v[16:17], v[14:15], off
	s_andn2_b64 exec, exec, s[4:5]
	s_cbranch_execnz .LBB475_269
.LBB475_270:
	s_or_b64 exec, exec, s[0:1]
.LBB475_271:
	s_mov_b64 s[0:1], -1
	s_and_b64 vcc, exec, s[2:3]
	s_waitcnt lgkmcnt(0)
	s_barrier
	s_cbranch_vccnz .LBB475_275
; %bb.272:
	s_and_b64 vcc, exec, s[0:1]
	s_cbranch_vccnz .LBB475_288
.LBB475_273:
	v_cmp_eq_u32_e32 vcc, 0, v0
	s_and_b64 s[0:1], vcc, s[24:25]
	s_and_saveexec_b64 s[2:3], s[0:1]
	s_cbranch_execnz .LBB475_300
.LBB475_274:
	s_endpgm
.LBB475_275:
	s_add_i32 s2, s16, s26
	v_cmp_gt_u32_e32 vcc, s2, v24
	s_or_b64 s[4:5], s[34:35], vcc
	s_and_saveexec_b64 s[0:1], s[4:5]
	s_cbranch_execz .LBB475_278
; %bb.276:
	v_cmp_eq_u32_e32 vcc, 1, v26
	s_and_b64 exec, exec, vcc
	s_cbranch_execz .LBB475_278
; %bb.277:
	s_lshl_b64 s[4:5], s[22:23], 3
	s_add_u32 s3, s6, s4
	v_mov_b32_e32 v25, 0
	s_addc_u32 s4, s7, s5
	v_lshlrev_b64 v[10:11], 3, v[24:25]
	v_mov_b32_e32 v12, s4
	v_add_co_u32_e32 v10, vcc, s3, v10
	v_addc_co_u32_e32 v11, vcc, v12, v11, vcc
	global_store_dwordx2 v[10:11], v[6:7], off
.LBB475_278:
	s_or_b64 exec, exec, s[0:1]
	v_cmp_gt_u32_e32 vcc, s2, v22
	s_or_b64 s[4:5], s[34:35], vcc
	s_and_saveexec_b64 s[0:1], s[4:5]
	s_cbranch_execz .LBB475_281
; %bb.279:
	v_and_b32_e32 v10, 1, v1
	v_cmp_eq_u32_e32 vcc, 1, v10
	s_and_b64 exec, exec, vcc
	s_cbranch_execz .LBB475_281
; %bb.280:
	s_lshl_b64 s[4:5], s[22:23], 3
	s_add_u32 s3, s6, s4
	v_mov_b32_e32 v23, 0
	s_addc_u32 s4, s7, s5
	v_lshlrev_b64 v[10:11], 3, v[22:23]
	v_mov_b32_e32 v12, s4
	v_add_co_u32_e32 v10, vcc, s3, v10
	v_addc_co_u32_e32 v11, vcc, v12, v11, vcc
	global_store_dwordx2 v[10:11], v[8:9], off
.LBB475_281:
	s_or_b64 exec, exec, s[0:1]
	v_cmp_gt_u32_e32 vcc, s2, v20
	s_or_b64 s[4:5], s[34:35], vcc
	s_and_saveexec_b64 s[0:1], s[4:5]
	s_cbranch_execz .LBB475_284
; %bb.282:
	v_mov_b32_e32 v10, 1
	v_and_b32_sdwa v10, v10, v28 dst_sel:DWORD dst_unused:UNUSED_PAD src0_sel:DWORD src1_sel:WORD_1
	v_cmp_eq_u32_e32 vcc, 1, v10
	s_and_b64 exec, exec, vcc
	s_cbranch_execz .LBB475_284
; %bb.283:
	s_lshl_b64 s[4:5], s[22:23], 3
	s_add_u32 s3, s6, s4
	v_mov_b32_e32 v21, 0
	s_addc_u32 s4, s7, s5
	v_lshlrev_b64 v[10:11], 3, v[20:21]
	v_mov_b32_e32 v12, s4
	v_add_co_u32_e32 v10, vcc, s3, v10
	v_addc_co_u32_e32 v11, vcc, v12, v11, vcc
	global_store_dwordx2 v[10:11], v[2:3], off
.LBB475_284:
	s_or_b64 exec, exec, s[0:1]
	v_cmp_gt_u32_e32 vcc, s2, v18
	s_or_b64 s[2:3], s[34:35], vcc
	s_and_saveexec_b64 s[0:1], s[2:3]
	s_cbranch_execz .LBB475_287
; %bb.285:
	v_and_b32_e32 v10, 1, v29
	v_cmp_eq_u32_e32 vcc, 1, v10
	s_and_b64 exec, exec, vcc
	s_cbranch_execz .LBB475_287
; %bb.286:
	s_lshl_b64 s[2:3], s[22:23], 3
	s_add_u32 s2, s6, s2
	v_mov_b32_e32 v19, 0
	s_addc_u32 s3, s7, s3
	v_lshlrev_b64 v[10:11], 3, v[18:19]
	v_mov_b32_e32 v12, s3
	v_add_co_u32_e32 v10, vcc, s2, v10
	v_addc_co_u32_e32 v11, vcc, v12, v11, vcc
	global_store_dwordx2 v[10:11], v[4:5], off
.LBB475_287:
	s_or_b64 exec, exec, s[0:1]
	s_branch .LBB475_273
.LBB475_288:
	v_cmp_eq_u32_e32 vcc, 1, v26
	s_and_saveexec_b64 s[0:1], vcc
	s_cbranch_execz .LBB475_290
; %bb.289:
	v_subrev_u32_e32 v10, s16, v24
	v_lshlrev_b32_e32 v10, 3, v10
	ds_write_b64 v10, v[6:7]
.LBB475_290:
	s_or_b64 exec, exec, s[0:1]
	v_and_b32_e32 v1, 1, v1
	v_cmp_eq_u32_e32 vcc, 1, v1
	s_and_saveexec_b64 s[0:1], vcc
	s_cbranch_execz .LBB475_292
; %bb.291:
	v_subrev_u32_e32 v1, s16, v22
	v_lshlrev_b32_e32 v1, 3, v1
	ds_write_b64 v1, v[8:9]
.LBB475_292:
	s_or_b64 exec, exec, s[0:1]
	v_mov_b32_e32 v1, 1
	v_and_b32_sdwa v1, v1, v28 dst_sel:DWORD dst_unused:UNUSED_PAD src0_sel:DWORD src1_sel:WORD_1
	v_cmp_eq_u32_e32 vcc, 1, v1
	s_and_saveexec_b64 s[0:1], vcc
	s_cbranch_execz .LBB475_294
; %bb.293:
	v_subrev_u32_e32 v1, s16, v20
	v_lshlrev_b32_e32 v1, 3, v1
	ds_write_b64 v1, v[2:3]
.LBB475_294:
	s_or_b64 exec, exec, s[0:1]
	v_and_b32_e32 v1, 1, v29
	v_cmp_eq_u32_e32 vcc, 1, v1
	s_and_saveexec_b64 s[0:1], vcc
	s_cbranch_execz .LBB475_296
; %bb.295:
	v_subrev_u32_e32 v1, s16, v18
	v_lshlrev_b32_e32 v1, 3, v1
	ds_write_b64 v1, v[4:5]
.LBB475_296:
	s_or_b64 exec, exec, s[0:1]
	v_cmp_gt_u32_e32 vcc, s26, v0
	s_waitcnt lgkmcnt(0)
	s_barrier
	s_and_saveexec_b64 s[0:1], vcc
	s_cbranch_execz .LBB475_299
; %bb.297:
	s_mov_b32 s17, 0
	s_lshl_b64 s[2:3], s[16:17], 3
	s_add_u32 s4, s6, s2
	s_addc_u32 s5, s7, s3
	s_lshl_b64 s[2:3], s[22:23], 3
	s_add_u32 s4, s4, s2
	s_addc_u32 s5, s5, s3
	v_lshlrev_b32_e32 v1, 3, v0
	s_mov_b64 s[2:3], 0
	v_mov_b32_e32 v3, 0
	v_mov_b32_e32 v4, s5
	;; [unrolled: 1-line block ×3, first 2 shown]
.LBB475_298:                            ; =>This Inner Loop Header: Depth=1
	ds_read_b64 v[6:7], v1
	v_lshlrev_b64 v[8:9], 3, v[2:3]
	v_add_co_u32_e32 v8, vcc, s4, v8
	v_add_u32_e32 v2, 0x80, v2
	v_addc_co_u32_e32 v9, vcc, v4, v9, vcc
	v_cmp_le_u32_e32 vcc, s26, v2
	v_add_u32_e32 v1, 0x400, v1
	s_or_b64 s[2:3], vcc, s[2:3]
	s_waitcnt lgkmcnt(0)
	global_store_dwordx2 v[8:9], v[6:7], off
	s_andn2_b64 exec, exec, s[2:3]
	s_cbranch_execnz .LBB475_298
.LBB475_299:
	s_or_b64 exec, exec, s[0:1]
	v_cmp_eq_u32_e32 vcc, 0, v0
	s_and_b64 s[0:1], vcc, s[24:25]
	s_and_saveexec_b64 s[2:3], s[0:1]
	s_cbranch_execz .LBB475_274
.LBB475_300:
	s_add_u32 s0, s22, s26
	s_addc_u32 s1, s23, 0
	s_add_u32 s0, s0, s16
	s_addc_u32 s1, s1, 0
	v_mov_b32_e32 v2, 0
	v_pk_mov_b32 v[0:1], s[0:1], s[0:1] op_sel:[0,1]
	global_store_dwordx2 v2, v[0:1], s[20:21]
	s_endpgm
	.section	.rodata,"a",@progbits
	.p2align	6, 0x0
	.amdhsa_kernel _ZN7rocprim17ROCPRIM_400000_NS6detail17trampoline_kernelINS0_14default_configENS1_25partition_config_selectorILNS1_17partition_subalgoE9EllbEEZZNS1_14partition_implILS5_9ELb0ES3_jPlS8_PNS0_10empty_typeENS0_5tupleIJS8_S9_EEENSB_IJS8_SA_EEENS0_18inequality_wrapperIZN2at6native12_GLOBAL__N_124unique_dim_cuda_templateIiEESt5tupleIJNSF_6TensorESK_SK_EERKSK_lbbbEUlllE0_EEPmJS9_EEE10hipError_tPvRmT3_T4_T5_T6_T7_T9_mT8_P12ihipStream_tbDpT10_ENKUlT_T0_E_clISt17integral_constantIbLb0EES1A_EEDaS15_S16_EUlS15_E_NS1_11comp_targetILNS1_3genE4ELNS1_11target_archE910ELNS1_3gpuE8ELNS1_3repE0EEENS1_30default_config_static_selectorELNS0_4arch9wavefront6targetE1EEEvT1_
		.amdhsa_group_segment_fixed_size 4236
		.amdhsa_private_segment_fixed_size 0
		.amdhsa_kernarg_size 120
		.amdhsa_user_sgpr_count 6
		.amdhsa_user_sgpr_private_segment_buffer 1
		.amdhsa_user_sgpr_dispatch_ptr 0
		.amdhsa_user_sgpr_queue_ptr 0
		.amdhsa_user_sgpr_kernarg_segment_ptr 1
		.amdhsa_user_sgpr_dispatch_id 0
		.amdhsa_user_sgpr_flat_scratch_init 0
		.amdhsa_user_sgpr_kernarg_preload_length 0
		.amdhsa_user_sgpr_kernarg_preload_offset 0
		.amdhsa_user_sgpr_private_segment_size 0
		.amdhsa_uses_dynamic_stack 0
		.amdhsa_system_sgpr_private_segment_wavefront_offset 0
		.amdhsa_system_sgpr_workgroup_id_x 1
		.amdhsa_system_sgpr_workgroup_id_y 0
		.amdhsa_system_sgpr_workgroup_id_z 0
		.amdhsa_system_sgpr_workgroup_info 0
		.amdhsa_system_vgpr_workitem_id 0
		.amdhsa_next_free_vgpr 50
		.amdhsa_next_free_sgpr 46
		.amdhsa_accum_offset 52
		.amdhsa_reserve_vcc 1
		.amdhsa_reserve_flat_scratch 0
		.amdhsa_float_round_mode_32 0
		.amdhsa_float_round_mode_16_64 0
		.amdhsa_float_denorm_mode_32 3
		.amdhsa_float_denorm_mode_16_64 3
		.amdhsa_dx10_clamp 1
		.amdhsa_ieee_mode 1
		.amdhsa_fp16_overflow 0
		.amdhsa_tg_split 0
		.amdhsa_exception_fp_ieee_invalid_op 0
		.amdhsa_exception_fp_denorm_src 0
		.amdhsa_exception_fp_ieee_div_zero 0
		.amdhsa_exception_fp_ieee_overflow 0
		.amdhsa_exception_fp_ieee_underflow 0
		.amdhsa_exception_fp_ieee_inexact 0
		.amdhsa_exception_int_div_zero 0
	.end_amdhsa_kernel
	.section	.text._ZN7rocprim17ROCPRIM_400000_NS6detail17trampoline_kernelINS0_14default_configENS1_25partition_config_selectorILNS1_17partition_subalgoE9EllbEEZZNS1_14partition_implILS5_9ELb0ES3_jPlS8_PNS0_10empty_typeENS0_5tupleIJS8_S9_EEENSB_IJS8_SA_EEENS0_18inequality_wrapperIZN2at6native12_GLOBAL__N_124unique_dim_cuda_templateIiEESt5tupleIJNSF_6TensorESK_SK_EERKSK_lbbbEUlllE0_EEPmJS9_EEE10hipError_tPvRmT3_T4_T5_T6_T7_T9_mT8_P12ihipStream_tbDpT10_ENKUlT_T0_E_clISt17integral_constantIbLb0EES1A_EEDaS15_S16_EUlS15_E_NS1_11comp_targetILNS1_3genE4ELNS1_11target_archE910ELNS1_3gpuE8ELNS1_3repE0EEENS1_30default_config_static_selectorELNS0_4arch9wavefront6targetE1EEEvT1_,"axG",@progbits,_ZN7rocprim17ROCPRIM_400000_NS6detail17trampoline_kernelINS0_14default_configENS1_25partition_config_selectorILNS1_17partition_subalgoE9EllbEEZZNS1_14partition_implILS5_9ELb0ES3_jPlS8_PNS0_10empty_typeENS0_5tupleIJS8_S9_EEENSB_IJS8_SA_EEENS0_18inequality_wrapperIZN2at6native12_GLOBAL__N_124unique_dim_cuda_templateIiEESt5tupleIJNSF_6TensorESK_SK_EERKSK_lbbbEUlllE0_EEPmJS9_EEE10hipError_tPvRmT3_T4_T5_T6_T7_T9_mT8_P12ihipStream_tbDpT10_ENKUlT_T0_E_clISt17integral_constantIbLb0EES1A_EEDaS15_S16_EUlS15_E_NS1_11comp_targetILNS1_3genE4ELNS1_11target_archE910ELNS1_3gpuE8ELNS1_3repE0EEENS1_30default_config_static_selectorELNS0_4arch9wavefront6targetE1EEEvT1_,comdat
.Lfunc_end475:
	.size	_ZN7rocprim17ROCPRIM_400000_NS6detail17trampoline_kernelINS0_14default_configENS1_25partition_config_selectorILNS1_17partition_subalgoE9EllbEEZZNS1_14partition_implILS5_9ELb0ES3_jPlS8_PNS0_10empty_typeENS0_5tupleIJS8_S9_EEENSB_IJS8_SA_EEENS0_18inequality_wrapperIZN2at6native12_GLOBAL__N_124unique_dim_cuda_templateIiEESt5tupleIJNSF_6TensorESK_SK_EERKSK_lbbbEUlllE0_EEPmJS9_EEE10hipError_tPvRmT3_T4_T5_T6_T7_T9_mT8_P12ihipStream_tbDpT10_ENKUlT_T0_E_clISt17integral_constantIbLb0EES1A_EEDaS15_S16_EUlS15_E_NS1_11comp_targetILNS1_3genE4ELNS1_11target_archE910ELNS1_3gpuE8ELNS1_3repE0EEENS1_30default_config_static_selectorELNS0_4arch9wavefront6targetE1EEEvT1_, .Lfunc_end475-_ZN7rocprim17ROCPRIM_400000_NS6detail17trampoline_kernelINS0_14default_configENS1_25partition_config_selectorILNS1_17partition_subalgoE9EllbEEZZNS1_14partition_implILS5_9ELb0ES3_jPlS8_PNS0_10empty_typeENS0_5tupleIJS8_S9_EEENSB_IJS8_SA_EEENS0_18inequality_wrapperIZN2at6native12_GLOBAL__N_124unique_dim_cuda_templateIiEESt5tupleIJNSF_6TensorESK_SK_EERKSK_lbbbEUlllE0_EEPmJS9_EEE10hipError_tPvRmT3_T4_T5_T6_T7_T9_mT8_P12ihipStream_tbDpT10_ENKUlT_T0_E_clISt17integral_constantIbLb0EES1A_EEDaS15_S16_EUlS15_E_NS1_11comp_targetILNS1_3genE4ELNS1_11target_archE910ELNS1_3gpuE8ELNS1_3repE0EEENS1_30default_config_static_selectorELNS0_4arch9wavefront6targetE1EEEvT1_
                                        ; -- End function
	.section	.AMDGPU.csdata,"",@progbits
; Kernel info:
; codeLenInByte = 10796
; NumSgprs: 50
; NumVgprs: 50
; NumAgprs: 0
; TotalNumVgprs: 50
; ScratchSize: 0
; MemoryBound: 0
; FloatMode: 240
; IeeeMode: 1
; LDSByteSize: 4236 bytes/workgroup (compile time only)
; SGPRBlocks: 6
; VGPRBlocks: 6
; NumSGPRsForWavesPerEU: 50
; NumVGPRsForWavesPerEU: 50
; AccumOffset: 52
; Occupancy: 8
; WaveLimiterHint : 1
; COMPUTE_PGM_RSRC2:SCRATCH_EN: 0
; COMPUTE_PGM_RSRC2:USER_SGPR: 6
; COMPUTE_PGM_RSRC2:TRAP_HANDLER: 0
; COMPUTE_PGM_RSRC2:TGID_X_EN: 1
; COMPUTE_PGM_RSRC2:TGID_Y_EN: 0
; COMPUTE_PGM_RSRC2:TGID_Z_EN: 0
; COMPUTE_PGM_RSRC2:TIDIG_COMP_CNT: 0
; COMPUTE_PGM_RSRC3_GFX90A:ACCUM_OFFSET: 12
; COMPUTE_PGM_RSRC3_GFX90A:TG_SPLIT: 0
	.section	.text._ZN7rocprim17ROCPRIM_400000_NS6detail17trampoline_kernelINS0_14default_configENS1_25partition_config_selectorILNS1_17partition_subalgoE9EllbEEZZNS1_14partition_implILS5_9ELb0ES3_jPlS8_PNS0_10empty_typeENS0_5tupleIJS8_S9_EEENSB_IJS8_SA_EEENS0_18inequality_wrapperIZN2at6native12_GLOBAL__N_124unique_dim_cuda_templateIiEESt5tupleIJNSF_6TensorESK_SK_EERKSK_lbbbEUlllE0_EEPmJS9_EEE10hipError_tPvRmT3_T4_T5_T6_T7_T9_mT8_P12ihipStream_tbDpT10_ENKUlT_T0_E_clISt17integral_constantIbLb0EES1A_EEDaS15_S16_EUlS15_E_NS1_11comp_targetILNS1_3genE3ELNS1_11target_archE908ELNS1_3gpuE7ELNS1_3repE0EEENS1_30default_config_static_selectorELNS0_4arch9wavefront6targetE1EEEvT1_,"axG",@progbits,_ZN7rocprim17ROCPRIM_400000_NS6detail17trampoline_kernelINS0_14default_configENS1_25partition_config_selectorILNS1_17partition_subalgoE9EllbEEZZNS1_14partition_implILS5_9ELb0ES3_jPlS8_PNS0_10empty_typeENS0_5tupleIJS8_S9_EEENSB_IJS8_SA_EEENS0_18inequality_wrapperIZN2at6native12_GLOBAL__N_124unique_dim_cuda_templateIiEESt5tupleIJNSF_6TensorESK_SK_EERKSK_lbbbEUlllE0_EEPmJS9_EEE10hipError_tPvRmT3_T4_T5_T6_T7_T9_mT8_P12ihipStream_tbDpT10_ENKUlT_T0_E_clISt17integral_constantIbLb0EES1A_EEDaS15_S16_EUlS15_E_NS1_11comp_targetILNS1_3genE3ELNS1_11target_archE908ELNS1_3gpuE7ELNS1_3repE0EEENS1_30default_config_static_selectorELNS0_4arch9wavefront6targetE1EEEvT1_,comdat
	.globl	_ZN7rocprim17ROCPRIM_400000_NS6detail17trampoline_kernelINS0_14default_configENS1_25partition_config_selectorILNS1_17partition_subalgoE9EllbEEZZNS1_14partition_implILS5_9ELb0ES3_jPlS8_PNS0_10empty_typeENS0_5tupleIJS8_S9_EEENSB_IJS8_SA_EEENS0_18inequality_wrapperIZN2at6native12_GLOBAL__N_124unique_dim_cuda_templateIiEESt5tupleIJNSF_6TensorESK_SK_EERKSK_lbbbEUlllE0_EEPmJS9_EEE10hipError_tPvRmT3_T4_T5_T6_T7_T9_mT8_P12ihipStream_tbDpT10_ENKUlT_T0_E_clISt17integral_constantIbLb0EES1A_EEDaS15_S16_EUlS15_E_NS1_11comp_targetILNS1_3genE3ELNS1_11target_archE908ELNS1_3gpuE7ELNS1_3repE0EEENS1_30default_config_static_selectorELNS0_4arch9wavefront6targetE1EEEvT1_ ; -- Begin function _ZN7rocprim17ROCPRIM_400000_NS6detail17trampoline_kernelINS0_14default_configENS1_25partition_config_selectorILNS1_17partition_subalgoE9EllbEEZZNS1_14partition_implILS5_9ELb0ES3_jPlS8_PNS0_10empty_typeENS0_5tupleIJS8_S9_EEENSB_IJS8_SA_EEENS0_18inequality_wrapperIZN2at6native12_GLOBAL__N_124unique_dim_cuda_templateIiEESt5tupleIJNSF_6TensorESK_SK_EERKSK_lbbbEUlllE0_EEPmJS9_EEE10hipError_tPvRmT3_T4_T5_T6_T7_T9_mT8_P12ihipStream_tbDpT10_ENKUlT_T0_E_clISt17integral_constantIbLb0EES1A_EEDaS15_S16_EUlS15_E_NS1_11comp_targetILNS1_3genE3ELNS1_11target_archE908ELNS1_3gpuE7ELNS1_3repE0EEENS1_30default_config_static_selectorELNS0_4arch9wavefront6targetE1EEEvT1_
	.p2align	8
	.type	_ZN7rocprim17ROCPRIM_400000_NS6detail17trampoline_kernelINS0_14default_configENS1_25partition_config_selectorILNS1_17partition_subalgoE9EllbEEZZNS1_14partition_implILS5_9ELb0ES3_jPlS8_PNS0_10empty_typeENS0_5tupleIJS8_S9_EEENSB_IJS8_SA_EEENS0_18inequality_wrapperIZN2at6native12_GLOBAL__N_124unique_dim_cuda_templateIiEESt5tupleIJNSF_6TensorESK_SK_EERKSK_lbbbEUlllE0_EEPmJS9_EEE10hipError_tPvRmT3_T4_T5_T6_T7_T9_mT8_P12ihipStream_tbDpT10_ENKUlT_T0_E_clISt17integral_constantIbLb0EES1A_EEDaS15_S16_EUlS15_E_NS1_11comp_targetILNS1_3genE3ELNS1_11target_archE908ELNS1_3gpuE7ELNS1_3repE0EEENS1_30default_config_static_selectorELNS0_4arch9wavefront6targetE1EEEvT1_,@function
_ZN7rocprim17ROCPRIM_400000_NS6detail17trampoline_kernelINS0_14default_configENS1_25partition_config_selectorILNS1_17partition_subalgoE9EllbEEZZNS1_14partition_implILS5_9ELb0ES3_jPlS8_PNS0_10empty_typeENS0_5tupleIJS8_S9_EEENSB_IJS8_SA_EEENS0_18inequality_wrapperIZN2at6native12_GLOBAL__N_124unique_dim_cuda_templateIiEESt5tupleIJNSF_6TensorESK_SK_EERKSK_lbbbEUlllE0_EEPmJS9_EEE10hipError_tPvRmT3_T4_T5_T6_T7_T9_mT8_P12ihipStream_tbDpT10_ENKUlT_T0_E_clISt17integral_constantIbLb0EES1A_EEDaS15_S16_EUlS15_E_NS1_11comp_targetILNS1_3genE3ELNS1_11target_archE908ELNS1_3gpuE7ELNS1_3repE0EEENS1_30default_config_static_selectorELNS0_4arch9wavefront6targetE1EEEvT1_: ; @_ZN7rocprim17ROCPRIM_400000_NS6detail17trampoline_kernelINS0_14default_configENS1_25partition_config_selectorILNS1_17partition_subalgoE9EllbEEZZNS1_14partition_implILS5_9ELb0ES3_jPlS8_PNS0_10empty_typeENS0_5tupleIJS8_S9_EEENSB_IJS8_SA_EEENS0_18inequality_wrapperIZN2at6native12_GLOBAL__N_124unique_dim_cuda_templateIiEESt5tupleIJNSF_6TensorESK_SK_EERKSK_lbbbEUlllE0_EEPmJS9_EEE10hipError_tPvRmT3_T4_T5_T6_T7_T9_mT8_P12ihipStream_tbDpT10_ENKUlT_T0_E_clISt17integral_constantIbLb0EES1A_EEDaS15_S16_EUlS15_E_NS1_11comp_targetILNS1_3genE3ELNS1_11target_archE908ELNS1_3gpuE7ELNS1_3repE0EEENS1_30default_config_static_selectorELNS0_4arch9wavefront6targetE1EEEvT1_
; %bb.0:
	.section	.rodata,"a",@progbits
	.p2align	6, 0x0
	.amdhsa_kernel _ZN7rocprim17ROCPRIM_400000_NS6detail17trampoline_kernelINS0_14default_configENS1_25partition_config_selectorILNS1_17partition_subalgoE9EllbEEZZNS1_14partition_implILS5_9ELb0ES3_jPlS8_PNS0_10empty_typeENS0_5tupleIJS8_S9_EEENSB_IJS8_SA_EEENS0_18inequality_wrapperIZN2at6native12_GLOBAL__N_124unique_dim_cuda_templateIiEESt5tupleIJNSF_6TensorESK_SK_EERKSK_lbbbEUlllE0_EEPmJS9_EEE10hipError_tPvRmT3_T4_T5_T6_T7_T9_mT8_P12ihipStream_tbDpT10_ENKUlT_T0_E_clISt17integral_constantIbLb0EES1A_EEDaS15_S16_EUlS15_E_NS1_11comp_targetILNS1_3genE3ELNS1_11target_archE908ELNS1_3gpuE7ELNS1_3repE0EEENS1_30default_config_static_selectorELNS0_4arch9wavefront6targetE1EEEvT1_
		.amdhsa_group_segment_fixed_size 0
		.amdhsa_private_segment_fixed_size 0
		.amdhsa_kernarg_size 120
		.amdhsa_user_sgpr_count 6
		.amdhsa_user_sgpr_private_segment_buffer 1
		.amdhsa_user_sgpr_dispatch_ptr 0
		.amdhsa_user_sgpr_queue_ptr 0
		.amdhsa_user_sgpr_kernarg_segment_ptr 1
		.amdhsa_user_sgpr_dispatch_id 0
		.amdhsa_user_sgpr_flat_scratch_init 0
		.amdhsa_user_sgpr_kernarg_preload_length 0
		.amdhsa_user_sgpr_kernarg_preload_offset 0
		.amdhsa_user_sgpr_private_segment_size 0
		.amdhsa_uses_dynamic_stack 0
		.amdhsa_system_sgpr_private_segment_wavefront_offset 0
		.amdhsa_system_sgpr_workgroup_id_x 1
		.amdhsa_system_sgpr_workgroup_id_y 0
		.amdhsa_system_sgpr_workgroup_id_z 0
		.amdhsa_system_sgpr_workgroup_info 0
		.amdhsa_system_vgpr_workitem_id 0
		.amdhsa_next_free_vgpr 1
		.amdhsa_next_free_sgpr 0
		.amdhsa_accum_offset 4
		.amdhsa_reserve_vcc 0
		.amdhsa_reserve_flat_scratch 0
		.amdhsa_float_round_mode_32 0
		.amdhsa_float_round_mode_16_64 0
		.amdhsa_float_denorm_mode_32 3
		.amdhsa_float_denorm_mode_16_64 3
		.amdhsa_dx10_clamp 1
		.amdhsa_ieee_mode 1
		.amdhsa_fp16_overflow 0
		.amdhsa_tg_split 0
		.amdhsa_exception_fp_ieee_invalid_op 0
		.amdhsa_exception_fp_denorm_src 0
		.amdhsa_exception_fp_ieee_div_zero 0
		.amdhsa_exception_fp_ieee_overflow 0
		.amdhsa_exception_fp_ieee_underflow 0
		.amdhsa_exception_fp_ieee_inexact 0
		.amdhsa_exception_int_div_zero 0
	.end_amdhsa_kernel
	.section	.text._ZN7rocprim17ROCPRIM_400000_NS6detail17trampoline_kernelINS0_14default_configENS1_25partition_config_selectorILNS1_17partition_subalgoE9EllbEEZZNS1_14partition_implILS5_9ELb0ES3_jPlS8_PNS0_10empty_typeENS0_5tupleIJS8_S9_EEENSB_IJS8_SA_EEENS0_18inequality_wrapperIZN2at6native12_GLOBAL__N_124unique_dim_cuda_templateIiEESt5tupleIJNSF_6TensorESK_SK_EERKSK_lbbbEUlllE0_EEPmJS9_EEE10hipError_tPvRmT3_T4_T5_T6_T7_T9_mT8_P12ihipStream_tbDpT10_ENKUlT_T0_E_clISt17integral_constantIbLb0EES1A_EEDaS15_S16_EUlS15_E_NS1_11comp_targetILNS1_3genE3ELNS1_11target_archE908ELNS1_3gpuE7ELNS1_3repE0EEENS1_30default_config_static_selectorELNS0_4arch9wavefront6targetE1EEEvT1_,"axG",@progbits,_ZN7rocprim17ROCPRIM_400000_NS6detail17trampoline_kernelINS0_14default_configENS1_25partition_config_selectorILNS1_17partition_subalgoE9EllbEEZZNS1_14partition_implILS5_9ELb0ES3_jPlS8_PNS0_10empty_typeENS0_5tupleIJS8_S9_EEENSB_IJS8_SA_EEENS0_18inequality_wrapperIZN2at6native12_GLOBAL__N_124unique_dim_cuda_templateIiEESt5tupleIJNSF_6TensorESK_SK_EERKSK_lbbbEUlllE0_EEPmJS9_EEE10hipError_tPvRmT3_T4_T5_T6_T7_T9_mT8_P12ihipStream_tbDpT10_ENKUlT_T0_E_clISt17integral_constantIbLb0EES1A_EEDaS15_S16_EUlS15_E_NS1_11comp_targetILNS1_3genE3ELNS1_11target_archE908ELNS1_3gpuE7ELNS1_3repE0EEENS1_30default_config_static_selectorELNS0_4arch9wavefront6targetE1EEEvT1_,comdat
.Lfunc_end476:
	.size	_ZN7rocprim17ROCPRIM_400000_NS6detail17trampoline_kernelINS0_14default_configENS1_25partition_config_selectorILNS1_17partition_subalgoE9EllbEEZZNS1_14partition_implILS5_9ELb0ES3_jPlS8_PNS0_10empty_typeENS0_5tupleIJS8_S9_EEENSB_IJS8_SA_EEENS0_18inequality_wrapperIZN2at6native12_GLOBAL__N_124unique_dim_cuda_templateIiEESt5tupleIJNSF_6TensorESK_SK_EERKSK_lbbbEUlllE0_EEPmJS9_EEE10hipError_tPvRmT3_T4_T5_T6_T7_T9_mT8_P12ihipStream_tbDpT10_ENKUlT_T0_E_clISt17integral_constantIbLb0EES1A_EEDaS15_S16_EUlS15_E_NS1_11comp_targetILNS1_3genE3ELNS1_11target_archE908ELNS1_3gpuE7ELNS1_3repE0EEENS1_30default_config_static_selectorELNS0_4arch9wavefront6targetE1EEEvT1_, .Lfunc_end476-_ZN7rocprim17ROCPRIM_400000_NS6detail17trampoline_kernelINS0_14default_configENS1_25partition_config_selectorILNS1_17partition_subalgoE9EllbEEZZNS1_14partition_implILS5_9ELb0ES3_jPlS8_PNS0_10empty_typeENS0_5tupleIJS8_S9_EEENSB_IJS8_SA_EEENS0_18inequality_wrapperIZN2at6native12_GLOBAL__N_124unique_dim_cuda_templateIiEESt5tupleIJNSF_6TensorESK_SK_EERKSK_lbbbEUlllE0_EEPmJS9_EEE10hipError_tPvRmT3_T4_T5_T6_T7_T9_mT8_P12ihipStream_tbDpT10_ENKUlT_T0_E_clISt17integral_constantIbLb0EES1A_EEDaS15_S16_EUlS15_E_NS1_11comp_targetILNS1_3genE3ELNS1_11target_archE908ELNS1_3gpuE7ELNS1_3repE0EEENS1_30default_config_static_selectorELNS0_4arch9wavefront6targetE1EEEvT1_
                                        ; -- End function
	.section	.AMDGPU.csdata,"",@progbits
; Kernel info:
; codeLenInByte = 0
; NumSgprs: 4
; NumVgprs: 0
; NumAgprs: 0
; TotalNumVgprs: 0
; ScratchSize: 0
; MemoryBound: 0
; FloatMode: 240
; IeeeMode: 1
; LDSByteSize: 0 bytes/workgroup (compile time only)
; SGPRBlocks: 0
; VGPRBlocks: 0
; NumSGPRsForWavesPerEU: 4
; NumVGPRsForWavesPerEU: 1
; AccumOffset: 4
; Occupancy: 8
; WaveLimiterHint : 0
; COMPUTE_PGM_RSRC2:SCRATCH_EN: 0
; COMPUTE_PGM_RSRC2:USER_SGPR: 6
; COMPUTE_PGM_RSRC2:TRAP_HANDLER: 0
; COMPUTE_PGM_RSRC2:TGID_X_EN: 1
; COMPUTE_PGM_RSRC2:TGID_Y_EN: 0
; COMPUTE_PGM_RSRC2:TGID_Z_EN: 0
; COMPUTE_PGM_RSRC2:TIDIG_COMP_CNT: 0
; COMPUTE_PGM_RSRC3_GFX90A:ACCUM_OFFSET: 0
; COMPUTE_PGM_RSRC3_GFX90A:TG_SPLIT: 0
	.section	.text._ZN7rocprim17ROCPRIM_400000_NS6detail17trampoline_kernelINS0_14default_configENS1_25partition_config_selectorILNS1_17partition_subalgoE9EllbEEZZNS1_14partition_implILS5_9ELb0ES3_jPlS8_PNS0_10empty_typeENS0_5tupleIJS8_S9_EEENSB_IJS8_SA_EEENS0_18inequality_wrapperIZN2at6native12_GLOBAL__N_124unique_dim_cuda_templateIiEESt5tupleIJNSF_6TensorESK_SK_EERKSK_lbbbEUlllE0_EEPmJS9_EEE10hipError_tPvRmT3_T4_T5_T6_T7_T9_mT8_P12ihipStream_tbDpT10_ENKUlT_T0_E_clISt17integral_constantIbLb0EES1A_EEDaS15_S16_EUlS15_E_NS1_11comp_targetILNS1_3genE2ELNS1_11target_archE906ELNS1_3gpuE6ELNS1_3repE0EEENS1_30default_config_static_selectorELNS0_4arch9wavefront6targetE1EEEvT1_,"axG",@progbits,_ZN7rocprim17ROCPRIM_400000_NS6detail17trampoline_kernelINS0_14default_configENS1_25partition_config_selectorILNS1_17partition_subalgoE9EllbEEZZNS1_14partition_implILS5_9ELb0ES3_jPlS8_PNS0_10empty_typeENS0_5tupleIJS8_S9_EEENSB_IJS8_SA_EEENS0_18inequality_wrapperIZN2at6native12_GLOBAL__N_124unique_dim_cuda_templateIiEESt5tupleIJNSF_6TensorESK_SK_EERKSK_lbbbEUlllE0_EEPmJS9_EEE10hipError_tPvRmT3_T4_T5_T6_T7_T9_mT8_P12ihipStream_tbDpT10_ENKUlT_T0_E_clISt17integral_constantIbLb0EES1A_EEDaS15_S16_EUlS15_E_NS1_11comp_targetILNS1_3genE2ELNS1_11target_archE906ELNS1_3gpuE6ELNS1_3repE0EEENS1_30default_config_static_selectorELNS0_4arch9wavefront6targetE1EEEvT1_,comdat
	.globl	_ZN7rocprim17ROCPRIM_400000_NS6detail17trampoline_kernelINS0_14default_configENS1_25partition_config_selectorILNS1_17partition_subalgoE9EllbEEZZNS1_14partition_implILS5_9ELb0ES3_jPlS8_PNS0_10empty_typeENS0_5tupleIJS8_S9_EEENSB_IJS8_SA_EEENS0_18inequality_wrapperIZN2at6native12_GLOBAL__N_124unique_dim_cuda_templateIiEESt5tupleIJNSF_6TensorESK_SK_EERKSK_lbbbEUlllE0_EEPmJS9_EEE10hipError_tPvRmT3_T4_T5_T6_T7_T9_mT8_P12ihipStream_tbDpT10_ENKUlT_T0_E_clISt17integral_constantIbLb0EES1A_EEDaS15_S16_EUlS15_E_NS1_11comp_targetILNS1_3genE2ELNS1_11target_archE906ELNS1_3gpuE6ELNS1_3repE0EEENS1_30default_config_static_selectorELNS0_4arch9wavefront6targetE1EEEvT1_ ; -- Begin function _ZN7rocprim17ROCPRIM_400000_NS6detail17trampoline_kernelINS0_14default_configENS1_25partition_config_selectorILNS1_17partition_subalgoE9EllbEEZZNS1_14partition_implILS5_9ELb0ES3_jPlS8_PNS0_10empty_typeENS0_5tupleIJS8_S9_EEENSB_IJS8_SA_EEENS0_18inequality_wrapperIZN2at6native12_GLOBAL__N_124unique_dim_cuda_templateIiEESt5tupleIJNSF_6TensorESK_SK_EERKSK_lbbbEUlllE0_EEPmJS9_EEE10hipError_tPvRmT3_T4_T5_T6_T7_T9_mT8_P12ihipStream_tbDpT10_ENKUlT_T0_E_clISt17integral_constantIbLb0EES1A_EEDaS15_S16_EUlS15_E_NS1_11comp_targetILNS1_3genE2ELNS1_11target_archE906ELNS1_3gpuE6ELNS1_3repE0EEENS1_30default_config_static_selectorELNS0_4arch9wavefront6targetE1EEEvT1_
	.p2align	8
	.type	_ZN7rocprim17ROCPRIM_400000_NS6detail17trampoline_kernelINS0_14default_configENS1_25partition_config_selectorILNS1_17partition_subalgoE9EllbEEZZNS1_14partition_implILS5_9ELb0ES3_jPlS8_PNS0_10empty_typeENS0_5tupleIJS8_S9_EEENSB_IJS8_SA_EEENS0_18inequality_wrapperIZN2at6native12_GLOBAL__N_124unique_dim_cuda_templateIiEESt5tupleIJNSF_6TensorESK_SK_EERKSK_lbbbEUlllE0_EEPmJS9_EEE10hipError_tPvRmT3_T4_T5_T6_T7_T9_mT8_P12ihipStream_tbDpT10_ENKUlT_T0_E_clISt17integral_constantIbLb0EES1A_EEDaS15_S16_EUlS15_E_NS1_11comp_targetILNS1_3genE2ELNS1_11target_archE906ELNS1_3gpuE6ELNS1_3repE0EEENS1_30default_config_static_selectorELNS0_4arch9wavefront6targetE1EEEvT1_,@function
_ZN7rocprim17ROCPRIM_400000_NS6detail17trampoline_kernelINS0_14default_configENS1_25partition_config_selectorILNS1_17partition_subalgoE9EllbEEZZNS1_14partition_implILS5_9ELb0ES3_jPlS8_PNS0_10empty_typeENS0_5tupleIJS8_S9_EEENSB_IJS8_SA_EEENS0_18inequality_wrapperIZN2at6native12_GLOBAL__N_124unique_dim_cuda_templateIiEESt5tupleIJNSF_6TensorESK_SK_EERKSK_lbbbEUlllE0_EEPmJS9_EEE10hipError_tPvRmT3_T4_T5_T6_T7_T9_mT8_P12ihipStream_tbDpT10_ENKUlT_T0_E_clISt17integral_constantIbLb0EES1A_EEDaS15_S16_EUlS15_E_NS1_11comp_targetILNS1_3genE2ELNS1_11target_archE906ELNS1_3gpuE6ELNS1_3repE0EEENS1_30default_config_static_selectorELNS0_4arch9wavefront6targetE1EEEvT1_: ; @_ZN7rocprim17ROCPRIM_400000_NS6detail17trampoline_kernelINS0_14default_configENS1_25partition_config_selectorILNS1_17partition_subalgoE9EllbEEZZNS1_14partition_implILS5_9ELb0ES3_jPlS8_PNS0_10empty_typeENS0_5tupleIJS8_S9_EEENSB_IJS8_SA_EEENS0_18inequality_wrapperIZN2at6native12_GLOBAL__N_124unique_dim_cuda_templateIiEESt5tupleIJNSF_6TensorESK_SK_EERKSK_lbbbEUlllE0_EEPmJS9_EEE10hipError_tPvRmT3_T4_T5_T6_T7_T9_mT8_P12ihipStream_tbDpT10_ENKUlT_T0_E_clISt17integral_constantIbLb0EES1A_EEDaS15_S16_EUlS15_E_NS1_11comp_targetILNS1_3genE2ELNS1_11target_archE906ELNS1_3gpuE6ELNS1_3repE0EEENS1_30default_config_static_selectorELNS0_4arch9wavefront6targetE1EEEvT1_
; %bb.0:
	.section	.rodata,"a",@progbits
	.p2align	6, 0x0
	.amdhsa_kernel _ZN7rocprim17ROCPRIM_400000_NS6detail17trampoline_kernelINS0_14default_configENS1_25partition_config_selectorILNS1_17partition_subalgoE9EllbEEZZNS1_14partition_implILS5_9ELb0ES3_jPlS8_PNS0_10empty_typeENS0_5tupleIJS8_S9_EEENSB_IJS8_SA_EEENS0_18inequality_wrapperIZN2at6native12_GLOBAL__N_124unique_dim_cuda_templateIiEESt5tupleIJNSF_6TensorESK_SK_EERKSK_lbbbEUlllE0_EEPmJS9_EEE10hipError_tPvRmT3_T4_T5_T6_T7_T9_mT8_P12ihipStream_tbDpT10_ENKUlT_T0_E_clISt17integral_constantIbLb0EES1A_EEDaS15_S16_EUlS15_E_NS1_11comp_targetILNS1_3genE2ELNS1_11target_archE906ELNS1_3gpuE6ELNS1_3repE0EEENS1_30default_config_static_selectorELNS0_4arch9wavefront6targetE1EEEvT1_
		.amdhsa_group_segment_fixed_size 0
		.amdhsa_private_segment_fixed_size 0
		.amdhsa_kernarg_size 120
		.amdhsa_user_sgpr_count 6
		.amdhsa_user_sgpr_private_segment_buffer 1
		.amdhsa_user_sgpr_dispatch_ptr 0
		.amdhsa_user_sgpr_queue_ptr 0
		.amdhsa_user_sgpr_kernarg_segment_ptr 1
		.amdhsa_user_sgpr_dispatch_id 0
		.amdhsa_user_sgpr_flat_scratch_init 0
		.amdhsa_user_sgpr_kernarg_preload_length 0
		.amdhsa_user_sgpr_kernarg_preload_offset 0
		.amdhsa_user_sgpr_private_segment_size 0
		.amdhsa_uses_dynamic_stack 0
		.amdhsa_system_sgpr_private_segment_wavefront_offset 0
		.amdhsa_system_sgpr_workgroup_id_x 1
		.amdhsa_system_sgpr_workgroup_id_y 0
		.amdhsa_system_sgpr_workgroup_id_z 0
		.amdhsa_system_sgpr_workgroup_info 0
		.amdhsa_system_vgpr_workitem_id 0
		.amdhsa_next_free_vgpr 1
		.amdhsa_next_free_sgpr 0
		.amdhsa_accum_offset 4
		.amdhsa_reserve_vcc 0
		.amdhsa_reserve_flat_scratch 0
		.amdhsa_float_round_mode_32 0
		.amdhsa_float_round_mode_16_64 0
		.amdhsa_float_denorm_mode_32 3
		.amdhsa_float_denorm_mode_16_64 3
		.amdhsa_dx10_clamp 1
		.amdhsa_ieee_mode 1
		.amdhsa_fp16_overflow 0
		.amdhsa_tg_split 0
		.amdhsa_exception_fp_ieee_invalid_op 0
		.amdhsa_exception_fp_denorm_src 0
		.amdhsa_exception_fp_ieee_div_zero 0
		.amdhsa_exception_fp_ieee_overflow 0
		.amdhsa_exception_fp_ieee_underflow 0
		.amdhsa_exception_fp_ieee_inexact 0
		.amdhsa_exception_int_div_zero 0
	.end_amdhsa_kernel
	.section	.text._ZN7rocprim17ROCPRIM_400000_NS6detail17trampoline_kernelINS0_14default_configENS1_25partition_config_selectorILNS1_17partition_subalgoE9EllbEEZZNS1_14partition_implILS5_9ELb0ES3_jPlS8_PNS0_10empty_typeENS0_5tupleIJS8_S9_EEENSB_IJS8_SA_EEENS0_18inequality_wrapperIZN2at6native12_GLOBAL__N_124unique_dim_cuda_templateIiEESt5tupleIJNSF_6TensorESK_SK_EERKSK_lbbbEUlllE0_EEPmJS9_EEE10hipError_tPvRmT3_T4_T5_T6_T7_T9_mT8_P12ihipStream_tbDpT10_ENKUlT_T0_E_clISt17integral_constantIbLb0EES1A_EEDaS15_S16_EUlS15_E_NS1_11comp_targetILNS1_3genE2ELNS1_11target_archE906ELNS1_3gpuE6ELNS1_3repE0EEENS1_30default_config_static_selectorELNS0_4arch9wavefront6targetE1EEEvT1_,"axG",@progbits,_ZN7rocprim17ROCPRIM_400000_NS6detail17trampoline_kernelINS0_14default_configENS1_25partition_config_selectorILNS1_17partition_subalgoE9EllbEEZZNS1_14partition_implILS5_9ELb0ES3_jPlS8_PNS0_10empty_typeENS0_5tupleIJS8_S9_EEENSB_IJS8_SA_EEENS0_18inequality_wrapperIZN2at6native12_GLOBAL__N_124unique_dim_cuda_templateIiEESt5tupleIJNSF_6TensorESK_SK_EERKSK_lbbbEUlllE0_EEPmJS9_EEE10hipError_tPvRmT3_T4_T5_T6_T7_T9_mT8_P12ihipStream_tbDpT10_ENKUlT_T0_E_clISt17integral_constantIbLb0EES1A_EEDaS15_S16_EUlS15_E_NS1_11comp_targetILNS1_3genE2ELNS1_11target_archE906ELNS1_3gpuE6ELNS1_3repE0EEENS1_30default_config_static_selectorELNS0_4arch9wavefront6targetE1EEEvT1_,comdat
.Lfunc_end477:
	.size	_ZN7rocprim17ROCPRIM_400000_NS6detail17trampoline_kernelINS0_14default_configENS1_25partition_config_selectorILNS1_17partition_subalgoE9EllbEEZZNS1_14partition_implILS5_9ELb0ES3_jPlS8_PNS0_10empty_typeENS0_5tupleIJS8_S9_EEENSB_IJS8_SA_EEENS0_18inequality_wrapperIZN2at6native12_GLOBAL__N_124unique_dim_cuda_templateIiEESt5tupleIJNSF_6TensorESK_SK_EERKSK_lbbbEUlllE0_EEPmJS9_EEE10hipError_tPvRmT3_T4_T5_T6_T7_T9_mT8_P12ihipStream_tbDpT10_ENKUlT_T0_E_clISt17integral_constantIbLb0EES1A_EEDaS15_S16_EUlS15_E_NS1_11comp_targetILNS1_3genE2ELNS1_11target_archE906ELNS1_3gpuE6ELNS1_3repE0EEENS1_30default_config_static_selectorELNS0_4arch9wavefront6targetE1EEEvT1_, .Lfunc_end477-_ZN7rocprim17ROCPRIM_400000_NS6detail17trampoline_kernelINS0_14default_configENS1_25partition_config_selectorILNS1_17partition_subalgoE9EllbEEZZNS1_14partition_implILS5_9ELb0ES3_jPlS8_PNS0_10empty_typeENS0_5tupleIJS8_S9_EEENSB_IJS8_SA_EEENS0_18inequality_wrapperIZN2at6native12_GLOBAL__N_124unique_dim_cuda_templateIiEESt5tupleIJNSF_6TensorESK_SK_EERKSK_lbbbEUlllE0_EEPmJS9_EEE10hipError_tPvRmT3_T4_T5_T6_T7_T9_mT8_P12ihipStream_tbDpT10_ENKUlT_T0_E_clISt17integral_constantIbLb0EES1A_EEDaS15_S16_EUlS15_E_NS1_11comp_targetILNS1_3genE2ELNS1_11target_archE906ELNS1_3gpuE6ELNS1_3repE0EEENS1_30default_config_static_selectorELNS0_4arch9wavefront6targetE1EEEvT1_
                                        ; -- End function
	.section	.AMDGPU.csdata,"",@progbits
; Kernel info:
; codeLenInByte = 0
; NumSgprs: 4
; NumVgprs: 0
; NumAgprs: 0
; TotalNumVgprs: 0
; ScratchSize: 0
; MemoryBound: 0
; FloatMode: 240
; IeeeMode: 1
; LDSByteSize: 0 bytes/workgroup (compile time only)
; SGPRBlocks: 0
; VGPRBlocks: 0
; NumSGPRsForWavesPerEU: 4
; NumVGPRsForWavesPerEU: 1
; AccumOffset: 4
; Occupancy: 8
; WaveLimiterHint : 0
; COMPUTE_PGM_RSRC2:SCRATCH_EN: 0
; COMPUTE_PGM_RSRC2:USER_SGPR: 6
; COMPUTE_PGM_RSRC2:TRAP_HANDLER: 0
; COMPUTE_PGM_RSRC2:TGID_X_EN: 1
; COMPUTE_PGM_RSRC2:TGID_Y_EN: 0
; COMPUTE_PGM_RSRC2:TGID_Z_EN: 0
; COMPUTE_PGM_RSRC2:TIDIG_COMP_CNT: 0
; COMPUTE_PGM_RSRC3_GFX90A:ACCUM_OFFSET: 0
; COMPUTE_PGM_RSRC3_GFX90A:TG_SPLIT: 0
	.section	.text._ZN7rocprim17ROCPRIM_400000_NS6detail17trampoline_kernelINS0_14default_configENS1_25partition_config_selectorILNS1_17partition_subalgoE9EllbEEZZNS1_14partition_implILS5_9ELb0ES3_jPlS8_PNS0_10empty_typeENS0_5tupleIJS8_S9_EEENSB_IJS8_SA_EEENS0_18inequality_wrapperIZN2at6native12_GLOBAL__N_124unique_dim_cuda_templateIiEESt5tupleIJNSF_6TensorESK_SK_EERKSK_lbbbEUlllE0_EEPmJS9_EEE10hipError_tPvRmT3_T4_T5_T6_T7_T9_mT8_P12ihipStream_tbDpT10_ENKUlT_T0_E_clISt17integral_constantIbLb0EES1A_EEDaS15_S16_EUlS15_E_NS1_11comp_targetILNS1_3genE10ELNS1_11target_archE1200ELNS1_3gpuE4ELNS1_3repE0EEENS1_30default_config_static_selectorELNS0_4arch9wavefront6targetE1EEEvT1_,"axG",@progbits,_ZN7rocprim17ROCPRIM_400000_NS6detail17trampoline_kernelINS0_14default_configENS1_25partition_config_selectorILNS1_17partition_subalgoE9EllbEEZZNS1_14partition_implILS5_9ELb0ES3_jPlS8_PNS0_10empty_typeENS0_5tupleIJS8_S9_EEENSB_IJS8_SA_EEENS0_18inequality_wrapperIZN2at6native12_GLOBAL__N_124unique_dim_cuda_templateIiEESt5tupleIJNSF_6TensorESK_SK_EERKSK_lbbbEUlllE0_EEPmJS9_EEE10hipError_tPvRmT3_T4_T5_T6_T7_T9_mT8_P12ihipStream_tbDpT10_ENKUlT_T0_E_clISt17integral_constantIbLb0EES1A_EEDaS15_S16_EUlS15_E_NS1_11comp_targetILNS1_3genE10ELNS1_11target_archE1200ELNS1_3gpuE4ELNS1_3repE0EEENS1_30default_config_static_selectorELNS0_4arch9wavefront6targetE1EEEvT1_,comdat
	.globl	_ZN7rocprim17ROCPRIM_400000_NS6detail17trampoline_kernelINS0_14default_configENS1_25partition_config_selectorILNS1_17partition_subalgoE9EllbEEZZNS1_14partition_implILS5_9ELb0ES3_jPlS8_PNS0_10empty_typeENS0_5tupleIJS8_S9_EEENSB_IJS8_SA_EEENS0_18inequality_wrapperIZN2at6native12_GLOBAL__N_124unique_dim_cuda_templateIiEESt5tupleIJNSF_6TensorESK_SK_EERKSK_lbbbEUlllE0_EEPmJS9_EEE10hipError_tPvRmT3_T4_T5_T6_T7_T9_mT8_P12ihipStream_tbDpT10_ENKUlT_T0_E_clISt17integral_constantIbLb0EES1A_EEDaS15_S16_EUlS15_E_NS1_11comp_targetILNS1_3genE10ELNS1_11target_archE1200ELNS1_3gpuE4ELNS1_3repE0EEENS1_30default_config_static_selectorELNS0_4arch9wavefront6targetE1EEEvT1_ ; -- Begin function _ZN7rocprim17ROCPRIM_400000_NS6detail17trampoline_kernelINS0_14default_configENS1_25partition_config_selectorILNS1_17partition_subalgoE9EllbEEZZNS1_14partition_implILS5_9ELb0ES3_jPlS8_PNS0_10empty_typeENS0_5tupleIJS8_S9_EEENSB_IJS8_SA_EEENS0_18inequality_wrapperIZN2at6native12_GLOBAL__N_124unique_dim_cuda_templateIiEESt5tupleIJNSF_6TensorESK_SK_EERKSK_lbbbEUlllE0_EEPmJS9_EEE10hipError_tPvRmT3_T4_T5_T6_T7_T9_mT8_P12ihipStream_tbDpT10_ENKUlT_T0_E_clISt17integral_constantIbLb0EES1A_EEDaS15_S16_EUlS15_E_NS1_11comp_targetILNS1_3genE10ELNS1_11target_archE1200ELNS1_3gpuE4ELNS1_3repE0EEENS1_30default_config_static_selectorELNS0_4arch9wavefront6targetE1EEEvT1_
	.p2align	8
	.type	_ZN7rocprim17ROCPRIM_400000_NS6detail17trampoline_kernelINS0_14default_configENS1_25partition_config_selectorILNS1_17partition_subalgoE9EllbEEZZNS1_14partition_implILS5_9ELb0ES3_jPlS8_PNS0_10empty_typeENS0_5tupleIJS8_S9_EEENSB_IJS8_SA_EEENS0_18inequality_wrapperIZN2at6native12_GLOBAL__N_124unique_dim_cuda_templateIiEESt5tupleIJNSF_6TensorESK_SK_EERKSK_lbbbEUlllE0_EEPmJS9_EEE10hipError_tPvRmT3_T4_T5_T6_T7_T9_mT8_P12ihipStream_tbDpT10_ENKUlT_T0_E_clISt17integral_constantIbLb0EES1A_EEDaS15_S16_EUlS15_E_NS1_11comp_targetILNS1_3genE10ELNS1_11target_archE1200ELNS1_3gpuE4ELNS1_3repE0EEENS1_30default_config_static_selectorELNS0_4arch9wavefront6targetE1EEEvT1_,@function
_ZN7rocprim17ROCPRIM_400000_NS6detail17trampoline_kernelINS0_14default_configENS1_25partition_config_selectorILNS1_17partition_subalgoE9EllbEEZZNS1_14partition_implILS5_9ELb0ES3_jPlS8_PNS0_10empty_typeENS0_5tupleIJS8_S9_EEENSB_IJS8_SA_EEENS0_18inequality_wrapperIZN2at6native12_GLOBAL__N_124unique_dim_cuda_templateIiEESt5tupleIJNSF_6TensorESK_SK_EERKSK_lbbbEUlllE0_EEPmJS9_EEE10hipError_tPvRmT3_T4_T5_T6_T7_T9_mT8_P12ihipStream_tbDpT10_ENKUlT_T0_E_clISt17integral_constantIbLb0EES1A_EEDaS15_S16_EUlS15_E_NS1_11comp_targetILNS1_3genE10ELNS1_11target_archE1200ELNS1_3gpuE4ELNS1_3repE0EEENS1_30default_config_static_selectorELNS0_4arch9wavefront6targetE1EEEvT1_: ; @_ZN7rocprim17ROCPRIM_400000_NS6detail17trampoline_kernelINS0_14default_configENS1_25partition_config_selectorILNS1_17partition_subalgoE9EllbEEZZNS1_14partition_implILS5_9ELb0ES3_jPlS8_PNS0_10empty_typeENS0_5tupleIJS8_S9_EEENSB_IJS8_SA_EEENS0_18inequality_wrapperIZN2at6native12_GLOBAL__N_124unique_dim_cuda_templateIiEESt5tupleIJNSF_6TensorESK_SK_EERKSK_lbbbEUlllE0_EEPmJS9_EEE10hipError_tPvRmT3_T4_T5_T6_T7_T9_mT8_P12ihipStream_tbDpT10_ENKUlT_T0_E_clISt17integral_constantIbLb0EES1A_EEDaS15_S16_EUlS15_E_NS1_11comp_targetILNS1_3genE10ELNS1_11target_archE1200ELNS1_3gpuE4ELNS1_3repE0EEENS1_30default_config_static_selectorELNS0_4arch9wavefront6targetE1EEEvT1_
; %bb.0:
	.section	.rodata,"a",@progbits
	.p2align	6, 0x0
	.amdhsa_kernel _ZN7rocprim17ROCPRIM_400000_NS6detail17trampoline_kernelINS0_14default_configENS1_25partition_config_selectorILNS1_17partition_subalgoE9EllbEEZZNS1_14partition_implILS5_9ELb0ES3_jPlS8_PNS0_10empty_typeENS0_5tupleIJS8_S9_EEENSB_IJS8_SA_EEENS0_18inequality_wrapperIZN2at6native12_GLOBAL__N_124unique_dim_cuda_templateIiEESt5tupleIJNSF_6TensorESK_SK_EERKSK_lbbbEUlllE0_EEPmJS9_EEE10hipError_tPvRmT3_T4_T5_T6_T7_T9_mT8_P12ihipStream_tbDpT10_ENKUlT_T0_E_clISt17integral_constantIbLb0EES1A_EEDaS15_S16_EUlS15_E_NS1_11comp_targetILNS1_3genE10ELNS1_11target_archE1200ELNS1_3gpuE4ELNS1_3repE0EEENS1_30default_config_static_selectorELNS0_4arch9wavefront6targetE1EEEvT1_
		.amdhsa_group_segment_fixed_size 0
		.amdhsa_private_segment_fixed_size 0
		.amdhsa_kernarg_size 120
		.amdhsa_user_sgpr_count 6
		.amdhsa_user_sgpr_private_segment_buffer 1
		.amdhsa_user_sgpr_dispatch_ptr 0
		.amdhsa_user_sgpr_queue_ptr 0
		.amdhsa_user_sgpr_kernarg_segment_ptr 1
		.amdhsa_user_sgpr_dispatch_id 0
		.amdhsa_user_sgpr_flat_scratch_init 0
		.amdhsa_user_sgpr_kernarg_preload_length 0
		.amdhsa_user_sgpr_kernarg_preload_offset 0
		.amdhsa_user_sgpr_private_segment_size 0
		.amdhsa_uses_dynamic_stack 0
		.amdhsa_system_sgpr_private_segment_wavefront_offset 0
		.amdhsa_system_sgpr_workgroup_id_x 1
		.amdhsa_system_sgpr_workgroup_id_y 0
		.amdhsa_system_sgpr_workgroup_id_z 0
		.amdhsa_system_sgpr_workgroup_info 0
		.amdhsa_system_vgpr_workitem_id 0
		.amdhsa_next_free_vgpr 1
		.amdhsa_next_free_sgpr 0
		.amdhsa_accum_offset 4
		.amdhsa_reserve_vcc 0
		.amdhsa_reserve_flat_scratch 0
		.amdhsa_float_round_mode_32 0
		.amdhsa_float_round_mode_16_64 0
		.amdhsa_float_denorm_mode_32 3
		.amdhsa_float_denorm_mode_16_64 3
		.amdhsa_dx10_clamp 1
		.amdhsa_ieee_mode 1
		.amdhsa_fp16_overflow 0
		.amdhsa_tg_split 0
		.amdhsa_exception_fp_ieee_invalid_op 0
		.amdhsa_exception_fp_denorm_src 0
		.amdhsa_exception_fp_ieee_div_zero 0
		.amdhsa_exception_fp_ieee_overflow 0
		.amdhsa_exception_fp_ieee_underflow 0
		.amdhsa_exception_fp_ieee_inexact 0
		.amdhsa_exception_int_div_zero 0
	.end_amdhsa_kernel
	.section	.text._ZN7rocprim17ROCPRIM_400000_NS6detail17trampoline_kernelINS0_14default_configENS1_25partition_config_selectorILNS1_17partition_subalgoE9EllbEEZZNS1_14partition_implILS5_9ELb0ES3_jPlS8_PNS0_10empty_typeENS0_5tupleIJS8_S9_EEENSB_IJS8_SA_EEENS0_18inequality_wrapperIZN2at6native12_GLOBAL__N_124unique_dim_cuda_templateIiEESt5tupleIJNSF_6TensorESK_SK_EERKSK_lbbbEUlllE0_EEPmJS9_EEE10hipError_tPvRmT3_T4_T5_T6_T7_T9_mT8_P12ihipStream_tbDpT10_ENKUlT_T0_E_clISt17integral_constantIbLb0EES1A_EEDaS15_S16_EUlS15_E_NS1_11comp_targetILNS1_3genE10ELNS1_11target_archE1200ELNS1_3gpuE4ELNS1_3repE0EEENS1_30default_config_static_selectorELNS0_4arch9wavefront6targetE1EEEvT1_,"axG",@progbits,_ZN7rocprim17ROCPRIM_400000_NS6detail17trampoline_kernelINS0_14default_configENS1_25partition_config_selectorILNS1_17partition_subalgoE9EllbEEZZNS1_14partition_implILS5_9ELb0ES3_jPlS8_PNS0_10empty_typeENS0_5tupleIJS8_S9_EEENSB_IJS8_SA_EEENS0_18inequality_wrapperIZN2at6native12_GLOBAL__N_124unique_dim_cuda_templateIiEESt5tupleIJNSF_6TensorESK_SK_EERKSK_lbbbEUlllE0_EEPmJS9_EEE10hipError_tPvRmT3_T4_T5_T6_T7_T9_mT8_P12ihipStream_tbDpT10_ENKUlT_T0_E_clISt17integral_constantIbLb0EES1A_EEDaS15_S16_EUlS15_E_NS1_11comp_targetILNS1_3genE10ELNS1_11target_archE1200ELNS1_3gpuE4ELNS1_3repE0EEENS1_30default_config_static_selectorELNS0_4arch9wavefront6targetE1EEEvT1_,comdat
.Lfunc_end478:
	.size	_ZN7rocprim17ROCPRIM_400000_NS6detail17trampoline_kernelINS0_14default_configENS1_25partition_config_selectorILNS1_17partition_subalgoE9EllbEEZZNS1_14partition_implILS5_9ELb0ES3_jPlS8_PNS0_10empty_typeENS0_5tupleIJS8_S9_EEENSB_IJS8_SA_EEENS0_18inequality_wrapperIZN2at6native12_GLOBAL__N_124unique_dim_cuda_templateIiEESt5tupleIJNSF_6TensorESK_SK_EERKSK_lbbbEUlllE0_EEPmJS9_EEE10hipError_tPvRmT3_T4_T5_T6_T7_T9_mT8_P12ihipStream_tbDpT10_ENKUlT_T0_E_clISt17integral_constantIbLb0EES1A_EEDaS15_S16_EUlS15_E_NS1_11comp_targetILNS1_3genE10ELNS1_11target_archE1200ELNS1_3gpuE4ELNS1_3repE0EEENS1_30default_config_static_selectorELNS0_4arch9wavefront6targetE1EEEvT1_, .Lfunc_end478-_ZN7rocprim17ROCPRIM_400000_NS6detail17trampoline_kernelINS0_14default_configENS1_25partition_config_selectorILNS1_17partition_subalgoE9EllbEEZZNS1_14partition_implILS5_9ELb0ES3_jPlS8_PNS0_10empty_typeENS0_5tupleIJS8_S9_EEENSB_IJS8_SA_EEENS0_18inequality_wrapperIZN2at6native12_GLOBAL__N_124unique_dim_cuda_templateIiEESt5tupleIJNSF_6TensorESK_SK_EERKSK_lbbbEUlllE0_EEPmJS9_EEE10hipError_tPvRmT3_T4_T5_T6_T7_T9_mT8_P12ihipStream_tbDpT10_ENKUlT_T0_E_clISt17integral_constantIbLb0EES1A_EEDaS15_S16_EUlS15_E_NS1_11comp_targetILNS1_3genE10ELNS1_11target_archE1200ELNS1_3gpuE4ELNS1_3repE0EEENS1_30default_config_static_selectorELNS0_4arch9wavefront6targetE1EEEvT1_
                                        ; -- End function
	.section	.AMDGPU.csdata,"",@progbits
; Kernel info:
; codeLenInByte = 0
; NumSgprs: 4
; NumVgprs: 0
; NumAgprs: 0
; TotalNumVgprs: 0
; ScratchSize: 0
; MemoryBound: 0
; FloatMode: 240
; IeeeMode: 1
; LDSByteSize: 0 bytes/workgroup (compile time only)
; SGPRBlocks: 0
; VGPRBlocks: 0
; NumSGPRsForWavesPerEU: 4
; NumVGPRsForWavesPerEU: 1
; AccumOffset: 4
; Occupancy: 8
; WaveLimiterHint : 0
; COMPUTE_PGM_RSRC2:SCRATCH_EN: 0
; COMPUTE_PGM_RSRC2:USER_SGPR: 6
; COMPUTE_PGM_RSRC2:TRAP_HANDLER: 0
; COMPUTE_PGM_RSRC2:TGID_X_EN: 1
; COMPUTE_PGM_RSRC2:TGID_Y_EN: 0
; COMPUTE_PGM_RSRC2:TGID_Z_EN: 0
; COMPUTE_PGM_RSRC2:TIDIG_COMP_CNT: 0
; COMPUTE_PGM_RSRC3_GFX90A:ACCUM_OFFSET: 0
; COMPUTE_PGM_RSRC3_GFX90A:TG_SPLIT: 0
	.section	.text._ZN7rocprim17ROCPRIM_400000_NS6detail17trampoline_kernelINS0_14default_configENS1_25partition_config_selectorILNS1_17partition_subalgoE9EllbEEZZNS1_14partition_implILS5_9ELb0ES3_jPlS8_PNS0_10empty_typeENS0_5tupleIJS8_S9_EEENSB_IJS8_SA_EEENS0_18inequality_wrapperIZN2at6native12_GLOBAL__N_124unique_dim_cuda_templateIiEESt5tupleIJNSF_6TensorESK_SK_EERKSK_lbbbEUlllE0_EEPmJS9_EEE10hipError_tPvRmT3_T4_T5_T6_T7_T9_mT8_P12ihipStream_tbDpT10_ENKUlT_T0_E_clISt17integral_constantIbLb0EES1A_EEDaS15_S16_EUlS15_E_NS1_11comp_targetILNS1_3genE9ELNS1_11target_archE1100ELNS1_3gpuE3ELNS1_3repE0EEENS1_30default_config_static_selectorELNS0_4arch9wavefront6targetE1EEEvT1_,"axG",@progbits,_ZN7rocprim17ROCPRIM_400000_NS6detail17trampoline_kernelINS0_14default_configENS1_25partition_config_selectorILNS1_17partition_subalgoE9EllbEEZZNS1_14partition_implILS5_9ELb0ES3_jPlS8_PNS0_10empty_typeENS0_5tupleIJS8_S9_EEENSB_IJS8_SA_EEENS0_18inequality_wrapperIZN2at6native12_GLOBAL__N_124unique_dim_cuda_templateIiEESt5tupleIJNSF_6TensorESK_SK_EERKSK_lbbbEUlllE0_EEPmJS9_EEE10hipError_tPvRmT3_T4_T5_T6_T7_T9_mT8_P12ihipStream_tbDpT10_ENKUlT_T0_E_clISt17integral_constantIbLb0EES1A_EEDaS15_S16_EUlS15_E_NS1_11comp_targetILNS1_3genE9ELNS1_11target_archE1100ELNS1_3gpuE3ELNS1_3repE0EEENS1_30default_config_static_selectorELNS0_4arch9wavefront6targetE1EEEvT1_,comdat
	.globl	_ZN7rocprim17ROCPRIM_400000_NS6detail17trampoline_kernelINS0_14default_configENS1_25partition_config_selectorILNS1_17partition_subalgoE9EllbEEZZNS1_14partition_implILS5_9ELb0ES3_jPlS8_PNS0_10empty_typeENS0_5tupleIJS8_S9_EEENSB_IJS8_SA_EEENS0_18inequality_wrapperIZN2at6native12_GLOBAL__N_124unique_dim_cuda_templateIiEESt5tupleIJNSF_6TensorESK_SK_EERKSK_lbbbEUlllE0_EEPmJS9_EEE10hipError_tPvRmT3_T4_T5_T6_T7_T9_mT8_P12ihipStream_tbDpT10_ENKUlT_T0_E_clISt17integral_constantIbLb0EES1A_EEDaS15_S16_EUlS15_E_NS1_11comp_targetILNS1_3genE9ELNS1_11target_archE1100ELNS1_3gpuE3ELNS1_3repE0EEENS1_30default_config_static_selectorELNS0_4arch9wavefront6targetE1EEEvT1_ ; -- Begin function _ZN7rocprim17ROCPRIM_400000_NS6detail17trampoline_kernelINS0_14default_configENS1_25partition_config_selectorILNS1_17partition_subalgoE9EllbEEZZNS1_14partition_implILS5_9ELb0ES3_jPlS8_PNS0_10empty_typeENS0_5tupleIJS8_S9_EEENSB_IJS8_SA_EEENS0_18inequality_wrapperIZN2at6native12_GLOBAL__N_124unique_dim_cuda_templateIiEESt5tupleIJNSF_6TensorESK_SK_EERKSK_lbbbEUlllE0_EEPmJS9_EEE10hipError_tPvRmT3_T4_T5_T6_T7_T9_mT8_P12ihipStream_tbDpT10_ENKUlT_T0_E_clISt17integral_constantIbLb0EES1A_EEDaS15_S16_EUlS15_E_NS1_11comp_targetILNS1_3genE9ELNS1_11target_archE1100ELNS1_3gpuE3ELNS1_3repE0EEENS1_30default_config_static_selectorELNS0_4arch9wavefront6targetE1EEEvT1_
	.p2align	8
	.type	_ZN7rocprim17ROCPRIM_400000_NS6detail17trampoline_kernelINS0_14default_configENS1_25partition_config_selectorILNS1_17partition_subalgoE9EllbEEZZNS1_14partition_implILS5_9ELb0ES3_jPlS8_PNS0_10empty_typeENS0_5tupleIJS8_S9_EEENSB_IJS8_SA_EEENS0_18inequality_wrapperIZN2at6native12_GLOBAL__N_124unique_dim_cuda_templateIiEESt5tupleIJNSF_6TensorESK_SK_EERKSK_lbbbEUlllE0_EEPmJS9_EEE10hipError_tPvRmT3_T4_T5_T6_T7_T9_mT8_P12ihipStream_tbDpT10_ENKUlT_T0_E_clISt17integral_constantIbLb0EES1A_EEDaS15_S16_EUlS15_E_NS1_11comp_targetILNS1_3genE9ELNS1_11target_archE1100ELNS1_3gpuE3ELNS1_3repE0EEENS1_30default_config_static_selectorELNS0_4arch9wavefront6targetE1EEEvT1_,@function
_ZN7rocprim17ROCPRIM_400000_NS6detail17trampoline_kernelINS0_14default_configENS1_25partition_config_selectorILNS1_17partition_subalgoE9EllbEEZZNS1_14partition_implILS5_9ELb0ES3_jPlS8_PNS0_10empty_typeENS0_5tupleIJS8_S9_EEENSB_IJS8_SA_EEENS0_18inequality_wrapperIZN2at6native12_GLOBAL__N_124unique_dim_cuda_templateIiEESt5tupleIJNSF_6TensorESK_SK_EERKSK_lbbbEUlllE0_EEPmJS9_EEE10hipError_tPvRmT3_T4_T5_T6_T7_T9_mT8_P12ihipStream_tbDpT10_ENKUlT_T0_E_clISt17integral_constantIbLb0EES1A_EEDaS15_S16_EUlS15_E_NS1_11comp_targetILNS1_3genE9ELNS1_11target_archE1100ELNS1_3gpuE3ELNS1_3repE0EEENS1_30default_config_static_selectorELNS0_4arch9wavefront6targetE1EEEvT1_: ; @_ZN7rocprim17ROCPRIM_400000_NS6detail17trampoline_kernelINS0_14default_configENS1_25partition_config_selectorILNS1_17partition_subalgoE9EllbEEZZNS1_14partition_implILS5_9ELb0ES3_jPlS8_PNS0_10empty_typeENS0_5tupleIJS8_S9_EEENSB_IJS8_SA_EEENS0_18inequality_wrapperIZN2at6native12_GLOBAL__N_124unique_dim_cuda_templateIiEESt5tupleIJNSF_6TensorESK_SK_EERKSK_lbbbEUlllE0_EEPmJS9_EEE10hipError_tPvRmT3_T4_T5_T6_T7_T9_mT8_P12ihipStream_tbDpT10_ENKUlT_T0_E_clISt17integral_constantIbLb0EES1A_EEDaS15_S16_EUlS15_E_NS1_11comp_targetILNS1_3genE9ELNS1_11target_archE1100ELNS1_3gpuE3ELNS1_3repE0EEENS1_30default_config_static_selectorELNS0_4arch9wavefront6targetE1EEEvT1_
; %bb.0:
	.section	.rodata,"a",@progbits
	.p2align	6, 0x0
	.amdhsa_kernel _ZN7rocprim17ROCPRIM_400000_NS6detail17trampoline_kernelINS0_14default_configENS1_25partition_config_selectorILNS1_17partition_subalgoE9EllbEEZZNS1_14partition_implILS5_9ELb0ES3_jPlS8_PNS0_10empty_typeENS0_5tupleIJS8_S9_EEENSB_IJS8_SA_EEENS0_18inequality_wrapperIZN2at6native12_GLOBAL__N_124unique_dim_cuda_templateIiEESt5tupleIJNSF_6TensorESK_SK_EERKSK_lbbbEUlllE0_EEPmJS9_EEE10hipError_tPvRmT3_T4_T5_T6_T7_T9_mT8_P12ihipStream_tbDpT10_ENKUlT_T0_E_clISt17integral_constantIbLb0EES1A_EEDaS15_S16_EUlS15_E_NS1_11comp_targetILNS1_3genE9ELNS1_11target_archE1100ELNS1_3gpuE3ELNS1_3repE0EEENS1_30default_config_static_selectorELNS0_4arch9wavefront6targetE1EEEvT1_
		.amdhsa_group_segment_fixed_size 0
		.amdhsa_private_segment_fixed_size 0
		.amdhsa_kernarg_size 120
		.amdhsa_user_sgpr_count 6
		.amdhsa_user_sgpr_private_segment_buffer 1
		.amdhsa_user_sgpr_dispatch_ptr 0
		.amdhsa_user_sgpr_queue_ptr 0
		.amdhsa_user_sgpr_kernarg_segment_ptr 1
		.amdhsa_user_sgpr_dispatch_id 0
		.amdhsa_user_sgpr_flat_scratch_init 0
		.amdhsa_user_sgpr_kernarg_preload_length 0
		.amdhsa_user_sgpr_kernarg_preload_offset 0
		.amdhsa_user_sgpr_private_segment_size 0
		.amdhsa_uses_dynamic_stack 0
		.amdhsa_system_sgpr_private_segment_wavefront_offset 0
		.amdhsa_system_sgpr_workgroup_id_x 1
		.amdhsa_system_sgpr_workgroup_id_y 0
		.amdhsa_system_sgpr_workgroup_id_z 0
		.amdhsa_system_sgpr_workgroup_info 0
		.amdhsa_system_vgpr_workitem_id 0
		.amdhsa_next_free_vgpr 1
		.amdhsa_next_free_sgpr 0
		.amdhsa_accum_offset 4
		.amdhsa_reserve_vcc 0
		.amdhsa_reserve_flat_scratch 0
		.amdhsa_float_round_mode_32 0
		.amdhsa_float_round_mode_16_64 0
		.amdhsa_float_denorm_mode_32 3
		.amdhsa_float_denorm_mode_16_64 3
		.amdhsa_dx10_clamp 1
		.amdhsa_ieee_mode 1
		.amdhsa_fp16_overflow 0
		.amdhsa_tg_split 0
		.amdhsa_exception_fp_ieee_invalid_op 0
		.amdhsa_exception_fp_denorm_src 0
		.amdhsa_exception_fp_ieee_div_zero 0
		.amdhsa_exception_fp_ieee_overflow 0
		.amdhsa_exception_fp_ieee_underflow 0
		.amdhsa_exception_fp_ieee_inexact 0
		.amdhsa_exception_int_div_zero 0
	.end_amdhsa_kernel
	.section	.text._ZN7rocprim17ROCPRIM_400000_NS6detail17trampoline_kernelINS0_14default_configENS1_25partition_config_selectorILNS1_17partition_subalgoE9EllbEEZZNS1_14partition_implILS5_9ELb0ES3_jPlS8_PNS0_10empty_typeENS0_5tupleIJS8_S9_EEENSB_IJS8_SA_EEENS0_18inequality_wrapperIZN2at6native12_GLOBAL__N_124unique_dim_cuda_templateIiEESt5tupleIJNSF_6TensorESK_SK_EERKSK_lbbbEUlllE0_EEPmJS9_EEE10hipError_tPvRmT3_T4_T5_T6_T7_T9_mT8_P12ihipStream_tbDpT10_ENKUlT_T0_E_clISt17integral_constantIbLb0EES1A_EEDaS15_S16_EUlS15_E_NS1_11comp_targetILNS1_3genE9ELNS1_11target_archE1100ELNS1_3gpuE3ELNS1_3repE0EEENS1_30default_config_static_selectorELNS0_4arch9wavefront6targetE1EEEvT1_,"axG",@progbits,_ZN7rocprim17ROCPRIM_400000_NS6detail17trampoline_kernelINS0_14default_configENS1_25partition_config_selectorILNS1_17partition_subalgoE9EllbEEZZNS1_14partition_implILS5_9ELb0ES3_jPlS8_PNS0_10empty_typeENS0_5tupleIJS8_S9_EEENSB_IJS8_SA_EEENS0_18inequality_wrapperIZN2at6native12_GLOBAL__N_124unique_dim_cuda_templateIiEESt5tupleIJNSF_6TensorESK_SK_EERKSK_lbbbEUlllE0_EEPmJS9_EEE10hipError_tPvRmT3_T4_T5_T6_T7_T9_mT8_P12ihipStream_tbDpT10_ENKUlT_T0_E_clISt17integral_constantIbLb0EES1A_EEDaS15_S16_EUlS15_E_NS1_11comp_targetILNS1_3genE9ELNS1_11target_archE1100ELNS1_3gpuE3ELNS1_3repE0EEENS1_30default_config_static_selectorELNS0_4arch9wavefront6targetE1EEEvT1_,comdat
.Lfunc_end479:
	.size	_ZN7rocprim17ROCPRIM_400000_NS6detail17trampoline_kernelINS0_14default_configENS1_25partition_config_selectorILNS1_17partition_subalgoE9EllbEEZZNS1_14partition_implILS5_9ELb0ES3_jPlS8_PNS0_10empty_typeENS0_5tupleIJS8_S9_EEENSB_IJS8_SA_EEENS0_18inequality_wrapperIZN2at6native12_GLOBAL__N_124unique_dim_cuda_templateIiEESt5tupleIJNSF_6TensorESK_SK_EERKSK_lbbbEUlllE0_EEPmJS9_EEE10hipError_tPvRmT3_T4_T5_T6_T7_T9_mT8_P12ihipStream_tbDpT10_ENKUlT_T0_E_clISt17integral_constantIbLb0EES1A_EEDaS15_S16_EUlS15_E_NS1_11comp_targetILNS1_3genE9ELNS1_11target_archE1100ELNS1_3gpuE3ELNS1_3repE0EEENS1_30default_config_static_selectorELNS0_4arch9wavefront6targetE1EEEvT1_, .Lfunc_end479-_ZN7rocprim17ROCPRIM_400000_NS6detail17trampoline_kernelINS0_14default_configENS1_25partition_config_selectorILNS1_17partition_subalgoE9EllbEEZZNS1_14partition_implILS5_9ELb0ES3_jPlS8_PNS0_10empty_typeENS0_5tupleIJS8_S9_EEENSB_IJS8_SA_EEENS0_18inequality_wrapperIZN2at6native12_GLOBAL__N_124unique_dim_cuda_templateIiEESt5tupleIJNSF_6TensorESK_SK_EERKSK_lbbbEUlllE0_EEPmJS9_EEE10hipError_tPvRmT3_T4_T5_T6_T7_T9_mT8_P12ihipStream_tbDpT10_ENKUlT_T0_E_clISt17integral_constantIbLb0EES1A_EEDaS15_S16_EUlS15_E_NS1_11comp_targetILNS1_3genE9ELNS1_11target_archE1100ELNS1_3gpuE3ELNS1_3repE0EEENS1_30default_config_static_selectorELNS0_4arch9wavefront6targetE1EEEvT1_
                                        ; -- End function
	.section	.AMDGPU.csdata,"",@progbits
; Kernel info:
; codeLenInByte = 0
; NumSgprs: 4
; NumVgprs: 0
; NumAgprs: 0
; TotalNumVgprs: 0
; ScratchSize: 0
; MemoryBound: 0
; FloatMode: 240
; IeeeMode: 1
; LDSByteSize: 0 bytes/workgroup (compile time only)
; SGPRBlocks: 0
; VGPRBlocks: 0
; NumSGPRsForWavesPerEU: 4
; NumVGPRsForWavesPerEU: 1
; AccumOffset: 4
; Occupancy: 8
; WaveLimiterHint : 0
; COMPUTE_PGM_RSRC2:SCRATCH_EN: 0
; COMPUTE_PGM_RSRC2:USER_SGPR: 6
; COMPUTE_PGM_RSRC2:TRAP_HANDLER: 0
; COMPUTE_PGM_RSRC2:TGID_X_EN: 1
; COMPUTE_PGM_RSRC2:TGID_Y_EN: 0
; COMPUTE_PGM_RSRC2:TGID_Z_EN: 0
; COMPUTE_PGM_RSRC2:TIDIG_COMP_CNT: 0
; COMPUTE_PGM_RSRC3_GFX90A:ACCUM_OFFSET: 0
; COMPUTE_PGM_RSRC3_GFX90A:TG_SPLIT: 0
	.section	.text._ZN7rocprim17ROCPRIM_400000_NS6detail17trampoline_kernelINS0_14default_configENS1_25partition_config_selectorILNS1_17partition_subalgoE9EllbEEZZNS1_14partition_implILS5_9ELb0ES3_jPlS8_PNS0_10empty_typeENS0_5tupleIJS8_S9_EEENSB_IJS8_SA_EEENS0_18inequality_wrapperIZN2at6native12_GLOBAL__N_124unique_dim_cuda_templateIiEESt5tupleIJNSF_6TensorESK_SK_EERKSK_lbbbEUlllE0_EEPmJS9_EEE10hipError_tPvRmT3_T4_T5_T6_T7_T9_mT8_P12ihipStream_tbDpT10_ENKUlT_T0_E_clISt17integral_constantIbLb0EES1A_EEDaS15_S16_EUlS15_E_NS1_11comp_targetILNS1_3genE8ELNS1_11target_archE1030ELNS1_3gpuE2ELNS1_3repE0EEENS1_30default_config_static_selectorELNS0_4arch9wavefront6targetE1EEEvT1_,"axG",@progbits,_ZN7rocprim17ROCPRIM_400000_NS6detail17trampoline_kernelINS0_14default_configENS1_25partition_config_selectorILNS1_17partition_subalgoE9EllbEEZZNS1_14partition_implILS5_9ELb0ES3_jPlS8_PNS0_10empty_typeENS0_5tupleIJS8_S9_EEENSB_IJS8_SA_EEENS0_18inequality_wrapperIZN2at6native12_GLOBAL__N_124unique_dim_cuda_templateIiEESt5tupleIJNSF_6TensorESK_SK_EERKSK_lbbbEUlllE0_EEPmJS9_EEE10hipError_tPvRmT3_T4_T5_T6_T7_T9_mT8_P12ihipStream_tbDpT10_ENKUlT_T0_E_clISt17integral_constantIbLb0EES1A_EEDaS15_S16_EUlS15_E_NS1_11comp_targetILNS1_3genE8ELNS1_11target_archE1030ELNS1_3gpuE2ELNS1_3repE0EEENS1_30default_config_static_selectorELNS0_4arch9wavefront6targetE1EEEvT1_,comdat
	.globl	_ZN7rocprim17ROCPRIM_400000_NS6detail17trampoline_kernelINS0_14default_configENS1_25partition_config_selectorILNS1_17partition_subalgoE9EllbEEZZNS1_14partition_implILS5_9ELb0ES3_jPlS8_PNS0_10empty_typeENS0_5tupleIJS8_S9_EEENSB_IJS8_SA_EEENS0_18inequality_wrapperIZN2at6native12_GLOBAL__N_124unique_dim_cuda_templateIiEESt5tupleIJNSF_6TensorESK_SK_EERKSK_lbbbEUlllE0_EEPmJS9_EEE10hipError_tPvRmT3_T4_T5_T6_T7_T9_mT8_P12ihipStream_tbDpT10_ENKUlT_T0_E_clISt17integral_constantIbLb0EES1A_EEDaS15_S16_EUlS15_E_NS1_11comp_targetILNS1_3genE8ELNS1_11target_archE1030ELNS1_3gpuE2ELNS1_3repE0EEENS1_30default_config_static_selectorELNS0_4arch9wavefront6targetE1EEEvT1_ ; -- Begin function _ZN7rocprim17ROCPRIM_400000_NS6detail17trampoline_kernelINS0_14default_configENS1_25partition_config_selectorILNS1_17partition_subalgoE9EllbEEZZNS1_14partition_implILS5_9ELb0ES3_jPlS8_PNS0_10empty_typeENS0_5tupleIJS8_S9_EEENSB_IJS8_SA_EEENS0_18inequality_wrapperIZN2at6native12_GLOBAL__N_124unique_dim_cuda_templateIiEESt5tupleIJNSF_6TensorESK_SK_EERKSK_lbbbEUlllE0_EEPmJS9_EEE10hipError_tPvRmT3_T4_T5_T6_T7_T9_mT8_P12ihipStream_tbDpT10_ENKUlT_T0_E_clISt17integral_constantIbLb0EES1A_EEDaS15_S16_EUlS15_E_NS1_11comp_targetILNS1_3genE8ELNS1_11target_archE1030ELNS1_3gpuE2ELNS1_3repE0EEENS1_30default_config_static_selectorELNS0_4arch9wavefront6targetE1EEEvT1_
	.p2align	8
	.type	_ZN7rocprim17ROCPRIM_400000_NS6detail17trampoline_kernelINS0_14default_configENS1_25partition_config_selectorILNS1_17partition_subalgoE9EllbEEZZNS1_14partition_implILS5_9ELb0ES3_jPlS8_PNS0_10empty_typeENS0_5tupleIJS8_S9_EEENSB_IJS8_SA_EEENS0_18inequality_wrapperIZN2at6native12_GLOBAL__N_124unique_dim_cuda_templateIiEESt5tupleIJNSF_6TensorESK_SK_EERKSK_lbbbEUlllE0_EEPmJS9_EEE10hipError_tPvRmT3_T4_T5_T6_T7_T9_mT8_P12ihipStream_tbDpT10_ENKUlT_T0_E_clISt17integral_constantIbLb0EES1A_EEDaS15_S16_EUlS15_E_NS1_11comp_targetILNS1_3genE8ELNS1_11target_archE1030ELNS1_3gpuE2ELNS1_3repE0EEENS1_30default_config_static_selectorELNS0_4arch9wavefront6targetE1EEEvT1_,@function
_ZN7rocprim17ROCPRIM_400000_NS6detail17trampoline_kernelINS0_14default_configENS1_25partition_config_selectorILNS1_17partition_subalgoE9EllbEEZZNS1_14partition_implILS5_9ELb0ES3_jPlS8_PNS0_10empty_typeENS0_5tupleIJS8_S9_EEENSB_IJS8_SA_EEENS0_18inequality_wrapperIZN2at6native12_GLOBAL__N_124unique_dim_cuda_templateIiEESt5tupleIJNSF_6TensorESK_SK_EERKSK_lbbbEUlllE0_EEPmJS9_EEE10hipError_tPvRmT3_T4_T5_T6_T7_T9_mT8_P12ihipStream_tbDpT10_ENKUlT_T0_E_clISt17integral_constantIbLb0EES1A_EEDaS15_S16_EUlS15_E_NS1_11comp_targetILNS1_3genE8ELNS1_11target_archE1030ELNS1_3gpuE2ELNS1_3repE0EEENS1_30default_config_static_selectorELNS0_4arch9wavefront6targetE1EEEvT1_: ; @_ZN7rocprim17ROCPRIM_400000_NS6detail17trampoline_kernelINS0_14default_configENS1_25partition_config_selectorILNS1_17partition_subalgoE9EllbEEZZNS1_14partition_implILS5_9ELb0ES3_jPlS8_PNS0_10empty_typeENS0_5tupleIJS8_S9_EEENSB_IJS8_SA_EEENS0_18inequality_wrapperIZN2at6native12_GLOBAL__N_124unique_dim_cuda_templateIiEESt5tupleIJNSF_6TensorESK_SK_EERKSK_lbbbEUlllE0_EEPmJS9_EEE10hipError_tPvRmT3_T4_T5_T6_T7_T9_mT8_P12ihipStream_tbDpT10_ENKUlT_T0_E_clISt17integral_constantIbLb0EES1A_EEDaS15_S16_EUlS15_E_NS1_11comp_targetILNS1_3genE8ELNS1_11target_archE1030ELNS1_3gpuE2ELNS1_3repE0EEENS1_30default_config_static_selectorELNS0_4arch9wavefront6targetE1EEEvT1_
; %bb.0:
	.section	.rodata,"a",@progbits
	.p2align	6, 0x0
	.amdhsa_kernel _ZN7rocprim17ROCPRIM_400000_NS6detail17trampoline_kernelINS0_14default_configENS1_25partition_config_selectorILNS1_17partition_subalgoE9EllbEEZZNS1_14partition_implILS5_9ELb0ES3_jPlS8_PNS0_10empty_typeENS0_5tupleIJS8_S9_EEENSB_IJS8_SA_EEENS0_18inequality_wrapperIZN2at6native12_GLOBAL__N_124unique_dim_cuda_templateIiEESt5tupleIJNSF_6TensorESK_SK_EERKSK_lbbbEUlllE0_EEPmJS9_EEE10hipError_tPvRmT3_T4_T5_T6_T7_T9_mT8_P12ihipStream_tbDpT10_ENKUlT_T0_E_clISt17integral_constantIbLb0EES1A_EEDaS15_S16_EUlS15_E_NS1_11comp_targetILNS1_3genE8ELNS1_11target_archE1030ELNS1_3gpuE2ELNS1_3repE0EEENS1_30default_config_static_selectorELNS0_4arch9wavefront6targetE1EEEvT1_
		.amdhsa_group_segment_fixed_size 0
		.amdhsa_private_segment_fixed_size 0
		.amdhsa_kernarg_size 120
		.amdhsa_user_sgpr_count 6
		.amdhsa_user_sgpr_private_segment_buffer 1
		.amdhsa_user_sgpr_dispatch_ptr 0
		.amdhsa_user_sgpr_queue_ptr 0
		.amdhsa_user_sgpr_kernarg_segment_ptr 1
		.amdhsa_user_sgpr_dispatch_id 0
		.amdhsa_user_sgpr_flat_scratch_init 0
		.amdhsa_user_sgpr_kernarg_preload_length 0
		.amdhsa_user_sgpr_kernarg_preload_offset 0
		.amdhsa_user_sgpr_private_segment_size 0
		.amdhsa_uses_dynamic_stack 0
		.amdhsa_system_sgpr_private_segment_wavefront_offset 0
		.amdhsa_system_sgpr_workgroup_id_x 1
		.amdhsa_system_sgpr_workgroup_id_y 0
		.amdhsa_system_sgpr_workgroup_id_z 0
		.amdhsa_system_sgpr_workgroup_info 0
		.amdhsa_system_vgpr_workitem_id 0
		.amdhsa_next_free_vgpr 1
		.amdhsa_next_free_sgpr 0
		.amdhsa_accum_offset 4
		.amdhsa_reserve_vcc 0
		.amdhsa_reserve_flat_scratch 0
		.amdhsa_float_round_mode_32 0
		.amdhsa_float_round_mode_16_64 0
		.amdhsa_float_denorm_mode_32 3
		.amdhsa_float_denorm_mode_16_64 3
		.amdhsa_dx10_clamp 1
		.amdhsa_ieee_mode 1
		.amdhsa_fp16_overflow 0
		.amdhsa_tg_split 0
		.amdhsa_exception_fp_ieee_invalid_op 0
		.amdhsa_exception_fp_denorm_src 0
		.amdhsa_exception_fp_ieee_div_zero 0
		.amdhsa_exception_fp_ieee_overflow 0
		.amdhsa_exception_fp_ieee_underflow 0
		.amdhsa_exception_fp_ieee_inexact 0
		.amdhsa_exception_int_div_zero 0
	.end_amdhsa_kernel
	.section	.text._ZN7rocprim17ROCPRIM_400000_NS6detail17trampoline_kernelINS0_14default_configENS1_25partition_config_selectorILNS1_17partition_subalgoE9EllbEEZZNS1_14partition_implILS5_9ELb0ES3_jPlS8_PNS0_10empty_typeENS0_5tupleIJS8_S9_EEENSB_IJS8_SA_EEENS0_18inequality_wrapperIZN2at6native12_GLOBAL__N_124unique_dim_cuda_templateIiEESt5tupleIJNSF_6TensorESK_SK_EERKSK_lbbbEUlllE0_EEPmJS9_EEE10hipError_tPvRmT3_T4_T5_T6_T7_T9_mT8_P12ihipStream_tbDpT10_ENKUlT_T0_E_clISt17integral_constantIbLb0EES1A_EEDaS15_S16_EUlS15_E_NS1_11comp_targetILNS1_3genE8ELNS1_11target_archE1030ELNS1_3gpuE2ELNS1_3repE0EEENS1_30default_config_static_selectorELNS0_4arch9wavefront6targetE1EEEvT1_,"axG",@progbits,_ZN7rocprim17ROCPRIM_400000_NS6detail17trampoline_kernelINS0_14default_configENS1_25partition_config_selectorILNS1_17partition_subalgoE9EllbEEZZNS1_14partition_implILS5_9ELb0ES3_jPlS8_PNS0_10empty_typeENS0_5tupleIJS8_S9_EEENSB_IJS8_SA_EEENS0_18inequality_wrapperIZN2at6native12_GLOBAL__N_124unique_dim_cuda_templateIiEESt5tupleIJNSF_6TensorESK_SK_EERKSK_lbbbEUlllE0_EEPmJS9_EEE10hipError_tPvRmT3_T4_T5_T6_T7_T9_mT8_P12ihipStream_tbDpT10_ENKUlT_T0_E_clISt17integral_constantIbLb0EES1A_EEDaS15_S16_EUlS15_E_NS1_11comp_targetILNS1_3genE8ELNS1_11target_archE1030ELNS1_3gpuE2ELNS1_3repE0EEENS1_30default_config_static_selectorELNS0_4arch9wavefront6targetE1EEEvT1_,comdat
.Lfunc_end480:
	.size	_ZN7rocprim17ROCPRIM_400000_NS6detail17trampoline_kernelINS0_14default_configENS1_25partition_config_selectorILNS1_17partition_subalgoE9EllbEEZZNS1_14partition_implILS5_9ELb0ES3_jPlS8_PNS0_10empty_typeENS0_5tupleIJS8_S9_EEENSB_IJS8_SA_EEENS0_18inequality_wrapperIZN2at6native12_GLOBAL__N_124unique_dim_cuda_templateIiEESt5tupleIJNSF_6TensorESK_SK_EERKSK_lbbbEUlllE0_EEPmJS9_EEE10hipError_tPvRmT3_T4_T5_T6_T7_T9_mT8_P12ihipStream_tbDpT10_ENKUlT_T0_E_clISt17integral_constantIbLb0EES1A_EEDaS15_S16_EUlS15_E_NS1_11comp_targetILNS1_3genE8ELNS1_11target_archE1030ELNS1_3gpuE2ELNS1_3repE0EEENS1_30default_config_static_selectorELNS0_4arch9wavefront6targetE1EEEvT1_, .Lfunc_end480-_ZN7rocprim17ROCPRIM_400000_NS6detail17trampoline_kernelINS0_14default_configENS1_25partition_config_selectorILNS1_17partition_subalgoE9EllbEEZZNS1_14partition_implILS5_9ELb0ES3_jPlS8_PNS0_10empty_typeENS0_5tupleIJS8_S9_EEENSB_IJS8_SA_EEENS0_18inequality_wrapperIZN2at6native12_GLOBAL__N_124unique_dim_cuda_templateIiEESt5tupleIJNSF_6TensorESK_SK_EERKSK_lbbbEUlllE0_EEPmJS9_EEE10hipError_tPvRmT3_T4_T5_T6_T7_T9_mT8_P12ihipStream_tbDpT10_ENKUlT_T0_E_clISt17integral_constantIbLb0EES1A_EEDaS15_S16_EUlS15_E_NS1_11comp_targetILNS1_3genE8ELNS1_11target_archE1030ELNS1_3gpuE2ELNS1_3repE0EEENS1_30default_config_static_selectorELNS0_4arch9wavefront6targetE1EEEvT1_
                                        ; -- End function
	.section	.AMDGPU.csdata,"",@progbits
; Kernel info:
; codeLenInByte = 0
; NumSgprs: 4
; NumVgprs: 0
; NumAgprs: 0
; TotalNumVgprs: 0
; ScratchSize: 0
; MemoryBound: 0
; FloatMode: 240
; IeeeMode: 1
; LDSByteSize: 0 bytes/workgroup (compile time only)
; SGPRBlocks: 0
; VGPRBlocks: 0
; NumSGPRsForWavesPerEU: 4
; NumVGPRsForWavesPerEU: 1
; AccumOffset: 4
; Occupancy: 8
; WaveLimiterHint : 0
; COMPUTE_PGM_RSRC2:SCRATCH_EN: 0
; COMPUTE_PGM_RSRC2:USER_SGPR: 6
; COMPUTE_PGM_RSRC2:TRAP_HANDLER: 0
; COMPUTE_PGM_RSRC2:TGID_X_EN: 1
; COMPUTE_PGM_RSRC2:TGID_Y_EN: 0
; COMPUTE_PGM_RSRC2:TGID_Z_EN: 0
; COMPUTE_PGM_RSRC2:TIDIG_COMP_CNT: 0
; COMPUTE_PGM_RSRC3_GFX90A:ACCUM_OFFSET: 0
; COMPUTE_PGM_RSRC3_GFX90A:TG_SPLIT: 0
	.section	.text._ZN7rocprim17ROCPRIM_400000_NS6detail17trampoline_kernelINS0_14default_configENS1_25partition_config_selectorILNS1_17partition_subalgoE9EllbEEZZNS1_14partition_implILS5_9ELb0ES3_jPlS8_PNS0_10empty_typeENS0_5tupleIJS8_S9_EEENSB_IJS8_SA_EEENS0_18inequality_wrapperIZN2at6native12_GLOBAL__N_124unique_dim_cuda_templateIiEESt5tupleIJNSF_6TensorESK_SK_EERKSK_lbbbEUlllE0_EEPmJS9_EEE10hipError_tPvRmT3_T4_T5_T6_T7_T9_mT8_P12ihipStream_tbDpT10_ENKUlT_T0_E_clISt17integral_constantIbLb1EES1A_EEDaS15_S16_EUlS15_E_NS1_11comp_targetILNS1_3genE0ELNS1_11target_archE4294967295ELNS1_3gpuE0ELNS1_3repE0EEENS1_30default_config_static_selectorELNS0_4arch9wavefront6targetE1EEEvT1_,"axG",@progbits,_ZN7rocprim17ROCPRIM_400000_NS6detail17trampoline_kernelINS0_14default_configENS1_25partition_config_selectorILNS1_17partition_subalgoE9EllbEEZZNS1_14partition_implILS5_9ELb0ES3_jPlS8_PNS0_10empty_typeENS0_5tupleIJS8_S9_EEENSB_IJS8_SA_EEENS0_18inequality_wrapperIZN2at6native12_GLOBAL__N_124unique_dim_cuda_templateIiEESt5tupleIJNSF_6TensorESK_SK_EERKSK_lbbbEUlllE0_EEPmJS9_EEE10hipError_tPvRmT3_T4_T5_T6_T7_T9_mT8_P12ihipStream_tbDpT10_ENKUlT_T0_E_clISt17integral_constantIbLb1EES1A_EEDaS15_S16_EUlS15_E_NS1_11comp_targetILNS1_3genE0ELNS1_11target_archE4294967295ELNS1_3gpuE0ELNS1_3repE0EEENS1_30default_config_static_selectorELNS0_4arch9wavefront6targetE1EEEvT1_,comdat
	.globl	_ZN7rocprim17ROCPRIM_400000_NS6detail17trampoline_kernelINS0_14default_configENS1_25partition_config_selectorILNS1_17partition_subalgoE9EllbEEZZNS1_14partition_implILS5_9ELb0ES3_jPlS8_PNS0_10empty_typeENS0_5tupleIJS8_S9_EEENSB_IJS8_SA_EEENS0_18inequality_wrapperIZN2at6native12_GLOBAL__N_124unique_dim_cuda_templateIiEESt5tupleIJNSF_6TensorESK_SK_EERKSK_lbbbEUlllE0_EEPmJS9_EEE10hipError_tPvRmT3_T4_T5_T6_T7_T9_mT8_P12ihipStream_tbDpT10_ENKUlT_T0_E_clISt17integral_constantIbLb1EES1A_EEDaS15_S16_EUlS15_E_NS1_11comp_targetILNS1_3genE0ELNS1_11target_archE4294967295ELNS1_3gpuE0ELNS1_3repE0EEENS1_30default_config_static_selectorELNS0_4arch9wavefront6targetE1EEEvT1_ ; -- Begin function _ZN7rocprim17ROCPRIM_400000_NS6detail17trampoline_kernelINS0_14default_configENS1_25partition_config_selectorILNS1_17partition_subalgoE9EllbEEZZNS1_14partition_implILS5_9ELb0ES3_jPlS8_PNS0_10empty_typeENS0_5tupleIJS8_S9_EEENSB_IJS8_SA_EEENS0_18inequality_wrapperIZN2at6native12_GLOBAL__N_124unique_dim_cuda_templateIiEESt5tupleIJNSF_6TensorESK_SK_EERKSK_lbbbEUlllE0_EEPmJS9_EEE10hipError_tPvRmT3_T4_T5_T6_T7_T9_mT8_P12ihipStream_tbDpT10_ENKUlT_T0_E_clISt17integral_constantIbLb1EES1A_EEDaS15_S16_EUlS15_E_NS1_11comp_targetILNS1_3genE0ELNS1_11target_archE4294967295ELNS1_3gpuE0ELNS1_3repE0EEENS1_30default_config_static_selectorELNS0_4arch9wavefront6targetE1EEEvT1_
	.p2align	8
	.type	_ZN7rocprim17ROCPRIM_400000_NS6detail17trampoline_kernelINS0_14default_configENS1_25partition_config_selectorILNS1_17partition_subalgoE9EllbEEZZNS1_14partition_implILS5_9ELb0ES3_jPlS8_PNS0_10empty_typeENS0_5tupleIJS8_S9_EEENSB_IJS8_SA_EEENS0_18inequality_wrapperIZN2at6native12_GLOBAL__N_124unique_dim_cuda_templateIiEESt5tupleIJNSF_6TensorESK_SK_EERKSK_lbbbEUlllE0_EEPmJS9_EEE10hipError_tPvRmT3_T4_T5_T6_T7_T9_mT8_P12ihipStream_tbDpT10_ENKUlT_T0_E_clISt17integral_constantIbLb1EES1A_EEDaS15_S16_EUlS15_E_NS1_11comp_targetILNS1_3genE0ELNS1_11target_archE4294967295ELNS1_3gpuE0ELNS1_3repE0EEENS1_30default_config_static_selectorELNS0_4arch9wavefront6targetE1EEEvT1_,@function
_ZN7rocprim17ROCPRIM_400000_NS6detail17trampoline_kernelINS0_14default_configENS1_25partition_config_selectorILNS1_17partition_subalgoE9EllbEEZZNS1_14partition_implILS5_9ELb0ES3_jPlS8_PNS0_10empty_typeENS0_5tupleIJS8_S9_EEENSB_IJS8_SA_EEENS0_18inequality_wrapperIZN2at6native12_GLOBAL__N_124unique_dim_cuda_templateIiEESt5tupleIJNSF_6TensorESK_SK_EERKSK_lbbbEUlllE0_EEPmJS9_EEE10hipError_tPvRmT3_T4_T5_T6_T7_T9_mT8_P12ihipStream_tbDpT10_ENKUlT_T0_E_clISt17integral_constantIbLb1EES1A_EEDaS15_S16_EUlS15_E_NS1_11comp_targetILNS1_3genE0ELNS1_11target_archE4294967295ELNS1_3gpuE0ELNS1_3repE0EEENS1_30default_config_static_selectorELNS0_4arch9wavefront6targetE1EEEvT1_: ; @_ZN7rocprim17ROCPRIM_400000_NS6detail17trampoline_kernelINS0_14default_configENS1_25partition_config_selectorILNS1_17partition_subalgoE9EllbEEZZNS1_14partition_implILS5_9ELb0ES3_jPlS8_PNS0_10empty_typeENS0_5tupleIJS8_S9_EEENSB_IJS8_SA_EEENS0_18inequality_wrapperIZN2at6native12_GLOBAL__N_124unique_dim_cuda_templateIiEESt5tupleIJNSF_6TensorESK_SK_EERKSK_lbbbEUlllE0_EEPmJS9_EEE10hipError_tPvRmT3_T4_T5_T6_T7_T9_mT8_P12ihipStream_tbDpT10_ENKUlT_T0_E_clISt17integral_constantIbLb1EES1A_EEDaS15_S16_EUlS15_E_NS1_11comp_targetILNS1_3genE0ELNS1_11target_archE4294967295ELNS1_3gpuE0ELNS1_3repE0EEENS1_30default_config_static_selectorELNS0_4arch9wavefront6targetE1EEEvT1_
; %bb.0:
	.section	.rodata,"a",@progbits
	.p2align	6, 0x0
	.amdhsa_kernel _ZN7rocprim17ROCPRIM_400000_NS6detail17trampoline_kernelINS0_14default_configENS1_25partition_config_selectorILNS1_17partition_subalgoE9EllbEEZZNS1_14partition_implILS5_9ELb0ES3_jPlS8_PNS0_10empty_typeENS0_5tupleIJS8_S9_EEENSB_IJS8_SA_EEENS0_18inequality_wrapperIZN2at6native12_GLOBAL__N_124unique_dim_cuda_templateIiEESt5tupleIJNSF_6TensorESK_SK_EERKSK_lbbbEUlllE0_EEPmJS9_EEE10hipError_tPvRmT3_T4_T5_T6_T7_T9_mT8_P12ihipStream_tbDpT10_ENKUlT_T0_E_clISt17integral_constantIbLb1EES1A_EEDaS15_S16_EUlS15_E_NS1_11comp_targetILNS1_3genE0ELNS1_11target_archE4294967295ELNS1_3gpuE0ELNS1_3repE0EEENS1_30default_config_static_selectorELNS0_4arch9wavefront6targetE1EEEvT1_
		.amdhsa_group_segment_fixed_size 0
		.amdhsa_private_segment_fixed_size 0
		.amdhsa_kernarg_size 136
		.amdhsa_user_sgpr_count 6
		.amdhsa_user_sgpr_private_segment_buffer 1
		.amdhsa_user_sgpr_dispatch_ptr 0
		.amdhsa_user_sgpr_queue_ptr 0
		.amdhsa_user_sgpr_kernarg_segment_ptr 1
		.amdhsa_user_sgpr_dispatch_id 0
		.amdhsa_user_sgpr_flat_scratch_init 0
		.amdhsa_user_sgpr_kernarg_preload_length 0
		.amdhsa_user_sgpr_kernarg_preload_offset 0
		.amdhsa_user_sgpr_private_segment_size 0
		.amdhsa_uses_dynamic_stack 0
		.amdhsa_system_sgpr_private_segment_wavefront_offset 0
		.amdhsa_system_sgpr_workgroup_id_x 1
		.amdhsa_system_sgpr_workgroup_id_y 0
		.amdhsa_system_sgpr_workgroup_id_z 0
		.amdhsa_system_sgpr_workgroup_info 0
		.amdhsa_system_vgpr_workitem_id 0
		.amdhsa_next_free_vgpr 1
		.amdhsa_next_free_sgpr 0
		.amdhsa_accum_offset 4
		.amdhsa_reserve_vcc 0
		.amdhsa_reserve_flat_scratch 0
		.amdhsa_float_round_mode_32 0
		.amdhsa_float_round_mode_16_64 0
		.amdhsa_float_denorm_mode_32 3
		.amdhsa_float_denorm_mode_16_64 3
		.amdhsa_dx10_clamp 1
		.amdhsa_ieee_mode 1
		.amdhsa_fp16_overflow 0
		.amdhsa_tg_split 0
		.amdhsa_exception_fp_ieee_invalid_op 0
		.amdhsa_exception_fp_denorm_src 0
		.amdhsa_exception_fp_ieee_div_zero 0
		.amdhsa_exception_fp_ieee_overflow 0
		.amdhsa_exception_fp_ieee_underflow 0
		.amdhsa_exception_fp_ieee_inexact 0
		.amdhsa_exception_int_div_zero 0
	.end_amdhsa_kernel
	.section	.text._ZN7rocprim17ROCPRIM_400000_NS6detail17trampoline_kernelINS0_14default_configENS1_25partition_config_selectorILNS1_17partition_subalgoE9EllbEEZZNS1_14partition_implILS5_9ELb0ES3_jPlS8_PNS0_10empty_typeENS0_5tupleIJS8_S9_EEENSB_IJS8_SA_EEENS0_18inequality_wrapperIZN2at6native12_GLOBAL__N_124unique_dim_cuda_templateIiEESt5tupleIJNSF_6TensorESK_SK_EERKSK_lbbbEUlllE0_EEPmJS9_EEE10hipError_tPvRmT3_T4_T5_T6_T7_T9_mT8_P12ihipStream_tbDpT10_ENKUlT_T0_E_clISt17integral_constantIbLb1EES1A_EEDaS15_S16_EUlS15_E_NS1_11comp_targetILNS1_3genE0ELNS1_11target_archE4294967295ELNS1_3gpuE0ELNS1_3repE0EEENS1_30default_config_static_selectorELNS0_4arch9wavefront6targetE1EEEvT1_,"axG",@progbits,_ZN7rocprim17ROCPRIM_400000_NS6detail17trampoline_kernelINS0_14default_configENS1_25partition_config_selectorILNS1_17partition_subalgoE9EllbEEZZNS1_14partition_implILS5_9ELb0ES3_jPlS8_PNS0_10empty_typeENS0_5tupleIJS8_S9_EEENSB_IJS8_SA_EEENS0_18inequality_wrapperIZN2at6native12_GLOBAL__N_124unique_dim_cuda_templateIiEESt5tupleIJNSF_6TensorESK_SK_EERKSK_lbbbEUlllE0_EEPmJS9_EEE10hipError_tPvRmT3_T4_T5_T6_T7_T9_mT8_P12ihipStream_tbDpT10_ENKUlT_T0_E_clISt17integral_constantIbLb1EES1A_EEDaS15_S16_EUlS15_E_NS1_11comp_targetILNS1_3genE0ELNS1_11target_archE4294967295ELNS1_3gpuE0ELNS1_3repE0EEENS1_30default_config_static_selectorELNS0_4arch9wavefront6targetE1EEEvT1_,comdat
.Lfunc_end481:
	.size	_ZN7rocprim17ROCPRIM_400000_NS6detail17trampoline_kernelINS0_14default_configENS1_25partition_config_selectorILNS1_17partition_subalgoE9EllbEEZZNS1_14partition_implILS5_9ELb0ES3_jPlS8_PNS0_10empty_typeENS0_5tupleIJS8_S9_EEENSB_IJS8_SA_EEENS0_18inequality_wrapperIZN2at6native12_GLOBAL__N_124unique_dim_cuda_templateIiEESt5tupleIJNSF_6TensorESK_SK_EERKSK_lbbbEUlllE0_EEPmJS9_EEE10hipError_tPvRmT3_T4_T5_T6_T7_T9_mT8_P12ihipStream_tbDpT10_ENKUlT_T0_E_clISt17integral_constantIbLb1EES1A_EEDaS15_S16_EUlS15_E_NS1_11comp_targetILNS1_3genE0ELNS1_11target_archE4294967295ELNS1_3gpuE0ELNS1_3repE0EEENS1_30default_config_static_selectorELNS0_4arch9wavefront6targetE1EEEvT1_, .Lfunc_end481-_ZN7rocprim17ROCPRIM_400000_NS6detail17trampoline_kernelINS0_14default_configENS1_25partition_config_selectorILNS1_17partition_subalgoE9EllbEEZZNS1_14partition_implILS5_9ELb0ES3_jPlS8_PNS0_10empty_typeENS0_5tupleIJS8_S9_EEENSB_IJS8_SA_EEENS0_18inequality_wrapperIZN2at6native12_GLOBAL__N_124unique_dim_cuda_templateIiEESt5tupleIJNSF_6TensorESK_SK_EERKSK_lbbbEUlllE0_EEPmJS9_EEE10hipError_tPvRmT3_T4_T5_T6_T7_T9_mT8_P12ihipStream_tbDpT10_ENKUlT_T0_E_clISt17integral_constantIbLb1EES1A_EEDaS15_S16_EUlS15_E_NS1_11comp_targetILNS1_3genE0ELNS1_11target_archE4294967295ELNS1_3gpuE0ELNS1_3repE0EEENS1_30default_config_static_selectorELNS0_4arch9wavefront6targetE1EEEvT1_
                                        ; -- End function
	.section	.AMDGPU.csdata,"",@progbits
; Kernel info:
; codeLenInByte = 0
; NumSgprs: 4
; NumVgprs: 0
; NumAgprs: 0
; TotalNumVgprs: 0
; ScratchSize: 0
; MemoryBound: 0
; FloatMode: 240
; IeeeMode: 1
; LDSByteSize: 0 bytes/workgroup (compile time only)
; SGPRBlocks: 0
; VGPRBlocks: 0
; NumSGPRsForWavesPerEU: 4
; NumVGPRsForWavesPerEU: 1
; AccumOffset: 4
; Occupancy: 8
; WaveLimiterHint : 0
; COMPUTE_PGM_RSRC2:SCRATCH_EN: 0
; COMPUTE_PGM_RSRC2:USER_SGPR: 6
; COMPUTE_PGM_RSRC2:TRAP_HANDLER: 0
; COMPUTE_PGM_RSRC2:TGID_X_EN: 1
; COMPUTE_PGM_RSRC2:TGID_Y_EN: 0
; COMPUTE_PGM_RSRC2:TGID_Z_EN: 0
; COMPUTE_PGM_RSRC2:TIDIG_COMP_CNT: 0
; COMPUTE_PGM_RSRC3_GFX90A:ACCUM_OFFSET: 0
; COMPUTE_PGM_RSRC3_GFX90A:TG_SPLIT: 0
	.section	.text._ZN7rocprim17ROCPRIM_400000_NS6detail17trampoline_kernelINS0_14default_configENS1_25partition_config_selectorILNS1_17partition_subalgoE9EllbEEZZNS1_14partition_implILS5_9ELb0ES3_jPlS8_PNS0_10empty_typeENS0_5tupleIJS8_S9_EEENSB_IJS8_SA_EEENS0_18inequality_wrapperIZN2at6native12_GLOBAL__N_124unique_dim_cuda_templateIiEESt5tupleIJNSF_6TensorESK_SK_EERKSK_lbbbEUlllE0_EEPmJS9_EEE10hipError_tPvRmT3_T4_T5_T6_T7_T9_mT8_P12ihipStream_tbDpT10_ENKUlT_T0_E_clISt17integral_constantIbLb1EES1A_EEDaS15_S16_EUlS15_E_NS1_11comp_targetILNS1_3genE5ELNS1_11target_archE942ELNS1_3gpuE9ELNS1_3repE0EEENS1_30default_config_static_selectorELNS0_4arch9wavefront6targetE1EEEvT1_,"axG",@progbits,_ZN7rocprim17ROCPRIM_400000_NS6detail17trampoline_kernelINS0_14default_configENS1_25partition_config_selectorILNS1_17partition_subalgoE9EllbEEZZNS1_14partition_implILS5_9ELb0ES3_jPlS8_PNS0_10empty_typeENS0_5tupleIJS8_S9_EEENSB_IJS8_SA_EEENS0_18inequality_wrapperIZN2at6native12_GLOBAL__N_124unique_dim_cuda_templateIiEESt5tupleIJNSF_6TensorESK_SK_EERKSK_lbbbEUlllE0_EEPmJS9_EEE10hipError_tPvRmT3_T4_T5_T6_T7_T9_mT8_P12ihipStream_tbDpT10_ENKUlT_T0_E_clISt17integral_constantIbLb1EES1A_EEDaS15_S16_EUlS15_E_NS1_11comp_targetILNS1_3genE5ELNS1_11target_archE942ELNS1_3gpuE9ELNS1_3repE0EEENS1_30default_config_static_selectorELNS0_4arch9wavefront6targetE1EEEvT1_,comdat
	.globl	_ZN7rocprim17ROCPRIM_400000_NS6detail17trampoline_kernelINS0_14default_configENS1_25partition_config_selectorILNS1_17partition_subalgoE9EllbEEZZNS1_14partition_implILS5_9ELb0ES3_jPlS8_PNS0_10empty_typeENS0_5tupleIJS8_S9_EEENSB_IJS8_SA_EEENS0_18inequality_wrapperIZN2at6native12_GLOBAL__N_124unique_dim_cuda_templateIiEESt5tupleIJNSF_6TensorESK_SK_EERKSK_lbbbEUlllE0_EEPmJS9_EEE10hipError_tPvRmT3_T4_T5_T6_T7_T9_mT8_P12ihipStream_tbDpT10_ENKUlT_T0_E_clISt17integral_constantIbLb1EES1A_EEDaS15_S16_EUlS15_E_NS1_11comp_targetILNS1_3genE5ELNS1_11target_archE942ELNS1_3gpuE9ELNS1_3repE0EEENS1_30default_config_static_selectorELNS0_4arch9wavefront6targetE1EEEvT1_ ; -- Begin function _ZN7rocprim17ROCPRIM_400000_NS6detail17trampoline_kernelINS0_14default_configENS1_25partition_config_selectorILNS1_17partition_subalgoE9EllbEEZZNS1_14partition_implILS5_9ELb0ES3_jPlS8_PNS0_10empty_typeENS0_5tupleIJS8_S9_EEENSB_IJS8_SA_EEENS0_18inequality_wrapperIZN2at6native12_GLOBAL__N_124unique_dim_cuda_templateIiEESt5tupleIJNSF_6TensorESK_SK_EERKSK_lbbbEUlllE0_EEPmJS9_EEE10hipError_tPvRmT3_T4_T5_T6_T7_T9_mT8_P12ihipStream_tbDpT10_ENKUlT_T0_E_clISt17integral_constantIbLb1EES1A_EEDaS15_S16_EUlS15_E_NS1_11comp_targetILNS1_3genE5ELNS1_11target_archE942ELNS1_3gpuE9ELNS1_3repE0EEENS1_30default_config_static_selectorELNS0_4arch9wavefront6targetE1EEEvT1_
	.p2align	8
	.type	_ZN7rocprim17ROCPRIM_400000_NS6detail17trampoline_kernelINS0_14default_configENS1_25partition_config_selectorILNS1_17partition_subalgoE9EllbEEZZNS1_14partition_implILS5_9ELb0ES3_jPlS8_PNS0_10empty_typeENS0_5tupleIJS8_S9_EEENSB_IJS8_SA_EEENS0_18inequality_wrapperIZN2at6native12_GLOBAL__N_124unique_dim_cuda_templateIiEESt5tupleIJNSF_6TensorESK_SK_EERKSK_lbbbEUlllE0_EEPmJS9_EEE10hipError_tPvRmT3_T4_T5_T6_T7_T9_mT8_P12ihipStream_tbDpT10_ENKUlT_T0_E_clISt17integral_constantIbLb1EES1A_EEDaS15_S16_EUlS15_E_NS1_11comp_targetILNS1_3genE5ELNS1_11target_archE942ELNS1_3gpuE9ELNS1_3repE0EEENS1_30default_config_static_selectorELNS0_4arch9wavefront6targetE1EEEvT1_,@function
_ZN7rocprim17ROCPRIM_400000_NS6detail17trampoline_kernelINS0_14default_configENS1_25partition_config_selectorILNS1_17partition_subalgoE9EllbEEZZNS1_14partition_implILS5_9ELb0ES3_jPlS8_PNS0_10empty_typeENS0_5tupleIJS8_S9_EEENSB_IJS8_SA_EEENS0_18inequality_wrapperIZN2at6native12_GLOBAL__N_124unique_dim_cuda_templateIiEESt5tupleIJNSF_6TensorESK_SK_EERKSK_lbbbEUlllE0_EEPmJS9_EEE10hipError_tPvRmT3_T4_T5_T6_T7_T9_mT8_P12ihipStream_tbDpT10_ENKUlT_T0_E_clISt17integral_constantIbLb1EES1A_EEDaS15_S16_EUlS15_E_NS1_11comp_targetILNS1_3genE5ELNS1_11target_archE942ELNS1_3gpuE9ELNS1_3repE0EEENS1_30default_config_static_selectorELNS0_4arch9wavefront6targetE1EEEvT1_: ; @_ZN7rocprim17ROCPRIM_400000_NS6detail17trampoline_kernelINS0_14default_configENS1_25partition_config_selectorILNS1_17partition_subalgoE9EllbEEZZNS1_14partition_implILS5_9ELb0ES3_jPlS8_PNS0_10empty_typeENS0_5tupleIJS8_S9_EEENSB_IJS8_SA_EEENS0_18inequality_wrapperIZN2at6native12_GLOBAL__N_124unique_dim_cuda_templateIiEESt5tupleIJNSF_6TensorESK_SK_EERKSK_lbbbEUlllE0_EEPmJS9_EEE10hipError_tPvRmT3_T4_T5_T6_T7_T9_mT8_P12ihipStream_tbDpT10_ENKUlT_T0_E_clISt17integral_constantIbLb1EES1A_EEDaS15_S16_EUlS15_E_NS1_11comp_targetILNS1_3genE5ELNS1_11target_archE942ELNS1_3gpuE9ELNS1_3repE0EEENS1_30default_config_static_selectorELNS0_4arch9wavefront6targetE1EEEvT1_
; %bb.0:
	.section	.rodata,"a",@progbits
	.p2align	6, 0x0
	.amdhsa_kernel _ZN7rocprim17ROCPRIM_400000_NS6detail17trampoline_kernelINS0_14default_configENS1_25partition_config_selectorILNS1_17partition_subalgoE9EllbEEZZNS1_14partition_implILS5_9ELb0ES3_jPlS8_PNS0_10empty_typeENS0_5tupleIJS8_S9_EEENSB_IJS8_SA_EEENS0_18inequality_wrapperIZN2at6native12_GLOBAL__N_124unique_dim_cuda_templateIiEESt5tupleIJNSF_6TensorESK_SK_EERKSK_lbbbEUlllE0_EEPmJS9_EEE10hipError_tPvRmT3_T4_T5_T6_T7_T9_mT8_P12ihipStream_tbDpT10_ENKUlT_T0_E_clISt17integral_constantIbLb1EES1A_EEDaS15_S16_EUlS15_E_NS1_11comp_targetILNS1_3genE5ELNS1_11target_archE942ELNS1_3gpuE9ELNS1_3repE0EEENS1_30default_config_static_selectorELNS0_4arch9wavefront6targetE1EEEvT1_
		.amdhsa_group_segment_fixed_size 0
		.amdhsa_private_segment_fixed_size 0
		.amdhsa_kernarg_size 136
		.amdhsa_user_sgpr_count 6
		.amdhsa_user_sgpr_private_segment_buffer 1
		.amdhsa_user_sgpr_dispatch_ptr 0
		.amdhsa_user_sgpr_queue_ptr 0
		.amdhsa_user_sgpr_kernarg_segment_ptr 1
		.amdhsa_user_sgpr_dispatch_id 0
		.amdhsa_user_sgpr_flat_scratch_init 0
		.amdhsa_user_sgpr_kernarg_preload_length 0
		.amdhsa_user_sgpr_kernarg_preload_offset 0
		.amdhsa_user_sgpr_private_segment_size 0
		.amdhsa_uses_dynamic_stack 0
		.amdhsa_system_sgpr_private_segment_wavefront_offset 0
		.amdhsa_system_sgpr_workgroup_id_x 1
		.amdhsa_system_sgpr_workgroup_id_y 0
		.amdhsa_system_sgpr_workgroup_id_z 0
		.amdhsa_system_sgpr_workgroup_info 0
		.amdhsa_system_vgpr_workitem_id 0
		.amdhsa_next_free_vgpr 1
		.amdhsa_next_free_sgpr 0
		.amdhsa_accum_offset 4
		.amdhsa_reserve_vcc 0
		.amdhsa_reserve_flat_scratch 0
		.amdhsa_float_round_mode_32 0
		.amdhsa_float_round_mode_16_64 0
		.amdhsa_float_denorm_mode_32 3
		.amdhsa_float_denorm_mode_16_64 3
		.amdhsa_dx10_clamp 1
		.amdhsa_ieee_mode 1
		.amdhsa_fp16_overflow 0
		.amdhsa_tg_split 0
		.amdhsa_exception_fp_ieee_invalid_op 0
		.amdhsa_exception_fp_denorm_src 0
		.amdhsa_exception_fp_ieee_div_zero 0
		.amdhsa_exception_fp_ieee_overflow 0
		.amdhsa_exception_fp_ieee_underflow 0
		.amdhsa_exception_fp_ieee_inexact 0
		.amdhsa_exception_int_div_zero 0
	.end_amdhsa_kernel
	.section	.text._ZN7rocprim17ROCPRIM_400000_NS6detail17trampoline_kernelINS0_14default_configENS1_25partition_config_selectorILNS1_17partition_subalgoE9EllbEEZZNS1_14partition_implILS5_9ELb0ES3_jPlS8_PNS0_10empty_typeENS0_5tupleIJS8_S9_EEENSB_IJS8_SA_EEENS0_18inequality_wrapperIZN2at6native12_GLOBAL__N_124unique_dim_cuda_templateIiEESt5tupleIJNSF_6TensorESK_SK_EERKSK_lbbbEUlllE0_EEPmJS9_EEE10hipError_tPvRmT3_T4_T5_T6_T7_T9_mT8_P12ihipStream_tbDpT10_ENKUlT_T0_E_clISt17integral_constantIbLb1EES1A_EEDaS15_S16_EUlS15_E_NS1_11comp_targetILNS1_3genE5ELNS1_11target_archE942ELNS1_3gpuE9ELNS1_3repE0EEENS1_30default_config_static_selectorELNS0_4arch9wavefront6targetE1EEEvT1_,"axG",@progbits,_ZN7rocprim17ROCPRIM_400000_NS6detail17trampoline_kernelINS0_14default_configENS1_25partition_config_selectorILNS1_17partition_subalgoE9EllbEEZZNS1_14partition_implILS5_9ELb0ES3_jPlS8_PNS0_10empty_typeENS0_5tupleIJS8_S9_EEENSB_IJS8_SA_EEENS0_18inequality_wrapperIZN2at6native12_GLOBAL__N_124unique_dim_cuda_templateIiEESt5tupleIJNSF_6TensorESK_SK_EERKSK_lbbbEUlllE0_EEPmJS9_EEE10hipError_tPvRmT3_T4_T5_T6_T7_T9_mT8_P12ihipStream_tbDpT10_ENKUlT_T0_E_clISt17integral_constantIbLb1EES1A_EEDaS15_S16_EUlS15_E_NS1_11comp_targetILNS1_3genE5ELNS1_11target_archE942ELNS1_3gpuE9ELNS1_3repE0EEENS1_30default_config_static_selectorELNS0_4arch9wavefront6targetE1EEEvT1_,comdat
.Lfunc_end482:
	.size	_ZN7rocprim17ROCPRIM_400000_NS6detail17trampoline_kernelINS0_14default_configENS1_25partition_config_selectorILNS1_17partition_subalgoE9EllbEEZZNS1_14partition_implILS5_9ELb0ES3_jPlS8_PNS0_10empty_typeENS0_5tupleIJS8_S9_EEENSB_IJS8_SA_EEENS0_18inequality_wrapperIZN2at6native12_GLOBAL__N_124unique_dim_cuda_templateIiEESt5tupleIJNSF_6TensorESK_SK_EERKSK_lbbbEUlllE0_EEPmJS9_EEE10hipError_tPvRmT3_T4_T5_T6_T7_T9_mT8_P12ihipStream_tbDpT10_ENKUlT_T0_E_clISt17integral_constantIbLb1EES1A_EEDaS15_S16_EUlS15_E_NS1_11comp_targetILNS1_3genE5ELNS1_11target_archE942ELNS1_3gpuE9ELNS1_3repE0EEENS1_30default_config_static_selectorELNS0_4arch9wavefront6targetE1EEEvT1_, .Lfunc_end482-_ZN7rocprim17ROCPRIM_400000_NS6detail17trampoline_kernelINS0_14default_configENS1_25partition_config_selectorILNS1_17partition_subalgoE9EllbEEZZNS1_14partition_implILS5_9ELb0ES3_jPlS8_PNS0_10empty_typeENS0_5tupleIJS8_S9_EEENSB_IJS8_SA_EEENS0_18inequality_wrapperIZN2at6native12_GLOBAL__N_124unique_dim_cuda_templateIiEESt5tupleIJNSF_6TensorESK_SK_EERKSK_lbbbEUlllE0_EEPmJS9_EEE10hipError_tPvRmT3_T4_T5_T6_T7_T9_mT8_P12ihipStream_tbDpT10_ENKUlT_T0_E_clISt17integral_constantIbLb1EES1A_EEDaS15_S16_EUlS15_E_NS1_11comp_targetILNS1_3genE5ELNS1_11target_archE942ELNS1_3gpuE9ELNS1_3repE0EEENS1_30default_config_static_selectorELNS0_4arch9wavefront6targetE1EEEvT1_
                                        ; -- End function
	.section	.AMDGPU.csdata,"",@progbits
; Kernel info:
; codeLenInByte = 0
; NumSgprs: 4
; NumVgprs: 0
; NumAgprs: 0
; TotalNumVgprs: 0
; ScratchSize: 0
; MemoryBound: 0
; FloatMode: 240
; IeeeMode: 1
; LDSByteSize: 0 bytes/workgroup (compile time only)
; SGPRBlocks: 0
; VGPRBlocks: 0
; NumSGPRsForWavesPerEU: 4
; NumVGPRsForWavesPerEU: 1
; AccumOffset: 4
; Occupancy: 8
; WaveLimiterHint : 0
; COMPUTE_PGM_RSRC2:SCRATCH_EN: 0
; COMPUTE_PGM_RSRC2:USER_SGPR: 6
; COMPUTE_PGM_RSRC2:TRAP_HANDLER: 0
; COMPUTE_PGM_RSRC2:TGID_X_EN: 1
; COMPUTE_PGM_RSRC2:TGID_Y_EN: 0
; COMPUTE_PGM_RSRC2:TGID_Z_EN: 0
; COMPUTE_PGM_RSRC2:TIDIG_COMP_CNT: 0
; COMPUTE_PGM_RSRC3_GFX90A:ACCUM_OFFSET: 0
; COMPUTE_PGM_RSRC3_GFX90A:TG_SPLIT: 0
	.section	.text._ZN7rocprim17ROCPRIM_400000_NS6detail17trampoline_kernelINS0_14default_configENS1_25partition_config_selectorILNS1_17partition_subalgoE9EllbEEZZNS1_14partition_implILS5_9ELb0ES3_jPlS8_PNS0_10empty_typeENS0_5tupleIJS8_S9_EEENSB_IJS8_SA_EEENS0_18inequality_wrapperIZN2at6native12_GLOBAL__N_124unique_dim_cuda_templateIiEESt5tupleIJNSF_6TensorESK_SK_EERKSK_lbbbEUlllE0_EEPmJS9_EEE10hipError_tPvRmT3_T4_T5_T6_T7_T9_mT8_P12ihipStream_tbDpT10_ENKUlT_T0_E_clISt17integral_constantIbLb1EES1A_EEDaS15_S16_EUlS15_E_NS1_11comp_targetILNS1_3genE4ELNS1_11target_archE910ELNS1_3gpuE8ELNS1_3repE0EEENS1_30default_config_static_selectorELNS0_4arch9wavefront6targetE1EEEvT1_,"axG",@progbits,_ZN7rocprim17ROCPRIM_400000_NS6detail17trampoline_kernelINS0_14default_configENS1_25partition_config_selectorILNS1_17partition_subalgoE9EllbEEZZNS1_14partition_implILS5_9ELb0ES3_jPlS8_PNS0_10empty_typeENS0_5tupleIJS8_S9_EEENSB_IJS8_SA_EEENS0_18inequality_wrapperIZN2at6native12_GLOBAL__N_124unique_dim_cuda_templateIiEESt5tupleIJNSF_6TensorESK_SK_EERKSK_lbbbEUlllE0_EEPmJS9_EEE10hipError_tPvRmT3_T4_T5_T6_T7_T9_mT8_P12ihipStream_tbDpT10_ENKUlT_T0_E_clISt17integral_constantIbLb1EES1A_EEDaS15_S16_EUlS15_E_NS1_11comp_targetILNS1_3genE4ELNS1_11target_archE910ELNS1_3gpuE8ELNS1_3repE0EEENS1_30default_config_static_selectorELNS0_4arch9wavefront6targetE1EEEvT1_,comdat
	.globl	_ZN7rocprim17ROCPRIM_400000_NS6detail17trampoline_kernelINS0_14default_configENS1_25partition_config_selectorILNS1_17partition_subalgoE9EllbEEZZNS1_14partition_implILS5_9ELb0ES3_jPlS8_PNS0_10empty_typeENS0_5tupleIJS8_S9_EEENSB_IJS8_SA_EEENS0_18inequality_wrapperIZN2at6native12_GLOBAL__N_124unique_dim_cuda_templateIiEESt5tupleIJNSF_6TensorESK_SK_EERKSK_lbbbEUlllE0_EEPmJS9_EEE10hipError_tPvRmT3_T4_T5_T6_T7_T9_mT8_P12ihipStream_tbDpT10_ENKUlT_T0_E_clISt17integral_constantIbLb1EES1A_EEDaS15_S16_EUlS15_E_NS1_11comp_targetILNS1_3genE4ELNS1_11target_archE910ELNS1_3gpuE8ELNS1_3repE0EEENS1_30default_config_static_selectorELNS0_4arch9wavefront6targetE1EEEvT1_ ; -- Begin function _ZN7rocprim17ROCPRIM_400000_NS6detail17trampoline_kernelINS0_14default_configENS1_25partition_config_selectorILNS1_17partition_subalgoE9EllbEEZZNS1_14partition_implILS5_9ELb0ES3_jPlS8_PNS0_10empty_typeENS0_5tupleIJS8_S9_EEENSB_IJS8_SA_EEENS0_18inequality_wrapperIZN2at6native12_GLOBAL__N_124unique_dim_cuda_templateIiEESt5tupleIJNSF_6TensorESK_SK_EERKSK_lbbbEUlllE0_EEPmJS9_EEE10hipError_tPvRmT3_T4_T5_T6_T7_T9_mT8_P12ihipStream_tbDpT10_ENKUlT_T0_E_clISt17integral_constantIbLb1EES1A_EEDaS15_S16_EUlS15_E_NS1_11comp_targetILNS1_3genE4ELNS1_11target_archE910ELNS1_3gpuE8ELNS1_3repE0EEENS1_30default_config_static_selectorELNS0_4arch9wavefront6targetE1EEEvT1_
	.p2align	8
	.type	_ZN7rocprim17ROCPRIM_400000_NS6detail17trampoline_kernelINS0_14default_configENS1_25partition_config_selectorILNS1_17partition_subalgoE9EllbEEZZNS1_14partition_implILS5_9ELb0ES3_jPlS8_PNS0_10empty_typeENS0_5tupleIJS8_S9_EEENSB_IJS8_SA_EEENS0_18inequality_wrapperIZN2at6native12_GLOBAL__N_124unique_dim_cuda_templateIiEESt5tupleIJNSF_6TensorESK_SK_EERKSK_lbbbEUlllE0_EEPmJS9_EEE10hipError_tPvRmT3_T4_T5_T6_T7_T9_mT8_P12ihipStream_tbDpT10_ENKUlT_T0_E_clISt17integral_constantIbLb1EES1A_EEDaS15_S16_EUlS15_E_NS1_11comp_targetILNS1_3genE4ELNS1_11target_archE910ELNS1_3gpuE8ELNS1_3repE0EEENS1_30default_config_static_selectorELNS0_4arch9wavefront6targetE1EEEvT1_,@function
_ZN7rocprim17ROCPRIM_400000_NS6detail17trampoline_kernelINS0_14default_configENS1_25partition_config_selectorILNS1_17partition_subalgoE9EllbEEZZNS1_14partition_implILS5_9ELb0ES3_jPlS8_PNS0_10empty_typeENS0_5tupleIJS8_S9_EEENSB_IJS8_SA_EEENS0_18inequality_wrapperIZN2at6native12_GLOBAL__N_124unique_dim_cuda_templateIiEESt5tupleIJNSF_6TensorESK_SK_EERKSK_lbbbEUlllE0_EEPmJS9_EEE10hipError_tPvRmT3_T4_T5_T6_T7_T9_mT8_P12ihipStream_tbDpT10_ENKUlT_T0_E_clISt17integral_constantIbLb1EES1A_EEDaS15_S16_EUlS15_E_NS1_11comp_targetILNS1_3genE4ELNS1_11target_archE910ELNS1_3gpuE8ELNS1_3repE0EEENS1_30default_config_static_selectorELNS0_4arch9wavefront6targetE1EEEvT1_: ; @_ZN7rocprim17ROCPRIM_400000_NS6detail17trampoline_kernelINS0_14default_configENS1_25partition_config_selectorILNS1_17partition_subalgoE9EllbEEZZNS1_14partition_implILS5_9ELb0ES3_jPlS8_PNS0_10empty_typeENS0_5tupleIJS8_S9_EEENSB_IJS8_SA_EEENS0_18inequality_wrapperIZN2at6native12_GLOBAL__N_124unique_dim_cuda_templateIiEESt5tupleIJNSF_6TensorESK_SK_EERKSK_lbbbEUlllE0_EEPmJS9_EEE10hipError_tPvRmT3_T4_T5_T6_T7_T9_mT8_P12ihipStream_tbDpT10_ENKUlT_T0_E_clISt17integral_constantIbLb1EES1A_EEDaS15_S16_EUlS15_E_NS1_11comp_targetILNS1_3genE4ELNS1_11target_archE910ELNS1_3gpuE8ELNS1_3repE0EEENS1_30default_config_static_selectorELNS0_4arch9wavefront6targetE1EEEvT1_
; %bb.0:
	s_load_dwordx4 s[8:11], s[4:5], 0x8
	s_load_dwordx2 s[14:15], s[4:5], 0x18
	s_load_dwordx8 s[20:27], s[4:5], 0x40
	s_load_dwordx4 s[16:19], s[4:5], 0x60
	v_cmp_ne_u32_e64 s[2:3], 0, v0
	v_cmp_eq_u32_e64 s[0:1], 0, v0
	s_and_saveexec_b64 s[6:7], s[0:1]
	s_cbranch_execz .LBB483_4
; %bb.1:
	s_mov_b64 s[28:29], exec
	v_mbcnt_lo_u32_b32 v1, s28, 0
	v_mbcnt_hi_u32_b32 v1, s29, v1
	v_cmp_eq_u32_e32 vcc, 0, v1
                                        ; implicit-def: $vgpr2
	s_and_saveexec_b64 s[12:13], vcc
	s_cbranch_execz .LBB483_3
; %bb.2:
	s_load_dwordx2 s[30:31], s[4:5], 0x78
	s_bcnt1_i32_b64 s28, s[28:29]
	v_mov_b32_e32 v2, 0
	v_mov_b32_e32 v3, s28
	s_waitcnt lgkmcnt(0)
	global_atomic_add v2, v2, v3, s[30:31] glc
.LBB483_3:
	s_or_b64 exec, exec, s[12:13]
	s_waitcnt vmcnt(0)
	v_readfirstlane_b32 s12, v2
	v_add_u32_e32 v1, s12, v1
	v_mov_b32_e32 v2, 0
	ds_write_b32 v2, v1
.LBB483_4:
	s_or_b64 exec, exec, s[6:7]
	v_mov_b32_e32 v1, 0
	s_load_dwordx4 s[28:31], s[4:5], 0x28
	s_load_dword s6, s[4:5], 0x70
	s_waitcnt lgkmcnt(0)
	s_barrier
	ds_read_b32 v6, v1
	s_waitcnt lgkmcnt(0)
	s_barrier
	global_load_dwordx2 v[2:3], v1, s[22:23]
	s_lshl_b64 s[36:37], s[10:11], 3
	s_add_u32 s22, s8, s36
	s_addc_u32 s23, s9, s37
	s_add_i32 s12, s6, -1
	s_lshl_b32 s8, s6, 9
	s_lshl_b32 s6, s12, 9
	s_add_i32 s6, s10, s6
	v_readfirstlane_b32 s33, v6
	s_sub_i32 s48, s24, s6
	s_lshl_b32 s6, s33, 9
	s_add_u32 s8, s10, s8
	s_addc_u32 s9, s11, 0
	v_mov_b32_e32 v4, s24
	v_mov_b32_e32 v5, s25
	s_cmp_eq_u32 s33, s12
	v_cmp_ge_u64_e32 vcc, s[8:9], v[4:5]
	s_cselect_b64 s[24:25], -1, 0
	s_mov_b32 s7, 0
	s_and_b64 s[12:13], vcc, s[24:25]
	s_lshl_b64 s[8:9], s[6:7], 3
	s_xor_b64 s[34:35], s[12:13], -1
	s_add_u32 s6, s22, s8
	s_mov_b64 s[4:5], -1
	v_lshrrev_b32_e32 v18, 2, v0
	s_addc_u32 s7, s23, s9
	s_and_b64 vcc, exec, s[34:35]
	s_waitcnt vmcnt(0)
	v_readfirstlane_b32 s22, v2
	v_readfirstlane_b32 s23, v3
	s_cbranch_vccz .LBB483_6
; %bb.5:
	v_lshlrev_b32_e32 v1, 3, v0
	global_load_dwordx2 v[2:3], v1, s[6:7]
	global_load_dwordx2 v[4:5], v1, s[6:7] offset:1024
	global_load_dwordx2 v[6:7], v1, s[6:7] offset:2048
	global_load_dwordx2 v[8:9], v1, s[6:7] offset:3072
	v_or_b32_e32 v11, 0x80, v0
	v_or_b32_e32 v12, 0x100, v0
	;; [unrolled: 1-line block ×3, first 2 shown]
	v_and_b32_e32 v10, 24, v18
	v_lshrrev_b32_e32 v11, 2, v11
	v_lshrrev_b32_e32 v12, 2, v12
	;; [unrolled: 1-line block ×3, first 2 shown]
	v_add_u32_e32 v10, v10, v1
	v_and_b32_e32 v11, 56, v11
	v_and_b32_e32 v12, 0x58, v12
	;; [unrolled: 1-line block ×3, first 2 shown]
	v_add_u32_e32 v11, v11, v1
	v_add_u32_e32 v12, v12, v1
	;; [unrolled: 1-line block ×3, first 2 shown]
	s_mov_b64 s[4:5], 0
	s_waitcnt vmcnt(3)
	ds_write_b64 v10, v[2:3]
	s_waitcnt vmcnt(2)
	ds_write_b64 v11, v[4:5] offset:1024
	s_waitcnt vmcnt(1)
	ds_write_b64 v12, v[6:7] offset:2048
	;; [unrolled: 2-line block ×3, first 2 shown]
	s_waitcnt lgkmcnt(0)
	s_barrier
.LBB483_6:
	s_andn2_b64 vcc, exec, s[4:5]
	v_cmp_gt_u32_e64 s[4:5], s48, v0
	s_cbranch_vccnz .LBB483_16
; %bb.7:
                                        ; implicit-def: $vgpr2_vgpr3_vgpr4_vgpr5_vgpr6_vgpr7_vgpr8_vgpr9
	s_and_saveexec_b64 s[38:39], s[4:5]
	s_cbranch_execz .LBB483_9
; %bb.8:
	v_lshlrev_b32_e32 v1, 3, v0
	global_load_dwordx2 v[2:3], v1, s[6:7]
.LBB483_9:
	s_or_b64 exec, exec, s[38:39]
	v_or_b32_e32 v1, 0x80, v0
	v_cmp_gt_u32_e32 vcc, s48, v1
	s_and_saveexec_b64 s[4:5], vcc
	s_cbranch_execz .LBB483_11
; %bb.10:
	v_lshlrev_b32_e32 v4, 3, v0
	global_load_dwordx2 v[4:5], v4, s[6:7] offset:1024
.LBB483_11:
	s_or_b64 exec, exec, s[4:5]
	v_or_b32_e32 v10, 0x100, v0
	v_cmp_gt_u32_e32 vcc, s48, v10
	s_and_saveexec_b64 s[4:5], vcc
	s_cbranch_execz .LBB483_13
; %bb.12:
	v_lshlrev_b32_e32 v6, 3, v0
	global_load_dwordx2 v[6:7], v6, s[6:7] offset:2048
.LBB483_13:
	;; [unrolled: 9-line block ×3, first 2 shown]
	s_or_b64 exec, exec, s[4:5]
	v_lshrrev_b32_e32 v1, 2, v1
	v_lshlrev_b32_e32 v13, 3, v0
	v_and_b32_e32 v1, 56, v1
	v_add_u32_e32 v1, v1, v13
	s_waitcnt vmcnt(0)
	ds_write_b64 v1, v[4:5] offset:1024
	v_lshrrev_b32_e32 v1, 2, v10
	v_and_b32_e32 v1, 0x78, v1
	v_add_u32_e32 v1, v1, v13
	ds_write_b64 v1, v[6:7] offset:2048
	v_lshrrev_b32_e32 v1, 2, v11
	v_and_b32_e32 v12, 24, v18
	v_and_b32_e32 v1, 0x78, v1
	v_add_u32_e32 v12, v12, v13
	v_add_u32_e32 v1, v1, v13
	ds_write_b64 v12, v[2:3]
	ds_write_b64 v1, v[8:9] offset:3072
	s_waitcnt lgkmcnt(0)
	s_barrier
.LBB483_16:
	v_lshlrev_b32_e32 v1, 2, v0
	v_lshrrev_b32_e32 v2, 3, v0
	v_add_lshl_u32 v19, v2, v1, 3
	ds_read2_b64 v[14:17], v19 offset1:1
	ds_read2_b64 v[10:13], v19 offset0:2 offset1:3
	s_add_u32 s4, s14, s36
	s_addc_u32 s5, s15, s37
	s_add_u32 s4, s4, s8
	s_addc_u32 s5, s5, s9
	s_mov_b64 s[8:9], -1
	s_and_b64 vcc, exec, s[34:35]
	s_waitcnt lgkmcnt(0)
	s_barrier
	s_cbranch_vccz .LBB483_18
; %bb.17:
	v_lshlrev_b32_e32 v20, 3, v0
	global_load_dwordx2 v[2:3], v20, s[4:5]
	global_load_dwordx2 v[4:5], v20, s[4:5] offset:1024
	global_load_dwordx2 v[6:7], v20, s[4:5] offset:2048
	;; [unrolled: 1-line block ×3, first 2 shown]
	v_or_b32_e32 v22, 0x80, v0
	v_or_b32_e32 v23, 0x100, v0
	;; [unrolled: 1-line block ×3, first 2 shown]
	v_and_b32_e32 v21, 24, v18
	v_lshrrev_b32_e32 v22, 2, v22
	v_lshrrev_b32_e32 v23, 2, v23
	;; [unrolled: 1-line block ×3, first 2 shown]
	v_add_u32_e32 v21, v21, v20
	v_and_b32_e32 v22, 56, v22
	v_and_b32_e32 v23, 0x58, v23
	;; [unrolled: 1-line block ×3, first 2 shown]
	v_add_u32_e32 v22, v22, v20
	v_add_u32_e32 v23, v23, v20
	v_add_u32_e32 v20, v24, v20
	s_mov_b64 s[8:9], 0
	s_waitcnt vmcnt(3)
	ds_write_b64 v21, v[2:3]
	s_waitcnt vmcnt(2)
	ds_write_b64 v22, v[4:5] offset:1024
	s_waitcnt vmcnt(1)
	ds_write_b64 v23, v[6:7] offset:2048
	;; [unrolled: 2-line block ×3, first 2 shown]
	s_waitcnt lgkmcnt(0)
	s_barrier
.LBB483_18:
	s_andn2_b64 vcc, exec, s[8:9]
	s_cbranch_vccnz .LBB483_28
; %bb.19:
	v_cmp_gt_u32_e32 vcc, s48, v0
                                        ; implicit-def: $vgpr2_vgpr3
	s_and_saveexec_b64 s[8:9], vcc
	s_cbranch_execz .LBB483_21
; %bb.20:
	v_lshlrev_b32_e32 v2, 3, v0
	global_load_dwordx2 v[2:3], v2, s[4:5]
.LBB483_21:
	s_or_b64 exec, exec, s[8:9]
	v_or_b32_e32 v20, 0x80, v0
	v_cmp_gt_u32_e32 vcc, s48, v20
                                        ; implicit-def: $vgpr4_vgpr5
	s_and_saveexec_b64 s[8:9], vcc
	s_cbranch_execz .LBB483_23
; %bb.22:
	v_lshlrev_b32_e32 v4, 3, v0
	global_load_dwordx2 v[4:5], v4, s[4:5] offset:1024
.LBB483_23:
	s_or_b64 exec, exec, s[8:9]
	v_or_b32_e32 v21, 0x100, v0
	v_cmp_gt_u32_e32 vcc, s48, v21
                                        ; implicit-def: $vgpr6_vgpr7
	s_and_saveexec_b64 s[8:9], vcc
	s_cbranch_execz .LBB483_25
; %bb.24:
	v_lshlrev_b32_e32 v6, 3, v0
	global_load_dwordx2 v[6:7], v6, s[4:5] offset:2048
.LBB483_25:
	s_or_b64 exec, exec, s[8:9]
	v_or_b32_e32 v22, 0x180, v0
	v_cmp_gt_u32_e32 vcc, s48, v22
                                        ; implicit-def: $vgpr8_vgpr9
	s_and_saveexec_b64 s[8:9], vcc
	s_cbranch_execz .LBB483_27
; %bb.26:
	v_lshlrev_b32_e32 v8, 3, v0
	global_load_dwordx2 v[8:9], v8, s[4:5] offset:3072
.LBB483_27:
	s_or_b64 exec, exec, s[8:9]
	v_and_b32_e32 v18, 24, v18
	v_lshlrev_b32_e32 v23, 3, v0
	v_add_u32_e32 v18, v18, v23
	s_waitcnt vmcnt(0)
	ds_write_b64 v18, v[2:3]
	v_lshrrev_b32_e32 v2, 2, v20
	v_and_b32_e32 v2, 56, v2
	v_add_u32_e32 v2, v2, v23
	ds_write_b64 v2, v[4:5] offset:1024
	v_lshrrev_b32_e32 v2, 2, v21
	v_and_b32_e32 v2, 0x78, v2
	v_add_u32_e32 v2, v2, v23
	ds_write_b64 v2, v[6:7] offset:2048
	v_lshrrev_b32_e32 v2, 2, v22
	v_and_b32_e32 v2, 0x78, v2
	v_add_u32_e32 v2, v2, v23
	ds_write_b64 v2, v[8:9] offset:3072
	s_waitcnt lgkmcnt(0)
	s_barrier
.LBB483_28:
	ds_read2_b64 v[6:9], v19 offset1:1
	ds_read2_b64 v[2:5], v19 offset0:2 offset1:3
	s_cmp_lg_u32 s33, 0
	s_cselect_b64 s[36:37], -1, 0
	s_cmp_lg_u64 s[10:11], 0
	s_cselect_b64 s[4:5], -1, 0
	s_or_b64 s[4:5], s[4:5], s[36:37]
	s_mov_b64 s[14:15], 0
	s_and_b64 vcc, exec, s[4:5]
	v_cmp_gt_i64_e64 s[4:5], s[26:27], 0
	s_waitcnt lgkmcnt(0)
	s_barrier
	s_cbranch_vccz .LBB483_37
; %bb.29:
	v_mov_b32_e32 v18, 0
	global_load_dwordx2 v[18:19], v18, s[6:7] offset:-8
	v_cndmask_b32_e64 v20, 0, 1, s[4:5]
	v_lshlrev_b32_e32 v29, 3, v0
	s_mov_b64 s[10:11], 0
	s_and_b64 vcc, exec, s[34:35]
	v_cmp_ne_u32_e64 s[4:5], 1, v20
	ds_write_b64 v29, v[12:13]
	s_cbranch_vccz .LBB483_38
; %bb.30:
	v_mul_lo_u32 v22, v11, s26
	v_mul_lo_u32 v23, v10, s27
	v_mad_u64_u32 v[20:21], s[6:7], v10, s26, 0
	v_add3_u32 v21, v21, v23, v22
	s_and_b64 vcc, exec, s[4:5]
	v_lshlrev_b64 v[20:21], 2, v[20:21]
	s_cbranch_vccnz .LBB483_41
; %bb.31:
	v_mul_lo_u32 v24, v13, s26
	v_mul_lo_u32 v25, v12, s27
	v_mad_u64_u32 v[22:23], s[6:7], v12, s26, 0
	v_add3_u32 v23, v23, v25, v24
	v_mov_b32_e32 v25, s17
	v_add_co_u32_e32 v24, vcc, s16, v20
	v_addc_co_u32_e64 v25, s[6:7], v25, v21, vcc
	v_lshlrev_b64 v[22:23], 2, v[22:23]
	v_mov_b32_e32 v27, s17
	v_add_co_u32_e64 v26, s[6:7], s16, v22
	v_addc_co_u32_e64 v27, s[8:9], v27, v23, s[6:7]
	global_load_dword v22, v[24:25], off
	global_load_dword v28, v[26:27], off
	s_mov_b64 s[10:11], -1
	s_waitcnt vmcnt(0)
	v_cmp_eq_u32_e64 s[8:9], v22, v28
	s_and_saveexec_b64 s[14:15], s[8:9]
	s_cbranch_execz .LBB483_40
; %bb.32:
	v_mov_b32_e32 v22, s17
	v_addc_co_u32_e64 v23, s[6:7], v23, v22, s[6:7]
	v_add_co_u32_e64 v22, s[6:7], 4, v26
	v_mov_b32_e32 v25, s17
	v_addc_co_u32_e64 v23, s[6:7], 0, v23, s[6:7]
	v_addc_co_u32_e32 v25, vcc, v21, v25, vcc
	v_add_co_u32_e32 v24, vcc, 4, v24
	s_add_u32 s6, s26, -1
	v_addc_co_u32_e32 v25, vcc, 0, v25, vcc
	s_addc_u32 s7, s27, -1
	s_mov_b64 s[8:9], 0
	s_mov_b64 s[38:39], 0
                                        ; implicit-def: $sgpr10_sgpr11
	s_branch .LBB483_35
.LBB483_33:                             ;   in Loop: Header=BB483_35 Depth=1
	global_load_dword v26, v[24:25], off
	global_load_dword v27, v[22:23], off
	v_add_co_u32_e32 v22, vcc, 4, v22
	v_addc_co_u32_e32 v23, vcc, 0, v23, vcc
	v_add_co_u32_e32 v24, vcc, 4, v24
	v_addc_co_u32_e32 v25, vcc, 0, v25, vcc
	s_add_u32 s38, s38, 1
	s_addc_u32 s39, s39, 0
	s_andn2_b64 s[10:11], s[10:11], exec
	s_waitcnt vmcnt(0)
	v_cmp_ne_u32_e32 vcc, v26, v27
	s_and_b64 s[40:41], vcc, exec
	s_or_b64 s[10:11], s[10:11], s[40:41]
.LBB483_34:                             ;   in Loop: Header=BB483_35 Depth=1
	s_and_b64 s[40:41], exec, s[10:11]
	s_or_b64 s[8:9], s[40:41], s[8:9]
	v_pk_mov_b32 v[26:27], s[38:39], s[38:39] op_sel:[0,1]
	s_andn2_b64 exec, exec, s[8:9]
	s_cbranch_execz .LBB483_39
.LBB483_35:                             ; =>This Inner Loop Header: Depth=1
	s_or_b64 s[10:11], s[10:11], exec
	s_cmp_eq_u64 s[6:7], s[38:39]
	s_cbranch_scc0 .LBB483_33
; %bb.36:                               ;   in Loop: Header=BB483_35 Depth=1
                                        ; implicit-def: $vgpr22_vgpr23
                                        ; implicit-def: $vgpr24_vgpr25
	s_mov_b64 s[38:39], s[26:27]
	s_branch .LBB483_34
.LBB483_37:
                                        ; implicit-def: $sgpr38_sgpr39
                                        ; implicit-def: $vgpr28
	s_branch .LBB483_119
.LBB483_38:
                                        ; implicit-def: $sgpr38_sgpr39
                                        ; implicit-def: $vgpr28
	s_cbranch_execnz .LBB483_71
	s_branch .LBB483_118
.LBB483_39:
	s_or_b64 exec, exec, s[8:9]
	v_cmp_gt_i64_e32 vcc, s[26:27], v[26:27]
	s_orn2_b64 s[10:11], vcc, exec
.LBB483_40:
	s_or_b64 exec, exec, s[14:15]
.LBB483_41:
	v_mul_lo_u32 v24, v17, s26
	v_mul_lo_u32 v25, v16, s27
	v_mad_u64_u32 v[22:23], s[6:7], v16, s26, 0
	v_add3_u32 v23, v23, v25, v24
	s_mov_b64 s[14:15], 0
	s_and_b64 vcc, exec, s[4:5]
	v_lshlrev_b64 v[22:23], 2, v[22:23]
	s_mov_b64 s[38:39], 0
	s_cbranch_vccnz .LBB483_50
; %bb.42:
	v_mov_b32_e32 v25, s17
	v_add_co_u32_e32 v24, vcc, s16, v22
	v_addc_co_u32_e64 v25, s[6:7], v25, v23, vcc
	v_mov_b32_e32 v27, s17
	v_add_co_u32_e64 v26, s[6:7], s16, v20
	v_addc_co_u32_e64 v27, s[8:9], v27, v21, s[6:7]
	global_load_dword v20, v[24:25], off
	global_load_dword v28, v[26:27], off
	s_mov_b64 s[38:39], -1
	s_waitcnt vmcnt(0)
	v_cmp_eq_u32_e64 s[8:9], v20, v28
	s_and_saveexec_b64 s[40:41], s[8:9]
	s_cbranch_execz .LBB483_49
; %bb.43:
	v_mov_b32_e32 v20, s17
	v_addc_co_u32_e64 v21, s[6:7], v21, v20, s[6:7]
	v_add_co_u32_e64 v20, s[6:7], 4, v26
	v_mov_b32_e32 v25, s17
	v_addc_co_u32_e64 v21, s[6:7], 0, v21, s[6:7]
	v_addc_co_u32_e32 v25, vcc, v23, v25, vcc
	v_add_co_u32_e32 v24, vcc, 4, v24
	s_add_u32 s6, s26, -1
	v_addc_co_u32_e32 v25, vcc, 0, v25, vcc
	s_addc_u32 s7, s27, -1
	s_mov_b64 s[8:9], 0
	s_mov_b64 s[42:43], 0
                                        ; implicit-def: $sgpr38_sgpr39
	s_branch .LBB483_46
.LBB483_44:                             ;   in Loop: Header=BB483_46 Depth=1
	global_load_dword v26, v[24:25], off
	global_load_dword v27, v[20:21], off
	v_add_co_u32_e32 v20, vcc, 4, v20
	v_addc_co_u32_e32 v21, vcc, 0, v21, vcc
	v_add_co_u32_e32 v24, vcc, 4, v24
	v_addc_co_u32_e32 v25, vcc, 0, v25, vcc
	s_add_u32 s42, s42, 1
	s_addc_u32 s43, s43, 0
	s_andn2_b64 s[38:39], s[38:39], exec
	s_waitcnt vmcnt(0)
	v_cmp_ne_u32_e32 vcc, v26, v27
	s_and_b64 s[44:45], vcc, exec
	s_or_b64 s[38:39], s[38:39], s[44:45]
.LBB483_45:                             ;   in Loop: Header=BB483_46 Depth=1
	s_and_b64 s[44:45], exec, s[38:39]
	s_or_b64 s[8:9], s[44:45], s[8:9]
	v_pk_mov_b32 v[26:27], s[42:43], s[42:43] op_sel:[0,1]
	s_andn2_b64 exec, exec, s[8:9]
	s_cbranch_execz .LBB483_48
.LBB483_46:                             ; =>This Inner Loop Header: Depth=1
	s_or_b64 s[38:39], s[38:39], exec
	s_cmp_eq_u64 s[6:7], s[42:43]
	s_cbranch_scc0 .LBB483_44
; %bb.47:                               ;   in Loop: Header=BB483_46 Depth=1
                                        ; implicit-def: $vgpr20_vgpr21
                                        ; implicit-def: $vgpr24_vgpr25
	s_mov_b64 s[42:43], s[26:27]
	s_branch .LBB483_45
.LBB483_48:
	s_or_b64 exec, exec, s[8:9]
	v_cmp_gt_i64_e32 vcc, s[26:27], v[26:27]
	s_orn2_b64 s[38:39], vcc, exec
.LBB483_49:
	s_or_b64 exec, exec, s[40:41]
.LBB483_50:
	v_mul_lo_u32 v24, v15, s26
	v_mul_lo_u32 v25, v14, s27
	v_mad_u64_u32 v[20:21], s[6:7], v14, s26, 0
	v_add3_u32 v21, v21, v25, v24
	s_and_b64 vcc, exec, s[4:5]
	v_lshlrev_b64 v[20:21], 2, v[20:21]
	s_cbranch_vccnz .LBB483_59
; %bb.51:
	v_mov_b32_e32 v25, s17
	v_add_co_u32_e32 v24, vcc, s16, v20
	v_addc_co_u32_e64 v25, s[6:7], v25, v21, vcc
	v_mov_b32_e32 v27, s17
	v_add_co_u32_e64 v26, s[6:7], s16, v22
	v_addc_co_u32_e64 v27, s[8:9], v27, v23, s[6:7]
	global_load_dword v22, v[24:25], off
	global_load_dword v28, v[26:27], off
	s_mov_b64 s[14:15], -1
	s_waitcnt vmcnt(0)
	v_cmp_eq_u32_e64 s[8:9], v22, v28
	s_and_saveexec_b64 s[40:41], s[8:9]
	s_cbranch_execz .LBB483_58
; %bb.52:
	v_mov_b32_e32 v22, s17
	v_addc_co_u32_e64 v23, s[6:7], v23, v22, s[6:7]
	v_add_co_u32_e64 v22, s[6:7], 4, v26
	v_mov_b32_e32 v25, s17
	v_addc_co_u32_e64 v23, s[6:7], 0, v23, s[6:7]
	v_addc_co_u32_e32 v25, vcc, v21, v25, vcc
	v_add_co_u32_e32 v24, vcc, 4, v24
	s_add_u32 s6, s26, -1
	v_addc_co_u32_e32 v25, vcc, 0, v25, vcc
	s_addc_u32 s7, s27, -1
	s_mov_b64 s[8:9], 0
	s_mov_b64 s[42:43], 0
                                        ; implicit-def: $sgpr14_sgpr15
	s_branch .LBB483_55
.LBB483_53:                             ;   in Loop: Header=BB483_55 Depth=1
	global_load_dword v26, v[24:25], off
	global_load_dword v27, v[22:23], off
	v_add_co_u32_e32 v22, vcc, 4, v22
	v_addc_co_u32_e32 v23, vcc, 0, v23, vcc
	v_add_co_u32_e32 v24, vcc, 4, v24
	v_addc_co_u32_e32 v25, vcc, 0, v25, vcc
	s_add_u32 s42, s42, 1
	s_addc_u32 s43, s43, 0
	s_andn2_b64 s[14:15], s[14:15], exec
	s_waitcnt vmcnt(0)
	v_cmp_ne_u32_e32 vcc, v26, v27
	s_and_b64 s[44:45], vcc, exec
	s_or_b64 s[14:15], s[14:15], s[44:45]
.LBB483_54:                             ;   in Loop: Header=BB483_55 Depth=1
	s_and_b64 s[44:45], exec, s[14:15]
	s_or_b64 s[8:9], s[44:45], s[8:9]
	v_pk_mov_b32 v[26:27], s[42:43], s[42:43] op_sel:[0,1]
	s_andn2_b64 exec, exec, s[8:9]
	s_cbranch_execz .LBB483_57
.LBB483_55:                             ; =>This Inner Loop Header: Depth=1
	s_or_b64 s[14:15], s[14:15], exec
	s_cmp_eq_u64 s[6:7], s[42:43]
	s_cbranch_scc0 .LBB483_53
; %bb.56:                               ;   in Loop: Header=BB483_55 Depth=1
                                        ; implicit-def: $vgpr22_vgpr23
                                        ; implicit-def: $vgpr24_vgpr25
	s_mov_b64 s[42:43], s[26:27]
	s_branch .LBB483_54
.LBB483_57:
	s_or_b64 exec, exec, s[8:9]
	v_cmp_gt_i64_e32 vcc, s[26:27], v[26:27]
	s_orn2_b64 s[14:15], vcc, exec
.LBB483_58:
	s_or_b64 exec, exec, s[40:41]
.LBB483_59:
	s_waitcnt vmcnt(0)
	v_pk_mov_b32 v[22:23], v[18:19], v[18:19] op_sel:[0,1]
	s_waitcnt lgkmcnt(0)
	s_barrier
	s_and_saveexec_b64 s[6:7], s[2:3]
	s_cbranch_execz .LBB483_61
; %bb.60:
	v_add_u32_e32 v22, -8, v29
	ds_read_b64 v[22:23], v22
.LBB483_61:
	s_or_b64 exec, exec, s[6:7]
	v_cndmask_b32_e64 v25, 0, 1, s[10:11]
	v_cndmask_b32_e64 v24, 0, 1, s[38:39]
	;; [unrolled: 1-line block ×3, first 2 shown]
	v_lshlrev_b16_e32 v25, 8, v25
	v_lshlrev_b16_e32 v28, 8, v26
	v_or_b32_sdwa v30, v24, v25 dst_sel:WORD_1 dst_unused:UNUSED_PAD src0_sel:DWORD src1_sel:DWORD
	s_mov_b64 s[10:11], 0
	s_and_b64 vcc, exec, s[4:5]
	s_mov_b64 s[38:39], 0
	s_cbranch_vccnz .LBB483_70
; %bb.62:
	s_waitcnt lgkmcnt(0)
	v_mul_lo_u32 v24, v23, s26
	v_mul_lo_u32 v25, v22, s27
	v_mad_u64_u32 v[22:23], s[6:7], v22, s26, 0
	v_add3_u32 v23, v23, v25, v24
	v_lshlrev_b64 v[22:23], 2, v[22:23]
	v_mov_b32_e32 v25, s17
	v_add_co_u32_e32 v24, vcc, s16, v22
	v_addc_co_u32_e64 v25, s[6:7], v25, v23, vcc
	v_mov_b32_e32 v22, s17
	v_add_co_u32_e64 v26, s[6:7], s16, v20
	v_addc_co_u32_e64 v27, s[8:9], v22, v21, s[6:7]
	global_load_dword v20, v[24:25], off
	global_load_dword v22, v[26:27], off
	s_mov_b64 s[38:39], -1
	s_waitcnt vmcnt(0)
	v_cmp_eq_u32_e64 s[8:9], v20, v22
	s_and_saveexec_b64 s[14:15], s[8:9]
	s_cbranch_execz .LBB483_69
; %bb.63:
	v_mov_b32_e32 v20, s17
	v_addc_co_u32_e64 v21, s[6:7], v21, v20, s[6:7]
	v_add_co_u32_e64 v20, s[6:7], 4, v26
	v_mov_b32_e32 v22, s17
	v_addc_co_u32_e64 v21, s[6:7], 0, v21, s[6:7]
	v_addc_co_u32_e32 v23, vcc, v23, v22, vcc
	v_add_co_u32_e32 v22, vcc, 4, v24
	s_add_u32 s6, s26, -1
	v_addc_co_u32_e32 v23, vcc, 0, v23, vcc
	s_addc_u32 s7, s27, -1
	s_mov_b64 s[8:9], 0
	s_mov_b64 s[40:41], 0
                                        ; implicit-def: $sgpr38_sgpr39
	s_branch .LBB483_66
.LBB483_64:                             ;   in Loop: Header=BB483_66 Depth=1
	global_load_dword v24, v[22:23], off
	global_load_dword v25, v[20:21], off
	v_add_co_u32_e32 v20, vcc, 4, v20
	v_addc_co_u32_e32 v21, vcc, 0, v21, vcc
	v_add_co_u32_e32 v22, vcc, 4, v22
	v_addc_co_u32_e32 v23, vcc, 0, v23, vcc
	s_add_u32 s40, s40, 1
	s_addc_u32 s41, s41, 0
	s_andn2_b64 s[38:39], s[38:39], exec
	s_waitcnt vmcnt(0)
	v_cmp_ne_u32_e32 vcc, v24, v25
	s_and_b64 s[42:43], vcc, exec
	s_or_b64 s[38:39], s[38:39], s[42:43]
.LBB483_65:                             ;   in Loop: Header=BB483_66 Depth=1
	s_and_b64 s[42:43], exec, s[38:39]
	s_or_b64 s[8:9], s[42:43], s[8:9]
	v_pk_mov_b32 v[24:25], s[40:41], s[40:41] op_sel:[0,1]
	s_andn2_b64 exec, exec, s[8:9]
	s_cbranch_execz .LBB483_68
.LBB483_66:                             ; =>This Inner Loop Header: Depth=1
	s_or_b64 s[38:39], s[38:39], exec
	s_cmp_eq_u64 s[6:7], s[40:41]
	s_cbranch_scc0 .LBB483_64
; %bb.67:                               ;   in Loop: Header=BB483_66 Depth=1
                                        ; implicit-def: $vgpr20_vgpr21
                                        ; implicit-def: $vgpr22_vgpr23
	s_mov_b64 s[40:41], s[26:27]
	s_branch .LBB483_65
.LBB483_68:
	s_or_b64 exec, exec, s[8:9]
	v_cmp_gt_i64_e32 vcc, s[26:27], v[24:25]
	s_orn2_b64 s[38:39], vcc, exec
.LBB483_69:
	s_or_b64 exec, exec, s[14:15]
.LBB483_70:
	v_or_b32_e32 v28, v28, v30
	s_and_b64 vcc, exec, s[10:11]
	s_cbranch_vccz .LBB483_118
.LBB483_71:
	v_or_b32_e32 v20, 3, v1
	v_cmp_gt_u32_e32 vcc, s48, v20
	s_mov_b64 s[14:15], 0
	s_mov_b64 s[10:11], 0
	s_and_saveexec_b64 s[38:39], vcc
	s_cbranch_execz .LBB483_82
; %bb.72:
	s_and_b64 vcc, exec, s[4:5]
	s_mov_b64 s[40:41], 0
	s_cbranch_vccnz .LBB483_81
; %bb.73:
	s_waitcnt lgkmcnt(0)
	v_mul_lo_u32 v22, v11, s26
	v_mul_lo_u32 v23, v10, s27
	v_mad_u64_u32 v[20:21], s[6:7], v10, s26, 0
	v_add3_u32 v21, v21, v23, v22
	v_mul_lo_u32 v22, v13, s26
	v_mul_lo_u32 v23, v12, s27
	v_mad_u64_u32 v[26:27], s[6:7], v12, s26, 0
	v_add3_u32 v27, v27, v23, v22
	v_lshlrev_b64 v[22:23], 2, v[20:21]
	v_mov_b32_e32 v20, s17
	v_add_co_u32_e32 v24, vcc, s16, v22
	v_addc_co_u32_e64 v25, s[6:7], v20, v23, vcc
	v_lshlrev_b64 v[20:21], 2, v[26:27]
	v_mov_b32_e32 v22, s17
	v_add_co_u32_e64 v26, s[6:7], s16, v20
	v_addc_co_u32_e64 v27, s[8:9], v22, v21, s[6:7]
	global_load_dword v20, v[24:25], off
	global_load_dword v22, v[26:27], off
	s_mov_b64 s[40:41], -1
	s_waitcnt vmcnt(0)
	v_cmp_eq_u32_e64 s[8:9], v20, v22
	s_and_saveexec_b64 s[10:11], s[8:9]
	s_cbranch_execz .LBB483_80
; %bb.74:
	v_mov_b32_e32 v20, s17
	v_addc_co_u32_e64 v21, s[6:7], v21, v20, s[6:7]
	v_add_co_u32_e64 v20, s[6:7], 4, v26
	v_mov_b32_e32 v22, s17
	v_addc_co_u32_e64 v21, s[6:7], 0, v21, s[6:7]
	v_addc_co_u32_e32 v23, vcc, v23, v22, vcc
	v_add_co_u32_e32 v22, vcc, 4, v24
	s_add_u32 s6, s26, -1
	v_addc_co_u32_e32 v23, vcc, 0, v23, vcc
	s_addc_u32 s7, s27, -1
	s_mov_b64 s[8:9], 0
	s_mov_b64 s[42:43], 0
                                        ; implicit-def: $sgpr40_sgpr41
	s_branch .LBB483_77
.LBB483_75:                             ;   in Loop: Header=BB483_77 Depth=1
	global_load_dword v24, v[22:23], off
	global_load_dword v25, v[20:21], off
	v_add_co_u32_e32 v20, vcc, 4, v20
	v_addc_co_u32_e32 v21, vcc, 0, v21, vcc
	v_add_co_u32_e32 v22, vcc, 4, v22
	v_addc_co_u32_e32 v23, vcc, 0, v23, vcc
	s_add_u32 s42, s42, 1
	s_addc_u32 s43, s43, 0
	s_andn2_b64 s[40:41], s[40:41], exec
	s_waitcnt vmcnt(0)
	v_cmp_ne_u32_e32 vcc, v24, v25
	s_and_b64 s[44:45], vcc, exec
	s_or_b64 s[40:41], s[40:41], s[44:45]
.LBB483_76:                             ;   in Loop: Header=BB483_77 Depth=1
	s_and_b64 s[44:45], exec, s[40:41]
	s_or_b64 s[8:9], s[44:45], s[8:9]
	v_pk_mov_b32 v[24:25], s[42:43], s[42:43] op_sel:[0,1]
	s_andn2_b64 exec, exec, s[8:9]
	s_cbranch_execz .LBB483_79
.LBB483_77:                             ; =>This Inner Loop Header: Depth=1
	s_or_b64 s[40:41], s[40:41], exec
	s_cmp_eq_u64 s[6:7], s[42:43]
	s_cbranch_scc0 .LBB483_75
; %bb.78:                               ;   in Loop: Header=BB483_77 Depth=1
                                        ; implicit-def: $vgpr20_vgpr21
                                        ; implicit-def: $vgpr22_vgpr23
	s_mov_b64 s[42:43], s[26:27]
	s_branch .LBB483_76
.LBB483_79:
	s_or_b64 exec, exec, s[8:9]
	v_cmp_gt_i64_e32 vcc, s[26:27], v[24:25]
	s_orn2_b64 s[40:41], vcc, exec
.LBB483_80:
	s_or_b64 exec, exec, s[10:11]
.LBB483_81:
	s_and_b64 s[10:11], s[40:41], exec
.LBB483_82:
	s_or_b64 exec, exec, s[38:39]
	v_or_b32_e32 v20, 2, v1
	v_cmp_gt_u32_e32 vcc, s48, v20
	s_and_saveexec_b64 s[38:39], vcc
	s_cbranch_execz .LBB483_93
; %bb.83:
	s_and_b64 vcc, exec, s[4:5]
	s_mov_b64 s[40:41], 0
	s_cbranch_vccnz .LBB483_92
; %bb.84:
	s_waitcnt lgkmcnt(0)
	v_mul_lo_u32 v22, v17, s26
	v_mul_lo_u32 v23, v16, s27
	v_mad_u64_u32 v[20:21], s[6:7], v16, s26, 0
	v_add3_u32 v21, v21, v23, v22
	v_mul_lo_u32 v22, v11, s26
	v_mul_lo_u32 v23, v10, s27
	v_mad_u64_u32 v[26:27], s[6:7], v10, s26, 0
	v_add3_u32 v27, v27, v23, v22
	v_lshlrev_b64 v[22:23], 2, v[20:21]
	v_mov_b32_e32 v20, s17
	v_add_co_u32_e32 v24, vcc, s16, v22
	v_addc_co_u32_e64 v25, s[6:7], v20, v23, vcc
	v_lshlrev_b64 v[20:21], 2, v[26:27]
	v_mov_b32_e32 v22, s17
	v_add_co_u32_e64 v26, s[6:7], s16, v20
	v_addc_co_u32_e64 v27, s[8:9], v22, v21, s[6:7]
	global_load_dword v20, v[24:25], off
	global_load_dword v22, v[26:27], off
	s_mov_b64 s[40:41], -1
	s_waitcnt vmcnt(0)
	v_cmp_eq_u32_e64 s[8:9], v20, v22
	s_and_saveexec_b64 s[14:15], s[8:9]
	s_cbranch_execz .LBB483_91
; %bb.85:
	v_mov_b32_e32 v20, s17
	v_addc_co_u32_e64 v21, s[6:7], v21, v20, s[6:7]
	v_add_co_u32_e64 v20, s[6:7], 4, v26
	v_mov_b32_e32 v22, s17
	v_addc_co_u32_e64 v21, s[6:7], 0, v21, s[6:7]
	v_addc_co_u32_e32 v23, vcc, v23, v22, vcc
	v_add_co_u32_e32 v22, vcc, 4, v24
	s_add_u32 s6, s26, -1
	v_addc_co_u32_e32 v23, vcc, 0, v23, vcc
	s_addc_u32 s7, s27, -1
	s_mov_b64 s[8:9], 0
	s_mov_b64 s[42:43], 0
                                        ; implicit-def: $sgpr40_sgpr41
	s_branch .LBB483_88
.LBB483_86:                             ;   in Loop: Header=BB483_88 Depth=1
	global_load_dword v24, v[22:23], off
	global_load_dword v25, v[20:21], off
	v_add_co_u32_e32 v20, vcc, 4, v20
	v_addc_co_u32_e32 v21, vcc, 0, v21, vcc
	v_add_co_u32_e32 v22, vcc, 4, v22
	v_addc_co_u32_e32 v23, vcc, 0, v23, vcc
	s_add_u32 s42, s42, 1
	s_addc_u32 s43, s43, 0
	s_andn2_b64 s[40:41], s[40:41], exec
	s_waitcnt vmcnt(0)
	v_cmp_ne_u32_e32 vcc, v24, v25
	s_and_b64 s[44:45], vcc, exec
	s_or_b64 s[40:41], s[40:41], s[44:45]
.LBB483_87:                             ;   in Loop: Header=BB483_88 Depth=1
	s_and_b64 s[44:45], exec, s[40:41]
	s_or_b64 s[8:9], s[44:45], s[8:9]
	v_pk_mov_b32 v[24:25], s[42:43], s[42:43] op_sel:[0,1]
	s_andn2_b64 exec, exec, s[8:9]
	s_cbranch_execz .LBB483_90
.LBB483_88:                             ; =>This Inner Loop Header: Depth=1
	s_or_b64 s[40:41], s[40:41], exec
	s_cmp_eq_u64 s[6:7], s[42:43]
	s_cbranch_scc0 .LBB483_86
; %bb.89:                               ;   in Loop: Header=BB483_88 Depth=1
                                        ; implicit-def: $vgpr20_vgpr21
                                        ; implicit-def: $vgpr22_vgpr23
	s_mov_b64 s[42:43], s[26:27]
	s_branch .LBB483_87
.LBB483_90:
	s_or_b64 exec, exec, s[8:9]
	v_cmp_gt_i64_e32 vcc, s[26:27], v[24:25]
	s_orn2_b64 s[40:41], vcc, exec
.LBB483_91:
	s_or_b64 exec, exec, s[14:15]
.LBB483_92:
	s_and_b64 s[14:15], s[40:41], exec
.LBB483_93:
	s_or_b64 exec, exec, s[38:39]
	v_or_b32_e32 v20, 1, v1
	v_cmp_gt_u32_e32 vcc, s48, v20
	s_mov_b64 s[6:7], 0
	s_and_saveexec_b64 s[38:39], vcc
	s_cbranch_execz .LBB483_104
; %bb.94:
	s_and_b64 vcc, exec, s[4:5]
	s_mov_b64 s[42:43], 0
	s_cbranch_vccnz .LBB483_103
; %bb.95:
	s_waitcnt lgkmcnt(0)
	v_mul_lo_u32 v22, v15, s26
	v_mul_lo_u32 v23, v14, s27
	v_mad_u64_u32 v[20:21], s[6:7], v14, s26, 0
	v_add3_u32 v21, v21, v23, v22
	v_mul_lo_u32 v22, v17, s26
	v_mul_lo_u32 v23, v16, s27
	v_mad_u64_u32 v[26:27], s[6:7], v16, s26, 0
	v_add3_u32 v27, v27, v23, v22
	v_lshlrev_b64 v[22:23], 2, v[20:21]
	v_mov_b32_e32 v20, s17
	v_add_co_u32_e32 v24, vcc, s16, v22
	v_addc_co_u32_e64 v25, s[6:7], v20, v23, vcc
	v_lshlrev_b64 v[20:21], 2, v[26:27]
	v_mov_b32_e32 v22, s17
	v_add_co_u32_e64 v26, s[6:7], s16, v20
	v_addc_co_u32_e64 v27, s[8:9], v22, v21, s[6:7]
	global_load_dword v20, v[24:25], off
	global_load_dword v22, v[26:27], off
	s_mov_b64 s[42:43], -1
	s_waitcnt vmcnt(0)
	v_cmp_eq_u32_e64 s[8:9], v20, v22
	s_and_saveexec_b64 s[40:41], s[8:9]
	s_cbranch_execz .LBB483_102
; %bb.96:
	v_mov_b32_e32 v20, s17
	v_addc_co_u32_e64 v21, s[6:7], v21, v20, s[6:7]
	v_add_co_u32_e64 v20, s[6:7], 4, v26
	v_mov_b32_e32 v22, s17
	v_addc_co_u32_e64 v21, s[6:7], 0, v21, s[6:7]
	v_addc_co_u32_e32 v23, vcc, v23, v22, vcc
	v_add_co_u32_e32 v22, vcc, 4, v24
	s_add_u32 s6, s26, -1
	v_addc_co_u32_e32 v23, vcc, 0, v23, vcc
	s_addc_u32 s7, s27, -1
	s_mov_b64 s[8:9], 0
	s_mov_b64 s[44:45], 0
                                        ; implicit-def: $sgpr42_sgpr43
	s_branch .LBB483_99
.LBB483_97:                             ;   in Loop: Header=BB483_99 Depth=1
	global_load_dword v24, v[22:23], off
	global_load_dword v25, v[20:21], off
	v_add_co_u32_e32 v20, vcc, 4, v20
	v_addc_co_u32_e32 v21, vcc, 0, v21, vcc
	v_add_co_u32_e32 v22, vcc, 4, v22
	v_addc_co_u32_e32 v23, vcc, 0, v23, vcc
	s_add_u32 s44, s44, 1
	s_addc_u32 s45, s45, 0
	s_andn2_b64 s[42:43], s[42:43], exec
	s_waitcnt vmcnt(0)
	v_cmp_ne_u32_e32 vcc, v24, v25
	s_and_b64 s[46:47], vcc, exec
	s_or_b64 s[42:43], s[42:43], s[46:47]
.LBB483_98:                             ;   in Loop: Header=BB483_99 Depth=1
	s_and_b64 s[46:47], exec, s[42:43]
	s_or_b64 s[8:9], s[46:47], s[8:9]
	v_pk_mov_b32 v[24:25], s[44:45], s[44:45] op_sel:[0,1]
	s_andn2_b64 exec, exec, s[8:9]
	s_cbranch_execz .LBB483_101
.LBB483_99:                             ; =>This Inner Loop Header: Depth=1
	s_or_b64 s[42:43], s[42:43], exec
	s_cmp_eq_u64 s[6:7], s[44:45]
	s_cbranch_scc0 .LBB483_97
; %bb.100:                              ;   in Loop: Header=BB483_99 Depth=1
                                        ; implicit-def: $vgpr20_vgpr21
                                        ; implicit-def: $vgpr22_vgpr23
	s_mov_b64 s[44:45], s[26:27]
	s_branch .LBB483_98
.LBB483_101:
	s_or_b64 exec, exec, s[8:9]
	v_cmp_gt_i64_e32 vcc, s[26:27], v[24:25]
	s_orn2_b64 s[42:43], vcc, exec
.LBB483_102:
	s_or_b64 exec, exec, s[40:41]
.LBB483_103:
	s_and_b64 s[6:7], s[42:43], exec
.LBB483_104:
	s_or_b64 exec, exec, s[38:39]
	s_waitcnt lgkmcnt(0)
	s_barrier
	s_and_saveexec_b64 s[8:9], s[2:3]
	s_cbranch_execz .LBB483_106
; %bb.105:
	s_waitcnt vmcnt(0)
	v_add_u32_e32 v18, -8, v29
	ds_read_b64 v[18:19], v18
.LBB483_106:
	s_or_b64 exec, exec, s[8:9]
	v_cndmask_b32_e64 v21, 0, 1, s[10:11]
	v_cndmask_b32_e64 v20, 0, 1, s[14:15]
	;; [unrolled: 1-line block ×3, first 2 shown]
	v_lshlrev_b16_e32 v21, 8, v21
	v_lshlrev_b16_e32 v26, 8, v22
	v_or_b32_sdwa v27, v20, v21 dst_sel:WORD_1 dst_unused:UNUSED_PAD src0_sel:DWORD src1_sel:DWORD
	v_cmp_gt_u32_e32 vcc, s48, v1
	s_mov_b64 s[38:39], 0
	s_and_saveexec_b64 s[8:9], vcc
	s_cbranch_execz .LBB483_117
; %bb.107:
	s_and_b64 vcc, exec, s[4:5]
	s_mov_b64 s[14:15], 0
	s_cbranch_vccnz .LBB483_116
; %bb.108:
	s_waitcnt vmcnt(0) lgkmcnt(0)
	v_mul_lo_u32 v20, v19, s26
	v_mul_lo_u32 v21, v18, s27
	v_mad_u64_u32 v[18:19], s[4:5], v18, s26, 0
	v_add3_u32 v19, v19, v21, v20
	v_mul_lo_u32 v20, v15, s26
	v_mul_lo_u32 v21, v14, s27
	v_mad_u64_u32 v[24:25], s[4:5], v14, s26, 0
	v_add3_u32 v25, v25, v21, v20
	v_lshlrev_b64 v[20:21], 2, v[18:19]
	v_mov_b32_e32 v18, s17
	v_add_co_u32_e32 v22, vcc, s16, v20
	v_addc_co_u32_e64 v23, s[4:5], v18, v21, vcc
	v_lshlrev_b64 v[18:19], 2, v[24:25]
	v_mov_b32_e32 v20, s17
	v_add_co_u32_e64 v24, s[4:5], s16, v18
	v_addc_co_u32_e64 v25, s[6:7], v20, v19, s[4:5]
	global_load_dword v18, v[22:23], off
	global_load_dword v20, v[24:25], off
	s_mov_b64 s[14:15], -1
	s_waitcnt vmcnt(0)
	v_cmp_eq_u32_e64 s[6:7], v18, v20
	s_and_saveexec_b64 s[10:11], s[6:7]
	s_cbranch_execz .LBB483_115
; %bb.109:
	v_mov_b32_e32 v18, s17
	v_addc_co_u32_e64 v19, s[4:5], v19, v18, s[4:5]
	v_add_co_u32_e64 v18, s[4:5], 4, v24
	v_mov_b32_e32 v20, s17
	v_addc_co_u32_e64 v19, s[4:5], 0, v19, s[4:5]
	v_addc_co_u32_e32 v21, vcc, v21, v20, vcc
	v_add_co_u32_e32 v20, vcc, 4, v22
	s_add_u32 s4, s26, -1
	v_addc_co_u32_e32 v21, vcc, 0, v21, vcc
	s_addc_u32 s5, s27, -1
	s_mov_b64 s[6:7], 0
                                        ; implicit-def: $sgpr14_sgpr15
	s_branch .LBB483_112
.LBB483_110:                            ;   in Loop: Header=BB483_112 Depth=1
	global_load_dword v22, v[20:21], off
	global_load_dword v23, v[18:19], off
	v_add_co_u32_e32 v18, vcc, 4, v18
	v_addc_co_u32_e32 v19, vcc, 0, v19, vcc
	v_add_co_u32_e32 v20, vcc, 4, v20
	v_addc_co_u32_e32 v21, vcc, 0, v21, vcc
	s_add_u32 s38, s38, 1
	s_addc_u32 s39, s39, 0
	s_andn2_b64 s[14:15], s[14:15], exec
	s_waitcnt vmcnt(0)
	v_cmp_ne_u32_e32 vcc, v22, v23
	s_and_b64 s[40:41], vcc, exec
	s_or_b64 s[14:15], s[14:15], s[40:41]
.LBB483_111:                            ;   in Loop: Header=BB483_112 Depth=1
	s_and_b64 s[40:41], exec, s[14:15]
	s_or_b64 s[6:7], s[40:41], s[6:7]
	v_pk_mov_b32 v[22:23], s[38:39], s[38:39] op_sel:[0,1]
	s_andn2_b64 exec, exec, s[6:7]
	s_cbranch_execz .LBB483_114
.LBB483_112:                            ; =>This Inner Loop Header: Depth=1
	s_or_b64 s[14:15], s[14:15], exec
	s_cmp_eq_u64 s[4:5], s[38:39]
	s_cbranch_scc0 .LBB483_110
; %bb.113:                              ;   in Loop: Header=BB483_112 Depth=1
                                        ; implicit-def: $vgpr18_vgpr19
                                        ; implicit-def: $vgpr20_vgpr21
	s_mov_b64 s[38:39], s[26:27]
	s_branch .LBB483_111
.LBB483_114:
	s_or_b64 exec, exec, s[6:7]
	v_cmp_gt_i64_e32 vcc, s[26:27], v[22:23]
	s_orn2_b64 s[14:15], vcc, exec
.LBB483_115:
	s_or_b64 exec, exec, s[10:11]
.LBB483_116:
	s_and_b64 s[38:39], s[14:15], exec
.LBB483_117:
	s_or_b64 exec, exec, s[8:9]
	v_or_b32_e32 v28, v26, v27
.LBB483_118:
	s_mov_b64 s[14:15], -1
	s_cbranch_execnz .LBB483_207
.LBB483_119:
	v_lshlrev_b32_e32 v29, 3, v0
	s_mov_b64 s[38:39], 0
	v_cmp_gt_i64_e64 s[10:11], s[26:27], 0
	s_and_b64 vcc, exec, s[34:35]
	ds_write_b64 v29, v[12:13]
	s_cbranch_vccz .LBB483_127
; %bb.120:
	v_mul_lo_u32 v20, v11, s26
	v_mul_lo_u32 v21, v10, s27
	s_waitcnt vmcnt(0) lgkmcnt(1)
	v_mad_u64_u32 v[18:19], s[4:5], v10, s26, 0
	v_add3_u32 v19, v19, v21, v20
	v_cndmask_b32_e64 v20, 0, 1, s[10:11]
	v_cmp_ne_u32_e64 s[4:5], 1, v20
	s_andn2_b64 vcc, exec, s[10:11]
	v_lshlrev_b64 v[18:19], 2, v[18:19]
	s_cbranch_vccnz .LBB483_130
; %bb.121:
	v_mul_lo_u32 v22, v13, s26
	v_mul_lo_u32 v23, v12, s27
	v_mad_u64_u32 v[20:21], s[6:7], v12, s26, 0
	v_add3_u32 v21, v21, v23, v22
	v_mov_b32_e32 v23, s17
	v_add_co_u32_e32 v22, vcc, s16, v18
	v_addc_co_u32_e64 v23, s[6:7], v23, v19, vcc
	v_lshlrev_b64 v[20:21], 2, v[20:21]
	v_mov_b32_e32 v25, s17
	v_add_co_u32_e64 v24, s[6:7], s16, v20
	v_addc_co_u32_e64 v25, s[8:9], v25, v21, s[6:7]
	global_load_dword v20, v[22:23], off
	global_load_dword v26, v[24:25], off
	s_mov_b64 s[38:39], -1
	s_waitcnt vmcnt(0)
	v_cmp_eq_u32_e64 s[8:9], v20, v26
	s_and_saveexec_b64 s[40:41], s[8:9]
	s_cbranch_execz .LBB483_129
; %bb.122:
	v_mov_b32_e32 v20, s17
	v_addc_co_u32_e64 v21, s[6:7], v21, v20, s[6:7]
	v_add_co_u32_e64 v20, s[6:7], 4, v24
	v_mov_b32_e32 v23, s17
	v_addc_co_u32_e64 v21, s[6:7], 0, v21, s[6:7]
	v_addc_co_u32_e32 v23, vcc, v19, v23, vcc
	v_add_co_u32_e32 v22, vcc, 4, v22
	s_add_u32 s6, s26, -1
	v_addc_co_u32_e32 v23, vcc, 0, v23, vcc
	s_addc_u32 s7, s27, -1
	s_mov_b64 s[8:9], 0
	s_mov_b64 s[42:43], 0
                                        ; implicit-def: $sgpr38_sgpr39
	s_branch .LBB483_125
.LBB483_123:                            ;   in Loop: Header=BB483_125 Depth=1
	global_load_dword v24, v[22:23], off
	global_load_dword v25, v[20:21], off
	v_add_co_u32_e32 v20, vcc, 4, v20
	v_addc_co_u32_e32 v21, vcc, 0, v21, vcc
	v_add_co_u32_e32 v22, vcc, 4, v22
	v_addc_co_u32_e32 v23, vcc, 0, v23, vcc
	s_add_u32 s42, s42, 1
	s_addc_u32 s43, s43, 0
	s_andn2_b64 s[38:39], s[38:39], exec
	s_waitcnt vmcnt(0)
	v_cmp_ne_u32_e32 vcc, v24, v25
	s_and_b64 s[44:45], vcc, exec
	s_or_b64 s[38:39], s[38:39], s[44:45]
.LBB483_124:                            ;   in Loop: Header=BB483_125 Depth=1
	s_and_b64 s[44:45], exec, s[38:39]
	s_or_b64 s[8:9], s[44:45], s[8:9]
	v_pk_mov_b32 v[24:25], s[42:43], s[42:43] op_sel:[0,1]
	s_andn2_b64 exec, exec, s[8:9]
	s_cbranch_execz .LBB483_128
.LBB483_125:                            ; =>This Inner Loop Header: Depth=1
	s_or_b64 s[38:39], s[38:39], exec
	s_cmp_eq_u64 s[6:7], s[42:43]
	s_cbranch_scc0 .LBB483_123
; %bb.126:                              ;   in Loop: Header=BB483_125 Depth=1
                                        ; implicit-def: $vgpr20_vgpr21
                                        ; implicit-def: $vgpr22_vgpr23
	s_mov_b64 s[42:43], s[26:27]
	s_branch .LBB483_124
.LBB483_127:
                                        ; implicit-def: $sgpr38_sgpr39
                                        ; implicit-def: $vgpr28
	s_cbranch_execnz .LBB483_160
	s_branch .LBB483_207
.LBB483_128:
	s_or_b64 exec, exec, s[8:9]
	v_cmp_gt_i64_e32 vcc, s[26:27], v[24:25]
	s_orn2_b64 s[38:39], vcc, exec
.LBB483_129:
	s_or_b64 exec, exec, s[40:41]
.LBB483_130:
	v_mul_lo_u32 v22, v17, s26
	v_mul_lo_u32 v23, v16, s27
	v_mad_u64_u32 v[20:21], s[6:7], v16, s26, 0
	v_add3_u32 v21, v21, v23, v22
	s_mov_b64 s[40:41], 0
	s_and_b64 vcc, exec, s[4:5]
	v_lshlrev_b64 v[20:21], 2, v[20:21]
	s_mov_b64 s[42:43], 0
	s_cbranch_vccnz .LBB483_139
; %bb.131:
	v_mov_b32_e32 v23, s17
	v_add_co_u32_e32 v22, vcc, s16, v20
	v_addc_co_u32_e64 v23, s[6:7], v23, v21, vcc
	v_mov_b32_e32 v25, s17
	v_add_co_u32_e64 v24, s[6:7], s16, v18
	v_addc_co_u32_e64 v25, s[8:9], v25, v19, s[6:7]
	global_load_dword v18, v[22:23], off
	global_load_dword v26, v[24:25], off
	s_mov_b64 s[42:43], -1
	s_waitcnt vmcnt(0)
	v_cmp_eq_u32_e64 s[8:9], v18, v26
	s_and_saveexec_b64 s[44:45], s[8:9]
	s_cbranch_execz .LBB483_138
; %bb.132:
	v_mov_b32_e32 v18, s17
	v_addc_co_u32_e64 v19, s[6:7], v19, v18, s[6:7]
	v_add_co_u32_e64 v18, s[6:7], 4, v24
	v_mov_b32_e32 v23, s17
	v_addc_co_u32_e64 v19, s[6:7], 0, v19, s[6:7]
	v_addc_co_u32_e32 v23, vcc, v21, v23, vcc
	v_add_co_u32_e32 v22, vcc, 4, v22
	s_add_u32 s6, s26, -1
	v_addc_co_u32_e32 v23, vcc, 0, v23, vcc
	s_addc_u32 s7, s27, -1
	s_mov_b64 s[8:9], 0
	s_mov_b64 s[46:47], 0
                                        ; implicit-def: $sgpr42_sgpr43
	s_branch .LBB483_135
.LBB483_133:                            ;   in Loop: Header=BB483_135 Depth=1
	global_load_dword v24, v[22:23], off
	global_load_dword v25, v[18:19], off
	v_add_co_u32_e32 v18, vcc, 4, v18
	v_addc_co_u32_e32 v19, vcc, 0, v19, vcc
	v_add_co_u32_e32 v22, vcc, 4, v22
	v_addc_co_u32_e32 v23, vcc, 0, v23, vcc
	s_add_u32 s46, s46, 1
	s_addc_u32 s47, s47, 0
	s_andn2_b64 s[42:43], s[42:43], exec
	s_waitcnt vmcnt(0)
	v_cmp_ne_u32_e32 vcc, v24, v25
	s_and_b64 s[50:51], vcc, exec
	s_or_b64 s[42:43], s[42:43], s[50:51]
.LBB483_134:                            ;   in Loop: Header=BB483_135 Depth=1
	s_and_b64 s[50:51], exec, s[42:43]
	s_or_b64 s[8:9], s[50:51], s[8:9]
	v_pk_mov_b32 v[24:25], s[46:47], s[46:47] op_sel:[0,1]
	s_andn2_b64 exec, exec, s[8:9]
	s_cbranch_execz .LBB483_137
.LBB483_135:                            ; =>This Inner Loop Header: Depth=1
	s_or_b64 s[42:43], s[42:43], exec
	s_cmp_eq_u64 s[6:7], s[46:47]
	s_cbranch_scc0 .LBB483_133
; %bb.136:                              ;   in Loop: Header=BB483_135 Depth=1
                                        ; implicit-def: $vgpr18_vgpr19
                                        ; implicit-def: $vgpr22_vgpr23
	s_mov_b64 s[46:47], s[26:27]
	s_branch .LBB483_134
.LBB483_137:
	s_or_b64 exec, exec, s[8:9]
	v_cmp_gt_i64_e32 vcc, s[26:27], v[24:25]
	s_orn2_b64 s[42:43], vcc, exec
.LBB483_138:
	s_or_b64 exec, exec, s[44:45]
.LBB483_139:
	v_mul_lo_u32 v22, v15, s26
	v_mul_lo_u32 v23, v14, s27
	v_mad_u64_u32 v[18:19], s[6:7], v14, s26, 0
	s_and_b64 vcc, exec, s[4:5]
	v_add3_u32 v19, v19, v23, v22
	s_cbranch_vccnz .LBB483_148
; %bb.140:
	v_lshlrev_b64 v[22:23], 2, v[18:19]
	v_mov_b32_e32 v25, s17
	v_add_co_u32_e32 v24, vcc, s16, v22
	v_addc_co_u32_e64 v25, s[6:7], v25, v23, vcc
	v_mov_b32_e32 v22, s17
	v_add_co_u32_e64 v26, s[6:7], s16, v20
	v_addc_co_u32_e64 v27, s[8:9], v22, v21, s[6:7]
	global_load_dword v20, v[24:25], off
	global_load_dword v22, v[26:27], off
	s_mov_b64 s[40:41], -1
	s_waitcnt vmcnt(0)
	v_cmp_eq_u32_e64 s[8:9], v20, v22
	s_and_saveexec_b64 s[44:45], s[8:9]
	s_cbranch_execz .LBB483_147
; %bb.141:
	v_mov_b32_e32 v20, s17
	v_addc_co_u32_e64 v21, s[6:7], v21, v20, s[6:7]
	v_add_co_u32_e64 v20, s[6:7], 4, v26
	v_mov_b32_e32 v22, s17
	v_addc_co_u32_e64 v21, s[6:7], 0, v21, s[6:7]
	v_addc_co_u32_e32 v23, vcc, v23, v22, vcc
	v_add_co_u32_e32 v22, vcc, 4, v24
	s_add_u32 s6, s26, -1
	v_addc_co_u32_e32 v23, vcc, 0, v23, vcc
	s_addc_u32 s7, s27, -1
	s_mov_b64 s[8:9], 0
	s_mov_b64 s[46:47], 0
                                        ; implicit-def: $sgpr40_sgpr41
	s_branch .LBB483_144
.LBB483_142:                            ;   in Loop: Header=BB483_144 Depth=1
	global_load_dword v24, v[22:23], off
	global_load_dword v25, v[20:21], off
	v_add_co_u32_e32 v20, vcc, 4, v20
	v_addc_co_u32_e32 v21, vcc, 0, v21, vcc
	v_add_co_u32_e32 v22, vcc, 4, v22
	v_addc_co_u32_e32 v23, vcc, 0, v23, vcc
	s_add_u32 s46, s46, 1
	s_addc_u32 s47, s47, 0
	s_andn2_b64 s[40:41], s[40:41], exec
	s_waitcnt vmcnt(0)
	v_cmp_ne_u32_e32 vcc, v24, v25
	s_and_b64 s[50:51], vcc, exec
	s_or_b64 s[40:41], s[40:41], s[50:51]
.LBB483_143:                            ;   in Loop: Header=BB483_144 Depth=1
	s_and_b64 s[50:51], exec, s[40:41]
	s_or_b64 s[8:9], s[50:51], s[8:9]
	v_pk_mov_b32 v[24:25], s[46:47], s[46:47] op_sel:[0,1]
	s_andn2_b64 exec, exec, s[8:9]
	s_cbranch_execz .LBB483_146
.LBB483_144:                            ; =>This Inner Loop Header: Depth=1
	s_or_b64 s[40:41], s[40:41], exec
	s_cmp_eq_u64 s[6:7], s[46:47]
	s_cbranch_scc0 .LBB483_142
; %bb.145:                              ;   in Loop: Header=BB483_144 Depth=1
                                        ; implicit-def: $vgpr20_vgpr21
                                        ; implicit-def: $vgpr22_vgpr23
	s_mov_b64 s[46:47], s[26:27]
	s_branch .LBB483_143
.LBB483_146:
	s_or_b64 exec, exec, s[8:9]
	v_cmp_gt_i64_e32 vcc, s[26:27], v[24:25]
	s_orn2_b64 s[40:41], vcc, exec
.LBB483_147:
	s_or_b64 exec, exec, s[44:45]
.LBB483_148:
	v_cndmask_b32_e64 v21, 0, 1, s[38:39]
	v_cndmask_b32_e64 v22, 0, 1, s[40:41]
	;; [unrolled: 1-line block ×3, first 2 shown]
	v_lshlrev_b16_e32 v22, 8, v22
	v_lshlrev_b16_e32 v21, 8, v21
	v_or_b32_e32 v22, 1, v22
	v_or_b32_sdwa v20, v20, v21 dst_sel:WORD_1 dst_unused:UNUSED_PAD src0_sel:DWORD src1_sel:DWORD
	v_or_b32_sdwa v28, v22, v20 dst_sel:DWORD dst_unused:UNUSED_PAD src0_sel:WORD_0 src1_sel:DWORD
	s_waitcnt lgkmcnt(0)
	s_barrier
	s_waitcnt lgkmcnt(0)
                                        ; implicit-def: $sgpr38_sgpr39
	s_and_saveexec_b64 s[6:7], s[2:3]
	s_xor_b64 s[8:9], exec, s[6:7]
	s_cbranch_execz .LBB483_159
; %bb.149:
	s_and_b64 vcc, exec, s[4:5]
	s_mov_b64 s[40:41], 0
	s_cbranch_vccnz .LBB483_158
; %bb.150:
	v_add_u32_e32 v20, -8, v29
	ds_read_b64 v[20:21], v20
	v_mov_b32_e32 v23, s17
	v_lshlrev_b64 v[18:19], 2, v[18:19]
	s_mov_b64 s[40:41], -1
	s_waitcnt lgkmcnt(0)
	v_mul_lo_u32 v22, v21, s26
	v_mul_lo_u32 v24, v20, s27
	v_mad_u64_u32 v[20:21], s[4:5], v20, s26, 0
	v_add3_u32 v21, v21, v24, v22
	v_lshlrev_b64 v[20:21], 2, v[20:21]
	v_add_co_u32_e32 v22, vcc, s16, v20
	v_addc_co_u32_e64 v23, s[4:5], v23, v21, vcc
	v_mov_b32_e32 v20, s17
	v_add_co_u32_e64 v24, s[4:5], s16, v18
	v_addc_co_u32_e64 v25, s[6:7], v20, v19, s[4:5]
	global_load_dword v18, v[22:23], off
	global_load_dword v20, v[24:25], off
	s_waitcnt vmcnt(0)
	v_cmp_eq_u32_e64 s[6:7], v18, v20
	s_and_saveexec_b64 s[38:39], s[6:7]
	s_cbranch_execz .LBB483_157
; %bb.151:
	v_mov_b32_e32 v18, s17
	v_addc_co_u32_e64 v19, s[4:5], v19, v18, s[4:5]
	v_add_co_u32_e64 v18, s[4:5], 4, v24
	v_mov_b32_e32 v20, s17
	v_addc_co_u32_e64 v19, s[4:5], 0, v19, s[4:5]
	v_addc_co_u32_e32 v21, vcc, v21, v20, vcc
	v_add_co_u32_e32 v20, vcc, 4, v22
	s_add_u32 s4, s26, -1
	v_addc_co_u32_e32 v21, vcc, 0, v21, vcc
	s_addc_u32 s5, s27, -1
	s_mov_b64 s[6:7], 0
	s_mov_b64 s[42:43], 0
                                        ; implicit-def: $sgpr40_sgpr41
	s_branch .LBB483_154
.LBB483_152:                            ;   in Loop: Header=BB483_154 Depth=1
	global_load_dword v22, v[20:21], off
	global_load_dword v23, v[18:19], off
	v_add_co_u32_e32 v18, vcc, 4, v18
	v_addc_co_u32_e32 v19, vcc, 0, v19, vcc
	v_add_co_u32_e32 v20, vcc, 4, v20
	v_addc_co_u32_e32 v21, vcc, 0, v21, vcc
	s_add_u32 s42, s42, 1
	s_addc_u32 s43, s43, 0
	s_andn2_b64 s[40:41], s[40:41], exec
	s_waitcnt vmcnt(0)
	v_cmp_ne_u32_e32 vcc, v22, v23
	s_and_b64 s[44:45], vcc, exec
	s_or_b64 s[40:41], s[40:41], s[44:45]
.LBB483_153:                            ;   in Loop: Header=BB483_154 Depth=1
	s_and_b64 s[44:45], exec, s[40:41]
	s_or_b64 s[6:7], s[44:45], s[6:7]
	v_pk_mov_b32 v[22:23], s[42:43], s[42:43] op_sel:[0,1]
	s_andn2_b64 exec, exec, s[6:7]
	s_cbranch_execz .LBB483_156
.LBB483_154:                            ; =>This Inner Loop Header: Depth=1
	s_or_b64 s[40:41], s[40:41], exec
	s_cmp_eq_u64 s[4:5], s[42:43]
	s_cbranch_scc0 .LBB483_152
; %bb.155:                              ;   in Loop: Header=BB483_154 Depth=1
                                        ; implicit-def: $vgpr18_vgpr19
                                        ; implicit-def: $vgpr20_vgpr21
	s_mov_b64 s[42:43], s[26:27]
	s_branch .LBB483_153
.LBB483_156:
	s_or_b64 exec, exec, s[6:7]
	v_cmp_gt_i64_e32 vcc, s[26:27], v[22:23]
	s_orn2_b64 s[40:41], vcc, exec
.LBB483_157:
	s_or_b64 exec, exec, s[38:39]
.LBB483_158:
	s_and_b64 s[38:39], s[40:41], exec
	s_or_b64 s[14:15], s[14:15], exec
.LBB483_159:
	s_or_b64 exec, exec, s[8:9]
	s_branch .LBB483_207
.LBB483_160:
	s_waitcnt vmcnt(0) lgkmcnt(1)
	v_or_b32_e32 v18, 3, v1
	v_cmp_gt_u32_e32 vcc, s48, v18
	s_mov_b64 s[38:39], 0
	s_mov_b64 s[8:9], 0
	s_and_saveexec_b64 s[40:41], vcc
	s_cbranch_execz .LBB483_171
; %bb.161:
	s_andn2_b64 vcc, exec, s[10:11]
	s_mov_b64 s[42:43], 0
	s_cbranch_vccnz .LBB483_170
; %bb.162:
	v_mul_lo_u32 v20, v11, s26
	v_mul_lo_u32 v21, v10, s27
	v_mad_u64_u32 v[18:19], s[4:5], v10, s26, 0
	v_add3_u32 v19, v19, v21, v20
	v_mul_lo_u32 v20, v13, s26
	v_mul_lo_u32 v21, v12, s27
	v_mad_u64_u32 v[24:25], s[4:5], v12, s26, 0
	v_add3_u32 v25, v25, v21, v20
	v_lshlrev_b64 v[20:21], 2, v[18:19]
	v_mov_b32_e32 v18, s17
	v_add_co_u32_e32 v22, vcc, s16, v20
	v_addc_co_u32_e64 v23, s[4:5], v18, v21, vcc
	v_lshlrev_b64 v[18:19], 2, v[24:25]
	v_mov_b32_e32 v20, s17
	v_add_co_u32_e64 v24, s[4:5], s16, v18
	v_addc_co_u32_e64 v25, s[6:7], v20, v19, s[4:5]
	global_load_dword v18, v[22:23], off
	global_load_dword v20, v[24:25], off
	s_mov_b64 s[42:43], -1
	s_waitcnt vmcnt(0)
	v_cmp_eq_u32_e64 s[6:7], v18, v20
	s_and_saveexec_b64 s[8:9], s[6:7]
	s_cbranch_execz .LBB483_169
; %bb.163:
	v_mov_b32_e32 v18, s17
	v_addc_co_u32_e64 v19, s[4:5], v19, v18, s[4:5]
	v_add_co_u32_e64 v18, s[4:5], 4, v24
	v_mov_b32_e32 v20, s17
	v_addc_co_u32_e64 v19, s[4:5], 0, v19, s[4:5]
	v_addc_co_u32_e32 v21, vcc, v21, v20, vcc
	v_add_co_u32_e32 v20, vcc, 4, v22
	s_add_u32 s4, s26, -1
	v_addc_co_u32_e32 v21, vcc, 0, v21, vcc
	s_addc_u32 s5, s27, -1
	s_mov_b64 s[6:7], 0
	s_mov_b64 s[44:45], 0
                                        ; implicit-def: $sgpr42_sgpr43
	s_branch .LBB483_166
.LBB483_164:                            ;   in Loop: Header=BB483_166 Depth=1
	global_load_dword v22, v[20:21], off
	global_load_dword v23, v[18:19], off
	v_add_co_u32_e32 v18, vcc, 4, v18
	v_addc_co_u32_e32 v19, vcc, 0, v19, vcc
	v_add_co_u32_e32 v20, vcc, 4, v20
	v_addc_co_u32_e32 v21, vcc, 0, v21, vcc
	s_add_u32 s44, s44, 1
	s_addc_u32 s45, s45, 0
	s_andn2_b64 s[42:43], s[42:43], exec
	s_waitcnt vmcnt(0)
	v_cmp_ne_u32_e32 vcc, v22, v23
	s_and_b64 s[46:47], vcc, exec
	s_or_b64 s[42:43], s[42:43], s[46:47]
.LBB483_165:                            ;   in Loop: Header=BB483_166 Depth=1
	s_and_b64 s[46:47], exec, s[42:43]
	s_or_b64 s[6:7], s[46:47], s[6:7]
	v_pk_mov_b32 v[22:23], s[44:45], s[44:45] op_sel:[0,1]
	s_andn2_b64 exec, exec, s[6:7]
	s_cbranch_execz .LBB483_168
.LBB483_166:                            ; =>This Inner Loop Header: Depth=1
	s_or_b64 s[42:43], s[42:43], exec
	s_cmp_eq_u64 s[4:5], s[44:45]
	s_cbranch_scc0 .LBB483_164
; %bb.167:                              ;   in Loop: Header=BB483_166 Depth=1
                                        ; implicit-def: $vgpr18_vgpr19
                                        ; implicit-def: $vgpr20_vgpr21
	s_mov_b64 s[44:45], s[26:27]
	s_branch .LBB483_165
.LBB483_168:
	s_or_b64 exec, exec, s[6:7]
	v_cmp_gt_i64_e32 vcc, s[26:27], v[22:23]
	s_orn2_b64 s[42:43], vcc, exec
.LBB483_169:
	s_or_b64 exec, exec, s[8:9]
.LBB483_170:
	s_and_b64 s[8:9], s[42:43], exec
.LBB483_171:
	s_or_b64 exec, exec, s[40:41]
	v_or_b32_e32 v18, 2, v1
	v_cmp_gt_u32_e32 vcc, s48, v18
	s_and_saveexec_b64 s[40:41], vcc
	s_cbranch_execz .LBB483_182
; %bb.172:
	s_andn2_b64 vcc, exec, s[10:11]
	s_mov_b64 s[42:43], 0
	s_cbranch_vccnz .LBB483_181
; %bb.173:
	v_mul_lo_u32 v20, v17, s26
	v_mul_lo_u32 v21, v16, s27
	v_mad_u64_u32 v[18:19], s[4:5], v16, s26, 0
	v_add3_u32 v19, v19, v21, v20
	v_mul_lo_u32 v20, v11, s26
	v_mul_lo_u32 v21, v10, s27
	v_mad_u64_u32 v[24:25], s[4:5], v10, s26, 0
	v_add3_u32 v25, v25, v21, v20
	v_lshlrev_b64 v[20:21], 2, v[18:19]
	v_mov_b32_e32 v18, s17
	v_add_co_u32_e32 v22, vcc, s16, v20
	v_addc_co_u32_e64 v23, s[4:5], v18, v21, vcc
	v_lshlrev_b64 v[18:19], 2, v[24:25]
	v_mov_b32_e32 v20, s17
	v_add_co_u32_e64 v24, s[4:5], s16, v18
	v_addc_co_u32_e64 v25, s[6:7], v20, v19, s[4:5]
	global_load_dword v18, v[22:23], off
	global_load_dword v20, v[24:25], off
	s_mov_b64 s[42:43], -1
	s_waitcnt vmcnt(0)
	v_cmp_eq_u32_e64 s[6:7], v18, v20
	s_and_saveexec_b64 s[38:39], s[6:7]
	s_cbranch_execz .LBB483_180
; %bb.174:
	v_mov_b32_e32 v18, s17
	v_addc_co_u32_e64 v19, s[4:5], v19, v18, s[4:5]
	v_add_co_u32_e64 v18, s[4:5], 4, v24
	v_mov_b32_e32 v20, s17
	v_addc_co_u32_e64 v19, s[4:5], 0, v19, s[4:5]
	v_addc_co_u32_e32 v21, vcc, v21, v20, vcc
	v_add_co_u32_e32 v20, vcc, 4, v22
	s_add_u32 s4, s26, -1
	v_addc_co_u32_e32 v21, vcc, 0, v21, vcc
	s_addc_u32 s5, s27, -1
	s_mov_b64 s[6:7], 0
	s_mov_b64 s[44:45], 0
                                        ; implicit-def: $sgpr42_sgpr43
	s_branch .LBB483_177
.LBB483_175:                            ;   in Loop: Header=BB483_177 Depth=1
	global_load_dword v22, v[20:21], off
	global_load_dword v23, v[18:19], off
	v_add_co_u32_e32 v18, vcc, 4, v18
	v_addc_co_u32_e32 v19, vcc, 0, v19, vcc
	v_add_co_u32_e32 v20, vcc, 4, v20
	v_addc_co_u32_e32 v21, vcc, 0, v21, vcc
	s_add_u32 s44, s44, 1
	s_addc_u32 s45, s45, 0
	s_andn2_b64 s[42:43], s[42:43], exec
	s_waitcnt vmcnt(0)
	v_cmp_ne_u32_e32 vcc, v22, v23
	s_and_b64 s[46:47], vcc, exec
	s_or_b64 s[42:43], s[42:43], s[46:47]
.LBB483_176:                            ;   in Loop: Header=BB483_177 Depth=1
	s_and_b64 s[46:47], exec, s[42:43]
	s_or_b64 s[6:7], s[46:47], s[6:7]
	v_pk_mov_b32 v[22:23], s[44:45], s[44:45] op_sel:[0,1]
	s_andn2_b64 exec, exec, s[6:7]
	s_cbranch_execz .LBB483_179
.LBB483_177:                            ; =>This Inner Loop Header: Depth=1
	s_or_b64 s[42:43], s[42:43], exec
	s_cmp_eq_u64 s[4:5], s[44:45]
	s_cbranch_scc0 .LBB483_175
; %bb.178:                              ;   in Loop: Header=BB483_177 Depth=1
                                        ; implicit-def: $vgpr18_vgpr19
                                        ; implicit-def: $vgpr20_vgpr21
	s_mov_b64 s[44:45], s[26:27]
	s_branch .LBB483_176
.LBB483_179:
	s_or_b64 exec, exec, s[6:7]
	v_cmp_gt_i64_e32 vcc, s[26:27], v[22:23]
	s_orn2_b64 s[42:43], vcc, exec
.LBB483_180:
	s_or_b64 exec, exec, s[38:39]
.LBB483_181:
	s_and_b64 s[38:39], s[42:43], exec
.LBB483_182:
	s_or_b64 exec, exec, s[40:41]
	v_or_b32_e32 v18, 1, v1
	v_cmp_gt_u32_e32 vcc, s48, v18
	s_mov_b64 s[4:5], 0
	s_and_saveexec_b64 s[40:41], vcc
	s_cbranch_execz .LBB483_193
; %bb.183:
	s_andn2_b64 vcc, exec, s[10:11]
	s_mov_b64 s[44:45], 0
	s_cbranch_vccnz .LBB483_192
; %bb.184:
	v_mul_lo_u32 v20, v15, s26
	v_mul_lo_u32 v21, v14, s27
	v_mad_u64_u32 v[18:19], s[4:5], v14, s26, 0
	v_add3_u32 v19, v19, v21, v20
	v_mul_lo_u32 v20, v17, s26
	v_mul_lo_u32 v21, v16, s27
	v_mad_u64_u32 v[24:25], s[4:5], v16, s26, 0
	v_add3_u32 v25, v25, v21, v20
	v_lshlrev_b64 v[20:21], 2, v[18:19]
	v_mov_b32_e32 v18, s17
	v_add_co_u32_e32 v22, vcc, s16, v20
	v_addc_co_u32_e64 v23, s[4:5], v18, v21, vcc
	v_lshlrev_b64 v[18:19], 2, v[24:25]
	v_mov_b32_e32 v20, s17
	v_add_co_u32_e64 v24, s[4:5], s16, v18
	v_addc_co_u32_e64 v25, s[6:7], v20, v19, s[4:5]
	global_load_dword v18, v[22:23], off
	global_load_dword v20, v[24:25], off
	s_mov_b64 s[44:45], -1
	s_waitcnt vmcnt(0)
	v_cmp_eq_u32_e64 s[6:7], v18, v20
	s_and_saveexec_b64 s[42:43], s[6:7]
	s_cbranch_execz .LBB483_191
; %bb.185:
	v_mov_b32_e32 v18, s17
	v_addc_co_u32_e64 v19, s[4:5], v19, v18, s[4:5]
	v_add_co_u32_e64 v18, s[4:5], 4, v24
	v_mov_b32_e32 v20, s17
	v_addc_co_u32_e64 v19, s[4:5], 0, v19, s[4:5]
	v_addc_co_u32_e32 v21, vcc, v21, v20, vcc
	v_add_co_u32_e32 v20, vcc, 4, v22
	s_add_u32 s4, s26, -1
	v_addc_co_u32_e32 v21, vcc, 0, v21, vcc
	s_addc_u32 s5, s27, -1
	s_mov_b64 s[6:7], 0
	s_mov_b64 s[46:47], 0
                                        ; implicit-def: $sgpr44_sgpr45
	s_branch .LBB483_188
.LBB483_186:                            ;   in Loop: Header=BB483_188 Depth=1
	global_load_dword v22, v[20:21], off
	global_load_dword v23, v[18:19], off
	v_add_co_u32_e32 v18, vcc, 4, v18
	v_addc_co_u32_e32 v19, vcc, 0, v19, vcc
	v_add_co_u32_e32 v20, vcc, 4, v20
	v_addc_co_u32_e32 v21, vcc, 0, v21, vcc
	s_add_u32 s46, s46, 1
	s_addc_u32 s47, s47, 0
	s_andn2_b64 s[44:45], s[44:45], exec
	s_waitcnt vmcnt(0)
	v_cmp_ne_u32_e32 vcc, v22, v23
	s_and_b64 s[50:51], vcc, exec
	s_or_b64 s[44:45], s[44:45], s[50:51]
.LBB483_187:                            ;   in Loop: Header=BB483_188 Depth=1
	s_and_b64 s[50:51], exec, s[44:45]
	s_or_b64 s[6:7], s[50:51], s[6:7]
	v_pk_mov_b32 v[22:23], s[46:47], s[46:47] op_sel:[0,1]
	s_andn2_b64 exec, exec, s[6:7]
	s_cbranch_execz .LBB483_190
.LBB483_188:                            ; =>This Inner Loop Header: Depth=1
	s_or_b64 s[44:45], s[44:45], exec
	s_cmp_eq_u64 s[4:5], s[46:47]
	s_cbranch_scc0 .LBB483_186
; %bb.189:                              ;   in Loop: Header=BB483_188 Depth=1
                                        ; implicit-def: $vgpr18_vgpr19
                                        ; implicit-def: $vgpr20_vgpr21
	s_mov_b64 s[46:47], s[26:27]
	s_branch .LBB483_187
.LBB483_190:
	s_or_b64 exec, exec, s[6:7]
	v_cmp_gt_i64_e32 vcc, s[26:27], v[22:23]
	s_orn2_b64 s[44:45], vcc, exec
.LBB483_191:
	s_or_b64 exec, exec, s[42:43]
.LBB483_192:
	s_and_b64 s[4:5], s[44:45], exec
.LBB483_193:
	s_or_b64 exec, exec, s[40:41]
	v_cndmask_b32_e64 v19, 0, 1, s[8:9]
	v_cndmask_b32_e64 v20, 0, 1, s[4:5]
	;; [unrolled: 1-line block ×3, first 2 shown]
	v_lshlrev_b16_e32 v20, 8, v20
	v_lshlrev_b16_e32 v19, 8, v19
	v_or_b32_e32 v20, 1, v20
	v_or_b32_sdwa v18, v18, v19 dst_sel:WORD_1 dst_unused:UNUSED_PAD src0_sel:DWORD src1_sel:DWORD
	v_or_b32_sdwa v28, v20, v18 dst_sel:DWORD dst_unused:UNUSED_PAD src0_sel:WORD_0 src1_sel:DWORD
	s_waitcnt lgkmcnt(0)
	s_barrier
	s_waitcnt lgkmcnt(0)
                                        ; implicit-def: $sgpr38_sgpr39
	s_and_saveexec_b64 s[6:7], s[2:3]
	s_cbranch_execz .LBB483_206
; %bb.194:
	v_cmp_gt_u32_e32 vcc, s48, v1
	s_mov_b64 s[2:3], 0
	s_and_saveexec_b64 s[8:9], vcc
	s_cbranch_execz .LBB483_205
; %bb.195:
	s_andn2_b64 vcc, exec, s[10:11]
	s_mov_b64 s[38:39], 0
	s_cbranch_vccnz .LBB483_204
; %bb.196:
	v_add_u32_e32 v18, -8, v29
	ds_read_b64 v[18:19], v18
	v_mul_lo_u32 v20, v15, s26
	v_mad_u64_u32 v[24:25], s[2:3], v14, s26, 0
	s_mov_b64 s[38:39], -1
	s_waitcnt lgkmcnt(0)
	v_mul_lo_u32 v21, v19, s26
	v_mul_lo_u32 v22, v18, s27
	v_mad_u64_u32 v[18:19], s[2:3], v18, s26, 0
	v_add3_u32 v19, v19, v22, v21
	v_mul_lo_u32 v21, v14, s27
	v_add3_u32 v25, v25, v21, v20
	v_lshlrev_b64 v[20:21], 2, v[18:19]
	v_mov_b32_e32 v18, s17
	v_add_co_u32_e32 v22, vcc, s16, v20
	v_addc_co_u32_e64 v23, s[2:3], v18, v21, vcc
	v_lshlrev_b64 v[18:19], 2, v[24:25]
	v_mov_b32_e32 v20, s17
	v_add_co_u32_e64 v24, s[2:3], s16, v18
	v_addc_co_u32_e64 v25, s[4:5], v20, v19, s[2:3]
	global_load_dword v18, v[22:23], off
	global_load_dword v20, v[24:25], off
	s_waitcnt vmcnt(0)
	v_cmp_eq_u32_e64 s[4:5], v18, v20
	s_and_saveexec_b64 s[10:11], s[4:5]
	s_cbranch_execz .LBB483_203
; %bb.197:
	v_mov_b32_e32 v18, s17
	v_addc_co_u32_e64 v19, s[2:3], v19, v18, s[2:3]
	v_add_co_u32_e64 v18, s[2:3], 4, v24
	v_mov_b32_e32 v20, s17
	v_addc_co_u32_e64 v19, s[2:3], 0, v19, s[2:3]
	v_addc_co_u32_e32 v21, vcc, v21, v20, vcc
	v_add_co_u32_e32 v20, vcc, 4, v22
	s_add_u32 s2, s26, -1
	v_addc_co_u32_e32 v21, vcc, 0, v21, vcc
	s_addc_u32 s3, s27, -1
	s_mov_b64 s[4:5], 0
	s_mov_b64 s[38:39], 0
                                        ; implicit-def: $sgpr16_sgpr17
	s_branch .LBB483_200
.LBB483_198:                            ;   in Loop: Header=BB483_200 Depth=1
	global_load_dword v22, v[20:21], off
	global_load_dword v23, v[18:19], off
	v_add_co_u32_e32 v18, vcc, 4, v18
	v_addc_co_u32_e32 v19, vcc, 0, v19, vcc
	v_add_co_u32_e32 v20, vcc, 4, v20
	v_addc_co_u32_e32 v21, vcc, 0, v21, vcc
	s_add_u32 s38, s38, 1
	s_addc_u32 s39, s39, 0
	s_andn2_b64 s[16:17], s[16:17], exec
	s_waitcnt vmcnt(0)
	v_cmp_ne_u32_e32 vcc, v22, v23
	s_and_b64 s[40:41], vcc, exec
	s_or_b64 s[16:17], s[16:17], s[40:41]
.LBB483_199:                            ;   in Loop: Header=BB483_200 Depth=1
	s_and_b64 s[40:41], exec, s[16:17]
	s_or_b64 s[4:5], s[40:41], s[4:5]
	v_pk_mov_b32 v[22:23], s[38:39], s[38:39] op_sel:[0,1]
	s_andn2_b64 exec, exec, s[4:5]
	s_cbranch_execz .LBB483_202
.LBB483_200:                            ; =>This Inner Loop Header: Depth=1
	s_or_b64 s[16:17], s[16:17], exec
	s_cmp_eq_u64 s[2:3], s[38:39]
	s_cbranch_scc0 .LBB483_198
; %bb.201:                              ;   in Loop: Header=BB483_200 Depth=1
                                        ; implicit-def: $vgpr18_vgpr19
                                        ; implicit-def: $vgpr20_vgpr21
	s_mov_b64 s[38:39], s[26:27]
	s_branch .LBB483_199
.LBB483_202:
	s_or_b64 exec, exec, s[4:5]
	v_cmp_gt_i64_e32 vcc, s[26:27], v[22:23]
	s_orn2_b64 s[38:39], vcc, exec
.LBB483_203:
	s_or_b64 exec, exec, s[10:11]
.LBB483_204:
	s_and_b64 s[2:3], s[38:39], exec
.LBB483_205:
	s_or_b64 exec, exec, s[8:9]
	s_and_b64 s[38:39], s[2:3], exec
	s_or_b64 s[14:15], s[14:15], exec
.LBB483_206:
	s_or_b64 exec, exec, s[6:7]
.LBB483_207:
	s_and_saveexec_b64 s[2:3], s[14:15]
	s_cbranch_execz .LBB483_209
; %bb.208:
	s_waitcnt vmcnt(0) lgkmcnt(0)
	v_and_b32_e32 v18, 0xffffff00, v28
	v_cndmask_b32_e64 v19, 0, 1, s[38:39]
	v_or_b32_e32 v18, v19, v18
	v_and_b32_e32 v18, 0xffff, v18
	s_mov_b32 s4, 0xffff0000
	v_and_or_b32 v28, v28, s4, v18
.LBB483_209:
	s_or_b64 exec, exec, s[2:3]
	s_andn2_b64 vcc, exec, s[12:13]
	s_cbranch_vccnz .LBB483_211
; %bb.210:
	v_cmp_gt_u32_e32 vcc, s48, v1
	s_waitcnt vmcnt(0) lgkmcnt(0)
	v_cndmask_b32_e32 v18, 0, v28, vcc
	v_or_b32_e32 v19, 1, v1
	v_and_b32_e32 v18, 0xff, v18
	v_cmp_gt_u32_e32 vcc, s48, v19
	v_cndmask_b32_e32 v18, v18, v28, vcc
	v_or_b32_e32 v19, 2, v1
	v_and_b32_e32 v18, 0xffff, v18
	v_cmp_gt_u32_e32 vcc, s48, v19
	;; [unrolled: 4-line block ×3, first 2 shown]
	v_cndmask_b32_e32 v28, v18, v28, vcc
.LBB483_211:
	v_bfe_u32 v30, v28, 16, 8
	v_lshrrev_b32_e32 v29, 24, v28
	s_waitcnt vmcnt(0) lgkmcnt(0)
	v_add_u32_sdwa v18, v28, v28 dst_sel:DWORD dst_unused:UNUSED_PAD src0_sel:BYTE_1 src1_sel:BYTE_0
	v_add3_u32 v33, v18, v30, v29
	v_mbcnt_lo_u32_b32 v18, -1, 0
	v_mbcnt_hi_u32_b32 v31, -1, v18
	v_and_b32_e32 v18, 15, v31
	v_cmp_eq_u32_e64 s[14:15], 0, v18
	v_cmp_lt_u32_e64 s[12:13], 1, v18
	v_cmp_lt_u32_e64 s[10:11], 3, v18
	;; [unrolled: 1-line block ×3, first 2 shown]
	v_and_b32_e32 v18, 16, v31
	v_cmp_eq_u32_e64 s[6:7], 0, v18
	v_or_b32_e32 v18, 63, v0
	v_cmp_lt_u32_e64 s[2:3], 31, v31
	v_lshrrev_b32_e32 v32, 6, v0
	v_cmp_eq_u32_e64 s[4:5], v18, v0
	s_and_b64 vcc, exec, s[36:37]
	s_barrier
	s_cbranch_vccz .LBB483_242
; %bb.212:
	v_mov_b32_dpp v18, v33 row_shr:1 row_mask:0xf bank_mask:0xf
	v_cndmask_b32_e64 v18, v18, 0, s[14:15]
	v_add_u32_e32 v18, v18, v33
	s_nop 1
	v_mov_b32_dpp v19, v18 row_shr:2 row_mask:0xf bank_mask:0xf
	v_cndmask_b32_e64 v19, 0, v19, s[12:13]
	v_add_u32_e32 v18, v18, v19
	s_nop 1
	;; [unrolled: 4-line block ×4, first 2 shown]
	v_mov_b32_dpp v19, v18 row_bcast:15 row_mask:0xf bank_mask:0xf
	v_cndmask_b32_e64 v19, v19, 0, s[6:7]
	v_add_u32_e32 v18, v18, v19
	s_nop 1
	v_mov_b32_dpp v19, v18 row_bcast:31 row_mask:0xf bank_mask:0xf
	v_cndmask_b32_e64 v19, 0, v19, s[2:3]
	v_add_u32_e32 v18, v18, v19
	s_and_saveexec_b64 s[16:17], s[4:5]
	s_cbranch_execz .LBB483_214
; %bb.213:
	v_lshlrev_b32_e32 v19, 2, v32
	ds_write_b32 v19, v18
.LBB483_214:
	s_or_b64 exec, exec, s[16:17]
	v_cmp_gt_u32_e32 vcc, 2, v0
	s_waitcnt lgkmcnt(0)
	s_barrier
	s_and_saveexec_b64 s[16:17], vcc
	s_cbranch_execz .LBB483_216
; %bb.215:
	ds_read_b32 v19, v1
	v_bfe_i32 v20, v31, 0, 1
	s_waitcnt lgkmcnt(0)
	v_mov_b32_dpp v21, v19 row_shr:1 row_mask:0xf bank_mask:0xf
	v_and_b32_e32 v20, v20, v21
	v_add_u32_e32 v19, v20, v19
	ds_write_b32 v1, v19
.LBB483_216:
	s_or_b64 exec, exec, s[16:17]
	v_cmp_gt_u32_e32 vcc, 64, v0
	v_cmp_lt_u32_e64 s[16:17], 63, v0
	s_waitcnt lgkmcnt(0)
	s_barrier
	s_waitcnt lgkmcnt(0)
                                        ; implicit-def: $vgpr34
	s_and_saveexec_b64 s[26:27], s[16:17]
	s_cbranch_execz .LBB483_218
; %bb.217:
	v_lshl_add_u32 v19, v32, 2, -4
	ds_read_b32 v34, v19
	s_waitcnt lgkmcnt(0)
	v_add_u32_e32 v18, v34, v18
.LBB483_218:
	s_or_b64 exec, exec, s[26:27]
	v_add_u32_e32 v19, -1, v31
	v_and_b32_e32 v20, 64, v31
	v_cmp_lt_i32_e64 s[16:17], v19, v20
	v_cndmask_b32_e64 v19, v19, v31, s[16:17]
	v_lshlrev_b32_e32 v19, 2, v19
	ds_bpermute_b32 v35, v19, v18
	v_cmp_eq_u32_e64 s[16:17], 0, v31
	s_and_saveexec_b64 s[26:27], vcc
	s_cbranch_execz .LBB483_241
; %bb.219:
	v_mov_b32_e32 v27, 0
	ds_read_b32 v18, v27 offset:4
	s_and_saveexec_b64 s[36:37], s[16:17]
	s_cbranch_execz .LBB483_221
; %bb.220:
	s_add_i32 s38, s33, 64
	s_mov_b32 s39, 0
	s_lshl_b64 s[38:39], s[38:39], 3
	s_add_u32 s38, s18, s38
	v_mov_b32_e32 v19, 1
	s_addc_u32 s39, s19, s39
	s_waitcnt lgkmcnt(0)
	global_store_dwordx2 v27, v[18:19], s[38:39]
.LBB483_221:
	s_or_b64 exec, exec, s[36:37]
	v_xad_u32 v20, v31, -1, s33
	v_add_u32_e32 v26, 64, v20
	v_lshlrev_b64 v[22:23], 3, v[26:27]
	v_mov_b32_e32 v19, s19
	v_add_co_u32_e32 v22, vcc, s18, v22
	v_addc_co_u32_e32 v23, vcc, v19, v23, vcc
	global_load_dwordx2 v[24:25], v[22:23], off glc
	s_waitcnt vmcnt(0)
	v_cmp_eq_u16_sdwa s[38:39], v25, v27 src0_sel:BYTE_0 src1_sel:DWORD
	s_and_saveexec_b64 s[36:37], s[38:39]
	s_cbranch_execz .LBB483_227
; %bb.222:
	s_mov_b32 s40, 1
	s_mov_b64 s[38:39], 0
	v_mov_b32_e32 v19, 0
.LBB483_223:                            ; =>This Loop Header: Depth=1
                                        ;     Child Loop BB483_224 Depth 2
	s_max_u32 s41, s40, 1
.LBB483_224:                            ;   Parent Loop BB483_223 Depth=1
                                        ; =>  This Inner Loop Header: Depth=2
	s_add_i32 s41, s41, -1
	s_cmp_eq_u32 s41, 0
	s_sleep 1
	s_cbranch_scc0 .LBB483_224
; %bb.225:                              ;   in Loop: Header=BB483_223 Depth=1
	global_load_dwordx2 v[24:25], v[22:23], off glc
	s_cmp_lt_u32 s40, 32
	s_cselect_b64 s[42:43], -1, 0
	s_cmp_lg_u64 s[42:43], 0
	s_addc_u32 s40, s40, 0
	s_waitcnt vmcnt(0)
	v_cmp_ne_u16_sdwa s[42:43], v25, v19 src0_sel:BYTE_0 src1_sel:DWORD
	s_or_b64 s[38:39], s[42:43], s[38:39]
	s_andn2_b64 exec, exec, s[38:39]
	s_cbranch_execnz .LBB483_223
; %bb.226:
	s_or_b64 exec, exec, s[38:39]
.LBB483_227:
	s_or_b64 exec, exec, s[36:37]
	v_and_b32_e32 v36, 63, v31
	v_mov_b32_e32 v19, 2
	v_cmp_ne_u32_e32 vcc, 63, v36
	v_cmp_eq_u16_sdwa s[36:37], v25, v19 src0_sel:BYTE_0 src1_sel:DWORD
	v_lshlrev_b64 v[22:23], v31, -1
	v_addc_co_u32_e32 v27, vcc, 0, v31, vcc
	v_and_b32_e32 v21, s37, v23
	v_lshlrev_b32_e32 v37, 2, v27
	v_or_b32_e32 v21, 0x80000000, v21
	ds_bpermute_b32 v27, v37, v24
	v_and_b32_e32 v26, s36, v22
	v_ffbl_b32_e32 v21, v21
	v_add_u32_e32 v21, 32, v21
	v_ffbl_b32_e32 v26, v26
	v_min_u32_e32 v21, v26, v21
	v_cmp_lt_u32_e32 vcc, v36, v21
	s_waitcnt lgkmcnt(0)
	v_cndmask_b32_e32 v26, 0, v27, vcc
	v_cmp_gt_u32_e32 vcc, 62, v36
	v_add_u32_e32 v24, v26, v24
	v_cndmask_b32_e64 v26, 0, 1, vcc
	v_lshlrev_b32_e32 v26, 1, v26
	v_add_lshl_u32 v38, v26, v31, 2
	ds_bpermute_b32 v26, v38, v24
	v_add_u32_e32 v39, 2, v36
	v_cmp_le_u32_e32 vcc, v39, v21
	v_add_u32_e32 v41, 4, v36
	v_add_u32_e32 v43, 8, v36
	s_waitcnt lgkmcnt(0)
	v_cndmask_b32_e32 v26, 0, v26, vcc
	v_cmp_gt_u32_e32 vcc, 60, v36
	v_add_u32_e32 v24, v24, v26
	v_cndmask_b32_e64 v26, 0, 1, vcc
	v_lshlrev_b32_e32 v26, 2, v26
	v_add_lshl_u32 v40, v26, v31, 2
	ds_bpermute_b32 v26, v40, v24
	v_cmp_le_u32_e32 vcc, v41, v21
	v_add_u32_e32 v46, 16, v36
	v_add_u32_e32 v48, 32, v36
	s_waitcnt lgkmcnt(0)
	v_cndmask_b32_e32 v26, 0, v26, vcc
	v_cmp_gt_u32_e32 vcc, 56, v36
	v_add_u32_e32 v24, v24, v26
	v_cndmask_b32_e64 v26, 0, 1, vcc
	v_lshlrev_b32_e32 v26, 3, v26
	v_add_lshl_u32 v42, v26, v31, 2
	ds_bpermute_b32 v26, v42, v24
	v_cmp_le_u32_e32 vcc, v43, v21
	s_waitcnt lgkmcnt(0)
	v_cndmask_b32_e32 v26, 0, v26, vcc
	v_cmp_gt_u32_e32 vcc, 48, v36
	v_add_u32_e32 v24, v24, v26
	v_cndmask_b32_e64 v26, 0, 1, vcc
	v_lshlrev_b32_e32 v26, 4, v26
	v_add_lshl_u32 v45, v26, v31, 2
	ds_bpermute_b32 v26, v45, v24
	v_cmp_le_u32_e32 vcc, v46, v21
	;; [unrolled: 9-line block ×3, first 2 shown]
	s_waitcnt lgkmcnt(0)
	v_cndmask_b32_e32 v21, 0, v26, vcc
	v_add_u32_e32 v24, v24, v21
	v_mov_b32_e32 v21, 0
	s_branch .LBB483_229
.LBB483_228:                            ;   in Loop: Header=BB483_229 Depth=1
	s_or_b64 exec, exec, s[36:37]
	v_cmp_eq_u16_sdwa s[36:37], v25, v19 src0_sel:BYTE_0 src1_sel:DWORD
	v_and_b32_e32 v26, s37, v23
	v_or_b32_e32 v26, 0x80000000, v26
	ds_bpermute_b32 v49, v37, v24
	v_and_b32_e32 v27, s36, v22
	v_ffbl_b32_e32 v26, v26
	v_add_u32_e32 v26, 32, v26
	v_ffbl_b32_e32 v27, v27
	v_min_u32_e32 v26, v27, v26
	v_cmp_lt_u32_e32 vcc, v36, v26
	s_waitcnt lgkmcnt(0)
	v_cndmask_b32_e32 v27, 0, v49, vcc
	v_add_u32_e32 v24, v27, v24
	ds_bpermute_b32 v27, v38, v24
	v_cmp_le_u32_e32 vcc, v39, v26
	v_subrev_u32_e32 v20, 64, v20
	s_waitcnt lgkmcnt(0)
	v_cndmask_b32_e32 v27, 0, v27, vcc
	v_add_u32_e32 v24, v24, v27
	ds_bpermute_b32 v27, v40, v24
	v_cmp_le_u32_e32 vcc, v41, v26
	s_waitcnt lgkmcnt(0)
	v_cndmask_b32_e32 v27, 0, v27, vcc
	v_add_u32_e32 v24, v24, v27
	ds_bpermute_b32 v27, v42, v24
	v_cmp_le_u32_e32 vcc, v43, v26
	;; [unrolled: 5-line block ×4, first 2 shown]
	s_waitcnt lgkmcnt(0)
	v_cndmask_b32_e32 v26, 0, v27, vcc
	v_add3_u32 v24, v26, v44, v24
.LBB483_229:                            ; =>This Loop Header: Depth=1
                                        ;     Child Loop BB483_232 Depth 2
                                        ;       Child Loop BB483_233 Depth 3
	v_cmp_ne_u16_sdwa s[36:37], v25, v19 src0_sel:BYTE_0 src1_sel:DWORD
	v_cndmask_b32_e64 v25, 0, 1, s[36:37]
	;;#ASMSTART
	;;#ASMEND
	v_cmp_ne_u32_e32 vcc, 0, v25
	s_cmp_lg_u64 vcc, exec
	v_mov_b32_e32 v44, v24
	s_cbranch_scc1 .LBB483_236
; %bb.230:                              ;   in Loop: Header=BB483_229 Depth=1
	v_lshlrev_b64 v[24:25], 3, v[20:21]
	v_mov_b32_e32 v27, s19
	v_add_co_u32_e32 v26, vcc, s18, v24
	v_addc_co_u32_e32 v27, vcc, v27, v25, vcc
	global_load_dwordx2 v[24:25], v[26:27], off glc
	s_waitcnt vmcnt(0)
	v_cmp_eq_u16_sdwa s[38:39], v25, v21 src0_sel:BYTE_0 src1_sel:DWORD
	s_and_saveexec_b64 s[36:37], s[38:39]
	s_cbranch_execz .LBB483_228
; %bb.231:                              ;   in Loop: Header=BB483_229 Depth=1
	s_mov_b32 s40, 1
	s_mov_b64 s[38:39], 0
.LBB483_232:                            ;   Parent Loop BB483_229 Depth=1
                                        ; =>  This Loop Header: Depth=2
                                        ;       Child Loop BB483_233 Depth 3
	s_max_u32 s41, s40, 1
.LBB483_233:                            ;   Parent Loop BB483_229 Depth=1
                                        ;     Parent Loop BB483_232 Depth=2
                                        ; =>    This Inner Loop Header: Depth=3
	s_add_i32 s41, s41, -1
	s_cmp_eq_u32 s41, 0
	s_sleep 1
	s_cbranch_scc0 .LBB483_233
; %bb.234:                              ;   in Loop: Header=BB483_232 Depth=2
	global_load_dwordx2 v[24:25], v[26:27], off glc
	s_cmp_lt_u32 s40, 32
	s_cselect_b64 s[42:43], -1, 0
	s_cmp_lg_u64 s[42:43], 0
	s_addc_u32 s40, s40, 0
	s_waitcnt vmcnt(0)
	v_cmp_ne_u16_sdwa s[42:43], v25, v21 src0_sel:BYTE_0 src1_sel:DWORD
	s_or_b64 s[38:39], s[42:43], s[38:39]
	s_andn2_b64 exec, exec, s[38:39]
	s_cbranch_execnz .LBB483_232
; %bb.235:                              ;   in Loop: Header=BB483_229 Depth=1
	s_or_b64 exec, exec, s[38:39]
	s_branch .LBB483_228
.LBB483_236:                            ;   in Loop: Header=BB483_229 Depth=1
                                        ; implicit-def: $vgpr24
                                        ; implicit-def: $vgpr25
	s_cbranch_execz .LBB483_229
; %bb.237:
	s_and_saveexec_b64 s[36:37], s[16:17]
	s_cbranch_execz .LBB483_239
; %bb.238:
	s_add_i32 s38, s33, 64
	s_mov_b32 s39, 0
	s_lshl_b64 s[38:39], s[38:39], 3
	s_add_u32 s38, s18, s38
	v_add_u32_e32 v20, v44, v18
	v_mov_b32_e32 v21, 2
	s_addc_u32 s39, s19, s39
	v_mov_b32_e32 v19, 0
	s_movk_i32 s33, 0x1000
	global_store_dwordx2 v19, v[20:21], s[38:39]
	v_add_u32_e64 v19, s33, 0
	ds_write2_b32 v19, v18, v44 offset0:32 offset1:34
.LBB483_239:
	s_or_b64 exec, exec, s[36:37]
	s_and_b64 exec, exec, s[0:1]
	s_cbranch_execz .LBB483_241
; %bb.240:
	v_mov_b32_e32 v18, 0
	ds_write_b32 v18, v44 offset:4
.LBB483_241:
	s_or_b64 exec, exec, s[26:27]
	v_mov_b32_e32 v19, 0
	s_waitcnt lgkmcnt(0)
	s_barrier
	ds_read_b32 v19, v19 offset:4
	v_cndmask_b32_e64 v18, v35, v34, s[16:17]
	s_movk_i32 s16, 0x1000
	v_add_u32_e64 v20, s16, 0
	s_waitcnt lgkmcnt(0)
	s_barrier
	ds_read2_b32 v[26:27], v20 offset0:32 offset1:34
	v_cndmask_b32_e64 v18, v18, 0, s[0:1]
	v_add_u32_e32 v24, v19, v18
	v_add_u32_sdwa v22, v24, v28 dst_sel:DWORD dst_unused:UNUSED_PAD src0_sel:DWORD src1_sel:BYTE_0
	v_add_u32_sdwa v20, v22, v28 dst_sel:DWORD dst_unused:UNUSED_PAD src0_sel:DWORD src1_sel:BYTE_1
	v_add_u32_e32 v18, v20, v30
	s_waitcnt lgkmcnt(0)
	v_readfirstlane_b32 s33, v26
	v_readfirstlane_b32 s16, v27
	s_branch .LBB483_252
.LBB483_242:
                                        ; implicit-def: $vgpr18
                                        ; implicit-def: $vgpr20
                                        ; implicit-def: $vgpr22
                                        ; implicit-def: $vgpr24
                                        ; implicit-def: $sgpr16
                                        ; implicit-def: $sgpr33
	s_cbranch_execz .LBB483_252
; %bb.243:
	s_nop 0
	v_mov_b32_dpp v18, v33 row_shr:1 row_mask:0xf bank_mask:0xf
	v_cndmask_b32_e64 v18, v18, 0, s[14:15]
	v_add_u32_e32 v18, v18, v33
	s_nop 1
	v_mov_b32_dpp v19, v18 row_shr:2 row_mask:0xf bank_mask:0xf
	v_cndmask_b32_e64 v19, 0, v19, s[12:13]
	v_add_u32_e32 v18, v18, v19
	;; [unrolled: 4-line block ×4, first 2 shown]
	s_nop 1
	v_mov_b32_dpp v19, v18 row_bcast:15 row_mask:0xf bank_mask:0xf
	v_cndmask_b32_e64 v19, v19, 0, s[6:7]
	v_add_u32_e32 v18, v18, v19
	s_nop 1
	v_mov_b32_dpp v19, v18 row_bcast:31 row_mask:0xf bank_mask:0xf
	v_cndmask_b32_e64 v19, 0, v19, s[2:3]
	v_add_u32_e32 v18, v18, v19
	s_and_saveexec_b64 s[2:3], s[4:5]
	s_cbranch_execz .LBB483_245
; %bb.244:
	v_lshlrev_b32_e32 v19, 2, v32
	ds_write_b32 v19, v18
.LBB483_245:
	s_or_b64 exec, exec, s[2:3]
	v_cmp_gt_u32_e32 vcc, 2, v0
	s_waitcnt lgkmcnt(0)
	s_barrier
	s_and_saveexec_b64 s[2:3], vcc
	s_cbranch_execz .LBB483_247
; %bb.246:
	ds_read_b32 v19, v1
	v_bfe_i32 v20, v31, 0, 1
	s_waitcnt lgkmcnt(0)
	v_mov_b32_dpp v21, v19 row_shr:1 row_mask:0xf bank_mask:0xf
	v_and_b32_e32 v20, v20, v21
	v_add_u32_e32 v19, v20, v19
	ds_write_b32 v1, v19
.LBB483_247:
	s_or_b64 exec, exec, s[2:3]
	v_cmp_lt_u32_e32 vcc, 63, v0
	v_mov_b32_e32 v19, 0
	v_mov_b32_e32 v1, 0
	s_waitcnt lgkmcnt(0)
	s_barrier
	s_and_saveexec_b64 s[2:3], vcc
	s_cbranch_execz .LBB483_249
; %bb.248:
	v_lshl_add_u32 v1, v32, 2, -4
	ds_read_b32 v1, v1
.LBB483_249:
	s_or_b64 exec, exec, s[2:3]
	v_add_u32_e32 v20, -1, v31
	v_and_b32_e32 v21, 64, v31
	v_cmp_lt_i32_e32 vcc, v20, v21
	v_cndmask_b32_e32 v20, v20, v31, vcc
	s_waitcnt lgkmcnt(0)
	v_add_u32_e32 v18, v1, v18
	v_lshlrev_b32_e32 v20, 2, v20
	ds_read_b32 v19, v19 offset:4
	ds_bpermute_b32 v18, v20, v18
	s_waitcnt lgkmcnt(1)
	v_readfirstlane_b32 s33, v19
	s_and_saveexec_b64 s[2:3], s[0:1]
	s_cbranch_execz .LBB483_251
; %bb.250:
	v_mov_b32_e32 v19, 0
	v_mov_b32_e32 v20, s33
	;; [unrolled: 1-line block ×3, first 2 shown]
	global_store_dwordx2 v19, v[20:21], s[18:19] offset:512
.LBB483_251:
	s_or_b64 exec, exec, s[2:3]
	v_cmp_eq_u32_e32 vcc, 0, v31
	s_waitcnt lgkmcnt(0)
	v_cndmask_b32_e32 v1, v18, v1, vcc
	v_cndmask_b32_e64 v24, v1, 0, s[0:1]
	v_add_u32_sdwa v22, v24, v28 dst_sel:DWORD dst_unused:UNUSED_PAD src0_sel:DWORD src1_sel:BYTE_0
	v_add_u32_sdwa v20, v22, v28 dst_sel:DWORD dst_unused:UNUSED_PAD src0_sel:DWORD src1_sel:BYTE_1
	s_mov_b32 s16, 0
	v_add_u32_e32 v18, v20, v30
	s_barrier
.LBB483_252:
	s_cmpk_lt_u32 s33, 0x81
	s_cselect_b64 s[4:5], -1, 0
	v_lshrrev_b32_e32 v1, 8, v28
	s_mov_b64 s[2:3], -1
	s_and_b64 vcc, exec, s[4:5]
	s_cbranch_vccz .LBB483_266
; %bb.253:
	s_add_i32 s6, s16, s33
	v_cmp_gt_u32_e32 vcc, s6, v24
	s_or_b64 s[8:9], s[34:35], vcc
	s_and_saveexec_b64 s[2:3], s[8:9]
	s_cbranch_execz .LBB483_256
; %bb.254:
	v_and_b32_e32 v19, 1, v28
	v_cmp_eq_u32_e32 vcc, 1, v19
	s_and_b64 exec, exec, vcc
	s_cbranch_execz .LBB483_256
; %bb.255:
	s_lshl_b64 s[8:9], s[22:23], 3
	s_add_u32 s7, s28, s8
	v_mov_b32_e32 v25, 0
	s_addc_u32 s8, s29, s9
	v_lshlrev_b64 v[26:27], 3, v[24:25]
	v_mov_b32_e32 v19, s8
	v_add_co_u32_e32 v26, vcc, s7, v26
	v_addc_co_u32_e32 v27, vcc, v19, v27, vcc
	global_store_dwordx2 v[26:27], v[14:15], off
.LBB483_256:
	s_or_b64 exec, exec, s[2:3]
	v_cmp_gt_u32_e32 vcc, s6, v22
	s_or_b64 s[8:9], s[34:35], vcc
	s_and_saveexec_b64 s[2:3], s[8:9]
	s_cbranch_execz .LBB483_259
; %bb.257:
	v_and_b32_e32 v19, 1, v1
	v_cmp_eq_u32_e32 vcc, 1, v19
	s_and_b64 exec, exec, vcc
	s_cbranch_execz .LBB483_259
; %bb.258:
	s_lshl_b64 s[8:9], s[22:23], 3
	s_add_u32 s7, s28, s8
	v_mov_b32_e32 v23, 0
	s_addc_u32 s8, s29, s9
	v_lshlrev_b64 v[26:27], 3, v[22:23]
	v_mov_b32_e32 v19, s8
	v_add_co_u32_e32 v26, vcc, s7, v26
	v_addc_co_u32_e32 v27, vcc, v19, v27, vcc
	global_store_dwordx2 v[26:27], v[16:17], off
.LBB483_259:
	s_or_b64 exec, exec, s[2:3]
	v_cmp_gt_u32_e32 vcc, s6, v20
	s_or_b64 s[8:9], s[34:35], vcc
	s_and_saveexec_b64 s[2:3], s[8:9]
	s_cbranch_execz .LBB483_262
; %bb.260:
	v_mov_b32_e32 v19, 1
	v_and_b32_sdwa v19, v19, v28 dst_sel:DWORD dst_unused:UNUSED_PAD src0_sel:DWORD src1_sel:WORD_1
	v_cmp_eq_u32_e32 vcc, 1, v19
	s_and_b64 exec, exec, vcc
	s_cbranch_execz .LBB483_262
; %bb.261:
	s_lshl_b64 s[8:9], s[22:23], 3
	s_add_u32 s7, s28, s8
	v_mov_b32_e32 v21, 0
	s_addc_u32 s8, s29, s9
	v_lshlrev_b64 v[26:27], 3, v[20:21]
	v_mov_b32_e32 v19, s8
	v_add_co_u32_e32 v26, vcc, s7, v26
	v_addc_co_u32_e32 v27, vcc, v19, v27, vcc
	global_store_dwordx2 v[26:27], v[10:11], off
.LBB483_262:
	s_or_b64 exec, exec, s[2:3]
	v_cmp_gt_u32_e32 vcc, s6, v18
	s_or_b64 s[6:7], s[34:35], vcc
	s_and_saveexec_b64 s[2:3], s[6:7]
	s_cbranch_execz .LBB483_265
; %bb.263:
	v_and_b32_e32 v19, 1, v29
	v_cmp_eq_u32_e32 vcc, 1, v19
	s_and_b64 exec, exec, vcc
	s_cbranch_execz .LBB483_265
; %bb.264:
	s_lshl_b64 s[6:7], s[22:23], 3
	s_add_u32 s6, s28, s6
	v_mov_b32_e32 v19, 0
	s_addc_u32 s7, s29, s7
	v_lshlrev_b64 v[26:27], 3, v[18:19]
	v_mov_b32_e32 v19, s7
	v_add_co_u32_e32 v26, vcc, s6, v26
	v_addc_co_u32_e32 v27, vcc, v19, v27, vcc
	global_store_dwordx2 v[26:27], v[12:13], off
.LBB483_265:
	s_or_b64 exec, exec, s[2:3]
	s_mov_b64 s[2:3], 0
.LBB483_266:
	v_and_b32_e32 v26, 1, v28
	s_and_b64 vcc, exec, s[2:3]
	v_cmp_eq_u32_e64 s[2:3], 1, v26
	s_cbranch_vccz .LBB483_279
; %bb.267:
	s_and_saveexec_b64 s[6:7], s[2:3]
	s_cbranch_execz .LBB483_269
; %bb.268:
	v_subrev_u32_e32 v19, s16, v24
	v_lshlrev_b32_e32 v19, 3, v19
	ds_write_b64 v19, v[14:15]
.LBB483_269:
	s_or_b64 exec, exec, s[6:7]
	v_and_b32_e32 v14, 1, v1
	v_cmp_eq_u32_e32 vcc, 1, v14
	s_and_saveexec_b64 s[2:3], vcc
	s_cbranch_execz .LBB483_271
; %bb.270:
	v_subrev_u32_e32 v14, s16, v22
	v_lshlrev_b32_e32 v14, 3, v14
	ds_write_b64 v14, v[16:17]
.LBB483_271:
	s_or_b64 exec, exec, s[2:3]
	v_mov_b32_e32 v14, 1
	v_and_b32_sdwa v14, v14, v28 dst_sel:DWORD dst_unused:UNUSED_PAD src0_sel:DWORD src1_sel:WORD_1
	v_cmp_eq_u32_e32 vcc, 1, v14
	s_and_saveexec_b64 s[2:3], vcc
	s_cbranch_execz .LBB483_273
; %bb.272:
	v_subrev_u32_e32 v14, s16, v20
	v_lshlrev_b32_e32 v14, 3, v14
	ds_write_b64 v14, v[10:11]
.LBB483_273:
	s_or_b64 exec, exec, s[2:3]
	v_and_b32_e32 v10, 1, v29
	v_cmp_eq_u32_e32 vcc, 1, v10
	s_and_saveexec_b64 s[2:3], vcc
	s_cbranch_execz .LBB483_275
; %bb.274:
	v_subrev_u32_e32 v10, s16, v18
	v_lshlrev_b32_e32 v10, 3, v10
	ds_write_b64 v10, v[12:13]
.LBB483_275:
	s_or_b64 exec, exec, s[2:3]
	v_cmp_gt_u32_e32 vcc, s33, v0
	s_waitcnt lgkmcnt(0)
	s_barrier
	s_and_saveexec_b64 s[2:3], vcc
	s_cbranch_execz .LBB483_278
; %bb.276:
	s_mov_b32 s17, 0
	s_lshl_b64 s[6:7], s[16:17], 3
	s_add_u32 s8, s28, s6
	s_addc_u32 s9, s29, s7
	s_lshl_b64 s[6:7], s[22:23], 3
	s_add_u32 s8, s8, s6
	s_addc_u32 s9, s9, s7
	v_lshlrev_b32_e32 v12, 3, v0
	s_mov_b64 s[6:7], 0
	v_mov_b32_e32 v11, 0
	v_mov_b32_e32 v13, s9
	;; [unrolled: 1-line block ×3, first 2 shown]
.LBB483_277:                            ; =>This Inner Loop Header: Depth=1
	ds_read_b64 v[14:15], v12
	v_lshlrev_b64 v[16:17], 3, v[10:11]
	v_add_co_u32_e32 v16, vcc, s8, v16
	v_add_u32_e32 v10, 0x80, v10
	v_addc_co_u32_e32 v17, vcc, v13, v17, vcc
	v_cmp_le_u32_e32 vcc, s33, v10
	v_add_u32_e32 v12, 0x400, v12
	s_or_b64 s[6:7], vcc, s[6:7]
	s_waitcnt lgkmcnt(0)
	global_store_dwordx2 v[16:17], v[14:15], off
	s_andn2_b64 exec, exec, s[6:7]
	s_cbranch_execnz .LBB483_277
.LBB483_278:
	s_or_b64 exec, exec, s[2:3]
.LBB483_279:
	s_mov_b64 s[2:3], -1
	s_and_b64 vcc, exec, s[4:5]
	s_barrier
	s_cbranch_vccnz .LBB483_283
; %bb.280:
	s_and_b64 vcc, exec, s[2:3]
	s_cbranch_vccnz .LBB483_296
.LBB483_281:
	s_and_b64 s[0:1], s[0:1], s[24:25]
	s_and_saveexec_b64 s[2:3], s[0:1]
	s_cbranch_execnz .LBB483_308
.LBB483_282:
	s_endpgm
.LBB483_283:
	s_add_i32 s4, s16, s33
	v_cmp_gt_u32_e32 vcc, s4, v24
	s_or_b64 s[6:7], s[34:35], vcc
	s_and_saveexec_b64 s[2:3], s[6:7]
	s_cbranch_execz .LBB483_286
; %bb.284:
	v_cmp_eq_u32_e32 vcc, 1, v26
	s_and_b64 exec, exec, vcc
	s_cbranch_execz .LBB483_286
; %bb.285:
	s_lshl_b64 s[6:7], s[22:23], 3
	s_add_u32 s5, s30, s6
	v_mov_b32_e32 v25, 0
	s_addc_u32 s6, s31, s7
	v_lshlrev_b64 v[10:11], 3, v[24:25]
	v_mov_b32_e32 v12, s6
	v_add_co_u32_e32 v10, vcc, s5, v10
	v_addc_co_u32_e32 v11, vcc, v12, v11, vcc
	global_store_dwordx2 v[10:11], v[6:7], off
.LBB483_286:
	s_or_b64 exec, exec, s[2:3]
	v_cmp_gt_u32_e32 vcc, s4, v22
	s_or_b64 s[6:7], s[34:35], vcc
	s_and_saveexec_b64 s[2:3], s[6:7]
	s_cbranch_execz .LBB483_289
; %bb.287:
	v_and_b32_e32 v10, 1, v1
	v_cmp_eq_u32_e32 vcc, 1, v10
	s_and_b64 exec, exec, vcc
	s_cbranch_execz .LBB483_289
; %bb.288:
	s_lshl_b64 s[6:7], s[22:23], 3
	s_add_u32 s5, s30, s6
	v_mov_b32_e32 v23, 0
	s_addc_u32 s6, s31, s7
	v_lshlrev_b64 v[10:11], 3, v[22:23]
	v_mov_b32_e32 v12, s6
	v_add_co_u32_e32 v10, vcc, s5, v10
	v_addc_co_u32_e32 v11, vcc, v12, v11, vcc
	global_store_dwordx2 v[10:11], v[8:9], off
.LBB483_289:
	s_or_b64 exec, exec, s[2:3]
	v_cmp_gt_u32_e32 vcc, s4, v20
	s_or_b64 s[6:7], s[34:35], vcc
	s_and_saveexec_b64 s[2:3], s[6:7]
	s_cbranch_execz .LBB483_292
; %bb.290:
	v_mov_b32_e32 v10, 1
	v_and_b32_sdwa v10, v10, v28 dst_sel:DWORD dst_unused:UNUSED_PAD src0_sel:DWORD src1_sel:WORD_1
	v_cmp_eq_u32_e32 vcc, 1, v10
	s_and_b64 exec, exec, vcc
	s_cbranch_execz .LBB483_292
; %bb.291:
	s_lshl_b64 s[6:7], s[22:23], 3
	s_add_u32 s5, s30, s6
	v_mov_b32_e32 v21, 0
	s_addc_u32 s6, s31, s7
	v_lshlrev_b64 v[10:11], 3, v[20:21]
	v_mov_b32_e32 v12, s6
	v_add_co_u32_e32 v10, vcc, s5, v10
	v_addc_co_u32_e32 v11, vcc, v12, v11, vcc
	global_store_dwordx2 v[10:11], v[2:3], off
.LBB483_292:
	s_or_b64 exec, exec, s[2:3]
	v_cmp_gt_u32_e32 vcc, s4, v18
	s_or_b64 s[4:5], s[34:35], vcc
	s_and_saveexec_b64 s[2:3], s[4:5]
	s_cbranch_execz .LBB483_295
; %bb.293:
	v_and_b32_e32 v10, 1, v29
	v_cmp_eq_u32_e32 vcc, 1, v10
	s_and_b64 exec, exec, vcc
	s_cbranch_execz .LBB483_295
; %bb.294:
	s_lshl_b64 s[4:5], s[22:23], 3
	s_add_u32 s4, s30, s4
	v_mov_b32_e32 v19, 0
	s_addc_u32 s5, s31, s5
	v_lshlrev_b64 v[10:11], 3, v[18:19]
	v_mov_b32_e32 v12, s5
	v_add_co_u32_e32 v10, vcc, s4, v10
	v_addc_co_u32_e32 v11, vcc, v12, v11, vcc
	global_store_dwordx2 v[10:11], v[4:5], off
.LBB483_295:
	s_or_b64 exec, exec, s[2:3]
	s_branch .LBB483_281
.LBB483_296:
	v_cmp_eq_u32_e32 vcc, 1, v26
	s_and_saveexec_b64 s[2:3], vcc
	s_cbranch_execz .LBB483_298
; %bb.297:
	v_subrev_u32_e32 v10, s16, v24
	v_lshlrev_b32_e32 v10, 3, v10
	ds_write_b64 v10, v[6:7]
.LBB483_298:
	s_or_b64 exec, exec, s[2:3]
	v_and_b32_e32 v1, 1, v1
	v_cmp_eq_u32_e32 vcc, 1, v1
	s_and_saveexec_b64 s[2:3], vcc
	s_cbranch_execz .LBB483_300
; %bb.299:
	v_subrev_u32_e32 v1, s16, v22
	v_lshlrev_b32_e32 v1, 3, v1
	ds_write_b64 v1, v[8:9]
.LBB483_300:
	s_or_b64 exec, exec, s[2:3]
	v_mov_b32_e32 v1, 1
	v_and_b32_sdwa v1, v1, v28 dst_sel:DWORD dst_unused:UNUSED_PAD src0_sel:DWORD src1_sel:WORD_1
	v_cmp_eq_u32_e32 vcc, 1, v1
	s_and_saveexec_b64 s[2:3], vcc
	s_cbranch_execz .LBB483_302
; %bb.301:
	v_subrev_u32_e32 v1, s16, v20
	v_lshlrev_b32_e32 v1, 3, v1
	ds_write_b64 v1, v[2:3]
.LBB483_302:
	s_or_b64 exec, exec, s[2:3]
	v_and_b32_e32 v1, 1, v29
	v_cmp_eq_u32_e32 vcc, 1, v1
	s_and_saveexec_b64 s[2:3], vcc
	s_cbranch_execz .LBB483_304
; %bb.303:
	v_subrev_u32_e32 v1, s16, v18
	v_lshlrev_b32_e32 v1, 3, v1
	ds_write_b64 v1, v[4:5]
.LBB483_304:
	s_or_b64 exec, exec, s[2:3]
	v_cmp_gt_u32_e32 vcc, s33, v0
	s_waitcnt lgkmcnt(0)
	s_barrier
	s_and_saveexec_b64 s[2:3], vcc
	s_cbranch_execz .LBB483_307
; %bb.305:
	s_mov_b32 s17, 0
	s_lshl_b64 s[4:5], s[16:17], 3
	s_add_u32 s6, s30, s4
	s_addc_u32 s7, s31, s5
	s_lshl_b64 s[4:5], s[22:23], 3
	s_add_u32 s6, s6, s4
	s_addc_u32 s7, s7, s5
	v_lshlrev_b32_e32 v2, 3, v0
	s_mov_b64 s[4:5], 0
	v_mov_b32_e32 v1, 0
	v_mov_b32_e32 v3, s7
.LBB483_306:                            ; =>This Inner Loop Header: Depth=1
	ds_read_b64 v[4:5], v2
	v_lshlrev_b64 v[6:7], 3, v[0:1]
	v_add_co_u32_e32 v6, vcc, s6, v6
	v_add_u32_e32 v0, 0x80, v0
	v_addc_co_u32_e32 v7, vcc, v3, v7, vcc
	v_cmp_le_u32_e32 vcc, s33, v0
	v_add_u32_e32 v2, 0x400, v2
	s_or_b64 s[4:5], vcc, s[4:5]
	s_waitcnt lgkmcnt(0)
	global_store_dwordx2 v[6:7], v[4:5], off
	s_andn2_b64 exec, exec, s[4:5]
	s_cbranch_execnz .LBB483_306
.LBB483_307:
	s_or_b64 exec, exec, s[2:3]
	s_and_b64 s[0:1], s[0:1], s[24:25]
	s_and_saveexec_b64 s[2:3], s[0:1]
	s_cbranch_execz .LBB483_282
.LBB483_308:
	s_add_u32 s0, s22, s33
	s_addc_u32 s1, s23, 0
	s_add_u32 s0, s0, s16
	s_addc_u32 s1, s1, 0
	v_mov_b32_e32 v2, 0
	v_pk_mov_b32 v[0:1], s[0:1], s[0:1] op_sel:[0,1]
	global_store_dwordx2 v2, v[0:1], s[20:21]
	s_endpgm
	.section	.rodata,"a",@progbits
	.p2align	6, 0x0
	.amdhsa_kernel _ZN7rocprim17ROCPRIM_400000_NS6detail17trampoline_kernelINS0_14default_configENS1_25partition_config_selectorILNS1_17partition_subalgoE9EllbEEZZNS1_14partition_implILS5_9ELb0ES3_jPlS8_PNS0_10empty_typeENS0_5tupleIJS8_S9_EEENSB_IJS8_SA_EEENS0_18inequality_wrapperIZN2at6native12_GLOBAL__N_124unique_dim_cuda_templateIiEESt5tupleIJNSF_6TensorESK_SK_EERKSK_lbbbEUlllE0_EEPmJS9_EEE10hipError_tPvRmT3_T4_T5_T6_T7_T9_mT8_P12ihipStream_tbDpT10_ENKUlT_T0_E_clISt17integral_constantIbLb1EES1A_EEDaS15_S16_EUlS15_E_NS1_11comp_targetILNS1_3genE4ELNS1_11target_archE910ELNS1_3gpuE8ELNS1_3repE0EEENS1_30default_config_static_selectorELNS0_4arch9wavefront6targetE1EEEvT1_
		.amdhsa_group_segment_fixed_size 4236
		.amdhsa_private_segment_fixed_size 0
		.amdhsa_kernarg_size 136
		.amdhsa_user_sgpr_count 6
		.amdhsa_user_sgpr_private_segment_buffer 1
		.amdhsa_user_sgpr_dispatch_ptr 0
		.amdhsa_user_sgpr_queue_ptr 0
		.amdhsa_user_sgpr_kernarg_segment_ptr 1
		.amdhsa_user_sgpr_dispatch_id 0
		.amdhsa_user_sgpr_flat_scratch_init 0
		.amdhsa_user_sgpr_kernarg_preload_length 0
		.amdhsa_user_sgpr_kernarg_preload_offset 0
		.amdhsa_user_sgpr_private_segment_size 0
		.amdhsa_uses_dynamic_stack 0
		.amdhsa_system_sgpr_private_segment_wavefront_offset 0
		.amdhsa_system_sgpr_workgroup_id_x 1
		.amdhsa_system_sgpr_workgroup_id_y 0
		.amdhsa_system_sgpr_workgroup_id_z 0
		.amdhsa_system_sgpr_workgroup_info 0
		.amdhsa_system_vgpr_workitem_id 0
		.amdhsa_next_free_vgpr 50
		.amdhsa_next_free_sgpr 52
		.amdhsa_accum_offset 52
		.amdhsa_reserve_vcc 1
		.amdhsa_reserve_flat_scratch 0
		.amdhsa_float_round_mode_32 0
		.amdhsa_float_round_mode_16_64 0
		.amdhsa_float_denorm_mode_32 3
		.amdhsa_float_denorm_mode_16_64 3
		.amdhsa_dx10_clamp 1
		.amdhsa_ieee_mode 1
		.amdhsa_fp16_overflow 0
		.amdhsa_tg_split 0
		.amdhsa_exception_fp_ieee_invalid_op 0
		.amdhsa_exception_fp_denorm_src 0
		.amdhsa_exception_fp_ieee_div_zero 0
		.amdhsa_exception_fp_ieee_overflow 0
		.amdhsa_exception_fp_ieee_underflow 0
		.amdhsa_exception_fp_ieee_inexact 0
		.amdhsa_exception_int_div_zero 0
	.end_amdhsa_kernel
	.section	.text._ZN7rocprim17ROCPRIM_400000_NS6detail17trampoline_kernelINS0_14default_configENS1_25partition_config_selectorILNS1_17partition_subalgoE9EllbEEZZNS1_14partition_implILS5_9ELb0ES3_jPlS8_PNS0_10empty_typeENS0_5tupleIJS8_S9_EEENSB_IJS8_SA_EEENS0_18inequality_wrapperIZN2at6native12_GLOBAL__N_124unique_dim_cuda_templateIiEESt5tupleIJNSF_6TensorESK_SK_EERKSK_lbbbEUlllE0_EEPmJS9_EEE10hipError_tPvRmT3_T4_T5_T6_T7_T9_mT8_P12ihipStream_tbDpT10_ENKUlT_T0_E_clISt17integral_constantIbLb1EES1A_EEDaS15_S16_EUlS15_E_NS1_11comp_targetILNS1_3genE4ELNS1_11target_archE910ELNS1_3gpuE8ELNS1_3repE0EEENS1_30default_config_static_selectorELNS0_4arch9wavefront6targetE1EEEvT1_,"axG",@progbits,_ZN7rocprim17ROCPRIM_400000_NS6detail17trampoline_kernelINS0_14default_configENS1_25partition_config_selectorILNS1_17partition_subalgoE9EllbEEZZNS1_14partition_implILS5_9ELb0ES3_jPlS8_PNS0_10empty_typeENS0_5tupleIJS8_S9_EEENSB_IJS8_SA_EEENS0_18inequality_wrapperIZN2at6native12_GLOBAL__N_124unique_dim_cuda_templateIiEESt5tupleIJNSF_6TensorESK_SK_EERKSK_lbbbEUlllE0_EEPmJS9_EEE10hipError_tPvRmT3_T4_T5_T6_T7_T9_mT8_P12ihipStream_tbDpT10_ENKUlT_T0_E_clISt17integral_constantIbLb1EES1A_EEDaS15_S16_EUlS15_E_NS1_11comp_targetILNS1_3genE4ELNS1_11target_archE910ELNS1_3gpuE8ELNS1_3repE0EEENS1_30default_config_static_selectorELNS0_4arch9wavefront6targetE1EEEvT1_,comdat
.Lfunc_end483:
	.size	_ZN7rocprim17ROCPRIM_400000_NS6detail17trampoline_kernelINS0_14default_configENS1_25partition_config_selectorILNS1_17partition_subalgoE9EllbEEZZNS1_14partition_implILS5_9ELb0ES3_jPlS8_PNS0_10empty_typeENS0_5tupleIJS8_S9_EEENSB_IJS8_SA_EEENS0_18inequality_wrapperIZN2at6native12_GLOBAL__N_124unique_dim_cuda_templateIiEESt5tupleIJNSF_6TensorESK_SK_EERKSK_lbbbEUlllE0_EEPmJS9_EEE10hipError_tPvRmT3_T4_T5_T6_T7_T9_mT8_P12ihipStream_tbDpT10_ENKUlT_T0_E_clISt17integral_constantIbLb1EES1A_EEDaS15_S16_EUlS15_E_NS1_11comp_targetILNS1_3genE4ELNS1_11target_archE910ELNS1_3gpuE8ELNS1_3repE0EEENS1_30default_config_static_selectorELNS0_4arch9wavefront6targetE1EEEvT1_, .Lfunc_end483-_ZN7rocprim17ROCPRIM_400000_NS6detail17trampoline_kernelINS0_14default_configENS1_25partition_config_selectorILNS1_17partition_subalgoE9EllbEEZZNS1_14partition_implILS5_9ELb0ES3_jPlS8_PNS0_10empty_typeENS0_5tupleIJS8_S9_EEENSB_IJS8_SA_EEENS0_18inequality_wrapperIZN2at6native12_GLOBAL__N_124unique_dim_cuda_templateIiEESt5tupleIJNSF_6TensorESK_SK_EERKSK_lbbbEUlllE0_EEPmJS9_EEE10hipError_tPvRmT3_T4_T5_T6_T7_T9_mT8_P12ihipStream_tbDpT10_ENKUlT_T0_E_clISt17integral_constantIbLb1EES1A_EEDaS15_S16_EUlS15_E_NS1_11comp_targetILNS1_3genE4ELNS1_11target_archE910ELNS1_3gpuE8ELNS1_3repE0EEENS1_30default_config_static_selectorELNS0_4arch9wavefront6targetE1EEEvT1_
                                        ; -- End function
	.section	.AMDGPU.csdata,"",@progbits
; Kernel info:
; codeLenInByte = 10980
; NumSgprs: 56
; NumVgprs: 50
; NumAgprs: 0
; TotalNumVgprs: 50
; ScratchSize: 0
; MemoryBound: 0
; FloatMode: 240
; IeeeMode: 1
; LDSByteSize: 4236 bytes/workgroup (compile time only)
; SGPRBlocks: 6
; VGPRBlocks: 6
; NumSGPRsForWavesPerEU: 56
; NumVGPRsForWavesPerEU: 50
; AccumOffset: 52
; Occupancy: 8
; WaveLimiterHint : 1
; COMPUTE_PGM_RSRC2:SCRATCH_EN: 0
; COMPUTE_PGM_RSRC2:USER_SGPR: 6
; COMPUTE_PGM_RSRC2:TRAP_HANDLER: 0
; COMPUTE_PGM_RSRC2:TGID_X_EN: 1
; COMPUTE_PGM_RSRC2:TGID_Y_EN: 0
; COMPUTE_PGM_RSRC2:TGID_Z_EN: 0
; COMPUTE_PGM_RSRC2:TIDIG_COMP_CNT: 0
; COMPUTE_PGM_RSRC3_GFX90A:ACCUM_OFFSET: 12
; COMPUTE_PGM_RSRC3_GFX90A:TG_SPLIT: 0
	.section	.text._ZN7rocprim17ROCPRIM_400000_NS6detail17trampoline_kernelINS0_14default_configENS1_25partition_config_selectorILNS1_17partition_subalgoE9EllbEEZZNS1_14partition_implILS5_9ELb0ES3_jPlS8_PNS0_10empty_typeENS0_5tupleIJS8_S9_EEENSB_IJS8_SA_EEENS0_18inequality_wrapperIZN2at6native12_GLOBAL__N_124unique_dim_cuda_templateIiEESt5tupleIJNSF_6TensorESK_SK_EERKSK_lbbbEUlllE0_EEPmJS9_EEE10hipError_tPvRmT3_T4_T5_T6_T7_T9_mT8_P12ihipStream_tbDpT10_ENKUlT_T0_E_clISt17integral_constantIbLb1EES1A_EEDaS15_S16_EUlS15_E_NS1_11comp_targetILNS1_3genE3ELNS1_11target_archE908ELNS1_3gpuE7ELNS1_3repE0EEENS1_30default_config_static_selectorELNS0_4arch9wavefront6targetE1EEEvT1_,"axG",@progbits,_ZN7rocprim17ROCPRIM_400000_NS6detail17trampoline_kernelINS0_14default_configENS1_25partition_config_selectorILNS1_17partition_subalgoE9EllbEEZZNS1_14partition_implILS5_9ELb0ES3_jPlS8_PNS0_10empty_typeENS0_5tupleIJS8_S9_EEENSB_IJS8_SA_EEENS0_18inequality_wrapperIZN2at6native12_GLOBAL__N_124unique_dim_cuda_templateIiEESt5tupleIJNSF_6TensorESK_SK_EERKSK_lbbbEUlllE0_EEPmJS9_EEE10hipError_tPvRmT3_T4_T5_T6_T7_T9_mT8_P12ihipStream_tbDpT10_ENKUlT_T0_E_clISt17integral_constantIbLb1EES1A_EEDaS15_S16_EUlS15_E_NS1_11comp_targetILNS1_3genE3ELNS1_11target_archE908ELNS1_3gpuE7ELNS1_3repE0EEENS1_30default_config_static_selectorELNS0_4arch9wavefront6targetE1EEEvT1_,comdat
	.globl	_ZN7rocprim17ROCPRIM_400000_NS6detail17trampoline_kernelINS0_14default_configENS1_25partition_config_selectorILNS1_17partition_subalgoE9EllbEEZZNS1_14partition_implILS5_9ELb0ES3_jPlS8_PNS0_10empty_typeENS0_5tupleIJS8_S9_EEENSB_IJS8_SA_EEENS0_18inequality_wrapperIZN2at6native12_GLOBAL__N_124unique_dim_cuda_templateIiEESt5tupleIJNSF_6TensorESK_SK_EERKSK_lbbbEUlllE0_EEPmJS9_EEE10hipError_tPvRmT3_T4_T5_T6_T7_T9_mT8_P12ihipStream_tbDpT10_ENKUlT_T0_E_clISt17integral_constantIbLb1EES1A_EEDaS15_S16_EUlS15_E_NS1_11comp_targetILNS1_3genE3ELNS1_11target_archE908ELNS1_3gpuE7ELNS1_3repE0EEENS1_30default_config_static_selectorELNS0_4arch9wavefront6targetE1EEEvT1_ ; -- Begin function _ZN7rocprim17ROCPRIM_400000_NS6detail17trampoline_kernelINS0_14default_configENS1_25partition_config_selectorILNS1_17partition_subalgoE9EllbEEZZNS1_14partition_implILS5_9ELb0ES3_jPlS8_PNS0_10empty_typeENS0_5tupleIJS8_S9_EEENSB_IJS8_SA_EEENS0_18inequality_wrapperIZN2at6native12_GLOBAL__N_124unique_dim_cuda_templateIiEESt5tupleIJNSF_6TensorESK_SK_EERKSK_lbbbEUlllE0_EEPmJS9_EEE10hipError_tPvRmT3_T4_T5_T6_T7_T9_mT8_P12ihipStream_tbDpT10_ENKUlT_T0_E_clISt17integral_constantIbLb1EES1A_EEDaS15_S16_EUlS15_E_NS1_11comp_targetILNS1_3genE3ELNS1_11target_archE908ELNS1_3gpuE7ELNS1_3repE0EEENS1_30default_config_static_selectorELNS0_4arch9wavefront6targetE1EEEvT1_
	.p2align	8
	.type	_ZN7rocprim17ROCPRIM_400000_NS6detail17trampoline_kernelINS0_14default_configENS1_25partition_config_selectorILNS1_17partition_subalgoE9EllbEEZZNS1_14partition_implILS5_9ELb0ES3_jPlS8_PNS0_10empty_typeENS0_5tupleIJS8_S9_EEENSB_IJS8_SA_EEENS0_18inequality_wrapperIZN2at6native12_GLOBAL__N_124unique_dim_cuda_templateIiEESt5tupleIJNSF_6TensorESK_SK_EERKSK_lbbbEUlllE0_EEPmJS9_EEE10hipError_tPvRmT3_T4_T5_T6_T7_T9_mT8_P12ihipStream_tbDpT10_ENKUlT_T0_E_clISt17integral_constantIbLb1EES1A_EEDaS15_S16_EUlS15_E_NS1_11comp_targetILNS1_3genE3ELNS1_11target_archE908ELNS1_3gpuE7ELNS1_3repE0EEENS1_30default_config_static_selectorELNS0_4arch9wavefront6targetE1EEEvT1_,@function
_ZN7rocprim17ROCPRIM_400000_NS6detail17trampoline_kernelINS0_14default_configENS1_25partition_config_selectorILNS1_17partition_subalgoE9EllbEEZZNS1_14partition_implILS5_9ELb0ES3_jPlS8_PNS0_10empty_typeENS0_5tupleIJS8_S9_EEENSB_IJS8_SA_EEENS0_18inequality_wrapperIZN2at6native12_GLOBAL__N_124unique_dim_cuda_templateIiEESt5tupleIJNSF_6TensorESK_SK_EERKSK_lbbbEUlllE0_EEPmJS9_EEE10hipError_tPvRmT3_T4_T5_T6_T7_T9_mT8_P12ihipStream_tbDpT10_ENKUlT_T0_E_clISt17integral_constantIbLb1EES1A_EEDaS15_S16_EUlS15_E_NS1_11comp_targetILNS1_3genE3ELNS1_11target_archE908ELNS1_3gpuE7ELNS1_3repE0EEENS1_30default_config_static_selectorELNS0_4arch9wavefront6targetE1EEEvT1_: ; @_ZN7rocprim17ROCPRIM_400000_NS6detail17trampoline_kernelINS0_14default_configENS1_25partition_config_selectorILNS1_17partition_subalgoE9EllbEEZZNS1_14partition_implILS5_9ELb0ES3_jPlS8_PNS0_10empty_typeENS0_5tupleIJS8_S9_EEENSB_IJS8_SA_EEENS0_18inequality_wrapperIZN2at6native12_GLOBAL__N_124unique_dim_cuda_templateIiEESt5tupleIJNSF_6TensorESK_SK_EERKSK_lbbbEUlllE0_EEPmJS9_EEE10hipError_tPvRmT3_T4_T5_T6_T7_T9_mT8_P12ihipStream_tbDpT10_ENKUlT_T0_E_clISt17integral_constantIbLb1EES1A_EEDaS15_S16_EUlS15_E_NS1_11comp_targetILNS1_3genE3ELNS1_11target_archE908ELNS1_3gpuE7ELNS1_3repE0EEENS1_30default_config_static_selectorELNS0_4arch9wavefront6targetE1EEEvT1_
; %bb.0:
	.section	.rodata,"a",@progbits
	.p2align	6, 0x0
	.amdhsa_kernel _ZN7rocprim17ROCPRIM_400000_NS6detail17trampoline_kernelINS0_14default_configENS1_25partition_config_selectorILNS1_17partition_subalgoE9EllbEEZZNS1_14partition_implILS5_9ELb0ES3_jPlS8_PNS0_10empty_typeENS0_5tupleIJS8_S9_EEENSB_IJS8_SA_EEENS0_18inequality_wrapperIZN2at6native12_GLOBAL__N_124unique_dim_cuda_templateIiEESt5tupleIJNSF_6TensorESK_SK_EERKSK_lbbbEUlllE0_EEPmJS9_EEE10hipError_tPvRmT3_T4_T5_T6_T7_T9_mT8_P12ihipStream_tbDpT10_ENKUlT_T0_E_clISt17integral_constantIbLb1EES1A_EEDaS15_S16_EUlS15_E_NS1_11comp_targetILNS1_3genE3ELNS1_11target_archE908ELNS1_3gpuE7ELNS1_3repE0EEENS1_30default_config_static_selectorELNS0_4arch9wavefront6targetE1EEEvT1_
		.amdhsa_group_segment_fixed_size 0
		.amdhsa_private_segment_fixed_size 0
		.amdhsa_kernarg_size 136
		.amdhsa_user_sgpr_count 6
		.amdhsa_user_sgpr_private_segment_buffer 1
		.amdhsa_user_sgpr_dispatch_ptr 0
		.amdhsa_user_sgpr_queue_ptr 0
		.amdhsa_user_sgpr_kernarg_segment_ptr 1
		.amdhsa_user_sgpr_dispatch_id 0
		.amdhsa_user_sgpr_flat_scratch_init 0
		.amdhsa_user_sgpr_kernarg_preload_length 0
		.amdhsa_user_sgpr_kernarg_preload_offset 0
		.amdhsa_user_sgpr_private_segment_size 0
		.amdhsa_uses_dynamic_stack 0
		.amdhsa_system_sgpr_private_segment_wavefront_offset 0
		.amdhsa_system_sgpr_workgroup_id_x 1
		.amdhsa_system_sgpr_workgroup_id_y 0
		.amdhsa_system_sgpr_workgroup_id_z 0
		.amdhsa_system_sgpr_workgroup_info 0
		.amdhsa_system_vgpr_workitem_id 0
		.amdhsa_next_free_vgpr 1
		.amdhsa_next_free_sgpr 0
		.amdhsa_accum_offset 4
		.amdhsa_reserve_vcc 0
		.amdhsa_reserve_flat_scratch 0
		.amdhsa_float_round_mode_32 0
		.amdhsa_float_round_mode_16_64 0
		.amdhsa_float_denorm_mode_32 3
		.amdhsa_float_denorm_mode_16_64 3
		.amdhsa_dx10_clamp 1
		.amdhsa_ieee_mode 1
		.amdhsa_fp16_overflow 0
		.amdhsa_tg_split 0
		.amdhsa_exception_fp_ieee_invalid_op 0
		.amdhsa_exception_fp_denorm_src 0
		.amdhsa_exception_fp_ieee_div_zero 0
		.amdhsa_exception_fp_ieee_overflow 0
		.amdhsa_exception_fp_ieee_underflow 0
		.amdhsa_exception_fp_ieee_inexact 0
		.amdhsa_exception_int_div_zero 0
	.end_amdhsa_kernel
	.section	.text._ZN7rocprim17ROCPRIM_400000_NS6detail17trampoline_kernelINS0_14default_configENS1_25partition_config_selectorILNS1_17partition_subalgoE9EllbEEZZNS1_14partition_implILS5_9ELb0ES3_jPlS8_PNS0_10empty_typeENS0_5tupleIJS8_S9_EEENSB_IJS8_SA_EEENS0_18inequality_wrapperIZN2at6native12_GLOBAL__N_124unique_dim_cuda_templateIiEESt5tupleIJNSF_6TensorESK_SK_EERKSK_lbbbEUlllE0_EEPmJS9_EEE10hipError_tPvRmT3_T4_T5_T6_T7_T9_mT8_P12ihipStream_tbDpT10_ENKUlT_T0_E_clISt17integral_constantIbLb1EES1A_EEDaS15_S16_EUlS15_E_NS1_11comp_targetILNS1_3genE3ELNS1_11target_archE908ELNS1_3gpuE7ELNS1_3repE0EEENS1_30default_config_static_selectorELNS0_4arch9wavefront6targetE1EEEvT1_,"axG",@progbits,_ZN7rocprim17ROCPRIM_400000_NS6detail17trampoline_kernelINS0_14default_configENS1_25partition_config_selectorILNS1_17partition_subalgoE9EllbEEZZNS1_14partition_implILS5_9ELb0ES3_jPlS8_PNS0_10empty_typeENS0_5tupleIJS8_S9_EEENSB_IJS8_SA_EEENS0_18inequality_wrapperIZN2at6native12_GLOBAL__N_124unique_dim_cuda_templateIiEESt5tupleIJNSF_6TensorESK_SK_EERKSK_lbbbEUlllE0_EEPmJS9_EEE10hipError_tPvRmT3_T4_T5_T6_T7_T9_mT8_P12ihipStream_tbDpT10_ENKUlT_T0_E_clISt17integral_constantIbLb1EES1A_EEDaS15_S16_EUlS15_E_NS1_11comp_targetILNS1_3genE3ELNS1_11target_archE908ELNS1_3gpuE7ELNS1_3repE0EEENS1_30default_config_static_selectorELNS0_4arch9wavefront6targetE1EEEvT1_,comdat
.Lfunc_end484:
	.size	_ZN7rocprim17ROCPRIM_400000_NS6detail17trampoline_kernelINS0_14default_configENS1_25partition_config_selectorILNS1_17partition_subalgoE9EllbEEZZNS1_14partition_implILS5_9ELb0ES3_jPlS8_PNS0_10empty_typeENS0_5tupleIJS8_S9_EEENSB_IJS8_SA_EEENS0_18inequality_wrapperIZN2at6native12_GLOBAL__N_124unique_dim_cuda_templateIiEESt5tupleIJNSF_6TensorESK_SK_EERKSK_lbbbEUlllE0_EEPmJS9_EEE10hipError_tPvRmT3_T4_T5_T6_T7_T9_mT8_P12ihipStream_tbDpT10_ENKUlT_T0_E_clISt17integral_constantIbLb1EES1A_EEDaS15_S16_EUlS15_E_NS1_11comp_targetILNS1_3genE3ELNS1_11target_archE908ELNS1_3gpuE7ELNS1_3repE0EEENS1_30default_config_static_selectorELNS0_4arch9wavefront6targetE1EEEvT1_, .Lfunc_end484-_ZN7rocprim17ROCPRIM_400000_NS6detail17trampoline_kernelINS0_14default_configENS1_25partition_config_selectorILNS1_17partition_subalgoE9EllbEEZZNS1_14partition_implILS5_9ELb0ES3_jPlS8_PNS0_10empty_typeENS0_5tupleIJS8_S9_EEENSB_IJS8_SA_EEENS0_18inequality_wrapperIZN2at6native12_GLOBAL__N_124unique_dim_cuda_templateIiEESt5tupleIJNSF_6TensorESK_SK_EERKSK_lbbbEUlllE0_EEPmJS9_EEE10hipError_tPvRmT3_T4_T5_T6_T7_T9_mT8_P12ihipStream_tbDpT10_ENKUlT_T0_E_clISt17integral_constantIbLb1EES1A_EEDaS15_S16_EUlS15_E_NS1_11comp_targetILNS1_3genE3ELNS1_11target_archE908ELNS1_3gpuE7ELNS1_3repE0EEENS1_30default_config_static_selectorELNS0_4arch9wavefront6targetE1EEEvT1_
                                        ; -- End function
	.section	.AMDGPU.csdata,"",@progbits
; Kernel info:
; codeLenInByte = 0
; NumSgprs: 4
; NumVgprs: 0
; NumAgprs: 0
; TotalNumVgprs: 0
; ScratchSize: 0
; MemoryBound: 0
; FloatMode: 240
; IeeeMode: 1
; LDSByteSize: 0 bytes/workgroup (compile time only)
; SGPRBlocks: 0
; VGPRBlocks: 0
; NumSGPRsForWavesPerEU: 4
; NumVGPRsForWavesPerEU: 1
; AccumOffset: 4
; Occupancy: 8
; WaveLimiterHint : 0
; COMPUTE_PGM_RSRC2:SCRATCH_EN: 0
; COMPUTE_PGM_RSRC2:USER_SGPR: 6
; COMPUTE_PGM_RSRC2:TRAP_HANDLER: 0
; COMPUTE_PGM_RSRC2:TGID_X_EN: 1
; COMPUTE_PGM_RSRC2:TGID_Y_EN: 0
; COMPUTE_PGM_RSRC2:TGID_Z_EN: 0
; COMPUTE_PGM_RSRC2:TIDIG_COMP_CNT: 0
; COMPUTE_PGM_RSRC3_GFX90A:ACCUM_OFFSET: 0
; COMPUTE_PGM_RSRC3_GFX90A:TG_SPLIT: 0
	.section	.text._ZN7rocprim17ROCPRIM_400000_NS6detail17trampoline_kernelINS0_14default_configENS1_25partition_config_selectorILNS1_17partition_subalgoE9EllbEEZZNS1_14partition_implILS5_9ELb0ES3_jPlS8_PNS0_10empty_typeENS0_5tupleIJS8_S9_EEENSB_IJS8_SA_EEENS0_18inequality_wrapperIZN2at6native12_GLOBAL__N_124unique_dim_cuda_templateIiEESt5tupleIJNSF_6TensorESK_SK_EERKSK_lbbbEUlllE0_EEPmJS9_EEE10hipError_tPvRmT3_T4_T5_T6_T7_T9_mT8_P12ihipStream_tbDpT10_ENKUlT_T0_E_clISt17integral_constantIbLb1EES1A_EEDaS15_S16_EUlS15_E_NS1_11comp_targetILNS1_3genE2ELNS1_11target_archE906ELNS1_3gpuE6ELNS1_3repE0EEENS1_30default_config_static_selectorELNS0_4arch9wavefront6targetE1EEEvT1_,"axG",@progbits,_ZN7rocprim17ROCPRIM_400000_NS6detail17trampoline_kernelINS0_14default_configENS1_25partition_config_selectorILNS1_17partition_subalgoE9EllbEEZZNS1_14partition_implILS5_9ELb0ES3_jPlS8_PNS0_10empty_typeENS0_5tupleIJS8_S9_EEENSB_IJS8_SA_EEENS0_18inequality_wrapperIZN2at6native12_GLOBAL__N_124unique_dim_cuda_templateIiEESt5tupleIJNSF_6TensorESK_SK_EERKSK_lbbbEUlllE0_EEPmJS9_EEE10hipError_tPvRmT3_T4_T5_T6_T7_T9_mT8_P12ihipStream_tbDpT10_ENKUlT_T0_E_clISt17integral_constantIbLb1EES1A_EEDaS15_S16_EUlS15_E_NS1_11comp_targetILNS1_3genE2ELNS1_11target_archE906ELNS1_3gpuE6ELNS1_3repE0EEENS1_30default_config_static_selectorELNS0_4arch9wavefront6targetE1EEEvT1_,comdat
	.globl	_ZN7rocprim17ROCPRIM_400000_NS6detail17trampoline_kernelINS0_14default_configENS1_25partition_config_selectorILNS1_17partition_subalgoE9EllbEEZZNS1_14partition_implILS5_9ELb0ES3_jPlS8_PNS0_10empty_typeENS0_5tupleIJS8_S9_EEENSB_IJS8_SA_EEENS0_18inequality_wrapperIZN2at6native12_GLOBAL__N_124unique_dim_cuda_templateIiEESt5tupleIJNSF_6TensorESK_SK_EERKSK_lbbbEUlllE0_EEPmJS9_EEE10hipError_tPvRmT3_T4_T5_T6_T7_T9_mT8_P12ihipStream_tbDpT10_ENKUlT_T0_E_clISt17integral_constantIbLb1EES1A_EEDaS15_S16_EUlS15_E_NS1_11comp_targetILNS1_3genE2ELNS1_11target_archE906ELNS1_3gpuE6ELNS1_3repE0EEENS1_30default_config_static_selectorELNS0_4arch9wavefront6targetE1EEEvT1_ ; -- Begin function _ZN7rocprim17ROCPRIM_400000_NS6detail17trampoline_kernelINS0_14default_configENS1_25partition_config_selectorILNS1_17partition_subalgoE9EllbEEZZNS1_14partition_implILS5_9ELb0ES3_jPlS8_PNS0_10empty_typeENS0_5tupleIJS8_S9_EEENSB_IJS8_SA_EEENS0_18inequality_wrapperIZN2at6native12_GLOBAL__N_124unique_dim_cuda_templateIiEESt5tupleIJNSF_6TensorESK_SK_EERKSK_lbbbEUlllE0_EEPmJS9_EEE10hipError_tPvRmT3_T4_T5_T6_T7_T9_mT8_P12ihipStream_tbDpT10_ENKUlT_T0_E_clISt17integral_constantIbLb1EES1A_EEDaS15_S16_EUlS15_E_NS1_11comp_targetILNS1_3genE2ELNS1_11target_archE906ELNS1_3gpuE6ELNS1_3repE0EEENS1_30default_config_static_selectorELNS0_4arch9wavefront6targetE1EEEvT1_
	.p2align	8
	.type	_ZN7rocprim17ROCPRIM_400000_NS6detail17trampoline_kernelINS0_14default_configENS1_25partition_config_selectorILNS1_17partition_subalgoE9EllbEEZZNS1_14partition_implILS5_9ELb0ES3_jPlS8_PNS0_10empty_typeENS0_5tupleIJS8_S9_EEENSB_IJS8_SA_EEENS0_18inequality_wrapperIZN2at6native12_GLOBAL__N_124unique_dim_cuda_templateIiEESt5tupleIJNSF_6TensorESK_SK_EERKSK_lbbbEUlllE0_EEPmJS9_EEE10hipError_tPvRmT3_T4_T5_T6_T7_T9_mT8_P12ihipStream_tbDpT10_ENKUlT_T0_E_clISt17integral_constantIbLb1EES1A_EEDaS15_S16_EUlS15_E_NS1_11comp_targetILNS1_3genE2ELNS1_11target_archE906ELNS1_3gpuE6ELNS1_3repE0EEENS1_30default_config_static_selectorELNS0_4arch9wavefront6targetE1EEEvT1_,@function
_ZN7rocprim17ROCPRIM_400000_NS6detail17trampoline_kernelINS0_14default_configENS1_25partition_config_selectorILNS1_17partition_subalgoE9EllbEEZZNS1_14partition_implILS5_9ELb0ES3_jPlS8_PNS0_10empty_typeENS0_5tupleIJS8_S9_EEENSB_IJS8_SA_EEENS0_18inequality_wrapperIZN2at6native12_GLOBAL__N_124unique_dim_cuda_templateIiEESt5tupleIJNSF_6TensorESK_SK_EERKSK_lbbbEUlllE0_EEPmJS9_EEE10hipError_tPvRmT3_T4_T5_T6_T7_T9_mT8_P12ihipStream_tbDpT10_ENKUlT_T0_E_clISt17integral_constantIbLb1EES1A_EEDaS15_S16_EUlS15_E_NS1_11comp_targetILNS1_3genE2ELNS1_11target_archE906ELNS1_3gpuE6ELNS1_3repE0EEENS1_30default_config_static_selectorELNS0_4arch9wavefront6targetE1EEEvT1_: ; @_ZN7rocprim17ROCPRIM_400000_NS6detail17trampoline_kernelINS0_14default_configENS1_25partition_config_selectorILNS1_17partition_subalgoE9EllbEEZZNS1_14partition_implILS5_9ELb0ES3_jPlS8_PNS0_10empty_typeENS0_5tupleIJS8_S9_EEENSB_IJS8_SA_EEENS0_18inequality_wrapperIZN2at6native12_GLOBAL__N_124unique_dim_cuda_templateIiEESt5tupleIJNSF_6TensorESK_SK_EERKSK_lbbbEUlllE0_EEPmJS9_EEE10hipError_tPvRmT3_T4_T5_T6_T7_T9_mT8_P12ihipStream_tbDpT10_ENKUlT_T0_E_clISt17integral_constantIbLb1EES1A_EEDaS15_S16_EUlS15_E_NS1_11comp_targetILNS1_3genE2ELNS1_11target_archE906ELNS1_3gpuE6ELNS1_3repE0EEENS1_30default_config_static_selectorELNS0_4arch9wavefront6targetE1EEEvT1_
; %bb.0:
	.section	.rodata,"a",@progbits
	.p2align	6, 0x0
	.amdhsa_kernel _ZN7rocprim17ROCPRIM_400000_NS6detail17trampoline_kernelINS0_14default_configENS1_25partition_config_selectorILNS1_17partition_subalgoE9EllbEEZZNS1_14partition_implILS5_9ELb0ES3_jPlS8_PNS0_10empty_typeENS0_5tupleIJS8_S9_EEENSB_IJS8_SA_EEENS0_18inequality_wrapperIZN2at6native12_GLOBAL__N_124unique_dim_cuda_templateIiEESt5tupleIJNSF_6TensorESK_SK_EERKSK_lbbbEUlllE0_EEPmJS9_EEE10hipError_tPvRmT3_T4_T5_T6_T7_T9_mT8_P12ihipStream_tbDpT10_ENKUlT_T0_E_clISt17integral_constantIbLb1EES1A_EEDaS15_S16_EUlS15_E_NS1_11comp_targetILNS1_3genE2ELNS1_11target_archE906ELNS1_3gpuE6ELNS1_3repE0EEENS1_30default_config_static_selectorELNS0_4arch9wavefront6targetE1EEEvT1_
		.amdhsa_group_segment_fixed_size 0
		.amdhsa_private_segment_fixed_size 0
		.amdhsa_kernarg_size 136
		.amdhsa_user_sgpr_count 6
		.amdhsa_user_sgpr_private_segment_buffer 1
		.amdhsa_user_sgpr_dispatch_ptr 0
		.amdhsa_user_sgpr_queue_ptr 0
		.amdhsa_user_sgpr_kernarg_segment_ptr 1
		.amdhsa_user_sgpr_dispatch_id 0
		.amdhsa_user_sgpr_flat_scratch_init 0
		.amdhsa_user_sgpr_kernarg_preload_length 0
		.amdhsa_user_sgpr_kernarg_preload_offset 0
		.amdhsa_user_sgpr_private_segment_size 0
		.amdhsa_uses_dynamic_stack 0
		.amdhsa_system_sgpr_private_segment_wavefront_offset 0
		.amdhsa_system_sgpr_workgroup_id_x 1
		.amdhsa_system_sgpr_workgroup_id_y 0
		.amdhsa_system_sgpr_workgroup_id_z 0
		.amdhsa_system_sgpr_workgroup_info 0
		.amdhsa_system_vgpr_workitem_id 0
		.amdhsa_next_free_vgpr 1
		.amdhsa_next_free_sgpr 0
		.amdhsa_accum_offset 4
		.amdhsa_reserve_vcc 0
		.amdhsa_reserve_flat_scratch 0
		.amdhsa_float_round_mode_32 0
		.amdhsa_float_round_mode_16_64 0
		.amdhsa_float_denorm_mode_32 3
		.amdhsa_float_denorm_mode_16_64 3
		.amdhsa_dx10_clamp 1
		.amdhsa_ieee_mode 1
		.amdhsa_fp16_overflow 0
		.amdhsa_tg_split 0
		.amdhsa_exception_fp_ieee_invalid_op 0
		.amdhsa_exception_fp_denorm_src 0
		.amdhsa_exception_fp_ieee_div_zero 0
		.amdhsa_exception_fp_ieee_overflow 0
		.amdhsa_exception_fp_ieee_underflow 0
		.amdhsa_exception_fp_ieee_inexact 0
		.amdhsa_exception_int_div_zero 0
	.end_amdhsa_kernel
	.section	.text._ZN7rocprim17ROCPRIM_400000_NS6detail17trampoline_kernelINS0_14default_configENS1_25partition_config_selectorILNS1_17partition_subalgoE9EllbEEZZNS1_14partition_implILS5_9ELb0ES3_jPlS8_PNS0_10empty_typeENS0_5tupleIJS8_S9_EEENSB_IJS8_SA_EEENS0_18inequality_wrapperIZN2at6native12_GLOBAL__N_124unique_dim_cuda_templateIiEESt5tupleIJNSF_6TensorESK_SK_EERKSK_lbbbEUlllE0_EEPmJS9_EEE10hipError_tPvRmT3_T4_T5_T6_T7_T9_mT8_P12ihipStream_tbDpT10_ENKUlT_T0_E_clISt17integral_constantIbLb1EES1A_EEDaS15_S16_EUlS15_E_NS1_11comp_targetILNS1_3genE2ELNS1_11target_archE906ELNS1_3gpuE6ELNS1_3repE0EEENS1_30default_config_static_selectorELNS0_4arch9wavefront6targetE1EEEvT1_,"axG",@progbits,_ZN7rocprim17ROCPRIM_400000_NS6detail17trampoline_kernelINS0_14default_configENS1_25partition_config_selectorILNS1_17partition_subalgoE9EllbEEZZNS1_14partition_implILS5_9ELb0ES3_jPlS8_PNS0_10empty_typeENS0_5tupleIJS8_S9_EEENSB_IJS8_SA_EEENS0_18inequality_wrapperIZN2at6native12_GLOBAL__N_124unique_dim_cuda_templateIiEESt5tupleIJNSF_6TensorESK_SK_EERKSK_lbbbEUlllE0_EEPmJS9_EEE10hipError_tPvRmT3_T4_T5_T6_T7_T9_mT8_P12ihipStream_tbDpT10_ENKUlT_T0_E_clISt17integral_constantIbLb1EES1A_EEDaS15_S16_EUlS15_E_NS1_11comp_targetILNS1_3genE2ELNS1_11target_archE906ELNS1_3gpuE6ELNS1_3repE0EEENS1_30default_config_static_selectorELNS0_4arch9wavefront6targetE1EEEvT1_,comdat
.Lfunc_end485:
	.size	_ZN7rocprim17ROCPRIM_400000_NS6detail17trampoline_kernelINS0_14default_configENS1_25partition_config_selectorILNS1_17partition_subalgoE9EllbEEZZNS1_14partition_implILS5_9ELb0ES3_jPlS8_PNS0_10empty_typeENS0_5tupleIJS8_S9_EEENSB_IJS8_SA_EEENS0_18inequality_wrapperIZN2at6native12_GLOBAL__N_124unique_dim_cuda_templateIiEESt5tupleIJNSF_6TensorESK_SK_EERKSK_lbbbEUlllE0_EEPmJS9_EEE10hipError_tPvRmT3_T4_T5_T6_T7_T9_mT8_P12ihipStream_tbDpT10_ENKUlT_T0_E_clISt17integral_constantIbLb1EES1A_EEDaS15_S16_EUlS15_E_NS1_11comp_targetILNS1_3genE2ELNS1_11target_archE906ELNS1_3gpuE6ELNS1_3repE0EEENS1_30default_config_static_selectorELNS0_4arch9wavefront6targetE1EEEvT1_, .Lfunc_end485-_ZN7rocprim17ROCPRIM_400000_NS6detail17trampoline_kernelINS0_14default_configENS1_25partition_config_selectorILNS1_17partition_subalgoE9EllbEEZZNS1_14partition_implILS5_9ELb0ES3_jPlS8_PNS0_10empty_typeENS0_5tupleIJS8_S9_EEENSB_IJS8_SA_EEENS0_18inequality_wrapperIZN2at6native12_GLOBAL__N_124unique_dim_cuda_templateIiEESt5tupleIJNSF_6TensorESK_SK_EERKSK_lbbbEUlllE0_EEPmJS9_EEE10hipError_tPvRmT3_T4_T5_T6_T7_T9_mT8_P12ihipStream_tbDpT10_ENKUlT_T0_E_clISt17integral_constantIbLb1EES1A_EEDaS15_S16_EUlS15_E_NS1_11comp_targetILNS1_3genE2ELNS1_11target_archE906ELNS1_3gpuE6ELNS1_3repE0EEENS1_30default_config_static_selectorELNS0_4arch9wavefront6targetE1EEEvT1_
                                        ; -- End function
	.section	.AMDGPU.csdata,"",@progbits
; Kernel info:
; codeLenInByte = 0
; NumSgprs: 4
; NumVgprs: 0
; NumAgprs: 0
; TotalNumVgprs: 0
; ScratchSize: 0
; MemoryBound: 0
; FloatMode: 240
; IeeeMode: 1
; LDSByteSize: 0 bytes/workgroup (compile time only)
; SGPRBlocks: 0
; VGPRBlocks: 0
; NumSGPRsForWavesPerEU: 4
; NumVGPRsForWavesPerEU: 1
; AccumOffset: 4
; Occupancy: 8
; WaveLimiterHint : 0
; COMPUTE_PGM_RSRC2:SCRATCH_EN: 0
; COMPUTE_PGM_RSRC2:USER_SGPR: 6
; COMPUTE_PGM_RSRC2:TRAP_HANDLER: 0
; COMPUTE_PGM_RSRC2:TGID_X_EN: 1
; COMPUTE_PGM_RSRC2:TGID_Y_EN: 0
; COMPUTE_PGM_RSRC2:TGID_Z_EN: 0
; COMPUTE_PGM_RSRC2:TIDIG_COMP_CNT: 0
; COMPUTE_PGM_RSRC3_GFX90A:ACCUM_OFFSET: 0
; COMPUTE_PGM_RSRC3_GFX90A:TG_SPLIT: 0
	.section	.text._ZN7rocprim17ROCPRIM_400000_NS6detail17trampoline_kernelINS0_14default_configENS1_25partition_config_selectorILNS1_17partition_subalgoE9EllbEEZZNS1_14partition_implILS5_9ELb0ES3_jPlS8_PNS0_10empty_typeENS0_5tupleIJS8_S9_EEENSB_IJS8_SA_EEENS0_18inequality_wrapperIZN2at6native12_GLOBAL__N_124unique_dim_cuda_templateIiEESt5tupleIJNSF_6TensorESK_SK_EERKSK_lbbbEUlllE0_EEPmJS9_EEE10hipError_tPvRmT3_T4_T5_T6_T7_T9_mT8_P12ihipStream_tbDpT10_ENKUlT_T0_E_clISt17integral_constantIbLb1EES1A_EEDaS15_S16_EUlS15_E_NS1_11comp_targetILNS1_3genE10ELNS1_11target_archE1200ELNS1_3gpuE4ELNS1_3repE0EEENS1_30default_config_static_selectorELNS0_4arch9wavefront6targetE1EEEvT1_,"axG",@progbits,_ZN7rocprim17ROCPRIM_400000_NS6detail17trampoline_kernelINS0_14default_configENS1_25partition_config_selectorILNS1_17partition_subalgoE9EllbEEZZNS1_14partition_implILS5_9ELb0ES3_jPlS8_PNS0_10empty_typeENS0_5tupleIJS8_S9_EEENSB_IJS8_SA_EEENS0_18inequality_wrapperIZN2at6native12_GLOBAL__N_124unique_dim_cuda_templateIiEESt5tupleIJNSF_6TensorESK_SK_EERKSK_lbbbEUlllE0_EEPmJS9_EEE10hipError_tPvRmT3_T4_T5_T6_T7_T9_mT8_P12ihipStream_tbDpT10_ENKUlT_T0_E_clISt17integral_constantIbLb1EES1A_EEDaS15_S16_EUlS15_E_NS1_11comp_targetILNS1_3genE10ELNS1_11target_archE1200ELNS1_3gpuE4ELNS1_3repE0EEENS1_30default_config_static_selectorELNS0_4arch9wavefront6targetE1EEEvT1_,comdat
	.globl	_ZN7rocprim17ROCPRIM_400000_NS6detail17trampoline_kernelINS0_14default_configENS1_25partition_config_selectorILNS1_17partition_subalgoE9EllbEEZZNS1_14partition_implILS5_9ELb0ES3_jPlS8_PNS0_10empty_typeENS0_5tupleIJS8_S9_EEENSB_IJS8_SA_EEENS0_18inequality_wrapperIZN2at6native12_GLOBAL__N_124unique_dim_cuda_templateIiEESt5tupleIJNSF_6TensorESK_SK_EERKSK_lbbbEUlllE0_EEPmJS9_EEE10hipError_tPvRmT3_T4_T5_T6_T7_T9_mT8_P12ihipStream_tbDpT10_ENKUlT_T0_E_clISt17integral_constantIbLb1EES1A_EEDaS15_S16_EUlS15_E_NS1_11comp_targetILNS1_3genE10ELNS1_11target_archE1200ELNS1_3gpuE4ELNS1_3repE0EEENS1_30default_config_static_selectorELNS0_4arch9wavefront6targetE1EEEvT1_ ; -- Begin function _ZN7rocprim17ROCPRIM_400000_NS6detail17trampoline_kernelINS0_14default_configENS1_25partition_config_selectorILNS1_17partition_subalgoE9EllbEEZZNS1_14partition_implILS5_9ELb0ES3_jPlS8_PNS0_10empty_typeENS0_5tupleIJS8_S9_EEENSB_IJS8_SA_EEENS0_18inequality_wrapperIZN2at6native12_GLOBAL__N_124unique_dim_cuda_templateIiEESt5tupleIJNSF_6TensorESK_SK_EERKSK_lbbbEUlllE0_EEPmJS9_EEE10hipError_tPvRmT3_T4_T5_T6_T7_T9_mT8_P12ihipStream_tbDpT10_ENKUlT_T0_E_clISt17integral_constantIbLb1EES1A_EEDaS15_S16_EUlS15_E_NS1_11comp_targetILNS1_3genE10ELNS1_11target_archE1200ELNS1_3gpuE4ELNS1_3repE0EEENS1_30default_config_static_selectorELNS0_4arch9wavefront6targetE1EEEvT1_
	.p2align	8
	.type	_ZN7rocprim17ROCPRIM_400000_NS6detail17trampoline_kernelINS0_14default_configENS1_25partition_config_selectorILNS1_17partition_subalgoE9EllbEEZZNS1_14partition_implILS5_9ELb0ES3_jPlS8_PNS0_10empty_typeENS0_5tupleIJS8_S9_EEENSB_IJS8_SA_EEENS0_18inequality_wrapperIZN2at6native12_GLOBAL__N_124unique_dim_cuda_templateIiEESt5tupleIJNSF_6TensorESK_SK_EERKSK_lbbbEUlllE0_EEPmJS9_EEE10hipError_tPvRmT3_T4_T5_T6_T7_T9_mT8_P12ihipStream_tbDpT10_ENKUlT_T0_E_clISt17integral_constantIbLb1EES1A_EEDaS15_S16_EUlS15_E_NS1_11comp_targetILNS1_3genE10ELNS1_11target_archE1200ELNS1_3gpuE4ELNS1_3repE0EEENS1_30default_config_static_selectorELNS0_4arch9wavefront6targetE1EEEvT1_,@function
_ZN7rocprim17ROCPRIM_400000_NS6detail17trampoline_kernelINS0_14default_configENS1_25partition_config_selectorILNS1_17partition_subalgoE9EllbEEZZNS1_14partition_implILS5_9ELb0ES3_jPlS8_PNS0_10empty_typeENS0_5tupleIJS8_S9_EEENSB_IJS8_SA_EEENS0_18inequality_wrapperIZN2at6native12_GLOBAL__N_124unique_dim_cuda_templateIiEESt5tupleIJNSF_6TensorESK_SK_EERKSK_lbbbEUlllE0_EEPmJS9_EEE10hipError_tPvRmT3_T4_T5_T6_T7_T9_mT8_P12ihipStream_tbDpT10_ENKUlT_T0_E_clISt17integral_constantIbLb1EES1A_EEDaS15_S16_EUlS15_E_NS1_11comp_targetILNS1_3genE10ELNS1_11target_archE1200ELNS1_3gpuE4ELNS1_3repE0EEENS1_30default_config_static_selectorELNS0_4arch9wavefront6targetE1EEEvT1_: ; @_ZN7rocprim17ROCPRIM_400000_NS6detail17trampoline_kernelINS0_14default_configENS1_25partition_config_selectorILNS1_17partition_subalgoE9EllbEEZZNS1_14partition_implILS5_9ELb0ES3_jPlS8_PNS0_10empty_typeENS0_5tupleIJS8_S9_EEENSB_IJS8_SA_EEENS0_18inequality_wrapperIZN2at6native12_GLOBAL__N_124unique_dim_cuda_templateIiEESt5tupleIJNSF_6TensorESK_SK_EERKSK_lbbbEUlllE0_EEPmJS9_EEE10hipError_tPvRmT3_T4_T5_T6_T7_T9_mT8_P12ihipStream_tbDpT10_ENKUlT_T0_E_clISt17integral_constantIbLb1EES1A_EEDaS15_S16_EUlS15_E_NS1_11comp_targetILNS1_3genE10ELNS1_11target_archE1200ELNS1_3gpuE4ELNS1_3repE0EEENS1_30default_config_static_selectorELNS0_4arch9wavefront6targetE1EEEvT1_
; %bb.0:
	.section	.rodata,"a",@progbits
	.p2align	6, 0x0
	.amdhsa_kernel _ZN7rocprim17ROCPRIM_400000_NS6detail17trampoline_kernelINS0_14default_configENS1_25partition_config_selectorILNS1_17partition_subalgoE9EllbEEZZNS1_14partition_implILS5_9ELb0ES3_jPlS8_PNS0_10empty_typeENS0_5tupleIJS8_S9_EEENSB_IJS8_SA_EEENS0_18inequality_wrapperIZN2at6native12_GLOBAL__N_124unique_dim_cuda_templateIiEESt5tupleIJNSF_6TensorESK_SK_EERKSK_lbbbEUlllE0_EEPmJS9_EEE10hipError_tPvRmT3_T4_T5_T6_T7_T9_mT8_P12ihipStream_tbDpT10_ENKUlT_T0_E_clISt17integral_constantIbLb1EES1A_EEDaS15_S16_EUlS15_E_NS1_11comp_targetILNS1_3genE10ELNS1_11target_archE1200ELNS1_3gpuE4ELNS1_3repE0EEENS1_30default_config_static_selectorELNS0_4arch9wavefront6targetE1EEEvT1_
		.amdhsa_group_segment_fixed_size 0
		.amdhsa_private_segment_fixed_size 0
		.amdhsa_kernarg_size 136
		.amdhsa_user_sgpr_count 6
		.amdhsa_user_sgpr_private_segment_buffer 1
		.amdhsa_user_sgpr_dispatch_ptr 0
		.amdhsa_user_sgpr_queue_ptr 0
		.amdhsa_user_sgpr_kernarg_segment_ptr 1
		.amdhsa_user_sgpr_dispatch_id 0
		.amdhsa_user_sgpr_flat_scratch_init 0
		.amdhsa_user_sgpr_kernarg_preload_length 0
		.amdhsa_user_sgpr_kernarg_preload_offset 0
		.amdhsa_user_sgpr_private_segment_size 0
		.amdhsa_uses_dynamic_stack 0
		.amdhsa_system_sgpr_private_segment_wavefront_offset 0
		.amdhsa_system_sgpr_workgroup_id_x 1
		.amdhsa_system_sgpr_workgroup_id_y 0
		.amdhsa_system_sgpr_workgroup_id_z 0
		.amdhsa_system_sgpr_workgroup_info 0
		.amdhsa_system_vgpr_workitem_id 0
		.amdhsa_next_free_vgpr 1
		.amdhsa_next_free_sgpr 0
		.amdhsa_accum_offset 4
		.amdhsa_reserve_vcc 0
		.amdhsa_reserve_flat_scratch 0
		.amdhsa_float_round_mode_32 0
		.amdhsa_float_round_mode_16_64 0
		.amdhsa_float_denorm_mode_32 3
		.amdhsa_float_denorm_mode_16_64 3
		.amdhsa_dx10_clamp 1
		.amdhsa_ieee_mode 1
		.amdhsa_fp16_overflow 0
		.amdhsa_tg_split 0
		.amdhsa_exception_fp_ieee_invalid_op 0
		.amdhsa_exception_fp_denorm_src 0
		.amdhsa_exception_fp_ieee_div_zero 0
		.amdhsa_exception_fp_ieee_overflow 0
		.amdhsa_exception_fp_ieee_underflow 0
		.amdhsa_exception_fp_ieee_inexact 0
		.amdhsa_exception_int_div_zero 0
	.end_amdhsa_kernel
	.section	.text._ZN7rocprim17ROCPRIM_400000_NS6detail17trampoline_kernelINS0_14default_configENS1_25partition_config_selectorILNS1_17partition_subalgoE9EllbEEZZNS1_14partition_implILS5_9ELb0ES3_jPlS8_PNS0_10empty_typeENS0_5tupleIJS8_S9_EEENSB_IJS8_SA_EEENS0_18inequality_wrapperIZN2at6native12_GLOBAL__N_124unique_dim_cuda_templateIiEESt5tupleIJNSF_6TensorESK_SK_EERKSK_lbbbEUlllE0_EEPmJS9_EEE10hipError_tPvRmT3_T4_T5_T6_T7_T9_mT8_P12ihipStream_tbDpT10_ENKUlT_T0_E_clISt17integral_constantIbLb1EES1A_EEDaS15_S16_EUlS15_E_NS1_11comp_targetILNS1_3genE10ELNS1_11target_archE1200ELNS1_3gpuE4ELNS1_3repE0EEENS1_30default_config_static_selectorELNS0_4arch9wavefront6targetE1EEEvT1_,"axG",@progbits,_ZN7rocprim17ROCPRIM_400000_NS6detail17trampoline_kernelINS0_14default_configENS1_25partition_config_selectorILNS1_17partition_subalgoE9EllbEEZZNS1_14partition_implILS5_9ELb0ES3_jPlS8_PNS0_10empty_typeENS0_5tupleIJS8_S9_EEENSB_IJS8_SA_EEENS0_18inequality_wrapperIZN2at6native12_GLOBAL__N_124unique_dim_cuda_templateIiEESt5tupleIJNSF_6TensorESK_SK_EERKSK_lbbbEUlllE0_EEPmJS9_EEE10hipError_tPvRmT3_T4_T5_T6_T7_T9_mT8_P12ihipStream_tbDpT10_ENKUlT_T0_E_clISt17integral_constantIbLb1EES1A_EEDaS15_S16_EUlS15_E_NS1_11comp_targetILNS1_3genE10ELNS1_11target_archE1200ELNS1_3gpuE4ELNS1_3repE0EEENS1_30default_config_static_selectorELNS0_4arch9wavefront6targetE1EEEvT1_,comdat
.Lfunc_end486:
	.size	_ZN7rocprim17ROCPRIM_400000_NS6detail17trampoline_kernelINS0_14default_configENS1_25partition_config_selectorILNS1_17partition_subalgoE9EllbEEZZNS1_14partition_implILS5_9ELb0ES3_jPlS8_PNS0_10empty_typeENS0_5tupleIJS8_S9_EEENSB_IJS8_SA_EEENS0_18inequality_wrapperIZN2at6native12_GLOBAL__N_124unique_dim_cuda_templateIiEESt5tupleIJNSF_6TensorESK_SK_EERKSK_lbbbEUlllE0_EEPmJS9_EEE10hipError_tPvRmT3_T4_T5_T6_T7_T9_mT8_P12ihipStream_tbDpT10_ENKUlT_T0_E_clISt17integral_constantIbLb1EES1A_EEDaS15_S16_EUlS15_E_NS1_11comp_targetILNS1_3genE10ELNS1_11target_archE1200ELNS1_3gpuE4ELNS1_3repE0EEENS1_30default_config_static_selectorELNS0_4arch9wavefront6targetE1EEEvT1_, .Lfunc_end486-_ZN7rocprim17ROCPRIM_400000_NS6detail17trampoline_kernelINS0_14default_configENS1_25partition_config_selectorILNS1_17partition_subalgoE9EllbEEZZNS1_14partition_implILS5_9ELb0ES3_jPlS8_PNS0_10empty_typeENS0_5tupleIJS8_S9_EEENSB_IJS8_SA_EEENS0_18inequality_wrapperIZN2at6native12_GLOBAL__N_124unique_dim_cuda_templateIiEESt5tupleIJNSF_6TensorESK_SK_EERKSK_lbbbEUlllE0_EEPmJS9_EEE10hipError_tPvRmT3_T4_T5_T6_T7_T9_mT8_P12ihipStream_tbDpT10_ENKUlT_T0_E_clISt17integral_constantIbLb1EES1A_EEDaS15_S16_EUlS15_E_NS1_11comp_targetILNS1_3genE10ELNS1_11target_archE1200ELNS1_3gpuE4ELNS1_3repE0EEENS1_30default_config_static_selectorELNS0_4arch9wavefront6targetE1EEEvT1_
                                        ; -- End function
	.section	.AMDGPU.csdata,"",@progbits
; Kernel info:
; codeLenInByte = 0
; NumSgprs: 4
; NumVgprs: 0
; NumAgprs: 0
; TotalNumVgprs: 0
; ScratchSize: 0
; MemoryBound: 0
; FloatMode: 240
; IeeeMode: 1
; LDSByteSize: 0 bytes/workgroup (compile time only)
; SGPRBlocks: 0
; VGPRBlocks: 0
; NumSGPRsForWavesPerEU: 4
; NumVGPRsForWavesPerEU: 1
; AccumOffset: 4
; Occupancy: 8
; WaveLimiterHint : 0
; COMPUTE_PGM_RSRC2:SCRATCH_EN: 0
; COMPUTE_PGM_RSRC2:USER_SGPR: 6
; COMPUTE_PGM_RSRC2:TRAP_HANDLER: 0
; COMPUTE_PGM_RSRC2:TGID_X_EN: 1
; COMPUTE_PGM_RSRC2:TGID_Y_EN: 0
; COMPUTE_PGM_RSRC2:TGID_Z_EN: 0
; COMPUTE_PGM_RSRC2:TIDIG_COMP_CNT: 0
; COMPUTE_PGM_RSRC3_GFX90A:ACCUM_OFFSET: 0
; COMPUTE_PGM_RSRC3_GFX90A:TG_SPLIT: 0
	.section	.text._ZN7rocprim17ROCPRIM_400000_NS6detail17trampoline_kernelINS0_14default_configENS1_25partition_config_selectorILNS1_17partition_subalgoE9EllbEEZZNS1_14partition_implILS5_9ELb0ES3_jPlS8_PNS0_10empty_typeENS0_5tupleIJS8_S9_EEENSB_IJS8_SA_EEENS0_18inequality_wrapperIZN2at6native12_GLOBAL__N_124unique_dim_cuda_templateIiEESt5tupleIJNSF_6TensorESK_SK_EERKSK_lbbbEUlllE0_EEPmJS9_EEE10hipError_tPvRmT3_T4_T5_T6_T7_T9_mT8_P12ihipStream_tbDpT10_ENKUlT_T0_E_clISt17integral_constantIbLb1EES1A_EEDaS15_S16_EUlS15_E_NS1_11comp_targetILNS1_3genE9ELNS1_11target_archE1100ELNS1_3gpuE3ELNS1_3repE0EEENS1_30default_config_static_selectorELNS0_4arch9wavefront6targetE1EEEvT1_,"axG",@progbits,_ZN7rocprim17ROCPRIM_400000_NS6detail17trampoline_kernelINS0_14default_configENS1_25partition_config_selectorILNS1_17partition_subalgoE9EllbEEZZNS1_14partition_implILS5_9ELb0ES3_jPlS8_PNS0_10empty_typeENS0_5tupleIJS8_S9_EEENSB_IJS8_SA_EEENS0_18inequality_wrapperIZN2at6native12_GLOBAL__N_124unique_dim_cuda_templateIiEESt5tupleIJNSF_6TensorESK_SK_EERKSK_lbbbEUlllE0_EEPmJS9_EEE10hipError_tPvRmT3_T4_T5_T6_T7_T9_mT8_P12ihipStream_tbDpT10_ENKUlT_T0_E_clISt17integral_constantIbLb1EES1A_EEDaS15_S16_EUlS15_E_NS1_11comp_targetILNS1_3genE9ELNS1_11target_archE1100ELNS1_3gpuE3ELNS1_3repE0EEENS1_30default_config_static_selectorELNS0_4arch9wavefront6targetE1EEEvT1_,comdat
	.globl	_ZN7rocprim17ROCPRIM_400000_NS6detail17trampoline_kernelINS0_14default_configENS1_25partition_config_selectorILNS1_17partition_subalgoE9EllbEEZZNS1_14partition_implILS5_9ELb0ES3_jPlS8_PNS0_10empty_typeENS0_5tupleIJS8_S9_EEENSB_IJS8_SA_EEENS0_18inequality_wrapperIZN2at6native12_GLOBAL__N_124unique_dim_cuda_templateIiEESt5tupleIJNSF_6TensorESK_SK_EERKSK_lbbbEUlllE0_EEPmJS9_EEE10hipError_tPvRmT3_T4_T5_T6_T7_T9_mT8_P12ihipStream_tbDpT10_ENKUlT_T0_E_clISt17integral_constantIbLb1EES1A_EEDaS15_S16_EUlS15_E_NS1_11comp_targetILNS1_3genE9ELNS1_11target_archE1100ELNS1_3gpuE3ELNS1_3repE0EEENS1_30default_config_static_selectorELNS0_4arch9wavefront6targetE1EEEvT1_ ; -- Begin function _ZN7rocprim17ROCPRIM_400000_NS6detail17trampoline_kernelINS0_14default_configENS1_25partition_config_selectorILNS1_17partition_subalgoE9EllbEEZZNS1_14partition_implILS5_9ELb0ES3_jPlS8_PNS0_10empty_typeENS0_5tupleIJS8_S9_EEENSB_IJS8_SA_EEENS0_18inequality_wrapperIZN2at6native12_GLOBAL__N_124unique_dim_cuda_templateIiEESt5tupleIJNSF_6TensorESK_SK_EERKSK_lbbbEUlllE0_EEPmJS9_EEE10hipError_tPvRmT3_T4_T5_T6_T7_T9_mT8_P12ihipStream_tbDpT10_ENKUlT_T0_E_clISt17integral_constantIbLb1EES1A_EEDaS15_S16_EUlS15_E_NS1_11comp_targetILNS1_3genE9ELNS1_11target_archE1100ELNS1_3gpuE3ELNS1_3repE0EEENS1_30default_config_static_selectorELNS0_4arch9wavefront6targetE1EEEvT1_
	.p2align	8
	.type	_ZN7rocprim17ROCPRIM_400000_NS6detail17trampoline_kernelINS0_14default_configENS1_25partition_config_selectorILNS1_17partition_subalgoE9EllbEEZZNS1_14partition_implILS5_9ELb0ES3_jPlS8_PNS0_10empty_typeENS0_5tupleIJS8_S9_EEENSB_IJS8_SA_EEENS0_18inequality_wrapperIZN2at6native12_GLOBAL__N_124unique_dim_cuda_templateIiEESt5tupleIJNSF_6TensorESK_SK_EERKSK_lbbbEUlllE0_EEPmJS9_EEE10hipError_tPvRmT3_T4_T5_T6_T7_T9_mT8_P12ihipStream_tbDpT10_ENKUlT_T0_E_clISt17integral_constantIbLb1EES1A_EEDaS15_S16_EUlS15_E_NS1_11comp_targetILNS1_3genE9ELNS1_11target_archE1100ELNS1_3gpuE3ELNS1_3repE0EEENS1_30default_config_static_selectorELNS0_4arch9wavefront6targetE1EEEvT1_,@function
_ZN7rocprim17ROCPRIM_400000_NS6detail17trampoline_kernelINS0_14default_configENS1_25partition_config_selectorILNS1_17partition_subalgoE9EllbEEZZNS1_14partition_implILS5_9ELb0ES3_jPlS8_PNS0_10empty_typeENS0_5tupleIJS8_S9_EEENSB_IJS8_SA_EEENS0_18inequality_wrapperIZN2at6native12_GLOBAL__N_124unique_dim_cuda_templateIiEESt5tupleIJNSF_6TensorESK_SK_EERKSK_lbbbEUlllE0_EEPmJS9_EEE10hipError_tPvRmT3_T4_T5_T6_T7_T9_mT8_P12ihipStream_tbDpT10_ENKUlT_T0_E_clISt17integral_constantIbLb1EES1A_EEDaS15_S16_EUlS15_E_NS1_11comp_targetILNS1_3genE9ELNS1_11target_archE1100ELNS1_3gpuE3ELNS1_3repE0EEENS1_30default_config_static_selectorELNS0_4arch9wavefront6targetE1EEEvT1_: ; @_ZN7rocprim17ROCPRIM_400000_NS6detail17trampoline_kernelINS0_14default_configENS1_25partition_config_selectorILNS1_17partition_subalgoE9EllbEEZZNS1_14partition_implILS5_9ELb0ES3_jPlS8_PNS0_10empty_typeENS0_5tupleIJS8_S9_EEENSB_IJS8_SA_EEENS0_18inequality_wrapperIZN2at6native12_GLOBAL__N_124unique_dim_cuda_templateIiEESt5tupleIJNSF_6TensorESK_SK_EERKSK_lbbbEUlllE0_EEPmJS9_EEE10hipError_tPvRmT3_T4_T5_T6_T7_T9_mT8_P12ihipStream_tbDpT10_ENKUlT_T0_E_clISt17integral_constantIbLb1EES1A_EEDaS15_S16_EUlS15_E_NS1_11comp_targetILNS1_3genE9ELNS1_11target_archE1100ELNS1_3gpuE3ELNS1_3repE0EEENS1_30default_config_static_selectorELNS0_4arch9wavefront6targetE1EEEvT1_
; %bb.0:
	.section	.rodata,"a",@progbits
	.p2align	6, 0x0
	.amdhsa_kernel _ZN7rocprim17ROCPRIM_400000_NS6detail17trampoline_kernelINS0_14default_configENS1_25partition_config_selectorILNS1_17partition_subalgoE9EllbEEZZNS1_14partition_implILS5_9ELb0ES3_jPlS8_PNS0_10empty_typeENS0_5tupleIJS8_S9_EEENSB_IJS8_SA_EEENS0_18inequality_wrapperIZN2at6native12_GLOBAL__N_124unique_dim_cuda_templateIiEESt5tupleIJNSF_6TensorESK_SK_EERKSK_lbbbEUlllE0_EEPmJS9_EEE10hipError_tPvRmT3_T4_T5_T6_T7_T9_mT8_P12ihipStream_tbDpT10_ENKUlT_T0_E_clISt17integral_constantIbLb1EES1A_EEDaS15_S16_EUlS15_E_NS1_11comp_targetILNS1_3genE9ELNS1_11target_archE1100ELNS1_3gpuE3ELNS1_3repE0EEENS1_30default_config_static_selectorELNS0_4arch9wavefront6targetE1EEEvT1_
		.amdhsa_group_segment_fixed_size 0
		.amdhsa_private_segment_fixed_size 0
		.amdhsa_kernarg_size 136
		.amdhsa_user_sgpr_count 6
		.amdhsa_user_sgpr_private_segment_buffer 1
		.amdhsa_user_sgpr_dispatch_ptr 0
		.amdhsa_user_sgpr_queue_ptr 0
		.amdhsa_user_sgpr_kernarg_segment_ptr 1
		.amdhsa_user_sgpr_dispatch_id 0
		.amdhsa_user_sgpr_flat_scratch_init 0
		.amdhsa_user_sgpr_kernarg_preload_length 0
		.amdhsa_user_sgpr_kernarg_preload_offset 0
		.amdhsa_user_sgpr_private_segment_size 0
		.amdhsa_uses_dynamic_stack 0
		.amdhsa_system_sgpr_private_segment_wavefront_offset 0
		.amdhsa_system_sgpr_workgroup_id_x 1
		.amdhsa_system_sgpr_workgroup_id_y 0
		.amdhsa_system_sgpr_workgroup_id_z 0
		.amdhsa_system_sgpr_workgroup_info 0
		.amdhsa_system_vgpr_workitem_id 0
		.amdhsa_next_free_vgpr 1
		.amdhsa_next_free_sgpr 0
		.amdhsa_accum_offset 4
		.amdhsa_reserve_vcc 0
		.amdhsa_reserve_flat_scratch 0
		.amdhsa_float_round_mode_32 0
		.amdhsa_float_round_mode_16_64 0
		.amdhsa_float_denorm_mode_32 3
		.amdhsa_float_denorm_mode_16_64 3
		.amdhsa_dx10_clamp 1
		.amdhsa_ieee_mode 1
		.amdhsa_fp16_overflow 0
		.amdhsa_tg_split 0
		.amdhsa_exception_fp_ieee_invalid_op 0
		.amdhsa_exception_fp_denorm_src 0
		.amdhsa_exception_fp_ieee_div_zero 0
		.amdhsa_exception_fp_ieee_overflow 0
		.amdhsa_exception_fp_ieee_underflow 0
		.amdhsa_exception_fp_ieee_inexact 0
		.amdhsa_exception_int_div_zero 0
	.end_amdhsa_kernel
	.section	.text._ZN7rocprim17ROCPRIM_400000_NS6detail17trampoline_kernelINS0_14default_configENS1_25partition_config_selectorILNS1_17partition_subalgoE9EllbEEZZNS1_14partition_implILS5_9ELb0ES3_jPlS8_PNS0_10empty_typeENS0_5tupleIJS8_S9_EEENSB_IJS8_SA_EEENS0_18inequality_wrapperIZN2at6native12_GLOBAL__N_124unique_dim_cuda_templateIiEESt5tupleIJNSF_6TensorESK_SK_EERKSK_lbbbEUlllE0_EEPmJS9_EEE10hipError_tPvRmT3_T4_T5_T6_T7_T9_mT8_P12ihipStream_tbDpT10_ENKUlT_T0_E_clISt17integral_constantIbLb1EES1A_EEDaS15_S16_EUlS15_E_NS1_11comp_targetILNS1_3genE9ELNS1_11target_archE1100ELNS1_3gpuE3ELNS1_3repE0EEENS1_30default_config_static_selectorELNS0_4arch9wavefront6targetE1EEEvT1_,"axG",@progbits,_ZN7rocprim17ROCPRIM_400000_NS6detail17trampoline_kernelINS0_14default_configENS1_25partition_config_selectorILNS1_17partition_subalgoE9EllbEEZZNS1_14partition_implILS5_9ELb0ES3_jPlS8_PNS0_10empty_typeENS0_5tupleIJS8_S9_EEENSB_IJS8_SA_EEENS0_18inequality_wrapperIZN2at6native12_GLOBAL__N_124unique_dim_cuda_templateIiEESt5tupleIJNSF_6TensorESK_SK_EERKSK_lbbbEUlllE0_EEPmJS9_EEE10hipError_tPvRmT3_T4_T5_T6_T7_T9_mT8_P12ihipStream_tbDpT10_ENKUlT_T0_E_clISt17integral_constantIbLb1EES1A_EEDaS15_S16_EUlS15_E_NS1_11comp_targetILNS1_3genE9ELNS1_11target_archE1100ELNS1_3gpuE3ELNS1_3repE0EEENS1_30default_config_static_selectorELNS0_4arch9wavefront6targetE1EEEvT1_,comdat
.Lfunc_end487:
	.size	_ZN7rocprim17ROCPRIM_400000_NS6detail17trampoline_kernelINS0_14default_configENS1_25partition_config_selectorILNS1_17partition_subalgoE9EllbEEZZNS1_14partition_implILS5_9ELb0ES3_jPlS8_PNS0_10empty_typeENS0_5tupleIJS8_S9_EEENSB_IJS8_SA_EEENS0_18inequality_wrapperIZN2at6native12_GLOBAL__N_124unique_dim_cuda_templateIiEESt5tupleIJNSF_6TensorESK_SK_EERKSK_lbbbEUlllE0_EEPmJS9_EEE10hipError_tPvRmT3_T4_T5_T6_T7_T9_mT8_P12ihipStream_tbDpT10_ENKUlT_T0_E_clISt17integral_constantIbLb1EES1A_EEDaS15_S16_EUlS15_E_NS1_11comp_targetILNS1_3genE9ELNS1_11target_archE1100ELNS1_3gpuE3ELNS1_3repE0EEENS1_30default_config_static_selectorELNS0_4arch9wavefront6targetE1EEEvT1_, .Lfunc_end487-_ZN7rocprim17ROCPRIM_400000_NS6detail17trampoline_kernelINS0_14default_configENS1_25partition_config_selectorILNS1_17partition_subalgoE9EllbEEZZNS1_14partition_implILS5_9ELb0ES3_jPlS8_PNS0_10empty_typeENS0_5tupleIJS8_S9_EEENSB_IJS8_SA_EEENS0_18inequality_wrapperIZN2at6native12_GLOBAL__N_124unique_dim_cuda_templateIiEESt5tupleIJNSF_6TensorESK_SK_EERKSK_lbbbEUlllE0_EEPmJS9_EEE10hipError_tPvRmT3_T4_T5_T6_T7_T9_mT8_P12ihipStream_tbDpT10_ENKUlT_T0_E_clISt17integral_constantIbLb1EES1A_EEDaS15_S16_EUlS15_E_NS1_11comp_targetILNS1_3genE9ELNS1_11target_archE1100ELNS1_3gpuE3ELNS1_3repE0EEENS1_30default_config_static_selectorELNS0_4arch9wavefront6targetE1EEEvT1_
                                        ; -- End function
	.section	.AMDGPU.csdata,"",@progbits
; Kernel info:
; codeLenInByte = 0
; NumSgprs: 4
; NumVgprs: 0
; NumAgprs: 0
; TotalNumVgprs: 0
; ScratchSize: 0
; MemoryBound: 0
; FloatMode: 240
; IeeeMode: 1
; LDSByteSize: 0 bytes/workgroup (compile time only)
; SGPRBlocks: 0
; VGPRBlocks: 0
; NumSGPRsForWavesPerEU: 4
; NumVGPRsForWavesPerEU: 1
; AccumOffset: 4
; Occupancy: 8
; WaveLimiterHint : 0
; COMPUTE_PGM_RSRC2:SCRATCH_EN: 0
; COMPUTE_PGM_RSRC2:USER_SGPR: 6
; COMPUTE_PGM_RSRC2:TRAP_HANDLER: 0
; COMPUTE_PGM_RSRC2:TGID_X_EN: 1
; COMPUTE_PGM_RSRC2:TGID_Y_EN: 0
; COMPUTE_PGM_RSRC2:TGID_Z_EN: 0
; COMPUTE_PGM_RSRC2:TIDIG_COMP_CNT: 0
; COMPUTE_PGM_RSRC3_GFX90A:ACCUM_OFFSET: 0
; COMPUTE_PGM_RSRC3_GFX90A:TG_SPLIT: 0
	.section	.text._ZN7rocprim17ROCPRIM_400000_NS6detail17trampoline_kernelINS0_14default_configENS1_25partition_config_selectorILNS1_17partition_subalgoE9EllbEEZZNS1_14partition_implILS5_9ELb0ES3_jPlS8_PNS0_10empty_typeENS0_5tupleIJS8_S9_EEENSB_IJS8_SA_EEENS0_18inequality_wrapperIZN2at6native12_GLOBAL__N_124unique_dim_cuda_templateIiEESt5tupleIJNSF_6TensorESK_SK_EERKSK_lbbbEUlllE0_EEPmJS9_EEE10hipError_tPvRmT3_T4_T5_T6_T7_T9_mT8_P12ihipStream_tbDpT10_ENKUlT_T0_E_clISt17integral_constantIbLb1EES1A_EEDaS15_S16_EUlS15_E_NS1_11comp_targetILNS1_3genE8ELNS1_11target_archE1030ELNS1_3gpuE2ELNS1_3repE0EEENS1_30default_config_static_selectorELNS0_4arch9wavefront6targetE1EEEvT1_,"axG",@progbits,_ZN7rocprim17ROCPRIM_400000_NS6detail17trampoline_kernelINS0_14default_configENS1_25partition_config_selectorILNS1_17partition_subalgoE9EllbEEZZNS1_14partition_implILS5_9ELb0ES3_jPlS8_PNS0_10empty_typeENS0_5tupleIJS8_S9_EEENSB_IJS8_SA_EEENS0_18inequality_wrapperIZN2at6native12_GLOBAL__N_124unique_dim_cuda_templateIiEESt5tupleIJNSF_6TensorESK_SK_EERKSK_lbbbEUlllE0_EEPmJS9_EEE10hipError_tPvRmT3_T4_T5_T6_T7_T9_mT8_P12ihipStream_tbDpT10_ENKUlT_T0_E_clISt17integral_constantIbLb1EES1A_EEDaS15_S16_EUlS15_E_NS1_11comp_targetILNS1_3genE8ELNS1_11target_archE1030ELNS1_3gpuE2ELNS1_3repE0EEENS1_30default_config_static_selectorELNS0_4arch9wavefront6targetE1EEEvT1_,comdat
	.globl	_ZN7rocprim17ROCPRIM_400000_NS6detail17trampoline_kernelINS0_14default_configENS1_25partition_config_selectorILNS1_17partition_subalgoE9EllbEEZZNS1_14partition_implILS5_9ELb0ES3_jPlS8_PNS0_10empty_typeENS0_5tupleIJS8_S9_EEENSB_IJS8_SA_EEENS0_18inequality_wrapperIZN2at6native12_GLOBAL__N_124unique_dim_cuda_templateIiEESt5tupleIJNSF_6TensorESK_SK_EERKSK_lbbbEUlllE0_EEPmJS9_EEE10hipError_tPvRmT3_T4_T5_T6_T7_T9_mT8_P12ihipStream_tbDpT10_ENKUlT_T0_E_clISt17integral_constantIbLb1EES1A_EEDaS15_S16_EUlS15_E_NS1_11comp_targetILNS1_3genE8ELNS1_11target_archE1030ELNS1_3gpuE2ELNS1_3repE0EEENS1_30default_config_static_selectorELNS0_4arch9wavefront6targetE1EEEvT1_ ; -- Begin function _ZN7rocprim17ROCPRIM_400000_NS6detail17trampoline_kernelINS0_14default_configENS1_25partition_config_selectorILNS1_17partition_subalgoE9EllbEEZZNS1_14partition_implILS5_9ELb0ES3_jPlS8_PNS0_10empty_typeENS0_5tupleIJS8_S9_EEENSB_IJS8_SA_EEENS0_18inequality_wrapperIZN2at6native12_GLOBAL__N_124unique_dim_cuda_templateIiEESt5tupleIJNSF_6TensorESK_SK_EERKSK_lbbbEUlllE0_EEPmJS9_EEE10hipError_tPvRmT3_T4_T5_T6_T7_T9_mT8_P12ihipStream_tbDpT10_ENKUlT_T0_E_clISt17integral_constantIbLb1EES1A_EEDaS15_S16_EUlS15_E_NS1_11comp_targetILNS1_3genE8ELNS1_11target_archE1030ELNS1_3gpuE2ELNS1_3repE0EEENS1_30default_config_static_selectorELNS0_4arch9wavefront6targetE1EEEvT1_
	.p2align	8
	.type	_ZN7rocprim17ROCPRIM_400000_NS6detail17trampoline_kernelINS0_14default_configENS1_25partition_config_selectorILNS1_17partition_subalgoE9EllbEEZZNS1_14partition_implILS5_9ELb0ES3_jPlS8_PNS0_10empty_typeENS0_5tupleIJS8_S9_EEENSB_IJS8_SA_EEENS0_18inequality_wrapperIZN2at6native12_GLOBAL__N_124unique_dim_cuda_templateIiEESt5tupleIJNSF_6TensorESK_SK_EERKSK_lbbbEUlllE0_EEPmJS9_EEE10hipError_tPvRmT3_T4_T5_T6_T7_T9_mT8_P12ihipStream_tbDpT10_ENKUlT_T0_E_clISt17integral_constantIbLb1EES1A_EEDaS15_S16_EUlS15_E_NS1_11comp_targetILNS1_3genE8ELNS1_11target_archE1030ELNS1_3gpuE2ELNS1_3repE0EEENS1_30default_config_static_selectorELNS0_4arch9wavefront6targetE1EEEvT1_,@function
_ZN7rocprim17ROCPRIM_400000_NS6detail17trampoline_kernelINS0_14default_configENS1_25partition_config_selectorILNS1_17partition_subalgoE9EllbEEZZNS1_14partition_implILS5_9ELb0ES3_jPlS8_PNS0_10empty_typeENS0_5tupleIJS8_S9_EEENSB_IJS8_SA_EEENS0_18inequality_wrapperIZN2at6native12_GLOBAL__N_124unique_dim_cuda_templateIiEESt5tupleIJNSF_6TensorESK_SK_EERKSK_lbbbEUlllE0_EEPmJS9_EEE10hipError_tPvRmT3_T4_T5_T6_T7_T9_mT8_P12ihipStream_tbDpT10_ENKUlT_T0_E_clISt17integral_constantIbLb1EES1A_EEDaS15_S16_EUlS15_E_NS1_11comp_targetILNS1_3genE8ELNS1_11target_archE1030ELNS1_3gpuE2ELNS1_3repE0EEENS1_30default_config_static_selectorELNS0_4arch9wavefront6targetE1EEEvT1_: ; @_ZN7rocprim17ROCPRIM_400000_NS6detail17trampoline_kernelINS0_14default_configENS1_25partition_config_selectorILNS1_17partition_subalgoE9EllbEEZZNS1_14partition_implILS5_9ELb0ES3_jPlS8_PNS0_10empty_typeENS0_5tupleIJS8_S9_EEENSB_IJS8_SA_EEENS0_18inequality_wrapperIZN2at6native12_GLOBAL__N_124unique_dim_cuda_templateIiEESt5tupleIJNSF_6TensorESK_SK_EERKSK_lbbbEUlllE0_EEPmJS9_EEE10hipError_tPvRmT3_T4_T5_T6_T7_T9_mT8_P12ihipStream_tbDpT10_ENKUlT_T0_E_clISt17integral_constantIbLb1EES1A_EEDaS15_S16_EUlS15_E_NS1_11comp_targetILNS1_3genE8ELNS1_11target_archE1030ELNS1_3gpuE2ELNS1_3repE0EEENS1_30default_config_static_selectorELNS0_4arch9wavefront6targetE1EEEvT1_
; %bb.0:
	.section	.rodata,"a",@progbits
	.p2align	6, 0x0
	.amdhsa_kernel _ZN7rocprim17ROCPRIM_400000_NS6detail17trampoline_kernelINS0_14default_configENS1_25partition_config_selectorILNS1_17partition_subalgoE9EllbEEZZNS1_14partition_implILS5_9ELb0ES3_jPlS8_PNS0_10empty_typeENS0_5tupleIJS8_S9_EEENSB_IJS8_SA_EEENS0_18inequality_wrapperIZN2at6native12_GLOBAL__N_124unique_dim_cuda_templateIiEESt5tupleIJNSF_6TensorESK_SK_EERKSK_lbbbEUlllE0_EEPmJS9_EEE10hipError_tPvRmT3_T4_T5_T6_T7_T9_mT8_P12ihipStream_tbDpT10_ENKUlT_T0_E_clISt17integral_constantIbLb1EES1A_EEDaS15_S16_EUlS15_E_NS1_11comp_targetILNS1_3genE8ELNS1_11target_archE1030ELNS1_3gpuE2ELNS1_3repE0EEENS1_30default_config_static_selectorELNS0_4arch9wavefront6targetE1EEEvT1_
		.amdhsa_group_segment_fixed_size 0
		.amdhsa_private_segment_fixed_size 0
		.amdhsa_kernarg_size 136
		.amdhsa_user_sgpr_count 6
		.amdhsa_user_sgpr_private_segment_buffer 1
		.amdhsa_user_sgpr_dispatch_ptr 0
		.amdhsa_user_sgpr_queue_ptr 0
		.amdhsa_user_sgpr_kernarg_segment_ptr 1
		.amdhsa_user_sgpr_dispatch_id 0
		.amdhsa_user_sgpr_flat_scratch_init 0
		.amdhsa_user_sgpr_kernarg_preload_length 0
		.amdhsa_user_sgpr_kernarg_preload_offset 0
		.amdhsa_user_sgpr_private_segment_size 0
		.amdhsa_uses_dynamic_stack 0
		.amdhsa_system_sgpr_private_segment_wavefront_offset 0
		.amdhsa_system_sgpr_workgroup_id_x 1
		.amdhsa_system_sgpr_workgroup_id_y 0
		.amdhsa_system_sgpr_workgroup_id_z 0
		.amdhsa_system_sgpr_workgroup_info 0
		.amdhsa_system_vgpr_workitem_id 0
		.amdhsa_next_free_vgpr 1
		.amdhsa_next_free_sgpr 0
		.amdhsa_accum_offset 4
		.amdhsa_reserve_vcc 0
		.amdhsa_reserve_flat_scratch 0
		.amdhsa_float_round_mode_32 0
		.amdhsa_float_round_mode_16_64 0
		.amdhsa_float_denorm_mode_32 3
		.amdhsa_float_denorm_mode_16_64 3
		.amdhsa_dx10_clamp 1
		.amdhsa_ieee_mode 1
		.amdhsa_fp16_overflow 0
		.amdhsa_tg_split 0
		.amdhsa_exception_fp_ieee_invalid_op 0
		.amdhsa_exception_fp_denorm_src 0
		.amdhsa_exception_fp_ieee_div_zero 0
		.amdhsa_exception_fp_ieee_overflow 0
		.amdhsa_exception_fp_ieee_underflow 0
		.amdhsa_exception_fp_ieee_inexact 0
		.amdhsa_exception_int_div_zero 0
	.end_amdhsa_kernel
	.section	.text._ZN7rocprim17ROCPRIM_400000_NS6detail17trampoline_kernelINS0_14default_configENS1_25partition_config_selectorILNS1_17partition_subalgoE9EllbEEZZNS1_14partition_implILS5_9ELb0ES3_jPlS8_PNS0_10empty_typeENS0_5tupleIJS8_S9_EEENSB_IJS8_SA_EEENS0_18inequality_wrapperIZN2at6native12_GLOBAL__N_124unique_dim_cuda_templateIiEESt5tupleIJNSF_6TensorESK_SK_EERKSK_lbbbEUlllE0_EEPmJS9_EEE10hipError_tPvRmT3_T4_T5_T6_T7_T9_mT8_P12ihipStream_tbDpT10_ENKUlT_T0_E_clISt17integral_constantIbLb1EES1A_EEDaS15_S16_EUlS15_E_NS1_11comp_targetILNS1_3genE8ELNS1_11target_archE1030ELNS1_3gpuE2ELNS1_3repE0EEENS1_30default_config_static_selectorELNS0_4arch9wavefront6targetE1EEEvT1_,"axG",@progbits,_ZN7rocprim17ROCPRIM_400000_NS6detail17trampoline_kernelINS0_14default_configENS1_25partition_config_selectorILNS1_17partition_subalgoE9EllbEEZZNS1_14partition_implILS5_9ELb0ES3_jPlS8_PNS0_10empty_typeENS0_5tupleIJS8_S9_EEENSB_IJS8_SA_EEENS0_18inequality_wrapperIZN2at6native12_GLOBAL__N_124unique_dim_cuda_templateIiEESt5tupleIJNSF_6TensorESK_SK_EERKSK_lbbbEUlllE0_EEPmJS9_EEE10hipError_tPvRmT3_T4_T5_T6_T7_T9_mT8_P12ihipStream_tbDpT10_ENKUlT_T0_E_clISt17integral_constantIbLb1EES1A_EEDaS15_S16_EUlS15_E_NS1_11comp_targetILNS1_3genE8ELNS1_11target_archE1030ELNS1_3gpuE2ELNS1_3repE0EEENS1_30default_config_static_selectorELNS0_4arch9wavefront6targetE1EEEvT1_,comdat
.Lfunc_end488:
	.size	_ZN7rocprim17ROCPRIM_400000_NS6detail17trampoline_kernelINS0_14default_configENS1_25partition_config_selectorILNS1_17partition_subalgoE9EllbEEZZNS1_14partition_implILS5_9ELb0ES3_jPlS8_PNS0_10empty_typeENS0_5tupleIJS8_S9_EEENSB_IJS8_SA_EEENS0_18inequality_wrapperIZN2at6native12_GLOBAL__N_124unique_dim_cuda_templateIiEESt5tupleIJNSF_6TensorESK_SK_EERKSK_lbbbEUlllE0_EEPmJS9_EEE10hipError_tPvRmT3_T4_T5_T6_T7_T9_mT8_P12ihipStream_tbDpT10_ENKUlT_T0_E_clISt17integral_constantIbLb1EES1A_EEDaS15_S16_EUlS15_E_NS1_11comp_targetILNS1_3genE8ELNS1_11target_archE1030ELNS1_3gpuE2ELNS1_3repE0EEENS1_30default_config_static_selectorELNS0_4arch9wavefront6targetE1EEEvT1_, .Lfunc_end488-_ZN7rocprim17ROCPRIM_400000_NS6detail17trampoline_kernelINS0_14default_configENS1_25partition_config_selectorILNS1_17partition_subalgoE9EllbEEZZNS1_14partition_implILS5_9ELb0ES3_jPlS8_PNS0_10empty_typeENS0_5tupleIJS8_S9_EEENSB_IJS8_SA_EEENS0_18inequality_wrapperIZN2at6native12_GLOBAL__N_124unique_dim_cuda_templateIiEESt5tupleIJNSF_6TensorESK_SK_EERKSK_lbbbEUlllE0_EEPmJS9_EEE10hipError_tPvRmT3_T4_T5_T6_T7_T9_mT8_P12ihipStream_tbDpT10_ENKUlT_T0_E_clISt17integral_constantIbLb1EES1A_EEDaS15_S16_EUlS15_E_NS1_11comp_targetILNS1_3genE8ELNS1_11target_archE1030ELNS1_3gpuE2ELNS1_3repE0EEENS1_30default_config_static_selectorELNS0_4arch9wavefront6targetE1EEEvT1_
                                        ; -- End function
	.section	.AMDGPU.csdata,"",@progbits
; Kernel info:
; codeLenInByte = 0
; NumSgprs: 4
; NumVgprs: 0
; NumAgprs: 0
; TotalNumVgprs: 0
; ScratchSize: 0
; MemoryBound: 0
; FloatMode: 240
; IeeeMode: 1
; LDSByteSize: 0 bytes/workgroup (compile time only)
; SGPRBlocks: 0
; VGPRBlocks: 0
; NumSGPRsForWavesPerEU: 4
; NumVGPRsForWavesPerEU: 1
; AccumOffset: 4
; Occupancy: 8
; WaveLimiterHint : 0
; COMPUTE_PGM_RSRC2:SCRATCH_EN: 0
; COMPUTE_PGM_RSRC2:USER_SGPR: 6
; COMPUTE_PGM_RSRC2:TRAP_HANDLER: 0
; COMPUTE_PGM_RSRC2:TGID_X_EN: 1
; COMPUTE_PGM_RSRC2:TGID_Y_EN: 0
; COMPUTE_PGM_RSRC2:TGID_Z_EN: 0
; COMPUTE_PGM_RSRC2:TIDIG_COMP_CNT: 0
; COMPUTE_PGM_RSRC3_GFX90A:ACCUM_OFFSET: 0
; COMPUTE_PGM_RSRC3_GFX90A:TG_SPLIT: 0
	.section	.text._ZN7rocprim17ROCPRIM_400000_NS6detail17trampoline_kernelINS0_14default_configENS1_25partition_config_selectorILNS1_17partition_subalgoE9EllbEEZZNS1_14partition_implILS5_9ELb0ES3_jPlS8_PNS0_10empty_typeENS0_5tupleIJS8_S9_EEENSB_IJS8_SA_EEENS0_18inequality_wrapperIZN2at6native12_GLOBAL__N_124unique_dim_cuda_templateIiEESt5tupleIJNSF_6TensorESK_SK_EERKSK_lbbbEUlllE0_EEPmJS9_EEE10hipError_tPvRmT3_T4_T5_T6_T7_T9_mT8_P12ihipStream_tbDpT10_ENKUlT_T0_E_clISt17integral_constantIbLb1EES19_IbLb0EEEEDaS15_S16_EUlS15_E_NS1_11comp_targetILNS1_3genE0ELNS1_11target_archE4294967295ELNS1_3gpuE0ELNS1_3repE0EEENS1_30default_config_static_selectorELNS0_4arch9wavefront6targetE1EEEvT1_,"axG",@progbits,_ZN7rocprim17ROCPRIM_400000_NS6detail17trampoline_kernelINS0_14default_configENS1_25partition_config_selectorILNS1_17partition_subalgoE9EllbEEZZNS1_14partition_implILS5_9ELb0ES3_jPlS8_PNS0_10empty_typeENS0_5tupleIJS8_S9_EEENSB_IJS8_SA_EEENS0_18inequality_wrapperIZN2at6native12_GLOBAL__N_124unique_dim_cuda_templateIiEESt5tupleIJNSF_6TensorESK_SK_EERKSK_lbbbEUlllE0_EEPmJS9_EEE10hipError_tPvRmT3_T4_T5_T6_T7_T9_mT8_P12ihipStream_tbDpT10_ENKUlT_T0_E_clISt17integral_constantIbLb1EES19_IbLb0EEEEDaS15_S16_EUlS15_E_NS1_11comp_targetILNS1_3genE0ELNS1_11target_archE4294967295ELNS1_3gpuE0ELNS1_3repE0EEENS1_30default_config_static_selectorELNS0_4arch9wavefront6targetE1EEEvT1_,comdat
	.globl	_ZN7rocprim17ROCPRIM_400000_NS6detail17trampoline_kernelINS0_14default_configENS1_25partition_config_selectorILNS1_17partition_subalgoE9EllbEEZZNS1_14partition_implILS5_9ELb0ES3_jPlS8_PNS0_10empty_typeENS0_5tupleIJS8_S9_EEENSB_IJS8_SA_EEENS0_18inequality_wrapperIZN2at6native12_GLOBAL__N_124unique_dim_cuda_templateIiEESt5tupleIJNSF_6TensorESK_SK_EERKSK_lbbbEUlllE0_EEPmJS9_EEE10hipError_tPvRmT3_T4_T5_T6_T7_T9_mT8_P12ihipStream_tbDpT10_ENKUlT_T0_E_clISt17integral_constantIbLb1EES19_IbLb0EEEEDaS15_S16_EUlS15_E_NS1_11comp_targetILNS1_3genE0ELNS1_11target_archE4294967295ELNS1_3gpuE0ELNS1_3repE0EEENS1_30default_config_static_selectorELNS0_4arch9wavefront6targetE1EEEvT1_ ; -- Begin function _ZN7rocprim17ROCPRIM_400000_NS6detail17trampoline_kernelINS0_14default_configENS1_25partition_config_selectorILNS1_17partition_subalgoE9EllbEEZZNS1_14partition_implILS5_9ELb0ES3_jPlS8_PNS0_10empty_typeENS0_5tupleIJS8_S9_EEENSB_IJS8_SA_EEENS0_18inequality_wrapperIZN2at6native12_GLOBAL__N_124unique_dim_cuda_templateIiEESt5tupleIJNSF_6TensorESK_SK_EERKSK_lbbbEUlllE0_EEPmJS9_EEE10hipError_tPvRmT3_T4_T5_T6_T7_T9_mT8_P12ihipStream_tbDpT10_ENKUlT_T0_E_clISt17integral_constantIbLb1EES19_IbLb0EEEEDaS15_S16_EUlS15_E_NS1_11comp_targetILNS1_3genE0ELNS1_11target_archE4294967295ELNS1_3gpuE0ELNS1_3repE0EEENS1_30default_config_static_selectorELNS0_4arch9wavefront6targetE1EEEvT1_
	.p2align	8
	.type	_ZN7rocprim17ROCPRIM_400000_NS6detail17trampoline_kernelINS0_14default_configENS1_25partition_config_selectorILNS1_17partition_subalgoE9EllbEEZZNS1_14partition_implILS5_9ELb0ES3_jPlS8_PNS0_10empty_typeENS0_5tupleIJS8_S9_EEENSB_IJS8_SA_EEENS0_18inequality_wrapperIZN2at6native12_GLOBAL__N_124unique_dim_cuda_templateIiEESt5tupleIJNSF_6TensorESK_SK_EERKSK_lbbbEUlllE0_EEPmJS9_EEE10hipError_tPvRmT3_T4_T5_T6_T7_T9_mT8_P12ihipStream_tbDpT10_ENKUlT_T0_E_clISt17integral_constantIbLb1EES19_IbLb0EEEEDaS15_S16_EUlS15_E_NS1_11comp_targetILNS1_3genE0ELNS1_11target_archE4294967295ELNS1_3gpuE0ELNS1_3repE0EEENS1_30default_config_static_selectorELNS0_4arch9wavefront6targetE1EEEvT1_,@function
_ZN7rocprim17ROCPRIM_400000_NS6detail17trampoline_kernelINS0_14default_configENS1_25partition_config_selectorILNS1_17partition_subalgoE9EllbEEZZNS1_14partition_implILS5_9ELb0ES3_jPlS8_PNS0_10empty_typeENS0_5tupleIJS8_S9_EEENSB_IJS8_SA_EEENS0_18inequality_wrapperIZN2at6native12_GLOBAL__N_124unique_dim_cuda_templateIiEESt5tupleIJNSF_6TensorESK_SK_EERKSK_lbbbEUlllE0_EEPmJS9_EEE10hipError_tPvRmT3_T4_T5_T6_T7_T9_mT8_P12ihipStream_tbDpT10_ENKUlT_T0_E_clISt17integral_constantIbLb1EES19_IbLb0EEEEDaS15_S16_EUlS15_E_NS1_11comp_targetILNS1_3genE0ELNS1_11target_archE4294967295ELNS1_3gpuE0ELNS1_3repE0EEENS1_30default_config_static_selectorELNS0_4arch9wavefront6targetE1EEEvT1_: ; @_ZN7rocprim17ROCPRIM_400000_NS6detail17trampoline_kernelINS0_14default_configENS1_25partition_config_selectorILNS1_17partition_subalgoE9EllbEEZZNS1_14partition_implILS5_9ELb0ES3_jPlS8_PNS0_10empty_typeENS0_5tupleIJS8_S9_EEENSB_IJS8_SA_EEENS0_18inequality_wrapperIZN2at6native12_GLOBAL__N_124unique_dim_cuda_templateIiEESt5tupleIJNSF_6TensorESK_SK_EERKSK_lbbbEUlllE0_EEPmJS9_EEE10hipError_tPvRmT3_T4_T5_T6_T7_T9_mT8_P12ihipStream_tbDpT10_ENKUlT_T0_E_clISt17integral_constantIbLb1EES19_IbLb0EEEEDaS15_S16_EUlS15_E_NS1_11comp_targetILNS1_3genE0ELNS1_11target_archE4294967295ELNS1_3gpuE0ELNS1_3repE0EEENS1_30default_config_static_selectorELNS0_4arch9wavefront6targetE1EEEvT1_
; %bb.0:
	.section	.rodata,"a",@progbits
	.p2align	6, 0x0
	.amdhsa_kernel _ZN7rocprim17ROCPRIM_400000_NS6detail17trampoline_kernelINS0_14default_configENS1_25partition_config_selectorILNS1_17partition_subalgoE9EllbEEZZNS1_14partition_implILS5_9ELb0ES3_jPlS8_PNS0_10empty_typeENS0_5tupleIJS8_S9_EEENSB_IJS8_SA_EEENS0_18inequality_wrapperIZN2at6native12_GLOBAL__N_124unique_dim_cuda_templateIiEESt5tupleIJNSF_6TensorESK_SK_EERKSK_lbbbEUlllE0_EEPmJS9_EEE10hipError_tPvRmT3_T4_T5_T6_T7_T9_mT8_P12ihipStream_tbDpT10_ENKUlT_T0_E_clISt17integral_constantIbLb1EES19_IbLb0EEEEDaS15_S16_EUlS15_E_NS1_11comp_targetILNS1_3genE0ELNS1_11target_archE4294967295ELNS1_3gpuE0ELNS1_3repE0EEENS1_30default_config_static_selectorELNS0_4arch9wavefront6targetE1EEEvT1_
		.amdhsa_group_segment_fixed_size 0
		.amdhsa_private_segment_fixed_size 0
		.amdhsa_kernarg_size 120
		.amdhsa_user_sgpr_count 6
		.amdhsa_user_sgpr_private_segment_buffer 1
		.amdhsa_user_sgpr_dispatch_ptr 0
		.amdhsa_user_sgpr_queue_ptr 0
		.amdhsa_user_sgpr_kernarg_segment_ptr 1
		.amdhsa_user_sgpr_dispatch_id 0
		.amdhsa_user_sgpr_flat_scratch_init 0
		.amdhsa_user_sgpr_kernarg_preload_length 0
		.amdhsa_user_sgpr_kernarg_preload_offset 0
		.amdhsa_user_sgpr_private_segment_size 0
		.amdhsa_uses_dynamic_stack 0
		.amdhsa_system_sgpr_private_segment_wavefront_offset 0
		.amdhsa_system_sgpr_workgroup_id_x 1
		.amdhsa_system_sgpr_workgroup_id_y 0
		.amdhsa_system_sgpr_workgroup_id_z 0
		.amdhsa_system_sgpr_workgroup_info 0
		.amdhsa_system_vgpr_workitem_id 0
		.amdhsa_next_free_vgpr 1
		.amdhsa_next_free_sgpr 0
		.amdhsa_accum_offset 4
		.amdhsa_reserve_vcc 0
		.amdhsa_reserve_flat_scratch 0
		.amdhsa_float_round_mode_32 0
		.amdhsa_float_round_mode_16_64 0
		.amdhsa_float_denorm_mode_32 3
		.amdhsa_float_denorm_mode_16_64 3
		.amdhsa_dx10_clamp 1
		.amdhsa_ieee_mode 1
		.amdhsa_fp16_overflow 0
		.amdhsa_tg_split 0
		.amdhsa_exception_fp_ieee_invalid_op 0
		.amdhsa_exception_fp_denorm_src 0
		.amdhsa_exception_fp_ieee_div_zero 0
		.amdhsa_exception_fp_ieee_overflow 0
		.amdhsa_exception_fp_ieee_underflow 0
		.amdhsa_exception_fp_ieee_inexact 0
		.amdhsa_exception_int_div_zero 0
	.end_amdhsa_kernel
	.section	.text._ZN7rocprim17ROCPRIM_400000_NS6detail17trampoline_kernelINS0_14default_configENS1_25partition_config_selectorILNS1_17partition_subalgoE9EllbEEZZNS1_14partition_implILS5_9ELb0ES3_jPlS8_PNS0_10empty_typeENS0_5tupleIJS8_S9_EEENSB_IJS8_SA_EEENS0_18inequality_wrapperIZN2at6native12_GLOBAL__N_124unique_dim_cuda_templateIiEESt5tupleIJNSF_6TensorESK_SK_EERKSK_lbbbEUlllE0_EEPmJS9_EEE10hipError_tPvRmT3_T4_T5_T6_T7_T9_mT8_P12ihipStream_tbDpT10_ENKUlT_T0_E_clISt17integral_constantIbLb1EES19_IbLb0EEEEDaS15_S16_EUlS15_E_NS1_11comp_targetILNS1_3genE0ELNS1_11target_archE4294967295ELNS1_3gpuE0ELNS1_3repE0EEENS1_30default_config_static_selectorELNS0_4arch9wavefront6targetE1EEEvT1_,"axG",@progbits,_ZN7rocprim17ROCPRIM_400000_NS6detail17trampoline_kernelINS0_14default_configENS1_25partition_config_selectorILNS1_17partition_subalgoE9EllbEEZZNS1_14partition_implILS5_9ELb0ES3_jPlS8_PNS0_10empty_typeENS0_5tupleIJS8_S9_EEENSB_IJS8_SA_EEENS0_18inequality_wrapperIZN2at6native12_GLOBAL__N_124unique_dim_cuda_templateIiEESt5tupleIJNSF_6TensorESK_SK_EERKSK_lbbbEUlllE0_EEPmJS9_EEE10hipError_tPvRmT3_T4_T5_T6_T7_T9_mT8_P12ihipStream_tbDpT10_ENKUlT_T0_E_clISt17integral_constantIbLb1EES19_IbLb0EEEEDaS15_S16_EUlS15_E_NS1_11comp_targetILNS1_3genE0ELNS1_11target_archE4294967295ELNS1_3gpuE0ELNS1_3repE0EEENS1_30default_config_static_selectorELNS0_4arch9wavefront6targetE1EEEvT1_,comdat
.Lfunc_end489:
	.size	_ZN7rocprim17ROCPRIM_400000_NS6detail17trampoline_kernelINS0_14default_configENS1_25partition_config_selectorILNS1_17partition_subalgoE9EllbEEZZNS1_14partition_implILS5_9ELb0ES3_jPlS8_PNS0_10empty_typeENS0_5tupleIJS8_S9_EEENSB_IJS8_SA_EEENS0_18inequality_wrapperIZN2at6native12_GLOBAL__N_124unique_dim_cuda_templateIiEESt5tupleIJNSF_6TensorESK_SK_EERKSK_lbbbEUlllE0_EEPmJS9_EEE10hipError_tPvRmT3_T4_T5_T6_T7_T9_mT8_P12ihipStream_tbDpT10_ENKUlT_T0_E_clISt17integral_constantIbLb1EES19_IbLb0EEEEDaS15_S16_EUlS15_E_NS1_11comp_targetILNS1_3genE0ELNS1_11target_archE4294967295ELNS1_3gpuE0ELNS1_3repE0EEENS1_30default_config_static_selectorELNS0_4arch9wavefront6targetE1EEEvT1_, .Lfunc_end489-_ZN7rocprim17ROCPRIM_400000_NS6detail17trampoline_kernelINS0_14default_configENS1_25partition_config_selectorILNS1_17partition_subalgoE9EllbEEZZNS1_14partition_implILS5_9ELb0ES3_jPlS8_PNS0_10empty_typeENS0_5tupleIJS8_S9_EEENSB_IJS8_SA_EEENS0_18inequality_wrapperIZN2at6native12_GLOBAL__N_124unique_dim_cuda_templateIiEESt5tupleIJNSF_6TensorESK_SK_EERKSK_lbbbEUlllE0_EEPmJS9_EEE10hipError_tPvRmT3_T4_T5_T6_T7_T9_mT8_P12ihipStream_tbDpT10_ENKUlT_T0_E_clISt17integral_constantIbLb1EES19_IbLb0EEEEDaS15_S16_EUlS15_E_NS1_11comp_targetILNS1_3genE0ELNS1_11target_archE4294967295ELNS1_3gpuE0ELNS1_3repE0EEENS1_30default_config_static_selectorELNS0_4arch9wavefront6targetE1EEEvT1_
                                        ; -- End function
	.section	.AMDGPU.csdata,"",@progbits
; Kernel info:
; codeLenInByte = 0
; NumSgprs: 4
; NumVgprs: 0
; NumAgprs: 0
; TotalNumVgprs: 0
; ScratchSize: 0
; MemoryBound: 0
; FloatMode: 240
; IeeeMode: 1
; LDSByteSize: 0 bytes/workgroup (compile time only)
; SGPRBlocks: 0
; VGPRBlocks: 0
; NumSGPRsForWavesPerEU: 4
; NumVGPRsForWavesPerEU: 1
; AccumOffset: 4
; Occupancy: 8
; WaveLimiterHint : 0
; COMPUTE_PGM_RSRC2:SCRATCH_EN: 0
; COMPUTE_PGM_RSRC2:USER_SGPR: 6
; COMPUTE_PGM_RSRC2:TRAP_HANDLER: 0
; COMPUTE_PGM_RSRC2:TGID_X_EN: 1
; COMPUTE_PGM_RSRC2:TGID_Y_EN: 0
; COMPUTE_PGM_RSRC2:TGID_Z_EN: 0
; COMPUTE_PGM_RSRC2:TIDIG_COMP_CNT: 0
; COMPUTE_PGM_RSRC3_GFX90A:ACCUM_OFFSET: 0
; COMPUTE_PGM_RSRC3_GFX90A:TG_SPLIT: 0
	.section	.text._ZN7rocprim17ROCPRIM_400000_NS6detail17trampoline_kernelINS0_14default_configENS1_25partition_config_selectorILNS1_17partition_subalgoE9EllbEEZZNS1_14partition_implILS5_9ELb0ES3_jPlS8_PNS0_10empty_typeENS0_5tupleIJS8_S9_EEENSB_IJS8_SA_EEENS0_18inequality_wrapperIZN2at6native12_GLOBAL__N_124unique_dim_cuda_templateIiEESt5tupleIJNSF_6TensorESK_SK_EERKSK_lbbbEUlllE0_EEPmJS9_EEE10hipError_tPvRmT3_T4_T5_T6_T7_T9_mT8_P12ihipStream_tbDpT10_ENKUlT_T0_E_clISt17integral_constantIbLb1EES19_IbLb0EEEEDaS15_S16_EUlS15_E_NS1_11comp_targetILNS1_3genE5ELNS1_11target_archE942ELNS1_3gpuE9ELNS1_3repE0EEENS1_30default_config_static_selectorELNS0_4arch9wavefront6targetE1EEEvT1_,"axG",@progbits,_ZN7rocprim17ROCPRIM_400000_NS6detail17trampoline_kernelINS0_14default_configENS1_25partition_config_selectorILNS1_17partition_subalgoE9EllbEEZZNS1_14partition_implILS5_9ELb0ES3_jPlS8_PNS0_10empty_typeENS0_5tupleIJS8_S9_EEENSB_IJS8_SA_EEENS0_18inequality_wrapperIZN2at6native12_GLOBAL__N_124unique_dim_cuda_templateIiEESt5tupleIJNSF_6TensorESK_SK_EERKSK_lbbbEUlllE0_EEPmJS9_EEE10hipError_tPvRmT3_T4_T5_T6_T7_T9_mT8_P12ihipStream_tbDpT10_ENKUlT_T0_E_clISt17integral_constantIbLb1EES19_IbLb0EEEEDaS15_S16_EUlS15_E_NS1_11comp_targetILNS1_3genE5ELNS1_11target_archE942ELNS1_3gpuE9ELNS1_3repE0EEENS1_30default_config_static_selectorELNS0_4arch9wavefront6targetE1EEEvT1_,comdat
	.globl	_ZN7rocprim17ROCPRIM_400000_NS6detail17trampoline_kernelINS0_14default_configENS1_25partition_config_selectorILNS1_17partition_subalgoE9EllbEEZZNS1_14partition_implILS5_9ELb0ES3_jPlS8_PNS0_10empty_typeENS0_5tupleIJS8_S9_EEENSB_IJS8_SA_EEENS0_18inequality_wrapperIZN2at6native12_GLOBAL__N_124unique_dim_cuda_templateIiEESt5tupleIJNSF_6TensorESK_SK_EERKSK_lbbbEUlllE0_EEPmJS9_EEE10hipError_tPvRmT3_T4_T5_T6_T7_T9_mT8_P12ihipStream_tbDpT10_ENKUlT_T0_E_clISt17integral_constantIbLb1EES19_IbLb0EEEEDaS15_S16_EUlS15_E_NS1_11comp_targetILNS1_3genE5ELNS1_11target_archE942ELNS1_3gpuE9ELNS1_3repE0EEENS1_30default_config_static_selectorELNS0_4arch9wavefront6targetE1EEEvT1_ ; -- Begin function _ZN7rocprim17ROCPRIM_400000_NS6detail17trampoline_kernelINS0_14default_configENS1_25partition_config_selectorILNS1_17partition_subalgoE9EllbEEZZNS1_14partition_implILS5_9ELb0ES3_jPlS8_PNS0_10empty_typeENS0_5tupleIJS8_S9_EEENSB_IJS8_SA_EEENS0_18inequality_wrapperIZN2at6native12_GLOBAL__N_124unique_dim_cuda_templateIiEESt5tupleIJNSF_6TensorESK_SK_EERKSK_lbbbEUlllE0_EEPmJS9_EEE10hipError_tPvRmT3_T4_T5_T6_T7_T9_mT8_P12ihipStream_tbDpT10_ENKUlT_T0_E_clISt17integral_constantIbLb1EES19_IbLb0EEEEDaS15_S16_EUlS15_E_NS1_11comp_targetILNS1_3genE5ELNS1_11target_archE942ELNS1_3gpuE9ELNS1_3repE0EEENS1_30default_config_static_selectorELNS0_4arch9wavefront6targetE1EEEvT1_
	.p2align	8
	.type	_ZN7rocprim17ROCPRIM_400000_NS6detail17trampoline_kernelINS0_14default_configENS1_25partition_config_selectorILNS1_17partition_subalgoE9EllbEEZZNS1_14partition_implILS5_9ELb0ES3_jPlS8_PNS0_10empty_typeENS0_5tupleIJS8_S9_EEENSB_IJS8_SA_EEENS0_18inequality_wrapperIZN2at6native12_GLOBAL__N_124unique_dim_cuda_templateIiEESt5tupleIJNSF_6TensorESK_SK_EERKSK_lbbbEUlllE0_EEPmJS9_EEE10hipError_tPvRmT3_T4_T5_T6_T7_T9_mT8_P12ihipStream_tbDpT10_ENKUlT_T0_E_clISt17integral_constantIbLb1EES19_IbLb0EEEEDaS15_S16_EUlS15_E_NS1_11comp_targetILNS1_3genE5ELNS1_11target_archE942ELNS1_3gpuE9ELNS1_3repE0EEENS1_30default_config_static_selectorELNS0_4arch9wavefront6targetE1EEEvT1_,@function
_ZN7rocprim17ROCPRIM_400000_NS6detail17trampoline_kernelINS0_14default_configENS1_25partition_config_selectorILNS1_17partition_subalgoE9EllbEEZZNS1_14partition_implILS5_9ELb0ES3_jPlS8_PNS0_10empty_typeENS0_5tupleIJS8_S9_EEENSB_IJS8_SA_EEENS0_18inequality_wrapperIZN2at6native12_GLOBAL__N_124unique_dim_cuda_templateIiEESt5tupleIJNSF_6TensorESK_SK_EERKSK_lbbbEUlllE0_EEPmJS9_EEE10hipError_tPvRmT3_T4_T5_T6_T7_T9_mT8_P12ihipStream_tbDpT10_ENKUlT_T0_E_clISt17integral_constantIbLb1EES19_IbLb0EEEEDaS15_S16_EUlS15_E_NS1_11comp_targetILNS1_3genE5ELNS1_11target_archE942ELNS1_3gpuE9ELNS1_3repE0EEENS1_30default_config_static_selectorELNS0_4arch9wavefront6targetE1EEEvT1_: ; @_ZN7rocprim17ROCPRIM_400000_NS6detail17trampoline_kernelINS0_14default_configENS1_25partition_config_selectorILNS1_17partition_subalgoE9EllbEEZZNS1_14partition_implILS5_9ELb0ES3_jPlS8_PNS0_10empty_typeENS0_5tupleIJS8_S9_EEENSB_IJS8_SA_EEENS0_18inequality_wrapperIZN2at6native12_GLOBAL__N_124unique_dim_cuda_templateIiEESt5tupleIJNSF_6TensorESK_SK_EERKSK_lbbbEUlllE0_EEPmJS9_EEE10hipError_tPvRmT3_T4_T5_T6_T7_T9_mT8_P12ihipStream_tbDpT10_ENKUlT_T0_E_clISt17integral_constantIbLb1EES19_IbLb0EEEEDaS15_S16_EUlS15_E_NS1_11comp_targetILNS1_3genE5ELNS1_11target_archE942ELNS1_3gpuE9ELNS1_3repE0EEENS1_30default_config_static_selectorELNS0_4arch9wavefront6targetE1EEEvT1_
; %bb.0:
	.section	.rodata,"a",@progbits
	.p2align	6, 0x0
	.amdhsa_kernel _ZN7rocprim17ROCPRIM_400000_NS6detail17trampoline_kernelINS0_14default_configENS1_25partition_config_selectorILNS1_17partition_subalgoE9EllbEEZZNS1_14partition_implILS5_9ELb0ES3_jPlS8_PNS0_10empty_typeENS0_5tupleIJS8_S9_EEENSB_IJS8_SA_EEENS0_18inequality_wrapperIZN2at6native12_GLOBAL__N_124unique_dim_cuda_templateIiEESt5tupleIJNSF_6TensorESK_SK_EERKSK_lbbbEUlllE0_EEPmJS9_EEE10hipError_tPvRmT3_T4_T5_T6_T7_T9_mT8_P12ihipStream_tbDpT10_ENKUlT_T0_E_clISt17integral_constantIbLb1EES19_IbLb0EEEEDaS15_S16_EUlS15_E_NS1_11comp_targetILNS1_3genE5ELNS1_11target_archE942ELNS1_3gpuE9ELNS1_3repE0EEENS1_30default_config_static_selectorELNS0_4arch9wavefront6targetE1EEEvT1_
		.amdhsa_group_segment_fixed_size 0
		.amdhsa_private_segment_fixed_size 0
		.amdhsa_kernarg_size 120
		.amdhsa_user_sgpr_count 6
		.amdhsa_user_sgpr_private_segment_buffer 1
		.amdhsa_user_sgpr_dispatch_ptr 0
		.amdhsa_user_sgpr_queue_ptr 0
		.amdhsa_user_sgpr_kernarg_segment_ptr 1
		.amdhsa_user_sgpr_dispatch_id 0
		.amdhsa_user_sgpr_flat_scratch_init 0
		.amdhsa_user_sgpr_kernarg_preload_length 0
		.amdhsa_user_sgpr_kernarg_preload_offset 0
		.amdhsa_user_sgpr_private_segment_size 0
		.amdhsa_uses_dynamic_stack 0
		.amdhsa_system_sgpr_private_segment_wavefront_offset 0
		.amdhsa_system_sgpr_workgroup_id_x 1
		.amdhsa_system_sgpr_workgroup_id_y 0
		.amdhsa_system_sgpr_workgroup_id_z 0
		.amdhsa_system_sgpr_workgroup_info 0
		.amdhsa_system_vgpr_workitem_id 0
		.amdhsa_next_free_vgpr 1
		.amdhsa_next_free_sgpr 0
		.amdhsa_accum_offset 4
		.amdhsa_reserve_vcc 0
		.amdhsa_reserve_flat_scratch 0
		.amdhsa_float_round_mode_32 0
		.amdhsa_float_round_mode_16_64 0
		.amdhsa_float_denorm_mode_32 3
		.amdhsa_float_denorm_mode_16_64 3
		.amdhsa_dx10_clamp 1
		.amdhsa_ieee_mode 1
		.amdhsa_fp16_overflow 0
		.amdhsa_tg_split 0
		.amdhsa_exception_fp_ieee_invalid_op 0
		.amdhsa_exception_fp_denorm_src 0
		.amdhsa_exception_fp_ieee_div_zero 0
		.amdhsa_exception_fp_ieee_overflow 0
		.amdhsa_exception_fp_ieee_underflow 0
		.amdhsa_exception_fp_ieee_inexact 0
		.amdhsa_exception_int_div_zero 0
	.end_amdhsa_kernel
	.section	.text._ZN7rocprim17ROCPRIM_400000_NS6detail17trampoline_kernelINS0_14default_configENS1_25partition_config_selectorILNS1_17partition_subalgoE9EllbEEZZNS1_14partition_implILS5_9ELb0ES3_jPlS8_PNS0_10empty_typeENS0_5tupleIJS8_S9_EEENSB_IJS8_SA_EEENS0_18inequality_wrapperIZN2at6native12_GLOBAL__N_124unique_dim_cuda_templateIiEESt5tupleIJNSF_6TensorESK_SK_EERKSK_lbbbEUlllE0_EEPmJS9_EEE10hipError_tPvRmT3_T4_T5_T6_T7_T9_mT8_P12ihipStream_tbDpT10_ENKUlT_T0_E_clISt17integral_constantIbLb1EES19_IbLb0EEEEDaS15_S16_EUlS15_E_NS1_11comp_targetILNS1_3genE5ELNS1_11target_archE942ELNS1_3gpuE9ELNS1_3repE0EEENS1_30default_config_static_selectorELNS0_4arch9wavefront6targetE1EEEvT1_,"axG",@progbits,_ZN7rocprim17ROCPRIM_400000_NS6detail17trampoline_kernelINS0_14default_configENS1_25partition_config_selectorILNS1_17partition_subalgoE9EllbEEZZNS1_14partition_implILS5_9ELb0ES3_jPlS8_PNS0_10empty_typeENS0_5tupleIJS8_S9_EEENSB_IJS8_SA_EEENS0_18inequality_wrapperIZN2at6native12_GLOBAL__N_124unique_dim_cuda_templateIiEESt5tupleIJNSF_6TensorESK_SK_EERKSK_lbbbEUlllE0_EEPmJS9_EEE10hipError_tPvRmT3_T4_T5_T6_T7_T9_mT8_P12ihipStream_tbDpT10_ENKUlT_T0_E_clISt17integral_constantIbLb1EES19_IbLb0EEEEDaS15_S16_EUlS15_E_NS1_11comp_targetILNS1_3genE5ELNS1_11target_archE942ELNS1_3gpuE9ELNS1_3repE0EEENS1_30default_config_static_selectorELNS0_4arch9wavefront6targetE1EEEvT1_,comdat
.Lfunc_end490:
	.size	_ZN7rocprim17ROCPRIM_400000_NS6detail17trampoline_kernelINS0_14default_configENS1_25partition_config_selectorILNS1_17partition_subalgoE9EllbEEZZNS1_14partition_implILS5_9ELb0ES3_jPlS8_PNS0_10empty_typeENS0_5tupleIJS8_S9_EEENSB_IJS8_SA_EEENS0_18inequality_wrapperIZN2at6native12_GLOBAL__N_124unique_dim_cuda_templateIiEESt5tupleIJNSF_6TensorESK_SK_EERKSK_lbbbEUlllE0_EEPmJS9_EEE10hipError_tPvRmT3_T4_T5_T6_T7_T9_mT8_P12ihipStream_tbDpT10_ENKUlT_T0_E_clISt17integral_constantIbLb1EES19_IbLb0EEEEDaS15_S16_EUlS15_E_NS1_11comp_targetILNS1_3genE5ELNS1_11target_archE942ELNS1_3gpuE9ELNS1_3repE0EEENS1_30default_config_static_selectorELNS0_4arch9wavefront6targetE1EEEvT1_, .Lfunc_end490-_ZN7rocprim17ROCPRIM_400000_NS6detail17trampoline_kernelINS0_14default_configENS1_25partition_config_selectorILNS1_17partition_subalgoE9EllbEEZZNS1_14partition_implILS5_9ELb0ES3_jPlS8_PNS0_10empty_typeENS0_5tupleIJS8_S9_EEENSB_IJS8_SA_EEENS0_18inequality_wrapperIZN2at6native12_GLOBAL__N_124unique_dim_cuda_templateIiEESt5tupleIJNSF_6TensorESK_SK_EERKSK_lbbbEUlllE0_EEPmJS9_EEE10hipError_tPvRmT3_T4_T5_T6_T7_T9_mT8_P12ihipStream_tbDpT10_ENKUlT_T0_E_clISt17integral_constantIbLb1EES19_IbLb0EEEEDaS15_S16_EUlS15_E_NS1_11comp_targetILNS1_3genE5ELNS1_11target_archE942ELNS1_3gpuE9ELNS1_3repE0EEENS1_30default_config_static_selectorELNS0_4arch9wavefront6targetE1EEEvT1_
                                        ; -- End function
	.section	.AMDGPU.csdata,"",@progbits
; Kernel info:
; codeLenInByte = 0
; NumSgprs: 4
; NumVgprs: 0
; NumAgprs: 0
; TotalNumVgprs: 0
; ScratchSize: 0
; MemoryBound: 0
; FloatMode: 240
; IeeeMode: 1
; LDSByteSize: 0 bytes/workgroup (compile time only)
; SGPRBlocks: 0
; VGPRBlocks: 0
; NumSGPRsForWavesPerEU: 4
; NumVGPRsForWavesPerEU: 1
; AccumOffset: 4
; Occupancy: 8
; WaveLimiterHint : 0
; COMPUTE_PGM_RSRC2:SCRATCH_EN: 0
; COMPUTE_PGM_RSRC2:USER_SGPR: 6
; COMPUTE_PGM_RSRC2:TRAP_HANDLER: 0
; COMPUTE_PGM_RSRC2:TGID_X_EN: 1
; COMPUTE_PGM_RSRC2:TGID_Y_EN: 0
; COMPUTE_PGM_RSRC2:TGID_Z_EN: 0
; COMPUTE_PGM_RSRC2:TIDIG_COMP_CNT: 0
; COMPUTE_PGM_RSRC3_GFX90A:ACCUM_OFFSET: 0
; COMPUTE_PGM_RSRC3_GFX90A:TG_SPLIT: 0
	.section	.text._ZN7rocprim17ROCPRIM_400000_NS6detail17trampoline_kernelINS0_14default_configENS1_25partition_config_selectorILNS1_17partition_subalgoE9EllbEEZZNS1_14partition_implILS5_9ELb0ES3_jPlS8_PNS0_10empty_typeENS0_5tupleIJS8_S9_EEENSB_IJS8_SA_EEENS0_18inequality_wrapperIZN2at6native12_GLOBAL__N_124unique_dim_cuda_templateIiEESt5tupleIJNSF_6TensorESK_SK_EERKSK_lbbbEUlllE0_EEPmJS9_EEE10hipError_tPvRmT3_T4_T5_T6_T7_T9_mT8_P12ihipStream_tbDpT10_ENKUlT_T0_E_clISt17integral_constantIbLb1EES19_IbLb0EEEEDaS15_S16_EUlS15_E_NS1_11comp_targetILNS1_3genE4ELNS1_11target_archE910ELNS1_3gpuE8ELNS1_3repE0EEENS1_30default_config_static_selectorELNS0_4arch9wavefront6targetE1EEEvT1_,"axG",@progbits,_ZN7rocprim17ROCPRIM_400000_NS6detail17trampoline_kernelINS0_14default_configENS1_25partition_config_selectorILNS1_17partition_subalgoE9EllbEEZZNS1_14partition_implILS5_9ELb0ES3_jPlS8_PNS0_10empty_typeENS0_5tupleIJS8_S9_EEENSB_IJS8_SA_EEENS0_18inequality_wrapperIZN2at6native12_GLOBAL__N_124unique_dim_cuda_templateIiEESt5tupleIJNSF_6TensorESK_SK_EERKSK_lbbbEUlllE0_EEPmJS9_EEE10hipError_tPvRmT3_T4_T5_T6_T7_T9_mT8_P12ihipStream_tbDpT10_ENKUlT_T0_E_clISt17integral_constantIbLb1EES19_IbLb0EEEEDaS15_S16_EUlS15_E_NS1_11comp_targetILNS1_3genE4ELNS1_11target_archE910ELNS1_3gpuE8ELNS1_3repE0EEENS1_30default_config_static_selectorELNS0_4arch9wavefront6targetE1EEEvT1_,comdat
	.globl	_ZN7rocprim17ROCPRIM_400000_NS6detail17trampoline_kernelINS0_14default_configENS1_25partition_config_selectorILNS1_17partition_subalgoE9EllbEEZZNS1_14partition_implILS5_9ELb0ES3_jPlS8_PNS0_10empty_typeENS0_5tupleIJS8_S9_EEENSB_IJS8_SA_EEENS0_18inequality_wrapperIZN2at6native12_GLOBAL__N_124unique_dim_cuda_templateIiEESt5tupleIJNSF_6TensorESK_SK_EERKSK_lbbbEUlllE0_EEPmJS9_EEE10hipError_tPvRmT3_T4_T5_T6_T7_T9_mT8_P12ihipStream_tbDpT10_ENKUlT_T0_E_clISt17integral_constantIbLb1EES19_IbLb0EEEEDaS15_S16_EUlS15_E_NS1_11comp_targetILNS1_3genE4ELNS1_11target_archE910ELNS1_3gpuE8ELNS1_3repE0EEENS1_30default_config_static_selectorELNS0_4arch9wavefront6targetE1EEEvT1_ ; -- Begin function _ZN7rocprim17ROCPRIM_400000_NS6detail17trampoline_kernelINS0_14default_configENS1_25partition_config_selectorILNS1_17partition_subalgoE9EllbEEZZNS1_14partition_implILS5_9ELb0ES3_jPlS8_PNS0_10empty_typeENS0_5tupleIJS8_S9_EEENSB_IJS8_SA_EEENS0_18inequality_wrapperIZN2at6native12_GLOBAL__N_124unique_dim_cuda_templateIiEESt5tupleIJNSF_6TensorESK_SK_EERKSK_lbbbEUlllE0_EEPmJS9_EEE10hipError_tPvRmT3_T4_T5_T6_T7_T9_mT8_P12ihipStream_tbDpT10_ENKUlT_T0_E_clISt17integral_constantIbLb1EES19_IbLb0EEEEDaS15_S16_EUlS15_E_NS1_11comp_targetILNS1_3genE4ELNS1_11target_archE910ELNS1_3gpuE8ELNS1_3repE0EEENS1_30default_config_static_selectorELNS0_4arch9wavefront6targetE1EEEvT1_
	.p2align	8
	.type	_ZN7rocprim17ROCPRIM_400000_NS6detail17trampoline_kernelINS0_14default_configENS1_25partition_config_selectorILNS1_17partition_subalgoE9EllbEEZZNS1_14partition_implILS5_9ELb0ES3_jPlS8_PNS0_10empty_typeENS0_5tupleIJS8_S9_EEENSB_IJS8_SA_EEENS0_18inequality_wrapperIZN2at6native12_GLOBAL__N_124unique_dim_cuda_templateIiEESt5tupleIJNSF_6TensorESK_SK_EERKSK_lbbbEUlllE0_EEPmJS9_EEE10hipError_tPvRmT3_T4_T5_T6_T7_T9_mT8_P12ihipStream_tbDpT10_ENKUlT_T0_E_clISt17integral_constantIbLb1EES19_IbLb0EEEEDaS15_S16_EUlS15_E_NS1_11comp_targetILNS1_3genE4ELNS1_11target_archE910ELNS1_3gpuE8ELNS1_3repE0EEENS1_30default_config_static_selectorELNS0_4arch9wavefront6targetE1EEEvT1_,@function
_ZN7rocprim17ROCPRIM_400000_NS6detail17trampoline_kernelINS0_14default_configENS1_25partition_config_selectorILNS1_17partition_subalgoE9EllbEEZZNS1_14partition_implILS5_9ELb0ES3_jPlS8_PNS0_10empty_typeENS0_5tupleIJS8_S9_EEENSB_IJS8_SA_EEENS0_18inequality_wrapperIZN2at6native12_GLOBAL__N_124unique_dim_cuda_templateIiEESt5tupleIJNSF_6TensorESK_SK_EERKSK_lbbbEUlllE0_EEPmJS9_EEE10hipError_tPvRmT3_T4_T5_T6_T7_T9_mT8_P12ihipStream_tbDpT10_ENKUlT_T0_E_clISt17integral_constantIbLb1EES19_IbLb0EEEEDaS15_S16_EUlS15_E_NS1_11comp_targetILNS1_3genE4ELNS1_11target_archE910ELNS1_3gpuE8ELNS1_3repE0EEENS1_30default_config_static_selectorELNS0_4arch9wavefront6targetE1EEEvT1_: ; @_ZN7rocprim17ROCPRIM_400000_NS6detail17trampoline_kernelINS0_14default_configENS1_25partition_config_selectorILNS1_17partition_subalgoE9EllbEEZZNS1_14partition_implILS5_9ELb0ES3_jPlS8_PNS0_10empty_typeENS0_5tupleIJS8_S9_EEENSB_IJS8_SA_EEENS0_18inequality_wrapperIZN2at6native12_GLOBAL__N_124unique_dim_cuda_templateIiEESt5tupleIJNSF_6TensorESK_SK_EERKSK_lbbbEUlllE0_EEPmJS9_EEE10hipError_tPvRmT3_T4_T5_T6_T7_T9_mT8_P12ihipStream_tbDpT10_ENKUlT_T0_E_clISt17integral_constantIbLb1EES19_IbLb0EEEEDaS15_S16_EUlS15_E_NS1_11comp_targetILNS1_3genE4ELNS1_11target_archE910ELNS1_3gpuE8ELNS1_3repE0EEENS1_30default_config_static_selectorELNS0_4arch9wavefront6targetE1EEEvT1_
; %bb.0:
	s_load_dwordx8 s[20:27], s[4:5], 0x40
	s_load_dwordx4 s[0:3], s[4:5], 0x8
	s_load_dwordx2 s[12:13], s[4:5], 0x18
	s_load_dword s9, s[4:5], 0x70
	v_lshrrev_b32_e32 v18, 2, v0
	s_waitcnt lgkmcnt(0)
	v_mov_b32_e32 v2, s24
	s_lshl_b64 s[14:15], s[2:3], 3
	s_add_u32 s18, s0, s14
	s_addc_u32 s19, s1, s15
	s_add_i32 s10, s9, -1
	s_lshl_b32 s0, s10, 9
	s_add_i32 s0, s2, s0
	s_lshl_b32 s8, s6, 9
	s_sub_i32 s7, s24, s0
	s_lshl_b32 s0, s9, 9
	s_add_u32 s0, s2, s0
	s_addc_u32 s1, s3, 0
	v_mov_b32_e32 v3, s25
	s_cmp_eq_u32 s6, s10
	s_load_dwordx2 s[22:23], s[22:23], 0x0
	v_cmp_ge_u64_e32 vcc, s[0:1], v[2:3]
	s_cselect_b64 s[24:25], -1, 0
	s_mov_b32 s9, 0
	s_and_b64 s[10:11], s[24:25], vcc
	s_xor_b64 s[34:35], s[10:11], -1
	s_lshl_b64 s[16:17], s[8:9], 3
	s_add_u32 s8, s18, s16
	s_mov_b64 s[0:1], -1
	s_addc_u32 s9, s19, s17
	s_and_b64 vcc, exec, s[34:35]
	s_cbranch_vccz .LBB491_2
; %bb.1:
	v_lshlrev_b32_e32 v1, 3, v0
	global_load_dwordx2 v[2:3], v1, s[8:9]
	global_load_dwordx2 v[4:5], v1, s[8:9] offset:1024
	global_load_dwordx2 v[6:7], v1, s[8:9] offset:2048
	;; [unrolled: 1-line block ×3, first 2 shown]
	v_or_b32_e32 v11, 0x80, v0
	v_or_b32_e32 v12, 0x100, v0
	;; [unrolled: 1-line block ×3, first 2 shown]
	v_and_b32_e32 v10, 24, v18
	v_lshrrev_b32_e32 v11, 2, v11
	v_lshrrev_b32_e32 v12, 2, v12
	;; [unrolled: 1-line block ×3, first 2 shown]
	v_add_u32_e32 v10, v10, v1
	v_and_b32_e32 v11, 56, v11
	v_and_b32_e32 v12, 0x58, v12
	;; [unrolled: 1-line block ×3, first 2 shown]
	v_add_u32_e32 v11, v11, v1
	v_add_u32_e32 v12, v12, v1
	v_add_u32_e32 v1, v13, v1
	s_mov_b64 s[0:1], 0
	s_waitcnt vmcnt(3)
	ds_write_b64 v10, v[2:3]
	s_waitcnt vmcnt(2)
	ds_write_b64 v11, v[4:5] offset:1024
	s_waitcnt vmcnt(1)
	ds_write_b64 v12, v[6:7] offset:2048
	;; [unrolled: 2-line block ×3, first 2 shown]
	s_waitcnt lgkmcnt(0)
	s_barrier
.LBB491_2:
	s_load_dwordx4 s[28:31], s[4:5], 0x60
	s_andn2_b64 vcc, exec, s[0:1]
	v_cmp_gt_u32_e64 s[0:1], s7, v0
	s_cbranch_vccnz .LBB491_12
; %bb.3:
                                        ; implicit-def: $vgpr2_vgpr3_vgpr4_vgpr5_vgpr6_vgpr7_vgpr8_vgpr9
	s_and_saveexec_b64 s[18:19], s[0:1]
	s_cbranch_execz .LBB491_5
; %bb.4:
	v_lshlrev_b32_e32 v1, 3, v0
	global_load_dwordx2 v[2:3], v1, s[8:9]
.LBB491_5:
	s_or_b64 exec, exec, s[18:19]
	v_or_b32_e32 v1, 0x80, v0
	v_cmp_gt_u32_e32 vcc, s7, v1
	s_and_saveexec_b64 s[0:1], vcc
	s_cbranch_execz .LBB491_7
; %bb.6:
	v_lshlrev_b32_e32 v4, 3, v0
	global_load_dwordx2 v[4:5], v4, s[8:9] offset:1024
.LBB491_7:
	s_or_b64 exec, exec, s[0:1]
	v_or_b32_e32 v10, 0x100, v0
	v_cmp_gt_u32_e32 vcc, s7, v10
	s_and_saveexec_b64 s[0:1], vcc
	s_cbranch_execz .LBB491_9
; %bb.8:
	v_lshlrev_b32_e32 v6, 3, v0
	global_load_dwordx2 v[6:7], v6, s[8:9] offset:2048
.LBB491_9:
	;; [unrolled: 9-line block ×3, first 2 shown]
	s_or_b64 exec, exec, s[0:1]
	v_lshrrev_b32_e32 v1, 2, v1
	v_lshlrev_b32_e32 v13, 3, v0
	v_and_b32_e32 v1, 56, v1
	v_add_u32_e32 v1, v1, v13
	s_waitcnt vmcnt(0)
	ds_write_b64 v1, v[4:5] offset:1024
	v_lshrrev_b32_e32 v1, 2, v10
	v_and_b32_e32 v1, 0x78, v1
	v_add_u32_e32 v1, v1, v13
	ds_write_b64 v1, v[6:7] offset:2048
	v_lshrrev_b32_e32 v1, 2, v11
	v_and_b32_e32 v12, 24, v18
	v_and_b32_e32 v1, 0x78, v1
	v_add_u32_e32 v12, v12, v13
	v_add_u32_e32 v1, v1, v13
	ds_write_b64 v12, v[2:3]
	ds_write_b64 v1, v[8:9] offset:3072
	s_waitcnt lgkmcnt(0)
	s_barrier
.LBB491_12:
	v_lshlrev_b32_e32 v1, 2, v0
	v_lshrrev_b32_e32 v2, 3, v0
	v_add_lshl_u32 v19, v2, v1, 3
	s_waitcnt lgkmcnt(0)
	ds_read2_b64 v[14:17], v19 offset1:1
	ds_read2_b64 v[10:13], v19 offset0:2 offset1:3
	s_add_u32 s0, s12, s14
	s_addc_u32 s1, s13, s15
	s_add_u32 s0, s0, s16
	s_addc_u32 s1, s1, s17
	s_mov_b64 s[12:13], -1
	s_and_b64 vcc, exec, s[34:35]
	s_waitcnt lgkmcnt(0)
	s_barrier
	s_cbranch_vccz .LBB491_14
; %bb.13:
	v_lshlrev_b32_e32 v20, 3, v0
	global_load_dwordx2 v[2:3], v20, s[0:1]
	global_load_dwordx2 v[4:5], v20, s[0:1] offset:1024
	global_load_dwordx2 v[6:7], v20, s[0:1] offset:2048
	;; [unrolled: 1-line block ×3, first 2 shown]
	v_or_b32_e32 v22, 0x80, v0
	v_or_b32_e32 v23, 0x100, v0
	;; [unrolled: 1-line block ×3, first 2 shown]
	v_and_b32_e32 v21, 24, v18
	v_lshrrev_b32_e32 v22, 2, v22
	v_lshrrev_b32_e32 v23, 2, v23
	;; [unrolled: 1-line block ×3, first 2 shown]
	v_add_u32_e32 v21, v21, v20
	v_and_b32_e32 v22, 56, v22
	v_and_b32_e32 v23, 0x58, v23
	;; [unrolled: 1-line block ×3, first 2 shown]
	v_add_u32_e32 v22, v22, v20
	v_add_u32_e32 v23, v23, v20
	;; [unrolled: 1-line block ×3, first 2 shown]
	s_mov_b64 s[12:13], 0
	s_waitcnt vmcnt(3)
	ds_write_b64 v21, v[2:3]
	s_waitcnt vmcnt(2)
	ds_write_b64 v22, v[4:5] offset:1024
	s_waitcnt vmcnt(1)
	ds_write_b64 v23, v[6:7] offset:2048
	;; [unrolled: 2-line block ×3, first 2 shown]
	s_waitcnt lgkmcnt(0)
	s_barrier
.LBB491_14:
	s_andn2_b64 vcc, exec, s[12:13]
	s_cbranch_vccnz .LBB491_24
; %bb.15:
	v_cmp_gt_u32_e32 vcc, s7, v0
                                        ; implicit-def: $vgpr2_vgpr3
	s_and_saveexec_b64 s[12:13], vcc
	s_cbranch_execz .LBB491_17
; %bb.16:
	v_lshlrev_b32_e32 v2, 3, v0
	global_load_dwordx2 v[2:3], v2, s[0:1]
.LBB491_17:
	s_or_b64 exec, exec, s[12:13]
	v_or_b32_e32 v20, 0x80, v0
	v_cmp_gt_u32_e32 vcc, s7, v20
                                        ; implicit-def: $vgpr4_vgpr5
	s_and_saveexec_b64 s[12:13], vcc
	s_cbranch_execz .LBB491_19
; %bb.18:
	v_lshlrev_b32_e32 v4, 3, v0
	global_load_dwordx2 v[4:5], v4, s[0:1] offset:1024
.LBB491_19:
	s_or_b64 exec, exec, s[12:13]
	v_or_b32_e32 v21, 0x100, v0
	v_cmp_gt_u32_e32 vcc, s7, v21
                                        ; implicit-def: $vgpr6_vgpr7
	s_and_saveexec_b64 s[12:13], vcc
	s_cbranch_execz .LBB491_21
; %bb.20:
	v_lshlrev_b32_e32 v6, 3, v0
	global_load_dwordx2 v[6:7], v6, s[0:1] offset:2048
.LBB491_21:
	s_or_b64 exec, exec, s[12:13]
	v_or_b32_e32 v22, 0x180, v0
	v_cmp_gt_u32_e32 vcc, s7, v22
                                        ; implicit-def: $vgpr8_vgpr9
	s_and_saveexec_b64 s[12:13], vcc
	s_cbranch_execz .LBB491_23
; %bb.22:
	v_lshlrev_b32_e32 v8, 3, v0
	global_load_dwordx2 v[8:9], v8, s[0:1] offset:3072
.LBB491_23:
	s_or_b64 exec, exec, s[12:13]
	v_and_b32_e32 v18, 24, v18
	v_lshlrev_b32_e32 v23, 3, v0
	v_add_u32_e32 v18, v18, v23
	s_waitcnt vmcnt(0)
	ds_write_b64 v18, v[2:3]
	v_lshrrev_b32_e32 v2, 2, v20
	v_and_b32_e32 v2, 56, v2
	v_add_u32_e32 v2, v2, v23
	ds_write_b64 v2, v[4:5] offset:1024
	v_lshrrev_b32_e32 v2, 2, v21
	v_and_b32_e32 v2, 0x78, v2
	v_add_u32_e32 v2, v2, v23
	ds_write_b64 v2, v[6:7] offset:2048
	;; [unrolled: 4-line block ×3, first 2 shown]
	s_waitcnt lgkmcnt(0)
	s_barrier
.LBB491_24:
	ds_read2_b64 v[6:9], v19 offset1:1
	ds_read2_b64 v[2:5], v19 offset0:2 offset1:3
	s_cmp_lg_u32 s6, 0
	s_cselect_b64 s[16:17], -1, 0
	s_cmp_lg_u64 s[2:3], 0
	s_cselect_b64 s[0:1], -1, 0
	s_or_b64 s[0:1], s[16:17], s[0:1]
	s_mov_b64 s[12:13], 0
	s_and_b64 vcc, exec, s[0:1]
	v_cmp_gt_i64_e64 s[0:1], s[26:27], 0
	s_waitcnt lgkmcnt(0)
	s_barrier
	s_cbranch_vccz .LBB491_33
; %bb.25:
	s_add_u32 s2, s8, -8
	s_addc_u32 s3, s9, -1
	s_load_dwordx2 s[12:13], s[2:3], 0x0
	v_cndmask_b32_e64 v18, 0, 1, s[0:1]
	v_lshlrev_b32_e32 v26, 3, v0
	s_mov_b64 s[14:15], 0
	s_and_b64 vcc, exec, s[34:35]
	v_cmp_ne_u32_e64 s[0:1], 1, v18
	ds_write_b64 v26, v[12:13]
	s_cbranch_vccz .LBB491_34
; %bb.26:
	v_mul_lo_u32 v20, v11, s26
	v_mul_lo_u32 v21, v10, s27
	v_mad_u64_u32 v[18:19], s[2:3], v10, s26, 0
	v_add3_u32 v19, v19, v21, v20
	s_and_b64 vcc, exec, s[0:1]
	v_lshlrev_b64 v[18:19], 2, v[18:19]
	s_cbranch_vccnz .LBB491_37
; %bb.27:
	v_mul_lo_u32 v22, v13, s26
	v_mul_lo_u32 v23, v12, s27
	v_mad_u64_u32 v[20:21], s[2:3], v12, s26, 0
	v_add3_u32 v21, v21, v23, v22
	v_mov_b32_e32 v23, s29
	v_add_co_u32_e32 v22, vcc, s28, v18
	v_addc_co_u32_e64 v23, s[2:3], v23, v19, vcc
	v_lshlrev_b64 v[20:21], 2, v[20:21]
	v_mov_b32_e32 v25, s29
	v_add_co_u32_e64 v24, s[2:3], s28, v20
	v_addc_co_u32_e64 v25, s[8:9], v25, v21, s[2:3]
	global_load_dword v20, v[22:23], off
	global_load_dword v27, v[24:25], off
	s_mov_b64 s[14:15], -1
	s_waitcnt vmcnt(0)
	v_cmp_eq_u32_e64 s[8:9], v20, v27
	s_and_saveexec_b64 s[18:19], s[8:9]
	s_cbranch_execz .LBB491_36
; %bb.28:
	v_mov_b32_e32 v20, s29
	v_addc_co_u32_e64 v21, s[2:3], v21, v20, s[2:3]
	v_add_co_u32_e64 v20, s[2:3], 4, v24
	v_mov_b32_e32 v23, s29
	v_addc_co_u32_e64 v21, s[2:3], 0, v21, s[2:3]
	v_addc_co_u32_e32 v23, vcc, v19, v23, vcc
	v_add_co_u32_e32 v22, vcc, 4, v22
	s_add_u32 s2, s26, -1
	v_addc_co_u32_e32 v23, vcc, 0, v23, vcc
	s_addc_u32 s3, s27, -1
	s_mov_b64 s[8:9], 0
	s_mov_b64 s[36:37], 0
                                        ; implicit-def: $sgpr14_sgpr15
	s_branch .LBB491_31
.LBB491_29:                             ;   in Loop: Header=BB491_31 Depth=1
	global_load_dword v24, v[22:23], off
	global_load_dword v25, v[20:21], off
	v_add_co_u32_e32 v20, vcc, 4, v20
	v_addc_co_u32_e32 v21, vcc, 0, v21, vcc
	v_add_co_u32_e32 v22, vcc, 4, v22
	v_addc_co_u32_e32 v23, vcc, 0, v23, vcc
	s_add_u32 s36, s36, 1
	s_addc_u32 s37, s37, 0
	s_andn2_b64 s[14:15], s[14:15], exec
	s_waitcnt vmcnt(0)
	v_cmp_ne_u32_e32 vcc, v24, v25
	s_and_b64 s[38:39], vcc, exec
	s_or_b64 s[14:15], s[14:15], s[38:39]
.LBB491_30:                             ;   in Loop: Header=BB491_31 Depth=1
	s_and_b64 s[38:39], exec, s[14:15]
	s_or_b64 s[8:9], s[38:39], s[8:9]
	v_pk_mov_b32 v[24:25], s[36:37], s[36:37] op_sel:[0,1]
	s_andn2_b64 exec, exec, s[8:9]
	s_cbranch_execz .LBB491_35
.LBB491_31:                             ; =>This Inner Loop Header: Depth=1
	s_or_b64 s[14:15], s[14:15], exec
	s_cmp_eq_u64 s[2:3], s[36:37]
	s_cbranch_scc0 .LBB491_29
; %bb.32:                               ;   in Loop: Header=BB491_31 Depth=1
                                        ; implicit-def: $vgpr20_vgpr21
                                        ; implicit-def: $vgpr22_vgpr23
	s_mov_b64 s[36:37], s[26:27]
	s_branch .LBB491_30
.LBB491_33:
                                        ; implicit-def: $sgpr18_sgpr19
                                        ; implicit-def: $vgpr28
	s_branch .LBB491_115
.LBB491_34:
                                        ; implicit-def: $sgpr18_sgpr19
                                        ; implicit-def: $vgpr28
	s_cbranch_execnz .LBB491_67
	s_branch .LBB491_114
.LBB491_35:
	s_or_b64 exec, exec, s[8:9]
	v_cmp_gt_i64_e32 vcc, s[26:27], v[24:25]
	s_orn2_b64 s[14:15], vcc, exec
.LBB491_36:
	s_or_b64 exec, exec, s[18:19]
.LBB491_37:
	v_mul_lo_u32 v22, v17, s26
	v_mul_lo_u32 v23, v16, s27
	v_mad_u64_u32 v[20:21], s[2:3], v16, s26, 0
	v_add3_u32 v21, v21, v23, v22
	s_mov_b64 s[18:19], 0
	s_and_b64 vcc, exec, s[0:1]
	v_lshlrev_b64 v[20:21], 2, v[20:21]
	s_mov_b64 s[36:37], 0
	s_cbranch_vccnz .LBB491_46
; %bb.38:
	v_mov_b32_e32 v23, s29
	v_add_co_u32_e32 v22, vcc, s28, v20
	v_addc_co_u32_e64 v23, s[2:3], v23, v21, vcc
	v_mov_b32_e32 v25, s29
	v_add_co_u32_e64 v24, s[2:3], s28, v18
	v_addc_co_u32_e64 v25, s[8:9], v25, v19, s[2:3]
	global_load_dword v18, v[22:23], off
	global_load_dword v27, v[24:25], off
	s_mov_b64 s[36:37], -1
	s_waitcnt vmcnt(0)
	v_cmp_eq_u32_e64 s[8:9], v18, v27
	s_and_saveexec_b64 s[38:39], s[8:9]
	s_cbranch_execz .LBB491_45
; %bb.39:
	v_mov_b32_e32 v18, s29
	v_addc_co_u32_e64 v19, s[2:3], v19, v18, s[2:3]
	v_add_co_u32_e64 v18, s[2:3], 4, v24
	v_mov_b32_e32 v23, s29
	v_addc_co_u32_e64 v19, s[2:3], 0, v19, s[2:3]
	v_addc_co_u32_e32 v23, vcc, v21, v23, vcc
	v_add_co_u32_e32 v22, vcc, 4, v22
	s_add_u32 s2, s26, -1
	v_addc_co_u32_e32 v23, vcc, 0, v23, vcc
	s_addc_u32 s3, s27, -1
	s_mov_b64 s[8:9], 0
	s_mov_b64 s[40:41], 0
                                        ; implicit-def: $sgpr36_sgpr37
	s_branch .LBB491_42
.LBB491_40:                             ;   in Loop: Header=BB491_42 Depth=1
	global_load_dword v24, v[22:23], off
	global_load_dword v25, v[18:19], off
	v_add_co_u32_e32 v18, vcc, 4, v18
	v_addc_co_u32_e32 v19, vcc, 0, v19, vcc
	v_add_co_u32_e32 v22, vcc, 4, v22
	v_addc_co_u32_e32 v23, vcc, 0, v23, vcc
	s_add_u32 s40, s40, 1
	s_addc_u32 s41, s41, 0
	s_andn2_b64 s[36:37], s[36:37], exec
	s_waitcnt vmcnt(0)
	v_cmp_ne_u32_e32 vcc, v24, v25
	s_and_b64 s[42:43], vcc, exec
	s_or_b64 s[36:37], s[36:37], s[42:43]
.LBB491_41:                             ;   in Loop: Header=BB491_42 Depth=1
	s_and_b64 s[42:43], exec, s[36:37]
	s_or_b64 s[8:9], s[42:43], s[8:9]
	v_pk_mov_b32 v[24:25], s[40:41], s[40:41] op_sel:[0,1]
	s_andn2_b64 exec, exec, s[8:9]
	s_cbranch_execz .LBB491_44
.LBB491_42:                             ; =>This Inner Loop Header: Depth=1
	s_or_b64 s[36:37], s[36:37], exec
	s_cmp_eq_u64 s[2:3], s[40:41]
	s_cbranch_scc0 .LBB491_40
; %bb.43:                               ;   in Loop: Header=BB491_42 Depth=1
                                        ; implicit-def: $vgpr18_vgpr19
                                        ; implicit-def: $vgpr22_vgpr23
	s_mov_b64 s[40:41], s[26:27]
	s_branch .LBB491_41
.LBB491_44:
	s_or_b64 exec, exec, s[8:9]
	v_cmp_gt_i64_e32 vcc, s[26:27], v[24:25]
	s_orn2_b64 s[36:37], vcc, exec
.LBB491_45:
	s_or_b64 exec, exec, s[38:39]
.LBB491_46:
	v_mul_lo_u32 v22, v15, s26
	v_mul_lo_u32 v23, v14, s27
	v_mad_u64_u32 v[18:19], s[2:3], v14, s26, 0
	v_add3_u32 v19, v19, v23, v22
	s_and_b64 vcc, exec, s[0:1]
	v_lshlrev_b64 v[18:19], 2, v[18:19]
	s_cbranch_vccnz .LBB491_55
; %bb.47:
	v_mov_b32_e32 v23, s29
	v_add_co_u32_e32 v22, vcc, s28, v18
	v_addc_co_u32_e64 v23, s[2:3], v23, v19, vcc
	v_mov_b32_e32 v25, s29
	v_add_co_u32_e64 v24, s[2:3], s28, v20
	v_addc_co_u32_e64 v25, s[8:9], v25, v21, s[2:3]
	global_load_dword v20, v[22:23], off
	global_load_dword v27, v[24:25], off
	s_mov_b64 s[18:19], -1
	s_waitcnt vmcnt(0)
	v_cmp_eq_u32_e64 s[8:9], v20, v27
	s_and_saveexec_b64 s[38:39], s[8:9]
	s_cbranch_execz .LBB491_54
; %bb.48:
	v_mov_b32_e32 v20, s29
	v_addc_co_u32_e64 v21, s[2:3], v21, v20, s[2:3]
	v_add_co_u32_e64 v20, s[2:3], 4, v24
	v_mov_b32_e32 v23, s29
	v_addc_co_u32_e64 v21, s[2:3], 0, v21, s[2:3]
	v_addc_co_u32_e32 v23, vcc, v19, v23, vcc
	v_add_co_u32_e32 v22, vcc, 4, v22
	s_add_u32 s2, s26, -1
	v_addc_co_u32_e32 v23, vcc, 0, v23, vcc
	s_addc_u32 s3, s27, -1
	s_mov_b64 s[8:9], 0
	s_mov_b64 s[40:41], 0
                                        ; implicit-def: $sgpr18_sgpr19
	s_branch .LBB491_51
.LBB491_49:                             ;   in Loop: Header=BB491_51 Depth=1
	global_load_dword v24, v[22:23], off
	global_load_dword v25, v[20:21], off
	v_add_co_u32_e32 v20, vcc, 4, v20
	v_addc_co_u32_e32 v21, vcc, 0, v21, vcc
	v_add_co_u32_e32 v22, vcc, 4, v22
	v_addc_co_u32_e32 v23, vcc, 0, v23, vcc
	s_add_u32 s40, s40, 1
	s_addc_u32 s41, s41, 0
	s_andn2_b64 s[18:19], s[18:19], exec
	s_waitcnt vmcnt(0)
	v_cmp_ne_u32_e32 vcc, v24, v25
	s_and_b64 s[42:43], vcc, exec
	s_or_b64 s[18:19], s[18:19], s[42:43]
.LBB491_50:                             ;   in Loop: Header=BB491_51 Depth=1
	s_and_b64 s[42:43], exec, s[18:19]
	s_or_b64 s[8:9], s[42:43], s[8:9]
	v_pk_mov_b32 v[24:25], s[40:41], s[40:41] op_sel:[0,1]
	s_andn2_b64 exec, exec, s[8:9]
	s_cbranch_execz .LBB491_53
.LBB491_51:                             ; =>This Inner Loop Header: Depth=1
	s_or_b64 s[18:19], s[18:19], exec
	s_cmp_eq_u64 s[2:3], s[40:41]
	s_cbranch_scc0 .LBB491_49
; %bb.52:                               ;   in Loop: Header=BB491_51 Depth=1
                                        ; implicit-def: $vgpr20_vgpr21
                                        ; implicit-def: $vgpr22_vgpr23
	s_mov_b64 s[40:41], s[26:27]
	s_branch .LBB491_50
.LBB491_53:
	s_or_b64 exec, exec, s[8:9]
	v_cmp_gt_i64_e32 vcc, s[26:27], v[24:25]
	s_orn2_b64 s[18:19], vcc, exec
.LBB491_54:
	s_or_b64 exec, exec, s[38:39]
.LBB491_55:
	v_cmp_ne_u32_e32 vcc, 0, v0
	s_waitcnt lgkmcnt(0)
	v_pk_mov_b32 v[20:21], s[12:13], s[12:13] op_sel:[0,1]
	s_barrier
	s_and_saveexec_b64 s[2:3], vcc
	s_cbranch_execz .LBB491_57
; %bb.56:
	v_add_u32_e32 v20, -8, v26
	ds_read_b64 v[20:21], v20
.LBB491_57:
	s_or_b64 exec, exec, s[2:3]
	v_cndmask_b32_e64 v23, 0, 1, s[14:15]
	v_cndmask_b32_e64 v22, 0, 1, s[36:37]
	;; [unrolled: 1-line block ×3, first 2 shown]
	v_lshlrev_b16_e32 v23, 8, v23
	v_lshlrev_b16_e32 v27, 8, v24
	v_or_b32_sdwa v28, v22, v23 dst_sel:WORD_1 dst_unused:UNUSED_PAD src0_sel:DWORD src1_sel:DWORD
	s_mov_b64 s[14:15], 0
	s_and_b64 vcc, exec, s[0:1]
	s_mov_b64 s[18:19], 0
	s_cbranch_vccnz .LBB491_66
; %bb.58:
	s_waitcnt lgkmcnt(0)
	v_mul_lo_u32 v22, v21, s26
	v_mul_lo_u32 v23, v20, s27
	v_mad_u64_u32 v[20:21], s[2:3], v20, s26, 0
	v_add3_u32 v21, v21, v23, v22
	v_lshlrev_b64 v[20:21], 2, v[20:21]
	v_mov_b32_e32 v23, s29
	v_add_co_u32_e32 v22, vcc, s28, v20
	v_addc_co_u32_e64 v23, s[2:3], v23, v21, vcc
	v_mov_b32_e32 v20, s29
	v_add_co_u32_e64 v24, s[2:3], s28, v18
	v_addc_co_u32_e64 v25, s[8:9], v20, v19, s[2:3]
	global_load_dword v18, v[22:23], off
	global_load_dword v20, v[24:25], off
	s_mov_b64 s[18:19], -1
	s_waitcnt vmcnt(0)
	v_cmp_eq_u32_e64 s[8:9], v18, v20
	s_and_saveexec_b64 s[36:37], s[8:9]
	s_cbranch_execz .LBB491_65
; %bb.59:
	v_mov_b32_e32 v18, s29
	v_addc_co_u32_e64 v19, s[2:3], v19, v18, s[2:3]
	v_add_co_u32_e64 v18, s[2:3], 4, v24
	v_mov_b32_e32 v20, s29
	v_addc_co_u32_e64 v19, s[2:3], 0, v19, s[2:3]
	v_addc_co_u32_e32 v21, vcc, v21, v20, vcc
	v_add_co_u32_e32 v20, vcc, 4, v22
	s_add_u32 s2, s26, -1
	v_addc_co_u32_e32 v21, vcc, 0, v21, vcc
	s_addc_u32 s3, s27, -1
	s_mov_b64 s[8:9], 0
	s_mov_b64 s[38:39], 0
                                        ; implicit-def: $sgpr18_sgpr19
	s_branch .LBB491_62
.LBB491_60:                             ;   in Loop: Header=BB491_62 Depth=1
	global_load_dword v22, v[20:21], off
	global_load_dword v23, v[18:19], off
	v_add_co_u32_e32 v18, vcc, 4, v18
	v_addc_co_u32_e32 v19, vcc, 0, v19, vcc
	v_add_co_u32_e32 v20, vcc, 4, v20
	v_addc_co_u32_e32 v21, vcc, 0, v21, vcc
	s_add_u32 s38, s38, 1
	s_addc_u32 s39, s39, 0
	s_andn2_b64 s[18:19], s[18:19], exec
	s_waitcnt vmcnt(0)
	v_cmp_ne_u32_e32 vcc, v22, v23
	s_and_b64 s[40:41], vcc, exec
	s_or_b64 s[18:19], s[18:19], s[40:41]
.LBB491_61:                             ;   in Loop: Header=BB491_62 Depth=1
	s_and_b64 s[40:41], exec, s[18:19]
	s_or_b64 s[8:9], s[40:41], s[8:9]
	v_pk_mov_b32 v[22:23], s[38:39], s[38:39] op_sel:[0,1]
	s_andn2_b64 exec, exec, s[8:9]
	s_cbranch_execz .LBB491_64
.LBB491_62:                             ; =>This Inner Loop Header: Depth=1
	s_or_b64 s[18:19], s[18:19], exec
	s_cmp_eq_u64 s[2:3], s[38:39]
	s_cbranch_scc0 .LBB491_60
; %bb.63:                               ;   in Loop: Header=BB491_62 Depth=1
                                        ; implicit-def: $vgpr18_vgpr19
                                        ; implicit-def: $vgpr20_vgpr21
	s_mov_b64 s[38:39], s[26:27]
	s_branch .LBB491_61
.LBB491_64:
	s_or_b64 exec, exec, s[8:9]
	v_cmp_gt_i64_e32 vcc, s[26:27], v[22:23]
	s_orn2_b64 s[18:19], vcc, exec
.LBB491_65:
	s_or_b64 exec, exec, s[36:37]
.LBB491_66:
	v_or_b32_e32 v28, v27, v28
	s_and_b64 vcc, exec, s[14:15]
	s_cbranch_vccz .LBB491_114
.LBB491_67:
	v_or_b32_e32 v18, 3, v1
	v_cmp_gt_u32_e32 vcc, s7, v18
	s_mov_b64 s[18:19], 0
	s_mov_b64 s[14:15], 0
	s_and_saveexec_b64 s[36:37], vcc
	s_cbranch_execz .LBB491_78
; %bb.68:
	s_and_b64 vcc, exec, s[0:1]
	s_mov_b64 s[38:39], 0
	s_cbranch_vccnz .LBB491_77
; %bb.69:
	s_waitcnt lgkmcnt(0)
	v_mul_lo_u32 v20, v11, s26
	v_mul_lo_u32 v21, v10, s27
	v_mad_u64_u32 v[18:19], s[2:3], v10, s26, 0
	v_add3_u32 v19, v19, v21, v20
	v_mul_lo_u32 v20, v13, s26
	v_mul_lo_u32 v21, v12, s27
	v_mad_u64_u32 v[24:25], s[2:3], v12, s26, 0
	v_add3_u32 v25, v25, v21, v20
	v_lshlrev_b64 v[20:21], 2, v[18:19]
	v_mov_b32_e32 v18, s29
	v_add_co_u32_e32 v22, vcc, s28, v20
	v_addc_co_u32_e64 v23, s[2:3], v18, v21, vcc
	v_lshlrev_b64 v[18:19], 2, v[24:25]
	v_mov_b32_e32 v20, s29
	v_add_co_u32_e64 v24, s[2:3], s28, v18
	v_addc_co_u32_e64 v25, s[8:9], v20, v19, s[2:3]
	global_load_dword v18, v[22:23], off
	global_load_dword v20, v[24:25], off
	s_mov_b64 s[38:39], -1
	s_waitcnt vmcnt(0)
	v_cmp_eq_u32_e64 s[8:9], v18, v20
	s_and_saveexec_b64 s[14:15], s[8:9]
	s_cbranch_execz .LBB491_76
; %bb.70:
	v_mov_b32_e32 v18, s29
	v_addc_co_u32_e64 v19, s[2:3], v19, v18, s[2:3]
	v_add_co_u32_e64 v18, s[2:3], 4, v24
	v_mov_b32_e32 v20, s29
	v_addc_co_u32_e64 v19, s[2:3], 0, v19, s[2:3]
	v_addc_co_u32_e32 v21, vcc, v21, v20, vcc
	v_add_co_u32_e32 v20, vcc, 4, v22
	s_add_u32 s2, s26, -1
	v_addc_co_u32_e32 v21, vcc, 0, v21, vcc
	s_addc_u32 s3, s27, -1
	s_mov_b64 s[8:9], 0
	s_mov_b64 s[40:41], 0
                                        ; implicit-def: $sgpr38_sgpr39
	s_branch .LBB491_73
.LBB491_71:                             ;   in Loop: Header=BB491_73 Depth=1
	global_load_dword v22, v[20:21], off
	global_load_dword v23, v[18:19], off
	v_add_co_u32_e32 v18, vcc, 4, v18
	v_addc_co_u32_e32 v19, vcc, 0, v19, vcc
	v_add_co_u32_e32 v20, vcc, 4, v20
	v_addc_co_u32_e32 v21, vcc, 0, v21, vcc
	s_add_u32 s40, s40, 1
	s_addc_u32 s41, s41, 0
	s_andn2_b64 s[38:39], s[38:39], exec
	s_waitcnt vmcnt(0)
	v_cmp_ne_u32_e32 vcc, v22, v23
	s_and_b64 s[42:43], vcc, exec
	s_or_b64 s[38:39], s[38:39], s[42:43]
.LBB491_72:                             ;   in Loop: Header=BB491_73 Depth=1
	s_and_b64 s[42:43], exec, s[38:39]
	s_or_b64 s[8:9], s[42:43], s[8:9]
	v_pk_mov_b32 v[22:23], s[40:41], s[40:41] op_sel:[0,1]
	s_andn2_b64 exec, exec, s[8:9]
	s_cbranch_execz .LBB491_75
.LBB491_73:                             ; =>This Inner Loop Header: Depth=1
	s_or_b64 s[38:39], s[38:39], exec
	s_cmp_eq_u64 s[2:3], s[40:41]
	s_cbranch_scc0 .LBB491_71
; %bb.74:                               ;   in Loop: Header=BB491_73 Depth=1
                                        ; implicit-def: $vgpr18_vgpr19
                                        ; implicit-def: $vgpr20_vgpr21
	s_mov_b64 s[40:41], s[26:27]
	s_branch .LBB491_72
.LBB491_75:
	s_or_b64 exec, exec, s[8:9]
	v_cmp_gt_i64_e32 vcc, s[26:27], v[22:23]
	s_orn2_b64 s[38:39], vcc, exec
.LBB491_76:
	s_or_b64 exec, exec, s[14:15]
.LBB491_77:
	s_and_b64 s[14:15], s[38:39], exec
.LBB491_78:
	s_or_b64 exec, exec, s[36:37]
	v_or_b32_e32 v18, 2, v1
	v_cmp_gt_u32_e32 vcc, s7, v18
	s_and_saveexec_b64 s[36:37], vcc
	s_cbranch_execz .LBB491_89
; %bb.79:
	s_and_b64 vcc, exec, s[0:1]
	s_mov_b64 s[38:39], 0
	s_cbranch_vccnz .LBB491_88
; %bb.80:
	s_waitcnt lgkmcnt(0)
	v_mul_lo_u32 v20, v17, s26
	v_mul_lo_u32 v21, v16, s27
	v_mad_u64_u32 v[18:19], s[2:3], v16, s26, 0
	v_add3_u32 v19, v19, v21, v20
	v_mul_lo_u32 v20, v11, s26
	v_mul_lo_u32 v21, v10, s27
	v_mad_u64_u32 v[24:25], s[2:3], v10, s26, 0
	v_add3_u32 v25, v25, v21, v20
	v_lshlrev_b64 v[20:21], 2, v[18:19]
	v_mov_b32_e32 v18, s29
	v_add_co_u32_e32 v22, vcc, s28, v20
	v_addc_co_u32_e64 v23, s[2:3], v18, v21, vcc
	v_lshlrev_b64 v[18:19], 2, v[24:25]
	v_mov_b32_e32 v20, s29
	v_add_co_u32_e64 v24, s[2:3], s28, v18
	v_addc_co_u32_e64 v25, s[8:9], v20, v19, s[2:3]
	global_load_dword v18, v[22:23], off
	global_load_dword v20, v[24:25], off
	s_mov_b64 s[38:39], -1
	s_waitcnt vmcnt(0)
	v_cmp_eq_u32_e64 s[8:9], v18, v20
	s_and_saveexec_b64 s[18:19], s[8:9]
	s_cbranch_execz .LBB491_87
; %bb.81:
	v_mov_b32_e32 v18, s29
	v_addc_co_u32_e64 v19, s[2:3], v19, v18, s[2:3]
	v_add_co_u32_e64 v18, s[2:3], 4, v24
	v_mov_b32_e32 v20, s29
	v_addc_co_u32_e64 v19, s[2:3], 0, v19, s[2:3]
	v_addc_co_u32_e32 v21, vcc, v21, v20, vcc
	v_add_co_u32_e32 v20, vcc, 4, v22
	s_add_u32 s2, s26, -1
	v_addc_co_u32_e32 v21, vcc, 0, v21, vcc
	s_addc_u32 s3, s27, -1
	s_mov_b64 s[8:9], 0
	s_mov_b64 s[40:41], 0
                                        ; implicit-def: $sgpr38_sgpr39
	s_branch .LBB491_84
.LBB491_82:                             ;   in Loop: Header=BB491_84 Depth=1
	global_load_dword v22, v[20:21], off
	global_load_dword v23, v[18:19], off
	v_add_co_u32_e32 v18, vcc, 4, v18
	v_addc_co_u32_e32 v19, vcc, 0, v19, vcc
	v_add_co_u32_e32 v20, vcc, 4, v20
	v_addc_co_u32_e32 v21, vcc, 0, v21, vcc
	s_add_u32 s40, s40, 1
	s_addc_u32 s41, s41, 0
	s_andn2_b64 s[38:39], s[38:39], exec
	s_waitcnt vmcnt(0)
	v_cmp_ne_u32_e32 vcc, v22, v23
	s_and_b64 s[42:43], vcc, exec
	s_or_b64 s[38:39], s[38:39], s[42:43]
.LBB491_83:                             ;   in Loop: Header=BB491_84 Depth=1
	s_and_b64 s[42:43], exec, s[38:39]
	s_or_b64 s[8:9], s[42:43], s[8:9]
	v_pk_mov_b32 v[22:23], s[40:41], s[40:41] op_sel:[0,1]
	s_andn2_b64 exec, exec, s[8:9]
	s_cbranch_execz .LBB491_86
.LBB491_84:                             ; =>This Inner Loop Header: Depth=1
	s_or_b64 s[38:39], s[38:39], exec
	s_cmp_eq_u64 s[2:3], s[40:41]
	s_cbranch_scc0 .LBB491_82
; %bb.85:                               ;   in Loop: Header=BB491_84 Depth=1
                                        ; implicit-def: $vgpr18_vgpr19
                                        ; implicit-def: $vgpr20_vgpr21
	s_mov_b64 s[40:41], s[26:27]
	s_branch .LBB491_83
.LBB491_86:
	s_or_b64 exec, exec, s[8:9]
	v_cmp_gt_i64_e32 vcc, s[26:27], v[22:23]
	s_orn2_b64 s[38:39], vcc, exec
.LBB491_87:
	s_or_b64 exec, exec, s[18:19]
.LBB491_88:
	s_and_b64 s[18:19], s[38:39], exec
.LBB491_89:
	s_or_b64 exec, exec, s[36:37]
	v_or_b32_e32 v18, 1, v1
	v_cmp_gt_u32_e32 vcc, s7, v18
	s_mov_b64 s[2:3], 0
	s_and_saveexec_b64 s[36:37], vcc
	s_cbranch_execz .LBB491_100
; %bb.90:
	s_and_b64 vcc, exec, s[0:1]
	s_mov_b64 s[40:41], 0
	s_cbranch_vccnz .LBB491_99
; %bb.91:
	s_waitcnt lgkmcnt(0)
	v_mul_lo_u32 v20, v15, s26
	v_mul_lo_u32 v21, v14, s27
	v_mad_u64_u32 v[18:19], s[2:3], v14, s26, 0
	v_add3_u32 v19, v19, v21, v20
	v_mul_lo_u32 v20, v17, s26
	v_mul_lo_u32 v21, v16, s27
	v_mad_u64_u32 v[24:25], s[2:3], v16, s26, 0
	v_add3_u32 v25, v25, v21, v20
	v_lshlrev_b64 v[20:21], 2, v[18:19]
	v_mov_b32_e32 v18, s29
	v_add_co_u32_e32 v22, vcc, s28, v20
	v_addc_co_u32_e64 v23, s[2:3], v18, v21, vcc
	v_lshlrev_b64 v[18:19], 2, v[24:25]
	v_mov_b32_e32 v20, s29
	v_add_co_u32_e64 v24, s[2:3], s28, v18
	v_addc_co_u32_e64 v25, s[8:9], v20, v19, s[2:3]
	global_load_dword v18, v[22:23], off
	global_load_dword v20, v[24:25], off
	s_mov_b64 s[40:41], -1
	s_waitcnt vmcnt(0)
	v_cmp_eq_u32_e64 s[8:9], v18, v20
	s_and_saveexec_b64 s[38:39], s[8:9]
	s_cbranch_execz .LBB491_98
; %bb.92:
	v_mov_b32_e32 v18, s29
	v_addc_co_u32_e64 v19, s[2:3], v19, v18, s[2:3]
	v_add_co_u32_e64 v18, s[2:3], 4, v24
	v_mov_b32_e32 v20, s29
	v_addc_co_u32_e64 v19, s[2:3], 0, v19, s[2:3]
	v_addc_co_u32_e32 v21, vcc, v21, v20, vcc
	v_add_co_u32_e32 v20, vcc, 4, v22
	s_add_u32 s2, s26, -1
	v_addc_co_u32_e32 v21, vcc, 0, v21, vcc
	s_addc_u32 s3, s27, -1
	s_mov_b64 s[8:9], 0
	s_mov_b64 s[42:43], 0
                                        ; implicit-def: $sgpr40_sgpr41
	s_branch .LBB491_95
.LBB491_93:                             ;   in Loop: Header=BB491_95 Depth=1
	global_load_dword v22, v[20:21], off
	global_load_dword v23, v[18:19], off
	v_add_co_u32_e32 v18, vcc, 4, v18
	v_addc_co_u32_e32 v19, vcc, 0, v19, vcc
	v_add_co_u32_e32 v20, vcc, 4, v20
	v_addc_co_u32_e32 v21, vcc, 0, v21, vcc
	s_add_u32 s42, s42, 1
	s_addc_u32 s43, s43, 0
	s_andn2_b64 s[40:41], s[40:41], exec
	s_waitcnt vmcnt(0)
	v_cmp_ne_u32_e32 vcc, v22, v23
	s_and_b64 s[44:45], vcc, exec
	s_or_b64 s[40:41], s[40:41], s[44:45]
.LBB491_94:                             ;   in Loop: Header=BB491_95 Depth=1
	s_and_b64 s[44:45], exec, s[40:41]
	s_or_b64 s[8:9], s[44:45], s[8:9]
	v_pk_mov_b32 v[22:23], s[42:43], s[42:43] op_sel:[0,1]
	s_andn2_b64 exec, exec, s[8:9]
	s_cbranch_execz .LBB491_97
.LBB491_95:                             ; =>This Inner Loop Header: Depth=1
	s_or_b64 s[40:41], s[40:41], exec
	s_cmp_eq_u64 s[2:3], s[42:43]
	s_cbranch_scc0 .LBB491_93
; %bb.96:                               ;   in Loop: Header=BB491_95 Depth=1
                                        ; implicit-def: $vgpr18_vgpr19
                                        ; implicit-def: $vgpr20_vgpr21
	s_mov_b64 s[42:43], s[26:27]
	s_branch .LBB491_94
.LBB491_97:
	s_or_b64 exec, exec, s[8:9]
	v_cmp_gt_i64_e32 vcc, s[26:27], v[22:23]
	s_orn2_b64 s[40:41], vcc, exec
.LBB491_98:
	s_or_b64 exec, exec, s[38:39]
.LBB491_99:
	s_and_b64 s[2:3], s[40:41], exec
.LBB491_100:
	s_or_b64 exec, exec, s[36:37]
	v_cmp_ne_u32_e32 vcc, 0, v0
	s_waitcnt lgkmcnt(0)
	v_pk_mov_b32 v[18:19], s[12:13], s[12:13] op_sel:[0,1]
	s_barrier
	s_and_saveexec_b64 s[8:9], vcc
	s_cbranch_execz .LBB491_102
; %bb.101:
	v_add_u32_e32 v18, -8, v26
	ds_read_b64 v[18:19], v18
.LBB491_102:
	s_or_b64 exec, exec, s[8:9]
	v_cndmask_b32_e64 v21, 0, 1, s[14:15]
	v_cndmask_b32_e64 v20, 0, 1, s[18:19]
	;; [unrolled: 1-line block ×3, first 2 shown]
	v_lshlrev_b16_e32 v21, 8, v21
	v_lshlrev_b16_e32 v26, 8, v22
	v_or_b32_sdwa v27, v20, v21 dst_sel:WORD_1 dst_unused:UNUSED_PAD src0_sel:DWORD src1_sel:DWORD
	v_cmp_gt_u32_e32 vcc, s7, v1
	s_mov_b64 s[18:19], 0
	s_and_saveexec_b64 s[8:9], vcc
	s_cbranch_execz .LBB491_113
; %bb.103:
	s_and_b64 vcc, exec, s[0:1]
	s_mov_b64 s[14:15], 0
	s_cbranch_vccnz .LBB491_112
; %bb.104:
	s_waitcnt lgkmcnt(0)
	v_mul_lo_u32 v20, v19, s26
	v_mul_lo_u32 v21, v18, s27
	v_mad_u64_u32 v[18:19], s[0:1], v18, s26, 0
	v_add3_u32 v19, v19, v21, v20
	v_mul_lo_u32 v20, v15, s26
	v_mul_lo_u32 v21, v14, s27
	v_mad_u64_u32 v[24:25], s[0:1], v14, s26, 0
	v_add3_u32 v25, v25, v21, v20
	v_lshlrev_b64 v[20:21], 2, v[18:19]
	v_mov_b32_e32 v18, s29
	v_add_co_u32_e32 v22, vcc, s28, v20
	v_addc_co_u32_e64 v23, s[0:1], v18, v21, vcc
	v_lshlrev_b64 v[18:19], 2, v[24:25]
	v_mov_b32_e32 v20, s29
	v_add_co_u32_e64 v24, s[0:1], s28, v18
	v_addc_co_u32_e64 v25, s[2:3], v20, v19, s[0:1]
	global_load_dword v18, v[22:23], off
	global_load_dword v20, v[24:25], off
	s_mov_b64 s[14:15], -1
	s_waitcnt vmcnt(0)
	v_cmp_eq_u32_e64 s[2:3], v18, v20
	s_and_saveexec_b64 s[12:13], s[2:3]
	s_cbranch_execz .LBB491_111
; %bb.105:
	v_mov_b32_e32 v18, s29
	v_addc_co_u32_e64 v19, s[0:1], v19, v18, s[0:1]
	v_add_co_u32_e64 v18, s[0:1], 4, v24
	v_mov_b32_e32 v20, s29
	v_addc_co_u32_e64 v19, s[0:1], 0, v19, s[0:1]
	v_addc_co_u32_e32 v21, vcc, v21, v20, vcc
	v_add_co_u32_e32 v20, vcc, 4, v22
	s_add_u32 s0, s26, -1
	v_addc_co_u32_e32 v21, vcc, 0, v21, vcc
	s_addc_u32 s1, s27, -1
	s_mov_b64 s[2:3], 0
                                        ; implicit-def: $sgpr14_sgpr15
	s_branch .LBB491_108
.LBB491_106:                            ;   in Loop: Header=BB491_108 Depth=1
	global_load_dword v22, v[20:21], off
	global_load_dword v23, v[18:19], off
	v_add_co_u32_e32 v18, vcc, 4, v18
	v_addc_co_u32_e32 v19, vcc, 0, v19, vcc
	v_add_co_u32_e32 v20, vcc, 4, v20
	v_addc_co_u32_e32 v21, vcc, 0, v21, vcc
	s_add_u32 s18, s18, 1
	s_addc_u32 s19, s19, 0
	s_andn2_b64 s[14:15], s[14:15], exec
	s_waitcnt vmcnt(0)
	v_cmp_ne_u32_e32 vcc, v22, v23
	s_and_b64 s[36:37], vcc, exec
	s_or_b64 s[14:15], s[14:15], s[36:37]
.LBB491_107:                            ;   in Loop: Header=BB491_108 Depth=1
	s_and_b64 s[36:37], exec, s[14:15]
	s_or_b64 s[2:3], s[36:37], s[2:3]
	v_pk_mov_b32 v[22:23], s[18:19], s[18:19] op_sel:[0,1]
	s_andn2_b64 exec, exec, s[2:3]
	s_cbranch_execz .LBB491_110
.LBB491_108:                            ; =>This Inner Loop Header: Depth=1
	s_or_b64 s[14:15], s[14:15], exec
	s_cmp_eq_u64 s[0:1], s[18:19]
	s_cbranch_scc0 .LBB491_106
; %bb.109:                              ;   in Loop: Header=BB491_108 Depth=1
                                        ; implicit-def: $vgpr18_vgpr19
                                        ; implicit-def: $vgpr20_vgpr21
	s_mov_b64 s[18:19], s[26:27]
	s_branch .LBB491_107
.LBB491_110:
	s_or_b64 exec, exec, s[2:3]
	v_cmp_gt_i64_e32 vcc, s[26:27], v[22:23]
	s_orn2_b64 s[14:15], vcc, exec
.LBB491_111:
	s_or_b64 exec, exec, s[12:13]
.LBB491_112:
	s_and_b64 s[18:19], s[14:15], exec
.LBB491_113:
	s_or_b64 exec, exec, s[8:9]
	v_or_b32_e32 v28, v26, v27
.LBB491_114:
	s_waitcnt lgkmcnt(0)
	s_mov_b64 s[12:13], -1
	s_cbranch_execnz .LBB491_203
.LBB491_115:
	v_lshlrev_b32_e32 v29, 3, v0
	s_mov_b64 s[18:19], 0
	v_cmp_gt_i64_e64 s[14:15], s[26:27], 0
	s_and_b64 vcc, exec, s[34:35]
	ds_write_b64 v29, v[12:13]
	s_cbranch_vccz .LBB491_123
; %bb.116:
	v_mul_lo_u32 v20, v11, s26
	v_mul_lo_u32 v21, v10, s27
	v_mad_u64_u32 v[18:19], s[0:1], v10, s26, 0
	v_add3_u32 v19, v19, v21, v20
	v_cndmask_b32_e64 v20, 0, 1, s[14:15]
	v_cmp_ne_u32_e64 s[0:1], 1, v20
	s_andn2_b64 vcc, exec, s[14:15]
	v_lshlrev_b64 v[18:19], 2, v[18:19]
	s_cbranch_vccnz .LBB491_126
; %bb.117:
	v_mul_lo_u32 v22, v13, s26
	v_mul_lo_u32 v23, v12, s27
	v_mad_u64_u32 v[20:21], s[2:3], v12, s26, 0
	v_add3_u32 v21, v21, v23, v22
	v_mov_b32_e32 v23, s29
	v_add_co_u32_e32 v22, vcc, s28, v18
	v_addc_co_u32_e64 v23, s[2:3], v23, v19, vcc
	v_lshlrev_b64 v[20:21], 2, v[20:21]
	v_mov_b32_e32 v25, s29
	v_add_co_u32_e64 v24, s[2:3], s28, v20
	v_addc_co_u32_e64 v25, s[8:9], v25, v21, s[2:3]
	global_load_dword v20, v[22:23], off
	global_load_dword v26, v[24:25], off
	s_mov_b64 s[18:19], -1
	s_waitcnt vmcnt(0)
	v_cmp_eq_u32_e64 s[8:9], v20, v26
	s_and_saveexec_b64 s[36:37], s[8:9]
	s_cbranch_execz .LBB491_125
; %bb.118:
	v_mov_b32_e32 v20, s29
	v_addc_co_u32_e64 v21, s[2:3], v21, v20, s[2:3]
	v_add_co_u32_e64 v20, s[2:3], 4, v24
	v_mov_b32_e32 v23, s29
	v_addc_co_u32_e64 v21, s[2:3], 0, v21, s[2:3]
	v_addc_co_u32_e32 v23, vcc, v19, v23, vcc
	v_add_co_u32_e32 v22, vcc, 4, v22
	s_add_u32 s2, s26, -1
	v_addc_co_u32_e32 v23, vcc, 0, v23, vcc
	s_addc_u32 s3, s27, -1
	s_mov_b64 s[8:9], 0
	s_mov_b64 s[38:39], 0
                                        ; implicit-def: $sgpr18_sgpr19
	s_branch .LBB491_121
.LBB491_119:                            ;   in Loop: Header=BB491_121 Depth=1
	global_load_dword v24, v[22:23], off
	global_load_dword v25, v[20:21], off
	v_add_co_u32_e32 v20, vcc, 4, v20
	v_addc_co_u32_e32 v21, vcc, 0, v21, vcc
	v_add_co_u32_e32 v22, vcc, 4, v22
	v_addc_co_u32_e32 v23, vcc, 0, v23, vcc
	s_add_u32 s38, s38, 1
	s_addc_u32 s39, s39, 0
	s_andn2_b64 s[18:19], s[18:19], exec
	s_waitcnt vmcnt(0)
	v_cmp_ne_u32_e32 vcc, v24, v25
	s_and_b64 s[40:41], vcc, exec
	s_or_b64 s[18:19], s[18:19], s[40:41]
.LBB491_120:                            ;   in Loop: Header=BB491_121 Depth=1
	s_and_b64 s[40:41], exec, s[18:19]
	s_or_b64 s[8:9], s[40:41], s[8:9]
	v_pk_mov_b32 v[24:25], s[38:39], s[38:39] op_sel:[0,1]
	s_andn2_b64 exec, exec, s[8:9]
	s_cbranch_execz .LBB491_124
.LBB491_121:                            ; =>This Inner Loop Header: Depth=1
	s_or_b64 s[18:19], s[18:19], exec
	s_cmp_eq_u64 s[2:3], s[38:39]
	s_cbranch_scc0 .LBB491_119
; %bb.122:                              ;   in Loop: Header=BB491_121 Depth=1
                                        ; implicit-def: $vgpr20_vgpr21
                                        ; implicit-def: $vgpr22_vgpr23
	s_mov_b64 s[38:39], s[26:27]
	s_branch .LBB491_120
.LBB491_123:
                                        ; implicit-def: $sgpr18_sgpr19
                                        ; implicit-def: $vgpr28
	s_cbranch_execnz .LBB491_156
	s_branch .LBB491_203
.LBB491_124:
	s_or_b64 exec, exec, s[8:9]
	v_cmp_gt_i64_e32 vcc, s[26:27], v[24:25]
	s_orn2_b64 s[18:19], vcc, exec
.LBB491_125:
	s_or_b64 exec, exec, s[36:37]
.LBB491_126:
	v_mul_lo_u32 v22, v17, s26
	v_mul_lo_u32 v23, v16, s27
	v_mad_u64_u32 v[20:21], s[2:3], v16, s26, 0
	v_add3_u32 v21, v21, v23, v22
	s_mov_b64 s[36:37], 0
	s_and_b64 vcc, exec, s[0:1]
	v_lshlrev_b64 v[20:21], 2, v[20:21]
	s_mov_b64 s[38:39], 0
	s_cbranch_vccnz .LBB491_135
; %bb.127:
	v_mov_b32_e32 v23, s29
	v_add_co_u32_e32 v22, vcc, s28, v20
	v_addc_co_u32_e64 v23, s[2:3], v23, v21, vcc
	v_mov_b32_e32 v25, s29
	v_add_co_u32_e64 v24, s[2:3], s28, v18
	v_addc_co_u32_e64 v25, s[8:9], v25, v19, s[2:3]
	global_load_dword v18, v[22:23], off
	global_load_dword v26, v[24:25], off
	s_mov_b64 s[38:39], -1
	s_waitcnt vmcnt(0)
	v_cmp_eq_u32_e64 s[8:9], v18, v26
	s_and_saveexec_b64 s[40:41], s[8:9]
	s_cbranch_execz .LBB491_134
; %bb.128:
	v_mov_b32_e32 v18, s29
	v_addc_co_u32_e64 v19, s[2:3], v19, v18, s[2:3]
	v_add_co_u32_e64 v18, s[2:3], 4, v24
	v_mov_b32_e32 v23, s29
	v_addc_co_u32_e64 v19, s[2:3], 0, v19, s[2:3]
	v_addc_co_u32_e32 v23, vcc, v21, v23, vcc
	v_add_co_u32_e32 v22, vcc, 4, v22
	s_add_u32 s2, s26, -1
	v_addc_co_u32_e32 v23, vcc, 0, v23, vcc
	s_addc_u32 s3, s27, -1
	s_mov_b64 s[8:9], 0
	s_mov_b64 s[42:43], 0
                                        ; implicit-def: $sgpr38_sgpr39
	s_branch .LBB491_131
.LBB491_129:                            ;   in Loop: Header=BB491_131 Depth=1
	global_load_dword v24, v[22:23], off
	global_load_dword v25, v[18:19], off
	v_add_co_u32_e32 v18, vcc, 4, v18
	v_addc_co_u32_e32 v19, vcc, 0, v19, vcc
	v_add_co_u32_e32 v22, vcc, 4, v22
	v_addc_co_u32_e32 v23, vcc, 0, v23, vcc
	s_add_u32 s42, s42, 1
	s_addc_u32 s43, s43, 0
	s_andn2_b64 s[38:39], s[38:39], exec
	s_waitcnt vmcnt(0)
	v_cmp_ne_u32_e32 vcc, v24, v25
	s_and_b64 s[44:45], vcc, exec
	s_or_b64 s[38:39], s[38:39], s[44:45]
.LBB491_130:                            ;   in Loop: Header=BB491_131 Depth=1
	s_and_b64 s[44:45], exec, s[38:39]
	s_or_b64 s[8:9], s[44:45], s[8:9]
	v_pk_mov_b32 v[24:25], s[42:43], s[42:43] op_sel:[0,1]
	s_andn2_b64 exec, exec, s[8:9]
	s_cbranch_execz .LBB491_133
.LBB491_131:                            ; =>This Inner Loop Header: Depth=1
	s_or_b64 s[38:39], s[38:39], exec
	s_cmp_eq_u64 s[2:3], s[42:43]
	s_cbranch_scc0 .LBB491_129
; %bb.132:                              ;   in Loop: Header=BB491_131 Depth=1
                                        ; implicit-def: $vgpr18_vgpr19
                                        ; implicit-def: $vgpr22_vgpr23
	s_mov_b64 s[42:43], s[26:27]
	s_branch .LBB491_130
.LBB491_133:
	s_or_b64 exec, exec, s[8:9]
	v_cmp_gt_i64_e32 vcc, s[26:27], v[24:25]
	s_orn2_b64 s[38:39], vcc, exec
.LBB491_134:
	s_or_b64 exec, exec, s[40:41]
.LBB491_135:
	v_mul_lo_u32 v22, v15, s26
	v_mul_lo_u32 v23, v14, s27
	v_mad_u64_u32 v[18:19], s[2:3], v14, s26, 0
	s_and_b64 vcc, exec, s[0:1]
	v_add3_u32 v19, v19, v23, v22
	s_cbranch_vccnz .LBB491_144
; %bb.136:
	v_lshlrev_b64 v[22:23], 2, v[18:19]
	v_mov_b32_e32 v25, s29
	v_add_co_u32_e32 v24, vcc, s28, v22
	v_addc_co_u32_e64 v25, s[2:3], v25, v23, vcc
	v_mov_b32_e32 v22, s29
	v_add_co_u32_e64 v26, s[2:3], s28, v20
	v_addc_co_u32_e64 v27, s[8:9], v22, v21, s[2:3]
	global_load_dword v20, v[24:25], off
	global_load_dword v22, v[26:27], off
	s_mov_b64 s[36:37], -1
	s_waitcnt vmcnt(0)
	v_cmp_eq_u32_e64 s[8:9], v20, v22
	s_and_saveexec_b64 s[40:41], s[8:9]
	s_cbranch_execz .LBB491_143
; %bb.137:
	v_mov_b32_e32 v20, s29
	v_addc_co_u32_e64 v21, s[2:3], v21, v20, s[2:3]
	v_add_co_u32_e64 v20, s[2:3], 4, v26
	v_mov_b32_e32 v22, s29
	v_addc_co_u32_e64 v21, s[2:3], 0, v21, s[2:3]
	v_addc_co_u32_e32 v23, vcc, v23, v22, vcc
	v_add_co_u32_e32 v22, vcc, 4, v24
	s_add_u32 s2, s26, -1
	v_addc_co_u32_e32 v23, vcc, 0, v23, vcc
	s_addc_u32 s3, s27, -1
	s_mov_b64 s[8:9], 0
	s_mov_b64 s[42:43], 0
                                        ; implicit-def: $sgpr36_sgpr37
	s_branch .LBB491_140
.LBB491_138:                            ;   in Loop: Header=BB491_140 Depth=1
	global_load_dword v24, v[22:23], off
	global_load_dword v25, v[20:21], off
	v_add_co_u32_e32 v20, vcc, 4, v20
	v_addc_co_u32_e32 v21, vcc, 0, v21, vcc
	v_add_co_u32_e32 v22, vcc, 4, v22
	v_addc_co_u32_e32 v23, vcc, 0, v23, vcc
	s_add_u32 s42, s42, 1
	s_addc_u32 s43, s43, 0
	s_andn2_b64 s[36:37], s[36:37], exec
	s_waitcnt vmcnt(0)
	v_cmp_ne_u32_e32 vcc, v24, v25
	s_and_b64 s[44:45], vcc, exec
	s_or_b64 s[36:37], s[36:37], s[44:45]
.LBB491_139:                            ;   in Loop: Header=BB491_140 Depth=1
	s_and_b64 s[44:45], exec, s[36:37]
	s_or_b64 s[8:9], s[44:45], s[8:9]
	v_pk_mov_b32 v[24:25], s[42:43], s[42:43] op_sel:[0,1]
	s_andn2_b64 exec, exec, s[8:9]
	s_cbranch_execz .LBB491_142
.LBB491_140:                            ; =>This Inner Loop Header: Depth=1
	s_or_b64 s[36:37], s[36:37], exec
	s_cmp_eq_u64 s[2:3], s[42:43]
	s_cbranch_scc0 .LBB491_138
; %bb.141:                              ;   in Loop: Header=BB491_140 Depth=1
                                        ; implicit-def: $vgpr20_vgpr21
                                        ; implicit-def: $vgpr22_vgpr23
	s_mov_b64 s[42:43], s[26:27]
	s_branch .LBB491_139
.LBB491_142:
	s_or_b64 exec, exec, s[8:9]
	v_cmp_gt_i64_e32 vcc, s[26:27], v[24:25]
	s_orn2_b64 s[36:37], vcc, exec
.LBB491_143:
	s_or_b64 exec, exec, s[40:41]
.LBB491_144:
	v_cndmask_b32_e64 v21, 0, 1, s[18:19]
	v_cndmask_b32_e64 v22, 0, 1, s[36:37]
	;; [unrolled: 1-line block ×3, first 2 shown]
	v_lshlrev_b16_e32 v22, 8, v22
	v_lshlrev_b16_e32 v21, 8, v21
	v_or_b32_e32 v22, 1, v22
	v_or_b32_sdwa v20, v20, v21 dst_sel:WORD_1 dst_unused:UNUSED_PAD src0_sel:DWORD src1_sel:DWORD
	v_or_b32_sdwa v28, v22, v20 dst_sel:DWORD dst_unused:UNUSED_PAD src0_sel:WORD_0 src1_sel:DWORD
	v_cmp_ne_u32_e32 vcc, 0, v0
	s_waitcnt lgkmcnt(0)
	s_barrier
	s_waitcnt lgkmcnt(0)
                                        ; implicit-def: $sgpr18_sgpr19
	s_and_saveexec_b64 s[2:3], vcc
	s_xor_b64 s[8:9], exec, s[2:3]
	s_cbranch_execz .LBB491_155
; %bb.145:
	s_and_b64 vcc, exec, s[0:1]
	s_mov_b64 s[36:37], 0
	s_cbranch_vccnz .LBB491_154
; %bb.146:
	v_add_u32_e32 v20, -8, v29
	ds_read_b64 v[20:21], v20
	v_mov_b32_e32 v23, s29
	v_lshlrev_b64 v[18:19], 2, v[18:19]
	s_mov_b64 s[36:37], -1
	s_waitcnt lgkmcnt(0)
	v_mul_lo_u32 v22, v21, s26
	v_mul_lo_u32 v24, v20, s27
	v_mad_u64_u32 v[20:21], s[0:1], v20, s26, 0
	v_add3_u32 v21, v21, v24, v22
	v_lshlrev_b64 v[20:21], 2, v[20:21]
	v_add_co_u32_e32 v22, vcc, s28, v20
	v_addc_co_u32_e64 v23, s[0:1], v23, v21, vcc
	v_mov_b32_e32 v20, s29
	v_add_co_u32_e64 v24, s[0:1], s28, v18
	v_addc_co_u32_e64 v25, s[2:3], v20, v19, s[0:1]
	global_load_dword v18, v[22:23], off
	global_load_dword v20, v[24:25], off
	s_waitcnt vmcnt(0)
	v_cmp_eq_u32_e64 s[2:3], v18, v20
	s_and_saveexec_b64 s[18:19], s[2:3]
	s_cbranch_execz .LBB491_153
; %bb.147:
	v_mov_b32_e32 v18, s29
	v_addc_co_u32_e64 v19, s[0:1], v19, v18, s[0:1]
	v_add_co_u32_e64 v18, s[0:1], 4, v24
	v_mov_b32_e32 v20, s29
	v_addc_co_u32_e64 v19, s[0:1], 0, v19, s[0:1]
	v_addc_co_u32_e32 v21, vcc, v21, v20, vcc
	v_add_co_u32_e32 v20, vcc, 4, v22
	s_add_u32 s0, s26, -1
	v_addc_co_u32_e32 v21, vcc, 0, v21, vcc
	s_addc_u32 s1, s27, -1
	s_mov_b64 s[2:3], 0
	s_mov_b64 s[38:39], 0
                                        ; implicit-def: $sgpr36_sgpr37
	s_branch .LBB491_150
.LBB491_148:                            ;   in Loop: Header=BB491_150 Depth=1
	global_load_dword v22, v[20:21], off
	global_load_dword v23, v[18:19], off
	v_add_co_u32_e32 v18, vcc, 4, v18
	v_addc_co_u32_e32 v19, vcc, 0, v19, vcc
	v_add_co_u32_e32 v20, vcc, 4, v20
	v_addc_co_u32_e32 v21, vcc, 0, v21, vcc
	s_add_u32 s38, s38, 1
	s_addc_u32 s39, s39, 0
	s_andn2_b64 s[36:37], s[36:37], exec
	s_waitcnt vmcnt(0)
	v_cmp_ne_u32_e32 vcc, v22, v23
	s_and_b64 s[40:41], vcc, exec
	s_or_b64 s[36:37], s[36:37], s[40:41]
.LBB491_149:                            ;   in Loop: Header=BB491_150 Depth=1
	s_and_b64 s[40:41], exec, s[36:37]
	s_or_b64 s[2:3], s[40:41], s[2:3]
	v_pk_mov_b32 v[22:23], s[38:39], s[38:39] op_sel:[0,1]
	s_andn2_b64 exec, exec, s[2:3]
	s_cbranch_execz .LBB491_152
.LBB491_150:                            ; =>This Inner Loop Header: Depth=1
	s_or_b64 s[36:37], s[36:37], exec
	s_cmp_eq_u64 s[0:1], s[38:39]
	s_cbranch_scc0 .LBB491_148
; %bb.151:                              ;   in Loop: Header=BB491_150 Depth=1
                                        ; implicit-def: $vgpr18_vgpr19
                                        ; implicit-def: $vgpr20_vgpr21
	s_mov_b64 s[38:39], s[26:27]
	s_branch .LBB491_149
.LBB491_152:
	s_or_b64 exec, exec, s[2:3]
	v_cmp_gt_i64_e32 vcc, s[26:27], v[22:23]
	s_orn2_b64 s[36:37], vcc, exec
.LBB491_153:
	s_or_b64 exec, exec, s[18:19]
.LBB491_154:
	s_and_b64 s[18:19], s[36:37], exec
	s_or_b64 s[12:13], s[12:13], exec
.LBB491_155:
	s_or_b64 exec, exec, s[8:9]
	s_branch .LBB491_203
.LBB491_156:
	v_or_b32_e32 v18, 3, v1
	v_cmp_gt_u32_e32 vcc, s7, v18
	s_mov_b64 s[18:19], 0
	s_mov_b64 s[8:9], 0
	s_and_saveexec_b64 s[36:37], vcc
	s_cbranch_execz .LBB491_167
; %bb.157:
	s_andn2_b64 vcc, exec, s[14:15]
	s_mov_b64 s[38:39], 0
	s_cbranch_vccnz .LBB491_166
; %bb.158:
	v_mul_lo_u32 v20, v11, s26
	v_mul_lo_u32 v21, v10, s27
	v_mad_u64_u32 v[18:19], s[0:1], v10, s26, 0
	v_add3_u32 v19, v19, v21, v20
	v_mul_lo_u32 v20, v13, s26
	v_mul_lo_u32 v21, v12, s27
	v_mad_u64_u32 v[24:25], s[0:1], v12, s26, 0
	v_add3_u32 v25, v25, v21, v20
	v_lshlrev_b64 v[20:21], 2, v[18:19]
	v_mov_b32_e32 v18, s29
	v_add_co_u32_e32 v22, vcc, s28, v20
	v_addc_co_u32_e64 v23, s[0:1], v18, v21, vcc
	v_lshlrev_b64 v[18:19], 2, v[24:25]
	v_mov_b32_e32 v20, s29
	v_add_co_u32_e64 v24, s[0:1], s28, v18
	v_addc_co_u32_e64 v25, s[2:3], v20, v19, s[0:1]
	global_load_dword v18, v[22:23], off
	global_load_dword v20, v[24:25], off
	s_mov_b64 s[38:39], -1
	s_waitcnt vmcnt(0)
	v_cmp_eq_u32_e64 s[2:3], v18, v20
	s_and_saveexec_b64 s[8:9], s[2:3]
	s_cbranch_execz .LBB491_165
; %bb.159:
	v_mov_b32_e32 v18, s29
	v_addc_co_u32_e64 v19, s[0:1], v19, v18, s[0:1]
	v_add_co_u32_e64 v18, s[0:1], 4, v24
	v_mov_b32_e32 v20, s29
	v_addc_co_u32_e64 v19, s[0:1], 0, v19, s[0:1]
	v_addc_co_u32_e32 v21, vcc, v21, v20, vcc
	v_add_co_u32_e32 v20, vcc, 4, v22
	s_add_u32 s0, s26, -1
	v_addc_co_u32_e32 v21, vcc, 0, v21, vcc
	s_addc_u32 s1, s27, -1
	s_mov_b64 s[2:3], 0
	s_mov_b64 s[40:41], 0
                                        ; implicit-def: $sgpr38_sgpr39
	s_branch .LBB491_162
.LBB491_160:                            ;   in Loop: Header=BB491_162 Depth=1
	global_load_dword v22, v[20:21], off
	global_load_dword v23, v[18:19], off
	v_add_co_u32_e32 v18, vcc, 4, v18
	v_addc_co_u32_e32 v19, vcc, 0, v19, vcc
	v_add_co_u32_e32 v20, vcc, 4, v20
	v_addc_co_u32_e32 v21, vcc, 0, v21, vcc
	s_add_u32 s40, s40, 1
	s_addc_u32 s41, s41, 0
	s_andn2_b64 s[38:39], s[38:39], exec
	s_waitcnt vmcnt(0)
	v_cmp_ne_u32_e32 vcc, v22, v23
	s_and_b64 s[42:43], vcc, exec
	s_or_b64 s[38:39], s[38:39], s[42:43]
.LBB491_161:                            ;   in Loop: Header=BB491_162 Depth=1
	s_and_b64 s[42:43], exec, s[38:39]
	s_or_b64 s[2:3], s[42:43], s[2:3]
	v_pk_mov_b32 v[22:23], s[40:41], s[40:41] op_sel:[0,1]
	s_andn2_b64 exec, exec, s[2:3]
	s_cbranch_execz .LBB491_164
.LBB491_162:                            ; =>This Inner Loop Header: Depth=1
	s_or_b64 s[38:39], s[38:39], exec
	s_cmp_eq_u64 s[0:1], s[40:41]
	s_cbranch_scc0 .LBB491_160
; %bb.163:                              ;   in Loop: Header=BB491_162 Depth=1
                                        ; implicit-def: $vgpr18_vgpr19
                                        ; implicit-def: $vgpr20_vgpr21
	s_mov_b64 s[40:41], s[26:27]
	s_branch .LBB491_161
.LBB491_164:
	s_or_b64 exec, exec, s[2:3]
	v_cmp_gt_i64_e32 vcc, s[26:27], v[22:23]
	s_orn2_b64 s[38:39], vcc, exec
.LBB491_165:
	s_or_b64 exec, exec, s[8:9]
.LBB491_166:
	s_and_b64 s[8:9], s[38:39], exec
.LBB491_167:
	s_or_b64 exec, exec, s[36:37]
	v_or_b32_e32 v18, 2, v1
	v_cmp_gt_u32_e32 vcc, s7, v18
	s_and_saveexec_b64 s[36:37], vcc
	s_cbranch_execz .LBB491_178
; %bb.168:
	s_andn2_b64 vcc, exec, s[14:15]
	s_mov_b64 s[38:39], 0
	s_cbranch_vccnz .LBB491_177
; %bb.169:
	v_mul_lo_u32 v20, v17, s26
	v_mul_lo_u32 v21, v16, s27
	v_mad_u64_u32 v[18:19], s[0:1], v16, s26, 0
	v_add3_u32 v19, v19, v21, v20
	v_mul_lo_u32 v20, v11, s26
	v_mul_lo_u32 v21, v10, s27
	v_mad_u64_u32 v[24:25], s[0:1], v10, s26, 0
	v_add3_u32 v25, v25, v21, v20
	v_lshlrev_b64 v[20:21], 2, v[18:19]
	v_mov_b32_e32 v18, s29
	v_add_co_u32_e32 v22, vcc, s28, v20
	v_addc_co_u32_e64 v23, s[0:1], v18, v21, vcc
	v_lshlrev_b64 v[18:19], 2, v[24:25]
	v_mov_b32_e32 v20, s29
	v_add_co_u32_e64 v24, s[0:1], s28, v18
	v_addc_co_u32_e64 v25, s[2:3], v20, v19, s[0:1]
	global_load_dword v18, v[22:23], off
	global_load_dword v20, v[24:25], off
	s_mov_b64 s[38:39], -1
	s_waitcnt vmcnt(0)
	v_cmp_eq_u32_e64 s[2:3], v18, v20
	s_and_saveexec_b64 s[18:19], s[2:3]
	s_cbranch_execz .LBB491_176
; %bb.170:
	v_mov_b32_e32 v18, s29
	v_addc_co_u32_e64 v19, s[0:1], v19, v18, s[0:1]
	v_add_co_u32_e64 v18, s[0:1], 4, v24
	v_mov_b32_e32 v20, s29
	v_addc_co_u32_e64 v19, s[0:1], 0, v19, s[0:1]
	v_addc_co_u32_e32 v21, vcc, v21, v20, vcc
	v_add_co_u32_e32 v20, vcc, 4, v22
	s_add_u32 s0, s26, -1
	v_addc_co_u32_e32 v21, vcc, 0, v21, vcc
	s_addc_u32 s1, s27, -1
	s_mov_b64 s[2:3], 0
	s_mov_b64 s[40:41], 0
                                        ; implicit-def: $sgpr38_sgpr39
	s_branch .LBB491_173
.LBB491_171:                            ;   in Loop: Header=BB491_173 Depth=1
	global_load_dword v22, v[20:21], off
	global_load_dword v23, v[18:19], off
	v_add_co_u32_e32 v18, vcc, 4, v18
	v_addc_co_u32_e32 v19, vcc, 0, v19, vcc
	v_add_co_u32_e32 v20, vcc, 4, v20
	v_addc_co_u32_e32 v21, vcc, 0, v21, vcc
	s_add_u32 s40, s40, 1
	s_addc_u32 s41, s41, 0
	s_andn2_b64 s[38:39], s[38:39], exec
	s_waitcnt vmcnt(0)
	v_cmp_ne_u32_e32 vcc, v22, v23
	s_and_b64 s[42:43], vcc, exec
	s_or_b64 s[38:39], s[38:39], s[42:43]
.LBB491_172:                            ;   in Loop: Header=BB491_173 Depth=1
	s_and_b64 s[42:43], exec, s[38:39]
	s_or_b64 s[2:3], s[42:43], s[2:3]
	v_pk_mov_b32 v[22:23], s[40:41], s[40:41] op_sel:[0,1]
	s_andn2_b64 exec, exec, s[2:3]
	s_cbranch_execz .LBB491_175
.LBB491_173:                            ; =>This Inner Loop Header: Depth=1
	s_or_b64 s[38:39], s[38:39], exec
	s_cmp_eq_u64 s[0:1], s[40:41]
	s_cbranch_scc0 .LBB491_171
; %bb.174:                              ;   in Loop: Header=BB491_173 Depth=1
                                        ; implicit-def: $vgpr18_vgpr19
                                        ; implicit-def: $vgpr20_vgpr21
	s_mov_b64 s[40:41], s[26:27]
	s_branch .LBB491_172
.LBB491_175:
	s_or_b64 exec, exec, s[2:3]
	v_cmp_gt_i64_e32 vcc, s[26:27], v[22:23]
	s_orn2_b64 s[38:39], vcc, exec
.LBB491_176:
	s_or_b64 exec, exec, s[18:19]
.LBB491_177:
	s_and_b64 s[18:19], s[38:39], exec
.LBB491_178:
	s_or_b64 exec, exec, s[36:37]
	v_or_b32_e32 v18, 1, v1
	v_cmp_gt_u32_e32 vcc, s7, v18
	s_mov_b64 s[0:1], 0
	s_and_saveexec_b64 s[36:37], vcc
	s_cbranch_execz .LBB491_189
; %bb.179:
	s_andn2_b64 vcc, exec, s[14:15]
	s_mov_b64 s[40:41], 0
	s_cbranch_vccnz .LBB491_188
; %bb.180:
	v_mul_lo_u32 v20, v15, s26
	v_mul_lo_u32 v21, v14, s27
	v_mad_u64_u32 v[18:19], s[0:1], v14, s26, 0
	v_add3_u32 v19, v19, v21, v20
	v_mul_lo_u32 v20, v17, s26
	v_mul_lo_u32 v21, v16, s27
	v_mad_u64_u32 v[24:25], s[0:1], v16, s26, 0
	v_add3_u32 v25, v25, v21, v20
	v_lshlrev_b64 v[20:21], 2, v[18:19]
	v_mov_b32_e32 v18, s29
	v_add_co_u32_e32 v22, vcc, s28, v20
	v_addc_co_u32_e64 v23, s[0:1], v18, v21, vcc
	v_lshlrev_b64 v[18:19], 2, v[24:25]
	v_mov_b32_e32 v20, s29
	v_add_co_u32_e64 v24, s[0:1], s28, v18
	v_addc_co_u32_e64 v25, s[2:3], v20, v19, s[0:1]
	global_load_dword v18, v[22:23], off
	global_load_dword v20, v[24:25], off
	s_mov_b64 s[40:41], -1
	s_waitcnt vmcnt(0)
	v_cmp_eq_u32_e64 s[2:3], v18, v20
	s_and_saveexec_b64 s[38:39], s[2:3]
	s_cbranch_execz .LBB491_187
; %bb.181:
	v_mov_b32_e32 v18, s29
	v_addc_co_u32_e64 v19, s[0:1], v19, v18, s[0:1]
	v_add_co_u32_e64 v18, s[0:1], 4, v24
	v_mov_b32_e32 v20, s29
	v_addc_co_u32_e64 v19, s[0:1], 0, v19, s[0:1]
	v_addc_co_u32_e32 v21, vcc, v21, v20, vcc
	v_add_co_u32_e32 v20, vcc, 4, v22
	s_add_u32 s0, s26, -1
	v_addc_co_u32_e32 v21, vcc, 0, v21, vcc
	s_addc_u32 s1, s27, -1
	s_mov_b64 s[2:3], 0
	s_mov_b64 s[42:43], 0
                                        ; implicit-def: $sgpr40_sgpr41
	s_branch .LBB491_184
.LBB491_182:                            ;   in Loop: Header=BB491_184 Depth=1
	global_load_dword v22, v[20:21], off
	global_load_dword v23, v[18:19], off
	v_add_co_u32_e32 v18, vcc, 4, v18
	v_addc_co_u32_e32 v19, vcc, 0, v19, vcc
	v_add_co_u32_e32 v20, vcc, 4, v20
	v_addc_co_u32_e32 v21, vcc, 0, v21, vcc
	s_add_u32 s42, s42, 1
	s_addc_u32 s43, s43, 0
	s_andn2_b64 s[40:41], s[40:41], exec
	s_waitcnt vmcnt(0)
	v_cmp_ne_u32_e32 vcc, v22, v23
	s_and_b64 s[44:45], vcc, exec
	s_or_b64 s[40:41], s[40:41], s[44:45]
.LBB491_183:                            ;   in Loop: Header=BB491_184 Depth=1
	s_and_b64 s[44:45], exec, s[40:41]
	s_or_b64 s[2:3], s[44:45], s[2:3]
	v_pk_mov_b32 v[22:23], s[42:43], s[42:43] op_sel:[0,1]
	s_andn2_b64 exec, exec, s[2:3]
	s_cbranch_execz .LBB491_186
.LBB491_184:                            ; =>This Inner Loop Header: Depth=1
	s_or_b64 s[40:41], s[40:41], exec
	s_cmp_eq_u64 s[0:1], s[42:43]
	s_cbranch_scc0 .LBB491_182
; %bb.185:                              ;   in Loop: Header=BB491_184 Depth=1
                                        ; implicit-def: $vgpr18_vgpr19
                                        ; implicit-def: $vgpr20_vgpr21
	s_mov_b64 s[42:43], s[26:27]
	s_branch .LBB491_183
.LBB491_186:
	s_or_b64 exec, exec, s[2:3]
	v_cmp_gt_i64_e32 vcc, s[26:27], v[22:23]
	s_orn2_b64 s[40:41], vcc, exec
.LBB491_187:
	s_or_b64 exec, exec, s[38:39]
.LBB491_188:
	s_and_b64 s[0:1], s[40:41], exec
.LBB491_189:
	s_or_b64 exec, exec, s[36:37]
	v_cndmask_b32_e64 v19, 0, 1, s[8:9]
	v_cndmask_b32_e64 v20, 0, 1, s[0:1]
	;; [unrolled: 1-line block ×3, first 2 shown]
	v_lshlrev_b16_e32 v20, 8, v20
	v_lshlrev_b16_e32 v19, 8, v19
	v_or_b32_e32 v20, 1, v20
	v_or_b32_sdwa v18, v18, v19 dst_sel:WORD_1 dst_unused:UNUSED_PAD src0_sel:DWORD src1_sel:DWORD
	v_or_b32_sdwa v28, v20, v18 dst_sel:DWORD dst_unused:UNUSED_PAD src0_sel:WORD_0 src1_sel:DWORD
	v_cmp_ne_u32_e32 vcc, 0, v0
	s_waitcnt lgkmcnt(0)
	s_barrier
	s_waitcnt lgkmcnt(0)
                                        ; implicit-def: $sgpr18_sgpr19
	s_and_saveexec_b64 s[8:9], vcc
	s_cbranch_execz .LBB491_202
; %bb.190:
	v_cmp_gt_u32_e32 vcc, s7, v1
	s_mov_b64 s[0:1], 0
	s_and_saveexec_b64 s[18:19], vcc
	s_cbranch_execz .LBB491_201
; %bb.191:
	s_andn2_b64 vcc, exec, s[14:15]
	s_mov_b64 s[36:37], 0
	s_cbranch_vccnz .LBB491_200
; %bb.192:
	v_add_u32_e32 v18, -8, v29
	ds_read_b64 v[18:19], v18
	v_mul_lo_u32 v20, v15, s26
	v_mad_u64_u32 v[24:25], s[0:1], v14, s26, 0
	s_mov_b64 s[36:37], -1
	s_waitcnt lgkmcnt(0)
	v_mul_lo_u32 v21, v19, s26
	v_mul_lo_u32 v22, v18, s27
	v_mad_u64_u32 v[18:19], s[0:1], v18, s26, 0
	v_add3_u32 v19, v19, v22, v21
	v_mul_lo_u32 v21, v14, s27
	v_add3_u32 v25, v25, v21, v20
	v_lshlrev_b64 v[20:21], 2, v[18:19]
	v_mov_b32_e32 v18, s29
	v_add_co_u32_e32 v22, vcc, s28, v20
	v_addc_co_u32_e64 v23, s[0:1], v18, v21, vcc
	v_lshlrev_b64 v[18:19], 2, v[24:25]
	v_mov_b32_e32 v20, s29
	v_add_co_u32_e64 v24, s[0:1], s28, v18
	v_addc_co_u32_e64 v25, s[2:3], v20, v19, s[0:1]
	global_load_dword v18, v[22:23], off
	global_load_dword v20, v[24:25], off
	s_waitcnt vmcnt(0)
	v_cmp_eq_u32_e64 s[2:3], v18, v20
	s_and_saveexec_b64 s[14:15], s[2:3]
	s_cbranch_execz .LBB491_199
; %bb.193:
	v_mov_b32_e32 v18, s29
	v_addc_co_u32_e64 v19, s[0:1], v19, v18, s[0:1]
	v_add_co_u32_e64 v18, s[0:1], 4, v24
	v_mov_b32_e32 v20, s29
	v_addc_co_u32_e64 v19, s[0:1], 0, v19, s[0:1]
	v_addc_co_u32_e32 v21, vcc, v21, v20, vcc
	v_add_co_u32_e32 v20, vcc, 4, v22
	s_add_u32 s0, s26, -1
	v_addc_co_u32_e32 v21, vcc, 0, v21, vcc
	s_addc_u32 s1, s27, -1
	s_mov_b64 s[2:3], 0
	s_mov_b64 s[36:37], 0
                                        ; implicit-def: $sgpr28_sgpr29
	s_branch .LBB491_196
.LBB491_194:                            ;   in Loop: Header=BB491_196 Depth=1
	global_load_dword v22, v[20:21], off
	global_load_dword v23, v[18:19], off
	v_add_co_u32_e32 v18, vcc, 4, v18
	v_addc_co_u32_e32 v19, vcc, 0, v19, vcc
	v_add_co_u32_e32 v20, vcc, 4, v20
	v_addc_co_u32_e32 v21, vcc, 0, v21, vcc
	s_add_u32 s36, s36, 1
	s_addc_u32 s37, s37, 0
	s_andn2_b64 s[28:29], s[28:29], exec
	s_waitcnt vmcnt(0)
	v_cmp_ne_u32_e32 vcc, v22, v23
	s_and_b64 s[38:39], vcc, exec
	s_or_b64 s[28:29], s[28:29], s[38:39]
.LBB491_195:                            ;   in Loop: Header=BB491_196 Depth=1
	s_and_b64 s[38:39], exec, s[28:29]
	s_or_b64 s[2:3], s[38:39], s[2:3]
	v_pk_mov_b32 v[22:23], s[36:37], s[36:37] op_sel:[0,1]
	s_andn2_b64 exec, exec, s[2:3]
	s_cbranch_execz .LBB491_198
.LBB491_196:                            ; =>This Inner Loop Header: Depth=1
	s_or_b64 s[28:29], s[28:29], exec
	s_cmp_eq_u64 s[0:1], s[36:37]
	s_cbranch_scc0 .LBB491_194
; %bb.197:                              ;   in Loop: Header=BB491_196 Depth=1
                                        ; implicit-def: $vgpr18_vgpr19
                                        ; implicit-def: $vgpr20_vgpr21
	s_mov_b64 s[36:37], s[26:27]
	s_branch .LBB491_195
.LBB491_198:
	s_or_b64 exec, exec, s[2:3]
	v_cmp_gt_i64_e32 vcc, s[26:27], v[22:23]
	s_orn2_b64 s[36:37], vcc, exec
.LBB491_199:
	s_or_b64 exec, exec, s[14:15]
.LBB491_200:
	s_and_b64 s[0:1], s[36:37], exec
.LBB491_201:
	s_or_b64 exec, exec, s[18:19]
	s_and_b64 s[18:19], s[0:1], exec
	s_or_b64 s[12:13], s[12:13], exec
.LBB491_202:
	s_or_b64 exec, exec, s[8:9]
.LBB491_203:
	s_and_saveexec_b64 s[0:1], s[12:13]
; %bb.204:
	v_and_b32_e32 v18, 0xffffff00, v28
	v_cndmask_b32_e64 v19, 0, 1, s[18:19]
	v_or_b32_e32 v18, v19, v18
	v_and_b32_e32 v18, 0xffff, v18
	s_mov_b32 s2, 0xffff0000
	v_and_or_b32 v28, v28, s2, v18
; %bb.205:
	s_or_b64 exec, exec, s[0:1]
	s_andn2_b64 vcc, exec, s[10:11]
	s_cbranch_vccnz .LBB491_207
; %bb.206:
	v_cmp_gt_u32_e32 vcc, s7, v1
	v_cndmask_b32_e32 v18, 0, v28, vcc
	v_or_b32_e32 v19, 1, v1
	v_and_b32_e32 v18, 0xff, v18
	v_cmp_gt_u32_e32 vcc, s7, v19
	v_cndmask_b32_e32 v18, v18, v28, vcc
	v_or_b32_e32 v19, 2, v1
	v_and_b32_e32 v18, 0xffff, v18
	;; [unrolled: 4-line block ×3, first 2 shown]
	v_cmp_gt_u32_e32 vcc, s7, v19
	v_cndmask_b32_e32 v28, v18, v28, vcc
.LBB491_207:
	v_bfe_u32 v30, v28, 16, 8
	v_lshrrev_b32_e32 v29, 24, v28
	v_add_u32_sdwa v18, v28, v28 dst_sel:DWORD dst_unused:UNUSED_PAD src0_sel:BYTE_1 src1_sel:BYTE_0
	v_add3_u32 v33, v18, v30, v29
	v_mbcnt_lo_u32_b32 v18, -1, 0
	v_mbcnt_hi_u32_b32 v31, -1, v18
	v_and_b32_e32 v18, 15, v31
	v_cmp_eq_u32_e64 s[14:15], 0, v18
	v_cmp_lt_u32_e64 s[12:13], 1, v18
	v_cmp_lt_u32_e64 s[10:11], 3, v18
	;; [unrolled: 1-line block ×3, first 2 shown]
	v_and_b32_e32 v18, 16, v31
	v_cmp_eq_u32_e64 s[18:19], 0, v18
	v_or_b32_e32 v18, 63, v0
	v_cmp_lt_u32_e64 s[0:1], 31, v31
	v_lshrrev_b32_e32 v32, 6, v0
	v_cmp_eq_u32_e64 s[2:3], v18, v0
	s_and_b64 vcc, exec, s[16:17]
	s_waitcnt lgkmcnt(0)
	s_barrier
	s_cbranch_vccz .LBB491_238
; %bb.208:
	v_mov_b32_dpp v18, v33 row_shr:1 row_mask:0xf bank_mask:0xf
	v_cndmask_b32_e64 v18, v18, 0, s[14:15]
	v_add_u32_e32 v18, v18, v33
	s_nop 1
	v_mov_b32_dpp v19, v18 row_shr:2 row_mask:0xf bank_mask:0xf
	v_cndmask_b32_e64 v19, 0, v19, s[12:13]
	v_add_u32_e32 v18, v18, v19
	s_nop 1
	;; [unrolled: 4-line block ×4, first 2 shown]
	v_mov_b32_dpp v19, v18 row_bcast:15 row_mask:0xf bank_mask:0xf
	v_cndmask_b32_e64 v19, v19, 0, s[18:19]
	v_add_u32_e32 v18, v18, v19
	s_nop 1
	v_mov_b32_dpp v19, v18 row_bcast:31 row_mask:0xf bank_mask:0xf
	v_cndmask_b32_e64 v19, 0, v19, s[0:1]
	v_add_u32_e32 v18, v18, v19
	s_and_saveexec_b64 s[16:17], s[2:3]
	s_cbranch_execz .LBB491_210
; %bb.209:
	v_lshlrev_b32_e32 v19, 2, v32
	ds_write_b32 v19, v18
.LBB491_210:
	s_or_b64 exec, exec, s[16:17]
	v_cmp_gt_u32_e32 vcc, 2, v0
	s_waitcnt lgkmcnt(0)
	s_barrier
	s_and_saveexec_b64 s[16:17], vcc
	s_cbranch_execz .LBB491_212
; %bb.211:
	ds_read_b32 v19, v1
	v_bfe_i32 v20, v31, 0, 1
	s_waitcnt lgkmcnt(0)
	v_mov_b32_dpp v21, v19 row_shr:1 row_mask:0xf bank_mask:0xf
	v_and_b32_e32 v20, v20, v21
	v_add_u32_e32 v19, v20, v19
	ds_write_b32 v1, v19
.LBB491_212:
	s_or_b64 exec, exec, s[16:17]
	v_cmp_gt_u32_e32 vcc, 64, v0
	v_cmp_lt_u32_e64 s[16:17], 63, v0
	s_waitcnt lgkmcnt(0)
	s_barrier
	s_waitcnt lgkmcnt(0)
                                        ; implicit-def: $vgpr34
	s_and_saveexec_b64 s[26:27], s[16:17]
	s_cbranch_execz .LBB491_214
; %bb.213:
	v_lshl_add_u32 v19, v32, 2, -4
	ds_read_b32 v34, v19
	s_waitcnt lgkmcnt(0)
	v_add_u32_e32 v18, v34, v18
.LBB491_214:
	s_or_b64 exec, exec, s[26:27]
	v_add_u32_e32 v19, -1, v31
	v_and_b32_e32 v20, 64, v31
	v_cmp_lt_i32_e64 s[16:17], v19, v20
	v_cndmask_b32_e64 v19, v19, v31, s[16:17]
	v_lshlrev_b32_e32 v19, 2, v19
	ds_bpermute_b32 v35, v19, v18
	v_cmp_eq_u32_e64 s[16:17], 0, v31
	s_and_saveexec_b64 s[26:27], vcc
	s_cbranch_execz .LBB491_237
; %bb.215:
	v_mov_b32_e32 v27, 0
	ds_read_b32 v18, v27 offset:4
	s_and_saveexec_b64 s[28:29], s[16:17]
	s_cbranch_execz .LBB491_217
; %bb.216:
	s_add_i32 s36, s6, 64
	s_mov_b32 s37, 0
	s_lshl_b64 s[36:37], s[36:37], 3
	s_add_u32 s36, s30, s36
	v_mov_b32_e32 v19, 1
	s_addc_u32 s37, s31, s37
	s_waitcnt lgkmcnt(0)
	global_store_dwordx2 v27, v[18:19], s[36:37]
.LBB491_217:
	s_or_b64 exec, exec, s[28:29]
	v_xad_u32 v20, v31, -1, s6
	v_add_u32_e32 v26, 64, v20
	v_lshlrev_b64 v[22:23], 3, v[26:27]
	v_mov_b32_e32 v19, s31
	v_add_co_u32_e32 v22, vcc, s30, v22
	v_addc_co_u32_e32 v23, vcc, v19, v23, vcc
	global_load_dwordx2 v[24:25], v[22:23], off glc
	s_waitcnt vmcnt(0)
	v_cmp_eq_u16_sdwa s[36:37], v25, v27 src0_sel:BYTE_0 src1_sel:DWORD
	s_and_saveexec_b64 s[28:29], s[36:37]
	s_cbranch_execz .LBB491_223
; %bb.218:
	s_mov_b32 s7, 1
	s_mov_b64 s[36:37], 0
	v_mov_b32_e32 v19, 0
.LBB491_219:                            ; =>This Loop Header: Depth=1
                                        ;     Child Loop BB491_220 Depth 2
	s_max_u32 s33, s7, 1
.LBB491_220:                            ;   Parent Loop BB491_219 Depth=1
                                        ; =>  This Inner Loop Header: Depth=2
	s_add_i32 s33, s33, -1
	s_cmp_eq_u32 s33, 0
	s_sleep 1
	s_cbranch_scc0 .LBB491_220
; %bb.221:                              ;   in Loop: Header=BB491_219 Depth=1
	global_load_dwordx2 v[24:25], v[22:23], off glc
	s_cmp_lt_u32 s7, 32
	s_cselect_b64 s[38:39], -1, 0
	s_cmp_lg_u64 s[38:39], 0
	s_addc_u32 s7, s7, 0
	s_waitcnt vmcnt(0)
	v_cmp_ne_u16_sdwa s[38:39], v25, v19 src0_sel:BYTE_0 src1_sel:DWORD
	s_or_b64 s[36:37], s[38:39], s[36:37]
	s_andn2_b64 exec, exec, s[36:37]
	s_cbranch_execnz .LBB491_219
; %bb.222:
	s_or_b64 exec, exec, s[36:37]
.LBB491_223:
	s_or_b64 exec, exec, s[28:29]
	v_and_b32_e32 v36, 63, v31
	v_mov_b32_e32 v19, 2
	v_cmp_ne_u32_e32 vcc, 63, v36
	v_cmp_eq_u16_sdwa s[28:29], v25, v19 src0_sel:BYTE_0 src1_sel:DWORD
	v_lshlrev_b64 v[22:23], v31, -1
	v_addc_co_u32_e32 v27, vcc, 0, v31, vcc
	v_and_b32_e32 v21, s29, v23
	v_lshlrev_b32_e32 v37, 2, v27
	v_or_b32_e32 v21, 0x80000000, v21
	ds_bpermute_b32 v27, v37, v24
	v_and_b32_e32 v26, s28, v22
	v_ffbl_b32_e32 v21, v21
	v_add_u32_e32 v21, 32, v21
	v_ffbl_b32_e32 v26, v26
	v_min_u32_e32 v21, v26, v21
	v_cmp_lt_u32_e32 vcc, v36, v21
	s_waitcnt lgkmcnt(0)
	v_cndmask_b32_e32 v26, 0, v27, vcc
	v_cmp_gt_u32_e32 vcc, 62, v36
	v_add_u32_e32 v24, v26, v24
	v_cndmask_b32_e64 v26, 0, 1, vcc
	v_lshlrev_b32_e32 v26, 1, v26
	v_add_lshl_u32 v38, v26, v31, 2
	ds_bpermute_b32 v26, v38, v24
	v_add_u32_e32 v39, 2, v36
	v_cmp_le_u32_e32 vcc, v39, v21
	v_add_u32_e32 v41, 4, v36
	v_add_u32_e32 v43, 8, v36
	s_waitcnt lgkmcnt(0)
	v_cndmask_b32_e32 v26, 0, v26, vcc
	v_cmp_gt_u32_e32 vcc, 60, v36
	v_add_u32_e32 v24, v24, v26
	v_cndmask_b32_e64 v26, 0, 1, vcc
	v_lshlrev_b32_e32 v26, 2, v26
	v_add_lshl_u32 v40, v26, v31, 2
	ds_bpermute_b32 v26, v40, v24
	v_cmp_le_u32_e32 vcc, v41, v21
	v_add_u32_e32 v46, 16, v36
	v_add_u32_e32 v48, 32, v36
	s_waitcnt lgkmcnt(0)
	v_cndmask_b32_e32 v26, 0, v26, vcc
	v_cmp_gt_u32_e32 vcc, 56, v36
	v_add_u32_e32 v24, v24, v26
	v_cndmask_b32_e64 v26, 0, 1, vcc
	v_lshlrev_b32_e32 v26, 3, v26
	v_add_lshl_u32 v42, v26, v31, 2
	ds_bpermute_b32 v26, v42, v24
	v_cmp_le_u32_e32 vcc, v43, v21
	s_waitcnt lgkmcnt(0)
	v_cndmask_b32_e32 v26, 0, v26, vcc
	v_cmp_gt_u32_e32 vcc, 48, v36
	v_add_u32_e32 v24, v24, v26
	v_cndmask_b32_e64 v26, 0, 1, vcc
	v_lshlrev_b32_e32 v26, 4, v26
	v_add_lshl_u32 v45, v26, v31, 2
	ds_bpermute_b32 v26, v45, v24
	v_cmp_le_u32_e32 vcc, v46, v21
	s_waitcnt lgkmcnt(0)
	v_cndmask_b32_e32 v26, 0, v26, vcc
	v_cmp_gt_u32_e32 vcc, 32, v36
	v_add_u32_e32 v24, v24, v26
	v_cndmask_b32_e64 v26, 0, 1, vcc
	v_lshlrev_b32_e32 v26, 5, v26
	v_add_lshl_u32 v47, v26, v31, 2
	ds_bpermute_b32 v26, v47, v24
	v_cmp_le_u32_e32 vcc, v48, v21
	s_waitcnt lgkmcnt(0)
	v_cndmask_b32_e32 v21, 0, v26, vcc
	v_add_u32_e32 v24, v24, v21
	v_mov_b32_e32 v21, 0
	s_branch .LBB491_225
.LBB491_224:                            ;   in Loop: Header=BB491_225 Depth=1
	s_or_b64 exec, exec, s[28:29]
	v_cmp_eq_u16_sdwa s[28:29], v25, v19 src0_sel:BYTE_0 src1_sel:DWORD
	v_and_b32_e32 v26, s29, v23
	v_or_b32_e32 v26, 0x80000000, v26
	ds_bpermute_b32 v49, v37, v24
	v_and_b32_e32 v27, s28, v22
	v_ffbl_b32_e32 v26, v26
	v_add_u32_e32 v26, 32, v26
	v_ffbl_b32_e32 v27, v27
	v_min_u32_e32 v26, v27, v26
	v_cmp_lt_u32_e32 vcc, v36, v26
	s_waitcnt lgkmcnt(0)
	v_cndmask_b32_e32 v27, 0, v49, vcc
	v_add_u32_e32 v24, v27, v24
	ds_bpermute_b32 v27, v38, v24
	v_cmp_le_u32_e32 vcc, v39, v26
	v_subrev_u32_e32 v20, 64, v20
	s_waitcnt lgkmcnt(0)
	v_cndmask_b32_e32 v27, 0, v27, vcc
	v_add_u32_e32 v24, v24, v27
	ds_bpermute_b32 v27, v40, v24
	v_cmp_le_u32_e32 vcc, v41, v26
	s_waitcnt lgkmcnt(0)
	v_cndmask_b32_e32 v27, 0, v27, vcc
	v_add_u32_e32 v24, v24, v27
	ds_bpermute_b32 v27, v42, v24
	v_cmp_le_u32_e32 vcc, v43, v26
	;; [unrolled: 5-line block ×4, first 2 shown]
	s_waitcnt lgkmcnt(0)
	v_cndmask_b32_e32 v26, 0, v27, vcc
	v_add3_u32 v24, v26, v44, v24
.LBB491_225:                            ; =>This Loop Header: Depth=1
                                        ;     Child Loop BB491_228 Depth 2
                                        ;       Child Loop BB491_229 Depth 3
	v_cmp_ne_u16_sdwa s[28:29], v25, v19 src0_sel:BYTE_0 src1_sel:DWORD
	v_cndmask_b32_e64 v25, 0, 1, s[28:29]
	;;#ASMSTART
	;;#ASMEND
	v_cmp_ne_u32_e32 vcc, 0, v25
	s_cmp_lg_u64 vcc, exec
	v_mov_b32_e32 v44, v24
	s_cbranch_scc1 .LBB491_232
; %bb.226:                              ;   in Loop: Header=BB491_225 Depth=1
	v_lshlrev_b64 v[24:25], 3, v[20:21]
	v_mov_b32_e32 v27, s31
	v_add_co_u32_e32 v26, vcc, s30, v24
	v_addc_co_u32_e32 v27, vcc, v27, v25, vcc
	global_load_dwordx2 v[24:25], v[26:27], off glc
	s_waitcnt vmcnt(0)
	v_cmp_eq_u16_sdwa s[36:37], v25, v21 src0_sel:BYTE_0 src1_sel:DWORD
	s_and_saveexec_b64 s[28:29], s[36:37]
	s_cbranch_execz .LBB491_224
; %bb.227:                              ;   in Loop: Header=BB491_225 Depth=1
	s_mov_b32 s7, 1
	s_mov_b64 s[36:37], 0
.LBB491_228:                            ;   Parent Loop BB491_225 Depth=1
                                        ; =>  This Loop Header: Depth=2
                                        ;       Child Loop BB491_229 Depth 3
	s_max_u32 s33, s7, 1
.LBB491_229:                            ;   Parent Loop BB491_225 Depth=1
                                        ;     Parent Loop BB491_228 Depth=2
                                        ; =>    This Inner Loop Header: Depth=3
	s_add_i32 s33, s33, -1
	s_cmp_eq_u32 s33, 0
	s_sleep 1
	s_cbranch_scc0 .LBB491_229
; %bb.230:                              ;   in Loop: Header=BB491_228 Depth=2
	global_load_dwordx2 v[24:25], v[26:27], off glc
	s_cmp_lt_u32 s7, 32
	s_cselect_b64 s[38:39], -1, 0
	s_cmp_lg_u64 s[38:39], 0
	s_addc_u32 s7, s7, 0
	s_waitcnt vmcnt(0)
	v_cmp_ne_u16_sdwa s[38:39], v25, v21 src0_sel:BYTE_0 src1_sel:DWORD
	s_or_b64 s[36:37], s[38:39], s[36:37]
	s_andn2_b64 exec, exec, s[36:37]
	s_cbranch_execnz .LBB491_228
; %bb.231:                              ;   in Loop: Header=BB491_225 Depth=1
	s_or_b64 exec, exec, s[36:37]
	s_branch .LBB491_224
.LBB491_232:                            ;   in Loop: Header=BB491_225 Depth=1
                                        ; implicit-def: $vgpr24
                                        ; implicit-def: $vgpr25
	s_cbranch_execz .LBB491_225
; %bb.233:
	s_and_saveexec_b64 s[28:29], s[16:17]
	s_cbranch_execz .LBB491_235
; %bb.234:
	s_add_i32 s6, s6, 64
	s_mov_b32 s7, 0
	s_lshl_b64 s[6:7], s[6:7], 3
	s_add_u32 s6, s30, s6
	v_add_u32_e32 v20, v44, v18
	v_mov_b32_e32 v21, 2
	s_addc_u32 s7, s31, s7
	v_mov_b32_e32 v19, 0
	global_store_dwordx2 v19, v[20:21], s[6:7]
	s_movk_i32 s6, 0x1000
	v_add_u32_e64 v19, s6, 0
	ds_write2_b32 v19, v18, v44 offset0:32 offset1:34
.LBB491_235:
	s_or_b64 exec, exec, s[28:29]
	v_cmp_eq_u32_e32 vcc, 0, v0
	s_and_b64 exec, exec, vcc
	s_cbranch_execz .LBB491_237
; %bb.236:
	v_mov_b32_e32 v18, 0
	ds_write_b32 v18, v44 offset:4
.LBB491_237:
	s_or_b64 exec, exec, s[26:27]
	v_mov_b32_e32 v19, 0
	s_waitcnt lgkmcnt(0)
	s_barrier
	ds_read_b32 v19, v19 offset:4
	s_movk_i32 s6, 0x1000
	v_add_u32_e64 v20, s6, 0
	v_cndmask_b32_e64 v18, v35, v34, s[16:17]
	v_cmp_ne_u32_e32 vcc, 0, v0
	s_waitcnt lgkmcnt(0)
	s_barrier
	ds_read2_b32 v[26:27], v20 offset0:32 offset1:34
	v_cndmask_b32_e32 v18, 0, v18, vcc
	v_add_u32_e32 v24, v19, v18
	v_add_u32_sdwa v22, v24, v28 dst_sel:DWORD dst_unused:UNUSED_PAD src0_sel:DWORD src1_sel:BYTE_0
	v_add_u32_sdwa v20, v22, v28 dst_sel:DWORD dst_unused:UNUSED_PAD src0_sel:DWORD src1_sel:BYTE_1
	v_add_u32_e32 v18, v20, v30
	s_waitcnt lgkmcnt(0)
	v_readfirstlane_b32 s26, v26
	v_readfirstlane_b32 s16, v27
	s_branch .LBB491_248
.LBB491_238:
                                        ; implicit-def: $vgpr18
                                        ; implicit-def: $vgpr20
                                        ; implicit-def: $vgpr22
                                        ; implicit-def: $vgpr24
                                        ; implicit-def: $sgpr16
                                        ; implicit-def: $sgpr26
	s_cbranch_execz .LBB491_248
; %bb.239:
	s_nop 0
	v_mov_b32_dpp v18, v33 row_shr:1 row_mask:0xf bank_mask:0xf
	v_cndmask_b32_e64 v18, v18, 0, s[14:15]
	v_add_u32_e32 v18, v18, v33
	s_nop 1
	v_mov_b32_dpp v19, v18 row_shr:2 row_mask:0xf bank_mask:0xf
	v_cndmask_b32_e64 v19, 0, v19, s[12:13]
	v_add_u32_e32 v18, v18, v19
	;; [unrolled: 4-line block ×4, first 2 shown]
	s_nop 1
	v_mov_b32_dpp v19, v18 row_bcast:15 row_mask:0xf bank_mask:0xf
	v_cndmask_b32_e64 v19, v19, 0, s[18:19]
	v_add_u32_e32 v18, v18, v19
	s_nop 1
	v_mov_b32_dpp v19, v18 row_bcast:31 row_mask:0xf bank_mask:0xf
	v_cndmask_b32_e64 v19, 0, v19, s[0:1]
	v_add_u32_e32 v18, v18, v19
	s_and_saveexec_b64 s[0:1], s[2:3]
	s_cbranch_execz .LBB491_241
; %bb.240:
	v_lshlrev_b32_e32 v19, 2, v32
	ds_write_b32 v19, v18
.LBB491_241:
	s_or_b64 exec, exec, s[0:1]
	v_cmp_gt_u32_e32 vcc, 2, v0
	s_waitcnt lgkmcnt(0)
	s_barrier
	s_and_saveexec_b64 s[0:1], vcc
	s_cbranch_execz .LBB491_243
; %bb.242:
	ds_read_b32 v19, v1
	v_bfe_i32 v20, v31, 0, 1
	s_waitcnt lgkmcnt(0)
	v_mov_b32_dpp v21, v19 row_shr:1 row_mask:0xf bank_mask:0xf
	v_and_b32_e32 v20, v20, v21
	v_add_u32_e32 v19, v20, v19
	ds_write_b32 v1, v19
.LBB491_243:
	s_or_b64 exec, exec, s[0:1]
	v_cmp_lt_u32_e32 vcc, 63, v0
	v_mov_b32_e32 v19, 0
	v_mov_b32_e32 v1, 0
	s_waitcnt lgkmcnt(0)
	s_barrier
	s_and_saveexec_b64 s[0:1], vcc
	s_cbranch_execz .LBB491_245
; %bb.244:
	v_lshl_add_u32 v1, v32, 2, -4
	ds_read_b32 v1, v1
.LBB491_245:
	s_or_b64 exec, exec, s[0:1]
	v_add_u32_e32 v20, -1, v31
	v_and_b32_e32 v21, 64, v31
	v_cmp_lt_i32_e32 vcc, v20, v21
	v_cndmask_b32_e32 v20, v20, v31, vcc
	s_waitcnt lgkmcnt(0)
	v_add_u32_e32 v18, v1, v18
	v_lshlrev_b32_e32 v20, 2, v20
	ds_read_b32 v19, v19 offset:4
	ds_bpermute_b32 v18, v20, v18
	s_mov_b32 s16, 0
	v_cmp_eq_u32_e32 vcc, 0, v0
	s_waitcnt lgkmcnt(1)
	v_readfirstlane_b32 s26, v19
	s_and_saveexec_b64 s[0:1], vcc
	s_cbranch_execz .LBB491_247
; %bb.246:
	v_mov_b32_e32 v19, 0
	v_mov_b32_e32 v20, s26
	;; [unrolled: 1-line block ×3, first 2 shown]
	global_store_dwordx2 v19, v[20:21], s[30:31] offset:512
.LBB491_247:
	s_or_b64 exec, exec, s[0:1]
	v_cmp_eq_u32_e64 s[0:1], 0, v31
	s_waitcnt lgkmcnt(0)
	v_cndmask_b32_e64 v1, v18, v1, s[0:1]
	v_cndmask_b32_e64 v24, v1, 0, vcc
	v_add_u32_sdwa v22, v24, v28 dst_sel:DWORD dst_unused:UNUSED_PAD src0_sel:DWORD src1_sel:BYTE_0
	v_add_u32_sdwa v20, v22, v28 dst_sel:DWORD dst_unused:UNUSED_PAD src0_sel:DWORD src1_sel:BYTE_1
	v_add_u32_e32 v18, v20, v30
	s_barrier
.LBB491_248:
	s_load_dwordx4 s[4:7], s[4:5], 0x28
	s_cmpk_lt_u32 s26, 0x81
	s_cselect_b64 s[2:3], -1, 0
	v_lshrrev_b32_e32 v1, 8, v28
	s_mov_b64 s[0:1], -1
	s_and_b64 vcc, exec, s[2:3]
	s_cbranch_vccz .LBB491_262
; %bb.249:
	s_add_i32 s8, s16, s26
	v_cmp_gt_u32_e32 vcc, s8, v24
	s_or_b64 s[10:11], s[34:35], vcc
	s_and_saveexec_b64 s[0:1], s[10:11]
	s_cbranch_execz .LBB491_252
; %bb.250:
	v_and_b32_e32 v19, 1, v28
	v_cmp_eq_u32_e32 vcc, 1, v19
	s_and_b64 exec, exec, vcc
	s_cbranch_execz .LBB491_252
; %bb.251:
	s_lshl_b64 s[10:11], s[22:23], 3
	s_waitcnt lgkmcnt(0)
	s_add_u32 s9, s4, s10
	v_mov_b32_e32 v25, 0
	s_addc_u32 s10, s5, s11
	v_lshlrev_b64 v[26:27], 3, v[24:25]
	v_mov_b32_e32 v19, s10
	v_add_co_u32_e32 v26, vcc, s9, v26
	v_addc_co_u32_e32 v27, vcc, v19, v27, vcc
	global_store_dwordx2 v[26:27], v[14:15], off
.LBB491_252:
	s_or_b64 exec, exec, s[0:1]
	v_cmp_gt_u32_e32 vcc, s8, v22
	s_or_b64 s[10:11], s[34:35], vcc
	s_and_saveexec_b64 s[0:1], s[10:11]
	s_cbranch_execz .LBB491_255
; %bb.253:
	v_and_b32_e32 v19, 1, v1
	v_cmp_eq_u32_e32 vcc, 1, v19
	s_and_b64 exec, exec, vcc
	s_cbranch_execz .LBB491_255
; %bb.254:
	s_lshl_b64 s[10:11], s[22:23], 3
	s_waitcnt lgkmcnt(0)
	s_add_u32 s9, s4, s10
	v_mov_b32_e32 v23, 0
	s_addc_u32 s10, s5, s11
	v_lshlrev_b64 v[26:27], 3, v[22:23]
	v_mov_b32_e32 v19, s10
	v_add_co_u32_e32 v26, vcc, s9, v26
	v_addc_co_u32_e32 v27, vcc, v19, v27, vcc
	global_store_dwordx2 v[26:27], v[16:17], off
.LBB491_255:
	s_or_b64 exec, exec, s[0:1]
	v_cmp_gt_u32_e32 vcc, s8, v20
	s_or_b64 s[10:11], s[34:35], vcc
	s_and_saveexec_b64 s[0:1], s[10:11]
	s_cbranch_execz .LBB491_258
; %bb.256:
	v_mov_b32_e32 v19, 1
	v_and_b32_sdwa v19, v19, v28 dst_sel:DWORD dst_unused:UNUSED_PAD src0_sel:DWORD src1_sel:WORD_1
	v_cmp_eq_u32_e32 vcc, 1, v19
	s_and_b64 exec, exec, vcc
	s_cbranch_execz .LBB491_258
; %bb.257:
	s_lshl_b64 s[10:11], s[22:23], 3
	s_waitcnt lgkmcnt(0)
	s_add_u32 s9, s4, s10
	v_mov_b32_e32 v21, 0
	s_addc_u32 s10, s5, s11
	v_lshlrev_b64 v[26:27], 3, v[20:21]
	v_mov_b32_e32 v19, s10
	v_add_co_u32_e32 v26, vcc, s9, v26
	v_addc_co_u32_e32 v27, vcc, v19, v27, vcc
	global_store_dwordx2 v[26:27], v[10:11], off
.LBB491_258:
	s_or_b64 exec, exec, s[0:1]
	v_cmp_gt_u32_e32 vcc, s8, v18
	s_or_b64 s[8:9], s[34:35], vcc
	s_and_saveexec_b64 s[0:1], s[8:9]
	s_cbranch_execz .LBB491_261
; %bb.259:
	v_and_b32_e32 v19, 1, v29
	v_cmp_eq_u32_e32 vcc, 1, v19
	s_and_b64 exec, exec, vcc
	s_cbranch_execz .LBB491_261
; %bb.260:
	s_lshl_b64 s[8:9], s[22:23], 3
	s_waitcnt lgkmcnt(0)
	s_add_u32 s8, s4, s8
	v_mov_b32_e32 v19, 0
	s_addc_u32 s9, s5, s9
	v_lshlrev_b64 v[26:27], 3, v[18:19]
	v_mov_b32_e32 v19, s9
	v_add_co_u32_e32 v26, vcc, s8, v26
	v_addc_co_u32_e32 v27, vcc, v19, v27, vcc
	global_store_dwordx2 v[26:27], v[12:13], off
.LBB491_261:
	s_or_b64 exec, exec, s[0:1]
	s_mov_b64 s[0:1], 0
.LBB491_262:
	v_and_b32_e32 v26, 1, v28
	s_and_b64 vcc, exec, s[0:1]
	v_cmp_eq_u32_e64 s[0:1], 1, v26
	s_cbranch_vccz .LBB491_275
; %bb.263:
	s_and_saveexec_b64 s[8:9], s[0:1]
	s_cbranch_execz .LBB491_265
; %bb.264:
	v_subrev_u32_e32 v19, s16, v24
	v_lshlrev_b32_e32 v19, 3, v19
	ds_write_b64 v19, v[14:15]
.LBB491_265:
	s_or_b64 exec, exec, s[8:9]
	v_and_b32_e32 v14, 1, v1
	v_cmp_eq_u32_e32 vcc, 1, v14
	s_and_saveexec_b64 s[0:1], vcc
	s_cbranch_execz .LBB491_267
; %bb.266:
	v_subrev_u32_e32 v14, s16, v22
	v_lshlrev_b32_e32 v14, 3, v14
	ds_write_b64 v14, v[16:17]
.LBB491_267:
	s_or_b64 exec, exec, s[0:1]
	v_mov_b32_e32 v14, 1
	v_and_b32_sdwa v14, v14, v28 dst_sel:DWORD dst_unused:UNUSED_PAD src0_sel:DWORD src1_sel:WORD_1
	v_cmp_eq_u32_e32 vcc, 1, v14
	s_and_saveexec_b64 s[0:1], vcc
	s_cbranch_execz .LBB491_269
; %bb.268:
	v_subrev_u32_e32 v14, s16, v20
	v_lshlrev_b32_e32 v14, 3, v14
	ds_write_b64 v14, v[10:11]
.LBB491_269:
	s_or_b64 exec, exec, s[0:1]
	v_and_b32_e32 v10, 1, v29
	v_cmp_eq_u32_e32 vcc, 1, v10
	s_and_saveexec_b64 s[0:1], vcc
	s_cbranch_execz .LBB491_271
; %bb.270:
	v_subrev_u32_e32 v10, s16, v18
	v_lshlrev_b32_e32 v10, 3, v10
	ds_write_b64 v10, v[12:13]
.LBB491_271:
	s_or_b64 exec, exec, s[0:1]
	v_cmp_gt_u32_e32 vcc, s26, v0
	s_waitcnt lgkmcnt(0)
	s_barrier
	s_and_saveexec_b64 s[0:1], vcc
	s_cbranch_execz .LBB491_274
; %bb.272:
	s_mov_b32 s17, 0
	s_lshl_b64 s[8:9], s[16:17], 3
	s_add_u32 s8, s4, s8
	s_addc_u32 s9, s5, s9
	s_lshl_b64 s[4:5], s[22:23], 3
	s_add_u32 s8, s8, s4
	s_addc_u32 s9, s9, s5
	v_lshlrev_b32_e32 v12, 3, v0
	s_mov_b64 s[4:5], 0
	v_mov_b32_e32 v11, 0
	v_mov_b32_e32 v13, s9
	;; [unrolled: 1-line block ×3, first 2 shown]
.LBB491_273:                            ; =>This Inner Loop Header: Depth=1
	ds_read_b64 v[14:15], v12
	v_lshlrev_b64 v[16:17], 3, v[10:11]
	v_add_co_u32_e32 v16, vcc, s8, v16
	v_add_u32_e32 v10, 0x80, v10
	v_addc_co_u32_e32 v17, vcc, v13, v17, vcc
	v_cmp_le_u32_e32 vcc, s26, v10
	v_add_u32_e32 v12, 0x400, v12
	s_or_b64 s[4:5], vcc, s[4:5]
	s_waitcnt lgkmcnt(0)
	global_store_dwordx2 v[16:17], v[14:15], off
	s_andn2_b64 exec, exec, s[4:5]
	s_cbranch_execnz .LBB491_273
.LBB491_274:
	s_or_b64 exec, exec, s[0:1]
.LBB491_275:
	s_mov_b64 s[0:1], -1
	s_and_b64 vcc, exec, s[2:3]
	s_waitcnt lgkmcnt(0)
	s_barrier
	s_cbranch_vccnz .LBB491_279
; %bb.276:
	s_and_b64 vcc, exec, s[0:1]
	s_cbranch_vccnz .LBB491_292
.LBB491_277:
	v_cmp_eq_u32_e32 vcc, 0, v0
	s_and_b64 s[0:1], vcc, s[24:25]
	s_and_saveexec_b64 s[2:3], s[0:1]
	s_cbranch_execnz .LBB491_304
.LBB491_278:
	s_endpgm
.LBB491_279:
	s_add_i32 s2, s16, s26
	v_cmp_gt_u32_e32 vcc, s2, v24
	s_or_b64 s[4:5], s[34:35], vcc
	s_and_saveexec_b64 s[0:1], s[4:5]
	s_cbranch_execz .LBB491_282
; %bb.280:
	v_cmp_eq_u32_e32 vcc, 1, v26
	s_and_b64 exec, exec, vcc
	s_cbranch_execz .LBB491_282
; %bb.281:
	s_lshl_b64 s[4:5], s[22:23], 3
	s_add_u32 s3, s6, s4
	v_mov_b32_e32 v25, 0
	s_addc_u32 s4, s7, s5
	v_lshlrev_b64 v[10:11], 3, v[24:25]
	v_mov_b32_e32 v12, s4
	v_add_co_u32_e32 v10, vcc, s3, v10
	v_addc_co_u32_e32 v11, vcc, v12, v11, vcc
	global_store_dwordx2 v[10:11], v[6:7], off
.LBB491_282:
	s_or_b64 exec, exec, s[0:1]
	v_cmp_gt_u32_e32 vcc, s2, v22
	s_or_b64 s[4:5], s[34:35], vcc
	s_and_saveexec_b64 s[0:1], s[4:5]
	s_cbranch_execz .LBB491_285
; %bb.283:
	v_and_b32_e32 v10, 1, v1
	v_cmp_eq_u32_e32 vcc, 1, v10
	s_and_b64 exec, exec, vcc
	s_cbranch_execz .LBB491_285
; %bb.284:
	s_lshl_b64 s[4:5], s[22:23], 3
	s_add_u32 s3, s6, s4
	v_mov_b32_e32 v23, 0
	s_addc_u32 s4, s7, s5
	v_lshlrev_b64 v[10:11], 3, v[22:23]
	v_mov_b32_e32 v12, s4
	v_add_co_u32_e32 v10, vcc, s3, v10
	v_addc_co_u32_e32 v11, vcc, v12, v11, vcc
	global_store_dwordx2 v[10:11], v[8:9], off
.LBB491_285:
	s_or_b64 exec, exec, s[0:1]
	v_cmp_gt_u32_e32 vcc, s2, v20
	s_or_b64 s[4:5], s[34:35], vcc
	s_and_saveexec_b64 s[0:1], s[4:5]
	s_cbranch_execz .LBB491_288
; %bb.286:
	v_mov_b32_e32 v10, 1
	v_and_b32_sdwa v10, v10, v28 dst_sel:DWORD dst_unused:UNUSED_PAD src0_sel:DWORD src1_sel:WORD_1
	v_cmp_eq_u32_e32 vcc, 1, v10
	s_and_b64 exec, exec, vcc
	s_cbranch_execz .LBB491_288
; %bb.287:
	s_lshl_b64 s[4:5], s[22:23], 3
	s_add_u32 s3, s6, s4
	v_mov_b32_e32 v21, 0
	s_addc_u32 s4, s7, s5
	v_lshlrev_b64 v[10:11], 3, v[20:21]
	v_mov_b32_e32 v12, s4
	v_add_co_u32_e32 v10, vcc, s3, v10
	v_addc_co_u32_e32 v11, vcc, v12, v11, vcc
	global_store_dwordx2 v[10:11], v[2:3], off
.LBB491_288:
	s_or_b64 exec, exec, s[0:1]
	v_cmp_gt_u32_e32 vcc, s2, v18
	s_or_b64 s[2:3], s[34:35], vcc
	s_and_saveexec_b64 s[0:1], s[2:3]
	s_cbranch_execz .LBB491_291
; %bb.289:
	v_and_b32_e32 v10, 1, v29
	v_cmp_eq_u32_e32 vcc, 1, v10
	s_and_b64 exec, exec, vcc
	s_cbranch_execz .LBB491_291
; %bb.290:
	s_lshl_b64 s[2:3], s[22:23], 3
	s_add_u32 s2, s6, s2
	v_mov_b32_e32 v19, 0
	s_addc_u32 s3, s7, s3
	v_lshlrev_b64 v[10:11], 3, v[18:19]
	v_mov_b32_e32 v12, s3
	v_add_co_u32_e32 v10, vcc, s2, v10
	v_addc_co_u32_e32 v11, vcc, v12, v11, vcc
	global_store_dwordx2 v[10:11], v[4:5], off
.LBB491_291:
	s_or_b64 exec, exec, s[0:1]
	s_branch .LBB491_277
.LBB491_292:
	v_cmp_eq_u32_e32 vcc, 1, v26
	s_and_saveexec_b64 s[0:1], vcc
	s_cbranch_execz .LBB491_294
; %bb.293:
	v_subrev_u32_e32 v10, s16, v24
	v_lshlrev_b32_e32 v10, 3, v10
	ds_write_b64 v10, v[6:7]
.LBB491_294:
	s_or_b64 exec, exec, s[0:1]
	v_and_b32_e32 v1, 1, v1
	v_cmp_eq_u32_e32 vcc, 1, v1
	s_and_saveexec_b64 s[0:1], vcc
	s_cbranch_execz .LBB491_296
; %bb.295:
	v_subrev_u32_e32 v1, s16, v22
	v_lshlrev_b32_e32 v1, 3, v1
	ds_write_b64 v1, v[8:9]
.LBB491_296:
	s_or_b64 exec, exec, s[0:1]
	v_mov_b32_e32 v1, 1
	v_and_b32_sdwa v1, v1, v28 dst_sel:DWORD dst_unused:UNUSED_PAD src0_sel:DWORD src1_sel:WORD_1
	v_cmp_eq_u32_e32 vcc, 1, v1
	s_and_saveexec_b64 s[0:1], vcc
	s_cbranch_execz .LBB491_298
; %bb.297:
	v_subrev_u32_e32 v1, s16, v20
	v_lshlrev_b32_e32 v1, 3, v1
	ds_write_b64 v1, v[2:3]
.LBB491_298:
	s_or_b64 exec, exec, s[0:1]
	v_and_b32_e32 v1, 1, v29
	v_cmp_eq_u32_e32 vcc, 1, v1
	s_and_saveexec_b64 s[0:1], vcc
	s_cbranch_execz .LBB491_300
; %bb.299:
	v_subrev_u32_e32 v1, s16, v18
	v_lshlrev_b32_e32 v1, 3, v1
	ds_write_b64 v1, v[4:5]
.LBB491_300:
	s_or_b64 exec, exec, s[0:1]
	v_cmp_gt_u32_e32 vcc, s26, v0
	s_waitcnt lgkmcnt(0)
	s_barrier
	s_and_saveexec_b64 s[0:1], vcc
	s_cbranch_execz .LBB491_303
; %bb.301:
	s_mov_b32 s17, 0
	s_lshl_b64 s[2:3], s[16:17], 3
	s_add_u32 s4, s6, s2
	s_addc_u32 s5, s7, s3
	s_lshl_b64 s[2:3], s[22:23], 3
	s_add_u32 s4, s4, s2
	s_addc_u32 s5, s5, s3
	v_lshlrev_b32_e32 v1, 3, v0
	s_mov_b64 s[2:3], 0
	v_mov_b32_e32 v3, 0
	v_mov_b32_e32 v4, s5
	;; [unrolled: 1-line block ×3, first 2 shown]
.LBB491_302:                            ; =>This Inner Loop Header: Depth=1
	ds_read_b64 v[6:7], v1
	v_lshlrev_b64 v[8:9], 3, v[2:3]
	v_add_co_u32_e32 v8, vcc, s4, v8
	v_add_u32_e32 v2, 0x80, v2
	v_addc_co_u32_e32 v9, vcc, v4, v9, vcc
	v_cmp_le_u32_e32 vcc, s26, v2
	v_add_u32_e32 v1, 0x400, v1
	s_or_b64 s[2:3], vcc, s[2:3]
	s_waitcnt lgkmcnt(0)
	global_store_dwordx2 v[8:9], v[6:7], off
	s_andn2_b64 exec, exec, s[2:3]
	s_cbranch_execnz .LBB491_302
.LBB491_303:
	s_or_b64 exec, exec, s[0:1]
	v_cmp_eq_u32_e32 vcc, 0, v0
	s_and_b64 s[0:1], vcc, s[24:25]
	s_and_saveexec_b64 s[2:3], s[0:1]
	s_cbranch_execz .LBB491_278
.LBB491_304:
	s_add_u32 s0, s22, s26
	s_addc_u32 s1, s23, 0
	s_add_u32 s0, s0, s16
	s_addc_u32 s1, s1, 0
	v_mov_b32_e32 v2, 0
	v_pk_mov_b32 v[0:1], s[0:1], s[0:1] op_sel:[0,1]
	global_store_dwordx2 v2, v[0:1], s[20:21]
	s_endpgm
	.section	.rodata,"a",@progbits
	.p2align	6, 0x0
	.amdhsa_kernel _ZN7rocprim17ROCPRIM_400000_NS6detail17trampoline_kernelINS0_14default_configENS1_25partition_config_selectorILNS1_17partition_subalgoE9EllbEEZZNS1_14partition_implILS5_9ELb0ES3_jPlS8_PNS0_10empty_typeENS0_5tupleIJS8_S9_EEENSB_IJS8_SA_EEENS0_18inequality_wrapperIZN2at6native12_GLOBAL__N_124unique_dim_cuda_templateIiEESt5tupleIJNSF_6TensorESK_SK_EERKSK_lbbbEUlllE0_EEPmJS9_EEE10hipError_tPvRmT3_T4_T5_T6_T7_T9_mT8_P12ihipStream_tbDpT10_ENKUlT_T0_E_clISt17integral_constantIbLb1EES19_IbLb0EEEEDaS15_S16_EUlS15_E_NS1_11comp_targetILNS1_3genE4ELNS1_11target_archE910ELNS1_3gpuE8ELNS1_3repE0EEENS1_30default_config_static_selectorELNS0_4arch9wavefront6targetE1EEEvT1_
		.amdhsa_group_segment_fixed_size 4236
		.amdhsa_private_segment_fixed_size 0
		.amdhsa_kernarg_size 120
		.amdhsa_user_sgpr_count 6
		.amdhsa_user_sgpr_private_segment_buffer 1
		.amdhsa_user_sgpr_dispatch_ptr 0
		.amdhsa_user_sgpr_queue_ptr 0
		.amdhsa_user_sgpr_kernarg_segment_ptr 1
		.amdhsa_user_sgpr_dispatch_id 0
		.amdhsa_user_sgpr_flat_scratch_init 0
		.amdhsa_user_sgpr_kernarg_preload_length 0
		.amdhsa_user_sgpr_kernarg_preload_offset 0
		.amdhsa_user_sgpr_private_segment_size 0
		.amdhsa_uses_dynamic_stack 0
		.amdhsa_system_sgpr_private_segment_wavefront_offset 0
		.amdhsa_system_sgpr_workgroup_id_x 1
		.amdhsa_system_sgpr_workgroup_id_y 0
		.amdhsa_system_sgpr_workgroup_id_z 0
		.amdhsa_system_sgpr_workgroup_info 0
		.amdhsa_system_vgpr_workitem_id 0
		.amdhsa_next_free_vgpr 50
		.amdhsa_next_free_sgpr 46
		.amdhsa_accum_offset 52
		.amdhsa_reserve_vcc 1
		.amdhsa_reserve_flat_scratch 0
		.amdhsa_float_round_mode_32 0
		.amdhsa_float_round_mode_16_64 0
		.amdhsa_float_denorm_mode_32 3
		.amdhsa_float_denorm_mode_16_64 3
		.amdhsa_dx10_clamp 1
		.amdhsa_ieee_mode 1
		.amdhsa_fp16_overflow 0
		.amdhsa_tg_split 0
		.amdhsa_exception_fp_ieee_invalid_op 0
		.amdhsa_exception_fp_denorm_src 0
		.amdhsa_exception_fp_ieee_div_zero 0
		.amdhsa_exception_fp_ieee_overflow 0
		.amdhsa_exception_fp_ieee_underflow 0
		.amdhsa_exception_fp_ieee_inexact 0
		.amdhsa_exception_int_div_zero 0
	.end_amdhsa_kernel
	.section	.text._ZN7rocprim17ROCPRIM_400000_NS6detail17trampoline_kernelINS0_14default_configENS1_25partition_config_selectorILNS1_17partition_subalgoE9EllbEEZZNS1_14partition_implILS5_9ELb0ES3_jPlS8_PNS0_10empty_typeENS0_5tupleIJS8_S9_EEENSB_IJS8_SA_EEENS0_18inequality_wrapperIZN2at6native12_GLOBAL__N_124unique_dim_cuda_templateIiEESt5tupleIJNSF_6TensorESK_SK_EERKSK_lbbbEUlllE0_EEPmJS9_EEE10hipError_tPvRmT3_T4_T5_T6_T7_T9_mT8_P12ihipStream_tbDpT10_ENKUlT_T0_E_clISt17integral_constantIbLb1EES19_IbLb0EEEEDaS15_S16_EUlS15_E_NS1_11comp_targetILNS1_3genE4ELNS1_11target_archE910ELNS1_3gpuE8ELNS1_3repE0EEENS1_30default_config_static_selectorELNS0_4arch9wavefront6targetE1EEEvT1_,"axG",@progbits,_ZN7rocprim17ROCPRIM_400000_NS6detail17trampoline_kernelINS0_14default_configENS1_25partition_config_selectorILNS1_17partition_subalgoE9EllbEEZZNS1_14partition_implILS5_9ELb0ES3_jPlS8_PNS0_10empty_typeENS0_5tupleIJS8_S9_EEENSB_IJS8_SA_EEENS0_18inequality_wrapperIZN2at6native12_GLOBAL__N_124unique_dim_cuda_templateIiEESt5tupleIJNSF_6TensorESK_SK_EERKSK_lbbbEUlllE0_EEPmJS9_EEE10hipError_tPvRmT3_T4_T5_T6_T7_T9_mT8_P12ihipStream_tbDpT10_ENKUlT_T0_E_clISt17integral_constantIbLb1EES19_IbLb0EEEEDaS15_S16_EUlS15_E_NS1_11comp_targetILNS1_3genE4ELNS1_11target_archE910ELNS1_3gpuE8ELNS1_3repE0EEENS1_30default_config_static_selectorELNS0_4arch9wavefront6targetE1EEEvT1_,comdat
.Lfunc_end491:
	.size	_ZN7rocprim17ROCPRIM_400000_NS6detail17trampoline_kernelINS0_14default_configENS1_25partition_config_selectorILNS1_17partition_subalgoE9EllbEEZZNS1_14partition_implILS5_9ELb0ES3_jPlS8_PNS0_10empty_typeENS0_5tupleIJS8_S9_EEENSB_IJS8_SA_EEENS0_18inequality_wrapperIZN2at6native12_GLOBAL__N_124unique_dim_cuda_templateIiEESt5tupleIJNSF_6TensorESK_SK_EERKSK_lbbbEUlllE0_EEPmJS9_EEE10hipError_tPvRmT3_T4_T5_T6_T7_T9_mT8_P12ihipStream_tbDpT10_ENKUlT_T0_E_clISt17integral_constantIbLb1EES19_IbLb0EEEEDaS15_S16_EUlS15_E_NS1_11comp_targetILNS1_3genE4ELNS1_11target_archE910ELNS1_3gpuE8ELNS1_3repE0EEENS1_30default_config_static_selectorELNS0_4arch9wavefront6targetE1EEEvT1_, .Lfunc_end491-_ZN7rocprim17ROCPRIM_400000_NS6detail17trampoline_kernelINS0_14default_configENS1_25partition_config_selectorILNS1_17partition_subalgoE9EllbEEZZNS1_14partition_implILS5_9ELb0ES3_jPlS8_PNS0_10empty_typeENS0_5tupleIJS8_S9_EEENSB_IJS8_SA_EEENS0_18inequality_wrapperIZN2at6native12_GLOBAL__N_124unique_dim_cuda_templateIiEESt5tupleIJNSF_6TensorESK_SK_EERKSK_lbbbEUlllE0_EEPmJS9_EEE10hipError_tPvRmT3_T4_T5_T6_T7_T9_mT8_P12ihipStream_tbDpT10_ENKUlT_T0_E_clISt17integral_constantIbLb1EES19_IbLb0EEEEDaS15_S16_EUlS15_E_NS1_11comp_targetILNS1_3genE4ELNS1_11target_archE910ELNS1_3gpuE8ELNS1_3repE0EEENS1_30default_config_static_selectorELNS0_4arch9wavefront6targetE1EEEvT1_
                                        ; -- End function
	.section	.AMDGPU.csdata,"",@progbits
; Kernel info:
; codeLenInByte = 10876
; NumSgprs: 50
; NumVgprs: 50
; NumAgprs: 0
; TotalNumVgprs: 50
; ScratchSize: 0
; MemoryBound: 0
; FloatMode: 240
; IeeeMode: 1
; LDSByteSize: 4236 bytes/workgroup (compile time only)
; SGPRBlocks: 6
; VGPRBlocks: 6
; NumSGPRsForWavesPerEU: 50
; NumVGPRsForWavesPerEU: 50
; AccumOffset: 52
; Occupancy: 8
; WaveLimiterHint : 1
; COMPUTE_PGM_RSRC2:SCRATCH_EN: 0
; COMPUTE_PGM_RSRC2:USER_SGPR: 6
; COMPUTE_PGM_RSRC2:TRAP_HANDLER: 0
; COMPUTE_PGM_RSRC2:TGID_X_EN: 1
; COMPUTE_PGM_RSRC2:TGID_Y_EN: 0
; COMPUTE_PGM_RSRC2:TGID_Z_EN: 0
; COMPUTE_PGM_RSRC2:TIDIG_COMP_CNT: 0
; COMPUTE_PGM_RSRC3_GFX90A:ACCUM_OFFSET: 12
; COMPUTE_PGM_RSRC3_GFX90A:TG_SPLIT: 0
	.section	.text._ZN7rocprim17ROCPRIM_400000_NS6detail17trampoline_kernelINS0_14default_configENS1_25partition_config_selectorILNS1_17partition_subalgoE9EllbEEZZNS1_14partition_implILS5_9ELb0ES3_jPlS8_PNS0_10empty_typeENS0_5tupleIJS8_S9_EEENSB_IJS8_SA_EEENS0_18inequality_wrapperIZN2at6native12_GLOBAL__N_124unique_dim_cuda_templateIiEESt5tupleIJNSF_6TensorESK_SK_EERKSK_lbbbEUlllE0_EEPmJS9_EEE10hipError_tPvRmT3_T4_T5_T6_T7_T9_mT8_P12ihipStream_tbDpT10_ENKUlT_T0_E_clISt17integral_constantIbLb1EES19_IbLb0EEEEDaS15_S16_EUlS15_E_NS1_11comp_targetILNS1_3genE3ELNS1_11target_archE908ELNS1_3gpuE7ELNS1_3repE0EEENS1_30default_config_static_selectorELNS0_4arch9wavefront6targetE1EEEvT1_,"axG",@progbits,_ZN7rocprim17ROCPRIM_400000_NS6detail17trampoline_kernelINS0_14default_configENS1_25partition_config_selectorILNS1_17partition_subalgoE9EllbEEZZNS1_14partition_implILS5_9ELb0ES3_jPlS8_PNS0_10empty_typeENS0_5tupleIJS8_S9_EEENSB_IJS8_SA_EEENS0_18inequality_wrapperIZN2at6native12_GLOBAL__N_124unique_dim_cuda_templateIiEESt5tupleIJNSF_6TensorESK_SK_EERKSK_lbbbEUlllE0_EEPmJS9_EEE10hipError_tPvRmT3_T4_T5_T6_T7_T9_mT8_P12ihipStream_tbDpT10_ENKUlT_T0_E_clISt17integral_constantIbLb1EES19_IbLb0EEEEDaS15_S16_EUlS15_E_NS1_11comp_targetILNS1_3genE3ELNS1_11target_archE908ELNS1_3gpuE7ELNS1_3repE0EEENS1_30default_config_static_selectorELNS0_4arch9wavefront6targetE1EEEvT1_,comdat
	.globl	_ZN7rocprim17ROCPRIM_400000_NS6detail17trampoline_kernelINS0_14default_configENS1_25partition_config_selectorILNS1_17partition_subalgoE9EllbEEZZNS1_14partition_implILS5_9ELb0ES3_jPlS8_PNS0_10empty_typeENS0_5tupleIJS8_S9_EEENSB_IJS8_SA_EEENS0_18inequality_wrapperIZN2at6native12_GLOBAL__N_124unique_dim_cuda_templateIiEESt5tupleIJNSF_6TensorESK_SK_EERKSK_lbbbEUlllE0_EEPmJS9_EEE10hipError_tPvRmT3_T4_T5_T6_T7_T9_mT8_P12ihipStream_tbDpT10_ENKUlT_T0_E_clISt17integral_constantIbLb1EES19_IbLb0EEEEDaS15_S16_EUlS15_E_NS1_11comp_targetILNS1_3genE3ELNS1_11target_archE908ELNS1_3gpuE7ELNS1_3repE0EEENS1_30default_config_static_selectorELNS0_4arch9wavefront6targetE1EEEvT1_ ; -- Begin function _ZN7rocprim17ROCPRIM_400000_NS6detail17trampoline_kernelINS0_14default_configENS1_25partition_config_selectorILNS1_17partition_subalgoE9EllbEEZZNS1_14partition_implILS5_9ELb0ES3_jPlS8_PNS0_10empty_typeENS0_5tupleIJS8_S9_EEENSB_IJS8_SA_EEENS0_18inequality_wrapperIZN2at6native12_GLOBAL__N_124unique_dim_cuda_templateIiEESt5tupleIJNSF_6TensorESK_SK_EERKSK_lbbbEUlllE0_EEPmJS9_EEE10hipError_tPvRmT3_T4_T5_T6_T7_T9_mT8_P12ihipStream_tbDpT10_ENKUlT_T0_E_clISt17integral_constantIbLb1EES19_IbLb0EEEEDaS15_S16_EUlS15_E_NS1_11comp_targetILNS1_3genE3ELNS1_11target_archE908ELNS1_3gpuE7ELNS1_3repE0EEENS1_30default_config_static_selectorELNS0_4arch9wavefront6targetE1EEEvT1_
	.p2align	8
	.type	_ZN7rocprim17ROCPRIM_400000_NS6detail17trampoline_kernelINS0_14default_configENS1_25partition_config_selectorILNS1_17partition_subalgoE9EllbEEZZNS1_14partition_implILS5_9ELb0ES3_jPlS8_PNS0_10empty_typeENS0_5tupleIJS8_S9_EEENSB_IJS8_SA_EEENS0_18inequality_wrapperIZN2at6native12_GLOBAL__N_124unique_dim_cuda_templateIiEESt5tupleIJNSF_6TensorESK_SK_EERKSK_lbbbEUlllE0_EEPmJS9_EEE10hipError_tPvRmT3_T4_T5_T6_T7_T9_mT8_P12ihipStream_tbDpT10_ENKUlT_T0_E_clISt17integral_constantIbLb1EES19_IbLb0EEEEDaS15_S16_EUlS15_E_NS1_11comp_targetILNS1_3genE3ELNS1_11target_archE908ELNS1_3gpuE7ELNS1_3repE0EEENS1_30default_config_static_selectorELNS0_4arch9wavefront6targetE1EEEvT1_,@function
_ZN7rocprim17ROCPRIM_400000_NS6detail17trampoline_kernelINS0_14default_configENS1_25partition_config_selectorILNS1_17partition_subalgoE9EllbEEZZNS1_14partition_implILS5_9ELb0ES3_jPlS8_PNS0_10empty_typeENS0_5tupleIJS8_S9_EEENSB_IJS8_SA_EEENS0_18inequality_wrapperIZN2at6native12_GLOBAL__N_124unique_dim_cuda_templateIiEESt5tupleIJNSF_6TensorESK_SK_EERKSK_lbbbEUlllE0_EEPmJS9_EEE10hipError_tPvRmT3_T4_T5_T6_T7_T9_mT8_P12ihipStream_tbDpT10_ENKUlT_T0_E_clISt17integral_constantIbLb1EES19_IbLb0EEEEDaS15_S16_EUlS15_E_NS1_11comp_targetILNS1_3genE3ELNS1_11target_archE908ELNS1_3gpuE7ELNS1_3repE0EEENS1_30default_config_static_selectorELNS0_4arch9wavefront6targetE1EEEvT1_: ; @_ZN7rocprim17ROCPRIM_400000_NS6detail17trampoline_kernelINS0_14default_configENS1_25partition_config_selectorILNS1_17partition_subalgoE9EllbEEZZNS1_14partition_implILS5_9ELb0ES3_jPlS8_PNS0_10empty_typeENS0_5tupleIJS8_S9_EEENSB_IJS8_SA_EEENS0_18inequality_wrapperIZN2at6native12_GLOBAL__N_124unique_dim_cuda_templateIiEESt5tupleIJNSF_6TensorESK_SK_EERKSK_lbbbEUlllE0_EEPmJS9_EEE10hipError_tPvRmT3_T4_T5_T6_T7_T9_mT8_P12ihipStream_tbDpT10_ENKUlT_T0_E_clISt17integral_constantIbLb1EES19_IbLb0EEEEDaS15_S16_EUlS15_E_NS1_11comp_targetILNS1_3genE3ELNS1_11target_archE908ELNS1_3gpuE7ELNS1_3repE0EEENS1_30default_config_static_selectorELNS0_4arch9wavefront6targetE1EEEvT1_
; %bb.0:
	.section	.rodata,"a",@progbits
	.p2align	6, 0x0
	.amdhsa_kernel _ZN7rocprim17ROCPRIM_400000_NS6detail17trampoline_kernelINS0_14default_configENS1_25partition_config_selectorILNS1_17partition_subalgoE9EllbEEZZNS1_14partition_implILS5_9ELb0ES3_jPlS8_PNS0_10empty_typeENS0_5tupleIJS8_S9_EEENSB_IJS8_SA_EEENS0_18inequality_wrapperIZN2at6native12_GLOBAL__N_124unique_dim_cuda_templateIiEESt5tupleIJNSF_6TensorESK_SK_EERKSK_lbbbEUlllE0_EEPmJS9_EEE10hipError_tPvRmT3_T4_T5_T6_T7_T9_mT8_P12ihipStream_tbDpT10_ENKUlT_T0_E_clISt17integral_constantIbLb1EES19_IbLb0EEEEDaS15_S16_EUlS15_E_NS1_11comp_targetILNS1_3genE3ELNS1_11target_archE908ELNS1_3gpuE7ELNS1_3repE0EEENS1_30default_config_static_selectorELNS0_4arch9wavefront6targetE1EEEvT1_
		.amdhsa_group_segment_fixed_size 0
		.amdhsa_private_segment_fixed_size 0
		.amdhsa_kernarg_size 120
		.amdhsa_user_sgpr_count 6
		.amdhsa_user_sgpr_private_segment_buffer 1
		.amdhsa_user_sgpr_dispatch_ptr 0
		.amdhsa_user_sgpr_queue_ptr 0
		.amdhsa_user_sgpr_kernarg_segment_ptr 1
		.amdhsa_user_sgpr_dispatch_id 0
		.amdhsa_user_sgpr_flat_scratch_init 0
		.amdhsa_user_sgpr_kernarg_preload_length 0
		.amdhsa_user_sgpr_kernarg_preload_offset 0
		.amdhsa_user_sgpr_private_segment_size 0
		.amdhsa_uses_dynamic_stack 0
		.amdhsa_system_sgpr_private_segment_wavefront_offset 0
		.amdhsa_system_sgpr_workgroup_id_x 1
		.amdhsa_system_sgpr_workgroup_id_y 0
		.amdhsa_system_sgpr_workgroup_id_z 0
		.amdhsa_system_sgpr_workgroup_info 0
		.amdhsa_system_vgpr_workitem_id 0
		.amdhsa_next_free_vgpr 1
		.amdhsa_next_free_sgpr 0
		.amdhsa_accum_offset 4
		.amdhsa_reserve_vcc 0
		.amdhsa_reserve_flat_scratch 0
		.amdhsa_float_round_mode_32 0
		.amdhsa_float_round_mode_16_64 0
		.amdhsa_float_denorm_mode_32 3
		.amdhsa_float_denorm_mode_16_64 3
		.amdhsa_dx10_clamp 1
		.amdhsa_ieee_mode 1
		.amdhsa_fp16_overflow 0
		.amdhsa_tg_split 0
		.amdhsa_exception_fp_ieee_invalid_op 0
		.amdhsa_exception_fp_denorm_src 0
		.amdhsa_exception_fp_ieee_div_zero 0
		.amdhsa_exception_fp_ieee_overflow 0
		.amdhsa_exception_fp_ieee_underflow 0
		.amdhsa_exception_fp_ieee_inexact 0
		.amdhsa_exception_int_div_zero 0
	.end_amdhsa_kernel
	.section	.text._ZN7rocprim17ROCPRIM_400000_NS6detail17trampoline_kernelINS0_14default_configENS1_25partition_config_selectorILNS1_17partition_subalgoE9EllbEEZZNS1_14partition_implILS5_9ELb0ES3_jPlS8_PNS0_10empty_typeENS0_5tupleIJS8_S9_EEENSB_IJS8_SA_EEENS0_18inequality_wrapperIZN2at6native12_GLOBAL__N_124unique_dim_cuda_templateIiEESt5tupleIJNSF_6TensorESK_SK_EERKSK_lbbbEUlllE0_EEPmJS9_EEE10hipError_tPvRmT3_T4_T5_T6_T7_T9_mT8_P12ihipStream_tbDpT10_ENKUlT_T0_E_clISt17integral_constantIbLb1EES19_IbLb0EEEEDaS15_S16_EUlS15_E_NS1_11comp_targetILNS1_3genE3ELNS1_11target_archE908ELNS1_3gpuE7ELNS1_3repE0EEENS1_30default_config_static_selectorELNS0_4arch9wavefront6targetE1EEEvT1_,"axG",@progbits,_ZN7rocprim17ROCPRIM_400000_NS6detail17trampoline_kernelINS0_14default_configENS1_25partition_config_selectorILNS1_17partition_subalgoE9EllbEEZZNS1_14partition_implILS5_9ELb0ES3_jPlS8_PNS0_10empty_typeENS0_5tupleIJS8_S9_EEENSB_IJS8_SA_EEENS0_18inequality_wrapperIZN2at6native12_GLOBAL__N_124unique_dim_cuda_templateIiEESt5tupleIJNSF_6TensorESK_SK_EERKSK_lbbbEUlllE0_EEPmJS9_EEE10hipError_tPvRmT3_T4_T5_T6_T7_T9_mT8_P12ihipStream_tbDpT10_ENKUlT_T0_E_clISt17integral_constantIbLb1EES19_IbLb0EEEEDaS15_S16_EUlS15_E_NS1_11comp_targetILNS1_3genE3ELNS1_11target_archE908ELNS1_3gpuE7ELNS1_3repE0EEENS1_30default_config_static_selectorELNS0_4arch9wavefront6targetE1EEEvT1_,comdat
.Lfunc_end492:
	.size	_ZN7rocprim17ROCPRIM_400000_NS6detail17trampoline_kernelINS0_14default_configENS1_25partition_config_selectorILNS1_17partition_subalgoE9EllbEEZZNS1_14partition_implILS5_9ELb0ES3_jPlS8_PNS0_10empty_typeENS0_5tupleIJS8_S9_EEENSB_IJS8_SA_EEENS0_18inequality_wrapperIZN2at6native12_GLOBAL__N_124unique_dim_cuda_templateIiEESt5tupleIJNSF_6TensorESK_SK_EERKSK_lbbbEUlllE0_EEPmJS9_EEE10hipError_tPvRmT3_T4_T5_T6_T7_T9_mT8_P12ihipStream_tbDpT10_ENKUlT_T0_E_clISt17integral_constantIbLb1EES19_IbLb0EEEEDaS15_S16_EUlS15_E_NS1_11comp_targetILNS1_3genE3ELNS1_11target_archE908ELNS1_3gpuE7ELNS1_3repE0EEENS1_30default_config_static_selectorELNS0_4arch9wavefront6targetE1EEEvT1_, .Lfunc_end492-_ZN7rocprim17ROCPRIM_400000_NS6detail17trampoline_kernelINS0_14default_configENS1_25partition_config_selectorILNS1_17partition_subalgoE9EllbEEZZNS1_14partition_implILS5_9ELb0ES3_jPlS8_PNS0_10empty_typeENS0_5tupleIJS8_S9_EEENSB_IJS8_SA_EEENS0_18inequality_wrapperIZN2at6native12_GLOBAL__N_124unique_dim_cuda_templateIiEESt5tupleIJNSF_6TensorESK_SK_EERKSK_lbbbEUlllE0_EEPmJS9_EEE10hipError_tPvRmT3_T4_T5_T6_T7_T9_mT8_P12ihipStream_tbDpT10_ENKUlT_T0_E_clISt17integral_constantIbLb1EES19_IbLb0EEEEDaS15_S16_EUlS15_E_NS1_11comp_targetILNS1_3genE3ELNS1_11target_archE908ELNS1_3gpuE7ELNS1_3repE0EEENS1_30default_config_static_selectorELNS0_4arch9wavefront6targetE1EEEvT1_
                                        ; -- End function
	.section	.AMDGPU.csdata,"",@progbits
; Kernel info:
; codeLenInByte = 0
; NumSgprs: 4
; NumVgprs: 0
; NumAgprs: 0
; TotalNumVgprs: 0
; ScratchSize: 0
; MemoryBound: 0
; FloatMode: 240
; IeeeMode: 1
; LDSByteSize: 0 bytes/workgroup (compile time only)
; SGPRBlocks: 0
; VGPRBlocks: 0
; NumSGPRsForWavesPerEU: 4
; NumVGPRsForWavesPerEU: 1
; AccumOffset: 4
; Occupancy: 8
; WaveLimiterHint : 0
; COMPUTE_PGM_RSRC2:SCRATCH_EN: 0
; COMPUTE_PGM_RSRC2:USER_SGPR: 6
; COMPUTE_PGM_RSRC2:TRAP_HANDLER: 0
; COMPUTE_PGM_RSRC2:TGID_X_EN: 1
; COMPUTE_PGM_RSRC2:TGID_Y_EN: 0
; COMPUTE_PGM_RSRC2:TGID_Z_EN: 0
; COMPUTE_PGM_RSRC2:TIDIG_COMP_CNT: 0
; COMPUTE_PGM_RSRC3_GFX90A:ACCUM_OFFSET: 0
; COMPUTE_PGM_RSRC3_GFX90A:TG_SPLIT: 0
	.section	.text._ZN7rocprim17ROCPRIM_400000_NS6detail17trampoline_kernelINS0_14default_configENS1_25partition_config_selectorILNS1_17partition_subalgoE9EllbEEZZNS1_14partition_implILS5_9ELb0ES3_jPlS8_PNS0_10empty_typeENS0_5tupleIJS8_S9_EEENSB_IJS8_SA_EEENS0_18inequality_wrapperIZN2at6native12_GLOBAL__N_124unique_dim_cuda_templateIiEESt5tupleIJNSF_6TensorESK_SK_EERKSK_lbbbEUlllE0_EEPmJS9_EEE10hipError_tPvRmT3_T4_T5_T6_T7_T9_mT8_P12ihipStream_tbDpT10_ENKUlT_T0_E_clISt17integral_constantIbLb1EES19_IbLb0EEEEDaS15_S16_EUlS15_E_NS1_11comp_targetILNS1_3genE2ELNS1_11target_archE906ELNS1_3gpuE6ELNS1_3repE0EEENS1_30default_config_static_selectorELNS0_4arch9wavefront6targetE1EEEvT1_,"axG",@progbits,_ZN7rocprim17ROCPRIM_400000_NS6detail17trampoline_kernelINS0_14default_configENS1_25partition_config_selectorILNS1_17partition_subalgoE9EllbEEZZNS1_14partition_implILS5_9ELb0ES3_jPlS8_PNS0_10empty_typeENS0_5tupleIJS8_S9_EEENSB_IJS8_SA_EEENS0_18inequality_wrapperIZN2at6native12_GLOBAL__N_124unique_dim_cuda_templateIiEESt5tupleIJNSF_6TensorESK_SK_EERKSK_lbbbEUlllE0_EEPmJS9_EEE10hipError_tPvRmT3_T4_T5_T6_T7_T9_mT8_P12ihipStream_tbDpT10_ENKUlT_T0_E_clISt17integral_constantIbLb1EES19_IbLb0EEEEDaS15_S16_EUlS15_E_NS1_11comp_targetILNS1_3genE2ELNS1_11target_archE906ELNS1_3gpuE6ELNS1_3repE0EEENS1_30default_config_static_selectorELNS0_4arch9wavefront6targetE1EEEvT1_,comdat
	.globl	_ZN7rocprim17ROCPRIM_400000_NS6detail17trampoline_kernelINS0_14default_configENS1_25partition_config_selectorILNS1_17partition_subalgoE9EllbEEZZNS1_14partition_implILS5_9ELb0ES3_jPlS8_PNS0_10empty_typeENS0_5tupleIJS8_S9_EEENSB_IJS8_SA_EEENS0_18inequality_wrapperIZN2at6native12_GLOBAL__N_124unique_dim_cuda_templateIiEESt5tupleIJNSF_6TensorESK_SK_EERKSK_lbbbEUlllE0_EEPmJS9_EEE10hipError_tPvRmT3_T4_T5_T6_T7_T9_mT8_P12ihipStream_tbDpT10_ENKUlT_T0_E_clISt17integral_constantIbLb1EES19_IbLb0EEEEDaS15_S16_EUlS15_E_NS1_11comp_targetILNS1_3genE2ELNS1_11target_archE906ELNS1_3gpuE6ELNS1_3repE0EEENS1_30default_config_static_selectorELNS0_4arch9wavefront6targetE1EEEvT1_ ; -- Begin function _ZN7rocprim17ROCPRIM_400000_NS6detail17trampoline_kernelINS0_14default_configENS1_25partition_config_selectorILNS1_17partition_subalgoE9EllbEEZZNS1_14partition_implILS5_9ELb0ES3_jPlS8_PNS0_10empty_typeENS0_5tupleIJS8_S9_EEENSB_IJS8_SA_EEENS0_18inequality_wrapperIZN2at6native12_GLOBAL__N_124unique_dim_cuda_templateIiEESt5tupleIJNSF_6TensorESK_SK_EERKSK_lbbbEUlllE0_EEPmJS9_EEE10hipError_tPvRmT3_T4_T5_T6_T7_T9_mT8_P12ihipStream_tbDpT10_ENKUlT_T0_E_clISt17integral_constantIbLb1EES19_IbLb0EEEEDaS15_S16_EUlS15_E_NS1_11comp_targetILNS1_3genE2ELNS1_11target_archE906ELNS1_3gpuE6ELNS1_3repE0EEENS1_30default_config_static_selectorELNS0_4arch9wavefront6targetE1EEEvT1_
	.p2align	8
	.type	_ZN7rocprim17ROCPRIM_400000_NS6detail17trampoline_kernelINS0_14default_configENS1_25partition_config_selectorILNS1_17partition_subalgoE9EllbEEZZNS1_14partition_implILS5_9ELb0ES3_jPlS8_PNS0_10empty_typeENS0_5tupleIJS8_S9_EEENSB_IJS8_SA_EEENS0_18inequality_wrapperIZN2at6native12_GLOBAL__N_124unique_dim_cuda_templateIiEESt5tupleIJNSF_6TensorESK_SK_EERKSK_lbbbEUlllE0_EEPmJS9_EEE10hipError_tPvRmT3_T4_T5_T6_T7_T9_mT8_P12ihipStream_tbDpT10_ENKUlT_T0_E_clISt17integral_constantIbLb1EES19_IbLb0EEEEDaS15_S16_EUlS15_E_NS1_11comp_targetILNS1_3genE2ELNS1_11target_archE906ELNS1_3gpuE6ELNS1_3repE0EEENS1_30default_config_static_selectorELNS0_4arch9wavefront6targetE1EEEvT1_,@function
_ZN7rocprim17ROCPRIM_400000_NS6detail17trampoline_kernelINS0_14default_configENS1_25partition_config_selectorILNS1_17partition_subalgoE9EllbEEZZNS1_14partition_implILS5_9ELb0ES3_jPlS8_PNS0_10empty_typeENS0_5tupleIJS8_S9_EEENSB_IJS8_SA_EEENS0_18inequality_wrapperIZN2at6native12_GLOBAL__N_124unique_dim_cuda_templateIiEESt5tupleIJNSF_6TensorESK_SK_EERKSK_lbbbEUlllE0_EEPmJS9_EEE10hipError_tPvRmT3_T4_T5_T6_T7_T9_mT8_P12ihipStream_tbDpT10_ENKUlT_T0_E_clISt17integral_constantIbLb1EES19_IbLb0EEEEDaS15_S16_EUlS15_E_NS1_11comp_targetILNS1_3genE2ELNS1_11target_archE906ELNS1_3gpuE6ELNS1_3repE0EEENS1_30default_config_static_selectorELNS0_4arch9wavefront6targetE1EEEvT1_: ; @_ZN7rocprim17ROCPRIM_400000_NS6detail17trampoline_kernelINS0_14default_configENS1_25partition_config_selectorILNS1_17partition_subalgoE9EllbEEZZNS1_14partition_implILS5_9ELb0ES3_jPlS8_PNS0_10empty_typeENS0_5tupleIJS8_S9_EEENSB_IJS8_SA_EEENS0_18inequality_wrapperIZN2at6native12_GLOBAL__N_124unique_dim_cuda_templateIiEESt5tupleIJNSF_6TensorESK_SK_EERKSK_lbbbEUlllE0_EEPmJS9_EEE10hipError_tPvRmT3_T4_T5_T6_T7_T9_mT8_P12ihipStream_tbDpT10_ENKUlT_T0_E_clISt17integral_constantIbLb1EES19_IbLb0EEEEDaS15_S16_EUlS15_E_NS1_11comp_targetILNS1_3genE2ELNS1_11target_archE906ELNS1_3gpuE6ELNS1_3repE0EEENS1_30default_config_static_selectorELNS0_4arch9wavefront6targetE1EEEvT1_
; %bb.0:
	.section	.rodata,"a",@progbits
	.p2align	6, 0x0
	.amdhsa_kernel _ZN7rocprim17ROCPRIM_400000_NS6detail17trampoline_kernelINS0_14default_configENS1_25partition_config_selectorILNS1_17partition_subalgoE9EllbEEZZNS1_14partition_implILS5_9ELb0ES3_jPlS8_PNS0_10empty_typeENS0_5tupleIJS8_S9_EEENSB_IJS8_SA_EEENS0_18inequality_wrapperIZN2at6native12_GLOBAL__N_124unique_dim_cuda_templateIiEESt5tupleIJNSF_6TensorESK_SK_EERKSK_lbbbEUlllE0_EEPmJS9_EEE10hipError_tPvRmT3_T4_T5_T6_T7_T9_mT8_P12ihipStream_tbDpT10_ENKUlT_T0_E_clISt17integral_constantIbLb1EES19_IbLb0EEEEDaS15_S16_EUlS15_E_NS1_11comp_targetILNS1_3genE2ELNS1_11target_archE906ELNS1_3gpuE6ELNS1_3repE0EEENS1_30default_config_static_selectorELNS0_4arch9wavefront6targetE1EEEvT1_
		.amdhsa_group_segment_fixed_size 0
		.amdhsa_private_segment_fixed_size 0
		.amdhsa_kernarg_size 120
		.amdhsa_user_sgpr_count 6
		.amdhsa_user_sgpr_private_segment_buffer 1
		.amdhsa_user_sgpr_dispatch_ptr 0
		.amdhsa_user_sgpr_queue_ptr 0
		.amdhsa_user_sgpr_kernarg_segment_ptr 1
		.amdhsa_user_sgpr_dispatch_id 0
		.amdhsa_user_sgpr_flat_scratch_init 0
		.amdhsa_user_sgpr_kernarg_preload_length 0
		.amdhsa_user_sgpr_kernarg_preload_offset 0
		.amdhsa_user_sgpr_private_segment_size 0
		.amdhsa_uses_dynamic_stack 0
		.amdhsa_system_sgpr_private_segment_wavefront_offset 0
		.amdhsa_system_sgpr_workgroup_id_x 1
		.amdhsa_system_sgpr_workgroup_id_y 0
		.amdhsa_system_sgpr_workgroup_id_z 0
		.amdhsa_system_sgpr_workgroup_info 0
		.amdhsa_system_vgpr_workitem_id 0
		.amdhsa_next_free_vgpr 1
		.amdhsa_next_free_sgpr 0
		.amdhsa_accum_offset 4
		.amdhsa_reserve_vcc 0
		.amdhsa_reserve_flat_scratch 0
		.amdhsa_float_round_mode_32 0
		.amdhsa_float_round_mode_16_64 0
		.amdhsa_float_denorm_mode_32 3
		.amdhsa_float_denorm_mode_16_64 3
		.amdhsa_dx10_clamp 1
		.amdhsa_ieee_mode 1
		.amdhsa_fp16_overflow 0
		.amdhsa_tg_split 0
		.amdhsa_exception_fp_ieee_invalid_op 0
		.amdhsa_exception_fp_denorm_src 0
		.amdhsa_exception_fp_ieee_div_zero 0
		.amdhsa_exception_fp_ieee_overflow 0
		.amdhsa_exception_fp_ieee_underflow 0
		.amdhsa_exception_fp_ieee_inexact 0
		.amdhsa_exception_int_div_zero 0
	.end_amdhsa_kernel
	.section	.text._ZN7rocprim17ROCPRIM_400000_NS6detail17trampoline_kernelINS0_14default_configENS1_25partition_config_selectorILNS1_17partition_subalgoE9EllbEEZZNS1_14partition_implILS5_9ELb0ES3_jPlS8_PNS0_10empty_typeENS0_5tupleIJS8_S9_EEENSB_IJS8_SA_EEENS0_18inequality_wrapperIZN2at6native12_GLOBAL__N_124unique_dim_cuda_templateIiEESt5tupleIJNSF_6TensorESK_SK_EERKSK_lbbbEUlllE0_EEPmJS9_EEE10hipError_tPvRmT3_T4_T5_T6_T7_T9_mT8_P12ihipStream_tbDpT10_ENKUlT_T0_E_clISt17integral_constantIbLb1EES19_IbLb0EEEEDaS15_S16_EUlS15_E_NS1_11comp_targetILNS1_3genE2ELNS1_11target_archE906ELNS1_3gpuE6ELNS1_3repE0EEENS1_30default_config_static_selectorELNS0_4arch9wavefront6targetE1EEEvT1_,"axG",@progbits,_ZN7rocprim17ROCPRIM_400000_NS6detail17trampoline_kernelINS0_14default_configENS1_25partition_config_selectorILNS1_17partition_subalgoE9EllbEEZZNS1_14partition_implILS5_9ELb0ES3_jPlS8_PNS0_10empty_typeENS0_5tupleIJS8_S9_EEENSB_IJS8_SA_EEENS0_18inequality_wrapperIZN2at6native12_GLOBAL__N_124unique_dim_cuda_templateIiEESt5tupleIJNSF_6TensorESK_SK_EERKSK_lbbbEUlllE0_EEPmJS9_EEE10hipError_tPvRmT3_T4_T5_T6_T7_T9_mT8_P12ihipStream_tbDpT10_ENKUlT_T0_E_clISt17integral_constantIbLb1EES19_IbLb0EEEEDaS15_S16_EUlS15_E_NS1_11comp_targetILNS1_3genE2ELNS1_11target_archE906ELNS1_3gpuE6ELNS1_3repE0EEENS1_30default_config_static_selectorELNS0_4arch9wavefront6targetE1EEEvT1_,comdat
.Lfunc_end493:
	.size	_ZN7rocprim17ROCPRIM_400000_NS6detail17trampoline_kernelINS0_14default_configENS1_25partition_config_selectorILNS1_17partition_subalgoE9EllbEEZZNS1_14partition_implILS5_9ELb0ES3_jPlS8_PNS0_10empty_typeENS0_5tupleIJS8_S9_EEENSB_IJS8_SA_EEENS0_18inequality_wrapperIZN2at6native12_GLOBAL__N_124unique_dim_cuda_templateIiEESt5tupleIJNSF_6TensorESK_SK_EERKSK_lbbbEUlllE0_EEPmJS9_EEE10hipError_tPvRmT3_T4_T5_T6_T7_T9_mT8_P12ihipStream_tbDpT10_ENKUlT_T0_E_clISt17integral_constantIbLb1EES19_IbLb0EEEEDaS15_S16_EUlS15_E_NS1_11comp_targetILNS1_3genE2ELNS1_11target_archE906ELNS1_3gpuE6ELNS1_3repE0EEENS1_30default_config_static_selectorELNS0_4arch9wavefront6targetE1EEEvT1_, .Lfunc_end493-_ZN7rocprim17ROCPRIM_400000_NS6detail17trampoline_kernelINS0_14default_configENS1_25partition_config_selectorILNS1_17partition_subalgoE9EllbEEZZNS1_14partition_implILS5_9ELb0ES3_jPlS8_PNS0_10empty_typeENS0_5tupleIJS8_S9_EEENSB_IJS8_SA_EEENS0_18inequality_wrapperIZN2at6native12_GLOBAL__N_124unique_dim_cuda_templateIiEESt5tupleIJNSF_6TensorESK_SK_EERKSK_lbbbEUlllE0_EEPmJS9_EEE10hipError_tPvRmT3_T4_T5_T6_T7_T9_mT8_P12ihipStream_tbDpT10_ENKUlT_T0_E_clISt17integral_constantIbLb1EES19_IbLb0EEEEDaS15_S16_EUlS15_E_NS1_11comp_targetILNS1_3genE2ELNS1_11target_archE906ELNS1_3gpuE6ELNS1_3repE0EEENS1_30default_config_static_selectorELNS0_4arch9wavefront6targetE1EEEvT1_
                                        ; -- End function
	.section	.AMDGPU.csdata,"",@progbits
; Kernel info:
; codeLenInByte = 0
; NumSgprs: 4
; NumVgprs: 0
; NumAgprs: 0
; TotalNumVgprs: 0
; ScratchSize: 0
; MemoryBound: 0
; FloatMode: 240
; IeeeMode: 1
; LDSByteSize: 0 bytes/workgroup (compile time only)
; SGPRBlocks: 0
; VGPRBlocks: 0
; NumSGPRsForWavesPerEU: 4
; NumVGPRsForWavesPerEU: 1
; AccumOffset: 4
; Occupancy: 8
; WaveLimiterHint : 0
; COMPUTE_PGM_RSRC2:SCRATCH_EN: 0
; COMPUTE_PGM_RSRC2:USER_SGPR: 6
; COMPUTE_PGM_RSRC2:TRAP_HANDLER: 0
; COMPUTE_PGM_RSRC2:TGID_X_EN: 1
; COMPUTE_PGM_RSRC2:TGID_Y_EN: 0
; COMPUTE_PGM_RSRC2:TGID_Z_EN: 0
; COMPUTE_PGM_RSRC2:TIDIG_COMP_CNT: 0
; COMPUTE_PGM_RSRC3_GFX90A:ACCUM_OFFSET: 0
; COMPUTE_PGM_RSRC3_GFX90A:TG_SPLIT: 0
	.section	.text._ZN7rocprim17ROCPRIM_400000_NS6detail17trampoline_kernelINS0_14default_configENS1_25partition_config_selectorILNS1_17partition_subalgoE9EllbEEZZNS1_14partition_implILS5_9ELb0ES3_jPlS8_PNS0_10empty_typeENS0_5tupleIJS8_S9_EEENSB_IJS8_SA_EEENS0_18inequality_wrapperIZN2at6native12_GLOBAL__N_124unique_dim_cuda_templateIiEESt5tupleIJNSF_6TensorESK_SK_EERKSK_lbbbEUlllE0_EEPmJS9_EEE10hipError_tPvRmT3_T4_T5_T6_T7_T9_mT8_P12ihipStream_tbDpT10_ENKUlT_T0_E_clISt17integral_constantIbLb1EES19_IbLb0EEEEDaS15_S16_EUlS15_E_NS1_11comp_targetILNS1_3genE10ELNS1_11target_archE1200ELNS1_3gpuE4ELNS1_3repE0EEENS1_30default_config_static_selectorELNS0_4arch9wavefront6targetE1EEEvT1_,"axG",@progbits,_ZN7rocprim17ROCPRIM_400000_NS6detail17trampoline_kernelINS0_14default_configENS1_25partition_config_selectorILNS1_17partition_subalgoE9EllbEEZZNS1_14partition_implILS5_9ELb0ES3_jPlS8_PNS0_10empty_typeENS0_5tupleIJS8_S9_EEENSB_IJS8_SA_EEENS0_18inequality_wrapperIZN2at6native12_GLOBAL__N_124unique_dim_cuda_templateIiEESt5tupleIJNSF_6TensorESK_SK_EERKSK_lbbbEUlllE0_EEPmJS9_EEE10hipError_tPvRmT3_T4_T5_T6_T7_T9_mT8_P12ihipStream_tbDpT10_ENKUlT_T0_E_clISt17integral_constantIbLb1EES19_IbLb0EEEEDaS15_S16_EUlS15_E_NS1_11comp_targetILNS1_3genE10ELNS1_11target_archE1200ELNS1_3gpuE4ELNS1_3repE0EEENS1_30default_config_static_selectorELNS0_4arch9wavefront6targetE1EEEvT1_,comdat
	.globl	_ZN7rocprim17ROCPRIM_400000_NS6detail17trampoline_kernelINS0_14default_configENS1_25partition_config_selectorILNS1_17partition_subalgoE9EllbEEZZNS1_14partition_implILS5_9ELb0ES3_jPlS8_PNS0_10empty_typeENS0_5tupleIJS8_S9_EEENSB_IJS8_SA_EEENS0_18inequality_wrapperIZN2at6native12_GLOBAL__N_124unique_dim_cuda_templateIiEESt5tupleIJNSF_6TensorESK_SK_EERKSK_lbbbEUlllE0_EEPmJS9_EEE10hipError_tPvRmT3_T4_T5_T6_T7_T9_mT8_P12ihipStream_tbDpT10_ENKUlT_T0_E_clISt17integral_constantIbLb1EES19_IbLb0EEEEDaS15_S16_EUlS15_E_NS1_11comp_targetILNS1_3genE10ELNS1_11target_archE1200ELNS1_3gpuE4ELNS1_3repE0EEENS1_30default_config_static_selectorELNS0_4arch9wavefront6targetE1EEEvT1_ ; -- Begin function _ZN7rocprim17ROCPRIM_400000_NS6detail17trampoline_kernelINS0_14default_configENS1_25partition_config_selectorILNS1_17partition_subalgoE9EllbEEZZNS1_14partition_implILS5_9ELb0ES3_jPlS8_PNS0_10empty_typeENS0_5tupleIJS8_S9_EEENSB_IJS8_SA_EEENS0_18inequality_wrapperIZN2at6native12_GLOBAL__N_124unique_dim_cuda_templateIiEESt5tupleIJNSF_6TensorESK_SK_EERKSK_lbbbEUlllE0_EEPmJS9_EEE10hipError_tPvRmT3_T4_T5_T6_T7_T9_mT8_P12ihipStream_tbDpT10_ENKUlT_T0_E_clISt17integral_constantIbLb1EES19_IbLb0EEEEDaS15_S16_EUlS15_E_NS1_11comp_targetILNS1_3genE10ELNS1_11target_archE1200ELNS1_3gpuE4ELNS1_3repE0EEENS1_30default_config_static_selectorELNS0_4arch9wavefront6targetE1EEEvT1_
	.p2align	8
	.type	_ZN7rocprim17ROCPRIM_400000_NS6detail17trampoline_kernelINS0_14default_configENS1_25partition_config_selectorILNS1_17partition_subalgoE9EllbEEZZNS1_14partition_implILS5_9ELb0ES3_jPlS8_PNS0_10empty_typeENS0_5tupleIJS8_S9_EEENSB_IJS8_SA_EEENS0_18inequality_wrapperIZN2at6native12_GLOBAL__N_124unique_dim_cuda_templateIiEESt5tupleIJNSF_6TensorESK_SK_EERKSK_lbbbEUlllE0_EEPmJS9_EEE10hipError_tPvRmT3_T4_T5_T6_T7_T9_mT8_P12ihipStream_tbDpT10_ENKUlT_T0_E_clISt17integral_constantIbLb1EES19_IbLb0EEEEDaS15_S16_EUlS15_E_NS1_11comp_targetILNS1_3genE10ELNS1_11target_archE1200ELNS1_3gpuE4ELNS1_3repE0EEENS1_30default_config_static_selectorELNS0_4arch9wavefront6targetE1EEEvT1_,@function
_ZN7rocprim17ROCPRIM_400000_NS6detail17trampoline_kernelINS0_14default_configENS1_25partition_config_selectorILNS1_17partition_subalgoE9EllbEEZZNS1_14partition_implILS5_9ELb0ES3_jPlS8_PNS0_10empty_typeENS0_5tupleIJS8_S9_EEENSB_IJS8_SA_EEENS0_18inequality_wrapperIZN2at6native12_GLOBAL__N_124unique_dim_cuda_templateIiEESt5tupleIJNSF_6TensorESK_SK_EERKSK_lbbbEUlllE0_EEPmJS9_EEE10hipError_tPvRmT3_T4_T5_T6_T7_T9_mT8_P12ihipStream_tbDpT10_ENKUlT_T0_E_clISt17integral_constantIbLb1EES19_IbLb0EEEEDaS15_S16_EUlS15_E_NS1_11comp_targetILNS1_3genE10ELNS1_11target_archE1200ELNS1_3gpuE4ELNS1_3repE0EEENS1_30default_config_static_selectorELNS0_4arch9wavefront6targetE1EEEvT1_: ; @_ZN7rocprim17ROCPRIM_400000_NS6detail17trampoline_kernelINS0_14default_configENS1_25partition_config_selectorILNS1_17partition_subalgoE9EllbEEZZNS1_14partition_implILS5_9ELb0ES3_jPlS8_PNS0_10empty_typeENS0_5tupleIJS8_S9_EEENSB_IJS8_SA_EEENS0_18inequality_wrapperIZN2at6native12_GLOBAL__N_124unique_dim_cuda_templateIiEESt5tupleIJNSF_6TensorESK_SK_EERKSK_lbbbEUlllE0_EEPmJS9_EEE10hipError_tPvRmT3_T4_T5_T6_T7_T9_mT8_P12ihipStream_tbDpT10_ENKUlT_T0_E_clISt17integral_constantIbLb1EES19_IbLb0EEEEDaS15_S16_EUlS15_E_NS1_11comp_targetILNS1_3genE10ELNS1_11target_archE1200ELNS1_3gpuE4ELNS1_3repE0EEENS1_30default_config_static_selectorELNS0_4arch9wavefront6targetE1EEEvT1_
; %bb.0:
	.section	.rodata,"a",@progbits
	.p2align	6, 0x0
	.amdhsa_kernel _ZN7rocprim17ROCPRIM_400000_NS6detail17trampoline_kernelINS0_14default_configENS1_25partition_config_selectorILNS1_17partition_subalgoE9EllbEEZZNS1_14partition_implILS5_9ELb0ES3_jPlS8_PNS0_10empty_typeENS0_5tupleIJS8_S9_EEENSB_IJS8_SA_EEENS0_18inequality_wrapperIZN2at6native12_GLOBAL__N_124unique_dim_cuda_templateIiEESt5tupleIJNSF_6TensorESK_SK_EERKSK_lbbbEUlllE0_EEPmJS9_EEE10hipError_tPvRmT3_T4_T5_T6_T7_T9_mT8_P12ihipStream_tbDpT10_ENKUlT_T0_E_clISt17integral_constantIbLb1EES19_IbLb0EEEEDaS15_S16_EUlS15_E_NS1_11comp_targetILNS1_3genE10ELNS1_11target_archE1200ELNS1_3gpuE4ELNS1_3repE0EEENS1_30default_config_static_selectorELNS0_4arch9wavefront6targetE1EEEvT1_
		.amdhsa_group_segment_fixed_size 0
		.amdhsa_private_segment_fixed_size 0
		.amdhsa_kernarg_size 120
		.amdhsa_user_sgpr_count 6
		.amdhsa_user_sgpr_private_segment_buffer 1
		.amdhsa_user_sgpr_dispatch_ptr 0
		.amdhsa_user_sgpr_queue_ptr 0
		.amdhsa_user_sgpr_kernarg_segment_ptr 1
		.amdhsa_user_sgpr_dispatch_id 0
		.amdhsa_user_sgpr_flat_scratch_init 0
		.amdhsa_user_sgpr_kernarg_preload_length 0
		.amdhsa_user_sgpr_kernarg_preload_offset 0
		.amdhsa_user_sgpr_private_segment_size 0
		.amdhsa_uses_dynamic_stack 0
		.amdhsa_system_sgpr_private_segment_wavefront_offset 0
		.amdhsa_system_sgpr_workgroup_id_x 1
		.amdhsa_system_sgpr_workgroup_id_y 0
		.amdhsa_system_sgpr_workgroup_id_z 0
		.amdhsa_system_sgpr_workgroup_info 0
		.amdhsa_system_vgpr_workitem_id 0
		.amdhsa_next_free_vgpr 1
		.amdhsa_next_free_sgpr 0
		.amdhsa_accum_offset 4
		.amdhsa_reserve_vcc 0
		.amdhsa_reserve_flat_scratch 0
		.amdhsa_float_round_mode_32 0
		.amdhsa_float_round_mode_16_64 0
		.amdhsa_float_denorm_mode_32 3
		.amdhsa_float_denorm_mode_16_64 3
		.amdhsa_dx10_clamp 1
		.amdhsa_ieee_mode 1
		.amdhsa_fp16_overflow 0
		.amdhsa_tg_split 0
		.amdhsa_exception_fp_ieee_invalid_op 0
		.amdhsa_exception_fp_denorm_src 0
		.amdhsa_exception_fp_ieee_div_zero 0
		.amdhsa_exception_fp_ieee_overflow 0
		.amdhsa_exception_fp_ieee_underflow 0
		.amdhsa_exception_fp_ieee_inexact 0
		.amdhsa_exception_int_div_zero 0
	.end_amdhsa_kernel
	.section	.text._ZN7rocprim17ROCPRIM_400000_NS6detail17trampoline_kernelINS0_14default_configENS1_25partition_config_selectorILNS1_17partition_subalgoE9EllbEEZZNS1_14partition_implILS5_9ELb0ES3_jPlS8_PNS0_10empty_typeENS0_5tupleIJS8_S9_EEENSB_IJS8_SA_EEENS0_18inequality_wrapperIZN2at6native12_GLOBAL__N_124unique_dim_cuda_templateIiEESt5tupleIJNSF_6TensorESK_SK_EERKSK_lbbbEUlllE0_EEPmJS9_EEE10hipError_tPvRmT3_T4_T5_T6_T7_T9_mT8_P12ihipStream_tbDpT10_ENKUlT_T0_E_clISt17integral_constantIbLb1EES19_IbLb0EEEEDaS15_S16_EUlS15_E_NS1_11comp_targetILNS1_3genE10ELNS1_11target_archE1200ELNS1_3gpuE4ELNS1_3repE0EEENS1_30default_config_static_selectorELNS0_4arch9wavefront6targetE1EEEvT1_,"axG",@progbits,_ZN7rocprim17ROCPRIM_400000_NS6detail17trampoline_kernelINS0_14default_configENS1_25partition_config_selectorILNS1_17partition_subalgoE9EllbEEZZNS1_14partition_implILS5_9ELb0ES3_jPlS8_PNS0_10empty_typeENS0_5tupleIJS8_S9_EEENSB_IJS8_SA_EEENS0_18inequality_wrapperIZN2at6native12_GLOBAL__N_124unique_dim_cuda_templateIiEESt5tupleIJNSF_6TensorESK_SK_EERKSK_lbbbEUlllE0_EEPmJS9_EEE10hipError_tPvRmT3_T4_T5_T6_T7_T9_mT8_P12ihipStream_tbDpT10_ENKUlT_T0_E_clISt17integral_constantIbLb1EES19_IbLb0EEEEDaS15_S16_EUlS15_E_NS1_11comp_targetILNS1_3genE10ELNS1_11target_archE1200ELNS1_3gpuE4ELNS1_3repE0EEENS1_30default_config_static_selectorELNS0_4arch9wavefront6targetE1EEEvT1_,comdat
.Lfunc_end494:
	.size	_ZN7rocprim17ROCPRIM_400000_NS6detail17trampoline_kernelINS0_14default_configENS1_25partition_config_selectorILNS1_17partition_subalgoE9EllbEEZZNS1_14partition_implILS5_9ELb0ES3_jPlS8_PNS0_10empty_typeENS0_5tupleIJS8_S9_EEENSB_IJS8_SA_EEENS0_18inequality_wrapperIZN2at6native12_GLOBAL__N_124unique_dim_cuda_templateIiEESt5tupleIJNSF_6TensorESK_SK_EERKSK_lbbbEUlllE0_EEPmJS9_EEE10hipError_tPvRmT3_T4_T5_T6_T7_T9_mT8_P12ihipStream_tbDpT10_ENKUlT_T0_E_clISt17integral_constantIbLb1EES19_IbLb0EEEEDaS15_S16_EUlS15_E_NS1_11comp_targetILNS1_3genE10ELNS1_11target_archE1200ELNS1_3gpuE4ELNS1_3repE0EEENS1_30default_config_static_selectorELNS0_4arch9wavefront6targetE1EEEvT1_, .Lfunc_end494-_ZN7rocprim17ROCPRIM_400000_NS6detail17trampoline_kernelINS0_14default_configENS1_25partition_config_selectorILNS1_17partition_subalgoE9EllbEEZZNS1_14partition_implILS5_9ELb0ES3_jPlS8_PNS0_10empty_typeENS0_5tupleIJS8_S9_EEENSB_IJS8_SA_EEENS0_18inequality_wrapperIZN2at6native12_GLOBAL__N_124unique_dim_cuda_templateIiEESt5tupleIJNSF_6TensorESK_SK_EERKSK_lbbbEUlllE0_EEPmJS9_EEE10hipError_tPvRmT3_T4_T5_T6_T7_T9_mT8_P12ihipStream_tbDpT10_ENKUlT_T0_E_clISt17integral_constantIbLb1EES19_IbLb0EEEEDaS15_S16_EUlS15_E_NS1_11comp_targetILNS1_3genE10ELNS1_11target_archE1200ELNS1_3gpuE4ELNS1_3repE0EEENS1_30default_config_static_selectorELNS0_4arch9wavefront6targetE1EEEvT1_
                                        ; -- End function
	.section	.AMDGPU.csdata,"",@progbits
; Kernel info:
; codeLenInByte = 0
; NumSgprs: 4
; NumVgprs: 0
; NumAgprs: 0
; TotalNumVgprs: 0
; ScratchSize: 0
; MemoryBound: 0
; FloatMode: 240
; IeeeMode: 1
; LDSByteSize: 0 bytes/workgroup (compile time only)
; SGPRBlocks: 0
; VGPRBlocks: 0
; NumSGPRsForWavesPerEU: 4
; NumVGPRsForWavesPerEU: 1
; AccumOffset: 4
; Occupancy: 8
; WaveLimiterHint : 0
; COMPUTE_PGM_RSRC2:SCRATCH_EN: 0
; COMPUTE_PGM_RSRC2:USER_SGPR: 6
; COMPUTE_PGM_RSRC2:TRAP_HANDLER: 0
; COMPUTE_PGM_RSRC2:TGID_X_EN: 1
; COMPUTE_PGM_RSRC2:TGID_Y_EN: 0
; COMPUTE_PGM_RSRC2:TGID_Z_EN: 0
; COMPUTE_PGM_RSRC2:TIDIG_COMP_CNT: 0
; COMPUTE_PGM_RSRC3_GFX90A:ACCUM_OFFSET: 0
; COMPUTE_PGM_RSRC3_GFX90A:TG_SPLIT: 0
	.section	.text._ZN7rocprim17ROCPRIM_400000_NS6detail17trampoline_kernelINS0_14default_configENS1_25partition_config_selectorILNS1_17partition_subalgoE9EllbEEZZNS1_14partition_implILS5_9ELb0ES3_jPlS8_PNS0_10empty_typeENS0_5tupleIJS8_S9_EEENSB_IJS8_SA_EEENS0_18inequality_wrapperIZN2at6native12_GLOBAL__N_124unique_dim_cuda_templateIiEESt5tupleIJNSF_6TensorESK_SK_EERKSK_lbbbEUlllE0_EEPmJS9_EEE10hipError_tPvRmT3_T4_T5_T6_T7_T9_mT8_P12ihipStream_tbDpT10_ENKUlT_T0_E_clISt17integral_constantIbLb1EES19_IbLb0EEEEDaS15_S16_EUlS15_E_NS1_11comp_targetILNS1_3genE9ELNS1_11target_archE1100ELNS1_3gpuE3ELNS1_3repE0EEENS1_30default_config_static_selectorELNS0_4arch9wavefront6targetE1EEEvT1_,"axG",@progbits,_ZN7rocprim17ROCPRIM_400000_NS6detail17trampoline_kernelINS0_14default_configENS1_25partition_config_selectorILNS1_17partition_subalgoE9EllbEEZZNS1_14partition_implILS5_9ELb0ES3_jPlS8_PNS0_10empty_typeENS0_5tupleIJS8_S9_EEENSB_IJS8_SA_EEENS0_18inequality_wrapperIZN2at6native12_GLOBAL__N_124unique_dim_cuda_templateIiEESt5tupleIJNSF_6TensorESK_SK_EERKSK_lbbbEUlllE0_EEPmJS9_EEE10hipError_tPvRmT3_T4_T5_T6_T7_T9_mT8_P12ihipStream_tbDpT10_ENKUlT_T0_E_clISt17integral_constantIbLb1EES19_IbLb0EEEEDaS15_S16_EUlS15_E_NS1_11comp_targetILNS1_3genE9ELNS1_11target_archE1100ELNS1_3gpuE3ELNS1_3repE0EEENS1_30default_config_static_selectorELNS0_4arch9wavefront6targetE1EEEvT1_,comdat
	.globl	_ZN7rocprim17ROCPRIM_400000_NS6detail17trampoline_kernelINS0_14default_configENS1_25partition_config_selectorILNS1_17partition_subalgoE9EllbEEZZNS1_14partition_implILS5_9ELb0ES3_jPlS8_PNS0_10empty_typeENS0_5tupleIJS8_S9_EEENSB_IJS8_SA_EEENS0_18inequality_wrapperIZN2at6native12_GLOBAL__N_124unique_dim_cuda_templateIiEESt5tupleIJNSF_6TensorESK_SK_EERKSK_lbbbEUlllE0_EEPmJS9_EEE10hipError_tPvRmT3_T4_T5_T6_T7_T9_mT8_P12ihipStream_tbDpT10_ENKUlT_T0_E_clISt17integral_constantIbLb1EES19_IbLb0EEEEDaS15_S16_EUlS15_E_NS1_11comp_targetILNS1_3genE9ELNS1_11target_archE1100ELNS1_3gpuE3ELNS1_3repE0EEENS1_30default_config_static_selectorELNS0_4arch9wavefront6targetE1EEEvT1_ ; -- Begin function _ZN7rocprim17ROCPRIM_400000_NS6detail17trampoline_kernelINS0_14default_configENS1_25partition_config_selectorILNS1_17partition_subalgoE9EllbEEZZNS1_14partition_implILS5_9ELb0ES3_jPlS8_PNS0_10empty_typeENS0_5tupleIJS8_S9_EEENSB_IJS8_SA_EEENS0_18inequality_wrapperIZN2at6native12_GLOBAL__N_124unique_dim_cuda_templateIiEESt5tupleIJNSF_6TensorESK_SK_EERKSK_lbbbEUlllE0_EEPmJS9_EEE10hipError_tPvRmT3_T4_T5_T6_T7_T9_mT8_P12ihipStream_tbDpT10_ENKUlT_T0_E_clISt17integral_constantIbLb1EES19_IbLb0EEEEDaS15_S16_EUlS15_E_NS1_11comp_targetILNS1_3genE9ELNS1_11target_archE1100ELNS1_3gpuE3ELNS1_3repE0EEENS1_30default_config_static_selectorELNS0_4arch9wavefront6targetE1EEEvT1_
	.p2align	8
	.type	_ZN7rocprim17ROCPRIM_400000_NS6detail17trampoline_kernelINS0_14default_configENS1_25partition_config_selectorILNS1_17partition_subalgoE9EllbEEZZNS1_14partition_implILS5_9ELb0ES3_jPlS8_PNS0_10empty_typeENS0_5tupleIJS8_S9_EEENSB_IJS8_SA_EEENS0_18inequality_wrapperIZN2at6native12_GLOBAL__N_124unique_dim_cuda_templateIiEESt5tupleIJNSF_6TensorESK_SK_EERKSK_lbbbEUlllE0_EEPmJS9_EEE10hipError_tPvRmT3_T4_T5_T6_T7_T9_mT8_P12ihipStream_tbDpT10_ENKUlT_T0_E_clISt17integral_constantIbLb1EES19_IbLb0EEEEDaS15_S16_EUlS15_E_NS1_11comp_targetILNS1_3genE9ELNS1_11target_archE1100ELNS1_3gpuE3ELNS1_3repE0EEENS1_30default_config_static_selectorELNS0_4arch9wavefront6targetE1EEEvT1_,@function
_ZN7rocprim17ROCPRIM_400000_NS6detail17trampoline_kernelINS0_14default_configENS1_25partition_config_selectorILNS1_17partition_subalgoE9EllbEEZZNS1_14partition_implILS5_9ELb0ES3_jPlS8_PNS0_10empty_typeENS0_5tupleIJS8_S9_EEENSB_IJS8_SA_EEENS0_18inequality_wrapperIZN2at6native12_GLOBAL__N_124unique_dim_cuda_templateIiEESt5tupleIJNSF_6TensorESK_SK_EERKSK_lbbbEUlllE0_EEPmJS9_EEE10hipError_tPvRmT3_T4_T5_T6_T7_T9_mT8_P12ihipStream_tbDpT10_ENKUlT_T0_E_clISt17integral_constantIbLb1EES19_IbLb0EEEEDaS15_S16_EUlS15_E_NS1_11comp_targetILNS1_3genE9ELNS1_11target_archE1100ELNS1_3gpuE3ELNS1_3repE0EEENS1_30default_config_static_selectorELNS0_4arch9wavefront6targetE1EEEvT1_: ; @_ZN7rocprim17ROCPRIM_400000_NS6detail17trampoline_kernelINS0_14default_configENS1_25partition_config_selectorILNS1_17partition_subalgoE9EllbEEZZNS1_14partition_implILS5_9ELb0ES3_jPlS8_PNS0_10empty_typeENS0_5tupleIJS8_S9_EEENSB_IJS8_SA_EEENS0_18inequality_wrapperIZN2at6native12_GLOBAL__N_124unique_dim_cuda_templateIiEESt5tupleIJNSF_6TensorESK_SK_EERKSK_lbbbEUlllE0_EEPmJS9_EEE10hipError_tPvRmT3_T4_T5_T6_T7_T9_mT8_P12ihipStream_tbDpT10_ENKUlT_T0_E_clISt17integral_constantIbLb1EES19_IbLb0EEEEDaS15_S16_EUlS15_E_NS1_11comp_targetILNS1_3genE9ELNS1_11target_archE1100ELNS1_3gpuE3ELNS1_3repE0EEENS1_30default_config_static_selectorELNS0_4arch9wavefront6targetE1EEEvT1_
; %bb.0:
	.section	.rodata,"a",@progbits
	.p2align	6, 0x0
	.amdhsa_kernel _ZN7rocprim17ROCPRIM_400000_NS6detail17trampoline_kernelINS0_14default_configENS1_25partition_config_selectorILNS1_17partition_subalgoE9EllbEEZZNS1_14partition_implILS5_9ELb0ES3_jPlS8_PNS0_10empty_typeENS0_5tupleIJS8_S9_EEENSB_IJS8_SA_EEENS0_18inequality_wrapperIZN2at6native12_GLOBAL__N_124unique_dim_cuda_templateIiEESt5tupleIJNSF_6TensorESK_SK_EERKSK_lbbbEUlllE0_EEPmJS9_EEE10hipError_tPvRmT3_T4_T5_T6_T7_T9_mT8_P12ihipStream_tbDpT10_ENKUlT_T0_E_clISt17integral_constantIbLb1EES19_IbLb0EEEEDaS15_S16_EUlS15_E_NS1_11comp_targetILNS1_3genE9ELNS1_11target_archE1100ELNS1_3gpuE3ELNS1_3repE0EEENS1_30default_config_static_selectorELNS0_4arch9wavefront6targetE1EEEvT1_
		.amdhsa_group_segment_fixed_size 0
		.amdhsa_private_segment_fixed_size 0
		.amdhsa_kernarg_size 120
		.amdhsa_user_sgpr_count 6
		.amdhsa_user_sgpr_private_segment_buffer 1
		.amdhsa_user_sgpr_dispatch_ptr 0
		.amdhsa_user_sgpr_queue_ptr 0
		.amdhsa_user_sgpr_kernarg_segment_ptr 1
		.amdhsa_user_sgpr_dispatch_id 0
		.amdhsa_user_sgpr_flat_scratch_init 0
		.amdhsa_user_sgpr_kernarg_preload_length 0
		.amdhsa_user_sgpr_kernarg_preload_offset 0
		.amdhsa_user_sgpr_private_segment_size 0
		.amdhsa_uses_dynamic_stack 0
		.amdhsa_system_sgpr_private_segment_wavefront_offset 0
		.amdhsa_system_sgpr_workgroup_id_x 1
		.amdhsa_system_sgpr_workgroup_id_y 0
		.amdhsa_system_sgpr_workgroup_id_z 0
		.amdhsa_system_sgpr_workgroup_info 0
		.amdhsa_system_vgpr_workitem_id 0
		.amdhsa_next_free_vgpr 1
		.amdhsa_next_free_sgpr 0
		.amdhsa_accum_offset 4
		.amdhsa_reserve_vcc 0
		.amdhsa_reserve_flat_scratch 0
		.amdhsa_float_round_mode_32 0
		.amdhsa_float_round_mode_16_64 0
		.amdhsa_float_denorm_mode_32 3
		.amdhsa_float_denorm_mode_16_64 3
		.amdhsa_dx10_clamp 1
		.amdhsa_ieee_mode 1
		.amdhsa_fp16_overflow 0
		.amdhsa_tg_split 0
		.amdhsa_exception_fp_ieee_invalid_op 0
		.amdhsa_exception_fp_denorm_src 0
		.amdhsa_exception_fp_ieee_div_zero 0
		.amdhsa_exception_fp_ieee_overflow 0
		.amdhsa_exception_fp_ieee_underflow 0
		.amdhsa_exception_fp_ieee_inexact 0
		.amdhsa_exception_int_div_zero 0
	.end_amdhsa_kernel
	.section	.text._ZN7rocprim17ROCPRIM_400000_NS6detail17trampoline_kernelINS0_14default_configENS1_25partition_config_selectorILNS1_17partition_subalgoE9EllbEEZZNS1_14partition_implILS5_9ELb0ES3_jPlS8_PNS0_10empty_typeENS0_5tupleIJS8_S9_EEENSB_IJS8_SA_EEENS0_18inequality_wrapperIZN2at6native12_GLOBAL__N_124unique_dim_cuda_templateIiEESt5tupleIJNSF_6TensorESK_SK_EERKSK_lbbbEUlllE0_EEPmJS9_EEE10hipError_tPvRmT3_T4_T5_T6_T7_T9_mT8_P12ihipStream_tbDpT10_ENKUlT_T0_E_clISt17integral_constantIbLb1EES19_IbLb0EEEEDaS15_S16_EUlS15_E_NS1_11comp_targetILNS1_3genE9ELNS1_11target_archE1100ELNS1_3gpuE3ELNS1_3repE0EEENS1_30default_config_static_selectorELNS0_4arch9wavefront6targetE1EEEvT1_,"axG",@progbits,_ZN7rocprim17ROCPRIM_400000_NS6detail17trampoline_kernelINS0_14default_configENS1_25partition_config_selectorILNS1_17partition_subalgoE9EllbEEZZNS1_14partition_implILS5_9ELb0ES3_jPlS8_PNS0_10empty_typeENS0_5tupleIJS8_S9_EEENSB_IJS8_SA_EEENS0_18inequality_wrapperIZN2at6native12_GLOBAL__N_124unique_dim_cuda_templateIiEESt5tupleIJNSF_6TensorESK_SK_EERKSK_lbbbEUlllE0_EEPmJS9_EEE10hipError_tPvRmT3_T4_T5_T6_T7_T9_mT8_P12ihipStream_tbDpT10_ENKUlT_T0_E_clISt17integral_constantIbLb1EES19_IbLb0EEEEDaS15_S16_EUlS15_E_NS1_11comp_targetILNS1_3genE9ELNS1_11target_archE1100ELNS1_3gpuE3ELNS1_3repE0EEENS1_30default_config_static_selectorELNS0_4arch9wavefront6targetE1EEEvT1_,comdat
.Lfunc_end495:
	.size	_ZN7rocprim17ROCPRIM_400000_NS6detail17trampoline_kernelINS0_14default_configENS1_25partition_config_selectorILNS1_17partition_subalgoE9EllbEEZZNS1_14partition_implILS5_9ELb0ES3_jPlS8_PNS0_10empty_typeENS0_5tupleIJS8_S9_EEENSB_IJS8_SA_EEENS0_18inequality_wrapperIZN2at6native12_GLOBAL__N_124unique_dim_cuda_templateIiEESt5tupleIJNSF_6TensorESK_SK_EERKSK_lbbbEUlllE0_EEPmJS9_EEE10hipError_tPvRmT3_T4_T5_T6_T7_T9_mT8_P12ihipStream_tbDpT10_ENKUlT_T0_E_clISt17integral_constantIbLb1EES19_IbLb0EEEEDaS15_S16_EUlS15_E_NS1_11comp_targetILNS1_3genE9ELNS1_11target_archE1100ELNS1_3gpuE3ELNS1_3repE0EEENS1_30default_config_static_selectorELNS0_4arch9wavefront6targetE1EEEvT1_, .Lfunc_end495-_ZN7rocprim17ROCPRIM_400000_NS6detail17trampoline_kernelINS0_14default_configENS1_25partition_config_selectorILNS1_17partition_subalgoE9EllbEEZZNS1_14partition_implILS5_9ELb0ES3_jPlS8_PNS0_10empty_typeENS0_5tupleIJS8_S9_EEENSB_IJS8_SA_EEENS0_18inequality_wrapperIZN2at6native12_GLOBAL__N_124unique_dim_cuda_templateIiEESt5tupleIJNSF_6TensorESK_SK_EERKSK_lbbbEUlllE0_EEPmJS9_EEE10hipError_tPvRmT3_T4_T5_T6_T7_T9_mT8_P12ihipStream_tbDpT10_ENKUlT_T0_E_clISt17integral_constantIbLb1EES19_IbLb0EEEEDaS15_S16_EUlS15_E_NS1_11comp_targetILNS1_3genE9ELNS1_11target_archE1100ELNS1_3gpuE3ELNS1_3repE0EEENS1_30default_config_static_selectorELNS0_4arch9wavefront6targetE1EEEvT1_
                                        ; -- End function
	.section	.AMDGPU.csdata,"",@progbits
; Kernel info:
; codeLenInByte = 0
; NumSgprs: 4
; NumVgprs: 0
; NumAgprs: 0
; TotalNumVgprs: 0
; ScratchSize: 0
; MemoryBound: 0
; FloatMode: 240
; IeeeMode: 1
; LDSByteSize: 0 bytes/workgroup (compile time only)
; SGPRBlocks: 0
; VGPRBlocks: 0
; NumSGPRsForWavesPerEU: 4
; NumVGPRsForWavesPerEU: 1
; AccumOffset: 4
; Occupancy: 8
; WaveLimiterHint : 0
; COMPUTE_PGM_RSRC2:SCRATCH_EN: 0
; COMPUTE_PGM_RSRC2:USER_SGPR: 6
; COMPUTE_PGM_RSRC2:TRAP_HANDLER: 0
; COMPUTE_PGM_RSRC2:TGID_X_EN: 1
; COMPUTE_PGM_RSRC2:TGID_Y_EN: 0
; COMPUTE_PGM_RSRC2:TGID_Z_EN: 0
; COMPUTE_PGM_RSRC2:TIDIG_COMP_CNT: 0
; COMPUTE_PGM_RSRC3_GFX90A:ACCUM_OFFSET: 0
; COMPUTE_PGM_RSRC3_GFX90A:TG_SPLIT: 0
	.section	.text._ZN7rocprim17ROCPRIM_400000_NS6detail17trampoline_kernelINS0_14default_configENS1_25partition_config_selectorILNS1_17partition_subalgoE9EllbEEZZNS1_14partition_implILS5_9ELb0ES3_jPlS8_PNS0_10empty_typeENS0_5tupleIJS8_S9_EEENSB_IJS8_SA_EEENS0_18inequality_wrapperIZN2at6native12_GLOBAL__N_124unique_dim_cuda_templateIiEESt5tupleIJNSF_6TensorESK_SK_EERKSK_lbbbEUlllE0_EEPmJS9_EEE10hipError_tPvRmT3_T4_T5_T6_T7_T9_mT8_P12ihipStream_tbDpT10_ENKUlT_T0_E_clISt17integral_constantIbLb1EES19_IbLb0EEEEDaS15_S16_EUlS15_E_NS1_11comp_targetILNS1_3genE8ELNS1_11target_archE1030ELNS1_3gpuE2ELNS1_3repE0EEENS1_30default_config_static_selectorELNS0_4arch9wavefront6targetE1EEEvT1_,"axG",@progbits,_ZN7rocprim17ROCPRIM_400000_NS6detail17trampoline_kernelINS0_14default_configENS1_25partition_config_selectorILNS1_17partition_subalgoE9EllbEEZZNS1_14partition_implILS5_9ELb0ES3_jPlS8_PNS0_10empty_typeENS0_5tupleIJS8_S9_EEENSB_IJS8_SA_EEENS0_18inequality_wrapperIZN2at6native12_GLOBAL__N_124unique_dim_cuda_templateIiEESt5tupleIJNSF_6TensorESK_SK_EERKSK_lbbbEUlllE0_EEPmJS9_EEE10hipError_tPvRmT3_T4_T5_T6_T7_T9_mT8_P12ihipStream_tbDpT10_ENKUlT_T0_E_clISt17integral_constantIbLb1EES19_IbLb0EEEEDaS15_S16_EUlS15_E_NS1_11comp_targetILNS1_3genE8ELNS1_11target_archE1030ELNS1_3gpuE2ELNS1_3repE0EEENS1_30default_config_static_selectorELNS0_4arch9wavefront6targetE1EEEvT1_,comdat
	.globl	_ZN7rocprim17ROCPRIM_400000_NS6detail17trampoline_kernelINS0_14default_configENS1_25partition_config_selectorILNS1_17partition_subalgoE9EllbEEZZNS1_14partition_implILS5_9ELb0ES3_jPlS8_PNS0_10empty_typeENS0_5tupleIJS8_S9_EEENSB_IJS8_SA_EEENS0_18inequality_wrapperIZN2at6native12_GLOBAL__N_124unique_dim_cuda_templateIiEESt5tupleIJNSF_6TensorESK_SK_EERKSK_lbbbEUlllE0_EEPmJS9_EEE10hipError_tPvRmT3_T4_T5_T6_T7_T9_mT8_P12ihipStream_tbDpT10_ENKUlT_T0_E_clISt17integral_constantIbLb1EES19_IbLb0EEEEDaS15_S16_EUlS15_E_NS1_11comp_targetILNS1_3genE8ELNS1_11target_archE1030ELNS1_3gpuE2ELNS1_3repE0EEENS1_30default_config_static_selectorELNS0_4arch9wavefront6targetE1EEEvT1_ ; -- Begin function _ZN7rocprim17ROCPRIM_400000_NS6detail17trampoline_kernelINS0_14default_configENS1_25partition_config_selectorILNS1_17partition_subalgoE9EllbEEZZNS1_14partition_implILS5_9ELb0ES3_jPlS8_PNS0_10empty_typeENS0_5tupleIJS8_S9_EEENSB_IJS8_SA_EEENS0_18inequality_wrapperIZN2at6native12_GLOBAL__N_124unique_dim_cuda_templateIiEESt5tupleIJNSF_6TensorESK_SK_EERKSK_lbbbEUlllE0_EEPmJS9_EEE10hipError_tPvRmT3_T4_T5_T6_T7_T9_mT8_P12ihipStream_tbDpT10_ENKUlT_T0_E_clISt17integral_constantIbLb1EES19_IbLb0EEEEDaS15_S16_EUlS15_E_NS1_11comp_targetILNS1_3genE8ELNS1_11target_archE1030ELNS1_3gpuE2ELNS1_3repE0EEENS1_30default_config_static_selectorELNS0_4arch9wavefront6targetE1EEEvT1_
	.p2align	8
	.type	_ZN7rocprim17ROCPRIM_400000_NS6detail17trampoline_kernelINS0_14default_configENS1_25partition_config_selectorILNS1_17partition_subalgoE9EllbEEZZNS1_14partition_implILS5_9ELb0ES3_jPlS8_PNS0_10empty_typeENS0_5tupleIJS8_S9_EEENSB_IJS8_SA_EEENS0_18inequality_wrapperIZN2at6native12_GLOBAL__N_124unique_dim_cuda_templateIiEESt5tupleIJNSF_6TensorESK_SK_EERKSK_lbbbEUlllE0_EEPmJS9_EEE10hipError_tPvRmT3_T4_T5_T6_T7_T9_mT8_P12ihipStream_tbDpT10_ENKUlT_T0_E_clISt17integral_constantIbLb1EES19_IbLb0EEEEDaS15_S16_EUlS15_E_NS1_11comp_targetILNS1_3genE8ELNS1_11target_archE1030ELNS1_3gpuE2ELNS1_3repE0EEENS1_30default_config_static_selectorELNS0_4arch9wavefront6targetE1EEEvT1_,@function
_ZN7rocprim17ROCPRIM_400000_NS6detail17trampoline_kernelINS0_14default_configENS1_25partition_config_selectorILNS1_17partition_subalgoE9EllbEEZZNS1_14partition_implILS5_9ELb0ES3_jPlS8_PNS0_10empty_typeENS0_5tupleIJS8_S9_EEENSB_IJS8_SA_EEENS0_18inequality_wrapperIZN2at6native12_GLOBAL__N_124unique_dim_cuda_templateIiEESt5tupleIJNSF_6TensorESK_SK_EERKSK_lbbbEUlllE0_EEPmJS9_EEE10hipError_tPvRmT3_T4_T5_T6_T7_T9_mT8_P12ihipStream_tbDpT10_ENKUlT_T0_E_clISt17integral_constantIbLb1EES19_IbLb0EEEEDaS15_S16_EUlS15_E_NS1_11comp_targetILNS1_3genE8ELNS1_11target_archE1030ELNS1_3gpuE2ELNS1_3repE0EEENS1_30default_config_static_selectorELNS0_4arch9wavefront6targetE1EEEvT1_: ; @_ZN7rocprim17ROCPRIM_400000_NS6detail17trampoline_kernelINS0_14default_configENS1_25partition_config_selectorILNS1_17partition_subalgoE9EllbEEZZNS1_14partition_implILS5_9ELb0ES3_jPlS8_PNS0_10empty_typeENS0_5tupleIJS8_S9_EEENSB_IJS8_SA_EEENS0_18inequality_wrapperIZN2at6native12_GLOBAL__N_124unique_dim_cuda_templateIiEESt5tupleIJNSF_6TensorESK_SK_EERKSK_lbbbEUlllE0_EEPmJS9_EEE10hipError_tPvRmT3_T4_T5_T6_T7_T9_mT8_P12ihipStream_tbDpT10_ENKUlT_T0_E_clISt17integral_constantIbLb1EES19_IbLb0EEEEDaS15_S16_EUlS15_E_NS1_11comp_targetILNS1_3genE8ELNS1_11target_archE1030ELNS1_3gpuE2ELNS1_3repE0EEENS1_30default_config_static_selectorELNS0_4arch9wavefront6targetE1EEEvT1_
; %bb.0:
	.section	.rodata,"a",@progbits
	.p2align	6, 0x0
	.amdhsa_kernel _ZN7rocprim17ROCPRIM_400000_NS6detail17trampoline_kernelINS0_14default_configENS1_25partition_config_selectorILNS1_17partition_subalgoE9EllbEEZZNS1_14partition_implILS5_9ELb0ES3_jPlS8_PNS0_10empty_typeENS0_5tupleIJS8_S9_EEENSB_IJS8_SA_EEENS0_18inequality_wrapperIZN2at6native12_GLOBAL__N_124unique_dim_cuda_templateIiEESt5tupleIJNSF_6TensorESK_SK_EERKSK_lbbbEUlllE0_EEPmJS9_EEE10hipError_tPvRmT3_T4_T5_T6_T7_T9_mT8_P12ihipStream_tbDpT10_ENKUlT_T0_E_clISt17integral_constantIbLb1EES19_IbLb0EEEEDaS15_S16_EUlS15_E_NS1_11comp_targetILNS1_3genE8ELNS1_11target_archE1030ELNS1_3gpuE2ELNS1_3repE0EEENS1_30default_config_static_selectorELNS0_4arch9wavefront6targetE1EEEvT1_
		.amdhsa_group_segment_fixed_size 0
		.amdhsa_private_segment_fixed_size 0
		.amdhsa_kernarg_size 120
		.amdhsa_user_sgpr_count 6
		.amdhsa_user_sgpr_private_segment_buffer 1
		.amdhsa_user_sgpr_dispatch_ptr 0
		.amdhsa_user_sgpr_queue_ptr 0
		.amdhsa_user_sgpr_kernarg_segment_ptr 1
		.amdhsa_user_sgpr_dispatch_id 0
		.amdhsa_user_sgpr_flat_scratch_init 0
		.amdhsa_user_sgpr_kernarg_preload_length 0
		.amdhsa_user_sgpr_kernarg_preload_offset 0
		.amdhsa_user_sgpr_private_segment_size 0
		.amdhsa_uses_dynamic_stack 0
		.amdhsa_system_sgpr_private_segment_wavefront_offset 0
		.amdhsa_system_sgpr_workgroup_id_x 1
		.amdhsa_system_sgpr_workgroup_id_y 0
		.amdhsa_system_sgpr_workgroup_id_z 0
		.amdhsa_system_sgpr_workgroup_info 0
		.amdhsa_system_vgpr_workitem_id 0
		.amdhsa_next_free_vgpr 1
		.amdhsa_next_free_sgpr 0
		.amdhsa_accum_offset 4
		.amdhsa_reserve_vcc 0
		.amdhsa_reserve_flat_scratch 0
		.amdhsa_float_round_mode_32 0
		.amdhsa_float_round_mode_16_64 0
		.amdhsa_float_denorm_mode_32 3
		.amdhsa_float_denorm_mode_16_64 3
		.amdhsa_dx10_clamp 1
		.amdhsa_ieee_mode 1
		.amdhsa_fp16_overflow 0
		.amdhsa_tg_split 0
		.amdhsa_exception_fp_ieee_invalid_op 0
		.amdhsa_exception_fp_denorm_src 0
		.amdhsa_exception_fp_ieee_div_zero 0
		.amdhsa_exception_fp_ieee_overflow 0
		.amdhsa_exception_fp_ieee_underflow 0
		.amdhsa_exception_fp_ieee_inexact 0
		.amdhsa_exception_int_div_zero 0
	.end_amdhsa_kernel
	.section	.text._ZN7rocprim17ROCPRIM_400000_NS6detail17trampoline_kernelINS0_14default_configENS1_25partition_config_selectorILNS1_17partition_subalgoE9EllbEEZZNS1_14partition_implILS5_9ELb0ES3_jPlS8_PNS0_10empty_typeENS0_5tupleIJS8_S9_EEENSB_IJS8_SA_EEENS0_18inequality_wrapperIZN2at6native12_GLOBAL__N_124unique_dim_cuda_templateIiEESt5tupleIJNSF_6TensorESK_SK_EERKSK_lbbbEUlllE0_EEPmJS9_EEE10hipError_tPvRmT3_T4_T5_T6_T7_T9_mT8_P12ihipStream_tbDpT10_ENKUlT_T0_E_clISt17integral_constantIbLb1EES19_IbLb0EEEEDaS15_S16_EUlS15_E_NS1_11comp_targetILNS1_3genE8ELNS1_11target_archE1030ELNS1_3gpuE2ELNS1_3repE0EEENS1_30default_config_static_selectorELNS0_4arch9wavefront6targetE1EEEvT1_,"axG",@progbits,_ZN7rocprim17ROCPRIM_400000_NS6detail17trampoline_kernelINS0_14default_configENS1_25partition_config_selectorILNS1_17partition_subalgoE9EllbEEZZNS1_14partition_implILS5_9ELb0ES3_jPlS8_PNS0_10empty_typeENS0_5tupleIJS8_S9_EEENSB_IJS8_SA_EEENS0_18inequality_wrapperIZN2at6native12_GLOBAL__N_124unique_dim_cuda_templateIiEESt5tupleIJNSF_6TensorESK_SK_EERKSK_lbbbEUlllE0_EEPmJS9_EEE10hipError_tPvRmT3_T4_T5_T6_T7_T9_mT8_P12ihipStream_tbDpT10_ENKUlT_T0_E_clISt17integral_constantIbLb1EES19_IbLb0EEEEDaS15_S16_EUlS15_E_NS1_11comp_targetILNS1_3genE8ELNS1_11target_archE1030ELNS1_3gpuE2ELNS1_3repE0EEENS1_30default_config_static_selectorELNS0_4arch9wavefront6targetE1EEEvT1_,comdat
.Lfunc_end496:
	.size	_ZN7rocprim17ROCPRIM_400000_NS6detail17trampoline_kernelINS0_14default_configENS1_25partition_config_selectorILNS1_17partition_subalgoE9EllbEEZZNS1_14partition_implILS5_9ELb0ES3_jPlS8_PNS0_10empty_typeENS0_5tupleIJS8_S9_EEENSB_IJS8_SA_EEENS0_18inequality_wrapperIZN2at6native12_GLOBAL__N_124unique_dim_cuda_templateIiEESt5tupleIJNSF_6TensorESK_SK_EERKSK_lbbbEUlllE0_EEPmJS9_EEE10hipError_tPvRmT3_T4_T5_T6_T7_T9_mT8_P12ihipStream_tbDpT10_ENKUlT_T0_E_clISt17integral_constantIbLb1EES19_IbLb0EEEEDaS15_S16_EUlS15_E_NS1_11comp_targetILNS1_3genE8ELNS1_11target_archE1030ELNS1_3gpuE2ELNS1_3repE0EEENS1_30default_config_static_selectorELNS0_4arch9wavefront6targetE1EEEvT1_, .Lfunc_end496-_ZN7rocprim17ROCPRIM_400000_NS6detail17trampoline_kernelINS0_14default_configENS1_25partition_config_selectorILNS1_17partition_subalgoE9EllbEEZZNS1_14partition_implILS5_9ELb0ES3_jPlS8_PNS0_10empty_typeENS0_5tupleIJS8_S9_EEENSB_IJS8_SA_EEENS0_18inequality_wrapperIZN2at6native12_GLOBAL__N_124unique_dim_cuda_templateIiEESt5tupleIJNSF_6TensorESK_SK_EERKSK_lbbbEUlllE0_EEPmJS9_EEE10hipError_tPvRmT3_T4_T5_T6_T7_T9_mT8_P12ihipStream_tbDpT10_ENKUlT_T0_E_clISt17integral_constantIbLb1EES19_IbLb0EEEEDaS15_S16_EUlS15_E_NS1_11comp_targetILNS1_3genE8ELNS1_11target_archE1030ELNS1_3gpuE2ELNS1_3repE0EEENS1_30default_config_static_selectorELNS0_4arch9wavefront6targetE1EEEvT1_
                                        ; -- End function
	.section	.AMDGPU.csdata,"",@progbits
; Kernel info:
; codeLenInByte = 0
; NumSgprs: 4
; NumVgprs: 0
; NumAgprs: 0
; TotalNumVgprs: 0
; ScratchSize: 0
; MemoryBound: 0
; FloatMode: 240
; IeeeMode: 1
; LDSByteSize: 0 bytes/workgroup (compile time only)
; SGPRBlocks: 0
; VGPRBlocks: 0
; NumSGPRsForWavesPerEU: 4
; NumVGPRsForWavesPerEU: 1
; AccumOffset: 4
; Occupancy: 8
; WaveLimiterHint : 0
; COMPUTE_PGM_RSRC2:SCRATCH_EN: 0
; COMPUTE_PGM_RSRC2:USER_SGPR: 6
; COMPUTE_PGM_RSRC2:TRAP_HANDLER: 0
; COMPUTE_PGM_RSRC2:TGID_X_EN: 1
; COMPUTE_PGM_RSRC2:TGID_Y_EN: 0
; COMPUTE_PGM_RSRC2:TGID_Z_EN: 0
; COMPUTE_PGM_RSRC2:TIDIG_COMP_CNT: 0
; COMPUTE_PGM_RSRC3_GFX90A:ACCUM_OFFSET: 0
; COMPUTE_PGM_RSRC3_GFX90A:TG_SPLIT: 0
	.section	.text._ZN7rocprim17ROCPRIM_400000_NS6detail17trampoline_kernelINS0_14default_configENS1_25partition_config_selectorILNS1_17partition_subalgoE9EllbEEZZNS1_14partition_implILS5_9ELb0ES3_jPlS8_PNS0_10empty_typeENS0_5tupleIJS8_S9_EEENSB_IJS8_SA_EEENS0_18inequality_wrapperIZN2at6native12_GLOBAL__N_124unique_dim_cuda_templateIiEESt5tupleIJNSF_6TensorESK_SK_EERKSK_lbbbEUlllE0_EEPmJS9_EEE10hipError_tPvRmT3_T4_T5_T6_T7_T9_mT8_P12ihipStream_tbDpT10_ENKUlT_T0_E_clISt17integral_constantIbLb0EES19_IbLb1EEEEDaS15_S16_EUlS15_E_NS1_11comp_targetILNS1_3genE0ELNS1_11target_archE4294967295ELNS1_3gpuE0ELNS1_3repE0EEENS1_30default_config_static_selectorELNS0_4arch9wavefront6targetE1EEEvT1_,"axG",@progbits,_ZN7rocprim17ROCPRIM_400000_NS6detail17trampoline_kernelINS0_14default_configENS1_25partition_config_selectorILNS1_17partition_subalgoE9EllbEEZZNS1_14partition_implILS5_9ELb0ES3_jPlS8_PNS0_10empty_typeENS0_5tupleIJS8_S9_EEENSB_IJS8_SA_EEENS0_18inequality_wrapperIZN2at6native12_GLOBAL__N_124unique_dim_cuda_templateIiEESt5tupleIJNSF_6TensorESK_SK_EERKSK_lbbbEUlllE0_EEPmJS9_EEE10hipError_tPvRmT3_T4_T5_T6_T7_T9_mT8_P12ihipStream_tbDpT10_ENKUlT_T0_E_clISt17integral_constantIbLb0EES19_IbLb1EEEEDaS15_S16_EUlS15_E_NS1_11comp_targetILNS1_3genE0ELNS1_11target_archE4294967295ELNS1_3gpuE0ELNS1_3repE0EEENS1_30default_config_static_selectorELNS0_4arch9wavefront6targetE1EEEvT1_,comdat
	.globl	_ZN7rocprim17ROCPRIM_400000_NS6detail17trampoline_kernelINS0_14default_configENS1_25partition_config_selectorILNS1_17partition_subalgoE9EllbEEZZNS1_14partition_implILS5_9ELb0ES3_jPlS8_PNS0_10empty_typeENS0_5tupleIJS8_S9_EEENSB_IJS8_SA_EEENS0_18inequality_wrapperIZN2at6native12_GLOBAL__N_124unique_dim_cuda_templateIiEESt5tupleIJNSF_6TensorESK_SK_EERKSK_lbbbEUlllE0_EEPmJS9_EEE10hipError_tPvRmT3_T4_T5_T6_T7_T9_mT8_P12ihipStream_tbDpT10_ENKUlT_T0_E_clISt17integral_constantIbLb0EES19_IbLb1EEEEDaS15_S16_EUlS15_E_NS1_11comp_targetILNS1_3genE0ELNS1_11target_archE4294967295ELNS1_3gpuE0ELNS1_3repE0EEENS1_30default_config_static_selectorELNS0_4arch9wavefront6targetE1EEEvT1_ ; -- Begin function _ZN7rocprim17ROCPRIM_400000_NS6detail17trampoline_kernelINS0_14default_configENS1_25partition_config_selectorILNS1_17partition_subalgoE9EllbEEZZNS1_14partition_implILS5_9ELb0ES3_jPlS8_PNS0_10empty_typeENS0_5tupleIJS8_S9_EEENSB_IJS8_SA_EEENS0_18inequality_wrapperIZN2at6native12_GLOBAL__N_124unique_dim_cuda_templateIiEESt5tupleIJNSF_6TensorESK_SK_EERKSK_lbbbEUlllE0_EEPmJS9_EEE10hipError_tPvRmT3_T4_T5_T6_T7_T9_mT8_P12ihipStream_tbDpT10_ENKUlT_T0_E_clISt17integral_constantIbLb0EES19_IbLb1EEEEDaS15_S16_EUlS15_E_NS1_11comp_targetILNS1_3genE0ELNS1_11target_archE4294967295ELNS1_3gpuE0ELNS1_3repE0EEENS1_30default_config_static_selectorELNS0_4arch9wavefront6targetE1EEEvT1_
	.p2align	8
	.type	_ZN7rocprim17ROCPRIM_400000_NS6detail17trampoline_kernelINS0_14default_configENS1_25partition_config_selectorILNS1_17partition_subalgoE9EllbEEZZNS1_14partition_implILS5_9ELb0ES3_jPlS8_PNS0_10empty_typeENS0_5tupleIJS8_S9_EEENSB_IJS8_SA_EEENS0_18inequality_wrapperIZN2at6native12_GLOBAL__N_124unique_dim_cuda_templateIiEESt5tupleIJNSF_6TensorESK_SK_EERKSK_lbbbEUlllE0_EEPmJS9_EEE10hipError_tPvRmT3_T4_T5_T6_T7_T9_mT8_P12ihipStream_tbDpT10_ENKUlT_T0_E_clISt17integral_constantIbLb0EES19_IbLb1EEEEDaS15_S16_EUlS15_E_NS1_11comp_targetILNS1_3genE0ELNS1_11target_archE4294967295ELNS1_3gpuE0ELNS1_3repE0EEENS1_30default_config_static_selectorELNS0_4arch9wavefront6targetE1EEEvT1_,@function
_ZN7rocprim17ROCPRIM_400000_NS6detail17trampoline_kernelINS0_14default_configENS1_25partition_config_selectorILNS1_17partition_subalgoE9EllbEEZZNS1_14partition_implILS5_9ELb0ES3_jPlS8_PNS0_10empty_typeENS0_5tupleIJS8_S9_EEENSB_IJS8_SA_EEENS0_18inequality_wrapperIZN2at6native12_GLOBAL__N_124unique_dim_cuda_templateIiEESt5tupleIJNSF_6TensorESK_SK_EERKSK_lbbbEUlllE0_EEPmJS9_EEE10hipError_tPvRmT3_T4_T5_T6_T7_T9_mT8_P12ihipStream_tbDpT10_ENKUlT_T0_E_clISt17integral_constantIbLb0EES19_IbLb1EEEEDaS15_S16_EUlS15_E_NS1_11comp_targetILNS1_3genE0ELNS1_11target_archE4294967295ELNS1_3gpuE0ELNS1_3repE0EEENS1_30default_config_static_selectorELNS0_4arch9wavefront6targetE1EEEvT1_: ; @_ZN7rocprim17ROCPRIM_400000_NS6detail17trampoline_kernelINS0_14default_configENS1_25partition_config_selectorILNS1_17partition_subalgoE9EllbEEZZNS1_14partition_implILS5_9ELb0ES3_jPlS8_PNS0_10empty_typeENS0_5tupleIJS8_S9_EEENSB_IJS8_SA_EEENS0_18inequality_wrapperIZN2at6native12_GLOBAL__N_124unique_dim_cuda_templateIiEESt5tupleIJNSF_6TensorESK_SK_EERKSK_lbbbEUlllE0_EEPmJS9_EEE10hipError_tPvRmT3_T4_T5_T6_T7_T9_mT8_P12ihipStream_tbDpT10_ENKUlT_T0_E_clISt17integral_constantIbLb0EES19_IbLb1EEEEDaS15_S16_EUlS15_E_NS1_11comp_targetILNS1_3genE0ELNS1_11target_archE4294967295ELNS1_3gpuE0ELNS1_3repE0EEENS1_30default_config_static_selectorELNS0_4arch9wavefront6targetE1EEEvT1_
; %bb.0:
	.section	.rodata,"a",@progbits
	.p2align	6, 0x0
	.amdhsa_kernel _ZN7rocprim17ROCPRIM_400000_NS6detail17trampoline_kernelINS0_14default_configENS1_25partition_config_selectorILNS1_17partition_subalgoE9EllbEEZZNS1_14partition_implILS5_9ELb0ES3_jPlS8_PNS0_10empty_typeENS0_5tupleIJS8_S9_EEENSB_IJS8_SA_EEENS0_18inequality_wrapperIZN2at6native12_GLOBAL__N_124unique_dim_cuda_templateIiEESt5tupleIJNSF_6TensorESK_SK_EERKSK_lbbbEUlllE0_EEPmJS9_EEE10hipError_tPvRmT3_T4_T5_T6_T7_T9_mT8_P12ihipStream_tbDpT10_ENKUlT_T0_E_clISt17integral_constantIbLb0EES19_IbLb1EEEEDaS15_S16_EUlS15_E_NS1_11comp_targetILNS1_3genE0ELNS1_11target_archE4294967295ELNS1_3gpuE0ELNS1_3repE0EEENS1_30default_config_static_selectorELNS0_4arch9wavefront6targetE1EEEvT1_
		.amdhsa_group_segment_fixed_size 0
		.amdhsa_private_segment_fixed_size 0
		.amdhsa_kernarg_size 136
		.amdhsa_user_sgpr_count 6
		.amdhsa_user_sgpr_private_segment_buffer 1
		.amdhsa_user_sgpr_dispatch_ptr 0
		.amdhsa_user_sgpr_queue_ptr 0
		.amdhsa_user_sgpr_kernarg_segment_ptr 1
		.amdhsa_user_sgpr_dispatch_id 0
		.amdhsa_user_sgpr_flat_scratch_init 0
		.amdhsa_user_sgpr_kernarg_preload_length 0
		.amdhsa_user_sgpr_kernarg_preload_offset 0
		.amdhsa_user_sgpr_private_segment_size 0
		.amdhsa_uses_dynamic_stack 0
		.amdhsa_system_sgpr_private_segment_wavefront_offset 0
		.amdhsa_system_sgpr_workgroup_id_x 1
		.amdhsa_system_sgpr_workgroup_id_y 0
		.amdhsa_system_sgpr_workgroup_id_z 0
		.amdhsa_system_sgpr_workgroup_info 0
		.amdhsa_system_vgpr_workitem_id 0
		.amdhsa_next_free_vgpr 1
		.amdhsa_next_free_sgpr 0
		.amdhsa_accum_offset 4
		.amdhsa_reserve_vcc 0
		.amdhsa_reserve_flat_scratch 0
		.amdhsa_float_round_mode_32 0
		.amdhsa_float_round_mode_16_64 0
		.amdhsa_float_denorm_mode_32 3
		.amdhsa_float_denorm_mode_16_64 3
		.amdhsa_dx10_clamp 1
		.amdhsa_ieee_mode 1
		.amdhsa_fp16_overflow 0
		.amdhsa_tg_split 0
		.amdhsa_exception_fp_ieee_invalid_op 0
		.amdhsa_exception_fp_denorm_src 0
		.amdhsa_exception_fp_ieee_div_zero 0
		.amdhsa_exception_fp_ieee_overflow 0
		.amdhsa_exception_fp_ieee_underflow 0
		.amdhsa_exception_fp_ieee_inexact 0
		.amdhsa_exception_int_div_zero 0
	.end_amdhsa_kernel
	.section	.text._ZN7rocprim17ROCPRIM_400000_NS6detail17trampoline_kernelINS0_14default_configENS1_25partition_config_selectorILNS1_17partition_subalgoE9EllbEEZZNS1_14partition_implILS5_9ELb0ES3_jPlS8_PNS0_10empty_typeENS0_5tupleIJS8_S9_EEENSB_IJS8_SA_EEENS0_18inequality_wrapperIZN2at6native12_GLOBAL__N_124unique_dim_cuda_templateIiEESt5tupleIJNSF_6TensorESK_SK_EERKSK_lbbbEUlllE0_EEPmJS9_EEE10hipError_tPvRmT3_T4_T5_T6_T7_T9_mT8_P12ihipStream_tbDpT10_ENKUlT_T0_E_clISt17integral_constantIbLb0EES19_IbLb1EEEEDaS15_S16_EUlS15_E_NS1_11comp_targetILNS1_3genE0ELNS1_11target_archE4294967295ELNS1_3gpuE0ELNS1_3repE0EEENS1_30default_config_static_selectorELNS0_4arch9wavefront6targetE1EEEvT1_,"axG",@progbits,_ZN7rocprim17ROCPRIM_400000_NS6detail17trampoline_kernelINS0_14default_configENS1_25partition_config_selectorILNS1_17partition_subalgoE9EllbEEZZNS1_14partition_implILS5_9ELb0ES3_jPlS8_PNS0_10empty_typeENS0_5tupleIJS8_S9_EEENSB_IJS8_SA_EEENS0_18inequality_wrapperIZN2at6native12_GLOBAL__N_124unique_dim_cuda_templateIiEESt5tupleIJNSF_6TensorESK_SK_EERKSK_lbbbEUlllE0_EEPmJS9_EEE10hipError_tPvRmT3_T4_T5_T6_T7_T9_mT8_P12ihipStream_tbDpT10_ENKUlT_T0_E_clISt17integral_constantIbLb0EES19_IbLb1EEEEDaS15_S16_EUlS15_E_NS1_11comp_targetILNS1_3genE0ELNS1_11target_archE4294967295ELNS1_3gpuE0ELNS1_3repE0EEENS1_30default_config_static_selectorELNS0_4arch9wavefront6targetE1EEEvT1_,comdat
.Lfunc_end497:
	.size	_ZN7rocprim17ROCPRIM_400000_NS6detail17trampoline_kernelINS0_14default_configENS1_25partition_config_selectorILNS1_17partition_subalgoE9EllbEEZZNS1_14partition_implILS5_9ELb0ES3_jPlS8_PNS0_10empty_typeENS0_5tupleIJS8_S9_EEENSB_IJS8_SA_EEENS0_18inequality_wrapperIZN2at6native12_GLOBAL__N_124unique_dim_cuda_templateIiEESt5tupleIJNSF_6TensorESK_SK_EERKSK_lbbbEUlllE0_EEPmJS9_EEE10hipError_tPvRmT3_T4_T5_T6_T7_T9_mT8_P12ihipStream_tbDpT10_ENKUlT_T0_E_clISt17integral_constantIbLb0EES19_IbLb1EEEEDaS15_S16_EUlS15_E_NS1_11comp_targetILNS1_3genE0ELNS1_11target_archE4294967295ELNS1_3gpuE0ELNS1_3repE0EEENS1_30default_config_static_selectorELNS0_4arch9wavefront6targetE1EEEvT1_, .Lfunc_end497-_ZN7rocprim17ROCPRIM_400000_NS6detail17trampoline_kernelINS0_14default_configENS1_25partition_config_selectorILNS1_17partition_subalgoE9EllbEEZZNS1_14partition_implILS5_9ELb0ES3_jPlS8_PNS0_10empty_typeENS0_5tupleIJS8_S9_EEENSB_IJS8_SA_EEENS0_18inequality_wrapperIZN2at6native12_GLOBAL__N_124unique_dim_cuda_templateIiEESt5tupleIJNSF_6TensorESK_SK_EERKSK_lbbbEUlllE0_EEPmJS9_EEE10hipError_tPvRmT3_T4_T5_T6_T7_T9_mT8_P12ihipStream_tbDpT10_ENKUlT_T0_E_clISt17integral_constantIbLb0EES19_IbLb1EEEEDaS15_S16_EUlS15_E_NS1_11comp_targetILNS1_3genE0ELNS1_11target_archE4294967295ELNS1_3gpuE0ELNS1_3repE0EEENS1_30default_config_static_selectorELNS0_4arch9wavefront6targetE1EEEvT1_
                                        ; -- End function
	.section	.AMDGPU.csdata,"",@progbits
; Kernel info:
; codeLenInByte = 0
; NumSgprs: 4
; NumVgprs: 0
; NumAgprs: 0
; TotalNumVgprs: 0
; ScratchSize: 0
; MemoryBound: 0
; FloatMode: 240
; IeeeMode: 1
; LDSByteSize: 0 bytes/workgroup (compile time only)
; SGPRBlocks: 0
; VGPRBlocks: 0
; NumSGPRsForWavesPerEU: 4
; NumVGPRsForWavesPerEU: 1
; AccumOffset: 4
; Occupancy: 8
; WaveLimiterHint : 0
; COMPUTE_PGM_RSRC2:SCRATCH_EN: 0
; COMPUTE_PGM_RSRC2:USER_SGPR: 6
; COMPUTE_PGM_RSRC2:TRAP_HANDLER: 0
; COMPUTE_PGM_RSRC2:TGID_X_EN: 1
; COMPUTE_PGM_RSRC2:TGID_Y_EN: 0
; COMPUTE_PGM_RSRC2:TGID_Z_EN: 0
; COMPUTE_PGM_RSRC2:TIDIG_COMP_CNT: 0
; COMPUTE_PGM_RSRC3_GFX90A:ACCUM_OFFSET: 0
; COMPUTE_PGM_RSRC3_GFX90A:TG_SPLIT: 0
	.section	.text._ZN7rocprim17ROCPRIM_400000_NS6detail17trampoline_kernelINS0_14default_configENS1_25partition_config_selectorILNS1_17partition_subalgoE9EllbEEZZNS1_14partition_implILS5_9ELb0ES3_jPlS8_PNS0_10empty_typeENS0_5tupleIJS8_S9_EEENSB_IJS8_SA_EEENS0_18inequality_wrapperIZN2at6native12_GLOBAL__N_124unique_dim_cuda_templateIiEESt5tupleIJNSF_6TensorESK_SK_EERKSK_lbbbEUlllE0_EEPmJS9_EEE10hipError_tPvRmT3_T4_T5_T6_T7_T9_mT8_P12ihipStream_tbDpT10_ENKUlT_T0_E_clISt17integral_constantIbLb0EES19_IbLb1EEEEDaS15_S16_EUlS15_E_NS1_11comp_targetILNS1_3genE5ELNS1_11target_archE942ELNS1_3gpuE9ELNS1_3repE0EEENS1_30default_config_static_selectorELNS0_4arch9wavefront6targetE1EEEvT1_,"axG",@progbits,_ZN7rocprim17ROCPRIM_400000_NS6detail17trampoline_kernelINS0_14default_configENS1_25partition_config_selectorILNS1_17partition_subalgoE9EllbEEZZNS1_14partition_implILS5_9ELb0ES3_jPlS8_PNS0_10empty_typeENS0_5tupleIJS8_S9_EEENSB_IJS8_SA_EEENS0_18inequality_wrapperIZN2at6native12_GLOBAL__N_124unique_dim_cuda_templateIiEESt5tupleIJNSF_6TensorESK_SK_EERKSK_lbbbEUlllE0_EEPmJS9_EEE10hipError_tPvRmT3_T4_T5_T6_T7_T9_mT8_P12ihipStream_tbDpT10_ENKUlT_T0_E_clISt17integral_constantIbLb0EES19_IbLb1EEEEDaS15_S16_EUlS15_E_NS1_11comp_targetILNS1_3genE5ELNS1_11target_archE942ELNS1_3gpuE9ELNS1_3repE0EEENS1_30default_config_static_selectorELNS0_4arch9wavefront6targetE1EEEvT1_,comdat
	.globl	_ZN7rocprim17ROCPRIM_400000_NS6detail17trampoline_kernelINS0_14default_configENS1_25partition_config_selectorILNS1_17partition_subalgoE9EllbEEZZNS1_14partition_implILS5_9ELb0ES3_jPlS8_PNS0_10empty_typeENS0_5tupleIJS8_S9_EEENSB_IJS8_SA_EEENS0_18inequality_wrapperIZN2at6native12_GLOBAL__N_124unique_dim_cuda_templateIiEESt5tupleIJNSF_6TensorESK_SK_EERKSK_lbbbEUlllE0_EEPmJS9_EEE10hipError_tPvRmT3_T4_T5_T6_T7_T9_mT8_P12ihipStream_tbDpT10_ENKUlT_T0_E_clISt17integral_constantIbLb0EES19_IbLb1EEEEDaS15_S16_EUlS15_E_NS1_11comp_targetILNS1_3genE5ELNS1_11target_archE942ELNS1_3gpuE9ELNS1_3repE0EEENS1_30default_config_static_selectorELNS0_4arch9wavefront6targetE1EEEvT1_ ; -- Begin function _ZN7rocprim17ROCPRIM_400000_NS6detail17trampoline_kernelINS0_14default_configENS1_25partition_config_selectorILNS1_17partition_subalgoE9EllbEEZZNS1_14partition_implILS5_9ELb0ES3_jPlS8_PNS0_10empty_typeENS0_5tupleIJS8_S9_EEENSB_IJS8_SA_EEENS0_18inequality_wrapperIZN2at6native12_GLOBAL__N_124unique_dim_cuda_templateIiEESt5tupleIJNSF_6TensorESK_SK_EERKSK_lbbbEUlllE0_EEPmJS9_EEE10hipError_tPvRmT3_T4_T5_T6_T7_T9_mT8_P12ihipStream_tbDpT10_ENKUlT_T0_E_clISt17integral_constantIbLb0EES19_IbLb1EEEEDaS15_S16_EUlS15_E_NS1_11comp_targetILNS1_3genE5ELNS1_11target_archE942ELNS1_3gpuE9ELNS1_3repE0EEENS1_30default_config_static_selectorELNS0_4arch9wavefront6targetE1EEEvT1_
	.p2align	8
	.type	_ZN7rocprim17ROCPRIM_400000_NS6detail17trampoline_kernelINS0_14default_configENS1_25partition_config_selectorILNS1_17partition_subalgoE9EllbEEZZNS1_14partition_implILS5_9ELb0ES3_jPlS8_PNS0_10empty_typeENS0_5tupleIJS8_S9_EEENSB_IJS8_SA_EEENS0_18inequality_wrapperIZN2at6native12_GLOBAL__N_124unique_dim_cuda_templateIiEESt5tupleIJNSF_6TensorESK_SK_EERKSK_lbbbEUlllE0_EEPmJS9_EEE10hipError_tPvRmT3_T4_T5_T6_T7_T9_mT8_P12ihipStream_tbDpT10_ENKUlT_T0_E_clISt17integral_constantIbLb0EES19_IbLb1EEEEDaS15_S16_EUlS15_E_NS1_11comp_targetILNS1_3genE5ELNS1_11target_archE942ELNS1_3gpuE9ELNS1_3repE0EEENS1_30default_config_static_selectorELNS0_4arch9wavefront6targetE1EEEvT1_,@function
_ZN7rocprim17ROCPRIM_400000_NS6detail17trampoline_kernelINS0_14default_configENS1_25partition_config_selectorILNS1_17partition_subalgoE9EllbEEZZNS1_14partition_implILS5_9ELb0ES3_jPlS8_PNS0_10empty_typeENS0_5tupleIJS8_S9_EEENSB_IJS8_SA_EEENS0_18inequality_wrapperIZN2at6native12_GLOBAL__N_124unique_dim_cuda_templateIiEESt5tupleIJNSF_6TensorESK_SK_EERKSK_lbbbEUlllE0_EEPmJS9_EEE10hipError_tPvRmT3_T4_T5_T6_T7_T9_mT8_P12ihipStream_tbDpT10_ENKUlT_T0_E_clISt17integral_constantIbLb0EES19_IbLb1EEEEDaS15_S16_EUlS15_E_NS1_11comp_targetILNS1_3genE5ELNS1_11target_archE942ELNS1_3gpuE9ELNS1_3repE0EEENS1_30default_config_static_selectorELNS0_4arch9wavefront6targetE1EEEvT1_: ; @_ZN7rocprim17ROCPRIM_400000_NS6detail17trampoline_kernelINS0_14default_configENS1_25partition_config_selectorILNS1_17partition_subalgoE9EllbEEZZNS1_14partition_implILS5_9ELb0ES3_jPlS8_PNS0_10empty_typeENS0_5tupleIJS8_S9_EEENSB_IJS8_SA_EEENS0_18inequality_wrapperIZN2at6native12_GLOBAL__N_124unique_dim_cuda_templateIiEESt5tupleIJNSF_6TensorESK_SK_EERKSK_lbbbEUlllE0_EEPmJS9_EEE10hipError_tPvRmT3_T4_T5_T6_T7_T9_mT8_P12ihipStream_tbDpT10_ENKUlT_T0_E_clISt17integral_constantIbLb0EES19_IbLb1EEEEDaS15_S16_EUlS15_E_NS1_11comp_targetILNS1_3genE5ELNS1_11target_archE942ELNS1_3gpuE9ELNS1_3repE0EEENS1_30default_config_static_selectorELNS0_4arch9wavefront6targetE1EEEvT1_
; %bb.0:
	.section	.rodata,"a",@progbits
	.p2align	6, 0x0
	.amdhsa_kernel _ZN7rocprim17ROCPRIM_400000_NS6detail17trampoline_kernelINS0_14default_configENS1_25partition_config_selectorILNS1_17partition_subalgoE9EllbEEZZNS1_14partition_implILS5_9ELb0ES3_jPlS8_PNS0_10empty_typeENS0_5tupleIJS8_S9_EEENSB_IJS8_SA_EEENS0_18inequality_wrapperIZN2at6native12_GLOBAL__N_124unique_dim_cuda_templateIiEESt5tupleIJNSF_6TensorESK_SK_EERKSK_lbbbEUlllE0_EEPmJS9_EEE10hipError_tPvRmT3_T4_T5_T6_T7_T9_mT8_P12ihipStream_tbDpT10_ENKUlT_T0_E_clISt17integral_constantIbLb0EES19_IbLb1EEEEDaS15_S16_EUlS15_E_NS1_11comp_targetILNS1_3genE5ELNS1_11target_archE942ELNS1_3gpuE9ELNS1_3repE0EEENS1_30default_config_static_selectorELNS0_4arch9wavefront6targetE1EEEvT1_
		.amdhsa_group_segment_fixed_size 0
		.amdhsa_private_segment_fixed_size 0
		.amdhsa_kernarg_size 136
		.amdhsa_user_sgpr_count 6
		.amdhsa_user_sgpr_private_segment_buffer 1
		.amdhsa_user_sgpr_dispatch_ptr 0
		.amdhsa_user_sgpr_queue_ptr 0
		.amdhsa_user_sgpr_kernarg_segment_ptr 1
		.amdhsa_user_sgpr_dispatch_id 0
		.amdhsa_user_sgpr_flat_scratch_init 0
		.amdhsa_user_sgpr_kernarg_preload_length 0
		.amdhsa_user_sgpr_kernarg_preload_offset 0
		.amdhsa_user_sgpr_private_segment_size 0
		.amdhsa_uses_dynamic_stack 0
		.amdhsa_system_sgpr_private_segment_wavefront_offset 0
		.amdhsa_system_sgpr_workgroup_id_x 1
		.amdhsa_system_sgpr_workgroup_id_y 0
		.amdhsa_system_sgpr_workgroup_id_z 0
		.amdhsa_system_sgpr_workgroup_info 0
		.amdhsa_system_vgpr_workitem_id 0
		.amdhsa_next_free_vgpr 1
		.amdhsa_next_free_sgpr 0
		.amdhsa_accum_offset 4
		.amdhsa_reserve_vcc 0
		.amdhsa_reserve_flat_scratch 0
		.amdhsa_float_round_mode_32 0
		.amdhsa_float_round_mode_16_64 0
		.amdhsa_float_denorm_mode_32 3
		.amdhsa_float_denorm_mode_16_64 3
		.amdhsa_dx10_clamp 1
		.amdhsa_ieee_mode 1
		.amdhsa_fp16_overflow 0
		.amdhsa_tg_split 0
		.amdhsa_exception_fp_ieee_invalid_op 0
		.amdhsa_exception_fp_denorm_src 0
		.amdhsa_exception_fp_ieee_div_zero 0
		.amdhsa_exception_fp_ieee_overflow 0
		.amdhsa_exception_fp_ieee_underflow 0
		.amdhsa_exception_fp_ieee_inexact 0
		.amdhsa_exception_int_div_zero 0
	.end_amdhsa_kernel
	.section	.text._ZN7rocprim17ROCPRIM_400000_NS6detail17trampoline_kernelINS0_14default_configENS1_25partition_config_selectorILNS1_17partition_subalgoE9EllbEEZZNS1_14partition_implILS5_9ELb0ES3_jPlS8_PNS0_10empty_typeENS0_5tupleIJS8_S9_EEENSB_IJS8_SA_EEENS0_18inequality_wrapperIZN2at6native12_GLOBAL__N_124unique_dim_cuda_templateIiEESt5tupleIJNSF_6TensorESK_SK_EERKSK_lbbbEUlllE0_EEPmJS9_EEE10hipError_tPvRmT3_T4_T5_T6_T7_T9_mT8_P12ihipStream_tbDpT10_ENKUlT_T0_E_clISt17integral_constantIbLb0EES19_IbLb1EEEEDaS15_S16_EUlS15_E_NS1_11comp_targetILNS1_3genE5ELNS1_11target_archE942ELNS1_3gpuE9ELNS1_3repE0EEENS1_30default_config_static_selectorELNS0_4arch9wavefront6targetE1EEEvT1_,"axG",@progbits,_ZN7rocprim17ROCPRIM_400000_NS6detail17trampoline_kernelINS0_14default_configENS1_25partition_config_selectorILNS1_17partition_subalgoE9EllbEEZZNS1_14partition_implILS5_9ELb0ES3_jPlS8_PNS0_10empty_typeENS0_5tupleIJS8_S9_EEENSB_IJS8_SA_EEENS0_18inequality_wrapperIZN2at6native12_GLOBAL__N_124unique_dim_cuda_templateIiEESt5tupleIJNSF_6TensorESK_SK_EERKSK_lbbbEUlllE0_EEPmJS9_EEE10hipError_tPvRmT3_T4_T5_T6_T7_T9_mT8_P12ihipStream_tbDpT10_ENKUlT_T0_E_clISt17integral_constantIbLb0EES19_IbLb1EEEEDaS15_S16_EUlS15_E_NS1_11comp_targetILNS1_3genE5ELNS1_11target_archE942ELNS1_3gpuE9ELNS1_3repE0EEENS1_30default_config_static_selectorELNS0_4arch9wavefront6targetE1EEEvT1_,comdat
.Lfunc_end498:
	.size	_ZN7rocprim17ROCPRIM_400000_NS6detail17trampoline_kernelINS0_14default_configENS1_25partition_config_selectorILNS1_17partition_subalgoE9EllbEEZZNS1_14partition_implILS5_9ELb0ES3_jPlS8_PNS0_10empty_typeENS0_5tupleIJS8_S9_EEENSB_IJS8_SA_EEENS0_18inequality_wrapperIZN2at6native12_GLOBAL__N_124unique_dim_cuda_templateIiEESt5tupleIJNSF_6TensorESK_SK_EERKSK_lbbbEUlllE0_EEPmJS9_EEE10hipError_tPvRmT3_T4_T5_T6_T7_T9_mT8_P12ihipStream_tbDpT10_ENKUlT_T0_E_clISt17integral_constantIbLb0EES19_IbLb1EEEEDaS15_S16_EUlS15_E_NS1_11comp_targetILNS1_3genE5ELNS1_11target_archE942ELNS1_3gpuE9ELNS1_3repE0EEENS1_30default_config_static_selectorELNS0_4arch9wavefront6targetE1EEEvT1_, .Lfunc_end498-_ZN7rocprim17ROCPRIM_400000_NS6detail17trampoline_kernelINS0_14default_configENS1_25partition_config_selectorILNS1_17partition_subalgoE9EllbEEZZNS1_14partition_implILS5_9ELb0ES3_jPlS8_PNS0_10empty_typeENS0_5tupleIJS8_S9_EEENSB_IJS8_SA_EEENS0_18inequality_wrapperIZN2at6native12_GLOBAL__N_124unique_dim_cuda_templateIiEESt5tupleIJNSF_6TensorESK_SK_EERKSK_lbbbEUlllE0_EEPmJS9_EEE10hipError_tPvRmT3_T4_T5_T6_T7_T9_mT8_P12ihipStream_tbDpT10_ENKUlT_T0_E_clISt17integral_constantIbLb0EES19_IbLb1EEEEDaS15_S16_EUlS15_E_NS1_11comp_targetILNS1_3genE5ELNS1_11target_archE942ELNS1_3gpuE9ELNS1_3repE0EEENS1_30default_config_static_selectorELNS0_4arch9wavefront6targetE1EEEvT1_
                                        ; -- End function
	.section	.AMDGPU.csdata,"",@progbits
; Kernel info:
; codeLenInByte = 0
; NumSgprs: 4
; NumVgprs: 0
; NumAgprs: 0
; TotalNumVgprs: 0
; ScratchSize: 0
; MemoryBound: 0
; FloatMode: 240
; IeeeMode: 1
; LDSByteSize: 0 bytes/workgroup (compile time only)
; SGPRBlocks: 0
; VGPRBlocks: 0
; NumSGPRsForWavesPerEU: 4
; NumVGPRsForWavesPerEU: 1
; AccumOffset: 4
; Occupancy: 8
; WaveLimiterHint : 0
; COMPUTE_PGM_RSRC2:SCRATCH_EN: 0
; COMPUTE_PGM_RSRC2:USER_SGPR: 6
; COMPUTE_PGM_RSRC2:TRAP_HANDLER: 0
; COMPUTE_PGM_RSRC2:TGID_X_EN: 1
; COMPUTE_PGM_RSRC2:TGID_Y_EN: 0
; COMPUTE_PGM_RSRC2:TGID_Z_EN: 0
; COMPUTE_PGM_RSRC2:TIDIG_COMP_CNT: 0
; COMPUTE_PGM_RSRC3_GFX90A:ACCUM_OFFSET: 0
; COMPUTE_PGM_RSRC3_GFX90A:TG_SPLIT: 0
	.section	.text._ZN7rocprim17ROCPRIM_400000_NS6detail17trampoline_kernelINS0_14default_configENS1_25partition_config_selectorILNS1_17partition_subalgoE9EllbEEZZNS1_14partition_implILS5_9ELb0ES3_jPlS8_PNS0_10empty_typeENS0_5tupleIJS8_S9_EEENSB_IJS8_SA_EEENS0_18inequality_wrapperIZN2at6native12_GLOBAL__N_124unique_dim_cuda_templateIiEESt5tupleIJNSF_6TensorESK_SK_EERKSK_lbbbEUlllE0_EEPmJS9_EEE10hipError_tPvRmT3_T4_T5_T6_T7_T9_mT8_P12ihipStream_tbDpT10_ENKUlT_T0_E_clISt17integral_constantIbLb0EES19_IbLb1EEEEDaS15_S16_EUlS15_E_NS1_11comp_targetILNS1_3genE4ELNS1_11target_archE910ELNS1_3gpuE8ELNS1_3repE0EEENS1_30default_config_static_selectorELNS0_4arch9wavefront6targetE1EEEvT1_,"axG",@progbits,_ZN7rocprim17ROCPRIM_400000_NS6detail17trampoline_kernelINS0_14default_configENS1_25partition_config_selectorILNS1_17partition_subalgoE9EllbEEZZNS1_14partition_implILS5_9ELb0ES3_jPlS8_PNS0_10empty_typeENS0_5tupleIJS8_S9_EEENSB_IJS8_SA_EEENS0_18inequality_wrapperIZN2at6native12_GLOBAL__N_124unique_dim_cuda_templateIiEESt5tupleIJNSF_6TensorESK_SK_EERKSK_lbbbEUlllE0_EEPmJS9_EEE10hipError_tPvRmT3_T4_T5_T6_T7_T9_mT8_P12ihipStream_tbDpT10_ENKUlT_T0_E_clISt17integral_constantIbLb0EES19_IbLb1EEEEDaS15_S16_EUlS15_E_NS1_11comp_targetILNS1_3genE4ELNS1_11target_archE910ELNS1_3gpuE8ELNS1_3repE0EEENS1_30default_config_static_selectorELNS0_4arch9wavefront6targetE1EEEvT1_,comdat
	.globl	_ZN7rocprim17ROCPRIM_400000_NS6detail17trampoline_kernelINS0_14default_configENS1_25partition_config_selectorILNS1_17partition_subalgoE9EllbEEZZNS1_14partition_implILS5_9ELb0ES3_jPlS8_PNS0_10empty_typeENS0_5tupleIJS8_S9_EEENSB_IJS8_SA_EEENS0_18inequality_wrapperIZN2at6native12_GLOBAL__N_124unique_dim_cuda_templateIiEESt5tupleIJNSF_6TensorESK_SK_EERKSK_lbbbEUlllE0_EEPmJS9_EEE10hipError_tPvRmT3_T4_T5_T6_T7_T9_mT8_P12ihipStream_tbDpT10_ENKUlT_T0_E_clISt17integral_constantIbLb0EES19_IbLb1EEEEDaS15_S16_EUlS15_E_NS1_11comp_targetILNS1_3genE4ELNS1_11target_archE910ELNS1_3gpuE8ELNS1_3repE0EEENS1_30default_config_static_selectorELNS0_4arch9wavefront6targetE1EEEvT1_ ; -- Begin function _ZN7rocprim17ROCPRIM_400000_NS6detail17trampoline_kernelINS0_14default_configENS1_25partition_config_selectorILNS1_17partition_subalgoE9EllbEEZZNS1_14partition_implILS5_9ELb0ES3_jPlS8_PNS0_10empty_typeENS0_5tupleIJS8_S9_EEENSB_IJS8_SA_EEENS0_18inequality_wrapperIZN2at6native12_GLOBAL__N_124unique_dim_cuda_templateIiEESt5tupleIJNSF_6TensorESK_SK_EERKSK_lbbbEUlllE0_EEPmJS9_EEE10hipError_tPvRmT3_T4_T5_T6_T7_T9_mT8_P12ihipStream_tbDpT10_ENKUlT_T0_E_clISt17integral_constantIbLb0EES19_IbLb1EEEEDaS15_S16_EUlS15_E_NS1_11comp_targetILNS1_3genE4ELNS1_11target_archE910ELNS1_3gpuE8ELNS1_3repE0EEENS1_30default_config_static_selectorELNS0_4arch9wavefront6targetE1EEEvT1_
	.p2align	8
	.type	_ZN7rocprim17ROCPRIM_400000_NS6detail17trampoline_kernelINS0_14default_configENS1_25partition_config_selectorILNS1_17partition_subalgoE9EllbEEZZNS1_14partition_implILS5_9ELb0ES3_jPlS8_PNS0_10empty_typeENS0_5tupleIJS8_S9_EEENSB_IJS8_SA_EEENS0_18inequality_wrapperIZN2at6native12_GLOBAL__N_124unique_dim_cuda_templateIiEESt5tupleIJNSF_6TensorESK_SK_EERKSK_lbbbEUlllE0_EEPmJS9_EEE10hipError_tPvRmT3_T4_T5_T6_T7_T9_mT8_P12ihipStream_tbDpT10_ENKUlT_T0_E_clISt17integral_constantIbLb0EES19_IbLb1EEEEDaS15_S16_EUlS15_E_NS1_11comp_targetILNS1_3genE4ELNS1_11target_archE910ELNS1_3gpuE8ELNS1_3repE0EEENS1_30default_config_static_selectorELNS0_4arch9wavefront6targetE1EEEvT1_,@function
_ZN7rocprim17ROCPRIM_400000_NS6detail17trampoline_kernelINS0_14default_configENS1_25partition_config_selectorILNS1_17partition_subalgoE9EllbEEZZNS1_14partition_implILS5_9ELb0ES3_jPlS8_PNS0_10empty_typeENS0_5tupleIJS8_S9_EEENSB_IJS8_SA_EEENS0_18inequality_wrapperIZN2at6native12_GLOBAL__N_124unique_dim_cuda_templateIiEESt5tupleIJNSF_6TensorESK_SK_EERKSK_lbbbEUlllE0_EEPmJS9_EEE10hipError_tPvRmT3_T4_T5_T6_T7_T9_mT8_P12ihipStream_tbDpT10_ENKUlT_T0_E_clISt17integral_constantIbLb0EES19_IbLb1EEEEDaS15_S16_EUlS15_E_NS1_11comp_targetILNS1_3genE4ELNS1_11target_archE910ELNS1_3gpuE8ELNS1_3repE0EEENS1_30default_config_static_selectorELNS0_4arch9wavefront6targetE1EEEvT1_: ; @_ZN7rocprim17ROCPRIM_400000_NS6detail17trampoline_kernelINS0_14default_configENS1_25partition_config_selectorILNS1_17partition_subalgoE9EllbEEZZNS1_14partition_implILS5_9ELb0ES3_jPlS8_PNS0_10empty_typeENS0_5tupleIJS8_S9_EEENSB_IJS8_SA_EEENS0_18inequality_wrapperIZN2at6native12_GLOBAL__N_124unique_dim_cuda_templateIiEESt5tupleIJNSF_6TensorESK_SK_EERKSK_lbbbEUlllE0_EEPmJS9_EEE10hipError_tPvRmT3_T4_T5_T6_T7_T9_mT8_P12ihipStream_tbDpT10_ENKUlT_T0_E_clISt17integral_constantIbLb0EES19_IbLb1EEEEDaS15_S16_EUlS15_E_NS1_11comp_targetILNS1_3genE4ELNS1_11target_archE910ELNS1_3gpuE8ELNS1_3repE0EEENS1_30default_config_static_selectorELNS0_4arch9wavefront6targetE1EEEvT1_
; %bb.0:
	s_load_dwordx4 s[8:11], s[4:5], 0x8
	s_load_dwordx2 s[14:15], s[4:5], 0x18
	s_load_dwordx8 s[20:27], s[4:5], 0x40
	s_load_dwordx4 s[16:19], s[4:5], 0x60
	v_cmp_ne_u32_e64 s[2:3], 0, v0
	v_cmp_eq_u32_e64 s[0:1], 0, v0
	s_and_saveexec_b64 s[6:7], s[0:1]
	s_cbranch_execz .LBB499_4
; %bb.1:
	s_mov_b64 s[28:29], exec
	v_mbcnt_lo_u32_b32 v1, s28, 0
	v_mbcnt_hi_u32_b32 v1, s29, v1
	v_cmp_eq_u32_e32 vcc, 0, v1
                                        ; implicit-def: $vgpr2
	s_and_saveexec_b64 s[12:13], vcc
	s_cbranch_execz .LBB499_3
; %bb.2:
	s_load_dwordx2 s[30:31], s[4:5], 0x78
	s_bcnt1_i32_b64 s28, s[28:29]
	v_mov_b32_e32 v2, 0
	v_mov_b32_e32 v3, s28
	s_waitcnt lgkmcnt(0)
	global_atomic_add v2, v2, v3, s[30:31] glc
.LBB499_3:
	s_or_b64 exec, exec, s[12:13]
	s_waitcnt vmcnt(0)
	v_readfirstlane_b32 s12, v2
	v_add_u32_e32 v1, s12, v1
	v_mov_b32_e32 v2, 0
	ds_write_b32 v2, v1
.LBB499_4:
	s_or_b64 exec, exec, s[6:7]
	v_mov_b32_e32 v1, 0
	s_load_dwordx4 s[28:31], s[4:5], 0x28
	s_load_dword s6, s[4:5], 0x70
	s_waitcnt lgkmcnt(0)
	s_barrier
	ds_read_b32 v6, v1
	s_waitcnt lgkmcnt(0)
	s_barrier
	global_load_dwordx2 v[2:3], v1, s[22:23]
	s_lshl_b64 s[36:37], s[10:11], 3
	s_add_u32 s22, s8, s36
	s_addc_u32 s23, s9, s37
	s_add_i32 s12, s6, -1
	s_lshl_b32 s8, s6, 9
	s_lshl_b32 s6, s12, 9
	s_add_i32 s6, s10, s6
	v_readfirstlane_b32 s33, v6
	s_sub_i32 s48, s24, s6
	s_lshl_b32 s6, s33, 9
	s_add_u32 s8, s10, s8
	s_addc_u32 s9, s11, 0
	v_mov_b32_e32 v4, s24
	v_mov_b32_e32 v5, s25
	s_cmp_eq_u32 s33, s12
	v_cmp_ge_u64_e32 vcc, s[8:9], v[4:5]
	s_cselect_b64 s[24:25], -1, 0
	s_mov_b32 s7, 0
	s_and_b64 s[12:13], vcc, s[24:25]
	s_lshl_b64 s[8:9], s[6:7], 3
	s_xor_b64 s[34:35], s[12:13], -1
	s_add_u32 s6, s22, s8
	s_mov_b64 s[4:5], -1
	v_lshrrev_b32_e32 v18, 2, v0
	s_addc_u32 s7, s23, s9
	s_and_b64 vcc, exec, s[34:35]
	s_waitcnt vmcnt(0)
	v_readfirstlane_b32 s22, v2
	v_readfirstlane_b32 s23, v3
	s_cbranch_vccz .LBB499_6
; %bb.5:
	v_lshlrev_b32_e32 v1, 3, v0
	global_load_dwordx2 v[2:3], v1, s[6:7]
	global_load_dwordx2 v[4:5], v1, s[6:7] offset:1024
	global_load_dwordx2 v[6:7], v1, s[6:7] offset:2048
	;; [unrolled: 1-line block ×3, first 2 shown]
	v_or_b32_e32 v11, 0x80, v0
	v_or_b32_e32 v12, 0x100, v0
	;; [unrolled: 1-line block ×3, first 2 shown]
	v_and_b32_e32 v10, 24, v18
	v_lshrrev_b32_e32 v11, 2, v11
	v_lshrrev_b32_e32 v12, 2, v12
	v_lshrrev_b32_e32 v13, 2, v13
	v_add_u32_e32 v10, v10, v1
	v_and_b32_e32 v11, 56, v11
	v_and_b32_e32 v12, 0x58, v12
	;; [unrolled: 1-line block ×3, first 2 shown]
	v_add_u32_e32 v11, v11, v1
	v_add_u32_e32 v12, v12, v1
	;; [unrolled: 1-line block ×3, first 2 shown]
	s_mov_b64 s[4:5], 0
	s_waitcnt vmcnt(3)
	ds_write_b64 v10, v[2:3]
	s_waitcnt vmcnt(2)
	ds_write_b64 v11, v[4:5] offset:1024
	s_waitcnt vmcnt(1)
	ds_write_b64 v12, v[6:7] offset:2048
	;; [unrolled: 2-line block ×3, first 2 shown]
	s_waitcnt lgkmcnt(0)
	s_barrier
.LBB499_6:
	s_andn2_b64 vcc, exec, s[4:5]
	v_cmp_gt_u32_e64 s[4:5], s48, v0
	s_cbranch_vccnz .LBB499_16
; %bb.7:
                                        ; implicit-def: $vgpr2_vgpr3_vgpr4_vgpr5_vgpr6_vgpr7_vgpr8_vgpr9
	s_and_saveexec_b64 s[38:39], s[4:5]
	s_cbranch_execz .LBB499_9
; %bb.8:
	v_lshlrev_b32_e32 v1, 3, v0
	global_load_dwordx2 v[2:3], v1, s[6:7]
.LBB499_9:
	s_or_b64 exec, exec, s[38:39]
	v_or_b32_e32 v1, 0x80, v0
	v_cmp_gt_u32_e32 vcc, s48, v1
	s_and_saveexec_b64 s[4:5], vcc
	s_cbranch_execz .LBB499_11
; %bb.10:
	v_lshlrev_b32_e32 v4, 3, v0
	global_load_dwordx2 v[4:5], v4, s[6:7] offset:1024
.LBB499_11:
	s_or_b64 exec, exec, s[4:5]
	v_or_b32_e32 v10, 0x100, v0
	v_cmp_gt_u32_e32 vcc, s48, v10
	s_and_saveexec_b64 s[4:5], vcc
	s_cbranch_execz .LBB499_13
; %bb.12:
	v_lshlrev_b32_e32 v6, 3, v0
	global_load_dwordx2 v[6:7], v6, s[6:7] offset:2048
.LBB499_13:
	;; [unrolled: 9-line block ×3, first 2 shown]
	s_or_b64 exec, exec, s[4:5]
	v_lshrrev_b32_e32 v1, 2, v1
	v_lshlrev_b32_e32 v13, 3, v0
	v_and_b32_e32 v1, 56, v1
	v_add_u32_e32 v1, v1, v13
	s_waitcnt vmcnt(0)
	ds_write_b64 v1, v[4:5] offset:1024
	v_lshrrev_b32_e32 v1, 2, v10
	v_and_b32_e32 v1, 0x78, v1
	v_add_u32_e32 v1, v1, v13
	ds_write_b64 v1, v[6:7] offset:2048
	v_lshrrev_b32_e32 v1, 2, v11
	v_and_b32_e32 v12, 24, v18
	v_and_b32_e32 v1, 0x78, v1
	v_add_u32_e32 v12, v12, v13
	v_add_u32_e32 v1, v1, v13
	ds_write_b64 v12, v[2:3]
	ds_write_b64 v1, v[8:9] offset:3072
	s_waitcnt lgkmcnt(0)
	s_barrier
.LBB499_16:
	v_lshlrev_b32_e32 v1, 2, v0
	v_lshrrev_b32_e32 v2, 3, v0
	v_add_lshl_u32 v19, v2, v1, 3
	ds_read2_b64 v[14:17], v19 offset1:1
	ds_read2_b64 v[10:13], v19 offset0:2 offset1:3
	s_add_u32 s4, s14, s36
	s_addc_u32 s5, s15, s37
	s_add_u32 s4, s4, s8
	s_addc_u32 s5, s5, s9
	s_mov_b64 s[8:9], -1
	s_and_b64 vcc, exec, s[34:35]
	s_waitcnt lgkmcnt(0)
	s_barrier
	s_cbranch_vccz .LBB499_18
; %bb.17:
	v_lshlrev_b32_e32 v20, 3, v0
	global_load_dwordx2 v[2:3], v20, s[4:5]
	global_load_dwordx2 v[4:5], v20, s[4:5] offset:1024
	global_load_dwordx2 v[6:7], v20, s[4:5] offset:2048
	;; [unrolled: 1-line block ×3, first 2 shown]
	v_or_b32_e32 v22, 0x80, v0
	v_or_b32_e32 v23, 0x100, v0
	;; [unrolled: 1-line block ×3, first 2 shown]
	v_and_b32_e32 v21, 24, v18
	v_lshrrev_b32_e32 v22, 2, v22
	v_lshrrev_b32_e32 v23, 2, v23
	;; [unrolled: 1-line block ×3, first 2 shown]
	v_add_u32_e32 v21, v21, v20
	v_and_b32_e32 v22, 56, v22
	v_and_b32_e32 v23, 0x58, v23
	;; [unrolled: 1-line block ×3, first 2 shown]
	v_add_u32_e32 v22, v22, v20
	v_add_u32_e32 v23, v23, v20
	v_add_u32_e32 v20, v24, v20
	s_mov_b64 s[8:9], 0
	s_waitcnt vmcnt(3)
	ds_write_b64 v21, v[2:3]
	s_waitcnt vmcnt(2)
	ds_write_b64 v22, v[4:5] offset:1024
	s_waitcnt vmcnt(1)
	ds_write_b64 v23, v[6:7] offset:2048
	;; [unrolled: 2-line block ×3, first 2 shown]
	s_waitcnt lgkmcnt(0)
	s_barrier
.LBB499_18:
	s_andn2_b64 vcc, exec, s[8:9]
	s_cbranch_vccnz .LBB499_28
; %bb.19:
	v_cmp_gt_u32_e32 vcc, s48, v0
                                        ; implicit-def: $vgpr2_vgpr3
	s_and_saveexec_b64 s[8:9], vcc
	s_cbranch_execz .LBB499_21
; %bb.20:
	v_lshlrev_b32_e32 v2, 3, v0
	global_load_dwordx2 v[2:3], v2, s[4:5]
.LBB499_21:
	s_or_b64 exec, exec, s[8:9]
	v_or_b32_e32 v20, 0x80, v0
	v_cmp_gt_u32_e32 vcc, s48, v20
                                        ; implicit-def: $vgpr4_vgpr5
	s_and_saveexec_b64 s[8:9], vcc
	s_cbranch_execz .LBB499_23
; %bb.22:
	v_lshlrev_b32_e32 v4, 3, v0
	global_load_dwordx2 v[4:5], v4, s[4:5] offset:1024
.LBB499_23:
	s_or_b64 exec, exec, s[8:9]
	v_or_b32_e32 v21, 0x100, v0
	v_cmp_gt_u32_e32 vcc, s48, v21
                                        ; implicit-def: $vgpr6_vgpr7
	s_and_saveexec_b64 s[8:9], vcc
	s_cbranch_execz .LBB499_25
; %bb.24:
	v_lshlrev_b32_e32 v6, 3, v0
	global_load_dwordx2 v[6:7], v6, s[4:5] offset:2048
.LBB499_25:
	s_or_b64 exec, exec, s[8:9]
	v_or_b32_e32 v22, 0x180, v0
	v_cmp_gt_u32_e32 vcc, s48, v22
                                        ; implicit-def: $vgpr8_vgpr9
	s_and_saveexec_b64 s[8:9], vcc
	s_cbranch_execz .LBB499_27
; %bb.26:
	v_lshlrev_b32_e32 v8, 3, v0
	global_load_dwordx2 v[8:9], v8, s[4:5] offset:3072
.LBB499_27:
	s_or_b64 exec, exec, s[8:9]
	v_and_b32_e32 v18, 24, v18
	v_lshlrev_b32_e32 v23, 3, v0
	v_add_u32_e32 v18, v18, v23
	s_waitcnt vmcnt(0)
	ds_write_b64 v18, v[2:3]
	v_lshrrev_b32_e32 v2, 2, v20
	v_and_b32_e32 v2, 56, v2
	v_add_u32_e32 v2, v2, v23
	ds_write_b64 v2, v[4:5] offset:1024
	v_lshrrev_b32_e32 v2, 2, v21
	v_and_b32_e32 v2, 0x78, v2
	v_add_u32_e32 v2, v2, v23
	ds_write_b64 v2, v[6:7] offset:2048
	;; [unrolled: 4-line block ×3, first 2 shown]
	s_waitcnt lgkmcnt(0)
	s_barrier
.LBB499_28:
	ds_read2_b64 v[6:9], v19 offset1:1
	ds_read2_b64 v[2:5], v19 offset0:2 offset1:3
	s_cmp_lg_u32 s33, 0
	s_cselect_b64 s[36:37], -1, 0
	s_cmp_lg_u64 s[10:11], 0
	s_cselect_b64 s[4:5], -1, 0
	s_or_b64 s[4:5], s[4:5], s[36:37]
	s_mov_b64 s[14:15], 0
	s_and_b64 vcc, exec, s[4:5]
	v_cmp_gt_i64_e64 s[4:5], s[26:27], 0
	s_waitcnt lgkmcnt(0)
	s_barrier
	s_cbranch_vccz .LBB499_37
; %bb.29:
	v_mov_b32_e32 v18, 0
	global_load_dwordx2 v[18:19], v18, s[6:7] offset:-8
	v_cndmask_b32_e64 v20, 0, 1, s[4:5]
	v_lshlrev_b32_e32 v29, 3, v0
	s_mov_b64 s[10:11], 0
	s_and_b64 vcc, exec, s[34:35]
	v_cmp_ne_u32_e64 s[4:5], 1, v20
	ds_write_b64 v29, v[12:13]
	s_cbranch_vccz .LBB499_38
; %bb.30:
	v_mul_lo_u32 v22, v11, s26
	v_mul_lo_u32 v23, v10, s27
	v_mad_u64_u32 v[20:21], s[6:7], v10, s26, 0
	v_add3_u32 v21, v21, v23, v22
	s_and_b64 vcc, exec, s[4:5]
	v_lshlrev_b64 v[20:21], 2, v[20:21]
	s_cbranch_vccnz .LBB499_41
; %bb.31:
	v_mul_lo_u32 v24, v13, s26
	v_mul_lo_u32 v25, v12, s27
	v_mad_u64_u32 v[22:23], s[6:7], v12, s26, 0
	v_add3_u32 v23, v23, v25, v24
	v_mov_b32_e32 v25, s17
	v_add_co_u32_e32 v24, vcc, s16, v20
	v_addc_co_u32_e64 v25, s[6:7], v25, v21, vcc
	v_lshlrev_b64 v[22:23], 2, v[22:23]
	v_mov_b32_e32 v27, s17
	v_add_co_u32_e64 v26, s[6:7], s16, v22
	v_addc_co_u32_e64 v27, s[8:9], v27, v23, s[6:7]
	global_load_dword v22, v[24:25], off
	global_load_dword v28, v[26:27], off
	s_mov_b64 s[10:11], -1
	s_waitcnt vmcnt(0)
	v_cmp_eq_u32_e64 s[8:9], v22, v28
	s_and_saveexec_b64 s[14:15], s[8:9]
	s_cbranch_execz .LBB499_40
; %bb.32:
	v_mov_b32_e32 v22, s17
	v_addc_co_u32_e64 v23, s[6:7], v23, v22, s[6:7]
	v_add_co_u32_e64 v22, s[6:7], 4, v26
	v_mov_b32_e32 v25, s17
	v_addc_co_u32_e64 v23, s[6:7], 0, v23, s[6:7]
	v_addc_co_u32_e32 v25, vcc, v21, v25, vcc
	v_add_co_u32_e32 v24, vcc, 4, v24
	s_add_u32 s6, s26, -1
	v_addc_co_u32_e32 v25, vcc, 0, v25, vcc
	s_addc_u32 s7, s27, -1
	s_mov_b64 s[8:9], 0
	s_mov_b64 s[38:39], 0
                                        ; implicit-def: $sgpr10_sgpr11
	s_branch .LBB499_35
.LBB499_33:                             ;   in Loop: Header=BB499_35 Depth=1
	global_load_dword v26, v[24:25], off
	global_load_dword v27, v[22:23], off
	v_add_co_u32_e32 v22, vcc, 4, v22
	v_addc_co_u32_e32 v23, vcc, 0, v23, vcc
	v_add_co_u32_e32 v24, vcc, 4, v24
	v_addc_co_u32_e32 v25, vcc, 0, v25, vcc
	s_add_u32 s38, s38, 1
	s_addc_u32 s39, s39, 0
	s_andn2_b64 s[10:11], s[10:11], exec
	s_waitcnt vmcnt(0)
	v_cmp_ne_u32_e32 vcc, v26, v27
	s_and_b64 s[40:41], vcc, exec
	s_or_b64 s[10:11], s[10:11], s[40:41]
.LBB499_34:                             ;   in Loop: Header=BB499_35 Depth=1
	s_and_b64 s[40:41], exec, s[10:11]
	s_or_b64 s[8:9], s[40:41], s[8:9]
	v_pk_mov_b32 v[26:27], s[38:39], s[38:39] op_sel:[0,1]
	s_andn2_b64 exec, exec, s[8:9]
	s_cbranch_execz .LBB499_39
.LBB499_35:                             ; =>This Inner Loop Header: Depth=1
	s_or_b64 s[10:11], s[10:11], exec
	s_cmp_eq_u64 s[6:7], s[38:39]
	s_cbranch_scc0 .LBB499_33
; %bb.36:                               ;   in Loop: Header=BB499_35 Depth=1
                                        ; implicit-def: $vgpr22_vgpr23
                                        ; implicit-def: $vgpr24_vgpr25
	s_mov_b64 s[38:39], s[26:27]
	s_branch .LBB499_34
.LBB499_37:
                                        ; implicit-def: $sgpr38_sgpr39
                                        ; implicit-def: $vgpr28
	s_branch .LBB499_119
.LBB499_38:
                                        ; implicit-def: $sgpr38_sgpr39
                                        ; implicit-def: $vgpr28
	s_cbranch_execnz .LBB499_71
	s_branch .LBB499_118
.LBB499_39:
	s_or_b64 exec, exec, s[8:9]
	v_cmp_gt_i64_e32 vcc, s[26:27], v[26:27]
	s_orn2_b64 s[10:11], vcc, exec
.LBB499_40:
	s_or_b64 exec, exec, s[14:15]
.LBB499_41:
	v_mul_lo_u32 v24, v17, s26
	v_mul_lo_u32 v25, v16, s27
	v_mad_u64_u32 v[22:23], s[6:7], v16, s26, 0
	v_add3_u32 v23, v23, v25, v24
	s_mov_b64 s[14:15], 0
	s_and_b64 vcc, exec, s[4:5]
	v_lshlrev_b64 v[22:23], 2, v[22:23]
	s_mov_b64 s[38:39], 0
	s_cbranch_vccnz .LBB499_50
; %bb.42:
	v_mov_b32_e32 v25, s17
	v_add_co_u32_e32 v24, vcc, s16, v22
	v_addc_co_u32_e64 v25, s[6:7], v25, v23, vcc
	v_mov_b32_e32 v27, s17
	v_add_co_u32_e64 v26, s[6:7], s16, v20
	v_addc_co_u32_e64 v27, s[8:9], v27, v21, s[6:7]
	global_load_dword v20, v[24:25], off
	global_load_dword v28, v[26:27], off
	s_mov_b64 s[38:39], -1
	s_waitcnt vmcnt(0)
	v_cmp_eq_u32_e64 s[8:9], v20, v28
	s_and_saveexec_b64 s[40:41], s[8:9]
	s_cbranch_execz .LBB499_49
; %bb.43:
	v_mov_b32_e32 v20, s17
	v_addc_co_u32_e64 v21, s[6:7], v21, v20, s[6:7]
	v_add_co_u32_e64 v20, s[6:7], 4, v26
	v_mov_b32_e32 v25, s17
	v_addc_co_u32_e64 v21, s[6:7], 0, v21, s[6:7]
	v_addc_co_u32_e32 v25, vcc, v23, v25, vcc
	v_add_co_u32_e32 v24, vcc, 4, v24
	s_add_u32 s6, s26, -1
	v_addc_co_u32_e32 v25, vcc, 0, v25, vcc
	s_addc_u32 s7, s27, -1
	s_mov_b64 s[8:9], 0
	s_mov_b64 s[42:43], 0
                                        ; implicit-def: $sgpr38_sgpr39
	s_branch .LBB499_46
.LBB499_44:                             ;   in Loop: Header=BB499_46 Depth=1
	global_load_dword v26, v[24:25], off
	global_load_dword v27, v[20:21], off
	v_add_co_u32_e32 v20, vcc, 4, v20
	v_addc_co_u32_e32 v21, vcc, 0, v21, vcc
	v_add_co_u32_e32 v24, vcc, 4, v24
	v_addc_co_u32_e32 v25, vcc, 0, v25, vcc
	s_add_u32 s42, s42, 1
	s_addc_u32 s43, s43, 0
	s_andn2_b64 s[38:39], s[38:39], exec
	s_waitcnt vmcnt(0)
	v_cmp_ne_u32_e32 vcc, v26, v27
	s_and_b64 s[44:45], vcc, exec
	s_or_b64 s[38:39], s[38:39], s[44:45]
.LBB499_45:                             ;   in Loop: Header=BB499_46 Depth=1
	s_and_b64 s[44:45], exec, s[38:39]
	s_or_b64 s[8:9], s[44:45], s[8:9]
	v_pk_mov_b32 v[26:27], s[42:43], s[42:43] op_sel:[0,1]
	s_andn2_b64 exec, exec, s[8:9]
	s_cbranch_execz .LBB499_48
.LBB499_46:                             ; =>This Inner Loop Header: Depth=1
	s_or_b64 s[38:39], s[38:39], exec
	s_cmp_eq_u64 s[6:7], s[42:43]
	s_cbranch_scc0 .LBB499_44
; %bb.47:                               ;   in Loop: Header=BB499_46 Depth=1
                                        ; implicit-def: $vgpr20_vgpr21
                                        ; implicit-def: $vgpr24_vgpr25
	s_mov_b64 s[42:43], s[26:27]
	s_branch .LBB499_45
.LBB499_48:
	s_or_b64 exec, exec, s[8:9]
	v_cmp_gt_i64_e32 vcc, s[26:27], v[26:27]
	s_orn2_b64 s[38:39], vcc, exec
.LBB499_49:
	s_or_b64 exec, exec, s[40:41]
.LBB499_50:
	v_mul_lo_u32 v24, v15, s26
	v_mul_lo_u32 v25, v14, s27
	v_mad_u64_u32 v[20:21], s[6:7], v14, s26, 0
	v_add3_u32 v21, v21, v25, v24
	s_and_b64 vcc, exec, s[4:5]
	v_lshlrev_b64 v[20:21], 2, v[20:21]
	s_cbranch_vccnz .LBB499_59
; %bb.51:
	v_mov_b32_e32 v25, s17
	v_add_co_u32_e32 v24, vcc, s16, v20
	v_addc_co_u32_e64 v25, s[6:7], v25, v21, vcc
	v_mov_b32_e32 v27, s17
	v_add_co_u32_e64 v26, s[6:7], s16, v22
	v_addc_co_u32_e64 v27, s[8:9], v27, v23, s[6:7]
	global_load_dword v22, v[24:25], off
	global_load_dword v28, v[26:27], off
	s_mov_b64 s[14:15], -1
	s_waitcnt vmcnt(0)
	v_cmp_eq_u32_e64 s[8:9], v22, v28
	s_and_saveexec_b64 s[40:41], s[8:9]
	s_cbranch_execz .LBB499_58
; %bb.52:
	v_mov_b32_e32 v22, s17
	v_addc_co_u32_e64 v23, s[6:7], v23, v22, s[6:7]
	v_add_co_u32_e64 v22, s[6:7], 4, v26
	v_mov_b32_e32 v25, s17
	v_addc_co_u32_e64 v23, s[6:7], 0, v23, s[6:7]
	v_addc_co_u32_e32 v25, vcc, v21, v25, vcc
	v_add_co_u32_e32 v24, vcc, 4, v24
	s_add_u32 s6, s26, -1
	v_addc_co_u32_e32 v25, vcc, 0, v25, vcc
	s_addc_u32 s7, s27, -1
	s_mov_b64 s[8:9], 0
	s_mov_b64 s[42:43], 0
                                        ; implicit-def: $sgpr14_sgpr15
	s_branch .LBB499_55
.LBB499_53:                             ;   in Loop: Header=BB499_55 Depth=1
	global_load_dword v26, v[24:25], off
	global_load_dword v27, v[22:23], off
	v_add_co_u32_e32 v22, vcc, 4, v22
	v_addc_co_u32_e32 v23, vcc, 0, v23, vcc
	v_add_co_u32_e32 v24, vcc, 4, v24
	v_addc_co_u32_e32 v25, vcc, 0, v25, vcc
	s_add_u32 s42, s42, 1
	s_addc_u32 s43, s43, 0
	s_andn2_b64 s[14:15], s[14:15], exec
	s_waitcnt vmcnt(0)
	v_cmp_ne_u32_e32 vcc, v26, v27
	s_and_b64 s[44:45], vcc, exec
	s_or_b64 s[14:15], s[14:15], s[44:45]
.LBB499_54:                             ;   in Loop: Header=BB499_55 Depth=1
	s_and_b64 s[44:45], exec, s[14:15]
	s_or_b64 s[8:9], s[44:45], s[8:9]
	v_pk_mov_b32 v[26:27], s[42:43], s[42:43] op_sel:[0,1]
	s_andn2_b64 exec, exec, s[8:9]
	s_cbranch_execz .LBB499_57
.LBB499_55:                             ; =>This Inner Loop Header: Depth=1
	s_or_b64 s[14:15], s[14:15], exec
	s_cmp_eq_u64 s[6:7], s[42:43]
	s_cbranch_scc0 .LBB499_53
; %bb.56:                               ;   in Loop: Header=BB499_55 Depth=1
                                        ; implicit-def: $vgpr22_vgpr23
                                        ; implicit-def: $vgpr24_vgpr25
	s_mov_b64 s[42:43], s[26:27]
	s_branch .LBB499_54
.LBB499_57:
	s_or_b64 exec, exec, s[8:9]
	v_cmp_gt_i64_e32 vcc, s[26:27], v[26:27]
	s_orn2_b64 s[14:15], vcc, exec
.LBB499_58:
	s_or_b64 exec, exec, s[40:41]
.LBB499_59:
	s_waitcnt vmcnt(0)
	v_pk_mov_b32 v[22:23], v[18:19], v[18:19] op_sel:[0,1]
	s_waitcnt lgkmcnt(0)
	s_barrier
	s_and_saveexec_b64 s[6:7], s[2:3]
	s_cbranch_execz .LBB499_61
; %bb.60:
	v_add_u32_e32 v22, -8, v29
	ds_read_b64 v[22:23], v22
.LBB499_61:
	s_or_b64 exec, exec, s[6:7]
	v_cndmask_b32_e64 v25, 0, 1, s[10:11]
	v_cndmask_b32_e64 v24, 0, 1, s[38:39]
	;; [unrolled: 1-line block ×3, first 2 shown]
	v_lshlrev_b16_e32 v25, 8, v25
	v_lshlrev_b16_e32 v28, 8, v26
	v_or_b32_sdwa v30, v24, v25 dst_sel:WORD_1 dst_unused:UNUSED_PAD src0_sel:DWORD src1_sel:DWORD
	s_mov_b64 s[10:11], 0
	s_and_b64 vcc, exec, s[4:5]
	s_mov_b64 s[38:39], 0
	s_cbranch_vccnz .LBB499_70
; %bb.62:
	s_waitcnt lgkmcnt(0)
	v_mul_lo_u32 v24, v23, s26
	v_mul_lo_u32 v25, v22, s27
	v_mad_u64_u32 v[22:23], s[6:7], v22, s26, 0
	v_add3_u32 v23, v23, v25, v24
	v_lshlrev_b64 v[22:23], 2, v[22:23]
	v_mov_b32_e32 v25, s17
	v_add_co_u32_e32 v24, vcc, s16, v22
	v_addc_co_u32_e64 v25, s[6:7], v25, v23, vcc
	v_mov_b32_e32 v22, s17
	v_add_co_u32_e64 v26, s[6:7], s16, v20
	v_addc_co_u32_e64 v27, s[8:9], v22, v21, s[6:7]
	global_load_dword v20, v[24:25], off
	global_load_dword v22, v[26:27], off
	s_mov_b64 s[38:39], -1
	s_waitcnt vmcnt(0)
	v_cmp_eq_u32_e64 s[8:9], v20, v22
	s_and_saveexec_b64 s[14:15], s[8:9]
	s_cbranch_execz .LBB499_69
; %bb.63:
	v_mov_b32_e32 v20, s17
	v_addc_co_u32_e64 v21, s[6:7], v21, v20, s[6:7]
	v_add_co_u32_e64 v20, s[6:7], 4, v26
	v_mov_b32_e32 v22, s17
	v_addc_co_u32_e64 v21, s[6:7], 0, v21, s[6:7]
	v_addc_co_u32_e32 v23, vcc, v23, v22, vcc
	v_add_co_u32_e32 v22, vcc, 4, v24
	s_add_u32 s6, s26, -1
	v_addc_co_u32_e32 v23, vcc, 0, v23, vcc
	s_addc_u32 s7, s27, -1
	s_mov_b64 s[8:9], 0
	s_mov_b64 s[40:41], 0
                                        ; implicit-def: $sgpr38_sgpr39
	s_branch .LBB499_66
.LBB499_64:                             ;   in Loop: Header=BB499_66 Depth=1
	global_load_dword v24, v[22:23], off
	global_load_dword v25, v[20:21], off
	v_add_co_u32_e32 v20, vcc, 4, v20
	v_addc_co_u32_e32 v21, vcc, 0, v21, vcc
	v_add_co_u32_e32 v22, vcc, 4, v22
	v_addc_co_u32_e32 v23, vcc, 0, v23, vcc
	s_add_u32 s40, s40, 1
	s_addc_u32 s41, s41, 0
	s_andn2_b64 s[38:39], s[38:39], exec
	s_waitcnt vmcnt(0)
	v_cmp_ne_u32_e32 vcc, v24, v25
	s_and_b64 s[42:43], vcc, exec
	s_or_b64 s[38:39], s[38:39], s[42:43]
.LBB499_65:                             ;   in Loop: Header=BB499_66 Depth=1
	s_and_b64 s[42:43], exec, s[38:39]
	s_or_b64 s[8:9], s[42:43], s[8:9]
	v_pk_mov_b32 v[24:25], s[40:41], s[40:41] op_sel:[0,1]
	s_andn2_b64 exec, exec, s[8:9]
	s_cbranch_execz .LBB499_68
.LBB499_66:                             ; =>This Inner Loop Header: Depth=1
	s_or_b64 s[38:39], s[38:39], exec
	s_cmp_eq_u64 s[6:7], s[40:41]
	s_cbranch_scc0 .LBB499_64
; %bb.67:                               ;   in Loop: Header=BB499_66 Depth=1
                                        ; implicit-def: $vgpr20_vgpr21
                                        ; implicit-def: $vgpr22_vgpr23
	s_mov_b64 s[40:41], s[26:27]
	s_branch .LBB499_65
.LBB499_68:
	s_or_b64 exec, exec, s[8:9]
	v_cmp_gt_i64_e32 vcc, s[26:27], v[24:25]
	s_orn2_b64 s[38:39], vcc, exec
.LBB499_69:
	s_or_b64 exec, exec, s[14:15]
.LBB499_70:
	v_or_b32_e32 v28, v28, v30
	s_and_b64 vcc, exec, s[10:11]
	s_cbranch_vccz .LBB499_118
.LBB499_71:
	v_or_b32_e32 v20, 3, v1
	v_cmp_gt_u32_e32 vcc, s48, v20
	s_mov_b64 s[14:15], 0
	s_mov_b64 s[10:11], 0
	s_and_saveexec_b64 s[38:39], vcc
	s_cbranch_execz .LBB499_82
; %bb.72:
	s_and_b64 vcc, exec, s[4:5]
	s_mov_b64 s[40:41], 0
	s_cbranch_vccnz .LBB499_81
; %bb.73:
	s_waitcnt lgkmcnt(0)
	v_mul_lo_u32 v22, v11, s26
	v_mul_lo_u32 v23, v10, s27
	v_mad_u64_u32 v[20:21], s[6:7], v10, s26, 0
	v_add3_u32 v21, v21, v23, v22
	v_mul_lo_u32 v22, v13, s26
	v_mul_lo_u32 v23, v12, s27
	v_mad_u64_u32 v[26:27], s[6:7], v12, s26, 0
	v_add3_u32 v27, v27, v23, v22
	v_lshlrev_b64 v[22:23], 2, v[20:21]
	v_mov_b32_e32 v20, s17
	v_add_co_u32_e32 v24, vcc, s16, v22
	v_addc_co_u32_e64 v25, s[6:7], v20, v23, vcc
	v_lshlrev_b64 v[20:21], 2, v[26:27]
	v_mov_b32_e32 v22, s17
	v_add_co_u32_e64 v26, s[6:7], s16, v20
	v_addc_co_u32_e64 v27, s[8:9], v22, v21, s[6:7]
	global_load_dword v20, v[24:25], off
	global_load_dword v22, v[26:27], off
	s_mov_b64 s[40:41], -1
	s_waitcnt vmcnt(0)
	v_cmp_eq_u32_e64 s[8:9], v20, v22
	s_and_saveexec_b64 s[10:11], s[8:9]
	s_cbranch_execz .LBB499_80
; %bb.74:
	v_mov_b32_e32 v20, s17
	v_addc_co_u32_e64 v21, s[6:7], v21, v20, s[6:7]
	v_add_co_u32_e64 v20, s[6:7], 4, v26
	v_mov_b32_e32 v22, s17
	v_addc_co_u32_e64 v21, s[6:7], 0, v21, s[6:7]
	v_addc_co_u32_e32 v23, vcc, v23, v22, vcc
	v_add_co_u32_e32 v22, vcc, 4, v24
	s_add_u32 s6, s26, -1
	v_addc_co_u32_e32 v23, vcc, 0, v23, vcc
	s_addc_u32 s7, s27, -1
	s_mov_b64 s[8:9], 0
	s_mov_b64 s[42:43], 0
                                        ; implicit-def: $sgpr40_sgpr41
	s_branch .LBB499_77
.LBB499_75:                             ;   in Loop: Header=BB499_77 Depth=1
	global_load_dword v24, v[22:23], off
	global_load_dword v25, v[20:21], off
	v_add_co_u32_e32 v20, vcc, 4, v20
	v_addc_co_u32_e32 v21, vcc, 0, v21, vcc
	v_add_co_u32_e32 v22, vcc, 4, v22
	v_addc_co_u32_e32 v23, vcc, 0, v23, vcc
	s_add_u32 s42, s42, 1
	s_addc_u32 s43, s43, 0
	s_andn2_b64 s[40:41], s[40:41], exec
	s_waitcnt vmcnt(0)
	v_cmp_ne_u32_e32 vcc, v24, v25
	s_and_b64 s[44:45], vcc, exec
	s_or_b64 s[40:41], s[40:41], s[44:45]
.LBB499_76:                             ;   in Loop: Header=BB499_77 Depth=1
	s_and_b64 s[44:45], exec, s[40:41]
	s_or_b64 s[8:9], s[44:45], s[8:9]
	v_pk_mov_b32 v[24:25], s[42:43], s[42:43] op_sel:[0,1]
	s_andn2_b64 exec, exec, s[8:9]
	s_cbranch_execz .LBB499_79
.LBB499_77:                             ; =>This Inner Loop Header: Depth=1
	s_or_b64 s[40:41], s[40:41], exec
	s_cmp_eq_u64 s[6:7], s[42:43]
	s_cbranch_scc0 .LBB499_75
; %bb.78:                               ;   in Loop: Header=BB499_77 Depth=1
                                        ; implicit-def: $vgpr20_vgpr21
                                        ; implicit-def: $vgpr22_vgpr23
	s_mov_b64 s[42:43], s[26:27]
	s_branch .LBB499_76
.LBB499_79:
	s_or_b64 exec, exec, s[8:9]
	v_cmp_gt_i64_e32 vcc, s[26:27], v[24:25]
	s_orn2_b64 s[40:41], vcc, exec
.LBB499_80:
	s_or_b64 exec, exec, s[10:11]
.LBB499_81:
	s_and_b64 s[10:11], s[40:41], exec
.LBB499_82:
	s_or_b64 exec, exec, s[38:39]
	v_or_b32_e32 v20, 2, v1
	v_cmp_gt_u32_e32 vcc, s48, v20
	s_and_saveexec_b64 s[38:39], vcc
	s_cbranch_execz .LBB499_93
; %bb.83:
	s_and_b64 vcc, exec, s[4:5]
	s_mov_b64 s[40:41], 0
	s_cbranch_vccnz .LBB499_92
; %bb.84:
	s_waitcnt lgkmcnt(0)
	v_mul_lo_u32 v22, v17, s26
	v_mul_lo_u32 v23, v16, s27
	v_mad_u64_u32 v[20:21], s[6:7], v16, s26, 0
	v_add3_u32 v21, v21, v23, v22
	v_mul_lo_u32 v22, v11, s26
	v_mul_lo_u32 v23, v10, s27
	v_mad_u64_u32 v[26:27], s[6:7], v10, s26, 0
	v_add3_u32 v27, v27, v23, v22
	v_lshlrev_b64 v[22:23], 2, v[20:21]
	v_mov_b32_e32 v20, s17
	v_add_co_u32_e32 v24, vcc, s16, v22
	v_addc_co_u32_e64 v25, s[6:7], v20, v23, vcc
	v_lshlrev_b64 v[20:21], 2, v[26:27]
	v_mov_b32_e32 v22, s17
	v_add_co_u32_e64 v26, s[6:7], s16, v20
	v_addc_co_u32_e64 v27, s[8:9], v22, v21, s[6:7]
	global_load_dword v20, v[24:25], off
	global_load_dword v22, v[26:27], off
	s_mov_b64 s[40:41], -1
	s_waitcnt vmcnt(0)
	v_cmp_eq_u32_e64 s[8:9], v20, v22
	s_and_saveexec_b64 s[14:15], s[8:9]
	s_cbranch_execz .LBB499_91
; %bb.85:
	v_mov_b32_e32 v20, s17
	v_addc_co_u32_e64 v21, s[6:7], v21, v20, s[6:7]
	v_add_co_u32_e64 v20, s[6:7], 4, v26
	v_mov_b32_e32 v22, s17
	v_addc_co_u32_e64 v21, s[6:7], 0, v21, s[6:7]
	v_addc_co_u32_e32 v23, vcc, v23, v22, vcc
	v_add_co_u32_e32 v22, vcc, 4, v24
	s_add_u32 s6, s26, -1
	v_addc_co_u32_e32 v23, vcc, 0, v23, vcc
	s_addc_u32 s7, s27, -1
	s_mov_b64 s[8:9], 0
	s_mov_b64 s[42:43], 0
                                        ; implicit-def: $sgpr40_sgpr41
	s_branch .LBB499_88
.LBB499_86:                             ;   in Loop: Header=BB499_88 Depth=1
	global_load_dword v24, v[22:23], off
	global_load_dword v25, v[20:21], off
	v_add_co_u32_e32 v20, vcc, 4, v20
	v_addc_co_u32_e32 v21, vcc, 0, v21, vcc
	v_add_co_u32_e32 v22, vcc, 4, v22
	v_addc_co_u32_e32 v23, vcc, 0, v23, vcc
	s_add_u32 s42, s42, 1
	s_addc_u32 s43, s43, 0
	s_andn2_b64 s[40:41], s[40:41], exec
	s_waitcnt vmcnt(0)
	v_cmp_ne_u32_e32 vcc, v24, v25
	s_and_b64 s[44:45], vcc, exec
	s_or_b64 s[40:41], s[40:41], s[44:45]
.LBB499_87:                             ;   in Loop: Header=BB499_88 Depth=1
	s_and_b64 s[44:45], exec, s[40:41]
	s_or_b64 s[8:9], s[44:45], s[8:9]
	v_pk_mov_b32 v[24:25], s[42:43], s[42:43] op_sel:[0,1]
	s_andn2_b64 exec, exec, s[8:9]
	s_cbranch_execz .LBB499_90
.LBB499_88:                             ; =>This Inner Loop Header: Depth=1
	s_or_b64 s[40:41], s[40:41], exec
	s_cmp_eq_u64 s[6:7], s[42:43]
	s_cbranch_scc0 .LBB499_86
; %bb.89:                               ;   in Loop: Header=BB499_88 Depth=1
                                        ; implicit-def: $vgpr20_vgpr21
                                        ; implicit-def: $vgpr22_vgpr23
	s_mov_b64 s[42:43], s[26:27]
	s_branch .LBB499_87
.LBB499_90:
	s_or_b64 exec, exec, s[8:9]
	v_cmp_gt_i64_e32 vcc, s[26:27], v[24:25]
	s_orn2_b64 s[40:41], vcc, exec
.LBB499_91:
	s_or_b64 exec, exec, s[14:15]
.LBB499_92:
	s_and_b64 s[14:15], s[40:41], exec
.LBB499_93:
	s_or_b64 exec, exec, s[38:39]
	v_or_b32_e32 v20, 1, v1
	v_cmp_gt_u32_e32 vcc, s48, v20
	s_mov_b64 s[6:7], 0
	s_and_saveexec_b64 s[38:39], vcc
	s_cbranch_execz .LBB499_104
; %bb.94:
	s_and_b64 vcc, exec, s[4:5]
	s_mov_b64 s[42:43], 0
	s_cbranch_vccnz .LBB499_103
; %bb.95:
	s_waitcnt lgkmcnt(0)
	v_mul_lo_u32 v22, v15, s26
	v_mul_lo_u32 v23, v14, s27
	v_mad_u64_u32 v[20:21], s[6:7], v14, s26, 0
	v_add3_u32 v21, v21, v23, v22
	v_mul_lo_u32 v22, v17, s26
	v_mul_lo_u32 v23, v16, s27
	v_mad_u64_u32 v[26:27], s[6:7], v16, s26, 0
	v_add3_u32 v27, v27, v23, v22
	v_lshlrev_b64 v[22:23], 2, v[20:21]
	v_mov_b32_e32 v20, s17
	v_add_co_u32_e32 v24, vcc, s16, v22
	v_addc_co_u32_e64 v25, s[6:7], v20, v23, vcc
	v_lshlrev_b64 v[20:21], 2, v[26:27]
	v_mov_b32_e32 v22, s17
	v_add_co_u32_e64 v26, s[6:7], s16, v20
	v_addc_co_u32_e64 v27, s[8:9], v22, v21, s[6:7]
	global_load_dword v20, v[24:25], off
	global_load_dword v22, v[26:27], off
	s_mov_b64 s[42:43], -1
	s_waitcnt vmcnt(0)
	v_cmp_eq_u32_e64 s[8:9], v20, v22
	s_and_saveexec_b64 s[40:41], s[8:9]
	s_cbranch_execz .LBB499_102
; %bb.96:
	v_mov_b32_e32 v20, s17
	v_addc_co_u32_e64 v21, s[6:7], v21, v20, s[6:7]
	v_add_co_u32_e64 v20, s[6:7], 4, v26
	v_mov_b32_e32 v22, s17
	v_addc_co_u32_e64 v21, s[6:7], 0, v21, s[6:7]
	v_addc_co_u32_e32 v23, vcc, v23, v22, vcc
	v_add_co_u32_e32 v22, vcc, 4, v24
	s_add_u32 s6, s26, -1
	v_addc_co_u32_e32 v23, vcc, 0, v23, vcc
	s_addc_u32 s7, s27, -1
	s_mov_b64 s[8:9], 0
	s_mov_b64 s[44:45], 0
                                        ; implicit-def: $sgpr42_sgpr43
	s_branch .LBB499_99
.LBB499_97:                             ;   in Loop: Header=BB499_99 Depth=1
	global_load_dword v24, v[22:23], off
	global_load_dword v25, v[20:21], off
	v_add_co_u32_e32 v20, vcc, 4, v20
	v_addc_co_u32_e32 v21, vcc, 0, v21, vcc
	v_add_co_u32_e32 v22, vcc, 4, v22
	v_addc_co_u32_e32 v23, vcc, 0, v23, vcc
	s_add_u32 s44, s44, 1
	s_addc_u32 s45, s45, 0
	s_andn2_b64 s[42:43], s[42:43], exec
	s_waitcnt vmcnt(0)
	v_cmp_ne_u32_e32 vcc, v24, v25
	s_and_b64 s[46:47], vcc, exec
	s_or_b64 s[42:43], s[42:43], s[46:47]
.LBB499_98:                             ;   in Loop: Header=BB499_99 Depth=1
	s_and_b64 s[46:47], exec, s[42:43]
	s_or_b64 s[8:9], s[46:47], s[8:9]
	v_pk_mov_b32 v[24:25], s[44:45], s[44:45] op_sel:[0,1]
	s_andn2_b64 exec, exec, s[8:9]
	s_cbranch_execz .LBB499_101
.LBB499_99:                             ; =>This Inner Loop Header: Depth=1
	s_or_b64 s[42:43], s[42:43], exec
	s_cmp_eq_u64 s[6:7], s[44:45]
	s_cbranch_scc0 .LBB499_97
; %bb.100:                              ;   in Loop: Header=BB499_99 Depth=1
                                        ; implicit-def: $vgpr20_vgpr21
                                        ; implicit-def: $vgpr22_vgpr23
	s_mov_b64 s[44:45], s[26:27]
	s_branch .LBB499_98
.LBB499_101:
	s_or_b64 exec, exec, s[8:9]
	v_cmp_gt_i64_e32 vcc, s[26:27], v[24:25]
	s_orn2_b64 s[42:43], vcc, exec
.LBB499_102:
	s_or_b64 exec, exec, s[40:41]
.LBB499_103:
	s_and_b64 s[6:7], s[42:43], exec
.LBB499_104:
	s_or_b64 exec, exec, s[38:39]
	s_waitcnt lgkmcnt(0)
	s_barrier
	s_and_saveexec_b64 s[8:9], s[2:3]
	s_cbranch_execz .LBB499_106
; %bb.105:
	s_waitcnt vmcnt(0)
	v_add_u32_e32 v18, -8, v29
	ds_read_b64 v[18:19], v18
.LBB499_106:
	s_or_b64 exec, exec, s[8:9]
	v_cndmask_b32_e64 v21, 0, 1, s[10:11]
	v_cndmask_b32_e64 v20, 0, 1, s[14:15]
	v_cndmask_b32_e64 v22, 0, 1, s[6:7]
	v_lshlrev_b16_e32 v21, 8, v21
	v_lshlrev_b16_e32 v26, 8, v22
	v_or_b32_sdwa v27, v20, v21 dst_sel:WORD_1 dst_unused:UNUSED_PAD src0_sel:DWORD src1_sel:DWORD
	v_cmp_gt_u32_e32 vcc, s48, v1
	s_mov_b64 s[38:39], 0
	s_and_saveexec_b64 s[8:9], vcc
	s_cbranch_execz .LBB499_117
; %bb.107:
	s_and_b64 vcc, exec, s[4:5]
	s_mov_b64 s[14:15], 0
	s_cbranch_vccnz .LBB499_116
; %bb.108:
	s_waitcnt vmcnt(0) lgkmcnt(0)
	v_mul_lo_u32 v20, v19, s26
	v_mul_lo_u32 v21, v18, s27
	v_mad_u64_u32 v[18:19], s[4:5], v18, s26, 0
	v_add3_u32 v19, v19, v21, v20
	v_mul_lo_u32 v20, v15, s26
	v_mul_lo_u32 v21, v14, s27
	v_mad_u64_u32 v[24:25], s[4:5], v14, s26, 0
	v_add3_u32 v25, v25, v21, v20
	v_lshlrev_b64 v[20:21], 2, v[18:19]
	v_mov_b32_e32 v18, s17
	v_add_co_u32_e32 v22, vcc, s16, v20
	v_addc_co_u32_e64 v23, s[4:5], v18, v21, vcc
	v_lshlrev_b64 v[18:19], 2, v[24:25]
	v_mov_b32_e32 v20, s17
	v_add_co_u32_e64 v24, s[4:5], s16, v18
	v_addc_co_u32_e64 v25, s[6:7], v20, v19, s[4:5]
	global_load_dword v18, v[22:23], off
	global_load_dword v20, v[24:25], off
	s_mov_b64 s[14:15], -1
	s_waitcnt vmcnt(0)
	v_cmp_eq_u32_e64 s[6:7], v18, v20
	s_and_saveexec_b64 s[10:11], s[6:7]
	s_cbranch_execz .LBB499_115
; %bb.109:
	v_mov_b32_e32 v18, s17
	v_addc_co_u32_e64 v19, s[4:5], v19, v18, s[4:5]
	v_add_co_u32_e64 v18, s[4:5], 4, v24
	v_mov_b32_e32 v20, s17
	v_addc_co_u32_e64 v19, s[4:5], 0, v19, s[4:5]
	v_addc_co_u32_e32 v21, vcc, v21, v20, vcc
	v_add_co_u32_e32 v20, vcc, 4, v22
	s_add_u32 s4, s26, -1
	v_addc_co_u32_e32 v21, vcc, 0, v21, vcc
	s_addc_u32 s5, s27, -1
	s_mov_b64 s[6:7], 0
                                        ; implicit-def: $sgpr14_sgpr15
	s_branch .LBB499_112
.LBB499_110:                            ;   in Loop: Header=BB499_112 Depth=1
	global_load_dword v22, v[20:21], off
	global_load_dword v23, v[18:19], off
	v_add_co_u32_e32 v18, vcc, 4, v18
	v_addc_co_u32_e32 v19, vcc, 0, v19, vcc
	v_add_co_u32_e32 v20, vcc, 4, v20
	v_addc_co_u32_e32 v21, vcc, 0, v21, vcc
	s_add_u32 s38, s38, 1
	s_addc_u32 s39, s39, 0
	s_andn2_b64 s[14:15], s[14:15], exec
	s_waitcnt vmcnt(0)
	v_cmp_ne_u32_e32 vcc, v22, v23
	s_and_b64 s[40:41], vcc, exec
	s_or_b64 s[14:15], s[14:15], s[40:41]
.LBB499_111:                            ;   in Loop: Header=BB499_112 Depth=1
	s_and_b64 s[40:41], exec, s[14:15]
	s_or_b64 s[6:7], s[40:41], s[6:7]
	v_pk_mov_b32 v[22:23], s[38:39], s[38:39] op_sel:[0,1]
	s_andn2_b64 exec, exec, s[6:7]
	s_cbranch_execz .LBB499_114
.LBB499_112:                            ; =>This Inner Loop Header: Depth=1
	s_or_b64 s[14:15], s[14:15], exec
	s_cmp_eq_u64 s[4:5], s[38:39]
	s_cbranch_scc0 .LBB499_110
; %bb.113:                              ;   in Loop: Header=BB499_112 Depth=1
                                        ; implicit-def: $vgpr18_vgpr19
                                        ; implicit-def: $vgpr20_vgpr21
	s_mov_b64 s[38:39], s[26:27]
	s_branch .LBB499_111
.LBB499_114:
	s_or_b64 exec, exec, s[6:7]
	v_cmp_gt_i64_e32 vcc, s[26:27], v[22:23]
	s_orn2_b64 s[14:15], vcc, exec
.LBB499_115:
	s_or_b64 exec, exec, s[10:11]
.LBB499_116:
	s_and_b64 s[38:39], s[14:15], exec
.LBB499_117:
	s_or_b64 exec, exec, s[8:9]
	v_or_b32_e32 v28, v26, v27
.LBB499_118:
	s_mov_b64 s[14:15], -1
	s_cbranch_execnz .LBB499_207
.LBB499_119:
	v_lshlrev_b32_e32 v29, 3, v0
	s_mov_b64 s[38:39], 0
	v_cmp_gt_i64_e64 s[10:11], s[26:27], 0
	s_and_b64 vcc, exec, s[34:35]
	ds_write_b64 v29, v[12:13]
	s_cbranch_vccz .LBB499_127
; %bb.120:
	v_mul_lo_u32 v20, v11, s26
	v_mul_lo_u32 v21, v10, s27
	s_waitcnt vmcnt(0) lgkmcnt(1)
	v_mad_u64_u32 v[18:19], s[4:5], v10, s26, 0
	v_add3_u32 v19, v19, v21, v20
	v_cndmask_b32_e64 v20, 0, 1, s[10:11]
	v_cmp_ne_u32_e64 s[4:5], 1, v20
	s_andn2_b64 vcc, exec, s[10:11]
	v_lshlrev_b64 v[18:19], 2, v[18:19]
	s_cbranch_vccnz .LBB499_130
; %bb.121:
	v_mul_lo_u32 v22, v13, s26
	v_mul_lo_u32 v23, v12, s27
	v_mad_u64_u32 v[20:21], s[6:7], v12, s26, 0
	v_add3_u32 v21, v21, v23, v22
	v_mov_b32_e32 v23, s17
	v_add_co_u32_e32 v22, vcc, s16, v18
	v_addc_co_u32_e64 v23, s[6:7], v23, v19, vcc
	v_lshlrev_b64 v[20:21], 2, v[20:21]
	v_mov_b32_e32 v25, s17
	v_add_co_u32_e64 v24, s[6:7], s16, v20
	v_addc_co_u32_e64 v25, s[8:9], v25, v21, s[6:7]
	global_load_dword v20, v[22:23], off
	global_load_dword v26, v[24:25], off
	s_mov_b64 s[38:39], -1
	s_waitcnt vmcnt(0)
	v_cmp_eq_u32_e64 s[8:9], v20, v26
	s_and_saveexec_b64 s[40:41], s[8:9]
	s_cbranch_execz .LBB499_129
; %bb.122:
	v_mov_b32_e32 v20, s17
	v_addc_co_u32_e64 v21, s[6:7], v21, v20, s[6:7]
	v_add_co_u32_e64 v20, s[6:7], 4, v24
	v_mov_b32_e32 v23, s17
	v_addc_co_u32_e64 v21, s[6:7], 0, v21, s[6:7]
	v_addc_co_u32_e32 v23, vcc, v19, v23, vcc
	v_add_co_u32_e32 v22, vcc, 4, v22
	s_add_u32 s6, s26, -1
	v_addc_co_u32_e32 v23, vcc, 0, v23, vcc
	s_addc_u32 s7, s27, -1
	s_mov_b64 s[8:9], 0
	s_mov_b64 s[42:43], 0
                                        ; implicit-def: $sgpr38_sgpr39
	s_branch .LBB499_125
.LBB499_123:                            ;   in Loop: Header=BB499_125 Depth=1
	global_load_dword v24, v[22:23], off
	global_load_dword v25, v[20:21], off
	v_add_co_u32_e32 v20, vcc, 4, v20
	v_addc_co_u32_e32 v21, vcc, 0, v21, vcc
	v_add_co_u32_e32 v22, vcc, 4, v22
	v_addc_co_u32_e32 v23, vcc, 0, v23, vcc
	s_add_u32 s42, s42, 1
	s_addc_u32 s43, s43, 0
	s_andn2_b64 s[38:39], s[38:39], exec
	s_waitcnt vmcnt(0)
	v_cmp_ne_u32_e32 vcc, v24, v25
	s_and_b64 s[44:45], vcc, exec
	s_or_b64 s[38:39], s[38:39], s[44:45]
.LBB499_124:                            ;   in Loop: Header=BB499_125 Depth=1
	s_and_b64 s[44:45], exec, s[38:39]
	s_or_b64 s[8:9], s[44:45], s[8:9]
	v_pk_mov_b32 v[24:25], s[42:43], s[42:43] op_sel:[0,1]
	s_andn2_b64 exec, exec, s[8:9]
	s_cbranch_execz .LBB499_128
.LBB499_125:                            ; =>This Inner Loop Header: Depth=1
	s_or_b64 s[38:39], s[38:39], exec
	s_cmp_eq_u64 s[6:7], s[42:43]
	s_cbranch_scc0 .LBB499_123
; %bb.126:                              ;   in Loop: Header=BB499_125 Depth=1
                                        ; implicit-def: $vgpr20_vgpr21
                                        ; implicit-def: $vgpr22_vgpr23
	s_mov_b64 s[42:43], s[26:27]
	s_branch .LBB499_124
.LBB499_127:
                                        ; implicit-def: $sgpr38_sgpr39
                                        ; implicit-def: $vgpr28
	s_cbranch_execnz .LBB499_160
	s_branch .LBB499_207
.LBB499_128:
	s_or_b64 exec, exec, s[8:9]
	v_cmp_gt_i64_e32 vcc, s[26:27], v[24:25]
	s_orn2_b64 s[38:39], vcc, exec
.LBB499_129:
	s_or_b64 exec, exec, s[40:41]
.LBB499_130:
	v_mul_lo_u32 v22, v17, s26
	v_mul_lo_u32 v23, v16, s27
	v_mad_u64_u32 v[20:21], s[6:7], v16, s26, 0
	v_add3_u32 v21, v21, v23, v22
	s_mov_b64 s[40:41], 0
	s_and_b64 vcc, exec, s[4:5]
	v_lshlrev_b64 v[20:21], 2, v[20:21]
	s_mov_b64 s[42:43], 0
	s_cbranch_vccnz .LBB499_139
; %bb.131:
	v_mov_b32_e32 v23, s17
	v_add_co_u32_e32 v22, vcc, s16, v20
	v_addc_co_u32_e64 v23, s[6:7], v23, v21, vcc
	v_mov_b32_e32 v25, s17
	v_add_co_u32_e64 v24, s[6:7], s16, v18
	v_addc_co_u32_e64 v25, s[8:9], v25, v19, s[6:7]
	global_load_dword v18, v[22:23], off
	global_load_dword v26, v[24:25], off
	s_mov_b64 s[42:43], -1
	s_waitcnt vmcnt(0)
	v_cmp_eq_u32_e64 s[8:9], v18, v26
	s_and_saveexec_b64 s[44:45], s[8:9]
	s_cbranch_execz .LBB499_138
; %bb.132:
	v_mov_b32_e32 v18, s17
	v_addc_co_u32_e64 v19, s[6:7], v19, v18, s[6:7]
	v_add_co_u32_e64 v18, s[6:7], 4, v24
	v_mov_b32_e32 v23, s17
	v_addc_co_u32_e64 v19, s[6:7], 0, v19, s[6:7]
	v_addc_co_u32_e32 v23, vcc, v21, v23, vcc
	v_add_co_u32_e32 v22, vcc, 4, v22
	s_add_u32 s6, s26, -1
	v_addc_co_u32_e32 v23, vcc, 0, v23, vcc
	s_addc_u32 s7, s27, -1
	s_mov_b64 s[8:9], 0
	s_mov_b64 s[46:47], 0
                                        ; implicit-def: $sgpr42_sgpr43
	s_branch .LBB499_135
.LBB499_133:                            ;   in Loop: Header=BB499_135 Depth=1
	global_load_dword v24, v[22:23], off
	global_load_dword v25, v[18:19], off
	v_add_co_u32_e32 v18, vcc, 4, v18
	v_addc_co_u32_e32 v19, vcc, 0, v19, vcc
	v_add_co_u32_e32 v22, vcc, 4, v22
	v_addc_co_u32_e32 v23, vcc, 0, v23, vcc
	s_add_u32 s46, s46, 1
	s_addc_u32 s47, s47, 0
	s_andn2_b64 s[42:43], s[42:43], exec
	s_waitcnt vmcnt(0)
	v_cmp_ne_u32_e32 vcc, v24, v25
	s_and_b64 s[50:51], vcc, exec
	s_or_b64 s[42:43], s[42:43], s[50:51]
.LBB499_134:                            ;   in Loop: Header=BB499_135 Depth=1
	s_and_b64 s[50:51], exec, s[42:43]
	s_or_b64 s[8:9], s[50:51], s[8:9]
	v_pk_mov_b32 v[24:25], s[46:47], s[46:47] op_sel:[0,1]
	s_andn2_b64 exec, exec, s[8:9]
	s_cbranch_execz .LBB499_137
.LBB499_135:                            ; =>This Inner Loop Header: Depth=1
	s_or_b64 s[42:43], s[42:43], exec
	s_cmp_eq_u64 s[6:7], s[46:47]
	s_cbranch_scc0 .LBB499_133
; %bb.136:                              ;   in Loop: Header=BB499_135 Depth=1
                                        ; implicit-def: $vgpr18_vgpr19
                                        ; implicit-def: $vgpr22_vgpr23
	s_mov_b64 s[46:47], s[26:27]
	s_branch .LBB499_134
.LBB499_137:
	s_or_b64 exec, exec, s[8:9]
	v_cmp_gt_i64_e32 vcc, s[26:27], v[24:25]
	s_orn2_b64 s[42:43], vcc, exec
.LBB499_138:
	s_or_b64 exec, exec, s[44:45]
.LBB499_139:
	v_mul_lo_u32 v22, v15, s26
	v_mul_lo_u32 v23, v14, s27
	v_mad_u64_u32 v[18:19], s[6:7], v14, s26, 0
	s_and_b64 vcc, exec, s[4:5]
	v_add3_u32 v19, v19, v23, v22
	s_cbranch_vccnz .LBB499_148
; %bb.140:
	v_lshlrev_b64 v[22:23], 2, v[18:19]
	v_mov_b32_e32 v25, s17
	v_add_co_u32_e32 v24, vcc, s16, v22
	v_addc_co_u32_e64 v25, s[6:7], v25, v23, vcc
	v_mov_b32_e32 v22, s17
	v_add_co_u32_e64 v26, s[6:7], s16, v20
	v_addc_co_u32_e64 v27, s[8:9], v22, v21, s[6:7]
	global_load_dword v20, v[24:25], off
	global_load_dword v22, v[26:27], off
	s_mov_b64 s[40:41], -1
	s_waitcnt vmcnt(0)
	v_cmp_eq_u32_e64 s[8:9], v20, v22
	s_and_saveexec_b64 s[44:45], s[8:9]
	s_cbranch_execz .LBB499_147
; %bb.141:
	v_mov_b32_e32 v20, s17
	v_addc_co_u32_e64 v21, s[6:7], v21, v20, s[6:7]
	v_add_co_u32_e64 v20, s[6:7], 4, v26
	v_mov_b32_e32 v22, s17
	v_addc_co_u32_e64 v21, s[6:7], 0, v21, s[6:7]
	v_addc_co_u32_e32 v23, vcc, v23, v22, vcc
	v_add_co_u32_e32 v22, vcc, 4, v24
	s_add_u32 s6, s26, -1
	v_addc_co_u32_e32 v23, vcc, 0, v23, vcc
	s_addc_u32 s7, s27, -1
	s_mov_b64 s[8:9], 0
	s_mov_b64 s[46:47], 0
                                        ; implicit-def: $sgpr40_sgpr41
	s_branch .LBB499_144
.LBB499_142:                            ;   in Loop: Header=BB499_144 Depth=1
	global_load_dword v24, v[22:23], off
	global_load_dword v25, v[20:21], off
	v_add_co_u32_e32 v20, vcc, 4, v20
	v_addc_co_u32_e32 v21, vcc, 0, v21, vcc
	v_add_co_u32_e32 v22, vcc, 4, v22
	v_addc_co_u32_e32 v23, vcc, 0, v23, vcc
	s_add_u32 s46, s46, 1
	s_addc_u32 s47, s47, 0
	s_andn2_b64 s[40:41], s[40:41], exec
	s_waitcnt vmcnt(0)
	v_cmp_ne_u32_e32 vcc, v24, v25
	s_and_b64 s[50:51], vcc, exec
	s_or_b64 s[40:41], s[40:41], s[50:51]
.LBB499_143:                            ;   in Loop: Header=BB499_144 Depth=1
	s_and_b64 s[50:51], exec, s[40:41]
	s_or_b64 s[8:9], s[50:51], s[8:9]
	v_pk_mov_b32 v[24:25], s[46:47], s[46:47] op_sel:[0,1]
	s_andn2_b64 exec, exec, s[8:9]
	s_cbranch_execz .LBB499_146
.LBB499_144:                            ; =>This Inner Loop Header: Depth=1
	s_or_b64 s[40:41], s[40:41], exec
	s_cmp_eq_u64 s[6:7], s[46:47]
	s_cbranch_scc0 .LBB499_142
; %bb.145:                              ;   in Loop: Header=BB499_144 Depth=1
                                        ; implicit-def: $vgpr20_vgpr21
                                        ; implicit-def: $vgpr22_vgpr23
	s_mov_b64 s[46:47], s[26:27]
	s_branch .LBB499_143
.LBB499_146:
	s_or_b64 exec, exec, s[8:9]
	v_cmp_gt_i64_e32 vcc, s[26:27], v[24:25]
	s_orn2_b64 s[40:41], vcc, exec
.LBB499_147:
	s_or_b64 exec, exec, s[44:45]
.LBB499_148:
	v_cndmask_b32_e64 v21, 0, 1, s[38:39]
	v_cndmask_b32_e64 v22, 0, 1, s[40:41]
	v_cndmask_b32_e64 v20, 0, 1, s[42:43]
	v_lshlrev_b16_e32 v22, 8, v22
	v_lshlrev_b16_e32 v21, 8, v21
	v_or_b32_e32 v22, 1, v22
	v_or_b32_sdwa v20, v20, v21 dst_sel:WORD_1 dst_unused:UNUSED_PAD src0_sel:DWORD src1_sel:DWORD
	v_or_b32_sdwa v28, v22, v20 dst_sel:DWORD dst_unused:UNUSED_PAD src0_sel:WORD_0 src1_sel:DWORD
	s_waitcnt lgkmcnt(0)
	s_barrier
	s_waitcnt lgkmcnt(0)
                                        ; implicit-def: $sgpr38_sgpr39
	s_and_saveexec_b64 s[6:7], s[2:3]
	s_xor_b64 s[8:9], exec, s[6:7]
	s_cbranch_execz .LBB499_159
; %bb.149:
	s_and_b64 vcc, exec, s[4:5]
	s_mov_b64 s[40:41], 0
	s_cbranch_vccnz .LBB499_158
; %bb.150:
	v_add_u32_e32 v20, -8, v29
	ds_read_b64 v[20:21], v20
	v_mov_b32_e32 v23, s17
	v_lshlrev_b64 v[18:19], 2, v[18:19]
	s_mov_b64 s[40:41], -1
	s_waitcnt lgkmcnt(0)
	v_mul_lo_u32 v22, v21, s26
	v_mul_lo_u32 v24, v20, s27
	v_mad_u64_u32 v[20:21], s[4:5], v20, s26, 0
	v_add3_u32 v21, v21, v24, v22
	v_lshlrev_b64 v[20:21], 2, v[20:21]
	v_add_co_u32_e32 v22, vcc, s16, v20
	v_addc_co_u32_e64 v23, s[4:5], v23, v21, vcc
	v_mov_b32_e32 v20, s17
	v_add_co_u32_e64 v24, s[4:5], s16, v18
	v_addc_co_u32_e64 v25, s[6:7], v20, v19, s[4:5]
	global_load_dword v18, v[22:23], off
	global_load_dword v20, v[24:25], off
	s_waitcnt vmcnt(0)
	v_cmp_eq_u32_e64 s[6:7], v18, v20
	s_and_saveexec_b64 s[38:39], s[6:7]
	s_cbranch_execz .LBB499_157
; %bb.151:
	v_mov_b32_e32 v18, s17
	v_addc_co_u32_e64 v19, s[4:5], v19, v18, s[4:5]
	v_add_co_u32_e64 v18, s[4:5], 4, v24
	v_mov_b32_e32 v20, s17
	v_addc_co_u32_e64 v19, s[4:5], 0, v19, s[4:5]
	v_addc_co_u32_e32 v21, vcc, v21, v20, vcc
	v_add_co_u32_e32 v20, vcc, 4, v22
	s_add_u32 s4, s26, -1
	v_addc_co_u32_e32 v21, vcc, 0, v21, vcc
	s_addc_u32 s5, s27, -1
	s_mov_b64 s[6:7], 0
	s_mov_b64 s[42:43], 0
                                        ; implicit-def: $sgpr40_sgpr41
	s_branch .LBB499_154
.LBB499_152:                            ;   in Loop: Header=BB499_154 Depth=1
	global_load_dword v22, v[20:21], off
	global_load_dword v23, v[18:19], off
	v_add_co_u32_e32 v18, vcc, 4, v18
	v_addc_co_u32_e32 v19, vcc, 0, v19, vcc
	v_add_co_u32_e32 v20, vcc, 4, v20
	v_addc_co_u32_e32 v21, vcc, 0, v21, vcc
	s_add_u32 s42, s42, 1
	s_addc_u32 s43, s43, 0
	s_andn2_b64 s[40:41], s[40:41], exec
	s_waitcnt vmcnt(0)
	v_cmp_ne_u32_e32 vcc, v22, v23
	s_and_b64 s[44:45], vcc, exec
	s_or_b64 s[40:41], s[40:41], s[44:45]
.LBB499_153:                            ;   in Loop: Header=BB499_154 Depth=1
	s_and_b64 s[44:45], exec, s[40:41]
	s_or_b64 s[6:7], s[44:45], s[6:7]
	v_pk_mov_b32 v[22:23], s[42:43], s[42:43] op_sel:[0,1]
	s_andn2_b64 exec, exec, s[6:7]
	s_cbranch_execz .LBB499_156
.LBB499_154:                            ; =>This Inner Loop Header: Depth=1
	s_or_b64 s[40:41], s[40:41], exec
	s_cmp_eq_u64 s[4:5], s[42:43]
	s_cbranch_scc0 .LBB499_152
; %bb.155:                              ;   in Loop: Header=BB499_154 Depth=1
                                        ; implicit-def: $vgpr18_vgpr19
                                        ; implicit-def: $vgpr20_vgpr21
	s_mov_b64 s[42:43], s[26:27]
	s_branch .LBB499_153
.LBB499_156:
	s_or_b64 exec, exec, s[6:7]
	v_cmp_gt_i64_e32 vcc, s[26:27], v[22:23]
	s_orn2_b64 s[40:41], vcc, exec
.LBB499_157:
	s_or_b64 exec, exec, s[38:39]
.LBB499_158:
	s_and_b64 s[38:39], s[40:41], exec
	s_or_b64 s[14:15], s[14:15], exec
.LBB499_159:
	s_or_b64 exec, exec, s[8:9]
	s_branch .LBB499_207
.LBB499_160:
	s_waitcnt vmcnt(0) lgkmcnt(1)
	v_or_b32_e32 v18, 3, v1
	v_cmp_gt_u32_e32 vcc, s48, v18
	s_mov_b64 s[38:39], 0
	s_mov_b64 s[8:9], 0
	s_and_saveexec_b64 s[40:41], vcc
	s_cbranch_execz .LBB499_171
; %bb.161:
	s_andn2_b64 vcc, exec, s[10:11]
	s_mov_b64 s[42:43], 0
	s_cbranch_vccnz .LBB499_170
; %bb.162:
	v_mul_lo_u32 v20, v11, s26
	v_mul_lo_u32 v21, v10, s27
	v_mad_u64_u32 v[18:19], s[4:5], v10, s26, 0
	v_add3_u32 v19, v19, v21, v20
	v_mul_lo_u32 v20, v13, s26
	v_mul_lo_u32 v21, v12, s27
	v_mad_u64_u32 v[24:25], s[4:5], v12, s26, 0
	v_add3_u32 v25, v25, v21, v20
	v_lshlrev_b64 v[20:21], 2, v[18:19]
	v_mov_b32_e32 v18, s17
	v_add_co_u32_e32 v22, vcc, s16, v20
	v_addc_co_u32_e64 v23, s[4:5], v18, v21, vcc
	v_lshlrev_b64 v[18:19], 2, v[24:25]
	v_mov_b32_e32 v20, s17
	v_add_co_u32_e64 v24, s[4:5], s16, v18
	v_addc_co_u32_e64 v25, s[6:7], v20, v19, s[4:5]
	global_load_dword v18, v[22:23], off
	global_load_dword v20, v[24:25], off
	s_mov_b64 s[42:43], -1
	s_waitcnt vmcnt(0)
	v_cmp_eq_u32_e64 s[6:7], v18, v20
	s_and_saveexec_b64 s[8:9], s[6:7]
	s_cbranch_execz .LBB499_169
; %bb.163:
	v_mov_b32_e32 v18, s17
	v_addc_co_u32_e64 v19, s[4:5], v19, v18, s[4:5]
	v_add_co_u32_e64 v18, s[4:5], 4, v24
	v_mov_b32_e32 v20, s17
	v_addc_co_u32_e64 v19, s[4:5], 0, v19, s[4:5]
	v_addc_co_u32_e32 v21, vcc, v21, v20, vcc
	v_add_co_u32_e32 v20, vcc, 4, v22
	s_add_u32 s4, s26, -1
	v_addc_co_u32_e32 v21, vcc, 0, v21, vcc
	s_addc_u32 s5, s27, -1
	s_mov_b64 s[6:7], 0
	s_mov_b64 s[44:45], 0
                                        ; implicit-def: $sgpr42_sgpr43
	s_branch .LBB499_166
.LBB499_164:                            ;   in Loop: Header=BB499_166 Depth=1
	global_load_dword v22, v[20:21], off
	global_load_dword v23, v[18:19], off
	v_add_co_u32_e32 v18, vcc, 4, v18
	v_addc_co_u32_e32 v19, vcc, 0, v19, vcc
	v_add_co_u32_e32 v20, vcc, 4, v20
	v_addc_co_u32_e32 v21, vcc, 0, v21, vcc
	s_add_u32 s44, s44, 1
	s_addc_u32 s45, s45, 0
	s_andn2_b64 s[42:43], s[42:43], exec
	s_waitcnt vmcnt(0)
	v_cmp_ne_u32_e32 vcc, v22, v23
	s_and_b64 s[46:47], vcc, exec
	s_or_b64 s[42:43], s[42:43], s[46:47]
.LBB499_165:                            ;   in Loop: Header=BB499_166 Depth=1
	s_and_b64 s[46:47], exec, s[42:43]
	s_or_b64 s[6:7], s[46:47], s[6:7]
	v_pk_mov_b32 v[22:23], s[44:45], s[44:45] op_sel:[0,1]
	s_andn2_b64 exec, exec, s[6:7]
	s_cbranch_execz .LBB499_168
.LBB499_166:                            ; =>This Inner Loop Header: Depth=1
	s_or_b64 s[42:43], s[42:43], exec
	s_cmp_eq_u64 s[4:5], s[44:45]
	s_cbranch_scc0 .LBB499_164
; %bb.167:                              ;   in Loop: Header=BB499_166 Depth=1
                                        ; implicit-def: $vgpr18_vgpr19
                                        ; implicit-def: $vgpr20_vgpr21
	s_mov_b64 s[44:45], s[26:27]
	s_branch .LBB499_165
.LBB499_168:
	s_or_b64 exec, exec, s[6:7]
	v_cmp_gt_i64_e32 vcc, s[26:27], v[22:23]
	s_orn2_b64 s[42:43], vcc, exec
.LBB499_169:
	s_or_b64 exec, exec, s[8:9]
.LBB499_170:
	s_and_b64 s[8:9], s[42:43], exec
.LBB499_171:
	s_or_b64 exec, exec, s[40:41]
	v_or_b32_e32 v18, 2, v1
	v_cmp_gt_u32_e32 vcc, s48, v18
	s_and_saveexec_b64 s[40:41], vcc
	s_cbranch_execz .LBB499_182
; %bb.172:
	s_andn2_b64 vcc, exec, s[10:11]
	s_mov_b64 s[42:43], 0
	s_cbranch_vccnz .LBB499_181
; %bb.173:
	v_mul_lo_u32 v20, v17, s26
	v_mul_lo_u32 v21, v16, s27
	v_mad_u64_u32 v[18:19], s[4:5], v16, s26, 0
	v_add3_u32 v19, v19, v21, v20
	v_mul_lo_u32 v20, v11, s26
	v_mul_lo_u32 v21, v10, s27
	v_mad_u64_u32 v[24:25], s[4:5], v10, s26, 0
	v_add3_u32 v25, v25, v21, v20
	v_lshlrev_b64 v[20:21], 2, v[18:19]
	v_mov_b32_e32 v18, s17
	v_add_co_u32_e32 v22, vcc, s16, v20
	v_addc_co_u32_e64 v23, s[4:5], v18, v21, vcc
	v_lshlrev_b64 v[18:19], 2, v[24:25]
	v_mov_b32_e32 v20, s17
	v_add_co_u32_e64 v24, s[4:5], s16, v18
	v_addc_co_u32_e64 v25, s[6:7], v20, v19, s[4:5]
	global_load_dword v18, v[22:23], off
	global_load_dword v20, v[24:25], off
	s_mov_b64 s[42:43], -1
	s_waitcnt vmcnt(0)
	v_cmp_eq_u32_e64 s[6:7], v18, v20
	s_and_saveexec_b64 s[38:39], s[6:7]
	s_cbranch_execz .LBB499_180
; %bb.174:
	v_mov_b32_e32 v18, s17
	v_addc_co_u32_e64 v19, s[4:5], v19, v18, s[4:5]
	v_add_co_u32_e64 v18, s[4:5], 4, v24
	v_mov_b32_e32 v20, s17
	v_addc_co_u32_e64 v19, s[4:5], 0, v19, s[4:5]
	v_addc_co_u32_e32 v21, vcc, v21, v20, vcc
	v_add_co_u32_e32 v20, vcc, 4, v22
	s_add_u32 s4, s26, -1
	v_addc_co_u32_e32 v21, vcc, 0, v21, vcc
	s_addc_u32 s5, s27, -1
	s_mov_b64 s[6:7], 0
	s_mov_b64 s[44:45], 0
                                        ; implicit-def: $sgpr42_sgpr43
	s_branch .LBB499_177
.LBB499_175:                            ;   in Loop: Header=BB499_177 Depth=1
	global_load_dword v22, v[20:21], off
	global_load_dword v23, v[18:19], off
	v_add_co_u32_e32 v18, vcc, 4, v18
	v_addc_co_u32_e32 v19, vcc, 0, v19, vcc
	v_add_co_u32_e32 v20, vcc, 4, v20
	v_addc_co_u32_e32 v21, vcc, 0, v21, vcc
	s_add_u32 s44, s44, 1
	s_addc_u32 s45, s45, 0
	s_andn2_b64 s[42:43], s[42:43], exec
	s_waitcnt vmcnt(0)
	v_cmp_ne_u32_e32 vcc, v22, v23
	s_and_b64 s[46:47], vcc, exec
	s_or_b64 s[42:43], s[42:43], s[46:47]
.LBB499_176:                            ;   in Loop: Header=BB499_177 Depth=1
	s_and_b64 s[46:47], exec, s[42:43]
	s_or_b64 s[6:7], s[46:47], s[6:7]
	v_pk_mov_b32 v[22:23], s[44:45], s[44:45] op_sel:[0,1]
	s_andn2_b64 exec, exec, s[6:7]
	s_cbranch_execz .LBB499_179
.LBB499_177:                            ; =>This Inner Loop Header: Depth=1
	s_or_b64 s[42:43], s[42:43], exec
	s_cmp_eq_u64 s[4:5], s[44:45]
	s_cbranch_scc0 .LBB499_175
; %bb.178:                              ;   in Loop: Header=BB499_177 Depth=1
                                        ; implicit-def: $vgpr18_vgpr19
                                        ; implicit-def: $vgpr20_vgpr21
	s_mov_b64 s[44:45], s[26:27]
	s_branch .LBB499_176
.LBB499_179:
	s_or_b64 exec, exec, s[6:7]
	v_cmp_gt_i64_e32 vcc, s[26:27], v[22:23]
	s_orn2_b64 s[42:43], vcc, exec
.LBB499_180:
	s_or_b64 exec, exec, s[38:39]
.LBB499_181:
	s_and_b64 s[38:39], s[42:43], exec
.LBB499_182:
	s_or_b64 exec, exec, s[40:41]
	v_or_b32_e32 v18, 1, v1
	v_cmp_gt_u32_e32 vcc, s48, v18
	s_mov_b64 s[4:5], 0
	s_and_saveexec_b64 s[40:41], vcc
	s_cbranch_execz .LBB499_193
; %bb.183:
	s_andn2_b64 vcc, exec, s[10:11]
	s_mov_b64 s[44:45], 0
	s_cbranch_vccnz .LBB499_192
; %bb.184:
	v_mul_lo_u32 v20, v15, s26
	v_mul_lo_u32 v21, v14, s27
	v_mad_u64_u32 v[18:19], s[4:5], v14, s26, 0
	v_add3_u32 v19, v19, v21, v20
	v_mul_lo_u32 v20, v17, s26
	v_mul_lo_u32 v21, v16, s27
	v_mad_u64_u32 v[24:25], s[4:5], v16, s26, 0
	v_add3_u32 v25, v25, v21, v20
	v_lshlrev_b64 v[20:21], 2, v[18:19]
	v_mov_b32_e32 v18, s17
	v_add_co_u32_e32 v22, vcc, s16, v20
	v_addc_co_u32_e64 v23, s[4:5], v18, v21, vcc
	v_lshlrev_b64 v[18:19], 2, v[24:25]
	v_mov_b32_e32 v20, s17
	v_add_co_u32_e64 v24, s[4:5], s16, v18
	v_addc_co_u32_e64 v25, s[6:7], v20, v19, s[4:5]
	global_load_dword v18, v[22:23], off
	global_load_dword v20, v[24:25], off
	s_mov_b64 s[44:45], -1
	s_waitcnt vmcnt(0)
	v_cmp_eq_u32_e64 s[6:7], v18, v20
	s_and_saveexec_b64 s[42:43], s[6:7]
	s_cbranch_execz .LBB499_191
; %bb.185:
	v_mov_b32_e32 v18, s17
	v_addc_co_u32_e64 v19, s[4:5], v19, v18, s[4:5]
	v_add_co_u32_e64 v18, s[4:5], 4, v24
	v_mov_b32_e32 v20, s17
	v_addc_co_u32_e64 v19, s[4:5], 0, v19, s[4:5]
	v_addc_co_u32_e32 v21, vcc, v21, v20, vcc
	v_add_co_u32_e32 v20, vcc, 4, v22
	s_add_u32 s4, s26, -1
	v_addc_co_u32_e32 v21, vcc, 0, v21, vcc
	s_addc_u32 s5, s27, -1
	s_mov_b64 s[6:7], 0
	s_mov_b64 s[46:47], 0
                                        ; implicit-def: $sgpr44_sgpr45
	s_branch .LBB499_188
.LBB499_186:                            ;   in Loop: Header=BB499_188 Depth=1
	global_load_dword v22, v[20:21], off
	global_load_dword v23, v[18:19], off
	v_add_co_u32_e32 v18, vcc, 4, v18
	v_addc_co_u32_e32 v19, vcc, 0, v19, vcc
	v_add_co_u32_e32 v20, vcc, 4, v20
	v_addc_co_u32_e32 v21, vcc, 0, v21, vcc
	s_add_u32 s46, s46, 1
	s_addc_u32 s47, s47, 0
	s_andn2_b64 s[44:45], s[44:45], exec
	s_waitcnt vmcnt(0)
	v_cmp_ne_u32_e32 vcc, v22, v23
	s_and_b64 s[50:51], vcc, exec
	s_or_b64 s[44:45], s[44:45], s[50:51]
.LBB499_187:                            ;   in Loop: Header=BB499_188 Depth=1
	s_and_b64 s[50:51], exec, s[44:45]
	s_or_b64 s[6:7], s[50:51], s[6:7]
	v_pk_mov_b32 v[22:23], s[46:47], s[46:47] op_sel:[0,1]
	s_andn2_b64 exec, exec, s[6:7]
	s_cbranch_execz .LBB499_190
.LBB499_188:                            ; =>This Inner Loop Header: Depth=1
	s_or_b64 s[44:45], s[44:45], exec
	s_cmp_eq_u64 s[4:5], s[46:47]
	s_cbranch_scc0 .LBB499_186
; %bb.189:                              ;   in Loop: Header=BB499_188 Depth=1
                                        ; implicit-def: $vgpr18_vgpr19
                                        ; implicit-def: $vgpr20_vgpr21
	s_mov_b64 s[46:47], s[26:27]
	s_branch .LBB499_187
.LBB499_190:
	s_or_b64 exec, exec, s[6:7]
	v_cmp_gt_i64_e32 vcc, s[26:27], v[22:23]
	s_orn2_b64 s[44:45], vcc, exec
.LBB499_191:
	s_or_b64 exec, exec, s[42:43]
.LBB499_192:
	s_and_b64 s[4:5], s[44:45], exec
.LBB499_193:
	s_or_b64 exec, exec, s[40:41]
	v_cndmask_b32_e64 v19, 0, 1, s[8:9]
	v_cndmask_b32_e64 v20, 0, 1, s[4:5]
	;; [unrolled: 1-line block ×3, first 2 shown]
	v_lshlrev_b16_e32 v20, 8, v20
	v_lshlrev_b16_e32 v19, 8, v19
	v_or_b32_e32 v20, 1, v20
	v_or_b32_sdwa v18, v18, v19 dst_sel:WORD_1 dst_unused:UNUSED_PAD src0_sel:DWORD src1_sel:DWORD
	v_or_b32_sdwa v28, v20, v18 dst_sel:DWORD dst_unused:UNUSED_PAD src0_sel:WORD_0 src1_sel:DWORD
	s_waitcnt lgkmcnt(0)
	s_barrier
	s_waitcnt lgkmcnt(0)
                                        ; implicit-def: $sgpr38_sgpr39
	s_and_saveexec_b64 s[6:7], s[2:3]
	s_cbranch_execz .LBB499_206
; %bb.194:
	v_cmp_gt_u32_e32 vcc, s48, v1
	s_mov_b64 s[2:3], 0
	s_and_saveexec_b64 s[8:9], vcc
	s_cbranch_execz .LBB499_205
; %bb.195:
	s_andn2_b64 vcc, exec, s[10:11]
	s_mov_b64 s[38:39], 0
	s_cbranch_vccnz .LBB499_204
; %bb.196:
	v_add_u32_e32 v18, -8, v29
	ds_read_b64 v[18:19], v18
	v_mul_lo_u32 v20, v15, s26
	v_mad_u64_u32 v[24:25], s[2:3], v14, s26, 0
	s_mov_b64 s[38:39], -1
	s_waitcnt lgkmcnt(0)
	v_mul_lo_u32 v21, v19, s26
	v_mul_lo_u32 v22, v18, s27
	v_mad_u64_u32 v[18:19], s[2:3], v18, s26, 0
	v_add3_u32 v19, v19, v22, v21
	v_mul_lo_u32 v21, v14, s27
	v_add3_u32 v25, v25, v21, v20
	v_lshlrev_b64 v[20:21], 2, v[18:19]
	v_mov_b32_e32 v18, s17
	v_add_co_u32_e32 v22, vcc, s16, v20
	v_addc_co_u32_e64 v23, s[2:3], v18, v21, vcc
	v_lshlrev_b64 v[18:19], 2, v[24:25]
	v_mov_b32_e32 v20, s17
	v_add_co_u32_e64 v24, s[2:3], s16, v18
	v_addc_co_u32_e64 v25, s[4:5], v20, v19, s[2:3]
	global_load_dword v18, v[22:23], off
	global_load_dword v20, v[24:25], off
	s_waitcnt vmcnt(0)
	v_cmp_eq_u32_e64 s[4:5], v18, v20
	s_and_saveexec_b64 s[10:11], s[4:5]
	s_cbranch_execz .LBB499_203
; %bb.197:
	v_mov_b32_e32 v18, s17
	v_addc_co_u32_e64 v19, s[2:3], v19, v18, s[2:3]
	v_add_co_u32_e64 v18, s[2:3], 4, v24
	v_mov_b32_e32 v20, s17
	v_addc_co_u32_e64 v19, s[2:3], 0, v19, s[2:3]
	v_addc_co_u32_e32 v21, vcc, v21, v20, vcc
	v_add_co_u32_e32 v20, vcc, 4, v22
	s_add_u32 s2, s26, -1
	v_addc_co_u32_e32 v21, vcc, 0, v21, vcc
	s_addc_u32 s3, s27, -1
	s_mov_b64 s[4:5], 0
	s_mov_b64 s[38:39], 0
                                        ; implicit-def: $sgpr16_sgpr17
	s_branch .LBB499_200
.LBB499_198:                            ;   in Loop: Header=BB499_200 Depth=1
	global_load_dword v22, v[20:21], off
	global_load_dword v23, v[18:19], off
	v_add_co_u32_e32 v18, vcc, 4, v18
	v_addc_co_u32_e32 v19, vcc, 0, v19, vcc
	v_add_co_u32_e32 v20, vcc, 4, v20
	v_addc_co_u32_e32 v21, vcc, 0, v21, vcc
	s_add_u32 s38, s38, 1
	s_addc_u32 s39, s39, 0
	s_andn2_b64 s[16:17], s[16:17], exec
	s_waitcnt vmcnt(0)
	v_cmp_ne_u32_e32 vcc, v22, v23
	s_and_b64 s[40:41], vcc, exec
	s_or_b64 s[16:17], s[16:17], s[40:41]
.LBB499_199:                            ;   in Loop: Header=BB499_200 Depth=1
	s_and_b64 s[40:41], exec, s[16:17]
	s_or_b64 s[4:5], s[40:41], s[4:5]
	v_pk_mov_b32 v[22:23], s[38:39], s[38:39] op_sel:[0,1]
	s_andn2_b64 exec, exec, s[4:5]
	s_cbranch_execz .LBB499_202
.LBB499_200:                            ; =>This Inner Loop Header: Depth=1
	s_or_b64 s[16:17], s[16:17], exec
	s_cmp_eq_u64 s[2:3], s[38:39]
	s_cbranch_scc0 .LBB499_198
; %bb.201:                              ;   in Loop: Header=BB499_200 Depth=1
                                        ; implicit-def: $vgpr18_vgpr19
                                        ; implicit-def: $vgpr20_vgpr21
	s_mov_b64 s[38:39], s[26:27]
	s_branch .LBB499_199
.LBB499_202:
	s_or_b64 exec, exec, s[4:5]
	v_cmp_gt_i64_e32 vcc, s[26:27], v[22:23]
	s_orn2_b64 s[38:39], vcc, exec
.LBB499_203:
	s_or_b64 exec, exec, s[10:11]
.LBB499_204:
	s_and_b64 s[2:3], s[38:39], exec
.LBB499_205:
	s_or_b64 exec, exec, s[8:9]
	s_and_b64 s[38:39], s[2:3], exec
	s_or_b64 s[14:15], s[14:15], exec
.LBB499_206:
	s_or_b64 exec, exec, s[6:7]
.LBB499_207:
	s_and_saveexec_b64 s[2:3], s[14:15]
	s_cbranch_execz .LBB499_209
; %bb.208:
	s_waitcnt vmcnt(0) lgkmcnt(0)
	v_and_b32_e32 v18, 0xffffff00, v28
	v_cndmask_b32_e64 v19, 0, 1, s[38:39]
	v_or_b32_e32 v18, v19, v18
	v_and_b32_e32 v18, 0xffff, v18
	s_mov_b32 s4, 0xffff0000
	v_and_or_b32 v28, v28, s4, v18
.LBB499_209:
	s_or_b64 exec, exec, s[2:3]
	s_andn2_b64 vcc, exec, s[12:13]
	s_cbranch_vccnz .LBB499_211
; %bb.210:
	v_cmp_gt_u32_e32 vcc, s48, v1
	s_waitcnt vmcnt(0) lgkmcnt(0)
	v_cndmask_b32_e32 v18, 0, v28, vcc
	v_or_b32_e32 v19, 1, v1
	v_and_b32_e32 v18, 0xff, v18
	v_cmp_gt_u32_e32 vcc, s48, v19
	v_cndmask_b32_e32 v18, v18, v28, vcc
	v_or_b32_e32 v19, 2, v1
	v_and_b32_e32 v18, 0xffff, v18
	v_cmp_gt_u32_e32 vcc, s48, v19
	v_cndmask_b32_e32 v18, v18, v28, vcc
	v_or_b32_e32 v19, 3, v1
	v_and_b32_e32 v18, 0xffffff, v18
	v_cmp_gt_u32_e32 vcc, s48, v19
	v_cndmask_b32_e32 v28, v18, v28, vcc
.LBB499_211:
	v_bfe_u32 v30, v28, 16, 8
	v_lshrrev_b32_e32 v29, 24, v28
	s_waitcnt vmcnt(0) lgkmcnt(0)
	v_add_u32_sdwa v18, v28, v28 dst_sel:DWORD dst_unused:UNUSED_PAD src0_sel:BYTE_1 src1_sel:BYTE_0
	v_add3_u32 v33, v18, v30, v29
	v_mbcnt_lo_u32_b32 v18, -1, 0
	v_mbcnt_hi_u32_b32 v31, -1, v18
	v_and_b32_e32 v18, 15, v31
	v_cmp_eq_u32_e64 s[14:15], 0, v18
	v_cmp_lt_u32_e64 s[12:13], 1, v18
	v_cmp_lt_u32_e64 s[10:11], 3, v18
	;; [unrolled: 1-line block ×3, first 2 shown]
	v_and_b32_e32 v18, 16, v31
	v_cmp_eq_u32_e64 s[6:7], 0, v18
	v_or_b32_e32 v18, 63, v0
	v_cmp_lt_u32_e64 s[2:3], 31, v31
	v_lshrrev_b32_e32 v32, 6, v0
	v_cmp_eq_u32_e64 s[4:5], v18, v0
	s_and_b64 vcc, exec, s[36:37]
	s_barrier
	s_cbranch_vccz .LBB499_238
; %bb.212:
	v_mov_b32_dpp v18, v33 row_shr:1 row_mask:0xf bank_mask:0xf
	v_cndmask_b32_e64 v18, v18, 0, s[14:15]
	v_add_u32_e32 v18, v18, v33
	s_nop 1
	v_mov_b32_dpp v19, v18 row_shr:2 row_mask:0xf bank_mask:0xf
	v_cndmask_b32_e64 v19, 0, v19, s[12:13]
	v_add_u32_e32 v18, v18, v19
	s_nop 1
	;; [unrolled: 4-line block ×4, first 2 shown]
	v_mov_b32_dpp v19, v18 row_bcast:15 row_mask:0xf bank_mask:0xf
	v_cndmask_b32_e64 v19, v19, 0, s[6:7]
	v_add_u32_e32 v18, v18, v19
	s_nop 1
	v_mov_b32_dpp v19, v18 row_bcast:31 row_mask:0xf bank_mask:0xf
	v_cndmask_b32_e64 v19, 0, v19, s[2:3]
	v_add_u32_e32 v18, v18, v19
	s_and_saveexec_b64 s[16:17], s[4:5]
	s_cbranch_execz .LBB499_214
; %bb.213:
	v_lshlrev_b32_e32 v19, 2, v32
	ds_write_b32 v19, v18
.LBB499_214:
	s_or_b64 exec, exec, s[16:17]
	v_cmp_gt_u32_e32 vcc, 2, v0
	s_waitcnt lgkmcnt(0)
	s_barrier
	s_and_saveexec_b64 s[16:17], vcc
	s_cbranch_execz .LBB499_216
; %bb.215:
	ds_read_b32 v19, v1
	v_bfe_i32 v20, v31, 0, 1
	s_waitcnt lgkmcnt(0)
	v_mov_b32_dpp v21, v19 row_shr:1 row_mask:0xf bank_mask:0xf
	v_and_b32_e32 v20, v20, v21
	v_add_u32_e32 v19, v20, v19
	ds_write_b32 v1, v19
.LBB499_216:
	s_or_b64 exec, exec, s[16:17]
	v_cmp_gt_u32_e32 vcc, 64, v0
	v_cmp_lt_u32_e64 s[16:17], 63, v0
	s_waitcnt lgkmcnt(0)
	s_barrier
	s_waitcnt lgkmcnt(0)
                                        ; implicit-def: $vgpr34
	s_and_saveexec_b64 s[26:27], s[16:17]
	s_cbranch_execz .LBB499_218
; %bb.217:
	v_lshl_add_u32 v19, v32, 2, -4
	ds_read_b32 v34, v19
	s_waitcnt lgkmcnt(0)
	v_add_u32_e32 v18, v34, v18
.LBB499_218:
	s_or_b64 exec, exec, s[26:27]
	v_add_u32_e32 v19, -1, v31
	v_and_b32_e32 v20, 64, v31
	v_cmp_lt_i32_e64 s[16:17], v19, v20
	v_cndmask_b32_e64 v19, v19, v31, s[16:17]
	v_lshlrev_b32_e32 v19, 2, v19
	ds_bpermute_b32 v35, v19, v18
	v_cmp_eq_u32_e64 s[16:17], 0, v31
	s_and_saveexec_b64 s[26:27], vcc
	s_cbranch_execz .LBB499_237
; %bb.219:
	v_mov_b32_e32 v25, 0
	ds_read_b32 v18, v25 offset:4
	s_and_saveexec_b64 s[36:37], s[16:17]
	s_cbranch_execz .LBB499_221
; %bb.220:
	s_add_i32 s38, s33, 64
	s_mov_b32 s39, 0
	s_lshl_b64 s[38:39], s[38:39], 3
	s_add_u32 s38, s18, s38
	v_mov_b32_e32 v19, 1
	s_addc_u32 s39, s19, s39
	s_waitcnt lgkmcnt(0)
	global_store_dwordx2 v25, v[18:19], s[38:39]
.LBB499_221:
	s_or_b64 exec, exec, s[36:37]
	v_xad_u32 v20, v31, -1, s33
	v_add_u32_e32 v24, 64, v20
	v_lshlrev_b64 v[22:23], 3, v[24:25]
	v_mov_b32_e32 v19, s19
	v_add_co_u32_e32 v26, vcc, s18, v22
	v_addc_co_u32_e32 v27, vcc, v19, v23, vcc
	global_load_dwordx2 v[22:23], v[26:27], off glc
	s_waitcnt vmcnt(0)
	v_cmp_eq_u16_sdwa s[38:39], v23, v25 src0_sel:BYTE_0 src1_sel:DWORD
	s_and_saveexec_b64 s[36:37], s[38:39]
	s_cbranch_execz .LBB499_225
; %bb.222:
	s_mov_b64 s[38:39], 0
	v_mov_b32_e32 v19, 0
.LBB499_223:                            ; =>This Inner Loop Header: Depth=1
	global_load_dwordx2 v[22:23], v[26:27], off glc
	s_waitcnt vmcnt(0)
	v_cmp_ne_u16_sdwa s[40:41], v23, v19 src0_sel:BYTE_0 src1_sel:DWORD
	s_or_b64 s[38:39], s[40:41], s[38:39]
	s_andn2_b64 exec, exec, s[38:39]
	s_cbranch_execnz .LBB499_223
; %bb.224:
	s_or_b64 exec, exec, s[38:39]
.LBB499_225:
	s_or_b64 exec, exec, s[36:37]
	v_and_b32_e32 v36, 63, v31
	v_mov_b32_e32 v19, 2
	v_cmp_ne_u32_e32 vcc, 63, v36
	v_cmp_eq_u16_sdwa s[36:37], v23, v19 src0_sel:BYTE_0 src1_sel:DWORD
	v_lshlrev_b64 v[24:25], v31, -1
	v_addc_co_u32_e32 v27, vcc, 0, v31, vcc
	v_and_b32_e32 v21, s37, v25
	v_lshlrev_b32_e32 v37, 2, v27
	v_or_b32_e32 v21, 0x80000000, v21
	ds_bpermute_b32 v27, v37, v22
	v_and_b32_e32 v26, s36, v24
	v_ffbl_b32_e32 v21, v21
	v_add_u32_e32 v21, 32, v21
	v_ffbl_b32_e32 v26, v26
	v_min_u32_e32 v21, v26, v21
	v_cmp_lt_u32_e32 vcc, v36, v21
	s_waitcnt lgkmcnt(0)
	v_cndmask_b32_e32 v26, 0, v27, vcc
	v_cmp_gt_u32_e32 vcc, 62, v36
	v_add_u32_e32 v22, v26, v22
	v_cndmask_b32_e64 v26, 0, 1, vcc
	v_lshlrev_b32_e32 v26, 1, v26
	v_add_lshl_u32 v38, v26, v31, 2
	ds_bpermute_b32 v26, v38, v22
	v_add_u32_e32 v39, 2, v36
	v_cmp_le_u32_e32 vcc, v39, v21
	v_add_u32_e32 v41, 4, v36
	v_add_u32_e32 v43, 8, v36
	s_waitcnt lgkmcnt(0)
	v_cndmask_b32_e32 v26, 0, v26, vcc
	v_cmp_gt_u32_e32 vcc, 60, v36
	v_add_u32_e32 v22, v22, v26
	v_cndmask_b32_e64 v26, 0, 1, vcc
	v_lshlrev_b32_e32 v26, 2, v26
	v_add_lshl_u32 v40, v26, v31, 2
	ds_bpermute_b32 v26, v40, v22
	v_cmp_le_u32_e32 vcc, v41, v21
	v_add_u32_e32 v46, 16, v36
	v_add_u32_e32 v48, 32, v36
	s_waitcnt lgkmcnt(0)
	v_cndmask_b32_e32 v26, 0, v26, vcc
	v_cmp_gt_u32_e32 vcc, 56, v36
	v_add_u32_e32 v22, v22, v26
	v_cndmask_b32_e64 v26, 0, 1, vcc
	v_lshlrev_b32_e32 v26, 3, v26
	v_add_lshl_u32 v42, v26, v31, 2
	ds_bpermute_b32 v26, v42, v22
	v_cmp_le_u32_e32 vcc, v43, v21
	s_waitcnt lgkmcnt(0)
	v_cndmask_b32_e32 v26, 0, v26, vcc
	v_cmp_gt_u32_e32 vcc, 48, v36
	v_add_u32_e32 v22, v22, v26
	v_cndmask_b32_e64 v26, 0, 1, vcc
	v_lshlrev_b32_e32 v26, 4, v26
	v_add_lshl_u32 v45, v26, v31, 2
	ds_bpermute_b32 v26, v45, v22
	v_cmp_le_u32_e32 vcc, v46, v21
	;; [unrolled: 9-line block ×3, first 2 shown]
	s_waitcnt lgkmcnt(0)
	v_cndmask_b32_e32 v21, 0, v26, vcc
	v_add_u32_e32 v22, v22, v21
	v_mov_b32_e32 v21, 0
	s_branch .LBB499_227
.LBB499_226:                            ;   in Loop: Header=BB499_227 Depth=1
	s_or_b64 exec, exec, s[36:37]
	v_cmp_eq_u16_sdwa s[36:37], v23, v19 src0_sel:BYTE_0 src1_sel:DWORD
	v_and_b32_e32 v26, s37, v25
	v_or_b32_e32 v26, 0x80000000, v26
	ds_bpermute_b32 v49, v37, v22
	v_and_b32_e32 v27, s36, v24
	v_ffbl_b32_e32 v26, v26
	v_add_u32_e32 v26, 32, v26
	v_ffbl_b32_e32 v27, v27
	v_min_u32_e32 v26, v27, v26
	v_cmp_lt_u32_e32 vcc, v36, v26
	s_waitcnt lgkmcnt(0)
	v_cndmask_b32_e32 v27, 0, v49, vcc
	v_add_u32_e32 v22, v27, v22
	ds_bpermute_b32 v27, v38, v22
	v_cmp_le_u32_e32 vcc, v39, v26
	v_subrev_u32_e32 v20, 64, v20
	s_waitcnt lgkmcnt(0)
	v_cndmask_b32_e32 v27, 0, v27, vcc
	v_add_u32_e32 v22, v22, v27
	ds_bpermute_b32 v27, v40, v22
	v_cmp_le_u32_e32 vcc, v41, v26
	s_waitcnt lgkmcnt(0)
	v_cndmask_b32_e32 v27, 0, v27, vcc
	v_add_u32_e32 v22, v22, v27
	ds_bpermute_b32 v27, v42, v22
	v_cmp_le_u32_e32 vcc, v43, v26
	;; [unrolled: 5-line block ×4, first 2 shown]
	s_waitcnt lgkmcnt(0)
	v_cndmask_b32_e32 v26, 0, v27, vcc
	v_add3_u32 v22, v26, v44, v22
.LBB499_227:                            ; =>This Loop Header: Depth=1
                                        ;     Child Loop BB499_230 Depth 2
	v_cmp_ne_u16_sdwa s[36:37], v23, v19 src0_sel:BYTE_0 src1_sel:DWORD
	v_cndmask_b32_e64 v23, 0, 1, s[36:37]
	;;#ASMSTART
	;;#ASMEND
	v_cmp_ne_u32_e32 vcc, 0, v23
	s_cmp_lg_u64 vcc, exec
	v_mov_b32_e32 v44, v22
	s_cbranch_scc1 .LBB499_232
; %bb.228:                              ;   in Loop: Header=BB499_227 Depth=1
	v_lshlrev_b64 v[22:23], 3, v[20:21]
	v_mov_b32_e32 v27, s19
	v_add_co_u32_e32 v26, vcc, s18, v22
	v_addc_co_u32_e32 v27, vcc, v27, v23, vcc
	global_load_dwordx2 v[22:23], v[26:27], off glc
	s_waitcnt vmcnt(0)
	v_cmp_eq_u16_sdwa s[38:39], v23, v21 src0_sel:BYTE_0 src1_sel:DWORD
	s_and_saveexec_b64 s[36:37], s[38:39]
	s_cbranch_execz .LBB499_226
; %bb.229:                              ;   in Loop: Header=BB499_227 Depth=1
	s_mov_b64 s[38:39], 0
.LBB499_230:                            ;   Parent Loop BB499_227 Depth=1
                                        ; =>  This Inner Loop Header: Depth=2
	global_load_dwordx2 v[22:23], v[26:27], off glc
	s_waitcnt vmcnt(0)
	v_cmp_ne_u16_sdwa s[40:41], v23, v21 src0_sel:BYTE_0 src1_sel:DWORD
	s_or_b64 s[38:39], s[40:41], s[38:39]
	s_andn2_b64 exec, exec, s[38:39]
	s_cbranch_execnz .LBB499_230
; %bb.231:                              ;   in Loop: Header=BB499_227 Depth=1
	s_or_b64 exec, exec, s[38:39]
	s_branch .LBB499_226
.LBB499_232:                            ;   in Loop: Header=BB499_227 Depth=1
                                        ; implicit-def: $vgpr22
                                        ; implicit-def: $vgpr23
	s_cbranch_execz .LBB499_227
; %bb.233:
	s_and_saveexec_b64 s[36:37], s[16:17]
	s_cbranch_execz .LBB499_235
; %bb.234:
	s_add_i32 s38, s33, 64
	s_mov_b32 s39, 0
	s_lshl_b64 s[38:39], s[38:39], 3
	s_add_u32 s38, s18, s38
	v_add_u32_e32 v20, v44, v18
	v_mov_b32_e32 v21, 2
	s_addc_u32 s39, s19, s39
	v_mov_b32_e32 v19, 0
	s_movk_i32 s33, 0x1000
	global_store_dwordx2 v19, v[20:21], s[38:39]
	v_add_u32_e64 v19, s33, 0
	ds_write2_b32 v19, v18, v44 offset0:32 offset1:34
.LBB499_235:
	s_or_b64 exec, exec, s[36:37]
	s_and_b64 exec, exec, s[0:1]
	s_cbranch_execz .LBB499_237
; %bb.236:
	v_mov_b32_e32 v18, 0
	ds_write_b32 v18, v44 offset:4
.LBB499_237:
	s_or_b64 exec, exec, s[26:27]
	v_mov_b32_e32 v19, 0
	s_waitcnt lgkmcnt(0)
	s_barrier
	ds_read_b32 v19, v19 offset:4
	v_cndmask_b32_e64 v18, v35, v34, s[16:17]
	s_movk_i32 s16, 0x1000
	v_add_u32_e64 v20, s16, 0
	s_waitcnt lgkmcnt(0)
	s_barrier
	ds_read2_b32 v[26:27], v20 offset0:32 offset1:34
	v_cndmask_b32_e64 v18, v18, 0, s[0:1]
	v_add_u32_e32 v24, v19, v18
	v_add_u32_sdwa v22, v24, v28 dst_sel:DWORD dst_unused:UNUSED_PAD src0_sel:DWORD src1_sel:BYTE_0
	v_add_u32_sdwa v20, v22, v28 dst_sel:DWORD dst_unused:UNUSED_PAD src0_sel:DWORD src1_sel:BYTE_1
	v_add_u32_e32 v18, v20, v30
	s_waitcnt lgkmcnt(0)
	v_readfirstlane_b32 s33, v26
	v_readfirstlane_b32 s16, v27
	s_branch .LBB499_248
.LBB499_238:
                                        ; implicit-def: $vgpr18
                                        ; implicit-def: $vgpr20
                                        ; implicit-def: $vgpr22
                                        ; implicit-def: $vgpr24
                                        ; implicit-def: $sgpr16
                                        ; implicit-def: $sgpr33
	s_cbranch_execz .LBB499_248
; %bb.239:
	s_nop 0
	v_mov_b32_dpp v18, v33 row_shr:1 row_mask:0xf bank_mask:0xf
	v_cndmask_b32_e64 v18, v18, 0, s[14:15]
	v_add_u32_e32 v18, v18, v33
	s_nop 1
	v_mov_b32_dpp v19, v18 row_shr:2 row_mask:0xf bank_mask:0xf
	v_cndmask_b32_e64 v19, 0, v19, s[12:13]
	v_add_u32_e32 v18, v18, v19
	;; [unrolled: 4-line block ×4, first 2 shown]
	s_nop 1
	v_mov_b32_dpp v19, v18 row_bcast:15 row_mask:0xf bank_mask:0xf
	v_cndmask_b32_e64 v19, v19, 0, s[6:7]
	v_add_u32_e32 v18, v18, v19
	s_nop 1
	v_mov_b32_dpp v19, v18 row_bcast:31 row_mask:0xf bank_mask:0xf
	v_cndmask_b32_e64 v19, 0, v19, s[2:3]
	v_add_u32_e32 v18, v18, v19
	s_and_saveexec_b64 s[2:3], s[4:5]
	s_cbranch_execz .LBB499_241
; %bb.240:
	v_lshlrev_b32_e32 v19, 2, v32
	ds_write_b32 v19, v18
.LBB499_241:
	s_or_b64 exec, exec, s[2:3]
	v_cmp_gt_u32_e32 vcc, 2, v0
	s_waitcnt lgkmcnt(0)
	s_barrier
	s_and_saveexec_b64 s[2:3], vcc
	s_cbranch_execz .LBB499_243
; %bb.242:
	ds_read_b32 v19, v1
	v_bfe_i32 v20, v31, 0, 1
	s_waitcnt lgkmcnt(0)
	v_mov_b32_dpp v21, v19 row_shr:1 row_mask:0xf bank_mask:0xf
	v_and_b32_e32 v20, v20, v21
	v_add_u32_e32 v19, v20, v19
	ds_write_b32 v1, v19
.LBB499_243:
	s_or_b64 exec, exec, s[2:3]
	v_cmp_lt_u32_e32 vcc, 63, v0
	v_mov_b32_e32 v19, 0
	v_mov_b32_e32 v1, 0
	s_waitcnt lgkmcnt(0)
	s_barrier
	s_and_saveexec_b64 s[2:3], vcc
	s_cbranch_execz .LBB499_245
; %bb.244:
	v_lshl_add_u32 v1, v32, 2, -4
	ds_read_b32 v1, v1
.LBB499_245:
	s_or_b64 exec, exec, s[2:3]
	v_add_u32_e32 v20, -1, v31
	v_and_b32_e32 v21, 64, v31
	v_cmp_lt_i32_e32 vcc, v20, v21
	v_cndmask_b32_e32 v20, v20, v31, vcc
	s_waitcnt lgkmcnt(0)
	v_add_u32_e32 v18, v1, v18
	v_lshlrev_b32_e32 v20, 2, v20
	ds_read_b32 v19, v19 offset:4
	ds_bpermute_b32 v18, v20, v18
	s_waitcnt lgkmcnt(1)
	v_readfirstlane_b32 s33, v19
	s_and_saveexec_b64 s[2:3], s[0:1]
	s_cbranch_execz .LBB499_247
; %bb.246:
	v_mov_b32_e32 v19, 0
	v_mov_b32_e32 v20, s33
	;; [unrolled: 1-line block ×3, first 2 shown]
	global_store_dwordx2 v19, v[20:21], s[18:19] offset:512
.LBB499_247:
	s_or_b64 exec, exec, s[2:3]
	v_cmp_eq_u32_e32 vcc, 0, v31
	s_waitcnt lgkmcnt(0)
	v_cndmask_b32_e32 v1, v18, v1, vcc
	v_cndmask_b32_e64 v24, v1, 0, s[0:1]
	v_add_u32_sdwa v22, v24, v28 dst_sel:DWORD dst_unused:UNUSED_PAD src0_sel:DWORD src1_sel:BYTE_0
	v_add_u32_sdwa v20, v22, v28 dst_sel:DWORD dst_unused:UNUSED_PAD src0_sel:DWORD src1_sel:BYTE_1
	s_mov_b32 s16, 0
	v_add_u32_e32 v18, v20, v30
	s_barrier
.LBB499_248:
	s_cmpk_lt_u32 s33, 0x81
	s_cselect_b64 s[4:5], -1, 0
	v_lshrrev_b32_e32 v1, 8, v28
	s_mov_b64 s[2:3], -1
	s_and_b64 vcc, exec, s[4:5]
	s_cbranch_vccz .LBB499_262
; %bb.249:
	s_add_i32 s6, s16, s33
	v_cmp_gt_u32_e32 vcc, s6, v24
	s_or_b64 s[8:9], s[34:35], vcc
	s_and_saveexec_b64 s[2:3], s[8:9]
	s_cbranch_execz .LBB499_252
; %bb.250:
	v_and_b32_e32 v19, 1, v28
	v_cmp_eq_u32_e32 vcc, 1, v19
	s_and_b64 exec, exec, vcc
	s_cbranch_execz .LBB499_252
; %bb.251:
	s_lshl_b64 s[8:9], s[22:23], 3
	s_add_u32 s7, s28, s8
	v_mov_b32_e32 v25, 0
	s_addc_u32 s8, s29, s9
	v_lshlrev_b64 v[26:27], 3, v[24:25]
	v_mov_b32_e32 v19, s8
	v_add_co_u32_e32 v26, vcc, s7, v26
	v_addc_co_u32_e32 v27, vcc, v19, v27, vcc
	global_store_dwordx2 v[26:27], v[14:15], off
.LBB499_252:
	s_or_b64 exec, exec, s[2:3]
	v_cmp_gt_u32_e32 vcc, s6, v22
	s_or_b64 s[8:9], s[34:35], vcc
	s_and_saveexec_b64 s[2:3], s[8:9]
	s_cbranch_execz .LBB499_255
; %bb.253:
	v_and_b32_e32 v19, 1, v1
	v_cmp_eq_u32_e32 vcc, 1, v19
	s_and_b64 exec, exec, vcc
	s_cbranch_execz .LBB499_255
; %bb.254:
	s_lshl_b64 s[8:9], s[22:23], 3
	s_add_u32 s7, s28, s8
	v_mov_b32_e32 v23, 0
	s_addc_u32 s8, s29, s9
	v_lshlrev_b64 v[26:27], 3, v[22:23]
	v_mov_b32_e32 v19, s8
	v_add_co_u32_e32 v26, vcc, s7, v26
	v_addc_co_u32_e32 v27, vcc, v19, v27, vcc
	global_store_dwordx2 v[26:27], v[16:17], off
.LBB499_255:
	s_or_b64 exec, exec, s[2:3]
	v_cmp_gt_u32_e32 vcc, s6, v20
	s_or_b64 s[8:9], s[34:35], vcc
	s_and_saveexec_b64 s[2:3], s[8:9]
	s_cbranch_execz .LBB499_258
; %bb.256:
	v_mov_b32_e32 v19, 1
	v_and_b32_sdwa v19, v19, v28 dst_sel:DWORD dst_unused:UNUSED_PAD src0_sel:DWORD src1_sel:WORD_1
	v_cmp_eq_u32_e32 vcc, 1, v19
	s_and_b64 exec, exec, vcc
	s_cbranch_execz .LBB499_258
; %bb.257:
	s_lshl_b64 s[8:9], s[22:23], 3
	s_add_u32 s7, s28, s8
	v_mov_b32_e32 v21, 0
	s_addc_u32 s8, s29, s9
	v_lshlrev_b64 v[26:27], 3, v[20:21]
	v_mov_b32_e32 v19, s8
	v_add_co_u32_e32 v26, vcc, s7, v26
	v_addc_co_u32_e32 v27, vcc, v19, v27, vcc
	global_store_dwordx2 v[26:27], v[10:11], off
.LBB499_258:
	s_or_b64 exec, exec, s[2:3]
	v_cmp_gt_u32_e32 vcc, s6, v18
	s_or_b64 s[6:7], s[34:35], vcc
	s_and_saveexec_b64 s[2:3], s[6:7]
	s_cbranch_execz .LBB499_261
; %bb.259:
	v_and_b32_e32 v19, 1, v29
	v_cmp_eq_u32_e32 vcc, 1, v19
	s_and_b64 exec, exec, vcc
	s_cbranch_execz .LBB499_261
; %bb.260:
	s_lshl_b64 s[6:7], s[22:23], 3
	s_add_u32 s6, s28, s6
	v_mov_b32_e32 v19, 0
	s_addc_u32 s7, s29, s7
	v_lshlrev_b64 v[26:27], 3, v[18:19]
	v_mov_b32_e32 v19, s7
	v_add_co_u32_e32 v26, vcc, s6, v26
	v_addc_co_u32_e32 v27, vcc, v19, v27, vcc
	global_store_dwordx2 v[26:27], v[12:13], off
.LBB499_261:
	s_or_b64 exec, exec, s[2:3]
	s_mov_b64 s[2:3], 0
.LBB499_262:
	v_and_b32_e32 v26, 1, v28
	s_and_b64 vcc, exec, s[2:3]
	v_cmp_eq_u32_e64 s[2:3], 1, v26
	s_cbranch_vccz .LBB499_275
; %bb.263:
	s_and_saveexec_b64 s[6:7], s[2:3]
	s_cbranch_execz .LBB499_265
; %bb.264:
	v_subrev_u32_e32 v19, s16, v24
	v_lshlrev_b32_e32 v19, 3, v19
	ds_write_b64 v19, v[14:15]
.LBB499_265:
	s_or_b64 exec, exec, s[6:7]
	v_and_b32_e32 v14, 1, v1
	v_cmp_eq_u32_e32 vcc, 1, v14
	s_and_saveexec_b64 s[2:3], vcc
	s_cbranch_execz .LBB499_267
; %bb.266:
	v_subrev_u32_e32 v14, s16, v22
	v_lshlrev_b32_e32 v14, 3, v14
	ds_write_b64 v14, v[16:17]
.LBB499_267:
	s_or_b64 exec, exec, s[2:3]
	v_mov_b32_e32 v14, 1
	v_and_b32_sdwa v14, v14, v28 dst_sel:DWORD dst_unused:UNUSED_PAD src0_sel:DWORD src1_sel:WORD_1
	v_cmp_eq_u32_e32 vcc, 1, v14
	s_and_saveexec_b64 s[2:3], vcc
	s_cbranch_execz .LBB499_269
; %bb.268:
	v_subrev_u32_e32 v14, s16, v20
	v_lshlrev_b32_e32 v14, 3, v14
	ds_write_b64 v14, v[10:11]
.LBB499_269:
	s_or_b64 exec, exec, s[2:3]
	v_and_b32_e32 v10, 1, v29
	v_cmp_eq_u32_e32 vcc, 1, v10
	s_and_saveexec_b64 s[2:3], vcc
	s_cbranch_execz .LBB499_271
; %bb.270:
	v_subrev_u32_e32 v10, s16, v18
	v_lshlrev_b32_e32 v10, 3, v10
	ds_write_b64 v10, v[12:13]
.LBB499_271:
	s_or_b64 exec, exec, s[2:3]
	v_cmp_gt_u32_e32 vcc, s33, v0
	s_waitcnt lgkmcnt(0)
	s_barrier
	s_and_saveexec_b64 s[2:3], vcc
	s_cbranch_execz .LBB499_274
; %bb.272:
	s_mov_b32 s17, 0
	s_lshl_b64 s[6:7], s[16:17], 3
	s_add_u32 s8, s28, s6
	s_addc_u32 s9, s29, s7
	s_lshl_b64 s[6:7], s[22:23], 3
	s_add_u32 s8, s8, s6
	s_addc_u32 s9, s9, s7
	v_lshlrev_b32_e32 v12, 3, v0
	s_mov_b64 s[6:7], 0
	v_mov_b32_e32 v11, 0
	v_mov_b32_e32 v13, s9
	;; [unrolled: 1-line block ×3, first 2 shown]
.LBB499_273:                            ; =>This Inner Loop Header: Depth=1
	ds_read_b64 v[14:15], v12
	v_lshlrev_b64 v[16:17], 3, v[10:11]
	v_add_co_u32_e32 v16, vcc, s8, v16
	v_add_u32_e32 v10, 0x80, v10
	v_addc_co_u32_e32 v17, vcc, v13, v17, vcc
	v_cmp_le_u32_e32 vcc, s33, v10
	v_add_u32_e32 v12, 0x400, v12
	s_or_b64 s[6:7], vcc, s[6:7]
	s_waitcnt lgkmcnt(0)
	global_store_dwordx2 v[16:17], v[14:15], off
	s_andn2_b64 exec, exec, s[6:7]
	s_cbranch_execnz .LBB499_273
.LBB499_274:
	s_or_b64 exec, exec, s[2:3]
.LBB499_275:
	s_mov_b64 s[2:3], -1
	s_and_b64 vcc, exec, s[4:5]
	s_barrier
	s_cbranch_vccnz .LBB499_279
; %bb.276:
	s_and_b64 vcc, exec, s[2:3]
	s_cbranch_vccnz .LBB499_292
.LBB499_277:
	s_and_b64 s[0:1], s[0:1], s[24:25]
	s_and_saveexec_b64 s[2:3], s[0:1]
	s_cbranch_execnz .LBB499_304
.LBB499_278:
	s_endpgm
.LBB499_279:
	s_add_i32 s4, s16, s33
	v_cmp_gt_u32_e32 vcc, s4, v24
	s_or_b64 s[6:7], s[34:35], vcc
	s_and_saveexec_b64 s[2:3], s[6:7]
	s_cbranch_execz .LBB499_282
; %bb.280:
	v_cmp_eq_u32_e32 vcc, 1, v26
	s_and_b64 exec, exec, vcc
	s_cbranch_execz .LBB499_282
; %bb.281:
	s_lshl_b64 s[6:7], s[22:23], 3
	s_add_u32 s5, s30, s6
	v_mov_b32_e32 v25, 0
	s_addc_u32 s6, s31, s7
	v_lshlrev_b64 v[10:11], 3, v[24:25]
	v_mov_b32_e32 v12, s6
	v_add_co_u32_e32 v10, vcc, s5, v10
	v_addc_co_u32_e32 v11, vcc, v12, v11, vcc
	global_store_dwordx2 v[10:11], v[6:7], off
.LBB499_282:
	s_or_b64 exec, exec, s[2:3]
	v_cmp_gt_u32_e32 vcc, s4, v22
	s_or_b64 s[6:7], s[34:35], vcc
	s_and_saveexec_b64 s[2:3], s[6:7]
	s_cbranch_execz .LBB499_285
; %bb.283:
	v_and_b32_e32 v10, 1, v1
	v_cmp_eq_u32_e32 vcc, 1, v10
	s_and_b64 exec, exec, vcc
	s_cbranch_execz .LBB499_285
; %bb.284:
	s_lshl_b64 s[6:7], s[22:23], 3
	s_add_u32 s5, s30, s6
	v_mov_b32_e32 v23, 0
	s_addc_u32 s6, s31, s7
	v_lshlrev_b64 v[10:11], 3, v[22:23]
	v_mov_b32_e32 v12, s6
	v_add_co_u32_e32 v10, vcc, s5, v10
	v_addc_co_u32_e32 v11, vcc, v12, v11, vcc
	global_store_dwordx2 v[10:11], v[8:9], off
.LBB499_285:
	s_or_b64 exec, exec, s[2:3]
	v_cmp_gt_u32_e32 vcc, s4, v20
	s_or_b64 s[6:7], s[34:35], vcc
	s_and_saveexec_b64 s[2:3], s[6:7]
	s_cbranch_execz .LBB499_288
; %bb.286:
	v_mov_b32_e32 v10, 1
	v_and_b32_sdwa v10, v10, v28 dst_sel:DWORD dst_unused:UNUSED_PAD src0_sel:DWORD src1_sel:WORD_1
	v_cmp_eq_u32_e32 vcc, 1, v10
	s_and_b64 exec, exec, vcc
	s_cbranch_execz .LBB499_288
; %bb.287:
	s_lshl_b64 s[6:7], s[22:23], 3
	s_add_u32 s5, s30, s6
	v_mov_b32_e32 v21, 0
	s_addc_u32 s6, s31, s7
	v_lshlrev_b64 v[10:11], 3, v[20:21]
	v_mov_b32_e32 v12, s6
	v_add_co_u32_e32 v10, vcc, s5, v10
	v_addc_co_u32_e32 v11, vcc, v12, v11, vcc
	global_store_dwordx2 v[10:11], v[2:3], off
.LBB499_288:
	s_or_b64 exec, exec, s[2:3]
	v_cmp_gt_u32_e32 vcc, s4, v18
	s_or_b64 s[4:5], s[34:35], vcc
	s_and_saveexec_b64 s[2:3], s[4:5]
	s_cbranch_execz .LBB499_291
; %bb.289:
	v_and_b32_e32 v10, 1, v29
	v_cmp_eq_u32_e32 vcc, 1, v10
	s_and_b64 exec, exec, vcc
	s_cbranch_execz .LBB499_291
; %bb.290:
	s_lshl_b64 s[4:5], s[22:23], 3
	s_add_u32 s4, s30, s4
	v_mov_b32_e32 v19, 0
	s_addc_u32 s5, s31, s5
	v_lshlrev_b64 v[10:11], 3, v[18:19]
	v_mov_b32_e32 v12, s5
	v_add_co_u32_e32 v10, vcc, s4, v10
	v_addc_co_u32_e32 v11, vcc, v12, v11, vcc
	global_store_dwordx2 v[10:11], v[4:5], off
.LBB499_291:
	s_or_b64 exec, exec, s[2:3]
	s_branch .LBB499_277
.LBB499_292:
	v_cmp_eq_u32_e32 vcc, 1, v26
	s_and_saveexec_b64 s[2:3], vcc
	s_cbranch_execz .LBB499_294
; %bb.293:
	v_subrev_u32_e32 v10, s16, v24
	v_lshlrev_b32_e32 v10, 3, v10
	ds_write_b64 v10, v[6:7]
.LBB499_294:
	s_or_b64 exec, exec, s[2:3]
	v_and_b32_e32 v1, 1, v1
	v_cmp_eq_u32_e32 vcc, 1, v1
	s_and_saveexec_b64 s[2:3], vcc
	s_cbranch_execz .LBB499_296
; %bb.295:
	v_subrev_u32_e32 v1, s16, v22
	v_lshlrev_b32_e32 v1, 3, v1
	ds_write_b64 v1, v[8:9]
.LBB499_296:
	s_or_b64 exec, exec, s[2:3]
	v_mov_b32_e32 v1, 1
	v_and_b32_sdwa v1, v1, v28 dst_sel:DWORD dst_unused:UNUSED_PAD src0_sel:DWORD src1_sel:WORD_1
	v_cmp_eq_u32_e32 vcc, 1, v1
	s_and_saveexec_b64 s[2:3], vcc
	s_cbranch_execz .LBB499_298
; %bb.297:
	v_subrev_u32_e32 v1, s16, v20
	v_lshlrev_b32_e32 v1, 3, v1
	ds_write_b64 v1, v[2:3]
.LBB499_298:
	s_or_b64 exec, exec, s[2:3]
	v_and_b32_e32 v1, 1, v29
	v_cmp_eq_u32_e32 vcc, 1, v1
	s_and_saveexec_b64 s[2:3], vcc
	s_cbranch_execz .LBB499_300
; %bb.299:
	v_subrev_u32_e32 v1, s16, v18
	v_lshlrev_b32_e32 v1, 3, v1
	ds_write_b64 v1, v[4:5]
.LBB499_300:
	s_or_b64 exec, exec, s[2:3]
	v_cmp_gt_u32_e32 vcc, s33, v0
	s_waitcnt lgkmcnt(0)
	s_barrier
	s_and_saveexec_b64 s[2:3], vcc
	s_cbranch_execz .LBB499_303
; %bb.301:
	s_mov_b32 s17, 0
	s_lshl_b64 s[4:5], s[16:17], 3
	s_add_u32 s6, s30, s4
	s_addc_u32 s7, s31, s5
	s_lshl_b64 s[4:5], s[22:23], 3
	s_add_u32 s6, s6, s4
	s_addc_u32 s7, s7, s5
	v_lshlrev_b32_e32 v2, 3, v0
	s_mov_b64 s[4:5], 0
	v_mov_b32_e32 v1, 0
	v_mov_b32_e32 v3, s7
.LBB499_302:                            ; =>This Inner Loop Header: Depth=1
	ds_read_b64 v[4:5], v2
	v_lshlrev_b64 v[6:7], 3, v[0:1]
	v_add_co_u32_e32 v6, vcc, s6, v6
	v_add_u32_e32 v0, 0x80, v0
	v_addc_co_u32_e32 v7, vcc, v3, v7, vcc
	v_cmp_le_u32_e32 vcc, s33, v0
	v_add_u32_e32 v2, 0x400, v2
	s_or_b64 s[4:5], vcc, s[4:5]
	s_waitcnt lgkmcnt(0)
	global_store_dwordx2 v[6:7], v[4:5], off
	s_andn2_b64 exec, exec, s[4:5]
	s_cbranch_execnz .LBB499_302
.LBB499_303:
	s_or_b64 exec, exec, s[2:3]
	s_and_b64 s[0:1], s[0:1], s[24:25]
	s_and_saveexec_b64 s[2:3], s[0:1]
	s_cbranch_execz .LBB499_278
.LBB499_304:
	s_add_u32 s0, s22, s33
	s_addc_u32 s1, s23, 0
	s_add_u32 s0, s0, s16
	s_addc_u32 s1, s1, 0
	v_mov_b32_e32 v2, 0
	v_pk_mov_b32 v[0:1], s[0:1], s[0:1] op_sel:[0,1]
	global_store_dwordx2 v2, v[0:1], s[20:21]
	s_endpgm
	.section	.rodata,"a",@progbits
	.p2align	6, 0x0
	.amdhsa_kernel _ZN7rocprim17ROCPRIM_400000_NS6detail17trampoline_kernelINS0_14default_configENS1_25partition_config_selectorILNS1_17partition_subalgoE9EllbEEZZNS1_14partition_implILS5_9ELb0ES3_jPlS8_PNS0_10empty_typeENS0_5tupleIJS8_S9_EEENSB_IJS8_SA_EEENS0_18inequality_wrapperIZN2at6native12_GLOBAL__N_124unique_dim_cuda_templateIiEESt5tupleIJNSF_6TensorESK_SK_EERKSK_lbbbEUlllE0_EEPmJS9_EEE10hipError_tPvRmT3_T4_T5_T6_T7_T9_mT8_P12ihipStream_tbDpT10_ENKUlT_T0_E_clISt17integral_constantIbLb0EES19_IbLb1EEEEDaS15_S16_EUlS15_E_NS1_11comp_targetILNS1_3genE4ELNS1_11target_archE910ELNS1_3gpuE8ELNS1_3repE0EEENS1_30default_config_static_selectorELNS0_4arch9wavefront6targetE1EEEvT1_
		.amdhsa_group_segment_fixed_size 4236
		.amdhsa_private_segment_fixed_size 0
		.amdhsa_kernarg_size 136
		.amdhsa_user_sgpr_count 6
		.amdhsa_user_sgpr_private_segment_buffer 1
		.amdhsa_user_sgpr_dispatch_ptr 0
		.amdhsa_user_sgpr_queue_ptr 0
		.amdhsa_user_sgpr_kernarg_segment_ptr 1
		.amdhsa_user_sgpr_dispatch_id 0
		.amdhsa_user_sgpr_flat_scratch_init 0
		.amdhsa_user_sgpr_kernarg_preload_length 0
		.amdhsa_user_sgpr_kernarg_preload_offset 0
		.amdhsa_user_sgpr_private_segment_size 0
		.amdhsa_uses_dynamic_stack 0
		.amdhsa_system_sgpr_private_segment_wavefront_offset 0
		.amdhsa_system_sgpr_workgroup_id_x 1
		.amdhsa_system_sgpr_workgroup_id_y 0
		.amdhsa_system_sgpr_workgroup_id_z 0
		.amdhsa_system_sgpr_workgroup_info 0
		.amdhsa_system_vgpr_workitem_id 0
		.amdhsa_next_free_vgpr 50
		.amdhsa_next_free_sgpr 52
		.amdhsa_accum_offset 52
		.amdhsa_reserve_vcc 1
		.amdhsa_reserve_flat_scratch 0
		.amdhsa_float_round_mode_32 0
		.amdhsa_float_round_mode_16_64 0
		.amdhsa_float_denorm_mode_32 3
		.amdhsa_float_denorm_mode_16_64 3
		.amdhsa_dx10_clamp 1
		.amdhsa_ieee_mode 1
		.amdhsa_fp16_overflow 0
		.amdhsa_tg_split 0
		.amdhsa_exception_fp_ieee_invalid_op 0
		.amdhsa_exception_fp_denorm_src 0
		.amdhsa_exception_fp_ieee_div_zero 0
		.amdhsa_exception_fp_ieee_overflow 0
		.amdhsa_exception_fp_ieee_underflow 0
		.amdhsa_exception_fp_ieee_inexact 0
		.amdhsa_exception_int_div_zero 0
	.end_amdhsa_kernel
	.section	.text._ZN7rocprim17ROCPRIM_400000_NS6detail17trampoline_kernelINS0_14default_configENS1_25partition_config_selectorILNS1_17partition_subalgoE9EllbEEZZNS1_14partition_implILS5_9ELb0ES3_jPlS8_PNS0_10empty_typeENS0_5tupleIJS8_S9_EEENSB_IJS8_SA_EEENS0_18inequality_wrapperIZN2at6native12_GLOBAL__N_124unique_dim_cuda_templateIiEESt5tupleIJNSF_6TensorESK_SK_EERKSK_lbbbEUlllE0_EEPmJS9_EEE10hipError_tPvRmT3_T4_T5_T6_T7_T9_mT8_P12ihipStream_tbDpT10_ENKUlT_T0_E_clISt17integral_constantIbLb0EES19_IbLb1EEEEDaS15_S16_EUlS15_E_NS1_11comp_targetILNS1_3genE4ELNS1_11target_archE910ELNS1_3gpuE8ELNS1_3repE0EEENS1_30default_config_static_selectorELNS0_4arch9wavefront6targetE1EEEvT1_,"axG",@progbits,_ZN7rocprim17ROCPRIM_400000_NS6detail17trampoline_kernelINS0_14default_configENS1_25partition_config_selectorILNS1_17partition_subalgoE9EllbEEZZNS1_14partition_implILS5_9ELb0ES3_jPlS8_PNS0_10empty_typeENS0_5tupleIJS8_S9_EEENSB_IJS8_SA_EEENS0_18inequality_wrapperIZN2at6native12_GLOBAL__N_124unique_dim_cuda_templateIiEESt5tupleIJNSF_6TensorESK_SK_EERKSK_lbbbEUlllE0_EEPmJS9_EEE10hipError_tPvRmT3_T4_T5_T6_T7_T9_mT8_P12ihipStream_tbDpT10_ENKUlT_T0_E_clISt17integral_constantIbLb0EES19_IbLb1EEEEDaS15_S16_EUlS15_E_NS1_11comp_targetILNS1_3genE4ELNS1_11target_archE910ELNS1_3gpuE8ELNS1_3repE0EEENS1_30default_config_static_selectorELNS0_4arch9wavefront6targetE1EEEvT1_,comdat
.Lfunc_end499:
	.size	_ZN7rocprim17ROCPRIM_400000_NS6detail17trampoline_kernelINS0_14default_configENS1_25partition_config_selectorILNS1_17partition_subalgoE9EllbEEZZNS1_14partition_implILS5_9ELb0ES3_jPlS8_PNS0_10empty_typeENS0_5tupleIJS8_S9_EEENSB_IJS8_SA_EEENS0_18inequality_wrapperIZN2at6native12_GLOBAL__N_124unique_dim_cuda_templateIiEESt5tupleIJNSF_6TensorESK_SK_EERKSK_lbbbEUlllE0_EEPmJS9_EEE10hipError_tPvRmT3_T4_T5_T6_T7_T9_mT8_P12ihipStream_tbDpT10_ENKUlT_T0_E_clISt17integral_constantIbLb0EES19_IbLb1EEEEDaS15_S16_EUlS15_E_NS1_11comp_targetILNS1_3genE4ELNS1_11target_archE910ELNS1_3gpuE8ELNS1_3repE0EEENS1_30default_config_static_selectorELNS0_4arch9wavefront6targetE1EEEvT1_, .Lfunc_end499-_ZN7rocprim17ROCPRIM_400000_NS6detail17trampoline_kernelINS0_14default_configENS1_25partition_config_selectorILNS1_17partition_subalgoE9EllbEEZZNS1_14partition_implILS5_9ELb0ES3_jPlS8_PNS0_10empty_typeENS0_5tupleIJS8_S9_EEENSB_IJS8_SA_EEENS0_18inequality_wrapperIZN2at6native12_GLOBAL__N_124unique_dim_cuda_templateIiEESt5tupleIJNSF_6TensorESK_SK_EERKSK_lbbbEUlllE0_EEPmJS9_EEE10hipError_tPvRmT3_T4_T5_T6_T7_T9_mT8_P12ihipStream_tbDpT10_ENKUlT_T0_E_clISt17integral_constantIbLb0EES19_IbLb1EEEEDaS15_S16_EUlS15_E_NS1_11comp_targetILNS1_3genE4ELNS1_11target_archE910ELNS1_3gpuE8ELNS1_3repE0EEENS1_30default_config_static_selectorELNS0_4arch9wavefront6targetE1EEEvT1_
                                        ; -- End function
	.section	.AMDGPU.csdata,"",@progbits
; Kernel info:
; codeLenInByte = 10900
; NumSgprs: 56
; NumVgprs: 50
; NumAgprs: 0
; TotalNumVgprs: 50
; ScratchSize: 0
; MemoryBound: 0
; FloatMode: 240
; IeeeMode: 1
; LDSByteSize: 4236 bytes/workgroup (compile time only)
; SGPRBlocks: 6
; VGPRBlocks: 6
; NumSGPRsForWavesPerEU: 56
; NumVGPRsForWavesPerEU: 50
; AccumOffset: 52
; Occupancy: 8
; WaveLimiterHint : 1
; COMPUTE_PGM_RSRC2:SCRATCH_EN: 0
; COMPUTE_PGM_RSRC2:USER_SGPR: 6
; COMPUTE_PGM_RSRC2:TRAP_HANDLER: 0
; COMPUTE_PGM_RSRC2:TGID_X_EN: 1
; COMPUTE_PGM_RSRC2:TGID_Y_EN: 0
; COMPUTE_PGM_RSRC2:TGID_Z_EN: 0
; COMPUTE_PGM_RSRC2:TIDIG_COMP_CNT: 0
; COMPUTE_PGM_RSRC3_GFX90A:ACCUM_OFFSET: 12
; COMPUTE_PGM_RSRC3_GFX90A:TG_SPLIT: 0
	.section	.text._ZN7rocprim17ROCPRIM_400000_NS6detail17trampoline_kernelINS0_14default_configENS1_25partition_config_selectorILNS1_17partition_subalgoE9EllbEEZZNS1_14partition_implILS5_9ELb0ES3_jPlS8_PNS0_10empty_typeENS0_5tupleIJS8_S9_EEENSB_IJS8_SA_EEENS0_18inequality_wrapperIZN2at6native12_GLOBAL__N_124unique_dim_cuda_templateIiEESt5tupleIJNSF_6TensorESK_SK_EERKSK_lbbbEUlllE0_EEPmJS9_EEE10hipError_tPvRmT3_T4_T5_T6_T7_T9_mT8_P12ihipStream_tbDpT10_ENKUlT_T0_E_clISt17integral_constantIbLb0EES19_IbLb1EEEEDaS15_S16_EUlS15_E_NS1_11comp_targetILNS1_3genE3ELNS1_11target_archE908ELNS1_3gpuE7ELNS1_3repE0EEENS1_30default_config_static_selectorELNS0_4arch9wavefront6targetE1EEEvT1_,"axG",@progbits,_ZN7rocprim17ROCPRIM_400000_NS6detail17trampoline_kernelINS0_14default_configENS1_25partition_config_selectorILNS1_17partition_subalgoE9EllbEEZZNS1_14partition_implILS5_9ELb0ES3_jPlS8_PNS0_10empty_typeENS0_5tupleIJS8_S9_EEENSB_IJS8_SA_EEENS0_18inequality_wrapperIZN2at6native12_GLOBAL__N_124unique_dim_cuda_templateIiEESt5tupleIJNSF_6TensorESK_SK_EERKSK_lbbbEUlllE0_EEPmJS9_EEE10hipError_tPvRmT3_T4_T5_T6_T7_T9_mT8_P12ihipStream_tbDpT10_ENKUlT_T0_E_clISt17integral_constantIbLb0EES19_IbLb1EEEEDaS15_S16_EUlS15_E_NS1_11comp_targetILNS1_3genE3ELNS1_11target_archE908ELNS1_3gpuE7ELNS1_3repE0EEENS1_30default_config_static_selectorELNS0_4arch9wavefront6targetE1EEEvT1_,comdat
	.globl	_ZN7rocprim17ROCPRIM_400000_NS6detail17trampoline_kernelINS0_14default_configENS1_25partition_config_selectorILNS1_17partition_subalgoE9EllbEEZZNS1_14partition_implILS5_9ELb0ES3_jPlS8_PNS0_10empty_typeENS0_5tupleIJS8_S9_EEENSB_IJS8_SA_EEENS0_18inequality_wrapperIZN2at6native12_GLOBAL__N_124unique_dim_cuda_templateIiEESt5tupleIJNSF_6TensorESK_SK_EERKSK_lbbbEUlllE0_EEPmJS9_EEE10hipError_tPvRmT3_T4_T5_T6_T7_T9_mT8_P12ihipStream_tbDpT10_ENKUlT_T0_E_clISt17integral_constantIbLb0EES19_IbLb1EEEEDaS15_S16_EUlS15_E_NS1_11comp_targetILNS1_3genE3ELNS1_11target_archE908ELNS1_3gpuE7ELNS1_3repE0EEENS1_30default_config_static_selectorELNS0_4arch9wavefront6targetE1EEEvT1_ ; -- Begin function _ZN7rocprim17ROCPRIM_400000_NS6detail17trampoline_kernelINS0_14default_configENS1_25partition_config_selectorILNS1_17partition_subalgoE9EllbEEZZNS1_14partition_implILS5_9ELb0ES3_jPlS8_PNS0_10empty_typeENS0_5tupleIJS8_S9_EEENSB_IJS8_SA_EEENS0_18inequality_wrapperIZN2at6native12_GLOBAL__N_124unique_dim_cuda_templateIiEESt5tupleIJNSF_6TensorESK_SK_EERKSK_lbbbEUlllE0_EEPmJS9_EEE10hipError_tPvRmT3_T4_T5_T6_T7_T9_mT8_P12ihipStream_tbDpT10_ENKUlT_T0_E_clISt17integral_constantIbLb0EES19_IbLb1EEEEDaS15_S16_EUlS15_E_NS1_11comp_targetILNS1_3genE3ELNS1_11target_archE908ELNS1_3gpuE7ELNS1_3repE0EEENS1_30default_config_static_selectorELNS0_4arch9wavefront6targetE1EEEvT1_
	.p2align	8
	.type	_ZN7rocprim17ROCPRIM_400000_NS6detail17trampoline_kernelINS0_14default_configENS1_25partition_config_selectorILNS1_17partition_subalgoE9EllbEEZZNS1_14partition_implILS5_9ELb0ES3_jPlS8_PNS0_10empty_typeENS0_5tupleIJS8_S9_EEENSB_IJS8_SA_EEENS0_18inequality_wrapperIZN2at6native12_GLOBAL__N_124unique_dim_cuda_templateIiEESt5tupleIJNSF_6TensorESK_SK_EERKSK_lbbbEUlllE0_EEPmJS9_EEE10hipError_tPvRmT3_T4_T5_T6_T7_T9_mT8_P12ihipStream_tbDpT10_ENKUlT_T0_E_clISt17integral_constantIbLb0EES19_IbLb1EEEEDaS15_S16_EUlS15_E_NS1_11comp_targetILNS1_3genE3ELNS1_11target_archE908ELNS1_3gpuE7ELNS1_3repE0EEENS1_30default_config_static_selectorELNS0_4arch9wavefront6targetE1EEEvT1_,@function
_ZN7rocprim17ROCPRIM_400000_NS6detail17trampoline_kernelINS0_14default_configENS1_25partition_config_selectorILNS1_17partition_subalgoE9EllbEEZZNS1_14partition_implILS5_9ELb0ES3_jPlS8_PNS0_10empty_typeENS0_5tupleIJS8_S9_EEENSB_IJS8_SA_EEENS0_18inequality_wrapperIZN2at6native12_GLOBAL__N_124unique_dim_cuda_templateIiEESt5tupleIJNSF_6TensorESK_SK_EERKSK_lbbbEUlllE0_EEPmJS9_EEE10hipError_tPvRmT3_T4_T5_T6_T7_T9_mT8_P12ihipStream_tbDpT10_ENKUlT_T0_E_clISt17integral_constantIbLb0EES19_IbLb1EEEEDaS15_S16_EUlS15_E_NS1_11comp_targetILNS1_3genE3ELNS1_11target_archE908ELNS1_3gpuE7ELNS1_3repE0EEENS1_30default_config_static_selectorELNS0_4arch9wavefront6targetE1EEEvT1_: ; @_ZN7rocprim17ROCPRIM_400000_NS6detail17trampoline_kernelINS0_14default_configENS1_25partition_config_selectorILNS1_17partition_subalgoE9EllbEEZZNS1_14partition_implILS5_9ELb0ES3_jPlS8_PNS0_10empty_typeENS0_5tupleIJS8_S9_EEENSB_IJS8_SA_EEENS0_18inequality_wrapperIZN2at6native12_GLOBAL__N_124unique_dim_cuda_templateIiEESt5tupleIJNSF_6TensorESK_SK_EERKSK_lbbbEUlllE0_EEPmJS9_EEE10hipError_tPvRmT3_T4_T5_T6_T7_T9_mT8_P12ihipStream_tbDpT10_ENKUlT_T0_E_clISt17integral_constantIbLb0EES19_IbLb1EEEEDaS15_S16_EUlS15_E_NS1_11comp_targetILNS1_3genE3ELNS1_11target_archE908ELNS1_3gpuE7ELNS1_3repE0EEENS1_30default_config_static_selectorELNS0_4arch9wavefront6targetE1EEEvT1_
; %bb.0:
	.section	.rodata,"a",@progbits
	.p2align	6, 0x0
	.amdhsa_kernel _ZN7rocprim17ROCPRIM_400000_NS6detail17trampoline_kernelINS0_14default_configENS1_25partition_config_selectorILNS1_17partition_subalgoE9EllbEEZZNS1_14partition_implILS5_9ELb0ES3_jPlS8_PNS0_10empty_typeENS0_5tupleIJS8_S9_EEENSB_IJS8_SA_EEENS0_18inequality_wrapperIZN2at6native12_GLOBAL__N_124unique_dim_cuda_templateIiEESt5tupleIJNSF_6TensorESK_SK_EERKSK_lbbbEUlllE0_EEPmJS9_EEE10hipError_tPvRmT3_T4_T5_T6_T7_T9_mT8_P12ihipStream_tbDpT10_ENKUlT_T0_E_clISt17integral_constantIbLb0EES19_IbLb1EEEEDaS15_S16_EUlS15_E_NS1_11comp_targetILNS1_3genE3ELNS1_11target_archE908ELNS1_3gpuE7ELNS1_3repE0EEENS1_30default_config_static_selectorELNS0_4arch9wavefront6targetE1EEEvT1_
		.amdhsa_group_segment_fixed_size 0
		.amdhsa_private_segment_fixed_size 0
		.amdhsa_kernarg_size 136
		.amdhsa_user_sgpr_count 6
		.amdhsa_user_sgpr_private_segment_buffer 1
		.amdhsa_user_sgpr_dispatch_ptr 0
		.amdhsa_user_sgpr_queue_ptr 0
		.amdhsa_user_sgpr_kernarg_segment_ptr 1
		.amdhsa_user_sgpr_dispatch_id 0
		.amdhsa_user_sgpr_flat_scratch_init 0
		.amdhsa_user_sgpr_kernarg_preload_length 0
		.amdhsa_user_sgpr_kernarg_preload_offset 0
		.amdhsa_user_sgpr_private_segment_size 0
		.amdhsa_uses_dynamic_stack 0
		.amdhsa_system_sgpr_private_segment_wavefront_offset 0
		.amdhsa_system_sgpr_workgroup_id_x 1
		.amdhsa_system_sgpr_workgroup_id_y 0
		.amdhsa_system_sgpr_workgroup_id_z 0
		.amdhsa_system_sgpr_workgroup_info 0
		.amdhsa_system_vgpr_workitem_id 0
		.amdhsa_next_free_vgpr 1
		.amdhsa_next_free_sgpr 0
		.amdhsa_accum_offset 4
		.amdhsa_reserve_vcc 0
		.amdhsa_reserve_flat_scratch 0
		.amdhsa_float_round_mode_32 0
		.amdhsa_float_round_mode_16_64 0
		.amdhsa_float_denorm_mode_32 3
		.amdhsa_float_denorm_mode_16_64 3
		.amdhsa_dx10_clamp 1
		.amdhsa_ieee_mode 1
		.amdhsa_fp16_overflow 0
		.amdhsa_tg_split 0
		.amdhsa_exception_fp_ieee_invalid_op 0
		.amdhsa_exception_fp_denorm_src 0
		.amdhsa_exception_fp_ieee_div_zero 0
		.amdhsa_exception_fp_ieee_overflow 0
		.amdhsa_exception_fp_ieee_underflow 0
		.amdhsa_exception_fp_ieee_inexact 0
		.amdhsa_exception_int_div_zero 0
	.end_amdhsa_kernel
	.section	.text._ZN7rocprim17ROCPRIM_400000_NS6detail17trampoline_kernelINS0_14default_configENS1_25partition_config_selectorILNS1_17partition_subalgoE9EllbEEZZNS1_14partition_implILS5_9ELb0ES3_jPlS8_PNS0_10empty_typeENS0_5tupleIJS8_S9_EEENSB_IJS8_SA_EEENS0_18inequality_wrapperIZN2at6native12_GLOBAL__N_124unique_dim_cuda_templateIiEESt5tupleIJNSF_6TensorESK_SK_EERKSK_lbbbEUlllE0_EEPmJS9_EEE10hipError_tPvRmT3_T4_T5_T6_T7_T9_mT8_P12ihipStream_tbDpT10_ENKUlT_T0_E_clISt17integral_constantIbLb0EES19_IbLb1EEEEDaS15_S16_EUlS15_E_NS1_11comp_targetILNS1_3genE3ELNS1_11target_archE908ELNS1_3gpuE7ELNS1_3repE0EEENS1_30default_config_static_selectorELNS0_4arch9wavefront6targetE1EEEvT1_,"axG",@progbits,_ZN7rocprim17ROCPRIM_400000_NS6detail17trampoline_kernelINS0_14default_configENS1_25partition_config_selectorILNS1_17partition_subalgoE9EllbEEZZNS1_14partition_implILS5_9ELb0ES3_jPlS8_PNS0_10empty_typeENS0_5tupleIJS8_S9_EEENSB_IJS8_SA_EEENS0_18inequality_wrapperIZN2at6native12_GLOBAL__N_124unique_dim_cuda_templateIiEESt5tupleIJNSF_6TensorESK_SK_EERKSK_lbbbEUlllE0_EEPmJS9_EEE10hipError_tPvRmT3_T4_T5_T6_T7_T9_mT8_P12ihipStream_tbDpT10_ENKUlT_T0_E_clISt17integral_constantIbLb0EES19_IbLb1EEEEDaS15_S16_EUlS15_E_NS1_11comp_targetILNS1_3genE3ELNS1_11target_archE908ELNS1_3gpuE7ELNS1_3repE0EEENS1_30default_config_static_selectorELNS0_4arch9wavefront6targetE1EEEvT1_,comdat
.Lfunc_end500:
	.size	_ZN7rocprim17ROCPRIM_400000_NS6detail17trampoline_kernelINS0_14default_configENS1_25partition_config_selectorILNS1_17partition_subalgoE9EllbEEZZNS1_14partition_implILS5_9ELb0ES3_jPlS8_PNS0_10empty_typeENS0_5tupleIJS8_S9_EEENSB_IJS8_SA_EEENS0_18inequality_wrapperIZN2at6native12_GLOBAL__N_124unique_dim_cuda_templateIiEESt5tupleIJNSF_6TensorESK_SK_EERKSK_lbbbEUlllE0_EEPmJS9_EEE10hipError_tPvRmT3_T4_T5_T6_T7_T9_mT8_P12ihipStream_tbDpT10_ENKUlT_T0_E_clISt17integral_constantIbLb0EES19_IbLb1EEEEDaS15_S16_EUlS15_E_NS1_11comp_targetILNS1_3genE3ELNS1_11target_archE908ELNS1_3gpuE7ELNS1_3repE0EEENS1_30default_config_static_selectorELNS0_4arch9wavefront6targetE1EEEvT1_, .Lfunc_end500-_ZN7rocprim17ROCPRIM_400000_NS6detail17trampoline_kernelINS0_14default_configENS1_25partition_config_selectorILNS1_17partition_subalgoE9EllbEEZZNS1_14partition_implILS5_9ELb0ES3_jPlS8_PNS0_10empty_typeENS0_5tupleIJS8_S9_EEENSB_IJS8_SA_EEENS0_18inequality_wrapperIZN2at6native12_GLOBAL__N_124unique_dim_cuda_templateIiEESt5tupleIJNSF_6TensorESK_SK_EERKSK_lbbbEUlllE0_EEPmJS9_EEE10hipError_tPvRmT3_T4_T5_T6_T7_T9_mT8_P12ihipStream_tbDpT10_ENKUlT_T0_E_clISt17integral_constantIbLb0EES19_IbLb1EEEEDaS15_S16_EUlS15_E_NS1_11comp_targetILNS1_3genE3ELNS1_11target_archE908ELNS1_3gpuE7ELNS1_3repE0EEENS1_30default_config_static_selectorELNS0_4arch9wavefront6targetE1EEEvT1_
                                        ; -- End function
	.section	.AMDGPU.csdata,"",@progbits
; Kernel info:
; codeLenInByte = 0
; NumSgprs: 4
; NumVgprs: 0
; NumAgprs: 0
; TotalNumVgprs: 0
; ScratchSize: 0
; MemoryBound: 0
; FloatMode: 240
; IeeeMode: 1
; LDSByteSize: 0 bytes/workgroup (compile time only)
; SGPRBlocks: 0
; VGPRBlocks: 0
; NumSGPRsForWavesPerEU: 4
; NumVGPRsForWavesPerEU: 1
; AccumOffset: 4
; Occupancy: 8
; WaveLimiterHint : 0
; COMPUTE_PGM_RSRC2:SCRATCH_EN: 0
; COMPUTE_PGM_RSRC2:USER_SGPR: 6
; COMPUTE_PGM_RSRC2:TRAP_HANDLER: 0
; COMPUTE_PGM_RSRC2:TGID_X_EN: 1
; COMPUTE_PGM_RSRC2:TGID_Y_EN: 0
; COMPUTE_PGM_RSRC2:TGID_Z_EN: 0
; COMPUTE_PGM_RSRC2:TIDIG_COMP_CNT: 0
; COMPUTE_PGM_RSRC3_GFX90A:ACCUM_OFFSET: 0
; COMPUTE_PGM_RSRC3_GFX90A:TG_SPLIT: 0
	.section	.text._ZN7rocprim17ROCPRIM_400000_NS6detail17trampoline_kernelINS0_14default_configENS1_25partition_config_selectorILNS1_17partition_subalgoE9EllbEEZZNS1_14partition_implILS5_9ELb0ES3_jPlS8_PNS0_10empty_typeENS0_5tupleIJS8_S9_EEENSB_IJS8_SA_EEENS0_18inequality_wrapperIZN2at6native12_GLOBAL__N_124unique_dim_cuda_templateIiEESt5tupleIJNSF_6TensorESK_SK_EERKSK_lbbbEUlllE0_EEPmJS9_EEE10hipError_tPvRmT3_T4_T5_T6_T7_T9_mT8_P12ihipStream_tbDpT10_ENKUlT_T0_E_clISt17integral_constantIbLb0EES19_IbLb1EEEEDaS15_S16_EUlS15_E_NS1_11comp_targetILNS1_3genE2ELNS1_11target_archE906ELNS1_3gpuE6ELNS1_3repE0EEENS1_30default_config_static_selectorELNS0_4arch9wavefront6targetE1EEEvT1_,"axG",@progbits,_ZN7rocprim17ROCPRIM_400000_NS6detail17trampoline_kernelINS0_14default_configENS1_25partition_config_selectorILNS1_17partition_subalgoE9EllbEEZZNS1_14partition_implILS5_9ELb0ES3_jPlS8_PNS0_10empty_typeENS0_5tupleIJS8_S9_EEENSB_IJS8_SA_EEENS0_18inequality_wrapperIZN2at6native12_GLOBAL__N_124unique_dim_cuda_templateIiEESt5tupleIJNSF_6TensorESK_SK_EERKSK_lbbbEUlllE0_EEPmJS9_EEE10hipError_tPvRmT3_T4_T5_T6_T7_T9_mT8_P12ihipStream_tbDpT10_ENKUlT_T0_E_clISt17integral_constantIbLb0EES19_IbLb1EEEEDaS15_S16_EUlS15_E_NS1_11comp_targetILNS1_3genE2ELNS1_11target_archE906ELNS1_3gpuE6ELNS1_3repE0EEENS1_30default_config_static_selectorELNS0_4arch9wavefront6targetE1EEEvT1_,comdat
	.globl	_ZN7rocprim17ROCPRIM_400000_NS6detail17trampoline_kernelINS0_14default_configENS1_25partition_config_selectorILNS1_17partition_subalgoE9EllbEEZZNS1_14partition_implILS5_9ELb0ES3_jPlS8_PNS0_10empty_typeENS0_5tupleIJS8_S9_EEENSB_IJS8_SA_EEENS0_18inequality_wrapperIZN2at6native12_GLOBAL__N_124unique_dim_cuda_templateIiEESt5tupleIJNSF_6TensorESK_SK_EERKSK_lbbbEUlllE0_EEPmJS9_EEE10hipError_tPvRmT3_T4_T5_T6_T7_T9_mT8_P12ihipStream_tbDpT10_ENKUlT_T0_E_clISt17integral_constantIbLb0EES19_IbLb1EEEEDaS15_S16_EUlS15_E_NS1_11comp_targetILNS1_3genE2ELNS1_11target_archE906ELNS1_3gpuE6ELNS1_3repE0EEENS1_30default_config_static_selectorELNS0_4arch9wavefront6targetE1EEEvT1_ ; -- Begin function _ZN7rocprim17ROCPRIM_400000_NS6detail17trampoline_kernelINS0_14default_configENS1_25partition_config_selectorILNS1_17partition_subalgoE9EllbEEZZNS1_14partition_implILS5_9ELb0ES3_jPlS8_PNS0_10empty_typeENS0_5tupleIJS8_S9_EEENSB_IJS8_SA_EEENS0_18inequality_wrapperIZN2at6native12_GLOBAL__N_124unique_dim_cuda_templateIiEESt5tupleIJNSF_6TensorESK_SK_EERKSK_lbbbEUlllE0_EEPmJS9_EEE10hipError_tPvRmT3_T4_T5_T6_T7_T9_mT8_P12ihipStream_tbDpT10_ENKUlT_T0_E_clISt17integral_constantIbLb0EES19_IbLb1EEEEDaS15_S16_EUlS15_E_NS1_11comp_targetILNS1_3genE2ELNS1_11target_archE906ELNS1_3gpuE6ELNS1_3repE0EEENS1_30default_config_static_selectorELNS0_4arch9wavefront6targetE1EEEvT1_
	.p2align	8
	.type	_ZN7rocprim17ROCPRIM_400000_NS6detail17trampoline_kernelINS0_14default_configENS1_25partition_config_selectorILNS1_17partition_subalgoE9EllbEEZZNS1_14partition_implILS5_9ELb0ES3_jPlS8_PNS0_10empty_typeENS0_5tupleIJS8_S9_EEENSB_IJS8_SA_EEENS0_18inequality_wrapperIZN2at6native12_GLOBAL__N_124unique_dim_cuda_templateIiEESt5tupleIJNSF_6TensorESK_SK_EERKSK_lbbbEUlllE0_EEPmJS9_EEE10hipError_tPvRmT3_T4_T5_T6_T7_T9_mT8_P12ihipStream_tbDpT10_ENKUlT_T0_E_clISt17integral_constantIbLb0EES19_IbLb1EEEEDaS15_S16_EUlS15_E_NS1_11comp_targetILNS1_3genE2ELNS1_11target_archE906ELNS1_3gpuE6ELNS1_3repE0EEENS1_30default_config_static_selectorELNS0_4arch9wavefront6targetE1EEEvT1_,@function
_ZN7rocprim17ROCPRIM_400000_NS6detail17trampoline_kernelINS0_14default_configENS1_25partition_config_selectorILNS1_17partition_subalgoE9EllbEEZZNS1_14partition_implILS5_9ELb0ES3_jPlS8_PNS0_10empty_typeENS0_5tupleIJS8_S9_EEENSB_IJS8_SA_EEENS0_18inequality_wrapperIZN2at6native12_GLOBAL__N_124unique_dim_cuda_templateIiEESt5tupleIJNSF_6TensorESK_SK_EERKSK_lbbbEUlllE0_EEPmJS9_EEE10hipError_tPvRmT3_T4_T5_T6_T7_T9_mT8_P12ihipStream_tbDpT10_ENKUlT_T0_E_clISt17integral_constantIbLb0EES19_IbLb1EEEEDaS15_S16_EUlS15_E_NS1_11comp_targetILNS1_3genE2ELNS1_11target_archE906ELNS1_3gpuE6ELNS1_3repE0EEENS1_30default_config_static_selectorELNS0_4arch9wavefront6targetE1EEEvT1_: ; @_ZN7rocprim17ROCPRIM_400000_NS6detail17trampoline_kernelINS0_14default_configENS1_25partition_config_selectorILNS1_17partition_subalgoE9EllbEEZZNS1_14partition_implILS5_9ELb0ES3_jPlS8_PNS0_10empty_typeENS0_5tupleIJS8_S9_EEENSB_IJS8_SA_EEENS0_18inequality_wrapperIZN2at6native12_GLOBAL__N_124unique_dim_cuda_templateIiEESt5tupleIJNSF_6TensorESK_SK_EERKSK_lbbbEUlllE0_EEPmJS9_EEE10hipError_tPvRmT3_T4_T5_T6_T7_T9_mT8_P12ihipStream_tbDpT10_ENKUlT_T0_E_clISt17integral_constantIbLb0EES19_IbLb1EEEEDaS15_S16_EUlS15_E_NS1_11comp_targetILNS1_3genE2ELNS1_11target_archE906ELNS1_3gpuE6ELNS1_3repE0EEENS1_30default_config_static_selectorELNS0_4arch9wavefront6targetE1EEEvT1_
; %bb.0:
	.section	.rodata,"a",@progbits
	.p2align	6, 0x0
	.amdhsa_kernel _ZN7rocprim17ROCPRIM_400000_NS6detail17trampoline_kernelINS0_14default_configENS1_25partition_config_selectorILNS1_17partition_subalgoE9EllbEEZZNS1_14partition_implILS5_9ELb0ES3_jPlS8_PNS0_10empty_typeENS0_5tupleIJS8_S9_EEENSB_IJS8_SA_EEENS0_18inequality_wrapperIZN2at6native12_GLOBAL__N_124unique_dim_cuda_templateIiEESt5tupleIJNSF_6TensorESK_SK_EERKSK_lbbbEUlllE0_EEPmJS9_EEE10hipError_tPvRmT3_T4_T5_T6_T7_T9_mT8_P12ihipStream_tbDpT10_ENKUlT_T0_E_clISt17integral_constantIbLb0EES19_IbLb1EEEEDaS15_S16_EUlS15_E_NS1_11comp_targetILNS1_3genE2ELNS1_11target_archE906ELNS1_3gpuE6ELNS1_3repE0EEENS1_30default_config_static_selectorELNS0_4arch9wavefront6targetE1EEEvT1_
		.amdhsa_group_segment_fixed_size 0
		.amdhsa_private_segment_fixed_size 0
		.amdhsa_kernarg_size 136
		.amdhsa_user_sgpr_count 6
		.amdhsa_user_sgpr_private_segment_buffer 1
		.amdhsa_user_sgpr_dispatch_ptr 0
		.amdhsa_user_sgpr_queue_ptr 0
		.amdhsa_user_sgpr_kernarg_segment_ptr 1
		.amdhsa_user_sgpr_dispatch_id 0
		.amdhsa_user_sgpr_flat_scratch_init 0
		.amdhsa_user_sgpr_kernarg_preload_length 0
		.amdhsa_user_sgpr_kernarg_preload_offset 0
		.amdhsa_user_sgpr_private_segment_size 0
		.amdhsa_uses_dynamic_stack 0
		.amdhsa_system_sgpr_private_segment_wavefront_offset 0
		.amdhsa_system_sgpr_workgroup_id_x 1
		.amdhsa_system_sgpr_workgroup_id_y 0
		.amdhsa_system_sgpr_workgroup_id_z 0
		.amdhsa_system_sgpr_workgroup_info 0
		.amdhsa_system_vgpr_workitem_id 0
		.amdhsa_next_free_vgpr 1
		.amdhsa_next_free_sgpr 0
		.amdhsa_accum_offset 4
		.amdhsa_reserve_vcc 0
		.amdhsa_reserve_flat_scratch 0
		.amdhsa_float_round_mode_32 0
		.amdhsa_float_round_mode_16_64 0
		.amdhsa_float_denorm_mode_32 3
		.amdhsa_float_denorm_mode_16_64 3
		.amdhsa_dx10_clamp 1
		.amdhsa_ieee_mode 1
		.amdhsa_fp16_overflow 0
		.amdhsa_tg_split 0
		.amdhsa_exception_fp_ieee_invalid_op 0
		.amdhsa_exception_fp_denorm_src 0
		.amdhsa_exception_fp_ieee_div_zero 0
		.amdhsa_exception_fp_ieee_overflow 0
		.amdhsa_exception_fp_ieee_underflow 0
		.amdhsa_exception_fp_ieee_inexact 0
		.amdhsa_exception_int_div_zero 0
	.end_amdhsa_kernel
	.section	.text._ZN7rocprim17ROCPRIM_400000_NS6detail17trampoline_kernelINS0_14default_configENS1_25partition_config_selectorILNS1_17partition_subalgoE9EllbEEZZNS1_14partition_implILS5_9ELb0ES3_jPlS8_PNS0_10empty_typeENS0_5tupleIJS8_S9_EEENSB_IJS8_SA_EEENS0_18inequality_wrapperIZN2at6native12_GLOBAL__N_124unique_dim_cuda_templateIiEESt5tupleIJNSF_6TensorESK_SK_EERKSK_lbbbEUlllE0_EEPmJS9_EEE10hipError_tPvRmT3_T4_T5_T6_T7_T9_mT8_P12ihipStream_tbDpT10_ENKUlT_T0_E_clISt17integral_constantIbLb0EES19_IbLb1EEEEDaS15_S16_EUlS15_E_NS1_11comp_targetILNS1_3genE2ELNS1_11target_archE906ELNS1_3gpuE6ELNS1_3repE0EEENS1_30default_config_static_selectorELNS0_4arch9wavefront6targetE1EEEvT1_,"axG",@progbits,_ZN7rocprim17ROCPRIM_400000_NS6detail17trampoline_kernelINS0_14default_configENS1_25partition_config_selectorILNS1_17partition_subalgoE9EllbEEZZNS1_14partition_implILS5_9ELb0ES3_jPlS8_PNS0_10empty_typeENS0_5tupleIJS8_S9_EEENSB_IJS8_SA_EEENS0_18inequality_wrapperIZN2at6native12_GLOBAL__N_124unique_dim_cuda_templateIiEESt5tupleIJNSF_6TensorESK_SK_EERKSK_lbbbEUlllE0_EEPmJS9_EEE10hipError_tPvRmT3_T4_T5_T6_T7_T9_mT8_P12ihipStream_tbDpT10_ENKUlT_T0_E_clISt17integral_constantIbLb0EES19_IbLb1EEEEDaS15_S16_EUlS15_E_NS1_11comp_targetILNS1_3genE2ELNS1_11target_archE906ELNS1_3gpuE6ELNS1_3repE0EEENS1_30default_config_static_selectorELNS0_4arch9wavefront6targetE1EEEvT1_,comdat
.Lfunc_end501:
	.size	_ZN7rocprim17ROCPRIM_400000_NS6detail17trampoline_kernelINS0_14default_configENS1_25partition_config_selectorILNS1_17partition_subalgoE9EllbEEZZNS1_14partition_implILS5_9ELb0ES3_jPlS8_PNS0_10empty_typeENS0_5tupleIJS8_S9_EEENSB_IJS8_SA_EEENS0_18inequality_wrapperIZN2at6native12_GLOBAL__N_124unique_dim_cuda_templateIiEESt5tupleIJNSF_6TensorESK_SK_EERKSK_lbbbEUlllE0_EEPmJS9_EEE10hipError_tPvRmT3_T4_T5_T6_T7_T9_mT8_P12ihipStream_tbDpT10_ENKUlT_T0_E_clISt17integral_constantIbLb0EES19_IbLb1EEEEDaS15_S16_EUlS15_E_NS1_11comp_targetILNS1_3genE2ELNS1_11target_archE906ELNS1_3gpuE6ELNS1_3repE0EEENS1_30default_config_static_selectorELNS0_4arch9wavefront6targetE1EEEvT1_, .Lfunc_end501-_ZN7rocprim17ROCPRIM_400000_NS6detail17trampoline_kernelINS0_14default_configENS1_25partition_config_selectorILNS1_17partition_subalgoE9EllbEEZZNS1_14partition_implILS5_9ELb0ES3_jPlS8_PNS0_10empty_typeENS0_5tupleIJS8_S9_EEENSB_IJS8_SA_EEENS0_18inequality_wrapperIZN2at6native12_GLOBAL__N_124unique_dim_cuda_templateIiEESt5tupleIJNSF_6TensorESK_SK_EERKSK_lbbbEUlllE0_EEPmJS9_EEE10hipError_tPvRmT3_T4_T5_T6_T7_T9_mT8_P12ihipStream_tbDpT10_ENKUlT_T0_E_clISt17integral_constantIbLb0EES19_IbLb1EEEEDaS15_S16_EUlS15_E_NS1_11comp_targetILNS1_3genE2ELNS1_11target_archE906ELNS1_3gpuE6ELNS1_3repE0EEENS1_30default_config_static_selectorELNS0_4arch9wavefront6targetE1EEEvT1_
                                        ; -- End function
	.section	.AMDGPU.csdata,"",@progbits
; Kernel info:
; codeLenInByte = 0
; NumSgprs: 4
; NumVgprs: 0
; NumAgprs: 0
; TotalNumVgprs: 0
; ScratchSize: 0
; MemoryBound: 0
; FloatMode: 240
; IeeeMode: 1
; LDSByteSize: 0 bytes/workgroup (compile time only)
; SGPRBlocks: 0
; VGPRBlocks: 0
; NumSGPRsForWavesPerEU: 4
; NumVGPRsForWavesPerEU: 1
; AccumOffset: 4
; Occupancy: 8
; WaveLimiterHint : 0
; COMPUTE_PGM_RSRC2:SCRATCH_EN: 0
; COMPUTE_PGM_RSRC2:USER_SGPR: 6
; COMPUTE_PGM_RSRC2:TRAP_HANDLER: 0
; COMPUTE_PGM_RSRC2:TGID_X_EN: 1
; COMPUTE_PGM_RSRC2:TGID_Y_EN: 0
; COMPUTE_PGM_RSRC2:TGID_Z_EN: 0
; COMPUTE_PGM_RSRC2:TIDIG_COMP_CNT: 0
; COMPUTE_PGM_RSRC3_GFX90A:ACCUM_OFFSET: 0
; COMPUTE_PGM_RSRC3_GFX90A:TG_SPLIT: 0
	.section	.text._ZN7rocprim17ROCPRIM_400000_NS6detail17trampoline_kernelINS0_14default_configENS1_25partition_config_selectorILNS1_17partition_subalgoE9EllbEEZZNS1_14partition_implILS5_9ELb0ES3_jPlS8_PNS0_10empty_typeENS0_5tupleIJS8_S9_EEENSB_IJS8_SA_EEENS0_18inequality_wrapperIZN2at6native12_GLOBAL__N_124unique_dim_cuda_templateIiEESt5tupleIJNSF_6TensorESK_SK_EERKSK_lbbbEUlllE0_EEPmJS9_EEE10hipError_tPvRmT3_T4_T5_T6_T7_T9_mT8_P12ihipStream_tbDpT10_ENKUlT_T0_E_clISt17integral_constantIbLb0EES19_IbLb1EEEEDaS15_S16_EUlS15_E_NS1_11comp_targetILNS1_3genE10ELNS1_11target_archE1200ELNS1_3gpuE4ELNS1_3repE0EEENS1_30default_config_static_selectorELNS0_4arch9wavefront6targetE1EEEvT1_,"axG",@progbits,_ZN7rocprim17ROCPRIM_400000_NS6detail17trampoline_kernelINS0_14default_configENS1_25partition_config_selectorILNS1_17partition_subalgoE9EllbEEZZNS1_14partition_implILS5_9ELb0ES3_jPlS8_PNS0_10empty_typeENS0_5tupleIJS8_S9_EEENSB_IJS8_SA_EEENS0_18inequality_wrapperIZN2at6native12_GLOBAL__N_124unique_dim_cuda_templateIiEESt5tupleIJNSF_6TensorESK_SK_EERKSK_lbbbEUlllE0_EEPmJS9_EEE10hipError_tPvRmT3_T4_T5_T6_T7_T9_mT8_P12ihipStream_tbDpT10_ENKUlT_T0_E_clISt17integral_constantIbLb0EES19_IbLb1EEEEDaS15_S16_EUlS15_E_NS1_11comp_targetILNS1_3genE10ELNS1_11target_archE1200ELNS1_3gpuE4ELNS1_3repE0EEENS1_30default_config_static_selectorELNS0_4arch9wavefront6targetE1EEEvT1_,comdat
	.globl	_ZN7rocprim17ROCPRIM_400000_NS6detail17trampoline_kernelINS0_14default_configENS1_25partition_config_selectorILNS1_17partition_subalgoE9EllbEEZZNS1_14partition_implILS5_9ELb0ES3_jPlS8_PNS0_10empty_typeENS0_5tupleIJS8_S9_EEENSB_IJS8_SA_EEENS0_18inequality_wrapperIZN2at6native12_GLOBAL__N_124unique_dim_cuda_templateIiEESt5tupleIJNSF_6TensorESK_SK_EERKSK_lbbbEUlllE0_EEPmJS9_EEE10hipError_tPvRmT3_T4_T5_T6_T7_T9_mT8_P12ihipStream_tbDpT10_ENKUlT_T0_E_clISt17integral_constantIbLb0EES19_IbLb1EEEEDaS15_S16_EUlS15_E_NS1_11comp_targetILNS1_3genE10ELNS1_11target_archE1200ELNS1_3gpuE4ELNS1_3repE0EEENS1_30default_config_static_selectorELNS0_4arch9wavefront6targetE1EEEvT1_ ; -- Begin function _ZN7rocprim17ROCPRIM_400000_NS6detail17trampoline_kernelINS0_14default_configENS1_25partition_config_selectorILNS1_17partition_subalgoE9EllbEEZZNS1_14partition_implILS5_9ELb0ES3_jPlS8_PNS0_10empty_typeENS0_5tupleIJS8_S9_EEENSB_IJS8_SA_EEENS0_18inequality_wrapperIZN2at6native12_GLOBAL__N_124unique_dim_cuda_templateIiEESt5tupleIJNSF_6TensorESK_SK_EERKSK_lbbbEUlllE0_EEPmJS9_EEE10hipError_tPvRmT3_T4_T5_T6_T7_T9_mT8_P12ihipStream_tbDpT10_ENKUlT_T0_E_clISt17integral_constantIbLb0EES19_IbLb1EEEEDaS15_S16_EUlS15_E_NS1_11comp_targetILNS1_3genE10ELNS1_11target_archE1200ELNS1_3gpuE4ELNS1_3repE0EEENS1_30default_config_static_selectorELNS0_4arch9wavefront6targetE1EEEvT1_
	.p2align	8
	.type	_ZN7rocprim17ROCPRIM_400000_NS6detail17trampoline_kernelINS0_14default_configENS1_25partition_config_selectorILNS1_17partition_subalgoE9EllbEEZZNS1_14partition_implILS5_9ELb0ES3_jPlS8_PNS0_10empty_typeENS0_5tupleIJS8_S9_EEENSB_IJS8_SA_EEENS0_18inequality_wrapperIZN2at6native12_GLOBAL__N_124unique_dim_cuda_templateIiEESt5tupleIJNSF_6TensorESK_SK_EERKSK_lbbbEUlllE0_EEPmJS9_EEE10hipError_tPvRmT3_T4_T5_T6_T7_T9_mT8_P12ihipStream_tbDpT10_ENKUlT_T0_E_clISt17integral_constantIbLb0EES19_IbLb1EEEEDaS15_S16_EUlS15_E_NS1_11comp_targetILNS1_3genE10ELNS1_11target_archE1200ELNS1_3gpuE4ELNS1_3repE0EEENS1_30default_config_static_selectorELNS0_4arch9wavefront6targetE1EEEvT1_,@function
_ZN7rocprim17ROCPRIM_400000_NS6detail17trampoline_kernelINS0_14default_configENS1_25partition_config_selectorILNS1_17partition_subalgoE9EllbEEZZNS1_14partition_implILS5_9ELb0ES3_jPlS8_PNS0_10empty_typeENS0_5tupleIJS8_S9_EEENSB_IJS8_SA_EEENS0_18inequality_wrapperIZN2at6native12_GLOBAL__N_124unique_dim_cuda_templateIiEESt5tupleIJNSF_6TensorESK_SK_EERKSK_lbbbEUlllE0_EEPmJS9_EEE10hipError_tPvRmT3_T4_T5_T6_T7_T9_mT8_P12ihipStream_tbDpT10_ENKUlT_T0_E_clISt17integral_constantIbLb0EES19_IbLb1EEEEDaS15_S16_EUlS15_E_NS1_11comp_targetILNS1_3genE10ELNS1_11target_archE1200ELNS1_3gpuE4ELNS1_3repE0EEENS1_30default_config_static_selectorELNS0_4arch9wavefront6targetE1EEEvT1_: ; @_ZN7rocprim17ROCPRIM_400000_NS6detail17trampoline_kernelINS0_14default_configENS1_25partition_config_selectorILNS1_17partition_subalgoE9EllbEEZZNS1_14partition_implILS5_9ELb0ES3_jPlS8_PNS0_10empty_typeENS0_5tupleIJS8_S9_EEENSB_IJS8_SA_EEENS0_18inequality_wrapperIZN2at6native12_GLOBAL__N_124unique_dim_cuda_templateIiEESt5tupleIJNSF_6TensorESK_SK_EERKSK_lbbbEUlllE0_EEPmJS9_EEE10hipError_tPvRmT3_T4_T5_T6_T7_T9_mT8_P12ihipStream_tbDpT10_ENKUlT_T0_E_clISt17integral_constantIbLb0EES19_IbLb1EEEEDaS15_S16_EUlS15_E_NS1_11comp_targetILNS1_3genE10ELNS1_11target_archE1200ELNS1_3gpuE4ELNS1_3repE0EEENS1_30default_config_static_selectorELNS0_4arch9wavefront6targetE1EEEvT1_
; %bb.0:
	.section	.rodata,"a",@progbits
	.p2align	6, 0x0
	.amdhsa_kernel _ZN7rocprim17ROCPRIM_400000_NS6detail17trampoline_kernelINS0_14default_configENS1_25partition_config_selectorILNS1_17partition_subalgoE9EllbEEZZNS1_14partition_implILS5_9ELb0ES3_jPlS8_PNS0_10empty_typeENS0_5tupleIJS8_S9_EEENSB_IJS8_SA_EEENS0_18inequality_wrapperIZN2at6native12_GLOBAL__N_124unique_dim_cuda_templateIiEESt5tupleIJNSF_6TensorESK_SK_EERKSK_lbbbEUlllE0_EEPmJS9_EEE10hipError_tPvRmT3_T4_T5_T6_T7_T9_mT8_P12ihipStream_tbDpT10_ENKUlT_T0_E_clISt17integral_constantIbLb0EES19_IbLb1EEEEDaS15_S16_EUlS15_E_NS1_11comp_targetILNS1_3genE10ELNS1_11target_archE1200ELNS1_3gpuE4ELNS1_3repE0EEENS1_30default_config_static_selectorELNS0_4arch9wavefront6targetE1EEEvT1_
		.amdhsa_group_segment_fixed_size 0
		.amdhsa_private_segment_fixed_size 0
		.amdhsa_kernarg_size 136
		.amdhsa_user_sgpr_count 6
		.amdhsa_user_sgpr_private_segment_buffer 1
		.amdhsa_user_sgpr_dispatch_ptr 0
		.amdhsa_user_sgpr_queue_ptr 0
		.amdhsa_user_sgpr_kernarg_segment_ptr 1
		.amdhsa_user_sgpr_dispatch_id 0
		.amdhsa_user_sgpr_flat_scratch_init 0
		.amdhsa_user_sgpr_kernarg_preload_length 0
		.amdhsa_user_sgpr_kernarg_preload_offset 0
		.amdhsa_user_sgpr_private_segment_size 0
		.amdhsa_uses_dynamic_stack 0
		.amdhsa_system_sgpr_private_segment_wavefront_offset 0
		.amdhsa_system_sgpr_workgroup_id_x 1
		.amdhsa_system_sgpr_workgroup_id_y 0
		.amdhsa_system_sgpr_workgroup_id_z 0
		.amdhsa_system_sgpr_workgroup_info 0
		.amdhsa_system_vgpr_workitem_id 0
		.amdhsa_next_free_vgpr 1
		.amdhsa_next_free_sgpr 0
		.amdhsa_accum_offset 4
		.amdhsa_reserve_vcc 0
		.amdhsa_reserve_flat_scratch 0
		.amdhsa_float_round_mode_32 0
		.amdhsa_float_round_mode_16_64 0
		.amdhsa_float_denorm_mode_32 3
		.amdhsa_float_denorm_mode_16_64 3
		.amdhsa_dx10_clamp 1
		.amdhsa_ieee_mode 1
		.amdhsa_fp16_overflow 0
		.amdhsa_tg_split 0
		.amdhsa_exception_fp_ieee_invalid_op 0
		.amdhsa_exception_fp_denorm_src 0
		.amdhsa_exception_fp_ieee_div_zero 0
		.amdhsa_exception_fp_ieee_overflow 0
		.amdhsa_exception_fp_ieee_underflow 0
		.amdhsa_exception_fp_ieee_inexact 0
		.amdhsa_exception_int_div_zero 0
	.end_amdhsa_kernel
	.section	.text._ZN7rocprim17ROCPRIM_400000_NS6detail17trampoline_kernelINS0_14default_configENS1_25partition_config_selectorILNS1_17partition_subalgoE9EllbEEZZNS1_14partition_implILS5_9ELb0ES3_jPlS8_PNS0_10empty_typeENS0_5tupleIJS8_S9_EEENSB_IJS8_SA_EEENS0_18inequality_wrapperIZN2at6native12_GLOBAL__N_124unique_dim_cuda_templateIiEESt5tupleIJNSF_6TensorESK_SK_EERKSK_lbbbEUlllE0_EEPmJS9_EEE10hipError_tPvRmT3_T4_T5_T6_T7_T9_mT8_P12ihipStream_tbDpT10_ENKUlT_T0_E_clISt17integral_constantIbLb0EES19_IbLb1EEEEDaS15_S16_EUlS15_E_NS1_11comp_targetILNS1_3genE10ELNS1_11target_archE1200ELNS1_3gpuE4ELNS1_3repE0EEENS1_30default_config_static_selectorELNS0_4arch9wavefront6targetE1EEEvT1_,"axG",@progbits,_ZN7rocprim17ROCPRIM_400000_NS6detail17trampoline_kernelINS0_14default_configENS1_25partition_config_selectorILNS1_17partition_subalgoE9EllbEEZZNS1_14partition_implILS5_9ELb0ES3_jPlS8_PNS0_10empty_typeENS0_5tupleIJS8_S9_EEENSB_IJS8_SA_EEENS0_18inequality_wrapperIZN2at6native12_GLOBAL__N_124unique_dim_cuda_templateIiEESt5tupleIJNSF_6TensorESK_SK_EERKSK_lbbbEUlllE0_EEPmJS9_EEE10hipError_tPvRmT3_T4_T5_T6_T7_T9_mT8_P12ihipStream_tbDpT10_ENKUlT_T0_E_clISt17integral_constantIbLb0EES19_IbLb1EEEEDaS15_S16_EUlS15_E_NS1_11comp_targetILNS1_3genE10ELNS1_11target_archE1200ELNS1_3gpuE4ELNS1_3repE0EEENS1_30default_config_static_selectorELNS0_4arch9wavefront6targetE1EEEvT1_,comdat
.Lfunc_end502:
	.size	_ZN7rocprim17ROCPRIM_400000_NS6detail17trampoline_kernelINS0_14default_configENS1_25partition_config_selectorILNS1_17partition_subalgoE9EllbEEZZNS1_14partition_implILS5_9ELb0ES3_jPlS8_PNS0_10empty_typeENS0_5tupleIJS8_S9_EEENSB_IJS8_SA_EEENS0_18inequality_wrapperIZN2at6native12_GLOBAL__N_124unique_dim_cuda_templateIiEESt5tupleIJNSF_6TensorESK_SK_EERKSK_lbbbEUlllE0_EEPmJS9_EEE10hipError_tPvRmT3_T4_T5_T6_T7_T9_mT8_P12ihipStream_tbDpT10_ENKUlT_T0_E_clISt17integral_constantIbLb0EES19_IbLb1EEEEDaS15_S16_EUlS15_E_NS1_11comp_targetILNS1_3genE10ELNS1_11target_archE1200ELNS1_3gpuE4ELNS1_3repE0EEENS1_30default_config_static_selectorELNS0_4arch9wavefront6targetE1EEEvT1_, .Lfunc_end502-_ZN7rocprim17ROCPRIM_400000_NS6detail17trampoline_kernelINS0_14default_configENS1_25partition_config_selectorILNS1_17partition_subalgoE9EllbEEZZNS1_14partition_implILS5_9ELb0ES3_jPlS8_PNS0_10empty_typeENS0_5tupleIJS8_S9_EEENSB_IJS8_SA_EEENS0_18inequality_wrapperIZN2at6native12_GLOBAL__N_124unique_dim_cuda_templateIiEESt5tupleIJNSF_6TensorESK_SK_EERKSK_lbbbEUlllE0_EEPmJS9_EEE10hipError_tPvRmT3_T4_T5_T6_T7_T9_mT8_P12ihipStream_tbDpT10_ENKUlT_T0_E_clISt17integral_constantIbLb0EES19_IbLb1EEEEDaS15_S16_EUlS15_E_NS1_11comp_targetILNS1_3genE10ELNS1_11target_archE1200ELNS1_3gpuE4ELNS1_3repE0EEENS1_30default_config_static_selectorELNS0_4arch9wavefront6targetE1EEEvT1_
                                        ; -- End function
	.section	.AMDGPU.csdata,"",@progbits
; Kernel info:
; codeLenInByte = 0
; NumSgprs: 4
; NumVgprs: 0
; NumAgprs: 0
; TotalNumVgprs: 0
; ScratchSize: 0
; MemoryBound: 0
; FloatMode: 240
; IeeeMode: 1
; LDSByteSize: 0 bytes/workgroup (compile time only)
; SGPRBlocks: 0
; VGPRBlocks: 0
; NumSGPRsForWavesPerEU: 4
; NumVGPRsForWavesPerEU: 1
; AccumOffset: 4
; Occupancy: 8
; WaveLimiterHint : 0
; COMPUTE_PGM_RSRC2:SCRATCH_EN: 0
; COMPUTE_PGM_RSRC2:USER_SGPR: 6
; COMPUTE_PGM_RSRC2:TRAP_HANDLER: 0
; COMPUTE_PGM_RSRC2:TGID_X_EN: 1
; COMPUTE_PGM_RSRC2:TGID_Y_EN: 0
; COMPUTE_PGM_RSRC2:TGID_Z_EN: 0
; COMPUTE_PGM_RSRC2:TIDIG_COMP_CNT: 0
; COMPUTE_PGM_RSRC3_GFX90A:ACCUM_OFFSET: 0
; COMPUTE_PGM_RSRC3_GFX90A:TG_SPLIT: 0
	.section	.text._ZN7rocprim17ROCPRIM_400000_NS6detail17trampoline_kernelINS0_14default_configENS1_25partition_config_selectorILNS1_17partition_subalgoE9EllbEEZZNS1_14partition_implILS5_9ELb0ES3_jPlS8_PNS0_10empty_typeENS0_5tupleIJS8_S9_EEENSB_IJS8_SA_EEENS0_18inequality_wrapperIZN2at6native12_GLOBAL__N_124unique_dim_cuda_templateIiEESt5tupleIJNSF_6TensorESK_SK_EERKSK_lbbbEUlllE0_EEPmJS9_EEE10hipError_tPvRmT3_T4_T5_T6_T7_T9_mT8_P12ihipStream_tbDpT10_ENKUlT_T0_E_clISt17integral_constantIbLb0EES19_IbLb1EEEEDaS15_S16_EUlS15_E_NS1_11comp_targetILNS1_3genE9ELNS1_11target_archE1100ELNS1_3gpuE3ELNS1_3repE0EEENS1_30default_config_static_selectorELNS0_4arch9wavefront6targetE1EEEvT1_,"axG",@progbits,_ZN7rocprim17ROCPRIM_400000_NS6detail17trampoline_kernelINS0_14default_configENS1_25partition_config_selectorILNS1_17partition_subalgoE9EllbEEZZNS1_14partition_implILS5_9ELb0ES3_jPlS8_PNS0_10empty_typeENS0_5tupleIJS8_S9_EEENSB_IJS8_SA_EEENS0_18inequality_wrapperIZN2at6native12_GLOBAL__N_124unique_dim_cuda_templateIiEESt5tupleIJNSF_6TensorESK_SK_EERKSK_lbbbEUlllE0_EEPmJS9_EEE10hipError_tPvRmT3_T4_T5_T6_T7_T9_mT8_P12ihipStream_tbDpT10_ENKUlT_T0_E_clISt17integral_constantIbLb0EES19_IbLb1EEEEDaS15_S16_EUlS15_E_NS1_11comp_targetILNS1_3genE9ELNS1_11target_archE1100ELNS1_3gpuE3ELNS1_3repE0EEENS1_30default_config_static_selectorELNS0_4arch9wavefront6targetE1EEEvT1_,comdat
	.globl	_ZN7rocprim17ROCPRIM_400000_NS6detail17trampoline_kernelINS0_14default_configENS1_25partition_config_selectorILNS1_17partition_subalgoE9EllbEEZZNS1_14partition_implILS5_9ELb0ES3_jPlS8_PNS0_10empty_typeENS0_5tupleIJS8_S9_EEENSB_IJS8_SA_EEENS0_18inequality_wrapperIZN2at6native12_GLOBAL__N_124unique_dim_cuda_templateIiEESt5tupleIJNSF_6TensorESK_SK_EERKSK_lbbbEUlllE0_EEPmJS9_EEE10hipError_tPvRmT3_T4_T5_T6_T7_T9_mT8_P12ihipStream_tbDpT10_ENKUlT_T0_E_clISt17integral_constantIbLb0EES19_IbLb1EEEEDaS15_S16_EUlS15_E_NS1_11comp_targetILNS1_3genE9ELNS1_11target_archE1100ELNS1_3gpuE3ELNS1_3repE0EEENS1_30default_config_static_selectorELNS0_4arch9wavefront6targetE1EEEvT1_ ; -- Begin function _ZN7rocprim17ROCPRIM_400000_NS6detail17trampoline_kernelINS0_14default_configENS1_25partition_config_selectorILNS1_17partition_subalgoE9EllbEEZZNS1_14partition_implILS5_9ELb0ES3_jPlS8_PNS0_10empty_typeENS0_5tupleIJS8_S9_EEENSB_IJS8_SA_EEENS0_18inequality_wrapperIZN2at6native12_GLOBAL__N_124unique_dim_cuda_templateIiEESt5tupleIJNSF_6TensorESK_SK_EERKSK_lbbbEUlllE0_EEPmJS9_EEE10hipError_tPvRmT3_T4_T5_T6_T7_T9_mT8_P12ihipStream_tbDpT10_ENKUlT_T0_E_clISt17integral_constantIbLb0EES19_IbLb1EEEEDaS15_S16_EUlS15_E_NS1_11comp_targetILNS1_3genE9ELNS1_11target_archE1100ELNS1_3gpuE3ELNS1_3repE0EEENS1_30default_config_static_selectorELNS0_4arch9wavefront6targetE1EEEvT1_
	.p2align	8
	.type	_ZN7rocprim17ROCPRIM_400000_NS6detail17trampoline_kernelINS0_14default_configENS1_25partition_config_selectorILNS1_17partition_subalgoE9EllbEEZZNS1_14partition_implILS5_9ELb0ES3_jPlS8_PNS0_10empty_typeENS0_5tupleIJS8_S9_EEENSB_IJS8_SA_EEENS0_18inequality_wrapperIZN2at6native12_GLOBAL__N_124unique_dim_cuda_templateIiEESt5tupleIJNSF_6TensorESK_SK_EERKSK_lbbbEUlllE0_EEPmJS9_EEE10hipError_tPvRmT3_T4_T5_T6_T7_T9_mT8_P12ihipStream_tbDpT10_ENKUlT_T0_E_clISt17integral_constantIbLb0EES19_IbLb1EEEEDaS15_S16_EUlS15_E_NS1_11comp_targetILNS1_3genE9ELNS1_11target_archE1100ELNS1_3gpuE3ELNS1_3repE0EEENS1_30default_config_static_selectorELNS0_4arch9wavefront6targetE1EEEvT1_,@function
_ZN7rocprim17ROCPRIM_400000_NS6detail17trampoline_kernelINS0_14default_configENS1_25partition_config_selectorILNS1_17partition_subalgoE9EllbEEZZNS1_14partition_implILS5_9ELb0ES3_jPlS8_PNS0_10empty_typeENS0_5tupleIJS8_S9_EEENSB_IJS8_SA_EEENS0_18inequality_wrapperIZN2at6native12_GLOBAL__N_124unique_dim_cuda_templateIiEESt5tupleIJNSF_6TensorESK_SK_EERKSK_lbbbEUlllE0_EEPmJS9_EEE10hipError_tPvRmT3_T4_T5_T6_T7_T9_mT8_P12ihipStream_tbDpT10_ENKUlT_T0_E_clISt17integral_constantIbLb0EES19_IbLb1EEEEDaS15_S16_EUlS15_E_NS1_11comp_targetILNS1_3genE9ELNS1_11target_archE1100ELNS1_3gpuE3ELNS1_3repE0EEENS1_30default_config_static_selectorELNS0_4arch9wavefront6targetE1EEEvT1_: ; @_ZN7rocprim17ROCPRIM_400000_NS6detail17trampoline_kernelINS0_14default_configENS1_25partition_config_selectorILNS1_17partition_subalgoE9EllbEEZZNS1_14partition_implILS5_9ELb0ES3_jPlS8_PNS0_10empty_typeENS0_5tupleIJS8_S9_EEENSB_IJS8_SA_EEENS0_18inequality_wrapperIZN2at6native12_GLOBAL__N_124unique_dim_cuda_templateIiEESt5tupleIJNSF_6TensorESK_SK_EERKSK_lbbbEUlllE0_EEPmJS9_EEE10hipError_tPvRmT3_T4_T5_T6_T7_T9_mT8_P12ihipStream_tbDpT10_ENKUlT_T0_E_clISt17integral_constantIbLb0EES19_IbLb1EEEEDaS15_S16_EUlS15_E_NS1_11comp_targetILNS1_3genE9ELNS1_11target_archE1100ELNS1_3gpuE3ELNS1_3repE0EEENS1_30default_config_static_selectorELNS0_4arch9wavefront6targetE1EEEvT1_
; %bb.0:
	.section	.rodata,"a",@progbits
	.p2align	6, 0x0
	.amdhsa_kernel _ZN7rocprim17ROCPRIM_400000_NS6detail17trampoline_kernelINS0_14default_configENS1_25partition_config_selectorILNS1_17partition_subalgoE9EllbEEZZNS1_14partition_implILS5_9ELb0ES3_jPlS8_PNS0_10empty_typeENS0_5tupleIJS8_S9_EEENSB_IJS8_SA_EEENS0_18inequality_wrapperIZN2at6native12_GLOBAL__N_124unique_dim_cuda_templateIiEESt5tupleIJNSF_6TensorESK_SK_EERKSK_lbbbEUlllE0_EEPmJS9_EEE10hipError_tPvRmT3_T4_T5_T6_T7_T9_mT8_P12ihipStream_tbDpT10_ENKUlT_T0_E_clISt17integral_constantIbLb0EES19_IbLb1EEEEDaS15_S16_EUlS15_E_NS1_11comp_targetILNS1_3genE9ELNS1_11target_archE1100ELNS1_3gpuE3ELNS1_3repE0EEENS1_30default_config_static_selectorELNS0_4arch9wavefront6targetE1EEEvT1_
		.amdhsa_group_segment_fixed_size 0
		.amdhsa_private_segment_fixed_size 0
		.amdhsa_kernarg_size 136
		.amdhsa_user_sgpr_count 6
		.amdhsa_user_sgpr_private_segment_buffer 1
		.amdhsa_user_sgpr_dispatch_ptr 0
		.amdhsa_user_sgpr_queue_ptr 0
		.amdhsa_user_sgpr_kernarg_segment_ptr 1
		.amdhsa_user_sgpr_dispatch_id 0
		.amdhsa_user_sgpr_flat_scratch_init 0
		.amdhsa_user_sgpr_kernarg_preload_length 0
		.amdhsa_user_sgpr_kernarg_preload_offset 0
		.amdhsa_user_sgpr_private_segment_size 0
		.amdhsa_uses_dynamic_stack 0
		.amdhsa_system_sgpr_private_segment_wavefront_offset 0
		.amdhsa_system_sgpr_workgroup_id_x 1
		.amdhsa_system_sgpr_workgroup_id_y 0
		.amdhsa_system_sgpr_workgroup_id_z 0
		.amdhsa_system_sgpr_workgroup_info 0
		.amdhsa_system_vgpr_workitem_id 0
		.amdhsa_next_free_vgpr 1
		.amdhsa_next_free_sgpr 0
		.amdhsa_accum_offset 4
		.amdhsa_reserve_vcc 0
		.amdhsa_reserve_flat_scratch 0
		.amdhsa_float_round_mode_32 0
		.amdhsa_float_round_mode_16_64 0
		.amdhsa_float_denorm_mode_32 3
		.amdhsa_float_denorm_mode_16_64 3
		.amdhsa_dx10_clamp 1
		.amdhsa_ieee_mode 1
		.amdhsa_fp16_overflow 0
		.amdhsa_tg_split 0
		.amdhsa_exception_fp_ieee_invalid_op 0
		.amdhsa_exception_fp_denorm_src 0
		.amdhsa_exception_fp_ieee_div_zero 0
		.amdhsa_exception_fp_ieee_overflow 0
		.amdhsa_exception_fp_ieee_underflow 0
		.amdhsa_exception_fp_ieee_inexact 0
		.amdhsa_exception_int_div_zero 0
	.end_amdhsa_kernel
	.section	.text._ZN7rocprim17ROCPRIM_400000_NS6detail17trampoline_kernelINS0_14default_configENS1_25partition_config_selectorILNS1_17partition_subalgoE9EllbEEZZNS1_14partition_implILS5_9ELb0ES3_jPlS8_PNS0_10empty_typeENS0_5tupleIJS8_S9_EEENSB_IJS8_SA_EEENS0_18inequality_wrapperIZN2at6native12_GLOBAL__N_124unique_dim_cuda_templateIiEESt5tupleIJNSF_6TensorESK_SK_EERKSK_lbbbEUlllE0_EEPmJS9_EEE10hipError_tPvRmT3_T4_T5_T6_T7_T9_mT8_P12ihipStream_tbDpT10_ENKUlT_T0_E_clISt17integral_constantIbLb0EES19_IbLb1EEEEDaS15_S16_EUlS15_E_NS1_11comp_targetILNS1_3genE9ELNS1_11target_archE1100ELNS1_3gpuE3ELNS1_3repE0EEENS1_30default_config_static_selectorELNS0_4arch9wavefront6targetE1EEEvT1_,"axG",@progbits,_ZN7rocprim17ROCPRIM_400000_NS6detail17trampoline_kernelINS0_14default_configENS1_25partition_config_selectorILNS1_17partition_subalgoE9EllbEEZZNS1_14partition_implILS5_9ELb0ES3_jPlS8_PNS0_10empty_typeENS0_5tupleIJS8_S9_EEENSB_IJS8_SA_EEENS0_18inequality_wrapperIZN2at6native12_GLOBAL__N_124unique_dim_cuda_templateIiEESt5tupleIJNSF_6TensorESK_SK_EERKSK_lbbbEUlllE0_EEPmJS9_EEE10hipError_tPvRmT3_T4_T5_T6_T7_T9_mT8_P12ihipStream_tbDpT10_ENKUlT_T0_E_clISt17integral_constantIbLb0EES19_IbLb1EEEEDaS15_S16_EUlS15_E_NS1_11comp_targetILNS1_3genE9ELNS1_11target_archE1100ELNS1_3gpuE3ELNS1_3repE0EEENS1_30default_config_static_selectorELNS0_4arch9wavefront6targetE1EEEvT1_,comdat
.Lfunc_end503:
	.size	_ZN7rocprim17ROCPRIM_400000_NS6detail17trampoline_kernelINS0_14default_configENS1_25partition_config_selectorILNS1_17partition_subalgoE9EllbEEZZNS1_14partition_implILS5_9ELb0ES3_jPlS8_PNS0_10empty_typeENS0_5tupleIJS8_S9_EEENSB_IJS8_SA_EEENS0_18inequality_wrapperIZN2at6native12_GLOBAL__N_124unique_dim_cuda_templateIiEESt5tupleIJNSF_6TensorESK_SK_EERKSK_lbbbEUlllE0_EEPmJS9_EEE10hipError_tPvRmT3_T4_T5_T6_T7_T9_mT8_P12ihipStream_tbDpT10_ENKUlT_T0_E_clISt17integral_constantIbLb0EES19_IbLb1EEEEDaS15_S16_EUlS15_E_NS1_11comp_targetILNS1_3genE9ELNS1_11target_archE1100ELNS1_3gpuE3ELNS1_3repE0EEENS1_30default_config_static_selectorELNS0_4arch9wavefront6targetE1EEEvT1_, .Lfunc_end503-_ZN7rocprim17ROCPRIM_400000_NS6detail17trampoline_kernelINS0_14default_configENS1_25partition_config_selectorILNS1_17partition_subalgoE9EllbEEZZNS1_14partition_implILS5_9ELb0ES3_jPlS8_PNS0_10empty_typeENS0_5tupleIJS8_S9_EEENSB_IJS8_SA_EEENS0_18inequality_wrapperIZN2at6native12_GLOBAL__N_124unique_dim_cuda_templateIiEESt5tupleIJNSF_6TensorESK_SK_EERKSK_lbbbEUlllE0_EEPmJS9_EEE10hipError_tPvRmT3_T4_T5_T6_T7_T9_mT8_P12ihipStream_tbDpT10_ENKUlT_T0_E_clISt17integral_constantIbLb0EES19_IbLb1EEEEDaS15_S16_EUlS15_E_NS1_11comp_targetILNS1_3genE9ELNS1_11target_archE1100ELNS1_3gpuE3ELNS1_3repE0EEENS1_30default_config_static_selectorELNS0_4arch9wavefront6targetE1EEEvT1_
                                        ; -- End function
	.section	.AMDGPU.csdata,"",@progbits
; Kernel info:
; codeLenInByte = 0
; NumSgprs: 4
; NumVgprs: 0
; NumAgprs: 0
; TotalNumVgprs: 0
; ScratchSize: 0
; MemoryBound: 0
; FloatMode: 240
; IeeeMode: 1
; LDSByteSize: 0 bytes/workgroup (compile time only)
; SGPRBlocks: 0
; VGPRBlocks: 0
; NumSGPRsForWavesPerEU: 4
; NumVGPRsForWavesPerEU: 1
; AccumOffset: 4
; Occupancy: 8
; WaveLimiterHint : 0
; COMPUTE_PGM_RSRC2:SCRATCH_EN: 0
; COMPUTE_PGM_RSRC2:USER_SGPR: 6
; COMPUTE_PGM_RSRC2:TRAP_HANDLER: 0
; COMPUTE_PGM_RSRC2:TGID_X_EN: 1
; COMPUTE_PGM_RSRC2:TGID_Y_EN: 0
; COMPUTE_PGM_RSRC2:TGID_Z_EN: 0
; COMPUTE_PGM_RSRC2:TIDIG_COMP_CNT: 0
; COMPUTE_PGM_RSRC3_GFX90A:ACCUM_OFFSET: 0
; COMPUTE_PGM_RSRC3_GFX90A:TG_SPLIT: 0
	.section	.text._ZN7rocprim17ROCPRIM_400000_NS6detail17trampoline_kernelINS0_14default_configENS1_25partition_config_selectorILNS1_17partition_subalgoE9EllbEEZZNS1_14partition_implILS5_9ELb0ES3_jPlS8_PNS0_10empty_typeENS0_5tupleIJS8_S9_EEENSB_IJS8_SA_EEENS0_18inequality_wrapperIZN2at6native12_GLOBAL__N_124unique_dim_cuda_templateIiEESt5tupleIJNSF_6TensorESK_SK_EERKSK_lbbbEUlllE0_EEPmJS9_EEE10hipError_tPvRmT3_T4_T5_T6_T7_T9_mT8_P12ihipStream_tbDpT10_ENKUlT_T0_E_clISt17integral_constantIbLb0EES19_IbLb1EEEEDaS15_S16_EUlS15_E_NS1_11comp_targetILNS1_3genE8ELNS1_11target_archE1030ELNS1_3gpuE2ELNS1_3repE0EEENS1_30default_config_static_selectorELNS0_4arch9wavefront6targetE1EEEvT1_,"axG",@progbits,_ZN7rocprim17ROCPRIM_400000_NS6detail17trampoline_kernelINS0_14default_configENS1_25partition_config_selectorILNS1_17partition_subalgoE9EllbEEZZNS1_14partition_implILS5_9ELb0ES3_jPlS8_PNS0_10empty_typeENS0_5tupleIJS8_S9_EEENSB_IJS8_SA_EEENS0_18inequality_wrapperIZN2at6native12_GLOBAL__N_124unique_dim_cuda_templateIiEESt5tupleIJNSF_6TensorESK_SK_EERKSK_lbbbEUlllE0_EEPmJS9_EEE10hipError_tPvRmT3_T4_T5_T6_T7_T9_mT8_P12ihipStream_tbDpT10_ENKUlT_T0_E_clISt17integral_constantIbLb0EES19_IbLb1EEEEDaS15_S16_EUlS15_E_NS1_11comp_targetILNS1_3genE8ELNS1_11target_archE1030ELNS1_3gpuE2ELNS1_3repE0EEENS1_30default_config_static_selectorELNS0_4arch9wavefront6targetE1EEEvT1_,comdat
	.globl	_ZN7rocprim17ROCPRIM_400000_NS6detail17trampoline_kernelINS0_14default_configENS1_25partition_config_selectorILNS1_17partition_subalgoE9EllbEEZZNS1_14partition_implILS5_9ELb0ES3_jPlS8_PNS0_10empty_typeENS0_5tupleIJS8_S9_EEENSB_IJS8_SA_EEENS0_18inequality_wrapperIZN2at6native12_GLOBAL__N_124unique_dim_cuda_templateIiEESt5tupleIJNSF_6TensorESK_SK_EERKSK_lbbbEUlllE0_EEPmJS9_EEE10hipError_tPvRmT3_T4_T5_T6_T7_T9_mT8_P12ihipStream_tbDpT10_ENKUlT_T0_E_clISt17integral_constantIbLb0EES19_IbLb1EEEEDaS15_S16_EUlS15_E_NS1_11comp_targetILNS1_3genE8ELNS1_11target_archE1030ELNS1_3gpuE2ELNS1_3repE0EEENS1_30default_config_static_selectorELNS0_4arch9wavefront6targetE1EEEvT1_ ; -- Begin function _ZN7rocprim17ROCPRIM_400000_NS6detail17trampoline_kernelINS0_14default_configENS1_25partition_config_selectorILNS1_17partition_subalgoE9EllbEEZZNS1_14partition_implILS5_9ELb0ES3_jPlS8_PNS0_10empty_typeENS0_5tupleIJS8_S9_EEENSB_IJS8_SA_EEENS0_18inequality_wrapperIZN2at6native12_GLOBAL__N_124unique_dim_cuda_templateIiEESt5tupleIJNSF_6TensorESK_SK_EERKSK_lbbbEUlllE0_EEPmJS9_EEE10hipError_tPvRmT3_T4_T5_T6_T7_T9_mT8_P12ihipStream_tbDpT10_ENKUlT_T0_E_clISt17integral_constantIbLb0EES19_IbLb1EEEEDaS15_S16_EUlS15_E_NS1_11comp_targetILNS1_3genE8ELNS1_11target_archE1030ELNS1_3gpuE2ELNS1_3repE0EEENS1_30default_config_static_selectorELNS0_4arch9wavefront6targetE1EEEvT1_
	.p2align	8
	.type	_ZN7rocprim17ROCPRIM_400000_NS6detail17trampoline_kernelINS0_14default_configENS1_25partition_config_selectorILNS1_17partition_subalgoE9EllbEEZZNS1_14partition_implILS5_9ELb0ES3_jPlS8_PNS0_10empty_typeENS0_5tupleIJS8_S9_EEENSB_IJS8_SA_EEENS0_18inequality_wrapperIZN2at6native12_GLOBAL__N_124unique_dim_cuda_templateIiEESt5tupleIJNSF_6TensorESK_SK_EERKSK_lbbbEUlllE0_EEPmJS9_EEE10hipError_tPvRmT3_T4_T5_T6_T7_T9_mT8_P12ihipStream_tbDpT10_ENKUlT_T0_E_clISt17integral_constantIbLb0EES19_IbLb1EEEEDaS15_S16_EUlS15_E_NS1_11comp_targetILNS1_3genE8ELNS1_11target_archE1030ELNS1_3gpuE2ELNS1_3repE0EEENS1_30default_config_static_selectorELNS0_4arch9wavefront6targetE1EEEvT1_,@function
_ZN7rocprim17ROCPRIM_400000_NS6detail17trampoline_kernelINS0_14default_configENS1_25partition_config_selectorILNS1_17partition_subalgoE9EllbEEZZNS1_14partition_implILS5_9ELb0ES3_jPlS8_PNS0_10empty_typeENS0_5tupleIJS8_S9_EEENSB_IJS8_SA_EEENS0_18inequality_wrapperIZN2at6native12_GLOBAL__N_124unique_dim_cuda_templateIiEESt5tupleIJNSF_6TensorESK_SK_EERKSK_lbbbEUlllE0_EEPmJS9_EEE10hipError_tPvRmT3_T4_T5_T6_T7_T9_mT8_P12ihipStream_tbDpT10_ENKUlT_T0_E_clISt17integral_constantIbLb0EES19_IbLb1EEEEDaS15_S16_EUlS15_E_NS1_11comp_targetILNS1_3genE8ELNS1_11target_archE1030ELNS1_3gpuE2ELNS1_3repE0EEENS1_30default_config_static_selectorELNS0_4arch9wavefront6targetE1EEEvT1_: ; @_ZN7rocprim17ROCPRIM_400000_NS6detail17trampoline_kernelINS0_14default_configENS1_25partition_config_selectorILNS1_17partition_subalgoE9EllbEEZZNS1_14partition_implILS5_9ELb0ES3_jPlS8_PNS0_10empty_typeENS0_5tupleIJS8_S9_EEENSB_IJS8_SA_EEENS0_18inequality_wrapperIZN2at6native12_GLOBAL__N_124unique_dim_cuda_templateIiEESt5tupleIJNSF_6TensorESK_SK_EERKSK_lbbbEUlllE0_EEPmJS9_EEE10hipError_tPvRmT3_T4_T5_T6_T7_T9_mT8_P12ihipStream_tbDpT10_ENKUlT_T0_E_clISt17integral_constantIbLb0EES19_IbLb1EEEEDaS15_S16_EUlS15_E_NS1_11comp_targetILNS1_3genE8ELNS1_11target_archE1030ELNS1_3gpuE2ELNS1_3repE0EEENS1_30default_config_static_selectorELNS0_4arch9wavefront6targetE1EEEvT1_
; %bb.0:
	.section	.rodata,"a",@progbits
	.p2align	6, 0x0
	.amdhsa_kernel _ZN7rocprim17ROCPRIM_400000_NS6detail17trampoline_kernelINS0_14default_configENS1_25partition_config_selectorILNS1_17partition_subalgoE9EllbEEZZNS1_14partition_implILS5_9ELb0ES3_jPlS8_PNS0_10empty_typeENS0_5tupleIJS8_S9_EEENSB_IJS8_SA_EEENS0_18inequality_wrapperIZN2at6native12_GLOBAL__N_124unique_dim_cuda_templateIiEESt5tupleIJNSF_6TensorESK_SK_EERKSK_lbbbEUlllE0_EEPmJS9_EEE10hipError_tPvRmT3_T4_T5_T6_T7_T9_mT8_P12ihipStream_tbDpT10_ENKUlT_T0_E_clISt17integral_constantIbLb0EES19_IbLb1EEEEDaS15_S16_EUlS15_E_NS1_11comp_targetILNS1_3genE8ELNS1_11target_archE1030ELNS1_3gpuE2ELNS1_3repE0EEENS1_30default_config_static_selectorELNS0_4arch9wavefront6targetE1EEEvT1_
		.amdhsa_group_segment_fixed_size 0
		.amdhsa_private_segment_fixed_size 0
		.amdhsa_kernarg_size 136
		.amdhsa_user_sgpr_count 6
		.amdhsa_user_sgpr_private_segment_buffer 1
		.amdhsa_user_sgpr_dispatch_ptr 0
		.amdhsa_user_sgpr_queue_ptr 0
		.amdhsa_user_sgpr_kernarg_segment_ptr 1
		.amdhsa_user_sgpr_dispatch_id 0
		.amdhsa_user_sgpr_flat_scratch_init 0
		.amdhsa_user_sgpr_kernarg_preload_length 0
		.amdhsa_user_sgpr_kernarg_preload_offset 0
		.amdhsa_user_sgpr_private_segment_size 0
		.amdhsa_uses_dynamic_stack 0
		.amdhsa_system_sgpr_private_segment_wavefront_offset 0
		.amdhsa_system_sgpr_workgroup_id_x 1
		.amdhsa_system_sgpr_workgroup_id_y 0
		.amdhsa_system_sgpr_workgroup_id_z 0
		.amdhsa_system_sgpr_workgroup_info 0
		.amdhsa_system_vgpr_workitem_id 0
		.amdhsa_next_free_vgpr 1
		.amdhsa_next_free_sgpr 0
		.amdhsa_accum_offset 4
		.amdhsa_reserve_vcc 0
		.amdhsa_reserve_flat_scratch 0
		.amdhsa_float_round_mode_32 0
		.amdhsa_float_round_mode_16_64 0
		.amdhsa_float_denorm_mode_32 3
		.amdhsa_float_denorm_mode_16_64 3
		.amdhsa_dx10_clamp 1
		.amdhsa_ieee_mode 1
		.amdhsa_fp16_overflow 0
		.amdhsa_tg_split 0
		.amdhsa_exception_fp_ieee_invalid_op 0
		.amdhsa_exception_fp_denorm_src 0
		.amdhsa_exception_fp_ieee_div_zero 0
		.amdhsa_exception_fp_ieee_overflow 0
		.amdhsa_exception_fp_ieee_underflow 0
		.amdhsa_exception_fp_ieee_inexact 0
		.amdhsa_exception_int_div_zero 0
	.end_amdhsa_kernel
	.section	.text._ZN7rocprim17ROCPRIM_400000_NS6detail17trampoline_kernelINS0_14default_configENS1_25partition_config_selectorILNS1_17partition_subalgoE9EllbEEZZNS1_14partition_implILS5_9ELb0ES3_jPlS8_PNS0_10empty_typeENS0_5tupleIJS8_S9_EEENSB_IJS8_SA_EEENS0_18inequality_wrapperIZN2at6native12_GLOBAL__N_124unique_dim_cuda_templateIiEESt5tupleIJNSF_6TensorESK_SK_EERKSK_lbbbEUlllE0_EEPmJS9_EEE10hipError_tPvRmT3_T4_T5_T6_T7_T9_mT8_P12ihipStream_tbDpT10_ENKUlT_T0_E_clISt17integral_constantIbLb0EES19_IbLb1EEEEDaS15_S16_EUlS15_E_NS1_11comp_targetILNS1_3genE8ELNS1_11target_archE1030ELNS1_3gpuE2ELNS1_3repE0EEENS1_30default_config_static_selectorELNS0_4arch9wavefront6targetE1EEEvT1_,"axG",@progbits,_ZN7rocprim17ROCPRIM_400000_NS6detail17trampoline_kernelINS0_14default_configENS1_25partition_config_selectorILNS1_17partition_subalgoE9EllbEEZZNS1_14partition_implILS5_9ELb0ES3_jPlS8_PNS0_10empty_typeENS0_5tupleIJS8_S9_EEENSB_IJS8_SA_EEENS0_18inequality_wrapperIZN2at6native12_GLOBAL__N_124unique_dim_cuda_templateIiEESt5tupleIJNSF_6TensorESK_SK_EERKSK_lbbbEUlllE0_EEPmJS9_EEE10hipError_tPvRmT3_T4_T5_T6_T7_T9_mT8_P12ihipStream_tbDpT10_ENKUlT_T0_E_clISt17integral_constantIbLb0EES19_IbLb1EEEEDaS15_S16_EUlS15_E_NS1_11comp_targetILNS1_3genE8ELNS1_11target_archE1030ELNS1_3gpuE2ELNS1_3repE0EEENS1_30default_config_static_selectorELNS0_4arch9wavefront6targetE1EEEvT1_,comdat
.Lfunc_end504:
	.size	_ZN7rocprim17ROCPRIM_400000_NS6detail17trampoline_kernelINS0_14default_configENS1_25partition_config_selectorILNS1_17partition_subalgoE9EllbEEZZNS1_14partition_implILS5_9ELb0ES3_jPlS8_PNS0_10empty_typeENS0_5tupleIJS8_S9_EEENSB_IJS8_SA_EEENS0_18inequality_wrapperIZN2at6native12_GLOBAL__N_124unique_dim_cuda_templateIiEESt5tupleIJNSF_6TensorESK_SK_EERKSK_lbbbEUlllE0_EEPmJS9_EEE10hipError_tPvRmT3_T4_T5_T6_T7_T9_mT8_P12ihipStream_tbDpT10_ENKUlT_T0_E_clISt17integral_constantIbLb0EES19_IbLb1EEEEDaS15_S16_EUlS15_E_NS1_11comp_targetILNS1_3genE8ELNS1_11target_archE1030ELNS1_3gpuE2ELNS1_3repE0EEENS1_30default_config_static_selectorELNS0_4arch9wavefront6targetE1EEEvT1_, .Lfunc_end504-_ZN7rocprim17ROCPRIM_400000_NS6detail17trampoline_kernelINS0_14default_configENS1_25partition_config_selectorILNS1_17partition_subalgoE9EllbEEZZNS1_14partition_implILS5_9ELb0ES3_jPlS8_PNS0_10empty_typeENS0_5tupleIJS8_S9_EEENSB_IJS8_SA_EEENS0_18inequality_wrapperIZN2at6native12_GLOBAL__N_124unique_dim_cuda_templateIiEESt5tupleIJNSF_6TensorESK_SK_EERKSK_lbbbEUlllE0_EEPmJS9_EEE10hipError_tPvRmT3_T4_T5_T6_T7_T9_mT8_P12ihipStream_tbDpT10_ENKUlT_T0_E_clISt17integral_constantIbLb0EES19_IbLb1EEEEDaS15_S16_EUlS15_E_NS1_11comp_targetILNS1_3genE8ELNS1_11target_archE1030ELNS1_3gpuE2ELNS1_3repE0EEENS1_30default_config_static_selectorELNS0_4arch9wavefront6targetE1EEEvT1_
                                        ; -- End function
	.section	.AMDGPU.csdata,"",@progbits
; Kernel info:
; codeLenInByte = 0
; NumSgprs: 4
; NumVgprs: 0
; NumAgprs: 0
; TotalNumVgprs: 0
; ScratchSize: 0
; MemoryBound: 0
; FloatMode: 240
; IeeeMode: 1
; LDSByteSize: 0 bytes/workgroup (compile time only)
; SGPRBlocks: 0
; VGPRBlocks: 0
; NumSGPRsForWavesPerEU: 4
; NumVGPRsForWavesPerEU: 1
; AccumOffset: 4
; Occupancy: 8
; WaveLimiterHint : 0
; COMPUTE_PGM_RSRC2:SCRATCH_EN: 0
; COMPUTE_PGM_RSRC2:USER_SGPR: 6
; COMPUTE_PGM_RSRC2:TRAP_HANDLER: 0
; COMPUTE_PGM_RSRC2:TGID_X_EN: 1
; COMPUTE_PGM_RSRC2:TGID_Y_EN: 0
; COMPUTE_PGM_RSRC2:TGID_Z_EN: 0
; COMPUTE_PGM_RSRC2:TIDIG_COMP_CNT: 0
; COMPUTE_PGM_RSRC3_GFX90A:ACCUM_OFFSET: 0
; COMPUTE_PGM_RSRC3_GFX90A:TG_SPLIT: 0
	.section	.text._ZN7rocprim17ROCPRIM_400000_NS6detail17trampoline_kernelINS0_14default_configENS1_37merge_sort_block_sort_config_selectorIlNS0_10empty_typeEEEZNS1_21merge_sort_block_sortIS3_PlS8_PS5_S9_ZN2at6native12_GLOBAL__N_124unique_dim_cuda_templateIlEESt5tupleIJNSA_6TensorESF_SF_EERKSF_lbbbEUlllE_EE10hipError_tT0_T1_T2_T3_mRjT4_P12ihipStream_tbNS1_7vsmem_tEEUlT_E_NS1_11comp_targetILNS1_3genE0ELNS1_11target_archE4294967295ELNS1_3gpuE0ELNS1_3repE0EEENS1_30default_config_static_selectorELNS0_4arch9wavefront6targetE1EEEvSM_,"axG",@progbits,_ZN7rocprim17ROCPRIM_400000_NS6detail17trampoline_kernelINS0_14default_configENS1_37merge_sort_block_sort_config_selectorIlNS0_10empty_typeEEEZNS1_21merge_sort_block_sortIS3_PlS8_PS5_S9_ZN2at6native12_GLOBAL__N_124unique_dim_cuda_templateIlEESt5tupleIJNSA_6TensorESF_SF_EERKSF_lbbbEUlllE_EE10hipError_tT0_T1_T2_T3_mRjT4_P12ihipStream_tbNS1_7vsmem_tEEUlT_E_NS1_11comp_targetILNS1_3genE0ELNS1_11target_archE4294967295ELNS1_3gpuE0ELNS1_3repE0EEENS1_30default_config_static_selectorELNS0_4arch9wavefront6targetE1EEEvSM_,comdat
	.globl	_ZN7rocprim17ROCPRIM_400000_NS6detail17trampoline_kernelINS0_14default_configENS1_37merge_sort_block_sort_config_selectorIlNS0_10empty_typeEEEZNS1_21merge_sort_block_sortIS3_PlS8_PS5_S9_ZN2at6native12_GLOBAL__N_124unique_dim_cuda_templateIlEESt5tupleIJNSA_6TensorESF_SF_EERKSF_lbbbEUlllE_EE10hipError_tT0_T1_T2_T3_mRjT4_P12ihipStream_tbNS1_7vsmem_tEEUlT_E_NS1_11comp_targetILNS1_3genE0ELNS1_11target_archE4294967295ELNS1_3gpuE0ELNS1_3repE0EEENS1_30default_config_static_selectorELNS0_4arch9wavefront6targetE1EEEvSM_ ; -- Begin function _ZN7rocprim17ROCPRIM_400000_NS6detail17trampoline_kernelINS0_14default_configENS1_37merge_sort_block_sort_config_selectorIlNS0_10empty_typeEEEZNS1_21merge_sort_block_sortIS3_PlS8_PS5_S9_ZN2at6native12_GLOBAL__N_124unique_dim_cuda_templateIlEESt5tupleIJNSA_6TensorESF_SF_EERKSF_lbbbEUlllE_EE10hipError_tT0_T1_T2_T3_mRjT4_P12ihipStream_tbNS1_7vsmem_tEEUlT_E_NS1_11comp_targetILNS1_3genE0ELNS1_11target_archE4294967295ELNS1_3gpuE0ELNS1_3repE0EEENS1_30default_config_static_selectorELNS0_4arch9wavefront6targetE1EEEvSM_
	.p2align	8
	.type	_ZN7rocprim17ROCPRIM_400000_NS6detail17trampoline_kernelINS0_14default_configENS1_37merge_sort_block_sort_config_selectorIlNS0_10empty_typeEEEZNS1_21merge_sort_block_sortIS3_PlS8_PS5_S9_ZN2at6native12_GLOBAL__N_124unique_dim_cuda_templateIlEESt5tupleIJNSA_6TensorESF_SF_EERKSF_lbbbEUlllE_EE10hipError_tT0_T1_T2_T3_mRjT4_P12ihipStream_tbNS1_7vsmem_tEEUlT_E_NS1_11comp_targetILNS1_3genE0ELNS1_11target_archE4294967295ELNS1_3gpuE0ELNS1_3repE0EEENS1_30default_config_static_selectorELNS0_4arch9wavefront6targetE1EEEvSM_,@function
_ZN7rocprim17ROCPRIM_400000_NS6detail17trampoline_kernelINS0_14default_configENS1_37merge_sort_block_sort_config_selectorIlNS0_10empty_typeEEEZNS1_21merge_sort_block_sortIS3_PlS8_PS5_S9_ZN2at6native12_GLOBAL__N_124unique_dim_cuda_templateIlEESt5tupleIJNSA_6TensorESF_SF_EERKSF_lbbbEUlllE_EE10hipError_tT0_T1_T2_T3_mRjT4_P12ihipStream_tbNS1_7vsmem_tEEUlT_E_NS1_11comp_targetILNS1_3genE0ELNS1_11target_archE4294967295ELNS1_3gpuE0ELNS1_3repE0EEENS1_30default_config_static_selectorELNS0_4arch9wavefront6targetE1EEEvSM_: ; @_ZN7rocprim17ROCPRIM_400000_NS6detail17trampoline_kernelINS0_14default_configENS1_37merge_sort_block_sort_config_selectorIlNS0_10empty_typeEEEZNS1_21merge_sort_block_sortIS3_PlS8_PS5_S9_ZN2at6native12_GLOBAL__N_124unique_dim_cuda_templateIlEESt5tupleIJNSA_6TensorESF_SF_EERKSF_lbbbEUlllE_EE10hipError_tT0_T1_T2_T3_mRjT4_P12ihipStream_tbNS1_7vsmem_tEEUlT_E_NS1_11comp_targetILNS1_3genE0ELNS1_11target_archE4294967295ELNS1_3gpuE0ELNS1_3repE0EEENS1_30default_config_static_selectorELNS0_4arch9wavefront6targetE1EEEvSM_
; %bb.0:
	.section	.rodata,"a",@progbits
	.p2align	6, 0x0
	.amdhsa_kernel _ZN7rocprim17ROCPRIM_400000_NS6detail17trampoline_kernelINS0_14default_configENS1_37merge_sort_block_sort_config_selectorIlNS0_10empty_typeEEEZNS1_21merge_sort_block_sortIS3_PlS8_PS5_S9_ZN2at6native12_GLOBAL__N_124unique_dim_cuda_templateIlEESt5tupleIJNSA_6TensorESF_SF_EERKSF_lbbbEUlllE_EE10hipError_tT0_T1_T2_T3_mRjT4_P12ihipStream_tbNS1_7vsmem_tEEUlT_E_NS1_11comp_targetILNS1_3genE0ELNS1_11target_archE4294967295ELNS1_3gpuE0ELNS1_3repE0EEENS1_30default_config_static_selectorELNS0_4arch9wavefront6targetE1EEEvSM_
		.amdhsa_group_segment_fixed_size 0
		.amdhsa_private_segment_fixed_size 0
		.amdhsa_kernarg_size 72
		.amdhsa_user_sgpr_count 6
		.amdhsa_user_sgpr_private_segment_buffer 1
		.amdhsa_user_sgpr_dispatch_ptr 0
		.amdhsa_user_sgpr_queue_ptr 0
		.amdhsa_user_sgpr_kernarg_segment_ptr 1
		.amdhsa_user_sgpr_dispatch_id 0
		.amdhsa_user_sgpr_flat_scratch_init 0
		.amdhsa_user_sgpr_kernarg_preload_length 0
		.amdhsa_user_sgpr_kernarg_preload_offset 0
		.amdhsa_user_sgpr_private_segment_size 0
		.amdhsa_uses_dynamic_stack 0
		.amdhsa_system_sgpr_private_segment_wavefront_offset 0
		.amdhsa_system_sgpr_workgroup_id_x 1
		.amdhsa_system_sgpr_workgroup_id_y 0
		.amdhsa_system_sgpr_workgroup_id_z 0
		.amdhsa_system_sgpr_workgroup_info 0
		.amdhsa_system_vgpr_workitem_id 0
		.amdhsa_next_free_vgpr 1
		.amdhsa_next_free_sgpr 0
		.amdhsa_accum_offset 4
		.amdhsa_reserve_vcc 0
		.amdhsa_reserve_flat_scratch 0
		.amdhsa_float_round_mode_32 0
		.amdhsa_float_round_mode_16_64 0
		.amdhsa_float_denorm_mode_32 3
		.amdhsa_float_denorm_mode_16_64 3
		.amdhsa_dx10_clamp 1
		.amdhsa_ieee_mode 1
		.amdhsa_fp16_overflow 0
		.amdhsa_tg_split 0
		.amdhsa_exception_fp_ieee_invalid_op 0
		.amdhsa_exception_fp_denorm_src 0
		.amdhsa_exception_fp_ieee_div_zero 0
		.amdhsa_exception_fp_ieee_overflow 0
		.amdhsa_exception_fp_ieee_underflow 0
		.amdhsa_exception_fp_ieee_inexact 0
		.amdhsa_exception_int_div_zero 0
	.end_amdhsa_kernel
	.section	.text._ZN7rocprim17ROCPRIM_400000_NS6detail17trampoline_kernelINS0_14default_configENS1_37merge_sort_block_sort_config_selectorIlNS0_10empty_typeEEEZNS1_21merge_sort_block_sortIS3_PlS8_PS5_S9_ZN2at6native12_GLOBAL__N_124unique_dim_cuda_templateIlEESt5tupleIJNSA_6TensorESF_SF_EERKSF_lbbbEUlllE_EE10hipError_tT0_T1_T2_T3_mRjT4_P12ihipStream_tbNS1_7vsmem_tEEUlT_E_NS1_11comp_targetILNS1_3genE0ELNS1_11target_archE4294967295ELNS1_3gpuE0ELNS1_3repE0EEENS1_30default_config_static_selectorELNS0_4arch9wavefront6targetE1EEEvSM_,"axG",@progbits,_ZN7rocprim17ROCPRIM_400000_NS6detail17trampoline_kernelINS0_14default_configENS1_37merge_sort_block_sort_config_selectorIlNS0_10empty_typeEEEZNS1_21merge_sort_block_sortIS3_PlS8_PS5_S9_ZN2at6native12_GLOBAL__N_124unique_dim_cuda_templateIlEESt5tupleIJNSA_6TensorESF_SF_EERKSF_lbbbEUlllE_EE10hipError_tT0_T1_T2_T3_mRjT4_P12ihipStream_tbNS1_7vsmem_tEEUlT_E_NS1_11comp_targetILNS1_3genE0ELNS1_11target_archE4294967295ELNS1_3gpuE0ELNS1_3repE0EEENS1_30default_config_static_selectorELNS0_4arch9wavefront6targetE1EEEvSM_,comdat
.Lfunc_end505:
	.size	_ZN7rocprim17ROCPRIM_400000_NS6detail17trampoline_kernelINS0_14default_configENS1_37merge_sort_block_sort_config_selectorIlNS0_10empty_typeEEEZNS1_21merge_sort_block_sortIS3_PlS8_PS5_S9_ZN2at6native12_GLOBAL__N_124unique_dim_cuda_templateIlEESt5tupleIJNSA_6TensorESF_SF_EERKSF_lbbbEUlllE_EE10hipError_tT0_T1_T2_T3_mRjT4_P12ihipStream_tbNS1_7vsmem_tEEUlT_E_NS1_11comp_targetILNS1_3genE0ELNS1_11target_archE4294967295ELNS1_3gpuE0ELNS1_3repE0EEENS1_30default_config_static_selectorELNS0_4arch9wavefront6targetE1EEEvSM_, .Lfunc_end505-_ZN7rocprim17ROCPRIM_400000_NS6detail17trampoline_kernelINS0_14default_configENS1_37merge_sort_block_sort_config_selectorIlNS0_10empty_typeEEEZNS1_21merge_sort_block_sortIS3_PlS8_PS5_S9_ZN2at6native12_GLOBAL__N_124unique_dim_cuda_templateIlEESt5tupleIJNSA_6TensorESF_SF_EERKSF_lbbbEUlllE_EE10hipError_tT0_T1_T2_T3_mRjT4_P12ihipStream_tbNS1_7vsmem_tEEUlT_E_NS1_11comp_targetILNS1_3genE0ELNS1_11target_archE4294967295ELNS1_3gpuE0ELNS1_3repE0EEENS1_30default_config_static_selectorELNS0_4arch9wavefront6targetE1EEEvSM_
                                        ; -- End function
	.section	.AMDGPU.csdata,"",@progbits
; Kernel info:
; codeLenInByte = 0
; NumSgprs: 4
; NumVgprs: 0
; NumAgprs: 0
; TotalNumVgprs: 0
; ScratchSize: 0
; MemoryBound: 0
; FloatMode: 240
; IeeeMode: 1
; LDSByteSize: 0 bytes/workgroup (compile time only)
; SGPRBlocks: 0
; VGPRBlocks: 0
; NumSGPRsForWavesPerEU: 4
; NumVGPRsForWavesPerEU: 1
; AccumOffset: 4
; Occupancy: 8
; WaveLimiterHint : 0
; COMPUTE_PGM_RSRC2:SCRATCH_EN: 0
; COMPUTE_PGM_RSRC2:USER_SGPR: 6
; COMPUTE_PGM_RSRC2:TRAP_HANDLER: 0
; COMPUTE_PGM_RSRC2:TGID_X_EN: 1
; COMPUTE_PGM_RSRC2:TGID_Y_EN: 0
; COMPUTE_PGM_RSRC2:TGID_Z_EN: 0
; COMPUTE_PGM_RSRC2:TIDIG_COMP_CNT: 0
; COMPUTE_PGM_RSRC3_GFX90A:ACCUM_OFFSET: 0
; COMPUTE_PGM_RSRC3_GFX90A:TG_SPLIT: 0
	.section	.text._ZN7rocprim17ROCPRIM_400000_NS6detail17trampoline_kernelINS0_14default_configENS1_37merge_sort_block_sort_config_selectorIlNS0_10empty_typeEEEZNS1_21merge_sort_block_sortIS3_PlS8_PS5_S9_ZN2at6native12_GLOBAL__N_124unique_dim_cuda_templateIlEESt5tupleIJNSA_6TensorESF_SF_EERKSF_lbbbEUlllE_EE10hipError_tT0_T1_T2_T3_mRjT4_P12ihipStream_tbNS1_7vsmem_tEEUlT_E_NS1_11comp_targetILNS1_3genE5ELNS1_11target_archE942ELNS1_3gpuE9ELNS1_3repE0EEENS1_30default_config_static_selectorELNS0_4arch9wavefront6targetE1EEEvSM_,"axG",@progbits,_ZN7rocprim17ROCPRIM_400000_NS6detail17trampoline_kernelINS0_14default_configENS1_37merge_sort_block_sort_config_selectorIlNS0_10empty_typeEEEZNS1_21merge_sort_block_sortIS3_PlS8_PS5_S9_ZN2at6native12_GLOBAL__N_124unique_dim_cuda_templateIlEESt5tupleIJNSA_6TensorESF_SF_EERKSF_lbbbEUlllE_EE10hipError_tT0_T1_T2_T3_mRjT4_P12ihipStream_tbNS1_7vsmem_tEEUlT_E_NS1_11comp_targetILNS1_3genE5ELNS1_11target_archE942ELNS1_3gpuE9ELNS1_3repE0EEENS1_30default_config_static_selectorELNS0_4arch9wavefront6targetE1EEEvSM_,comdat
	.globl	_ZN7rocprim17ROCPRIM_400000_NS6detail17trampoline_kernelINS0_14default_configENS1_37merge_sort_block_sort_config_selectorIlNS0_10empty_typeEEEZNS1_21merge_sort_block_sortIS3_PlS8_PS5_S9_ZN2at6native12_GLOBAL__N_124unique_dim_cuda_templateIlEESt5tupleIJNSA_6TensorESF_SF_EERKSF_lbbbEUlllE_EE10hipError_tT0_T1_T2_T3_mRjT4_P12ihipStream_tbNS1_7vsmem_tEEUlT_E_NS1_11comp_targetILNS1_3genE5ELNS1_11target_archE942ELNS1_3gpuE9ELNS1_3repE0EEENS1_30default_config_static_selectorELNS0_4arch9wavefront6targetE1EEEvSM_ ; -- Begin function _ZN7rocprim17ROCPRIM_400000_NS6detail17trampoline_kernelINS0_14default_configENS1_37merge_sort_block_sort_config_selectorIlNS0_10empty_typeEEEZNS1_21merge_sort_block_sortIS3_PlS8_PS5_S9_ZN2at6native12_GLOBAL__N_124unique_dim_cuda_templateIlEESt5tupleIJNSA_6TensorESF_SF_EERKSF_lbbbEUlllE_EE10hipError_tT0_T1_T2_T3_mRjT4_P12ihipStream_tbNS1_7vsmem_tEEUlT_E_NS1_11comp_targetILNS1_3genE5ELNS1_11target_archE942ELNS1_3gpuE9ELNS1_3repE0EEENS1_30default_config_static_selectorELNS0_4arch9wavefront6targetE1EEEvSM_
	.p2align	8
	.type	_ZN7rocprim17ROCPRIM_400000_NS6detail17trampoline_kernelINS0_14default_configENS1_37merge_sort_block_sort_config_selectorIlNS0_10empty_typeEEEZNS1_21merge_sort_block_sortIS3_PlS8_PS5_S9_ZN2at6native12_GLOBAL__N_124unique_dim_cuda_templateIlEESt5tupleIJNSA_6TensorESF_SF_EERKSF_lbbbEUlllE_EE10hipError_tT0_T1_T2_T3_mRjT4_P12ihipStream_tbNS1_7vsmem_tEEUlT_E_NS1_11comp_targetILNS1_3genE5ELNS1_11target_archE942ELNS1_3gpuE9ELNS1_3repE0EEENS1_30default_config_static_selectorELNS0_4arch9wavefront6targetE1EEEvSM_,@function
_ZN7rocprim17ROCPRIM_400000_NS6detail17trampoline_kernelINS0_14default_configENS1_37merge_sort_block_sort_config_selectorIlNS0_10empty_typeEEEZNS1_21merge_sort_block_sortIS3_PlS8_PS5_S9_ZN2at6native12_GLOBAL__N_124unique_dim_cuda_templateIlEESt5tupleIJNSA_6TensorESF_SF_EERKSF_lbbbEUlllE_EE10hipError_tT0_T1_T2_T3_mRjT4_P12ihipStream_tbNS1_7vsmem_tEEUlT_E_NS1_11comp_targetILNS1_3genE5ELNS1_11target_archE942ELNS1_3gpuE9ELNS1_3repE0EEENS1_30default_config_static_selectorELNS0_4arch9wavefront6targetE1EEEvSM_: ; @_ZN7rocprim17ROCPRIM_400000_NS6detail17trampoline_kernelINS0_14default_configENS1_37merge_sort_block_sort_config_selectorIlNS0_10empty_typeEEEZNS1_21merge_sort_block_sortIS3_PlS8_PS5_S9_ZN2at6native12_GLOBAL__N_124unique_dim_cuda_templateIlEESt5tupleIJNSA_6TensorESF_SF_EERKSF_lbbbEUlllE_EE10hipError_tT0_T1_T2_T3_mRjT4_P12ihipStream_tbNS1_7vsmem_tEEUlT_E_NS1_11comp_targetILNS1_3genE5ELNS1_11target_archE942ELNS1_3gpuE9ELNS1_3repE0EEENS1_30default_config_static_selectorELNS0_4arch9wavefront6targetE1EEEvSM_
; %bb.0:
	.section	.rodata,"a",@progbits
	.p2align	6, 0x0
	.amdhsa_kernel _ZN7rocprim17ROCPRIM_400000_NS6detail17trampoline_kernelINS0_14default_configENS1_37merge_sort_block_sort_config_selectorIlNS0_10empty_typeEEEZNS1_21merge_sort_block_sortIS3_PlS8_PS5_S9_ZN2at6native12_GLOBAL__N_124unique_dim_cuda_templateIlEESt5tupleIJNSA_6TensorESF_SF_EERKSF_lbbbEUlllE_EE10hipError_tT0_T1_T2_T3_mRjT4_P12ihipStream_tbNS1_7vsmem_tEEUlT_E_NS1_11comp_targetILNS1_3genE5ELNS1_11target_archE942ELNS1_3gpuE9ELNS1_3repE0EEENS1_30default_config_static_selectorELNS0_4arch9wavefront6targetE1EEEvSM_
		.amdhsa_group_segment_fixed_size 0
		.amdhsa_private_segment_fixed_size 0
		.amdhsa_kernarg_size 72
		.amdhsa_user_sgpr_count 6
		.amdhsa_user_sgpr_private_segment_buffer 1
		.amdhsa_user_sgpr_dispatch_ptr 0
		.amdhsa_user_sgpr_queue_ptr 0
		.amdhsa_user_sgpr_kernarg_segment_ptr 1
		.amdhsa_user_sgpr_dispatch_id 0
		.amdhsa_user_sgpr_flat_scratch_init 0
		.amdhsa_user_sgpr_kernarg_preload_length 0
		.amdhsa_user_sgpr_kernarg_preload_offset 0
		.amdhsa_user_sgpr_private_segment_size 0
		.amdhsa_uses_dynamic_stack 0
		.amdhsa_system_sgpr_private_segment_wavefront_offset 0
		.amdhsa_system_sgpr_workgroup_id_x 1
		.amdhsa_system_sgpr_workgroup_id_y 0
		.amdhsa_system_sgpr_workgroup_id_z 0
		.amdhsa_system_sgpr_workgroup_info 0
		.amdhsa_system_vgpr_workitem_id 0
		.amdhsa_next_free_vgpr 1
		.amdhsa_next_free_sgpr 0
		.amdhsa_accum_offset 4
		.amdhsa_reserve_vcc 0
		.amdhsa_reserve_flat_scratch 0
		.amdhsa_float_round_mode_32 0
		.amdhsa_float_round_mode_16_64 0
		.amdhsa_float_denorm_mode_32 3
		.amdhsa_float_denorm_mode_16_64 3
		.amdhsa_dx10_clamp 1
		.amdhsa_ieee_mode 1
		.amdhsa_fp16_overflow 0
		.amdhsa_tg_split 0
		.amdhsa_exception_fp_ieee_invalid_op 0
		.amdhsa_exception_fp_denorm_src 0
		.amdhsa_exception_fp_ieee_div_zero 0
		.amdhsa_exception_fp_ieee_overflow 0
		.amdhsa_exception_fp_ieee_underflow 0
		.amdhsa_exception_fp_ieee_inexact 0
		.amdhsa_exception_int_div_zero 0
	.end_amdhsa_kernel
	.section	.text._ZN7rocprim17ROCPRIM_400000_NS6detail17trampoline_kernelINS0_14default_configENS1_37merge_sort_block_sort_config_selectorIlNS0_10empty_typeEEEZNS1_21merge_sort_block_sortIS3_PlS8_PS5_S9_ZN2at6native12_GLOBAL__N_124unique_dim_cuda_templateIlEESt5tupleIJNSA_6TensorESF_SF_EERKSF_lbbbEUlllE_EE10hipError_tT0_T1_T2_T3_mRjT4_P12ihipStream_tbNS1_7vsmem_tEEUlT_E_NS1_11comp_targetILNS1_3genE5ELNS1_11target_archE942ELNS1_3gpuE9ELNS1_3repE0EEENS1_30default_config_static_selectorELNS0_4arch9wavefront6targetE1EEEvSM_,"axG",@progbits,_ZN7rocprim17ROCPRIM_400000_NS6detail17trampoline_kernelINS0_14default_configENS1_37merge_sort_block_sort_config_selectorIlNS0_10empty_typeEEEZNS1_21merge_sort_block_sortIS3_PlS8_PS5_S9_ZN2at6native12_GLOBAL__N_124unique_dim_cuda_templateIlEESt5tupleIJNSA_6TensorESF_SF_EERKSF_lbbbEUlllE_EE10hipError_tT0_T1_T2_T3_mRjT4_P12ihipStream_tbNS1_7vsmem_tEEUlT_E_NS1_11comp_targetILNS1_3genE5ELNS1_11target_archE942ELNS1_3gpuE9ELNS1_3repE0EEENS1_30default_config_static_selectorELNS0_4arch9wavefront6targetE1EEEvSM_,comdat
.Lfunc_end506:
	.size	_ZN7rocprim17ROCPRIM_400000_NS6detail17trampoline_kernelINS0_14default_configENS1_37merge_sort_block_sort_config_selectorIlNS0_10empty_typeEEEZNS1_21merge_sort_block_sortIS3_PlS8_PS5_S9_ZN2at6native12_GLOBAL__N_124unique_dim_cuda_templateIlEESt5tupleIJNSA_6TensorESF_SF_EERKSF_lbbbEUlllE_EE10hipError_tT0_T1_T2_T3_mRjT4_P12ihipStream_tbNS1_7vsmem_tEEUlT_E_NS1_11comp_targetILNS1_3genE5ELNS1_11target_archE942ELNS1_3gpuE9ELNS1_3repE0EEENS1_30default_config_static_selectorELNS0_4arch9wavefront6targetE1EEEvSM_, .Lfunc_end506-_ZN7rocprim17ROCPRIM_400000_NS6detail17trampoline_kernelINS0_14default_configENS1_37merge_sort_block_sort_config_selectorIlNS0_10empty_typeEEEZNS1_21merge_sort_block_sortIS3_PlS8_PS5_S9_ZN2at6native12_GLOBAL__N_124unique_dim_cuda_templateIlEESt5tupleIJNSA_6TensorESF_SF_EERKSF_lbbbEUlllE_EE10hipError_tT0_T1_T2_T3_mRjT4_P12ihipStream_tbNS1_7vsmem_tEEUlT_E_NS1_11comp_targetILNS1_3genE5ELNS1_11target_archE942ELNS1_3gpuE9ELNS1_3repE0EEENS1_30default_config_static_selectorELNS0_4arch9wavefront6targetE1EEEvSM_
                                        ; -- End function
	.section	.AMDGPU.csdata,"",@progbits
; Kernel info:
; codeLenInByte = 0
; NumSgprs: 4
; NumVgprs: 0
; NumAgprs: 0
; TotalNumVgprs: 0
; ScratchSize: 0
; MemoryBound: 0
; FloatMode: 240
; IeeeMode: 1
; LDSByteSize: 0 bytes/workgroup (compile time only)
; SGPRBlocks: 0
; VGPRBlocks: 0
; NumSGPRsForWavesPerEU: 4
; NumVGPRsForWavesPerEU: 1
; AccumOffset: 4
; Occupancy: 8
; WaveLimiterHint : 0
; COMPUTE_PGM_RSRC2:SCRATCH_EN: 0
; COMPUTE_PGM_RSRC2:USER_SGPR: 6
; COMPUTE_PGM_RSRC2:TRAP_HANDLER: 0
; COMPUTE_PGM_RSRC2:TGID_X_EN: 1
; COMPUTE_PGM_RSRC2:TGID_Y_EN: 0
; COMPUTE_PGM_RSRC2:TGID_Z_EN: 0
; COMPUTE_PGM_RSRC2:TIDIG_COMP_CNT: 0
; COMPUTE_PGM_RSRC3_GFX90A:ACCUM_OFFSET: 0
; COMPUTE_PGM_RSRC3_GFX90A:TG_SPLIT: 0
	.section	.text._ZN7rocprim17ROCPRIM_400000_NS6detail17trampoline_kernelINS0_14default_configENS1_37merge_sort_block_sort_config_selectorIlNS0_10empty_typeEEEZNS1_21merge_sort_block_sortIS3_PlS8_PS5_S9_ZN2at6native12_GLOBAL__N_124unique_dim_cuda_templateIlEESt5tupleIJNSA_6TensorESF_SF_EERKSF_lbbbEUlllE_EE10hipError_tT0_T1_T2_T3_mRjT4_P12ihipStream_tbNS1_7vsmem_tEEUlT_E_NS1_11comp_targetILNS1_3genE4ELNS1_11target_archE910ELNS1_3gpuE8ELNS1_3repE0EEENS1_30default_config_static_selectorELNS0_4arch9wavefront6targetE1EEEvSM_,"axG",@progbits,_ZN7rocprim17ROCPRIM_400000_NS6detail17trampoline_kernelINS0_14default_configENS1_37merge_sort_block_sort_config_selectorIlNS0_10empty_typeEEEZNS1_21merge_sort_block_sortIS3_PlS8_PS5_S9_ZN2at6native12_GLOBAL__N_124unique_dim_cuda_templateIlEESt5tupleIJNSA_6TensorESF_SF_EERKSF_lbbbEUlllE_EE10hipError_tT0_T1_T2_T3_mRjT4_P12ihipStream_tbNS1_7vsmem_tEEUlT_E_NS1_11comp_targetILNS1_3genE4ELNS1_11target_archE910ELNS1_3gpuE8ELNS1_3repE0EEENS1_30default_config_static_selectorELNS0_4arch9wavefront6targetE1EEEvSM_,comdat
	.globl	_ZN7rocprim17ROCPRIM_400000_NS6detail17trampoline_kernelINS0_14default_configENS1_37merge_sort_block_sort_config_selectorIlNS0_10empty_typeEEEZNS1_21merge_sort_block_sortIS3_PlS8_PS5_S9_ZN2at6native12_GLOBAL__N_124unique_dim_cuda_templateIlEESt5tupleIJNSA_6TensorESF_SF_EERKSF_lbbbEUlllE_EE10hipError_tT0_T1_T2_T3_mRjT4_P12ihipStream_tbNS1_7vsmem_tEEUlT_E_NS1_11comp_targetILNS1_3genE4ELNS1_11target_archE910ELNS1_3gpuE8ELNS1_3repE0EEENS1_30default_config_static_selectorELNS0_4arch9wavefront6targetE1EEEvSM_ ; -- Begin function _ZN7rocprim17ROCPRIM_400000_NS6detail17trampoline_kernelINS0_14default_configENS1_37merge_sort_block_sort_config_selectorIlNS0_10empty_typeEEEZNS1_21merge_sort_block_sortIS3_PlS8_PS5_S9_ZN2at6native12_GLOBAL__N_124unique_dim_cuda_templateIlEESt5tupleIJNSA_6TensorESF_SF_EERKSF_lbbbEUlllE_EE10hipError_tT0_T1_T2_T3_mRjT4_P12ihipStream_tbNS1_7vsmem_tEEUlT_E_NS1_11comp_targetILNS1_3genE4ELNS1_11target_archE910ELNS1_3gpuE8ELNS1_3repE0EEENS1_30default_config_static_selectorELNS0_4arch9wavefront6targetE1EEEvSM_
	.p2align	8
	.type	_ZN7rocprim17ROCPRIM_400000_NS6detail17trampoline_kernelINS0_14default_configENS1_37merge_sort_block_sort_config_selectorIlNS0_10empty_typeEEEZNS1_21merge_sort_block_sortIS3_PlS8_PS5_S9_ZN2at6native12_GLOBAL__N_124unique_dim_cuda_templateIlEESt5tupleIJNSA_6TensorESF_SF_EERKSF_lbbbEUlllE_EE10hipError_tT0_T1_T2_T3_mRjT4_P12ihipStream_tbNS1_7vsmem_tEEUlT_E_NS1_11comp_targetILNS1_3genE4ELNS1_11target_archE910ELNS1_3gpuE8ELNS1_3repE0EEENS1_30default_config_static_selectorELNS0_4arch9wavefront6targetE1EEEvSM_,@function
_ZN7rocprim17ROCPRIM_400000_NS6detail17trampoline_kernelINS0_14default_configENS1_37merge_sort_block_sort_config_selectorIlNS0_10empty_typeEEEZNS1_21merge_sort_block_sortIS3_PlS8_PS5_S9_ZN2at6native12_GLOBAL__N_124unique_dim_cuda_templateIlEESt5tupleIJNSA_6TensorESF_SF_EERKSF_lbbbEUlllE_EE10hipError_tT0_T1_T2_T3_mRjT4_P12ihipStream_tbNS1_7vsmem_tEEUlT_E_NS1_11comp_targetILNS1_3genE4ELNS1_11target_archE910ELNS1_3gpuE8ELNS1_3repE0EEENS1_30default_config_static_selectorELNS0_4arch9wavefront6targetE1EEEvSM_: ; @_ZN7rocprim17ROCPRIM_400000_NS6detail17trampoline_kernelINS0_14default_configENS1_37merge_sort_block_sort_config_selectorIlNS0_10empty_typeEEEZNS1_21merge_sort_block_sortIS3_PlS8_PS5_S9_ZN2at6native12_GLOBAL__N_124unique_dim_cuda_templateIlEESt5tupleIJNSA_6TensorESF_SF_EERKSF_lbbbEUlllE_EE10hipError_tT0_T1_T2_T3_mRjT4_P12ihipStream_tbNS1_7vsmem_tEEUlT_E_NS1_11comp_targetILNS1_3genE4ELNS1_11target_archE910ELNS1_3gpuE8ELNS1_3repE0EEENS1_30default_config_static_selectorELNS0_4arch9wavefront6targetE1EEEvSM_
; %bb.0:
	s_load_dwordx2 s[12:13], s[4:5], 0x48
	s_load_dword s0, s[4:5], 0x0
	s_add_u32 s10, s4, 0x48
	s_addc_u32 s11, s5, 0
	s_waitcnt lgkmcnt(0)
	s_mul_i32 s1, s13, s8
	s_add_i32 s1, s1, s7
	s_mul_i32 s1, s1, s12
	s_add_i32 s14, s1, s6
	s_cmp_ge_u32 s14, s0
	s_cbranch_scc1 .LBB507_876
; %bb.1:
	s_load_dwordx2 s[22:23], s[4:5], 0x8
	s_load_dwordx4 s[0:3], s[4:5], 0x18
	s_load_dwordx4 s[16:19], s[4:5], 0x38
	s_mov_b32 s15, 0
	s_lshl_b64 s[4:5], s[14:15], 13
	s_waitcnt lgkmcnt(0)
	s_lshr_b64 s[24:25], s[22:23], 10
	s_add_u32 s8, s0, s4
	s_addc_u32 s9, s1, s5
	s_add_u32 s20, s2, s4
	s_addc_u32 s21, s3, s5
	v_and_b32_e32 v12, 0x3ff, v0
	s_cmp_lg_u64 s[24:25], s[14:15]
	v_bfe_u32 v28, v0, 10, 10
	v_bfe_u32 v29, v0, 20, 10
	v_lshlrev_b32_e32 v26, 3, v12
	v_lshrrev_b32_e32 v31, 2, v12
	v_lshlrev_b32_e32 v27, 2, v12
	v_lshrrev_b32_e32 v30, 3, v12
	v_cmp_gt_i64_e64 s[24:25], s[16:17], 0
	s_cbranch_scc0 .LBB507_8
; %bb.2:
	v_mov_b32_e32 v0, s9
	v_add_co_u32_e32 v4, vcc, s8, v26
	v_addc_co_u32_e32 v5, vcc, 0, v0, vcc
	v_add_co_u32_e32 v4, vcc, 0x1000, v4
	v_addc_co_u32_e32 v5, vcc, 0, v5, vcc
	global_load_dwordx2 v[0:1], v26, s[8:9]
	global_load_dwordx2 v[2:3], v26, s[8:9] offset:2048
	global_load_dwordx2 v[6:7], v[4:5], off
	global_load_dwordx2 v[8:9], v[4:5], off offset:2048
	v_and_b32_e32 v4, 0xf8, v31
	v_add_u32_e32 v5, 0x100, v12
	v_add_u32_e32 v10, 0x200, v12
	;; [unrolled: 1-line block ×4, first 2 shown]
	v_lshrrev_b32_e32 v4, 2, v5
	v_lshrrev_b32_e32 v5, 2, v10
	;; [unrolled: 1-line block ×3, first 2 shown]
	v_add_lshl_u32 v33, v30, v27, 3
	v_and_b32_e32 v4, 0x1f8, v4
	v_and_b32_e32 v5, 0x1f8, v5
	;; [unrolled: 1-line block ×3, first 2 shown]
	v_add_u32_e32 v34, v4, v26
	v_add_u32_e32 v35, v5, v26
	;; [unrolled: 1-line block ×3, first 2 shown]
	v_mov_b32_e32 v13, 0
	s_waitcnt vmcnt(3)
	ds_write_b64 v32, v[0:1]
	s_waitcnt vmcnt(2)
	ds_write_b64 v34, v[2:3] offset:2048
	s_waitcnt vmcnt(1)
	ds_write_b64 v35, v[6:7] offset:4096
	;; [unrolled: 2-line block ×3, first 2 shown]
	s_waitcnt lgkmcnt(0)
	s_barrier
	ds_read2_b64 v[8:11], v33 offset1:1
	ds_read2_b64 v[4:7], v33 offset0:2 offset1:3
	s_waitcnt lgkmcnt(0)
	s_barrier
	s_load_dword s0, s[10:11], 0xc
	v_mov_b32_e32 v0, v8
	v_mov_b32_e32 v1, v9
	;; [unrolled: 1-line block ×4, first 2 shown]
	s_waitcnt lgkmcnt(0)
	s_lshr_b32 s2, s0, 16
	s_cmp_lt_u32 s6, s12
	s_cselect_b32 s0, 12, 18
	s_add_u32 s0, s10, s0
	s_addc_u32 s1, s11, 0
	global_load_ushort v14, v13, s[0:1]
	v_mad_u32_u24 v15, v29, s2, v28
	s_movk_i32 s0, 0x400
	s_waitcnt vmcnt(0)
	v_mul_lo_u32 v14, v15, v14
	v_add_lshl_u32 v37, v14, v12, 2
	v_cmp_gt_u32_e32 vcc, s0, v37
	s_and_saveexec_b64 s[26:27], vcc
	s_cbranch_execz .LBB507_62
; %bb.3:
	v_cndmask_b32_e64 v14, 0, 1, s[24:25]
	v_cmp_ne_u32_e64 s[0:1], 1, v14
	s_andn2_b64 vcc, exec, s[24:25]
	s_cbranch_vccnz .LBB507_14
; %bb.4:
	v_mul_lo_u32 v16, v11, s16
	v_mul_lo_u32 v17, v10, s17
	v_mad_u64_u32 v[14:15], s[2:3], v10, s16, 0
	v_add3_u32 v15, v15, v17, v16
	v_lshlrev_b64 v[14:15], 3, v[14:15]
	v_mov_b32_e32 v16, s19
	v_add_co_u32_e32 v14, vcc, s18, v14
	v_addc_co_u32_e32 v15, vcc, v16, v15, vcc
	v_mul_lo_u32 v18, v9, s16
	v_mul_lo_u32 v19, v8, s17
	v_mad_u64_u32 v[16:17], s[2:3], v8, s16, 0
	v_add3_u32 v17, v17, v19, v18
	v_lshlrev_b64 v[16:17], 3, v[16:17]
	v_mov_b32_e32 v18, s19
	v_add_co_u32_e32 v16, vcc, s18, v16
	v_addc_co_u32_e32 v17, vcc, v18, v17, vcc
	s_mov_b64 s[34:35], 0
	s_mov_b64 s[42:43], s[16:17]
                                        ; implicit-def: $sgpr28_sgpr29
                                        ; implicit-def: $sgpr30_sgpr31
                                        ; implicit-def: $sgpr38_sgpr39
                                        ; implicit-def: $sgpr36_sgpr37
                                        ; implicit-def: $sgpr40_sgpr41
                                        ; implicit-def: $sgpr44_sgpr45
	s_branch .LBB507_6
.LBB507_5:                              ;   in Loop: Header=BB507_6 Depth=1
	s_or_b64 exec, exec, s[46:47]
	s_and_b64 s[4:5], exec, s[38:39]
	s_or_b64 s[34:35], s[4:5], s[34:35]
	s_andn2_b64 s[4:5], s[44:45], exec
	s_and_b64 s[44:45], s[40:41], exec
	s_or_b64 s[44:45], s[4:5], s[44:45]
	s_andn2_b64 s[4:5], s[30:31], exec
	s_and_b64 s[30:31], s[36:37], exec
	;; [unrolled: 3-line block ×3, first 2 shown]
	s_or_b64 s[28:29], s[4:5], s[2:3]
	s_andn2_b64 exec, exec, s[34:35]
	s_cbranch_execz .LBB507_9
.LBB507_6:                              ; =>This Inner Loop Header: Depth=1
	global_load_dwordx2 v[18:19], v[14:15], off
	global_load_dwordx2 v[20:21], v[16:17], off
	s_andn2_b64 s[40:41], s[40:41], exec
	s_or_b64 s[36:37], s[36:37], exec
	s_or_b64 s[38:39], s[38:39], exec
	s_waitcnt vmcnt(0)
	v_cmp_le_i64_e64 s[2:3], v[18:19], v[20:21]
	v_cmp_lt_i64_e32 vcc, v[18:19], v[20:21]
	s_and_b64 s[2:3], s[2:3], s[44:45]
	v_cmp_eq_u64_e64 s[4:5], v[18:19], v[20:21]
	s_or_b64 s[2:3], vcc, s[2:3]
	s_and_saveexec_b64 s[46:47], s[4:5]
	s_cbranch_execz .LBB507_5
; %bb.7:                                ;   in Loop: Header=BB507_6 Depth=1
	s_add_u32 s42, s42, -1
	s_addc_u32 s43, s43, -1
	v_add_co_u32_e32 v14, vcc, 8, v14
	s_cmp_eq_u64 s[42:43], 0
	v_addc_co_u32_e32 v15, vcc, 0, v15, vcc
	s_cselect_b64 s[4:5], -1, 0
	v_add_co_u32_e32 v16, vcc, 8, v16
	s_andn2_b64 s[40:41], s[40:41], exec
	s_and_b64 s[44:45], s[2:3], exec
	s_andn2_b64 s[38:39], s[38:39], exec
	s_and_b64 s[4:5], s[4:5], exec
	v_addc_co_u32_e32 v17, vcc, 0, v17, vcc
	s_or_b64 s[40:41], s[40:41], s[44:45]
	s_andn2_b64 s[36:37], s[36:37], exec
	s_or_b64 s[38:39], s[38:39], s[4:5]
                                        ; implicit-def: $sgpr44_sgpr45
	s_branch .LBB507_5
.LBB507_8:
	s_mov_b64 s[24:25], 0
                                        ; implicit-def: $vgpr0_vgpr1
	s_cbranch_execnz .LBB507_519
	s_branch .LBB507_874
.LBB507_9:
	s_or_b64 exec, exec, s[34:35]
	s_and_saveexec_b64 s[2:3], s[30:31]
	s_xor_b64 s[2:3], exec, s[2:3]
	s_cbranch_execz .LBB507_13
; %bb.10:
	v_pk_mov_b32 v[14:15], v[10:11], v[10:11] op_sel:[0,1]
	s_and_saveexec_b64 s[4:5], s[28:29]
; %bb.11:
	v_mov_b32_e32 v0, v10
	v_mov_b32_e32 v1, v11
	;; [unrolled: 1-line block ×4, first 2 shown]
	v_pk_mov_b32 v[14:15], v[8:9], v[8:9] op_sel:[0,1]
	v_pk_mov_b32 v[8:9], v[10:11], v[10:11] op_sel:[0,1]
; %bb.12:
	s_or_b64 exec, exec, s[4:5]
	v_pk_mov_b32 v[10:11], v[14:15], v[14:15] op_sel:[0,1]
.LBB507_13:
	s_or_b64 exec, exec, s[2:3]
.LBB507_14:
	v_mul_lo_u32 v20, v5, s16
	v_mul_lo_u32 v21, v4, s17
	v_mad_u64_u32 v[18:19], s[2:3], v4, s16, 0
	v_mov_b32_e32 v16, v6
	v_mov_b32_e32 v17, v7
	;; [unrolled: 1-line block ×4, first 2 shown]
	s_and_b64 vcc, exec, s[0:1]
	v_add3_u32 v19, v19, v21, v20
	s_cbranch_vccnz .LBB507_24
; %bb.15:
	v_mul_lo_u32 v22, v7, s16
	v_mul_lo_u32 v23, v6, s17
	v_mad_u64_u32 v[20:21], s[2:3], v6, s16, 0
	v_add3_u32 v21, v21, v23, v22
	v_lshlrev_b64 v[22:23], 3, v[20:21]
	v_mov_b32_e32 v24, s19
	v_add_co_u32_e32 v22, vcc, s18, v22
	v_addc_co_u32_e32 v23, vcc, v24, v23, vcc
	v_lshlrev_b64 v[24:25], 3, v[18:19]
	v_mov_b32_e32 v38, s19
	v_add_co_u32_e32 v24, vcc, s18, v24
	v_addc_co_u32_e32 v25, vcc, v38, v25, vcc
	s_mov_b64 s[34:35], 0
	s_mov_b64 s[42:43], s[16:17]
                                        ; implicit-def: $sgpr28_sgpr29
                                        ; implicit-def: $sgpr30_sgpr31
                                        ; implicit-def: $sgpr38_sgpr39
                                        ; implicit-def: $sgpr36_sgpr37
                                        ; implicit-def: $sgpr40_sgpr41
                                        ; implicit-def: $sgpr44_sgpr45
	s_branch .LBB507_17
.LBB507_16:                             ;   in Loop: Header=BB507_17 Depth=1
	s_or_b64 exec, exec, s[46:47]
	s_and_b64 s[4:5], exec, s[38:39]
	s_or_b64 s[34:35], s[4:5], s[34:35]
	s_andn2_b64 s[4:5], s[44:45], exec
	s_and_b64 s[44:45], s[40:41], exec
	s_or_b64 s[44:45], s[4:5], s[44:45]
	s_andn2_b64 s[4:5], s[30:31], exec
	s_and_b64 s[30:31], s[36:37], exec
	;; [unrolled: 3-line block ×3, first 2 shown]
	s_or_b64 s[28:29], s[4:5], s[2:3]
	s_andn2_b64 exec, exec, s[34:35]
	s_cbranch_execz .LBB507_19
.LBB507_17:                             ; =>This Inner Loop Header: Depth=1
	global_load_dwordx2 v[38:39], v[22:23], off
	global_load_dwordx2 v[40:41], v[24:25], off
	s_andn2_b64 s[40:41], s[40:41], exec
	s_or_b64 s[36:37], s[36:37], exec
	s_or_b64 s[38:39], s[38:39], exec
	s_waitcnt vmcnt(0)
	v_cmp_le_i64_e64 s[2:3], v[38:39], v[40:41]
	v_cmp_lt_i64_e32 vcc, v[38:39], v[40:41]
	s_and_b64 s[2:3], s[2:3], s[44:45]
	v_cmp_eq_u64_e64 s[4:5], v[38:39], v[40:41]
	s_or_b64 s[2:3], vcc, s[2:3]
	s_and_saveexec_b64 s[46:47], s[4:5]
	s_cbranch_execz .LBB507_16
; %bb.18:                               ;   in Loop: Header=BB507_17 Depth=1
	s_add_u32 s42, s42, -1
	s_addc_u32 s43, s43, -1
	v_add_co_u32_e32 v22, vcc, 8, v22
	s_cmp_eq_u64 s[42:43], 0
	v_addc_co_u32_e32 v23, vcc, 0, v23, vcc
	s_cselect_b64 s[4:5], -1, 0
	v_add_co_u32_e32 v24, vcc, 8, v24
	s_andn2_b64 s[40:41], s[40:41], exec
	s_and_b64 s[44:45], s[2:3], exec
	s_andn2_b64 s[38:39], s[38:39], exec
	s_and_b64 s[4:5], s[4:5], exec
	v_addc_co_u32_e32 v25, vcc, 0, v25, vcc
	s_or_b64 s[40:41], s[40:41], s[44:45]
	s_andn2_b64 s[36:37], s[36:37], exec
	s_or_b64 s[38:39], s[38:39], s[4:5]
                                        ; implicit-def: $sgpr44_sgpr45
	s_branch .LBB507_16
.LBB507_19:
	s_or_b64 exec, exec, s[34:35]
	s_and_saveexec_b64 s[2:3], s[30:31]
	s_xor_b64 s[2:3], exec, s[2:3]
	s_cbranch_execz .LBB507_23
; %bb.20:
	s_and_saveexec_b64 s[4:5], s[28:29]
	s_cbranch_execz .LBB507_22
; %bb.21:
	v_mov_b32_e32 v38, v0
	v_mov_b32_e32 v39, v1
	;; [unrolled: 1-line block ×8, first 2 shown]
	v_pk_mov_b32 v[22:23], v[16:17], v[16:17] op_sel:[0,1]
	v_pk_mov_b32 v[0:1], v[38:39], v[38:39] op_sel:[0,1]
	;; [unrolled: 1-line block ×8, first 2 shown]
.LBB507_22:
	s_or_b64 exec, exec, s[4:5]
.LBB507_23:
	s_or_b64 exec, exec, s[2:3]
.LBB507_24:
	v_mul_lo_u32 v22, v11, s16
	v_mul_lo_u32 v23, v10, s17
	v_mad_u64_u32 v[20:21], s[2:3], v10, s16, 0
	s_and_b64 vcc, exec, s[0:1]
	v_add3_u32 v21, v21, v23, v22
	s_cbranch_vccnz .LBB507_34
; %bb.25:
	v_lshlrev_b64 v[22:23], 3, v[18:19]
	v_mov_b32_e32 v24, s19
	v_add_co_u32_e32 v22, vcc, s18, v22
	v_addc_co_u32_e32 v23, vcc, v24, v23, vcc
	v_lshlrev_b64 v[24:25], 3, v[20:21]
	v_mov_b32_e32 v38, s19
	v_add_co_u32_e32 v24, vcc, s18, v24
	v_addc_co_u32_e32 v25, vcc, v38, v25, vcc
	s_mov_b64 s[34:35], 0
	s_mov_b64 s[42:43], s[16:17]
                                        ; implicit-def: $sgpr28_sgpr29
                                        ; implicit-def: $sgpr30_sgpr31
                                        ; implicit-def: $sgpr38_sgpr39
                                        ; implicit-def: $sgpr36_sgpr37
                                        ; implicit-def: $sgpr40_sgpr41
                                        ; implicit-def: $sgpr44_sgpr45
	s_branch .LBB507_27
.LBB507_26:                             ;   in Loop: Header=BB507_27 Depth=1
	s_or_b64 exec, exec, s[46:47]
	s_and_b64 s[4:5], exec, s[38:39]
	s_or_b64 s[34:35], s[4:5], s[34:35]
	s_andn2_b64 s[4:5], s[44:45], exec
	s_and_b64 s[44:45], s[40:41], exec
	s_or_b64 s[44:45], s[4:5], s[44:45]
	s_andn2_b64 s[4:5], s[30:31], exec
	s_and_b64 s[30:31], s[36:37], exec
	;; [unrolled: 3-line block ×3, first 2 shown]
	s_or_b64 s[28:29], s[4:5], s[2:3]
	s_andn2_b64 exec, exec, s[34:35]
	s_cbranch_execz .LBB507_29
.LBB507_27:                             ; =>This Inner Loop Header: Depth=1
	global_load_dwordx2 v[38:39], v[22:23], off
	global_load_dwordx2 v[40:41], v[24:25], off
	s_andn2_b64 s[40:41], s[40:41], exec
	s_or_b64 s[36:37], s[36:37], exec
	s_or_b64 s[38:39], s[38:39], exec
	s_waitcnt vmcnt(0)
	v_cmp_le_i64_e64 s[2:3], v[38:39], v[40:41]
	v_cmp_lt_i64_e32 vcc, v[38:39], v[40:41]
	s_and_b64 s[2:3], s[2:3], s[44:45]
	v_cmp_eq_u64_e64 s[4:5], v[38:39], v[40:41]
	s_or_b64 s[2:3], vcc, s[2:3]
	s_and_saveexec_b64 s[46:47], s[4:5]
	s_cbranch_execz .LBB507_26
; %bb.28:                               ;   in Loop: Header=BB507_27 Depth=1
	s_add_u32 s42, s42, -1
	s_addc_u32 s43, s43, -1
	v_add_co_u32_e32 v22, vcc, 8, v22
	s_cmp_eq_u64 s[42:43], 0
	v_addc_co_u32_e32 v23, vcc, 0, v23, vcc
	s_cselect_b64 s[4:5], -1, 0
	v_add_co_u32_e32 v24, vcc, 8, v24
	s_andn2_b64 s[40:41], s[40:41], exec
	s_and_b64 s[44:45], s[2:3], exec
	s_andn2_b64 s[38:39], s[38:39], exec
	s_and_b64 s[4:5], s[4:5], exec
	v_addc_co_u32_e32 v25, vcc, 0, v25, vcc
	s_or_b64 s[40:41], s[40:41], s[44:45]
	s_andn2_b64 s[36:37], s[36:37], exec
	s_or_b64 s[38:39], s[38:39], s[4:5]
                                        ; implicit-def: $sgpr44_sgpr45
	s_branch .LBB507_26
.LBB507_29:
	s_or_b64 exec, exec, s[34:35]
	s_and_saveexec_b64 s[2:3], s[30:31]
	s_xor_b64 s[2:3], exec, s[2:3]
	s_cbranch_execz .LBB507_33
; %bb.30:
	v_pk_mov_b32 v[22:23], v[10:11], v[10:11] op_sel:[0,1]
	s_and_saveexec_b64 s[4:5], s[28:29]
; %bb.31:
	v_mov_b32_e32 v2, v14
	v_mov_b32_e32 v3, v15
	;; [unrolled: 1-line block ×4, first 2 shown]
	v_pk_mov_b32 v[22:23], v[14:15], v[14:15] op_sel:[0,1]
	v_pk_mov_b32 v[14:15], v[10:11], v[10:11] op_sel:[0,1]
	;; [unrolled: 1-line block ×3, first 2 shown]
; %bb.32:
	s_or_b64 exec, exec, s[4:5]
	v_pk_mov_b32 v[10:11], v[22:23], v[22:23] op_sel:[0,1]
.LBB507_33:
	s_or_b64 exec, exec, s[2:3]
.LBB507_34:
	s_and_b64 vcc, exec, s[0:1]
	s_cbranch_vccnz .LBB507_44
; %bb.35:
	v_lshlrev_b64 v[18:19], 3, v[20:21]
	v_mov_b32_e32 v20, s19
	v_add_co_u32_e32 v18, vcc, s18, v18
	v_addc_co_u32_e32 v19, vcc, v20, v19, vcc
	v_mul_lo_u32 v22, v9, s16
	v_mul_lo_u32 v23, v8, s17
	v_mad_u64_u32 v[20:21], s[2:3], v8, s16, 0
	v_add3_u32 v21, v21, v23, v22
	v_lshlrev_b64 v[20:21], 3, v[20:21]
	v_mov_b32_e32 v22, s19
	v_add_co_u32_e32 v20, vcc, s18, v20
	v_addc_co_u32_e32 v21, vcc, v22, v21, vcc
	s_mov_b64 s[34:35], 0
	s_mov_b64 s[42:43], s[16:17]
                                        ; implicit-def: $sgpr28_sgpr29
                                        ; implicit-def: $sgpr30_sgpr31
                                        ; implicit-def: $sgpr38_sgpr39
                                        ; implicit-def: $sgpr36_sgpr37
                                        ; implicit-def: $sgpr40_sgpr41
                                        ; implicit-def: $sgpr44_sgpr45
	s_branch .LBB507_37
.LBB507_36:                             ;   in Loop: Header=BB507_37 Depth=1
	s_or_b64 exec, exec, s[46:47]
	s_and_b64 s[4:5], exec, s[38:39]
	s_or_b64 s[34:35], s[4:5], s[34:35]
	s_andn2_b64 s[4:5], s[44:45], exec
	s_and_b64 s[44:45], s[40:41], exec
	s_or_b64 s[44:45], s[4:5], s[44:45]
	s_andn2_b64 s[4:5], s[30:31], exec
	s_and_b64 s[30:31], s[36:37], exec
	;; [unrolled: 3-line block ×3, first 2 shown]
	s_or_b64 s[28:29], s[4:5], s[2:3]
	s_andn2_b64 exec, exec, s[34:35]
	s_cbranch_execz .LBB507_39
.LBB507_37:                             ; =>This Inner Loop Header: Depth=1
	global_load_dwordx2 v[22:23], v[18:19], off
	global_load_dwordx2 v[24:25], v[20:21], off
	s_andn2_b64 s[40:41], s[40:41], exec
	s_or_b64 s[36:37], s[36:37], exec
	s_or_b64 s[38:39], s[38:39], exec
	s_waitcnt vmcnt(0)
	v_cmp_le_i64_e64 s[2:3], v[22:23], v[24:25]
	v_cmp_lt_i64_e32 vcc, v[22:23], v[24:25]
	s_and_b64 s[2:3], s[2:3], s[44:45]
	v_cmp_eq_u64_e64 s[4:5], v[22:23], v[24:25]
	s_or_b64 s[2:3], vcc, s[2:3]
	s_and_saveexec_b64 s[46:47], s[4:5]
	s_cbranch_execz .LBB507_36
; %bb.38:                               ;   in Loop: Header=BB507_37 Depth=1
	s_add_u32 s42, s42, -1
	s_addc_u32 s43, s43, -1
	v_add_co_u32_e32 v18, vcc, 8, v18
	s_cmp_eq_u64 s[42:43], 0
	v_addc_co_u32_e32 v19, vcc, 0, v19, vcc
	s_cselect_b64 s[4:5], -1, 0
	v_add_co_u32_e32 v20, vcc, 8, v20
	s_andn2_b64 s[40:41], s[40:41], exec
	s_and_b64 s[44:45], s[2:3], exec
	s_andn2_b64 s[38:39], s[38:39], exec
	s_and_b64 s[4:5], s[4:5], exec
	v_addc_co_u32_e32 v21, vcc, 0, v21, vcc
	s_or_b64 s[40:41], s[40:41], s[44:45]
	s_andn2_b64 s[36:37], s[36:37], exec
	s_or_b64 s[38:39], s[38:39], s[4:5]
                                        ; implicit-def: $sgpr44_sgpr45
	s_branch .LBB507_36
.LBB507_39:
	s_or_b64 exec, exec, s[34:35]
	s_and_saveexec_b64 s[2:3], s[30:31]
	s_xor_b64 s[2:3], exec, s[2:3]
	s_cbranch_execz .LBB507_43
; %bb.40:
	v_pk_mov_b32 v[18:19], v[10:11], v[10:11] op_sel:[0,1]
	s_and_saveexec_b64 s[4:5], s[28:29]
; %bb.41:
	v_mov_b32_e32 v0, v10
	v_mov_b32_e32 v1, v11
	;; [unrolled: 1-line block ×4, first 2 shown]
	v_pk_mov_b32 v[18:19], v[8:9], v[8:9] op_sel:[0,1]
	v_pk_mov_b32 v[8:9], v[10:11], v[10:11] op_sel:[0,1]
; %bb.42:
	s_or_b64 exec, exec, s[4:5]
	v_pk_mov_b32 v[10:11], v[18:19], v[18:19] op_sel:[0,1]
.LBB507_43:
	s_or_b64 exec, exec, s[2:3]
.LBB507_44:
	v_mul_lo_u32 v20, v15, s16
	v_mul_lo_u32 v21, v14, s17
	v_mad_u64_u32 v[18:19], s[2:3], v14, s16, 0
	s_and_b64 vcc, exec, s[0:1]
	v_add3_u32 v19, v19, v21, v20
	s_cbranch_vccnz .LBB507_54
; %bb.45:
	v_mul_lo_u32 v22, v17, s16
	v_mul_lo_u32 v23, v16, s17
	v_mad_u64_u32 v[20:21], s[2:3], v16, s16, 0
	v_add3_u32 v21, v21, v23, v22
	v_lshlrev_b64 v[22:23], 3, v[20:21]
	v_mov_b32_e32 v24, s19
	v_add_co_u32_e32 v22, vcc, s18, v22
	v_addc_co_u32_e32 v23, vcc, v24, v23, vcc
	v_lshlrev_b64 v[24:25], 3, v[18:19]
	v_mov_b32_e32 v38, s19
	v_add_co_u32_e32 v24, vcc, s18, v24
	v_addc_co_u32_e32 v25, vcc, v38, v25, vcc
	s_mov_b64 s[34:35], 0
	s_mov_b64 s[42:43], s[16:17]
                                        ; implicit-def: $sgpr28_sgpr29
                                        ; implicit-def: $sgpr30_sgpr31
                                        ; implicit-def: $sgpr38_sgpr39
                                        ; implicit-def: $sgpr36_sgpr37
                                        ; implicit-def: $sgpr40_sgpr41
                                        ; implicit-def: $sgpr44_sgpr45
	s_branch .LBB507_47
.LBB507_46:                             ;   in Loop: Header=BB507_47 Depth=1
	s_or_b64 exec, exec, s[46:47]
	s_and_b64 s[4:5], exec, s[38:39]
	s_or_b64 s[34:35], s[4:5], s[34:35]
	s_andn2_b64 s[4:5], s[44:45], exec
	s_and_b64 s[44:45], s[40:41], exec
	s_or_b64 s[44:45], s[4:5], s[44:45]
	s_andn2_b64 s[4:5], s[30:31], exec
	s_and_b64 s[30:31], s[36:37], exec
	;; [unrolled: 3-line block ×3, first 2 shown]
	s_or_b64 s[28:29], s[4:5], s[2:3]
	s_andn2_b64 exec, exec, s[34:35]
	s_cbranch_execz .LBB507_49
.LBB507_47:                             ; =>This Inner Loop Header: Depth=1
	global_load_dwordx2 v[38:39], v[22:23], off
	global_load_dwordx2 v[40:41], v[24:25], off
	s_andn2_b64 s[40:41], s[40:41], exec
	s_or_b64 s[36:37], s[36:37], exec
	s_or_b64 s[38:39], s[38:39], exec
	s_waitcnt vmcnt(0)
	v_cmp_le_i64_e64 s[2:3], v[38:39], v[40:41]
	v_cmp_lt_i64_e32 vcc, v[38:39], v[40:41]
	s_and_b64 s[2:3], s[2:3], s[44:45]
	v_cmp_eq_u64_e64 s[4:5], v[38:39], v[40:41]
	s_or_b64 s[2:3], vcc, s[2:3]
	s_and_saveexec_b64 s[46:47], s[4:5]
	s_cbranch_execz .LBB507_46
; %bb.48:                               ;   in Loop: Header=BB507_47 Depth=1
	s_add_u32 s42, s42, -1
	s_addc_u32 s43, s43, -1
	v_add_co_u32_e32 v22, vcc, 8, v22
	s_cmp_eq_u64 s[42:43], 0
	v_addc_co_u32_e32 v23, vcc, 0, v23, vcc
	s_cselect_b64 s[4:5], -1, 0
	v_add_co_u32_e32 v24, vcc, 8, v24
	s_andn2_b64 s[40:41], s[40:41], exec
	s_and_b64 s[44:45], s[2:3], exec
	s_andn2_b64 s[38:39], s[38:39], exec
	s_and_b64 s[4:5], s[4:5], exec
	v_addc_co_u32_e32 v25, vcc, 0, v25, vcc
	s_or_b64 s[40:41], s[40:41], s[44:45]
	s_andn2_b64 s[36:37], s[36:37], exec
	s_or_b64 s[38:39], s[38:39], s[4:5]
                                        ; implicit-def: $sgpr44_sgpr45
	s_branch .LBB507_46
.LBB507_49:
	s_or_b64 exec, exec, s[34:35]
	s_and_saveexec_b64 s[2:3], s[30:31]
	s_xor_b64 s[2:3], exec, s[2:3]
	s_cbranch_execz .LBB507_53
; %bb.50:
	s_and_saveexec_b64 s[4:5], s[28:29]
; %bb.51:
	v_mov_b32_e32 v4, v16
	v_mov_b32_e32 v5, v17
	;; [unrolled: 1-line block ×4, first 2 shown]
	v_pk_mov_b32 v[14:15], v[16:17], v[16:17] op_sel:[0,1]
	v_pk_mov_b32 v[18:19], v[20:21], v[20:21] op_sel:[0,1]
; %bb.52:
	s_or_b64 exec, exec, s[4:5]
.LBB507_53:
	s_or_b64 exec, exec, s[2:3]
.LBB507_54:
	s_and_b64 vcc, exec, s[0:1]
	s_cbranch_vccnz .LBB507_62
; %bb.55:
	v_lshlrev_b64 v[16:17], 3, v[18:19]
	v_mov_b32_e32 v18, s19
	v_add_co_u32_e32 v16, vcc, s18, v16
	v_addc_co_u32_e32 v17, vcc, v18, v17, vcc
	v_mul_lo_u32 v20, v11, s16
	v_mul_lo_u32 v21, v10, s17
	v_mad_u64_u32 v[18:19], s[0:1], v10, s16, 0
	v_add3_u32 v19, v19, v21, v20
	v_lshlrev_b64 v[18:19], 3, v[18:19]
	v_mov_b32_e32 v20, s19
	v_add_co_u32_e32 v18, vcc, s18, v18
	v_addc_co_u32_e32 v19, vcc, v20, v19, vcc
	s_mov_b64 s[28:29], 0
	s_mov_b64 s[40:41], s[16:17]
                                        ; implicit-def: $sgpr4_sgpr5
                                        ; implicit-def: $sgpr30_sgpr31
                                        ; implicit-def: $sgpr36_sgpr37
                                        ; implicit-def: $sgpr34_sgpr35
                                        ; implicit-def: $sgpr38_sgpr39
                                        ; implicit-def: $sgpr42_sgpr43
	s_branch .LBB507_57
.LBB507_56:                             ;   in Loop: Header=BB507_57 Depth=1
	s_or_b64 exec, exec, s[44:45]
	s_and_b64 s[2:3], exec, s[36:37]
	s_or_b64 s[28:29], s[2:3], s[28:29]
	s_andn2_b64 s[2:3], s[42:43], exec
	s_and_b64 s[42:43], s[38:39], exec
	s_or_b64 s[42:43], s[2:3], s[42:43]
	s_andn2_b64 s[2:3], s[30:31], exec
	s_and_b64 s[30:31], s[34:35], exec
	;; [unrolled: 3-line block ×3, first 2 shown]
	s_or_b64 s[4:5], s[2:3], s[0:1]
	s_andn2_b64 exec, exec, s[28:29]
	s_cbranch_execz .LBB507_59
.LBB507_57:                             ; =>This Inner Loop Header: Depth=1
	global_load_dwordx2 v[20:21], v[16:17], off
	global_load_dwordx2 v[22:23], v[18:19], off
	s_andn2_b64 s[38:39], s[38:39], exec
	s_or_b64 s[34:35], s[34:35], exec
	s_or_b64 s[36:37], s[36:37], exec
	s_waitcnt vmcnt(0)
	v_cmp_le_i64_e64 s[0:1], v[20:21], v[22:23]
	v_cmp_lt_i64_e32 vcc, v[20:21], v[22:23]
	s_and_b64 s[0:1], s[0:1], s[42:43]
	v_cmp_eq_u64_e64 s[2:3], v[20:21], v[22:23]
	s_or_b64 s[0:1], vcc, s[0:1]
	s_and_saveexec_b64 s[44:45], s[2:3]
	s_cbranch_execz .LBB507_56
; %bb.58:                               ;   in Loop: Header=BB507_57 Depth=1
	s_add_u32 s40, s40, -1
	s_addc_u32 s41, s41, -1
	v_add_co_u32_e32 v16, vcc, 8, v16
	s_cmp_eq_u64 s[40:41], 0
	v_addc_co_u32_e32 v17, vcc, 0, v17, vcc
	s_cselect_b64 s[2:3], -1, 0
	v_add_co_u32_e32 v18, vcc, 8, v18
	s_andn2_b64 s[38:39], s[38:39], exec
	s_and_b64 s[42:43], s[0:1], exec
	s_andn2_b64 s[36:37], s[36:37], exec
	s_and_b64 s[2:3], s[2:3], exec
	v_addc_co_u32_e32 v19, vcc, 0, v19, vcc
	s_or_b64 s[38:39], s[38:39], s[42:43]
	s_andn2_b64 s[34:35], s[34:35], exec
	s_or_b64 s[36:37], s[36:37], s[2:3]
                                        ; implicit-def: $sgpr42_sgpr43
	s_branch .LBB507_56
.LBB507_59:
	s_or_b64 exec, exec, s[28:29]
	s_and_saveexec_b64 s[0:1], s[30:31]
	s_xor_b64 s[0:1], exec, s[0:1]
; %bb.60:
	v_cndmask_b32_e64 v5, v5, v11, s[4:5]
	v_cndmask_b32_e64 v4, v4, v10, s[4:5]
	;; [unrolled: 1-line block ×4, first 2 shown]
; %bb.61:
	s_or_b64 exec, exec, s[0:1]
.LBB507_62:
	s_or_b64 exec, exec, s[26:27]
	v_mbcnt_lo_u32_b32 v10, -1, 0
	v_and_b32_e32 v11, 0xffffff00, v37
	v_mbcnt_hi_u32_b32 v10, -1, v10
	s_movk_i32 s0, 0x400
	v_lshlrev_b32_e32 v16, 3, v11
	v_sub_u32_e64 v17, s0, v11 clamp
	v_lshlrev_b32_e32 v18, 2, v10
	v_lshl_add_u32 v19, v10, 5, v16
	v_mov_b32_e32 v10, v2
	v_mov_b32_e32 v11, v3
	ds_write_b128 v19, v[8:11]
	ds_write_b128 v19, v[4:7] offset:16
	v_or_b32_e32 v8, 4, v18
	v_min_u32_e32 v14, v17, v8
	v_add_u32_e32 v8, 4, v14
	v_and_b32_e32 v22, 0x1f8, v18
	v_min_u32_e32 v15, v17, v8
	v_and_b32_e32 v8, 4, v18
	v_min_u32_e32 v23, v17, v8
	v_sub_u32_e32 v8, v14, v22
	v_sub_u32_e32 v9, v15, v14
	v_sub_u32_e64 v21, v23, v9 clamp
	v_min_u32_e32 v24, v23, v8
	v_lshl_add_u32 v20, v22, 3, v16
	v_cmp_lt_u32_e32 vcc, v21, v24
	; wave barrier
	s_and_saveexec_b64 s[26:27], vcc
	s_cbranch_execz .LBB507_72
; %bb.63:
	v_lshlrev_b32_e32 v8, 3, v14
	v_lshlrev_b32_e32 v9, 3, v23
	v_add3_u32 v25, v16, v8, v9
	v_cndmask_b32_e64 v8, 0, 1, s[24:25]
	s_lshl_b64 s[30:31], s[16:17], 3
	s_mov_b64 s[28:29], 0
	v_cmp_ne_u32_e64 s[0:1], 1, v8
	s_branch .LBB507_66
.LBB507_64:                             ;   in Loop: Header=BB507_66 Depth=1
	s_or_b64 exec, exec, s[36:37]
.LBB507_65:                             ;   in Loop: Header=BB507_66 Depth=1
	v_add_u32_e32 v8, 1, v37
	v_cndmask_b32_e64 v24, v24, v37, s[34:35]
	v_cndmask_b32_e64 v21, v8, v21, s[34:35]
	v_cmp_ge_u32_e32 vcc, v21, v24
	s_or_b64 s[28:29], vcc, s[28:29]
	s_andn2_b64 exec, exec, s[28:29]
	s_cbranch_execz .LBB507_71
.LBB507_66:                             ; =>This Loop Header: Depth=1
                                        ;     Child Loop BB507_69 Depth 2
	v_add_u32_e32 v8, v24, v21
	v_lshrrev_b32_e32 v37, 1, v8
	s_and_b64 vcc, exec, s[0:1]
	s_mov_b64 s[34:35], 0
	s_cbranch_vccnz .LBB507_65
; %bb.67:                               ;   in Loop: Header=BB507_66 Depth=1
	v_not_b32_e32 v8, v37
	v_lshl_add_u32 v8, v8, 3, v25
	ds_read_b64 v[8:9], v8
	v_lshl_add_u32 v38, v37, 3, v20
	ds_read_b64 v[38:39], v38
	v_pk_mov_b32 v[10:11], s[18:19], s[18:19] op_sel:[0,1]
	s_mov_b64 s[36:37], 0
	s_waitcnt lgkmcnt(1)
	v_mul_lo_u32 v40, s30, v9
	v_mul_lo_u32 v41, s31, v8
	v_mad_u64_u32 v[8:9], s[2:3], s30, v8, v[10:11]
	v_add3_u32 v9, v41, v9, v40
	s_waitcnt lgkmcnt(0)
	v_mul_lo_u32 v39, s30, v39
	v_mul_lo_u32 v40, s31, v38
	v_mad_u64_u32 v[10:11], s[2:3], s30, v38, v[10:11]
	v_add3_u32 v11, v40, v11, v39
	s_mov_b64 s[42:43], s[16:17]
                                        ; implicit-def: $sgpr34_sgpr35
                                        ; implicit-def: $sgpr38_sgpr39
                                        ; implicit-def: $sgpr40_sgpr41
                                        ; implicit-def: $sgpr2_sgpr3
                                        ; implicit-def: $sgpr44_sgpr45
	s_branch .LBB507_69
.LBB507_68:                             ;   in Loop: Header=BB507_69 Depth=2
	s_or_b64 exec, exec, s[46:47]
	s_and_b64 s[4:5], exec, s[38:39]
	s_or_b64 s[36:37], s[4:5], s[36:37]
	s_andn2_b64 s[4:5], s[44:45], exec
	s_and_b64 s[44:45], s[40:41], exec
	s_or_b64 s[44:45], s[4:5], s[44:45]
	s_andn2_b64 s[4:5], s[34:35], exec
	s_and_b64 s[34:35], s[2:3], exec
	s_or_b64 s[34:35], s[4:5], s[34:35]
	s_andn2_b64 exec, exec, s[36:37]
	s_cbranch_execz .LBB507_64
.LBB507_69:                             ;   Parent Loop BB507_66 Depth=1
                                        ; =>  This Inner Loop Header: Depth=2
	global_load_dwordx2 v[38:39], v[8:9], off
	global_load_dwordx2 v[40:41], v[10:11], off
	s_andn2_b64 s[46:47], s[2:3], exec
	s_andn2_b64 s[40:41], s[40:41], exec
	s_or_b64 s[38:39], s[38:39], exec
	s_waitcnt vmcnt(0)
	v_cmp_le_i64_e64 s[2:3], v[38:39], v[40:41]
	v_cmp_lt_i64_e32 vcc, v[38:39], v[40:41]
	s_and_b64 s[2:3], s[2:3], s[44:45]
	s_or_b64 s[48:49], vcc, s[2:3]
	s_and_b64 s[2:3], s[48:49], exec
	v_cmp_eq_u64_e64 s[4:5], v[38:39], v[40:41]
	s_or_b64 s[2:3], s[46:47], s[2:3]
	s_and_saveexec_b64 s[46:47], s[4:5]
	s_cbranch_execz .LBB507_68
; %bb.70:                               ;   in Loop: Header=BB507_69 Depth=2
	s_add_u32 s42, s42, -1
	s_addc_u32 s43, s43, -1
	v_add_co_u32_e32 v8, vcc, 8, v8
	s_cmp_eq_u64 s[42:43], 0
	v_addc_co_u32_e32 v9, vcc, 0, v9, vcc
	s_cselect_b64 s[4:5], -1, 0
	v_add_co_u32_e32 v10, vcc, 8, v10
	s_andn2_b64 s[40:41], s[40:41], exec
	s_and_b64 s[44:45], s[48:49], exec
	s_andn2_b64 s[38:39], s[38:39], exec
	s_and_b64 s[4:5], s[4:5], exec
	v_addc_co_u32_e32 v11, vcc, 0, v11, vcc
	s_andn2_b64 s[2:3], s[2:3], exec
	s_or_b64 s[40:41], s[40:41], s[44:45]
	s_or_b64 s[38:39], s[38:39], s[4:5]
                                        ; implicit-def: $sgpr44_sgpr45
	s_branch .LBB507_68
.LBB507_71:
	s_or_b64 exec, exec, s[28:29]
.LBB507_72:
	s_or_b64 exec, exec, s[26:27]
	v_add_u32_e32 v9, v14, v23
	v_add_u32_e32 v8, v21, v22
	v_sub_u32_e32 v9, v9, v21
	v_cmp_le_u32_e32 vcc, v8, v14
	v_cmp_le_u32_e64 s[0:1], v9, v15
	s_or_b64 s[0:1], vcc, s[0:1]
	s_and_saveexec_b64 s[4:5], s[0:1]
	s_cbranch_execz .LBB507_119
; %bb.73:
	v_cmp_ge_u32_e32 vcc, v8, v14
	v_cmp_lt_u32_e64 s[0:1], v8, v14
                                        ; implicit-def: $vgpr0_vgpr1
	s_and_saveexec_b64 s[2:3], s[0:1]
	s_cbranch_execz .LBB507_75
; %bb.74:
	v_lshl_add_u32 v0, v21, 3, v20
	ds_read_b64 v[0:1], v0
.LBB507_75:
	s_or_b64 exec, exec, s[2:3]
	v_cmp_ge_u32_e64 s[26:27], v9, v15
	v_cmp_lt_u32_e64 s[0:1], v9, v15
                                        ; implicit-def: $vgpr2_vgpr3
	s_and_saveexec_b64 s[2:3], s[0:1]
	s_cbranch_execz .LBB507_77
; %bb.76:
	v_lshl_add_u32 v2, v9, 3, v16
	ds_read_b64 v[2:3], v2
.LBB507_77:
	s_or_b64 exec, exec, s[2:3]
	s_or_b64 s[0:1], vcc, s[26:27]
	s_mov_b64 s[28:29], -1
	s_xor_b64 s[0:1], s[0:1], -1
	s_and_saveexec_b64 s[30:31], s[0:1]
	s_cbranch_execz .LBB507_86
; %bb.78:
	s_andn2_b64 vcc, exec, s[24:25]
	s_cbranch_vccnz .LBB507_84
; %bb.79:
	s_waitcnt lgkmcnt(0)
	v_mul_lo_u32 v6, v3, s16
	v_mul_lo_u32 v7, v2, s17
	v_mad_u64_u32 v[4:5], s[0:1], v2, s16, 0
	v_add3_u32 v5, v5, v7, v6
	v_lshlrev_b64 v[4:5], 3, v[4:5]
	v_mov_b32_e32 v6, s19
	v_add_co_u32_e32 v4, vcc, s18, v4
	v_addc_co_u32_e32 v5, vcc, v6, v5, vcc
	v_mul_lo_u32 v10, v1, s16
	v_mul_lo_u32 v11, v0, s17
	v_mad_u64_u32 v[6:7], s[0:1], v0, s16, 0
	v_add3_u32 v7, v7, v11, v10
	v_lshlrev_b64 v[6:7], 3, v[6:7]
	v_mov_b32_e32 v10, s19
	v_add_co_u32_e32 v6, vcc, s18, v6
	v_addc_co_u32_e32 v7, vcc, v10, v7, vcc
	s_mov_b64 s[34:35], 0
	s_mov_b64 s[42:43], s[16:17]
                                        ; implicit-def: $sgpr36_sgpr37
                                        ; implicit-def: $sgpr38_sgpr39
                                        ; implicit-def: $sgpr0_sgpr1
                                        ; implicit-def: $sgpr40_sgpr41
                                        ; implicit-def: $sgpr44_sgpr45
	s_branch .LBB507_81
.LBB507_80:                             ;   in Loop: Header=BB507_81 Depth=1
	s_or_b64 exec, exec, s[46:47]
	s_and_b64 s[2:3], exec, s[38:39]
	s_or_b64 s[34:35], s[2:3], s[34:35]
	s_andn2_b64 s[2:3], s[44:45], exec
	s_and_b64 s[44:45], s[40:41], exec
	s_or_b64 s[44:45], s[2:3], s[44:45]
	s_andn2_b64 s[2:3], s[36:37], exec
	s_and_b64 s[36:37], s[0:1], exec
	s_or_b64 s[36:37], s[2:3], s[36:37]
	s_andn2_b64 exec, exec, s[34:35]
	s_cbranch_execz .LBB507_83
.LBB507_81:                             ; =>This Inner Loop Header: Depth=1
	global_load_dwordx2 v[10:11], v[4:5], off
	global_load_dwordx2 v[20:21], v[6:7], off
	s_andn2_b64 s[46:47], s[0:1], exec
	s_andn2_b64 s[40:41], s[40:41], exec
	s_or_b64 s[38:39], s[38:39], exec
	s_waitcnt vmcnt(0)
	v_cmp_le_i64_e64 s[0:1], v[10:11], v[20:21]
	v_cmp_lt_i64_e32 vcc, v[10:11], v[20:21]
	s_and_b64 s[0:1], s[0:1], s[44:45]
	s_or_b64 s[48:49], vcc, s[0:1]
	s_and_b64 s[0:1], s[48:49], exec
	v_cmp_eq_u64_e64 s[2:3], v[10:11], v[20:21]
	s_or_b64 s[0:1], s[46:47], s[0:1]
	s_and_saveexec_b64 s[46:47], s[2:3]
	s_cbranch_execz .LBB507_80
; %bb.82:                               ;   in Loop: Header=BB507_81 Depth=1
	s_add_u32 s42, s42, -1
	s_addc_u32 s43, s43, -1
	v_add_co_u32_e32 v4, vcc, 8, v4
	s_cmp_eq_u64 s[42:43], 0
	v_addc_co_u32_e32 v5, vcc, 0, v5, vcc
	s_cselect_b64 s[2:3], -1, 0
	v_add_co_u32_e32 v6, vcc, 8, v6
	s_andn2_b64 s[40:41], s[40:41], exec
	s_and_b64 s[44:45], s[48:49], exec
	s_andn2_b64 s[38:39], s[38:39], exec
	s_and_b64 s[2:3], s[2:3], exec
	v_addc_co_u32_e32 v7, vcc, 0, v7, vcc
	s_or_b64 s[40:41], s[40:41], s[44:45]
	s_andn2_b64 s[0:1], s[0:1], exec
	s_or_b64 s[38:39], s[38:39], s[2:3]
                                        ; implicit-def: $sgpr44_sgpr45
	s_branch .LBB507_80
.LBB507_83:
	s_or_b64 exec, exec, s[34:35]
	s_xor_b64 s[0:1], s[36:37], -1
	s_branch .LBB507_85
.LBB507_84:
	s_mov_b64 s[0:1], -1
.LBB507_85:
	s_andn2_b64 s[2:3], s[26:27], exec
	s_and_b64 s[0:1], s[0:1], exec
	s_or_b64 s[26:27], s[2:3], s[0:1]
.LBB507_86:
	s_or_b64 exec, exec, s[30:31]
	v_cndmask_b32_e64 v4, v9, v8, s[26:27]
	v_cndmask_b32_e64 v5, v15, v14, s[26:27]
	v_add_u32_e32 v6, 1, v4
	v_add_u32_e32 v4, -1, v5
	v_min_u32_e32 v4, v6, v4
	v_lshl_add_u32 v4, v4, 3, v16
	ds_read_b64 v[4:5], v4
	v_cndmask_b32_e64 v9, v6, v9, s[26:27]
	v_cndmask_b32_e64 v8, v8, v6, s[26:27]
	v_cmp_lt_u32_e32 vcc, v9, v15
	s_waitcnt lgkmcnt(0)
	v_cndmask_b32_e64 v20, v5, v3, s[26:27]
	v_cndmask_b32_e64 v21, v4, v2, s[26:27]
	;; [unrolled: 1-line block ×4, first 2 shown]
	s_and_saveexec_b64 s[30:31], vcc
	s_cbranch_execz .LBB507_97
; %bb.87:
	v_cmp_lt_u32_e32 vcc, v8, v14
	s_mov_b64 s[0:1], 0
	s_and_saveexec_b64 s[28:29], vcc
	s_cbranch_execz .LBB507_96
; %bb.88:
	s_andn2_b64 vcc, exec, s[24:25]
	s_cbranch_vccnz .LBB507_94
; %bb.89:
	v_mul_lo_u32 v6, v20, s16
	v_mul_lo_u32 v7, v21, s17
	v_mad_u64_u32 v[4:5], s[0:1], v21, s16, 0
	v_add3_u32 v5, v5, v7, v6
	v_lshlrev_b64 v[4:5], 3, v[4:5]
	v_mov_b32_e32 v6, s19
	v_add_co_u32_e32 v4, vcc, s18, v4
	v_addc_co_u32_e32 v5, vcc, v6, v5, vcc
	v_mul_lo_u32 v10, v22, s16
	v_mul_lo_u32 v11, v23, s17
	v_mad_u64_u32 v[6:7], s[0:1], v23, s16, 0
	v_add3_u32 v7, v7, v11, v10
	v_lshlrev_b64 v[6:7], 3, v[6:7]
	v_mov_b32_e32 v10, s19
	v_add_co_u32_e32 v6, vcc, s18, v6
	v_addc_co_u32_e32 v7, vcc, v10, v7, vcc
	s_mov_b64 s[34:35], 0
	s_mov_b64 s[42:43], s[16:17]
                                        ; implicit-def: $sgpr36_sgpr37
                                        ; implicit-def: $sgpr38_sgpr39
                                        ; implicit-def: $sgpr0_sgpr1
                                        ; implicit-def: $sgpr40_sgpr41
                                        ; implicit-def: $sgpr44_sgpr45
	s_branch .LBB507_91
.LBB507_90:                             ;   in Loop: Header=BB507_91 Depth=1
	s_or_b64 exec, exec, s[46:47]
	s_and_b64 s[2:3], exec, s[38:39]
	s_or_b64 s[34:35], s[2:3], s[34:35]
	s_andn2_b64 s[2:3], s[44:45], exec
	s_and_b64 s[44:45], s[40:41], exec
	s_or_b64 s[44:45], s[2:3], s[44:45]
	s_andn2_b64 s[2:3], s[36:37], exec
	s_and_b64 s[36:37], s[0:1], exec
	s_or_b64 s[36:37], s[2:3], s[36:37]
	s_andn2_b64 exec, exec, s[34:35]
	s_cbranch_execz .LBB507_93
.LBB507_91:                             ; =>This Inner Loop Header: Depth=1
	global_load_dwordx2 v[10:11], v[4:5], off
	global_load_dwordx2 v[24:25], v[6:7], off
	s_andn2_b64 s[46:47], s[0:1], exec
	s_andn2_b64 s[40:41], s[40:41], exec
	s_or_b64 s[38:39], s[38:39], exec
	s_waitcnt vmcnt(0)
	v_cmp_le_i64_e64 s[0:1], v[10:11], v[24:25]
	v_cmp_lt_i64_e32 vcc, v[10:11], v[24:25]
	s_and_b64 s[0:1], s[0:1], s[44:45]
	s_or_b64 s[48:49], vcc, s[0:1]
	s_and_b64 s[0:1], s[48:49], exec
	v_cmp_eq_u64_e64 s[2:3], v[10:11], v[24:25]
	s_or_b64 s[0:1], s[46:47], s[0:1]
	s_and_saveexec_b64 s[46:47], s[2:3]
	s_cbranch_execz .LBB507_90
; %bb.92:                               ;   in Loop: Header=BB507_91 Depth=1
	s_add_u32 s42, s42, -1
	s_addc_u32 s43, s43, -1
	v_add_co_u32_e32 v4, vcc, 8, v4
	s_cmp_eq_u64 s[42:43], 0
	v_addc_co_u32_e32 v5, vcc, 0, v5, vcc
	s_cselect_b64 s[2:3], -1, 0
	v_add_co_u32_e32 v6, vcc, 8, v6
	s_andn2_b64 s[40:41], s[40:41], exec
	s_and_b64 s[44:45], s[48:49], exec
	s_andn2_b64 s[38:39], s[38:39], exec
	s_and_b64 s[2:3], s[2:3], exec
	v_addc_co_u32_e32 v7, vcc, 0, v7, vcc
	s_or_b64 s[40:41], s[40:41], s[44:45]
	s_andn2_b64 s[0:1], s[0:1], exec
	s_or_b64 s[38:39], s[38:39], s[2:3]
                                        ; implicit-def: $sgpr44_sgpr45
	s_branch .LBB507_90
.LBB507_93:
	s_or_b64 exec, exec, s[34:35]
	s_xor_b64 s[0:1], s[36:37], -1
	s_branch .LBB507_95
.LBB507_94:
	s_mov_b64 s[0:1], -1
.LBB507_95:
	s_and_b64 s[0:1], s[0:1], exec
.LBB507_96:
	s_or_b64 exec, exec, s[28:29]
	s_orn2_b64 s[28:29], s[0:1], exec
.LBB507_97:
	s_or_b64 exec, exec, s[30:31]
	v_cndmask_b32_e64 v4, v9, v8, s[28:29]
	v_cndmask_b32_e64 v5, v15, v14, s[28:29]
	v_add_u32_e32 v6, 1, v4
	v_add_u32_e32 v4, -1, v5
	v_min_u32_e32 v4, v6, v4
	v_lshl_add_u32 v4, v4, 3, v16
	ds_read_b64 v[4:5], v4
	v_cndmask_b32_e64 v9, v6, v9, s[28:29]
	v_cndmask_b32_e64 v8, v8, v6, s[28:29]
	v_cmp_lt_u32_e32 vcc, v9, v15
	s_mov_b64 s[30:31], -1
	s_waitcnt lgkmcnt(0)
	v_cndmask_b32_e64 v24, v5, v20, s[28:29]
	v_cndmask_b32_e64 v25, v4, v21, s[28:29]
	;; [unrolled: 1-line block ×4, first 2 shown]
	s_and_saveexec_b64 s[34:35], vcc
	s_cbranch_execz .LBB507_108
; %bb.98:
	v_cmp_lt_u32_e32 vcc, v8, v14
	s_mov_b64 s[0:1], 0
	s_and_saveexec_b64 s[30:31], vcc
	s_cbranch_execz .LBB507_107
; %bb.99:
	s_andn2_b64 vcc, exec, s[24:25]
	s_cbranch_vccnz .LBB507_105
; %bb.100:
	v_mul_lo_u32 v6, v24, s16
	v_mul_lo_u32 v7, v25, s17
	v_mad_u64_u32 v[4:5], s[0:1], v25, s16, 0
	v_add3_u32 v5, v5, v7, v6
	v_lshlrev_b64 v[4:5], 3, v[4:5]
	v_mov_b32_e32 v6, s19
	v_add_co_u32_e32 v4, vcc, s18, v4
	v_addc_co_u32_e32 v5, vcc, v6, v5, vcc
	v_mul_lo_u32 v10, v37, s16
	v_mul_lo_u32 v11, v38, s17
	v_mad_u64_u32 v[6:7], s[0:1], v38, s16, 0
	v_add3_u32 v7, v7, v11, v10
	v_lshlrev_b64 v[6:7], 3, v[6:7]
	v_mov_b32_e32 v10, s19
	v_add_co_u32_e32 v6, vcc, s18, v6
	v_addc_co_u32_e32 v7, vcc, v10, v7, vcc
	s_mov_b64 s[36:37], 0
	s_mov_b64 s[44:45], s[16:17]
                                        ; implicit-def: $sgpr38_sgpr39
                                        ; implicit-def: $sgpr40_sgpr41
                                        ; implicit-def: $sgpr0_sgpr1
                                        ; implicit-def: $sgpr42_sgpr43
                                        ; implicit-def: $sgpr46_sgpr47
	s_branch .LBB507_102
.LBB507_101:                            ;   in Loop: Header=BB507_102 Depth=1
	s_or_b64 exec, exec, s[48:49]
	s_and_b64 s[2:3], exec, s[40:41]
	s_or_b64 s[36:37], s[2:3], s[36:37]
	s_andn2_b64 s[2:3], s[46:47], exec
	s_and_b64 s[46:47], s[42:43], exec
	s_or_b64 s[46:47], s[2:3], s[46:47]
	s_andn2_b64 s[2:3], s[38:39], exec
	s_and_b64 s[38:39], s[0:1], exec
	s_or_b64 s[38:39], s[2:3], s[38:39]
	s_andn2_b64 exec, exec, s[36:37]
	s_cbranch_execz .LBB507_104
.LBB507_102:                            ; =>This Inner Loop Header: Depth=1
	global_load_dwordx2 v[10:11], v[4:5], off
	global_load_dwordx2 v[40:41], v[6:7], off
	s_andn2_b64 s[48:49], s[0:1], exec
	s_andn2_b64 s[42:43], s[42:43], exec
	s_or_b64 s[40:41], s[40:41], exec
	s_waitcnt vmcnt(0)
	v_cmp_le_i64_e64 s[0:1], v[10:11], v[40:41]
	v_cmp_lt_i64_e32 vcc, v[10:11], v[40:41]
	s_and_b64 s[0:1], s[0:1], s[46:47]
	s_or_b64 s[50:51], vcc, s[0:1]
	s_and_b64 s[0:1], s[50:51], exec
	v_cmp_eq_u64_e64 s[2:3], v[10:11], v[40:41]
	s_or_b64 s[0:1], s[48:49], s[0:1]
	s_and_saveexec_b64 s[48:49], s[2:3]
	s_cbranch_execz .LBB507_101
; %bb.103:                              ;   in Loop: Header=BB507_102 Depth=1
	s_add_u32 s44, s44, -1
	s_addc_u32 s45, s45, -1
	v_add_co_u32_e32 v4, vcc, 8, v4
	s_cmp_eq_u64 s[44:45], 0
	v_addc_co_u32_e32 v5, vcc, 0, v5, vcc
	s_cselect_b64 s[2:3], -1, 0
	v_add_co_u32_e32 v6, vcc, 8, v6
	s_andn2_b64 s[42:43], s[42:43], exec
	s_and_b64 s[46:47], s[50:51], exec
	s_andn2_b64 s[40:41], s[40:41], exec
	s_and_b64 s[2:3], s[2:3], exec
	v_addc_co_u32_e32 v7, vcc, 0, v7, vcc
	s_or_b64 s[42:43], s[42:43], s[46:47]
	s_andn2_b64 s[0:1], s[0:1], exec
	s_or_b64 s[40:41], s[40:41], s[2:3]
                                        ; implicit-def: $sgpr46_sgpr47
	s_branch .LBB507_101
.LBB507_104:
	s_or_b64 exec, exec, s[36:37]
	s_xor_b64 s[0:1], s[38:39], -1
	s_branch .LBB507_106
.LBB507_105:
	s_mov_b64 s[0:1], -1
.LBB507_106:
	s_and_b64 s[0:1], s[0:1], exec
.LBB507_107:
	s_or_b64 exec, exec, s[30:31]
	s_orn2_b64 s[30:31], s[0:1], exec
.LBB507_108:
	s_or_b64 exec, exec, s[34:35]
	v_cndmask_b32_e64 v4, v9, v8, s[30:31]
	v_cndmask_b32_e64 v5, v15, v14, s[30:31]
	v_add_u32_e32 v10, 1, v4
	v_add_u32_e32 v4, -1, v5
	v_min_u32_e32 v4, v10, v4
	v_lshl_add_u32 v4, v4, 3, v16
	ds_read_b64 v[4:5], v4
	v_cndmask_b32_e64 v9, v10, v9, s[30:31]
	v_cmp_lt_u32_e32 vcc, v9, v15
	s_waitcnt lgkmcnt(0)
	v_cndmask_b32_e64 v7, v37, v5, s[30:31]
	v_cndmask_b32_e64 v6, v38, v4, s[30:31]
	s_and_saveexec_b64 s[34:35], vcc
	s_cbranch_execz .LBB507_118
; %bb.109:
	v_cndmask_b32_e64 v8, v8, v10, s[30:31]
	v_cndmask_b32_e64 v5, v5, v24, s[30:31]
	;; [unrolled: 1-line block ×3, first 2 shown]
	v_cmp_lt_u32_e32 vcc, v8, v14
	s_and_saveexec_b64 s[36:37], vcc
	s_cbranch_execz .LBB507_117
; %bb.110:
	s_andn2_b64 vcc, exec, s[24:25]
	s_cbranch_vccnz .LBB507_116
; %bb.111:
	v_mul_lo_u32 v10, v5, s16
	v_mul_lo_u32 v11, v4, s17
	v_mad_u64_u32 v[8:9], s[0:1], v4, s16, 0
	v_add3_u32 v9, v9, v11, v10
	v_lshlrev_b64 v[8:9], 3, v[8:9]
	v_mov_b32_e32 v10, s19
	v_add_co_u32_e32 v8, vcc, s18, v8
	v_addc_co_u32_e32 v9, vcc, v10, v9, vcc
	v_mul_lo_u32 v14, v7, s16
	v_mul_lo_u32 v15, v6, s17
	v_mad_u64_u32 v[10:11], s[0:1], v6, s16, 0
	v_add3_u32 v11, v11, v15, v14
	v_lshlrev_b64 v[10:11], 3, v[10:11]
	v_mov_b32_e32 v14, s19
	v_add_co_u32_e32 v10, vcc, s18, v10
	v_addc_co_u32_e32 v11, vcc, v14, v11, vcc
	s_mov_b64 s[38:39], 0
	s_mov_b64 s[46:47], s[16:17]
                                        ; implicit-def: $sgpr40_sgpr41
                                        ; implicit-def: $sgpr42_sgpr43
                                        ; implicit-def: $sgpr0_sgpr1
                                        ; implicit-def: $sgpr44_sgpr45
                                        ; implicit-def: $sgpr48_sgpr49
	s_branch .LBB507_113
.LBB507_112:                            ;   in Loop: Header=BB507_113 Depth=1
	s_or_b64 exec, exec, s[50:51]
	s_and_b64 s[2:3], exec, s[42:43]
	s_or_b64 s[38:39], s[2:3], s[38:39]
	s_andn2_b64 s[2:3], s[48:49], exec
	s_and_b64 s[48:49], s[44:45], exec
	s_or_b64 s[48:49], s[2:3], s[48:49]
	s_andn2_b64 s[2:3], s[40:41], exec
	s_and_b64 s[40:41], s[0:1], exec
	s_or_b64 s[40:41], s[2:3], s[40:41]
	s_andn2_b64 exec, exec, s[38:39]
	s_cbranch_execz .LBB507_115
.LBB507_113:                            ; =>This Inner Loop Header: Depth=1
	global_load_dwordx2 v[14:15], v[8:9], off
	global_load_dwordx2 v[40:41], v[10:11], off
	s_andn2_b64 s[50:51], s[0:1], exec
	s_andn2_b64 s[44:45], s[44:45], exec
	s_or_b64 s[42:43], s[42:43], exec
	s_waitcnt vmcnt(0)
	v_cmp_le_i64_e64 s[0:1], v[14:15], v[40:41]
	v_cmp_lt_i64_e32 vcc, v[14:15], v[40:41]
	s_and_b64 s[0:1], s[0:1], s[48:49]
	s_or_b64 s[52:53], vcc, s[0:1]
	s_and_b64 s[0:1], s[52:53], exec
	v_cmp_eq_u64_e64 s[2:3], v[14:15], v[40:41]
	s_or_b64 s[0:1], s[50:51], s[0:1]
	s_and_saveexec_b64 s[50:51], s[2:3]
	s_cbranch_execz .LBB507_112
; %bb.114:                              ;   in Loop: Header=BB507_113 Depth=1
	s_add_u32 s46, s46, -1
	s_addc_u32 s47, s47, -1
	v_add_co_u32_e32 v8, vcc, 8, v8
	s_cmp_eq_u64 s[46:47], 0
	v_addc_co_u32_e32 v9, vcc, 0, v9, vcc
	s_cselect_b64 s[2:3], -1, 0
	v_add_co_u32_e32 v10, vcc, 8, v10
	s_andn2_b64 s[44:45], s[44:45], exec
	s_and_b64 s[48:49], s[52:53], exec
	s_andn2_b64 s[42:43], s[42:43], exec
	s_and_b64 s[2:3], s[2:3], exec
	v_addc_co_u32_e32 v11, vcc, 0, v11, vcc
	s_or_b64 s[44:45], s[44:45], s[48:49]
	s_andn2_b64 s[0:1], s[0:1], exec
	s_or_b64 s[42:43], s[42:43], s[2:3]
                                        ; implicit-def: $sgpr48_sgpr49
	s_branch .LBB507_112
.LBB507_115:
	s_or_b64 exec, exec, s[38:39]
	v_cndmask_b32_e64 v7, v7, v5, s[40:41]
	v_cndmask_b32_e64 v6, v6, v4, s[40:41]
.LBB507_116:
	v_pk_mov_b32 v[4:5], v[6:7], v[6:7] op_sel:[0,1]
.LBB507_117:
	s_or_b64 exec, exec, s[36:37]
	v_pk_mov_b32 v[6:7], v[4:5], v[4:5] op_sel:[0,1]
.LBB507_118:
	s_or_b64 exec, exec, s[34:35]
	v_cndmask_b32_e64 v1, v3, v1, s[26:27]
	v_cndmask_b32_e64 v0, v2, v0, s[26:27]
	;; [unrolled: 1-line block ×6, first 2 shown]
.LBB507_119:
	s_or_b64 exec, exec, s[4:5]
	v_and_b32_e32 v20, 0x1f0, v18
	v_or_b32_e32 v8, 8, v20
	v_min_u32_e32 v14, v17, v8
	v_add_u32_e32 v8, 8, v14
	v_min_u32_e32 v15, v17, v8
	v_and_b32_e32 v8, 12, v18
	v_min_u32_e32 v21, v17, v8
	v_sub_u32_e32 v8, v14, v20
	v_sub_u32_e32 v9, v15, v14
	v_sub_u32_e64 v23, v21, v9 clamp
	v_min_u32_e32 v24, v21, v8
	v_lshl_add_u32 v22, v20, 3, v16
	v_cmp_lt_u32_e32 vcc, v23, v24
	; wave barrier
	ds_write_b128 v19, v[0:3]
	ds_write_b128 v19, v[4:7] offset:16
	; wave barrier
	s_and_saveexec_b64 s[26:27], vcc
	s_cbranch_execz .LBB507_129
; %bb.120:
	v_lshlrev_b32_e32 v8, 3, v14
	v_lshlrev_b32_e32 v9, 3, v21
	v_add3_u32 v25, v16, v8, v9
	v_cndmask_b32_e64 v8, 0, 1, s[24:25]
	s_lshl_b64 s[30:31], s[16:17], 3
	s_mov_b64 s[28:29], 0
	v_cmp_ne_u32_e64 s[0:1], 1, v8
	s_branch .LBB507_123
.LBB507_121:                            ;   in Loop: Header=BB507_123 Depth=1
	s_or_b64 exec, exec, s[36:37]
.LBB507_122:                            ;   in Loop: Header=BB507_123 Depth=1
	v_add_u32_e32 v8, 1, v37
	v_cndmask_b32_e64 v24, v24, v37, s[34:35]
	v_cndmask_b32_e64 v23, v8, v23, s[34:35]
	v_cmp_ge_u32_e32 vcc, v23, v24
	s_or_b64 s[28:29], vcc, s[28:29]
	s_andn2_b64 exec, exec, s[28:29]
	s_cbranch_execz .LBB507_128
.LBB507_123:                            ; =>This Loop Header: Depth=1
                                        ;     Child Loop BB507_126 Depth 2
	v_add_u32_e32 v8, v24, v23
	v_lshrrev_b32_e32 v37, 1, v8
	s_and_b64 vcc, exec, s[0:1]
	s_mov_b64 s[34:35], 0
	s_cbranch_vccnz .LBB507_122
; %bb.124:                              ;   in Loop: Header=BB507_123 Depth=1
	v_not_b32_e32 v8, v37
	v_lshl_add_u32 v8, v8, 3, v25
	ds_read_b64 v[8:9], v8
	v_lshl_add_u32 v38, v37, 3, v22
	ds_read_b64 v[38:39], v38
	v_pk_mov_b32 v[10:11], s[18:19], s[18:19] op_sel:[0,1]
	s_mov_b64 s[36:37], 0
	s_waitcnt lgkmcnt(1)
	v_mul_lo_u32 v40, s30, v9
	v_mul_lo_u32 v41, s31, v8
	v_mad_u64_u32 v[8:9], s[2:3], s30, v8, v[10:11]
	v_add3_u32 v9, v41, v9, v40
	s_waitcnt lgkmcnt(0)
	v_mul_lo_u32 v39, s30, v39
	v_mul_lo_u32 v40, s31, v38
	v_mad_u64_u32 v[10:11], s[2:3], s30, v38, v[10:11]
	v_add3_u32 v11, v40, v11, v39
	s_mov_b64 s[42:43], s[16:17]
                                        ; implicit-def: $sgpr34_sgpr35
                                        ; implicit-def: $sgpr38_sgpr39
                                        ; implicit-def: $sgpr40_sgpr41
                                        ; implicit-def: $sgpr2_sgpr3
                                        ; implicit-def: $sgpr44_sgpr45
	s_branch .LBB507_126
.LBB507_125:                            ;   in Loop: Header=BB507_126 Depth=2
	s_or_b64 exec, exec, s[46:47]
	s_and_b64 s[4:5], exec, s[38:39]
	s_or_b64 s[36:37], s[4:5], s[36:37]
	s_andn2_b64 s[4:5], s[44:45], exec
	s_and_b64 s[44:45], s[40:41], exec
	s_or_b64 s[44:45], s[4:5], s[44:45]
	s_andn2_b64 s[4:5], s[34:35], exec
	s_and_b64 s[34:35], s[2:3], exec
	s_or_b64 s[34:35], s[4:5], s[34:35]
	s_andn2_b64 exec, exec, s[36:37]
	s_cbranch_execz .LBB507_121
.LBB507_126:                            ;   Parent Loop BB507_123 Depth=1
                                        ; =>  This Inner Loop Header: Depth=2
	global_load_dwordx2 v[38:39], v[8:9], off
	global_load_dwordx2 v[40:41], v[10:11], off
	s_andn2_b64 s[46:47], s[2:3], exec
	s_andn2_b64 s[40:41], s[40:41], exec
	s_or_b64 s[38:39], s[38:39], exec
	s_waitcnt vmcnt(0)
	v_cmp_le_i64_e64 s[2:3], v[38:39], v[40:41]
	v_cmp_lt_i64_e32 vcc, v[38:39], v[40:41]
	s_and_b64 s[2:3], s[2:3], s[44:45]
	s_or_b64 s[48:49], vcc, s[2:3]
	s_and_b64 s[2:3], s[48:49], exec
	v_cmp_eq_u64_e64 s[4:5], v[38:39], v[40:41]
	s_or_b64 s[2:3], s[46:47], s[2:3]
	s_and_saveexec_b64 s[46:47], s[4:5]
	s_cbranch_execz .LBB507_125
; %bb.127:                              ;   in Loop: Header=BB507_126 Depth=2
	s_add_u32 s42, s42, -1
	s_addc_u32 s43, s43, -1
	v_add_co_u32_e32 v8, vcc, 8, v8
	s_cmp_eq_u64 s[42:43], 0
	v_addc_co_u32_e32 v9, vcc, 0, v9, vcc
	s_cselect_b64 s[4:5], -1, 0
	v_add_co_u32_e32 v10, vcc, 8, v10
	s_andn2_b64 s[40:41], s[40:41], exec
	s_and_b64 s[44:45], s[48:49], exec
	s_andn2_b64 s[38:39], s[38:39], exec
	s_and_b64 s[4:5], s[4:5], exec
	v_addc_co_u32_e32 v11, vcc, 0, v11, vcc
	s_andn2_b64 s[2:3], s[2:3], exec
	s_or_b64 s[40:41], s[40:41], s[44:45]
	s_or_b64 s[38:39], s[38:39], s[4:5]
                                        ; implicit-def: $sgpr44_sgpr45
	s_branch .LBB507_125
.LBB507_128:
	s_or_b64 exec, exec, s[28:29]
.LBB507_129:
	s_or_b64 exec, exec, s[26:27]
	v_add_u32_e32 v8, v14, v21
	v_add_u32_e32 v20, v23, v20
	v_sub_u32_e32 v21, v8, v23
	v_cmp_le_u32_e32 vcc, v20, v14
	v_cmp_le_u32_e64 s[0:1], v21, v15
	s_or_b64 s[0:1], vcc, s[0:1]
	s_and_saveexec_b64 s[4:5], s[0:1]
	s_cbranch_execz .LBB507_176
; %bb.130:
	v_cmp_ge_u32_e32 vcc, v20, v14
	v_cmp_lt_u32_e64 s[0:1], v20, v14
                                        ; implicit-def: $vgpr0_vgpr1
	s_and_saveexec_b64 s[2:3], s[0:1]
	s_cbranch_execz .LBB507_132
; %bb.131:
	v_lshl_add_u32 v0, v23, 3, v22
	ds_read_b64 v[0:1], v0
.LBB507_132:
	s_or_b64 exec, exec, s[2:3]
	v_cmp_ge_u32_e64 s[26:27], v21, v15
	v_cmp_lt_u32_e64 s[0:1], v21, v15
                                        ; implicit-def: $vgpr4_vgpr5
	s_and_saveexec_b64 s[2:3], s[0:1]
	s_cbranch_execz .LBB507_134
; %bb.133:
	v_lshl_add_u32 v2, v21, 3, v16
	ds_read_b64 v[4:5], v2
.LBB507_134:
	s_or_b64 exec, exec, s[2:3]
	s_or_b64 s[0:1], vcc, s[26:27]
	s_mov_b64 s[28:29], -1
	s_xor_b64 s[0:1], s[0:1], -1
	s_and_saveexec_b64 s[30:31], s[0:1]
	s_cbranch_execz .LBB507_143
; %bb.135:
	s_andn2_b64 vcc, exec, s[24:25]
	s_cbranch_vccnz .LBB507_141
; %bb.136:
	s_waitcnt lgkmcnt(0)
	v_mul_lo_u32 v6, v5, s16
	v_mul_lo_u32 v7, v4, s17
	v_mad_u64_u32 v[2:3], s[0:1], v4, s16, 0
	v_add3_u32 v3, v3, v7, v6
	v_lshlrev_b64 v[2:3], 3, v[2:3]
	v_mov_b32_e32 v6, s19
	v_add_co_u32_e32 v2, vcc, s18, v2
	v_addc_co_u32_e32 v3, vcc, v6, v3, vcc
	v_mul_lo_u32 v8, v1, s16
	v_mul_lo_u32 v9, v0, s17
	v_mad_u64_u32 v[6:7], s[0:1], v0, s16, 0
	v_add3_u32 v7, v7, v9, v8
	v_lshlrev_b64 v[6:7], 3, v[6:7]
	v_mov_b32_e32 v8, s19
	v_add_co_u32_e32 v6, vcc, s18, v6
	v_addc_co_u32_e32 v7, vcc, v8, v7, vcc
	s_mov_b64 s[34:35], 0
	s_mov_b64 s[42:43], s[16:17]
                                        ; implicit-def: $sgpr36_sgpr37
                                        ; implicit-def: $sgpr38_sgpr39
                                        ; implicit-def: $sgpr0_sgpr1
                                        ; implicit-def: $sgpr40_sgpr41
                                        ; implicit-def: $sgpr44_sgpr45
	s_branch .LBB507_138
.LBB507_137:                            ;   in Loop: Header=BB507_138 Depth=1
	s_or_b64 exec, exec, s[46:47]
	s_and_b64 s[2:3], exec, s[38:39]
	s_or_b64 s[34:35], s[2:3], s[34:35]
	s_andn2_b64 s[2:3], s[44:45], exec
	s_and_b64 s[44:45], s[40:41], exec
	s_or_b64 s[44:45], s[2:3], s[44:45]
	s_andn2_b64 s[2:3], s[36:37], exec
	s_and_b64 s[36:37], s[0:1], exec
	s_or_b64 s[36:37], s[2:3], s[36:37]
	s_andn2_b64 exec, exec, s[34:35]
	s_cbranch_execz .LBB507_140
.LBB507_138:                            ; =>This Inner Loop Header: Depth=1
	global_load_dwordx2 v[8:9], v[2:3], off
	global_load_dwordx2 v[10:11], v[6:7], off
	s_andn2_b64 s[46:47], s[0:1], exec
	s_andn2_b64 s[40:41], s[40:41], exec
	s_or_b64 s[38:39], s[38:39], exec
	s_waitcnt vmcnt(0)
	v_cmp_le_i64_e64 s[0:1], v[8:9], v[10:11]
	v_cmp_lt_i64_e32 vcc, v[8:9], v[10:11]
	s_and_b64 s[0:1], s[0:1], s[44:45]
	s_or_b64 s[48:49], vcc, s[0:1]
	s_and_b64 s[0:1], s[48:49], exec
	v_cmp_eq_u64_e64 s[2:3], v[8:9], v[10:11]
	s_or_b64 s[0:1], s[46:47], s[0:1]
	s_and_saveexec_b64 s[46:47], s[2:3]
	s_cbranch_execz .LBB507_137
; %bb.139:                              ;   in Loop: Header=BB507_138 Depth=1
	s_add_u32 s42, s42, -1
	s_addc_u32 s43, s43, -1
	v_add_co_u32_e32 v2, vcc, 8, v2
	s_cmp_eq_u64 s[42:43], 0
	v_addc_co_u32_e32 v3, vcc, 0, v3, vcc
	s_cselect_b64 s[2:3], -1, 0
	v_add_co_u32_e32 v6, vcc, 8, v6
	s_andn2_b64 s[40:41], s[40:41], exec
	s_and_b64 s[44:45], s[48:49], exec
	s_andn2_b64 s[38:39], s[38:39], exec
	s_and_b64 s[2:3], s[2:3], exec
	v_addc_co_u32_e32 v7, vcc, 0, v7, vcc
	s_or_b64 s[40:41], s[40:41], s[44:45]
	s_andn2_b64 s[0:1], s[0:1], exec
	s_or_b64 s[38:39], s[38:39], s[2:3]
                                        ; implicit-def: $sgpr44_sgpr45
	s_branch .LBB507_137
.LBB507_140:
	s_or_b64 exec, exec, s[34:35]
	s_xor_b64 s[0:1], s[36:37], -1
	s_branch .LBB507_142
.LBB507_141:
	s_mov_b64 s[0:1], -1
.LBB507_142:
	s_andn2_b64 s[2:3], s[26:27], exec
	s_and_b64 s[0:1], s[0:1], exec
	s_or_b64 s[26:27], s[2:3], s[0:1]
.LBB507_143:
	s_or_b64 exec, exec, s[30:31]
	v_cndmask_b32_e64 v2, v21, v20, s[26:27]
	v_cndmask_b32_e64 v3, v15, v14, s[26:27]
	v_add_u32_e32 v6, 1, v2
	v_add_u32_e32 v2, -1, v3
	v_min_u32_e32 v2, v6, v2
	v_lshl_add_u32 v2, v2, 3, v16
	ds_read_b64 v[2:3], v2
	v_cndmask_b32_e64 v22, v6, v21, s[26:27]
	v_cndmask_b32_e64 v37, v20, v6, s[26:27]
	v_cmp_lt_u32_e32 vcc, v22, v15
	s_waitcnt lgkmcnt(0)
	v_cndmask_b32_e64 v8, v3, v5, s[26:27]
	v_cndmask_b32_e64 v9, v2, v4, s[26:27]
	v_cndmask_b32_e64 v10, v1, v3, s[26:27]
	v_cndmask_b32_e64 v11, v0, v2, s[26:27]
	s_and_saveexec_b64 s[30:31], vcc
	s_cbranch_execz .LBB507_154
; %bb.144:
	v_cmp_lt_u32_e32 vcc, v37, v14
	s_mov_b64 s[0:1], 0
	s_and_saveexec_b64 s[28:29], vcc
	s_cbranch_execz .LBB507_153
; %bb.145:
	s_andn2_b64 vcc, exec, s[24:25]
	s_cbranch_vccnz .LBB507_151
; %bb.146:
	v_mul_lo_u32 v6, v8, s16
	v_mul_lo_u32 v7, v9, s17
	v_mad_u64_u32 v[2:3], s[0:1], v9, s16, 0
	v_add3_u32 v3, v3, v7, v6
	v_lshlrev_b64 v[2:3], 3, v[2:3]
	v_mov_b32_e32 v6, s19
	v_add_co_u32_e32 v2, vcc, s18, v2
	v_addc_co_u32_e32 v3, vcc, v6, v3, vcc
	v_mul_lo_u32 v20, v10, s16
	v_mul_lo_u32 v21, v11, s17
	v_mad_u64_u32 v[6:7], s[0:1], v11, s16, 0
	v_add3_u32 v7, v7, v21, v20
	v_lshlrev_b64 v[6:7], 3, v[6:7]
	v_mov_b32_e32 v20, s19
	v_add_co_u32_e32 v6, vcc, s18, v6
	v_addc_co_u32_e32 v7, vcc, v20, v7, vcc
	s_mov_b64 s[34:35], 0
	s_mov_b64 s[42:43], s[16:17]
                                        ; implicit-def: $sgpr36_sgpr37
                                        ; implicit-def: $sgpr38_sgpr39
                                        ; implicit-def: $sgpr0_sgpr1
                                        ; implicit-def: $sgpr40_sgpr41
                                        ; implicit-def: $sgpr44_sgpr45
	s_branch .LBB507_148
.LBB507_147:                            ;   in Loop: Header=BB507_148 Depth=1
	s_or_b64 exec, exec, s[46:47]
	s_and_b64 s[2:3], exec, s[38:39]
	s_or_b64 s[34:35], s[2:3], s[34:35]
	s_andn2_b64 s[2:3], s[44:45], exec
	s_and_b64 s[44:45], s[40:41], exec
	s_or_b64 s[44:45], s[2:3], s[44:45]
	s_andn2_b64 s[2:3], s[36:37], exec
	s_and_b64 s[36:37], s[0:1], exec
	s_or_b64 s[36:37], s[2:3], s[36:37]
	s_andn2_b64 exec, exec, s[34:35]
	s_cbranch_execz .LBB507_150
.LBB507_148:                            ; =>This Inner Loop Header: Depth=1
	global_load_dwordx2 v[20:21], v[2:3], off
	global_load_dwordx2 v[24:25], v[6:7], off
	s_andn2_b64 s[46:47], s[0:1], exec
	s_andn2_b64 s[40:41], s[40:41], exec
	s_or_b64 s[38:39], s[38:39], exec
	s_waitcnt vmcnt(0)
	v_cmp_le_i64_e64 s[0:1], v[20:21], v[24:25]
	v_cmp_lt_i64_e32 vcc, v[20:21], v[24:25]
	s_and_b64 s[0:1], s[0:1], s[44:45]
	s_or_b64 s[48:49], vcc, s[0:1]
	s_and_b64 s[0:1], s[48:49], exec
	v_cmp_eq_u64_e64 s[2:3], v[20:21], v[24:25]
	s_or_b64 s[0:1], s[46:47], s[0:1]
	s_and_saveexec_b64 s[46:47], s[2:3]
	s_cbranch_execz .LBB507_147
; %bb.149:                              ;   in Loop: Header=BB507_148 Depth=1
	s_add_u32 s42, s42, -1
	s_addc_u32 s43, s43, -1
	v_add_co_u32_e32 v2, vcc, 8, v2
	s_cmp_eq_u64 s[42:43], 0
	v_addc_co_u32_e32 v3, vcc, 0, v3, vcc
	s_cselect_b64 s[2:3], -1, 0
	v_add_co_u32_e32 v6, vcc, 8, v6
	s_andn2_b64 s[40:41], s[40:41], exec
	s_and_b64 s[44:45], s[48:49], exec
	s_andn2_b64 s[38:39], s[38:39], exec
	s_and_b64 s[2:3], s[2:3], exec
	v_addc_co_u32_e32 v7, vcc, 0, v7, vcc
	s_or_b64 s[40:41], s[40:41], s[44:45]
	s_andn2_b64 s[0:1], s[0:1], exec
	s_or_b64 s[38:39], s[38:39], s[2:3]
                                        ; implicit-def: $sgpr44_sgpr45
	s_branch .LBB507_147
.LBB507_150:
	s_or_b64 exec, exec, s[34:35]
	s_xor_b64 s[0:1], s[36:37], -1
	s_branch .LBB507_152
.LBB507_151:
	s_mov_b64 s[0:1], -1
.LBB507_152:
	s_and_b64 s[0:1], s[0:1], exec
.LBB507_153:
	s_or_b64 exec, exec, s[28:29]
	s_orn2_b64 s[28:29], s[0:1], exec
.LBB507_154:
	s_or_b64 exec, exec, s[30:31]
	v_cndmask_b32_e64 v2, v22, v37, s[28:29]
	v_cndmask_b32_e64 v3, v15, v14, s[28:29]
	v_add_u32_e32 v6, 1, v2
	v_add_u32_e32 v2, -1, v3
	v_min_u32_e32 v2, v6, v2
	v_lshl_add_u32 v2, v2, 3, v16
	ds_read_b64 v[2:3], v2
	v_cndmask_b32_e64 v23, v6, v22, s[28:29]
	v_cndmask_b32_e64 v22, v37, v6, s[28:29]
	v_cmp_lt_u32_e32 vcc, v23, v15
	s_mov_b64 s[0:1], -1
	s_waitcnt lgkmcnt(0)
	v_cndmask_b32_e64 v20, v3, v8, s[28:29]
	v_cndmask_b32_e64 v21, v2, v9, s[28:29]
	;; [unrolled: 1-line block ×4, first 2 shown]
	s_and_saveexec_b64 s[30:31], vcc
	s_cbranch_execz .LBB507_165
; %bb.155:
	v_cmp_lt_u32_e32 vcc, v22, v14
	s_mov_b64 s[0:1], 0
	s_and_saveexec_b64 s[34:35], vcc
	s_cbranch_execz .LBB507_164
; %bb.156:
	s_andn2_b64 vcc, exec, s[24:25]
	s_cbranch_vccnz .LBB507_162
; %bb.157:
	v_mul_lo_u32 v6, v20, s16
	v_mul_lo_u32 v7, v21, s17
	v_mad_u64_u32 v[2:3], s[0:1], v21, s16, 0
	v_add3_u32 v3, v3, v7, v6
	v_lshlrev_b64 v[2:3], 3, v[2:3]
	v_mov_b32_e32 v6, s19
	v_add_co_u32_e32 v2, vcc, s18, v2
	v_addc_co_u32_e32 v3, vcc, v6, v3, vcc
	v_mul_lo_u32 v37, v24, s16
	v_mul_lo_u32 v38, v25, s17
	v_mad_u64_u32 v[6:7], s[0:1], v25, s16, 0
	v_add3_u32 v7, v7, v38, v37
	v_lshlrev_b64 v[6:7], 3, v[6:7]
	v_mov_b32_e32 v37, s19
	v_add_co_u32_e32 v6, vcc, s18, v6
	v_addc_co_u32_e32 v7, vcc, v37, v7, vcc
	s_mov_b64 s[36:37], 0
	s_mov_b64 s[44:45], s[16:17]
                                        ; implicit-def: $sgpr38_sgpr39
                                        ; implicit-def: $sgpr40_sgpr41
                                        ; implicit-def: $sgpr0_sgpr1
                                        ; implicit-def: $sgpr42_sgpr43
                                        ; implicit-def: $sgpr46_sgpr47
	s_branch .LBB507_159
.LBB507_158:                            ;   in Loop: Header=BB507_159 Depth=1
	s_or_b64 exec, exec, s[48:49]
	s_and_b64 s[2:3], exec, s[40:41]
	s_or_b64 s[36:37], s[2:3], s[36:37]
	s_andn2_b64 s[2:3], s[46:47], exec
	s_and_b64 s[46:47], s[42:43], exec
	s_or_b64 s[46:47], s[2:3], s[46:47]
	s_andn2_b64 s[2:3], s[38:39], exec
	s_and_b64 s[38:39], s[0:1], exec
	s_or_b64 s[38:39], s[2:3], s[38:39]
	s_andn2_b64 exec, exec, s[36:37]
	s_cbranch_execz .LBB507_161
.LBB507_159:                            ; =>This Inner Loop Header: Depth=1
	global_load_dwordx2 v[38:39], v[2:3], off
	global_load_dwordx2 v[40:41], v[6:7], off
	s_andn2_b64 s[48:49], s[0:1], exec
	s_andn2_b64 s[42:43], s[42:43], exec
	s_or_b64 s[40:41], s[40:41], exec
	s_waitcnt vmcnt(0)
	v_cmp_le_i64_e64 s[0:1], v[38:39], v[40:41]
	v_cmp_lt_i64_e32 vcc, v[38:39], v[40:41]
	s_and_b64 s[0:1], s[0:1], s[46:47]
	s_or_b64 s[50:51], vcc, s[0:1]
	s_and_b64 s[0:1], s[50:51], exec
	v_cmp_eq_u64_e64 s[2:3], v[38:39], v[40:41]
	s_or_b64 s[0:1], s[48:49], s[0:1]
	s_and_saveexec_b64 s[48:49], s[2:3]
	s_cbranch_execz .LBB507_158
; %bb.160:                              ;   in Loop: Header=BB507_159 Depth=1
	s_add_u32 s44, s44, -1
	s_addc_u32 s45, s45, -1
	v_add_co_u32_e32 v2, vcc, 8, v2
	s_cmp_eq_u64 s[44:45], 0
	v_addc_co_u32_e32 v3, vcc, 0, v3, vcc
	s_cselect_b64 s[2:3], -1, 0
	v_add_co_u32_e32 v6, vcc, 8, v6
	s_andn2_b64 s[42:43], s[42:43], exec
	s_and_b64 s[46:47], s[50:51], exec
	s_andn2_b64 s[40:41], s[40:41], exec
	s_and_b64 s[2:3], s[2:3], exec
	v_addc_co_u32_e32 v7, vcc, 0, v7, vcc
	s_or_b64 s[42:43], s[42:43], s[46:47]
	s_andn2_b64 s[0:1], s[0:1], exec
	s_or_b64 s[40:41], s[40:41], s[2:3]
                                        ; implicit-def: $sgpr46_sgpr47
	s_branch .LBB507_158
.LBB507_161:
	s_or_b64 exec, exec, s[36:37]
	s_xor_b64 s[0:1], s[38:39], -1
	s_branch .LBB507_163
.LBB507_162:
	s_mov_b64 s[0:1], -1
.LBB507_163:
	s_and_b64 s[0:1], s[0:1], exec
.LBB507_164:
	s_or_b64 exec, exec, s[34:35]
	s_orn2_b64 s[0:1], s[0:1], exec
.LBB507_165:
	s_or_b64 exec, exec, s[30:31]
	v_cndmask_b32_e64 v6, v23, v22, s[0:1]
	v_cndmask_b32_e64 v7, v15, v14, s[0:1]
	v_cndmask_b32_e64 v3, v8, v10, s[28:29]
	v_add_u32_e32 v10, 1, v6
	v_add_u32_e32 v6, -1, v7
	v_min_u32_e32 v6, v10, v6
	v_lshl_add_u32 v6, v6, 3, v16
	v_cndmask_b32_e64 v2, v9, v11, s[28:29]
	ds_read_b64 v[8:9], v6
	v_cndmask_b32_e64 v11, v10, v23, s[0:1]
	v_cndmask_b32_e64 v1, v5, v1, s[26:27]
	;; [unrolled: 1-line block ×5, first 2 shown]
	s_waitcnt lgkmcnt(0)
	v_cndmask_b32_e64 v7, v24, v9, s[0:1]
	v_cndmask_b32_e64 v6, v25, v8, s[0:1]
	v_cmp_lt_u32_e32 vcc, v11, v15
	s_and_saveexec_b64 s[26:27], vcc
	s_cbranch_execz .LBB507_175
; %bb.166:
	v_cndmask_b32_e64 v10, v22, v10, s[0:1]
	v_cndmask_b32_e64 v9, v9, v20, s[0:1]
	;; [unrolled: 1-line block ×3, first 2 shown]
	v_cmp_lt_u32_e32 vcc, v10, v14
	s_and_saveexec_b64 s[28:29], vcc
	s_cbranch_execz .LBB507_174
; %bb.167:
	s_andn2_b64 vcc, exec, s[24:25]
	s_cbranch_vccnz .LBB507_173
; %bb.168:
	v_mul_lo_u32 v14, v9, s16
	v_mul_lo_u32 v15, v8, s17
	v_mad_u64_u32 v[10:11], s[0:1], v8, s16, 0
	v_add3_u32 v11, v11, v15, v14
	v_lshlrev_b64 v[10:11], 3, v[10:11]
	v_mov_b32_e32 v14, s19
	v_add_co_u32_e32 v10, vcc, s18, v10
	v_addc_co_u32_e32 v11, vcc, v14, v11, vcc
	v_mul_lo_u32 v20, v7, s16
	v_mul_lo_u32 v21, v6, s17
	v_mad_u64_u32 v[14:15], s[0:1], v6, s16, 0
	v_add3_u32 v15, v15, v21, v20
	v_lshlrev_b64 v[14:15], 3, v[14:15]
	v_mov_b32_e32 v20, s19
	v_add_co_u32_e32 v14, vcc, s18, v14
	v_addc_co_u32_e32 v15, vcc, v20, v15, vcc
	s_mov_b64 s[30:31], 0
	s_mov_b64 s[40:41], s[16:17]
                                        ; implicit-def: $sgpr34_sgpr35
                                        ; implicit-def: $sgpr36_sgpr37
                                        ; implicit-def: $sgpr0_sgpr1
                                        ; implicit-def: $sgpr38_sgpr39
                                        ; implicit-def: $sgpr42_sgpr43
	s_branch .LBB507_170
.LBB507_169:                            ;   in Loop: Header=BB507_170 Depth=1
	s_or_b64 exec, exec, s[44:45]
	s_and_b64 s[2:3], exec, s[36:37]
	s_or_b64 s[30:31], s[2:3], s[30:31]
	s_andn2_b64 s[2:3], s[42:43], exec
	s_and_b64 s[42:43], s[38:39], exec
	s_or_b64 s[42:43], s[2:3], s[42:43]
	s_andn2_b64 s[2:3], s[34:35], exec
	s_and_b64 s[34:35], s[0:1], exec
	s_or_b64 s[34:35], s[2:3], s[34:35]
	s_andn2_b64 exec, exec, s[30:31]
	s_cbranch_execz .LBB507_172
.LBB507_170:                            ; =>This Inner Loop Header: Depth=1
	global_load_dwordx2 v[20:21], v[10:11], off
	global_load_dwordx2 v[22:23], v[14:15], off
	s_andn2_b64 s[44:45], s[0:1], exec
	s_andn2_b64 s[38:39], s[38:39], exec
	s_or_b64 s[36:37], s[36:37], exec
	s_waitcnt vmcnt(0)
	v_cmp_le_i64_e64 s[0:1], v[20:21], v[22:23]
	v_cmp_lt_i64_e32 vcc, v[20:21], v[22:23]
	s_and_b64 s[0:1], s[0:1], s[42:43]
	s_or_b64 s[46:47], vcc, s[0:1]
	s_and_b64 s[0:1], s[46:47], exec
	v_cmp_eq_u64_e64 s[2:3], v[20:21], v[22:23]
	s_or_b64 s[0:1], s[44:45], s[0:1]
	s_and_saveexec_b64 s[44:45], s[2:3]
	s_cbranch_execz .LBB507_169
; %bb.171:                              ;   in Loop: Header=BB507_170 Depth=1
	s_add_u32 s40, s40, -1
	s_addc_u32 s41, s41, -1
	v_add_co_u32_e32 v10, vcc, 8, v10
	s_cmp_eq_u64 s[40:41], 0
	v_addc_co_u32_e32 v11, vcc, 0, v11, vcc
	s_cselect_b64 s[2:3], -1, 0
	v_add_co_u32_e32 v14, vcc, 8, v14
	s_andn2_b64 s[38:39], s[38:39], exec
	s_and_b64 s[42:43], s[46:47], exec
	s_andn2_b64 s[36:37], s[36:37], exec
	s_and_b64 s[2:3], s[2:3], exec
	v_addc_co_u32_e32 v15, vcc, 0, v15, vcc
	s_or_b64 s[38:39], s[38:39], s[42:43]
	s_andn2_b64 s[0:1], s[0:1], exec
	s_or_b64 s[36:37], s[36:37], s[2:3]
                                        ; implicit-def: $sgpr42_sgpr43
	s_branch .LBB507_169
.LBB507_172:
	s_or_b64 exec, exec, s[30:31]
	v_cndmask_b32_e64 v7, v7, v9, s[34:35]
	v_cndmask_b32_e64 v6, v6, v8, s[34:35]
.LBB507_173:
	v_pk_mov_b32 v[8:9], v[6:7], v[6:7] op_sel:[0,1]
.LBB507_174:
	s_or_b64 exec, exec, s[28:29]
	v_pk_mov_b32 v[6:7], v[8:9], v[8:9] op_sel:[0,1]
.LBB507_175:
	s_or_b64 exec, exec, s[26:27]
.LBB507_176:
	s_or_b64 exec, exec, s[4:5]
	v_and_b32_e32 v20, 0x1e0, v18
	v_or_b32_e32 v8, 16, v20
	v_min_u32_e32 v14, v17, v8
	v_add_u32_e32 v8, 16, v14
	v_min_u32_e32 v15, v17, v8
	v_and_b32_e32 v8, 28, v18
	v_min_u32_e32 v21, v17, v8
	v_sub_u32_e32 v8, v14, v20
	v_sub_u32_e32 v9, v15, v14
	v_sub_u32_e64 v23, v21, v9 clamp
	v_min_u32_e32 v24, v21, v8
	v_lshl_add_u32 v22, v20, 3, v16
	v_cmp_lt_u32_e32 vcc, v23, v24
	; wave barrier
	ds_write_b128 v19, v[0:3]
	ds_write_b128 v19, v[4:7] offset:16
	; wave barrier
	s_and_saveexec_b64 s[26:27], vcc
	s_cbranch_execz .LBB507_186
; %bb.177:
	v_lshlrev_b32_e32 v8, 3, v14
	v_lshlrev_b32_e32 v9, 3, v21
	v_add3_u32 v25, v16, v8, v9
	v_cndmask_b32_e64 v8, 0, 1, s[24:25]
	s_lshl_b64 s[30:31], s[16:17], 3
	s_mov_b64 s[28:29], 0
	v_cmp_ne_u32_e64 s[0:1], 1, v8
	s_branch .LBB507_180
.LBB507_178:                            ;   in Loop: Header=BB507_180 Depth=1
	s_or_b64 exec, exec, s[36:37]
.LBB507_179:                            ;   in Loop: Header=BB507_180 Depth=1
	v_add_u32_e32 v8, 1, v37
	v_cndmask_b32_e64 v24, v24, v37, s[34:35]
	v_cndmask_b32_e64 v23, v8, v23, s[34:35]
	v_cmp_ge_u32_e32 vcc, v23, v24
	s_or_b64 s[28:29], vcc, s[28:29]
	s_andn2_b64 exec, exec, s[28:29]
	s_cbranch_execz .LBB507_185
.LBB507_180:                            ; =>This Loop Header: Depth=1
                                        ;     Child Loop BB507_183 Depth 2
	v_add_u32_e32 v8, v24, v23
	v_lshrrev_b32_e32 v37, 1, v8
	s_and_b64 vcc, exec, s[0:1]
	s_mov_b64 s[34:35], 0
	s_cbranch_vccnz .LBB507_179
; %bb.181:                              ;   in Loop: Header=BB507_180 Depth=1
	v_not_b32_e32 v8, v37
	v_lshl_add_u32 v8, v8, 3, v25
	ds_read_b64 v[8:9], v8
	v_lshl_add_u32 v38, v37, 3, v22
	ds_read_b64 v[38:39], v38
	v_pk_mov_b32 v[10:11], s[18:19], s[18:19] op_sel:[0,1]
	s_mov_b64 s[36:37], 0
	s_waitcnt lgkmcnt(1)
	v_mul_lo_u32 v40, s30, v9
	v_mul_lo_u32 v41, s31, v8
	v_mad_u64_u32 v[8:9], s[2:3], s30, v8, v[10:11]
	v_add3_u32 v9, v41, v9, v40
	s_waitcnt lgkmcnt(0)
	v_mul_lo_u32 v39, s30, v39
	v_mul_lo_u32 v40, s31, v38
	v_mad_u64_u32 v[10:11], s[2:3], s30, v38, v[10:11]
	v_add3_u32 v11, v40, v11, v39
	s_mov_b64 s[42:43], s[16:17]
                                        ; implicit-def: $sgpr34_sgpr35
                                        ; implicit-def: $sgpr38_sgpr39
                                        ; implicit-def: $sgpr40_sgpr41
                                        ; implicit-def: $sgpr2_sgpr3
                                        ; implicit-def: $sgpr44_sgpr45
	s_branch .LBB507_183
.LBB507_182:                            ;   in Loop: Header=BB507_183 Depth=2
	s_or_b64 exec, exec, s[46:47]
	s_and_b64 s[4:5], exec, s[38:39]
	s_or_b64 s[36:37], s[4:5], s[36:37]
	s_andn2_b64 s[4:5], s[44:45], exec
	s_and_b64 s[44:45], s[40:41], exec
	s_or_b64 s[44:45], s[4:5], s[44:45]
	s_andn2_b64 s[4:5], s[34:35], exec
	s_and_b64 s[34:35], s[2:3], exec
	s_or_b64 s[34:35], s[4:5], s[34:35]
	s_andn2_b64 exec, exec, s[36:37]
	s_cbranch_execz .LBB507_178
.LBB507_183:                            ;   Parent Loop BB507_180 Depth=1
                                        ; =>  This Inner Loop Header: Depth=2
	global_load_dwordx2 v[38:39], v[8:9], off
	global_load_dwordx2 v[40:41], v[10:11], off
	s_andn2_b64 s[46:47], s[2:3], exec
	s_andn2_b64 s[40:41], s[40:41], exec
	s_or_b64 s[38:39], s[38:39], exec
	s_waitcnt vmcnt(0)
	v_cmp_le_i64_e64 s[2:3], v[38:39], v[40:41]
	v_cmp_lt_i64_e32 vcc, v[38:39], v[40:41]
	s_and_b64 s[2:3], s[2:3], s[44:45]
	s_or_b64 s[48:49], vcc, s[2:3]
	s_and_b64 s[2:3], s[48:49], exec
	v_cmp_eq_u64_e64 s[4:5], v[38:39], v[40:41]
	s_or_b64 s[2:3], s[46:47], s[2:3]
	s_and_saveexec_b64 s[46:47], s[4:5]
	s_cbranch_execz .LBB507_182
; %bb.184:                              ;   in Loop: Header=BB507_183 Depth=2
	s_add_u32 s42, s42, -1
	s_addc_u32 s43, s43, -1
	v_add_co_u32_e32 v8, vcc, 8, v8
	s_cmp_eq_u64 s[42:43], 0
	v_addc_co_u32_e32 v9, vcc, 0, v9, vcc
	s_cselect_b64 s[4:5], -1, 0
	v_add_co_u32_e32 v10, vcc, 8, v10
	s_andn2_b64 s[40:41], s[40:41], exec
	s_and_b64 s[44:45], s[48:49], exec
	s_andn2_b64 s[38:39], s[38:39], exec
	s_and_b64 s[4:5], s[4:5], exec
	v_addc_co_u32_e32 v11, vcc, 0, v11, vcc
	s_andn2_b64 s[2:3], s[2:3], exec
	s_or_b64 s[40:41], s[40:41], s[44:45]
	s_or_b64 s[38:39], s[38:39], s[4:5]
                                        ; implicit-def: $sgpr44_sgpr45
	s_branch .LBB507_182
.LBB507_185:
	s_or_b64 exec, exec, s[28:29]
.LBB507_186:
	s_or_b64 exec, exec, s[26:27]
	v_add_u32_e32 v8, v14, v21
	v_add_u32_e32 v20, v23, v20
	v_sub_u32_e32 v21, v8, v23
	v_cmp_le_u32_e32 vcc, v20, v14
	v_cmp_le_u32_e64 s[0:1], v21, v15
	s_or_b64 s[0:1], vcc, s[0:1]
	s_and_saveexec_b64 s[4:5], s[0:1]
	s_cbranch_execz .LBB507_233
; %bb.187:
	v_cmp_ge_u32_e32 vcc, v20, v14
	v_cmp_lt_u32_e64 s[0:1], v20, v14
                                        ; implicit-def: $vgpr0_vgpr1
	s_and_saveexec_b64 s[2:3], s[0:1]
	s_cbranch_execz .LBB507_189
; %bb.188:
	v_lshl_add_u32 v0, v23, 3, v22
	ds_read_b64 v[0:1], v0
.LBB507_189:
	s_or_b64 exec, exec, s[2:3]
	v_cmp_ge_u32_e64 s[26:27], v21, v15
	v_cmp_lt_u32_e64 s[0:1], v21, v15
                                        ; implicit-def: $vgpr4_vgpr5
	s_and_saveexec_b64 s[2:3], s[0:1]
	s_cbranch_execz .LBB507_191
; %bb.190:
	v_lshl_add_u32 v2, v21, 3, v16
	ds_read_b64 v[4:5], v2
.LBB507_191:
	s_or_b64 exec, exec, s[2:3]
	s_or_b64 s[0:1], vcc, s[26:27]
	s_mov_b64 s[28:29], -1
	s_xor_b64 s[0:1], s[0:1], -1
	s_and_saveexec_b64 s[30:31], s[0:1]
	s_cbranch_execz .LBB507_200
; %bb.192:
	s_andn2_b64 vcc, exec, s[24:25]
	s_cbranch_vccnz .LBB507_198
; %bb.193:
	s_waitcnt lgkmcnt(0)
	v_mul_lo_u32 v6, v5, s16
	v_mul_lo_u32 v7, v4, s17
	v_mad_u64_u32 v[2:3], s[0:1], v4, s16, 0
	v_add3_u32 v3, v3, v7, v6
	v_lshlrev_b64 v[2:3], 3, v[2:3]
	v_mov_b32_e32 v6, s19
	v_add_co_u32_e32 v2, vcc, s18, v2
	v_addc_co_u32_e32 v3, vcc, v6, v3, vcc
	v_mul_lo_u32 v8, v1, s16
	v_mul_lo_u32 v9, v0, s17
	v_mad_u64_u32 v[6:7], s[0:1], v0, s16, 0
	v_add3_u32 v7, v7, v9, v8
	v_lshlrev_b64 v[6:7], 3, v[6:7]
	v_mov_b32_e32 v8, s19
	v_add_co_u32_e32 v6, vcc, s18, v6
	v_addc_co_u32_e32 v7, vcc, v8, v7, vcc
	s_mov_b64 s[34:35], 0
	s_mov_b64 s[42:43], s[16:17]
                                        ; implicit-def: $sgpr36_sgpr37
                                        ; implicit-def: $sgpr38_sgpr39
                                        ; implicit-def: $sgpr0_sgpr1
                                        ; implicit-def: $sgpr40_sgpr41
                                        ; implicit-def: $sgpr44_sgpr45
	s_branch .LBB507_195
.LBB507_194:                            ;   in Loop: Header=BB507_195 Depth=1
	s_or_b64 exec, exec, s[46:47]
	s_and_b64 s[2:3], exec, s[38:39]
	s_or_b64 s[34:35], s[2:3], s[34:35]
	s_andn2_b64 s[2:3], s[44:45], exec
	s_and_b64 s[44:45], s[40:41], exec
	s_or_b64 s[44:45], s[2:3], s[44:45]
	s_andn2_b64 s[2:3], s[36:37], exec
	s_and_b64 s[36:37], s[0:1], exec
	s_or_b64 s[36:37], s[2:3], s[36:37]
	s_andn2_b64 exec, exec, s[34:35]
	s_cbranch_execz .LBB507_197
.LBB507_195:                            ; =>This Inner Loop Header: Depth=1
	global_load_dwordx2 v[8:9], v[2:3], off
	global_load_dwordx2 v[10:11], v[6:7], off
	s_andn2_b64 s[46:47], s[0:1], exec
	s_andn2_b64 s[40:41], s[40:41], exec
	s_or_b64 s[38:39], s[38:39], exec
	s_waitcnt vmcnt(0)
	v_cmp_le_i64_e64 s[0:1], v[8:9], v[10:11]
	v_cmp_lt_i64_e32 vcc, v[8:9], v[10:11]
	s_and_b64 s[0:1], s[0:1], s[44:45]
	s_or_b64 s[48:49], vcc, s[0:1]
	s_and_b64 s[0:1], s[48:49], exec
	v_cmp_eq_u64_e64 s[2:3], v[8:9], v[10:11]
	s_or_b64 s[0:1], s[46:47], s[0:1]
	s_and_saveexec_b64 s[46:47], s[2:3]
	s_cbranch_execz .LBB507_194
; %bb.196:                              ;   in Loop: Header=BB507_195 Depth=1
	s_add_u32 s42, s42, -1
	s_addc_u32 s43, s43, -1
	v_add_co_u32_e32 v2, vcc, 8, v2
	s_cmp_eq_u64 s[42:43], 0
	v_addc_co_u32_e32 v3, vcc, 0, v3, vcc
	s_cselect_b64 s[2:3], -1, 0
	v_add_co_u32_e32 v6, vcc, 8, v6
	s_andn2_b64 s[40:41], s[40:41], exec
	s_and_b64 s[44:45], s[48:49], exec
	s_andn2_b64 s[38:39], s[38:39], exec
	s_and_b64 s[2:3], s[2:3], exec
	v_addc_co_u32_e32 v7, vcc, 0, v7, vcc
	s_or_b64 s[40:41], s[40:41], s[44:45]
	s_andn2_b64 s[0:1], s[0:1], exec
	s_or_b64 s[38:39], s[38:39], s[2:3]
                                        ; implicit-def: $sgpr44_sgpr45
	s_branch .LBB507_194
.LBB507_197:
	s_or_b64 exec, exec, s[34:35]
	s_xor_b64 s[0:1], s[36:37], -1
	s_branch .LBB507_199
.LBB507_198:
	s_mov_b64 s[0:1], -1
.LBB507_199:
	s_andn2_b64 s[2:3], s[26:27], exec
	s_and_b64 s[0:1], s[0:1], exec
	s_or_b64 s[26:27], s[2:3], s[0:1]
.LBB507_200:
	s_or_b64 exec, exec, s[30:31]
	v_cndmask_b32_e64 v2, v21, v20, s[26:27]
	v_cndmask_b32_e64 v3, v15, v14, s[26:27]
	v_add_u32_e32 v6, 1, v2
	v_add_u32_e32 v2, -1, v3
	v_min_u32_e32 v2, v6, v2
	v_lshl_add_u32 v2, v2, 3, v16
	ds_read_b64 v[2:3], v2
	v_cndmask_b32_e64 v22, v6, v21, s[26:27]
	v_cndmask_b32_e64 v37, v20, v6, s[26:27]
	v_cmp_lt_u32_e32 vcc, v22, v15
	s_waitcnt lgkmcnt(0)
	v_cndmask_b32_e64 v8, v3, v5, s[26:27]
	v_cndmask_b32_e64 v9, v2, v4, s[26:27]
	;; [unrolled: 1-line block ×4, first 2 shown]
	s_and_saveexec_b64 s[30:31], vcc
	s_cbranch_execz .LBB507_211
; %bb.201:
	v_cmp_lt_u32_e32 vcc, v37, v14
	s_mov_b64 s[0:1], 0
	s_and_saveexec_b64 s[28:29], vcc
	s_cbranch_execz .LBB507_210
; %bb.202:
	s_andn2_b64 vcc, exec, s[24:25]
	s_cbranch_vccnz .LBB507_208
; %bb.203:
	v_mul_lo_u32 v6, v8, s16
	v_mul_lo_u32 v7, v9, s17
	v_mad_u64_u32 v[2:3], s[0:1], v9, s16, 0
	v_add3_u32 v3, v3, v7, v6
	v_lshlrev_b64 v[2:3], 3, v[2:3]
	v_mov_b32_e32 v6, s19
	v_add_co_u32_e32 v2, vcc, s18, v2
	v_addc_co_u32_e32 v3, vcc, v6, v3, vcc
	v_mul_lo_u32 v20, v10, s16
	v_mul_lo_u32 v21, v11, s17
	v_mad_u64_u32 v[6:7], s[0:1], v11, s16, 0
	v_add3_u32 v7, v7, v21, v20
	v_lshlrev_b64 v[6:7], 3, v[6:7]
	v_mov_b32_e32 v20, s19
	v_add_co_u32_e32 v6, vcc, s18, v6
	v_addc_co_u32_e32 v7, vcc, v20, v7, vcc
	s_mov_b64 s[34:35], 0
	s_mov_b64 s[42:43], s[16:17]
                                        ; implicit-def: $sgpr36_sgpr37
                                        ; implicit-def: $sgpr38_sgpr39
                                        ; implicit-def: $sgpr0_sgpr1
                                        ; implicit-def: $sgpr40_sgpr41
                                        ; implicit-def: $sgpr44_sgpr45
	s_branch .LBB507_205
.LBB507_204:                            ;   in Loop: Header=BB507_205 Depth=1
	s_or_b64 exec, exec, s[46:47]
	s_and_b64 s[2:3], exec, s[38:39]
	s_or_b64 s[34:35], s[2:3], s[34:35]
	s_andn2_b64 s[2:3], s[44:45], exec
	s_and_b64 s[44:45], s[40:41], exec
	s_or_b64 s[44:45], s[2:3], s[44:45]
	s_andn2_b64 s[2:3], s[36:37], exec
	s_and_b64 s[36:37], s[0:1], exec
	s_or_b64 s[36:37], s[2:3], s[36:37]
	s_andn2_b64 exec, exec, s[34:35]
	s_cbranch_execz .LBB507_207
.LBB507_205:                            ; =>This Inner Loop Header: Depth=1
	global_load_dwordx2 v[20:21], v[2:3], off
	global_load_dwordx2 v[24:25], v[6:7], off
	s_andn2_b64 s[46:47], s[0:1], exec
	s_andn2_b64 s[40:41], s[40:41], exec
	s_or_b64 s[38:39], s[38:39], exec
	s_waitcnt vmcnt(0)
	v_cmp_le_i64_e64 s[0:1], v[20:21], v[24:25]
	v_cmp_lt_i64_e32 vcc, v[20:21], v[24:25]
	s_and_b64 s[0:1], s[0:1], s[44:45]
	s_or_b64 s[48:49], vcc, s[0:1]
	s_and_b64 s[0:1], s[48:49], exec
	v_cmp_eq_u64_e64 s[2:3], v[20:21], v[24:25]
	s_or_b64 s[0:1], s[46:47], s[0:1]
	s_and_saveexec_b64 s[46:47], s[2:3]
	s_cbranch_execz .LBB507_204
; %bb.206:                              ;   in Loop: Header=BB507_205 Depth=1
	s_add_u32 s42, s42, -1
	s_addc_u32 s43, s43, -1
	v_add_co_u32_e32 v2, vcc, 8, v2
	s_cmp_eq_u64 s[42:43], 0
	v_addc_co_u32_e32 v3, vcc, 0, v3, vcc
	s_cselect_b64 s[2:3], -1, 0
	v_add_co_u32_e32 v6, vcc, 8, v6
	s_andn2_b64 s[40:41], s[40:41], exec
	s_and_b64 s[44:45], s[48:49], exec
	s_andn2_b64 s[38:39], s[38:39], exec
	s_and_b64 s[2:3], s[2:3], exec
	v_addc_co_u32_e32 v7, vcc, 0, v7, vcc
	s_or_b64 s[40:41], s[40:41], s[44:45]
	s_andn2_b64 s[0:1], s[0:1], exec
	s_or_b64 s[38:39], s[38:39], s[2:3]
                                        ; implicit-def: $sgpr44_sgpr45
	s_branch .LBB507_204
.LBB507_207:
	s_or_b64 exec, exec, s[34:35]
	s_xor_b64 s[0:1], s[36:37], -1
	s_branch .LBB507_209
.LBB507_208:
	s_mov_b64 s[0:1], -1
.LBB507_209:
	s_and_b64 s[0:1], s[0:1], exec
.LBB507_210:
	s_or_b64 exec, exec, s[28:29]
	s_orn2_b64 s[28:29], s[0:1], exec
.LBB507_211:
	s_or_b64 exec, exec, s[30:31]
	v_cndmask_b32_e64 v2, v22, v37, s[28:29]
	v_cndmask_b32_e64 v3, v15, v14, s[28:29]
	v_add_u32_e32 v6, 1, v2
	v_add_u32_e32 v2, -1, v3
	v_min_u32_e32 v2, v6, v2
	v_lshl_add_u32 v2, v2, 3, v16
	ds_read_b64 v[2:3], v2
	v_cndmask_b32_e64 v23, v6, v22, s[28:29]
	v_cndmask_b32_e64 v22, v37, v6, s[28:29]
	v_cmp_lt_u32_e32 vcc, v23, v15
	s_mov_b64 s[0:1], -1
	s_waitcnt lgkmcnt(0)
	v_cndmask_b32_e64 v20, v3, v8, s[28:29]
	v_cndmask_b32_e64 v21, v2, v9, s[28:29]
	;; [unrolled: 1-line block ×4, first 2 shown]
	s_and_saveexec_b64 s[30:31], vcc
	s_cbranch_execz .LBB507_222
; %bb.212:
	v_cmp_lt_u32_e32 vcc, v22, v14
	s_mov_b64 s[0:1], 0
	s_and_saveexec_b64 s[34:35], vcc
	s_cbranch_execz .LBB507_221
; %bb.213:
	s_andn2_b64 vcc, exec, s[24:25]
	s_cbranch_vccnz .LBB507_219
; %bb.214:
	v_mul_lo_u32 v6, v20, s16
	v_mul_lo_u32 v7, v21, s17
	v_mad_u64_u32 v[2:3], s[0:1], v21, s16, 0
	v_add3_u32 v3, v3, v7, v6
	v_lshlrev_b64 v[2:3], 3, v[2:3]
	v_mov_b32_e32 v6, s19
	v_add_co_u32_e32 v2, vcc, s18, v2
	v_addc_co_u32_e32 v3, vcc, v6, v3, vcc
	v_mul_lo_u32 v37, v24, s16
	v_mul_lo_u32 v38, v25, s17
	v_mad_u64_u32 v[6:7], s[0:1], v25, s16, 0
	v_add3_u32 v7, v7, v38, v37
	v_lshlrev_b64 v[6:7], 3, v[6:7]
	v_mov_b32_e32 v37, s19
	v_add_co_u32_e32 v6, vcc, s18, v6
	v_addc_co_u32_e32 v7, vcc, v37, v7, vcc
	s_mov_b64 s[36:37], 0
	s_mov_b64 s[44:45], s[16:17]
                                        ; implicit-def: $sgpr38_sgpr39
                                        ; implicit-def: $sgpr40_sgpr41
                                        ; implicit-def: $sgpr0_sgpr1
                                        ; implicit-def: $sgpr42_sgpr43
                                        ; implicit-def: $sgpr46_sgpr47
	s_branch .LBB507_216
.LBB507_215:                            ;   in Loop: Header=BB507_216 Depth=1
	s_or_b64 exec, exec, s[48:49]
	s_and_b64 s[2:3], exec, s[40:41]
	s_or_b64 s[36:37], s[2:3], s[36:37]
	s_andn2_b64 s[2:3], s[46:47], exec
	s_and_b64 s[46:47], s[42:43], exec
	s_or_b64 s[46:47], s[2:3], s[46:47]
	s_andn2_b64 s[2:3], s[38:39], exec
	s_and_b64 s[38:39], s[0:1], exec
	s_or_b64 s[38:39], s[2:3], s[38:39]
	s_andn2_b64 exec, exec, s[36:37]
	s_cbranch_execz .LBB507_218
.LBB507_216:                            ; =>This Inner Loop Header: Depth=1
	global_load_dwordx2 v[38:39], v[2:3], off
	global_load_dwordx2 v[40:41], v[6:7], off
	s_andn2_b64 s[48:49], s[0:1], exec
	s_andn2_b64 s[42:43], s[42:43], exec
	s_or_b64 s[40:41], s[40:41], exec
	s_waitcnt vmcnt(0)
	v_cmp_le_i64_e64 s[0:1], v[38:39], v[40:41]
	v_cmp_lt_i64_e32 vcc, v[38:39], v[40:41]
	s_and_b64 s[0:1], s[0:1], s[46:47]
	s_or_b64 s[50:51], vcc, s[0:1]
	s_and_b64 s[0:1], s[50:51], exec
	v_cmp_eq_u64_e64 s[2:3], v[38:39], v[40:41]
	s_or_b64 s[0:1], s[48:49], s[0:1]
	s_and_saveexec_b64 s[48:49], s[2:3]
	s_cbranch_execz .LBB507_215
; %bb.217:                              ;   in Loop: Header=BB507_216 Depth=1
	s_add_u32 s44, s44, -1
	s_addc_u32 s45, s45, -1
	v_add_co_u32_e32 v2, vcc, 8, v2
	s_cmp_eq_u64 s[44:45], 0
	v_addc_co_u32_e32 v3, vcc, 0, v3, vcc
	s_cselect_b64 s[2:3], -1, 0
	v_add_co_u32_e32 v6, vcc, 8, v6
	s_andn2_b64 s[42:43], s[42:43], exec
	s_and_b64 s[46:47], s[50:51], exec
	s_andn2_b64 s[40:41], s[40:41], exec
	s_and_b64 s[2:3], s[2:3], exec
	v_addc_co_u32_e32 v7, vcc, 0, v7, vcc
	s_or_b64 s[42:43], s[42:43], s[46:47]
	s_andn2_b64 s[0:1], s[0:1], exec
	s_or_b64 s[40:41], s[40:41], s[2:3]
                                        ; implicit-def: $sgpr46_sgpr47
	s_branch .LBB507_215
.LBB507_218:
	s_or_b64 exec, exec, s[36:37]
	s_xor_b64 s[0:1], s[38:39], -1
	s_branch .LBB507_220
.LBB507_219:
	s_mov_b64 s[0:1], -1
.LBB507_220:
	s_and_b64 s[0:1], s[0:1], exec
.LBB507_221:
	s_or_b64 exec, exec, s[34:35]
	s_orn2_b64 s[0:1], s[0:1], exec
.LBB507_222:
	s_or_b64 exec, exec, s[30:31]
	v_cndmask_b32_e64 v6, v23, v22, s[0:1]
	v_cndmask_b32_e64 v7, v15, v14, s[0:1]
	;; [unrolled: 1-line block ×3, first 2 shown]
	v_add_u32_e32 v10, 1, v6
	v_add_u32_e32 v6, -1, v7
	v_min_u32_e32 v6, v10, v6
	v_lshl_add_u32 v6, v6, 3, v16
	v_cndmask_b32_e64 v2, v9, v11, s[28:29]
	ds_read_b64 v[8:9], v6
	v_cndmask_b32_e64 v11, v10, v23, s[0:1]
	v_cndmask_b32_e64 v1, v5, v1, s[26:27]
	;; [unrolled: 1-line block ×5, first 2 shown]
	s_waitcnt lgkmcnt(0)
	v_cndmask_b32_e64 v7, v24, v9, s[0:1]
	v_cndmask_b32_e64 v6, v25, v8, s[0:1]
	v_cmp_lt_u32_e32 vcc, v11, v15
	s_and_saveexec_b64 s[26:27], vcc
	s_cbranch_execz .LBB507_232
; %bb.223:
	v_cndmask_b32_e64 v10, v22, v10, s[0:1]
	v_cndmask_b32_e64 v9, v9, v20, s[0:1]
	;; [unrolled: 1-line block ×3, first 2 shown]
	v_cmp_lt_u32_e32 vcc, v10, v14
	s_and_saveexec_b64 s[28:29], vcc
	s_cbranch_execz .LBB507_231
; %bb.224:
	s_andn2_b64 vcc, exec, s[24:25]
	s_cbranch_vccnz .LBB507_230
; %bb.225:
	v_mul_lo_u32 v14, v9, s16
	v_mul_lo_u32 v15, v8, s17
	v_mad_u64_u32 v[10:11], s[0:1], v8, s16, 0
	v_add3_u32 v11, v11, v15, v14
	v_lshlrev_b64 v[10:11], 3, v[10:11]
	v_mov_b32_e32 v14, s19
	v_add_co_u32_e32 v10, vcc, s18, v10
	v_addc_co_u32_e32 v11, vcc, v14, v11, vcc
	v_mul_lo_u32 v20, v7, s16
	v_mul_lo_u32 v21, v6, s17
	v_mad_u64_u32 v[14:15], s[0:1], v6, s16, 0
	v_add3_u32 v15, v15, v21, v20
	v_lshlrev_b64 v[14:15], 3, v[14:15]
	v_mov_b32_e32 v20, s19
	v_add_co_u32_e32 v14, vcc, s18, v14
	v_addc_co_u32_e32 v15, vcc, v20, v15, vcc
	s_mov_b64 s[30:31], 0
	s_mov_b64 s[40:41], s[16:17]
                                        ; implicit-def: $sgpr34_sgpr35
                                        ; implicit-def: $sgpr36_sgpr37
                                        ; implicit-def: $sgpr0_sgpr1
                                        ; implicit-def: $sgpr38_sgpr39
                                        ; implicit-def: $sgpr42_sgpr43
	s_branch .LBB507_227
.LBB507_226:                            ;   in Loop: Header=BB507_227 Depth=1
	s_or_b64 exec, exec, s[44:45]
	s_and_b64 s[2:3], exec, s[36:37]
	s_or_b64 s[30:31], s[2:3], s[30:31]
	s_andn2_b64 s[2:3], s[42:43], exec
	s_and_b64 s[42:43], s[38:39], exec
	s_or_b64 s[42:43], s[2:3], s[42:43]
	s_andn2_b64 s[2:3], s[34:35], exec
	s_and_b64 s[34:35], s[0:1], exec
	s_or_b64 s[34:35], s[2:3], s[34:35]
	s_andn2_b64 exec, exec, s[30:31]
	s_cbranch_execz .LBB507_229
.LBB507_227:                            ; =>This Inner Loop Header: Depth=1
	global_load_dwordx2 v[20:21], v[10:11], off
	global_load_dwordx2 v[22:23], v[14:15], off
	s_andn2_b64 s[44:45], s[0:1], exec
	s_andn2_b64 s[38:39], s[38:39], exec
	s_or_b64 s[36:37], s[36:37], exec
	s_waitcnt vmcnt(0)
	v_cmp_le_i64_e64 s[0:1], v[20:21], v[22:23]
	v_cmp_lt_i64_e32 vcc, v[20:21], v[22:23]
	s_and_b64 s[0:1], s[0:1], s[42:43]
	s_or_b64 s[46:47], vcc, s[0:1]
	s_and_b64 s[0:1], s[46:47], exec
	v_cmp_eq_u64_e64 s[2:3], v[20:21], v[22:23]
	s_or_b64 s[0:1], s[44:45], s[0:1]
	s_and_saveexec_b64 s[44:45], s[2:3]
	s_cbranch_execz .LBB507_226
; %bb.228:                              ;   in Loop: Header=BB507_227 Depth=1
	s_add_u32 s40, s40, -1
	s_addc_u32 s41, s41, -1
	v_add_co_u32_e32 v10, vcc, 8, v10
	s_cmp_eq_u64 s[40:41], 0
	v_addc_co_u32_e32 v11, vcc, 0, v11, vcc
	s_cselect_b64 s[2:3], -1, 0
	v_add_co_u32_e32 v14, vcc, 8, v14
	s_andn2_b64 s[38:39], s[38:39], exec
	s_and_b64 s[42:43], s[46:47], exec
	s_andn2_b64 s[36:37], s[36:37], exec
	s_and_b64 s[2:3], s[2:3], exec
	v_addc_co_u32_e32 v15, vcc, 0, v15, vcc
	s_or_b64 s[38:39], s[38:39], s[42:43]
	s_andn2_b64 s[0:1], s[0:1], exec
	s_or_b64 s[36:37], s[36:37], s[2:3]
                                        ; implicit-def: $sgpr42_sgpr43
	s_branch .LBB507_226
.LBB507_229:
	s_or_b64 exec, exec, s[30:31]
	v_cndmask_b32_e64 v7, v7, v9, s[34:35]
	v_cndmask_b32_e64 v6, v6, v8, s[34:35]
.LBB507_230:
	v_pk_mov_b32 v[8:9], v[6:7], v[6:7] op_sel:[0,1]
.LBB507_231:
	s_or_b64 exec, exec, s[28:29]
	v_pk_mov_b32 v[6:7], v[8:9], v[8:9] op_sel:[0,1]
.LBB507_232:
	s_or_b64 exec, exec, s[26:27]
.LBB507_233:
	s_or_b64 exec, exec, s[4:5]
	v_and_b32_e32 v21, 0x1c0, v18
	v_or_b32_e32 v8, 32, v21
	v_min_u32_e32 v14, v17, v8
	v_add_u32_e32 v8, 32, v14
	v_min_u32_e32 v15, v17, v8
	v_and_b32_e32 v8, 60, v18
	v_min_u32_e32 v18, v17, v8
	v_sub_u32_e32 v8, v14, v21
	v_sub_u32_e32 v9, v15, v14
	v_sub_u32_e64 v20, v18, v9 clamp
	v_min_u32_e32 v17, v18, v8
	; wave barrier
	ds_write_b128 v19, v[0:3]
	ds_write_b128 v19, v[4:7] offset:16
	v_lshl_add_u32 v19, v21, 3, v16
	v_cmp_lt_u32_e32 vcc, v20, v17
	; wave barrier
	s_and_saveexec_b64 s[26:27], vcc
	s_cbranch_execz .LBB507_243
; %bb.234:
	v_lshlrev_b32_e32 v8, 3, v14
	v_lshlrev_b32_e32 v9, 3, v18
	v_add3_u32 v22, v16, v8, v9
	v_cndmask_b32_e64 v8, 0, 1, s[24:25]
	s_lshl_b64 s[30:31], s[16:17], 3
	s_mov_b64 s[28:29], 0
	v_cmp_ne_u32_e64 s[0:1], 1, v8
	s_branch .LBB507_237
.LBB507_235:                            ;   in Loop: Header=BB507_237 Depth=1
	s_or_b64 exec, exec, s[36:37]
.LBB507_236:                            ;   in Loop: Header=BB507_237 Depth=1
	v_add_u32_e32 v8, 1, v23
	v_cndmask_b32_e64 v17, v17, v23, s[34:35]
	v_cndmask_b32_e64 v20, v8, v20, s[34:35]
	v_cmp_ge_u32_e32 vcc, v20, v17
	s_or_b64 s[28:29], vcc, s[28:29]
	s_andn2_b64 exec, exec, s[28:29]
	s_cbranch_execz .LBB507_242
.LBB507_237:                            ; =>This Loop Header: Depth=1
                                        ;     Child Loop BB507_240 Depth 2
	v_add_u32_e32 v8, v17, v20
	v_lshrrev_b32_e32 v23, 1, v8
	s_and_b64 vcc, exec, s[0:1]
	s_mov_b64 s[34:35], 0
	s_cbranch_vccnz .LBB507_236
; %bb.238:                              ;   in Loop: Header=BB507_237 Depth=1
	v_not_b32_e32 v8, v23
	v_lshl_add_u32 v8, v8, 3, v22
	ds_read_b64 v[8:9], v8
	v_lshl_add_u32 v24, v23, 3, v19
	ds_read_b64 v[24:25], v24
	v_pk_mov_b32 v[10:11], s[18:19], s[18:19] op_sel:[0,1]
	s_mov_b64 s[36:37], 0
	s_waitcnt lgkmcnt(1)
	v_mul_lo_u32 v37, s30, v9
	v_mul_lo_u32 v38, s31, v8
	v_mad_u64_u32 v[8:9], s[2:3], s30, v8, v[10:11]
	v_add3_u32 v9, v38, v9, v37
	s_waitcnt lgkmcnt(0)
	v_mul_lo_u32 v25, s30, v25
	v_mul_lo_u32 v37, s31, v24
	v_mad_u64_u32 v[10:11], s[2:3], s30, v24, v[10:11]
	v_add3_u32 v11, v37, v11, v25
	s_mov_b64 s[42:43], s[16:17]
                                        ; implicit-def: $sgpr34_sgpr35
                                        ; implicit-def: $sgpr38_sgpr39
                                        ; implicit-def: $sgpr40_sgpr41
                                        ; implicit-def: $sgpr2_sgpr3
                                        ; implicit-def: $sgpr44_sgpr45
	s_branch .LBB507_240
.LBB507_239:                            ;   in Loop: Header=BB507_240 Depth=2
	s_or_b64 exec, exec, s[46:47]
	s_and_b64 s[4:5], exec, s[38:39]
	s_or_b64 s[36:37], s[4:5], s[36:37]
	s_andn2_b64 s[4:5], s[44:45], exec
	s_and_b64 s[44:45], s[40:41], exec
	s_or_b64 s[44:45], s[4:5], s[44:45]
	s_andn2_b64 s[4:5], s[34:35], exec
	s_and_b64 s[34:35], s[2:3], exec
	s_or_b64 s[34:35], s[4:5], s[34:35]
	s_andn2_b64 exec, exec, s[36:37]
	s_cbranch_execz .LBB507_235
.LBB507_240:                            ;   Parent Loop BB507_237 Depth=1
                                        ; =>  This Inner Loop Header: Depth=2
	global_load_dwordx2 v[24:25], v[8:9], off
	global_load_dwordx2 v[38:39], v[10:11], off
	s_andn2_b64 s[46:47], s[2:3], exec
	s_andn2_b64 s[40:41], s[40:41], exec
	s_or_b64 s[38:39], s[38:39], exec
	s_waitcnt vmcnt(0)
	v_cmp_le_i64_e64 s[2:3], v[24:25], v[38:39]
	v_cmp_lt_i64_e32 vcc, v[24:25], v[38:39]
	s_and_b64 s[2:3], s[2:3], s[44:45]
	s_or_b64 s[48:49], vcc, s[2:3]
	s_and_b64 s[2:3], s[48:49], exec
	v_cmp_eq_u64_e64 s[4:5], v[24:25], v[38:39]
	s_or_b64 s[2:3], s[46:47], s[2:3]
	s_and_saveexec_b64 s[46:47], s[4:5]
	s_cbranch_execz .LBB507_239
; %bb.241:                              ;   in Loop: Header=BB507_240 Depth=2
	s_add_u32 s42, s42, -1
	s_addc_u32 s43, s43, -1
	v_add_co_u32_e32 v8, vcc, 8, v8
	s_cmp_eq_u64 s[42:43], 0
	v_addc_co_u32_e32 v9, vcc, 0, v9, vcc
	s_cselect_b64 s[4:5], -1, 0
	v_add_co_u32_e32 v10, vcc, 8, v10
	s_andn2_b64 s[40:41], s[40:41], exec
	s_and_b64 s[44:45], s[48:49], exec
	s_andn2_b64 s[38:39], s[38:39], exec
	s_and_b64 s[4:5], s[4:5], exec
	v_addc_co_u32_e32 v11, vcc, 0, v11, vcc
	s_andn2_b64 s[2:3], s[2:3], exec
	s_or_b64 s[40:41], s[40:41], s[44:45]
	s_or_b64 s[38:39], s[38:39], s[4:5]
                                        ; implicit-def: $sgpr44_sgpr45
	s_branch .LBB507_239
.LBB507_242:
	s_or_b64 exec, exec, s[28:29]
.LBB507_243:
	s_or_b64 exec, exec, s[26:27]
	v_add_u32_e32 v8, v14, v18
	v_add_u32_e32 v17, v20, v21
	v_sub_u32_e32 v18, v8, v20
	v_cmp_le_u32_e32 vcc, v17, v14
	v_cmp_le_u32_e64 s[0:1], v18, v15
	s_or_b64 s[0:1], vcc, s[0:1]
	s_and_saveexec_b64 s[4:5], s[0:1]
	s_cbranch_execz .LBB507_290
; %bb.244:
	v_cmp_ge_u32_e32 vcc, v17, v14
	v_cmp_lt_u32_e64 s[0:1], v17, v14
                                        ; implicit-def: $vgpr0_vgpr1
	s_and_saveexec_b64 s[2:3], s[0:1]
	s_cbranch_execz .LBB507_246
; %bb.245:
	v_lshl_add_u32 v0, v20, 3, v19
	ds_read_b64 v[0:1], v0
.LBB507_246:
	s_or_b64 exec, exec, s[2:3]
	v_cmp_ge_u32_e64 s[26:27], v18, v15
	v_cmp_lt_u32_e64 s[0:1], v18, v15
                                        ; implicit-def: $vgpr4_vgpr5
	s_and_saveexec_b64 s[2:3], s[0:1]
	s_cbranch_execz .LBB507_248
; %bb.247:
	v_lshl_add_u32 v2, v18, 3, v16
	ds_read_b64 v[4:5], v2
.LBB507_248:
	s_or_b64 exec, exec, s[2:3]
	s_or_b64 s[0:1], vcc, s[26:27]
	s_mov_b64 s[28:29], -1
	s_xor_b64 s[0:1], s[0:1], -1
	s_and_saveexec_b64 s[30:31], s[0:1]
	s_cbranch_execz .LBB507_257
; %bb.249:
	s_andn2_b64 vcc, exec, s[24:25]
	s_cbranch_vccnz .LBB507_255
; %bb.250:
	s_waitcnt lgkmcnt(0)
	v_mul_lo_u32 v6, v5, s16
	v_mul_lo_u32 v7, v4, s17
	v_mad_u64_u32 v[2:3], s[0:1], v4, s16, 0
	v_add3_u32 v3, v3, v7, v6
	v_lshlrev_b64 v[2:3], 3, v[2:3]
	v_mov_b32_e32 v6, s19
	v_add_co_u32_e32 v2, vcc, s18, v2
	v_addc_co_u32_e32 v3, vcc, v6, v3, vcc
	v_mul_lo_u32 v8, v1, s16
	v_mul_lo_u32 v9, v0, s17
	v_mad_u64_u32 v[6:7], s[0:1], v0, s16, 0
	v_add3_u32 v7, v7, v9, v8
	v_lshlrev_b64 v[6:7], 3, v[6:7]
	v_mov_b32_e32 v8, s19
	v_add_co_u32_e32 v6, vcc, s18, v6
	v_addc_co_u32_e32 v7, vcc, v8, v7, vcc
	s_mov_b64 s[34:35], 0
	s_mov_b64 s[42:43], s[16:17]
                                        ; implicit-def: $sgpr36_sgpr37
                                        ; implicit-def: $sgpr38_sgpr39
                                        ; implicit-def: $sgpr0_sgpr1
                                        ; implicit-def: $sgpr40_sgpr41
                                        ; implicit-def: $sgpr44_sgpr45
	s_branch .LBB507_252
.LBB507_251:                            ;   in Loop: Header=BB507_252 Depth=1
	s_or_b64 exec, exec, s[46:47]
	s_and_b64 s[2:3], exec, s[38:39]
	s_or_b64 s[34:35], s[2:3], s[34:35]
	s_andn2_b64 s[2:3], s[44:45], exec
	s_and_b64 s[44:45], s[40:41], exec
	s_or_b64 s[44:45], s[2:3], s[44:45]
	s_andn2_b64 s[2:3], s[36:37], exec
	s_and_b64 s[36:37], s[0:1], exec
	s_or_b64 s[36:37], s[2:3], s[36:37]
	s_andn2_b64 exec, exec, s[34:35]
	s_cbranch_execz .LBB507_254
.LBB507_252:                            ; =>This Inner Loop Header: Depth=1
	global_load_dwordx2 v[8:9], v[2:3], off
	global_load_dwordx2 v[10:11], v[6:7], off
	s_andn2_b64 s[46:47], s[0:1], exec
	s_andn2_b64 s[40:41], s[40:41], exec
	s_or_b64 s[38:39], s[38:39], exec
	s_waitcnt vmcnt(0)
	v_cmp_le_i64_e64 s[0:1], v[8:9], v[10:11]
	v_cmp_lt_i64_e32 vcc, v[8:9], v[10:11]
	s_and_b64 s[0:1], s[0:1], s[44:45]
	s_or_b64 s[48:49], vcc, s[0:1]
	s_and_b64 s[0:1], s[48:49], exec
	v_cmp_eq_u64_e64 s[2:3], v[8:9], v[10:11]
	s_or_b64 s[0:1], s[46:47], s[0:1]
	s_and_saveexec_b64 s[46:47], s[2:3]
	s_cbranch_execz .LBB507_251
; %bb.253:                              ;   in Loop: Header=BB507_252 Depth=1
	s_add_u32 s42, s42, -1
	s_addc_u32 s43, s43, -1
	v_add_co_u32_e32 v2, vcc, 8, v2
	s_cmp_eq_u64 s[42:43], 0
	v_addc_co_u32_e32 v3, vcc, 0, v3, vcc
	s_cselect_b64 s[2:3], -1, 0
	v_add_co_u32_e32 v6, vcc, 8, v6
	s_andn2_b64 s[40:41], s[40:41], exec
	s_and_b64 s[44:45], s[48:49], exec
	s_andn2_b64 s[38:39], s[38:39], exec
	s_and_b64 s[2:3], s[2:3], exec
	v_addc_co_u32_e32 v7, vcc, 0, v7, vcc
	s_or_b64 s[40:41], s[40:41], s[44:45]
	s_andn2_b64 s[0:1], s[0:1], exec
	s_or_b64 s[38:39], s[38:39], s[2:3]
                                        ; implicit-def: $sgpr44_sgpr45
	s_branch .LBB507_251
.LBB507_254:
	s_or_b64 exec, exec, s[34:35]
	s_xor_b64 s[0:1], s[36:37], -1
	s_branch .LBB507_256
.LBB507_255:
	s_mov_b64 s[0:1], -1
.LBB507_256:
	s_andn2_b64 s[2:3], s[26:27], exec
	s_and_b64 s[0:1], s[0:1], exec
	s_or_b64 s[26:27], s[2:3], s[0:1]
.LBB507_257:
	s_or_b64 exec, exec, s[30:31]
	v_cndmask_b32_e64 v2, v18, v17, s[26:27]
	v_cndmask_b32_e64 v3, v15, v14, s[26:27]
	v_add_u32_e32 v6, 1, v2
	v_add_u32_e32 v2, -1, v3
	v_min_u32_e32 v2, v6, v2
	v_lshl_add_u32 v2, v2, 3, v16
	ds_read_b64 v[2:3], v2
	v_cndmask_b32_e64 v19, v6, v18, s[26:27]
	v_cndmask_b32_e64 v23, v17, v6, s[26:27]
	v_cmp_lt_u32_e32 vcc, v19, v15
	s_waitcnt lgkmcnt(0)
	v_cndmask_b32_e64 v8, v3, v5, s[26:27]
	v_cndmask_b32_e64 v9, v2, v4, s[26:27]
	;; [unrolled: 1-line block ×4, first 2 shown]
	s_and_saveexec_b64 s[30:31], vcc
	s_cbranch_execz .LBB507_268
; %bb.258:
	v_cmp_lt_u32_e32 vcc, v23, v14
	s_mov_b64 s[0:1], 0
	s_and_saveexec_b64 s[28:29], vcc
	s_cbranch_execz .LBB507_267
; %bb.259:
	s_andn2_b64 vcc, exec, s[24:25]
	s_cbranch_vccnz .LBB507_265
; %bb.260:
	v_mul_lo_u32 v6, v8, s16
	v_mul_lo_u32 v7, v9, s17
	v_mad_u64_u32 v[2:3], s[0:1], v9, s16, 0
	v_add3_u32 v3, v3, v7, v6
	v_lshlrev_b64 v[2:3], 3, v[2:3]
	v_mov_b32_e32 v6, s19
	v_add_co_u32_e32 v2, vcc, s18, v2
	v_addc_co_u32_e32 v3, vcc, v6, v3, vcc
	v_mul_lo_u32 v17, v10, s16
	v_mul_lo_u32 v18, v11, s17
	v_mad_u64_u32 v[6:7], s[0:1], v11, s16, 0
	v_add3_u32 v7, v7, v18, v17
	v_lshlrev_b64 v[6:7], 3, v[6:7]
	v_mov_b32_e32 v17, s19
	v_add_co_u32_e32 v6, vcc, s18, v6
	v_addc_co_u32_e32 v7, vcc, v17, v7, vcc
	s_mov_b64 s[34:35], 0
	s_mov_b64 s[42:43], s[16:17]
                                        ; implicit-def: $sgpr36_sgpr37
                                        ; implicit-def: $sgpr38_sgpr39
                                        ; implicit-def: $sgpr0_sgpr1
                                        ; implicit-def: $sgpr40_sgpr41
                                        ; implicit-def: $sgpr44_sgpr45
	s_branch .LBB507_262
.LBB507_261:                            ;   in Loop: Header=BB507_262 Depth=1
	s_or_b64 exec, exec, s[46:47]
	s_and_b64 s[2:3], exec, s[38:39]
	s_or_b64 s[34:35], s[2:3], s[34:35]
	s_andn2_b64 s[2:3], s[44:45], exec
	s_and_b64 s[44:45], s[40:41], exec
	s_or_b64 s[44:45], s[2:3], s[44:45]
	s_andn2_b64 s[2:3], s[36:37], exec
	s_and_b64 s[36:37], s[0:1], exec
	s_or_b64 s[36:37], s[2:3], s[36:37]
	s_andn2_b64 exec, exec, s[34:35]
	s_cbranch_execz .LBB507_264
.LBB507_262:                            ; =>This Inner Loop Header: Depth=1
	global_load_dwordx2 v[20:21], v[2:3], off
	global_load_dwordx2 v[24:25], v[6:7], off
	s_andn2_b64 s[46:47], s[0:1], exec
	s_andn2_b64 s[40:41], s[40:41], exec
	s_or_b64 s[38:39], s[38:39], exec
	s_waitcnt vmcnt(0)
	v_cmp_le_i64_e64 s[0:1], v[20:21], v[24:25]
	v_cmp_lt_i64_e32 vcc, v[20:21], v[24:25]
	s_and_b64 s[0:1], s[0:1], s[44:45]
	s_or_b64 s[48:49], vcc, s[0:1]
	s_and_b64 s[0:1], s[48:49], exec
	v_cmp_eq_u64_e64 s[2:3], v[20:21], v[24:25]
	s_or_b64 s[0:1], s[46:47], s[0:1]
	s_and_saveexec_b64 s[46:47], s[2:3]
	s_cbranch_execz .LBB507_261
; %bb.263:                              ;   in Loop: Header=BB507_262 Depth=1
	s_add_u32 s42, s42, -1
	s_addc_u32 s43, s43, -1
	v_add_co_u32_e32 v2, vcc, 8, v2
	s_cmp_eq_u64 s[42:43], 0
	v_addc_co_u32_e32 v3, vcc, 0, v3, vcc
	s_cselect_b64 s[2:3], -1, 0
	v_add_co_u32_e32 v6, vcc, 8, v6
	s_andn2_b64 s[40:41], s[40:41], exec
	s_and_b64 s[44:45], s[48:49], exec
	s_andn2_b64 s[38:39], s[38:39], exec
	s_and_b64 s[2:3], s[2:3], exec
	v_addc_co_u32_e32 v7, vcc, 0, v7, vcc
	s_or_b64 s[40:41], s[40:41], s[44:45]
	s_andn2_b64 s[0:1], s[0:1], exec
	s_or_b64 s[38:39], s[38:39], s[2:3]
                                        ; implicit-def: $sgpr44_sgpr45
	s_branch .LBB507_261
.LBB507_264:
	s_or_b64 exec, exec, s[34:35]
	s_xor_b64 s[0:1], s[36:37], -1
	s_branch .LBB507_266
.LBB507_265:
	s_mov_b64 s[0:1], -1
.LBB507_266:
	s_and_b64 s[0:1], s[0:1], exec
.LBB507_267:
	s_or_b64 exec, exec, s[28:29]
	s_orn2_b64 s[28:29], s[0:1], exec
.LBB507_268:
	s_or_b64 exec, exec, s[30:31]
	v_cndmask_b32_e64 v2, v19, v23, s[28:29]
	v_cndmask_b32_e64 v3, v15, v14, s[28:29]
	v_add_u32_e32 v6, 1, v2
	v_add_u32_e32 v2, -1, v3
	v_min_u32_e32 v2, v6, v2
	v_lshl_add_u32 v2, v2, 3, v16
	ds_read_b64 v[2:3], v2
	v_cndmask_b32_e64 v20, v6, v19, s[28:29]
	v_cndmask_b32_e64 v19, v23, v6, s[28:29]
	v_cmp_lt_u32_e32 vcc, v20, v15
	s_mov_b64 s[0:1], -1
	s_waitcnt lgkmcnt(0)
	v_cndmask_b32_e64 v17, v3, v8, s[28:29]
	v_cndmask_b32_e64 v18, v2, v9, s[28:29]
	;; [unrolled: 1-line block ×4, first 2 shown]
	s_and_saveexec_b64 s[30:31], vcc
	s_cbranch_execz .LBB507_279
; %bb.269:
	v_cmp_lt_u32_e32 vcc, v19, v14
	s_mov_b64 s[0:1], 0
	s_and_saveexec_b64 s[34:35], vcc
	s_cbranch_execz .LBB507_278
; %bb.270:
	s_andn2_b64 vcc, exec, s[24:25]
	s_cbranch_vccnz .LBB507_276
; %bb.271:
	v_mul_lo_u32 v6, v17, s16
	v_mul_lo_u32 v7, v18, s17
	v_mad_u64_u32 v[2:3], s[0:1], v18, s16, 0
	v_add3_u32 v3, v3, v7, v6
	v_lshlrev_b64 v[2:3], 3, v[2:3]
	v_mov_b32_e32 v6, s19
	v_add_co_u32_e32 v2, vcc, s18, v2
	v_addc_co_u32_e32 v3, vcc, v6, v3, vcc
	v_mul_lo_u32 v23, v21, s16
	v_mul_lo_u32 v24, v22, s17
	v_mad_u64_u32 v[6:7], s[0:1], v22, s16, 0
	v_add3_u32 v7, v7, v24, v23
	v_lshlrev_b64 v[6:7], 3, v[6:7]
	v_mov_b32_e32 v23, s19
	v_add_co_u32_e32 v6, vcc, s18, v6
	v_addc_co_u32_e32 v7, vcc, v23, v7, vcc
	s_mov_b64 s[36:37], 0
	s_mov_b64 s[44:45], s[16:17]
                                        ; implicit-def: $sgpr38_sgpr39
                                        ; implicit-def: $sgpr40_sgpr41
                                        ; implicit-def: $sgpr0_sgpr1
                                        ; implicit-def: $sgpr42_sgpr43
                                        ; implicit-def: $sgpr46_sgpr47
	s_branch .LBB507_273
.LBB507_272:                            ;   in Loop: Header=BB507_273 Depth=1
	s_or_b64 exec, exec, s[48:49]
	s_and_b64 s[2:3], exec, s[40:41]
	s_or_b64 s[36:37], s[2:3], s[36:37]
	s_andn2_b64 s[2:3], s[46:47], exec
	s_and_b64 s[46:47], s[42:43], exec
	s_or_b64 s[46:47], s[2:3], s[46:47]
	s_andn2_b64 s[2:3], s[38:39], exec
	s_and_b64 s[38:39], s[0:1], exec
	s_or_b64 s[38:39], s[2:3], s[38:39]
	s_andn2_b64 exec, exec, s[36:37]
	s_cbranch_execz .LBB507_275
.LBB507_273:                            ; =>This Inner Loop Header: Depth=1
	global_load_dwordx2 v[24:25], v[2:3], off
	global_load_dwordx2 v[38:39], v[6:7], off
	s_andn2_b64 s[48:49], s[0:1], exec
	s_andn2_b64 s[42:43], s[42:43], exec
	s_or_b64 s[40:41], s[40:41], exec
	s_waitcnt vmcnt(0)
	v_cmp_le_i64_e64 s[0:1], v[24:25], v[38:39]
	v_cmp_lt_i64_e32 vcc, v[24:25], v[38:39]
	s_and_b64 s[0:1], s[0:1], s[46:47]
	s_or_b64 s[50:51], vcc, s[0:1]
	s_and_b64 s[0:1], s[50:51], exec
	v_cmp_eq_u64_e64 s[2:3], v[24:25], v[38:39]
	s_or_b64 s[0:1], s[48:49], s[0:1]
	s_and_saveexec_b64 s[48:49], s[2:3]
	s_cbranch_execz .LBB507_272
; %bb.274:                              ;   in Loop: Header=BB507_273 Depth=1
	s_add_u32 s44, s44, -1
	s_addc_u32 s45, s45, -1
	v_add_co_u32_e32 v2, vcc, 8, v2
	s_cmp_eq_u64 s[44:45], 0
	v_addc_co_u32_e32 v3, vcc, 0, v3, vcc
	s_cselect_b64 s[2:3], -1, 0
	v_add_co_u32_e32 v6, vcc, 8, v6
	s_andn2_b64 s[42:43], s[42:43], exec
	s_and_b64 s[46:47], s[50:51], exec
	s_andn2_b64 s[40:41], s[40:41], exec
	s_and_b64 s[2:3], s[2:3], exec
	v_addc_co_u32_e32 v7, vcc, 0, v7, vcc
	s_or_b64 s[42:43], s[42:43], s[46:47]
	s_andn2_b64 s[0:1], s[0:1], exec
	s_or_b64 s[40:41], s[40:41], s[2:3]
                                        ; implicit-def: $sgpr46_sgpr47
	s_branch .LBB507_272
.LBB507_275:
	s_or_b64 exec, exec, s[36:37]
	s_xor_b64 s[0:1], s[38:39], -1
	s_branch .LBB507_277
.LBB507_276:
	s_mov_b64 s[0:1], -1
.LBB507_277:
	s_and_b64 s[0:1], s[0:1], exec
.LBB507_278:
	s_or_b64 exec, exec, s[34:35]
	s_orn2_b64 s[0:1], s[0:1], exec
.LBB507_279:
	s_or_b64 exec, exec, s[30:31]
	v_cndmask_b32_e64 v6, v20, v19, s[0:1]
	v_cndmask_b32_e64 v7, v15, v14, s[0:1]
	;; [unrolled: 1-line block ×3, first 2 shown]
	v_add_u32_e32 v10, 1, v6
	v_add_u32_e32 v6, -1, v7
	v_min_u32_e32 v6, v10, v6
	v_lshl_add_u32 v6, v6, 3, v16
	v_cndmask_b32_e64 v2, v9, v11, s[28:29]
	ds_read_b64 v[8:9], v6
	v_cndmask_b32_e64 v11, v10, v20, s[0:1]
	v_cndmask_b32_e64 v1, v5, v1, s[26:27]
	;; [unrolled: 1-line block ×5, first 2 shown]
	s_waitcnt lgkmcnt(0)
	v_cndmask_b32_e64 v7, v21, v9, s[0:1]
	v_cndmask_b32_e64 v6, v22, v8, s[0:1]
	v_cmp_lt_u32_e32 vcc, v11, v15
	s_and_saveexec_b64 s[26:27], vcc
	s_cbranch_execz .LBB507_289
; %bb.280:
	v_cndmask_b32_e64 v10, v19, v10, s[0:1]
	v_cndmask_b32_e64 v9, v9, v17, s[0:1]
	;; [unrolled: 1-line block ×3, first 2 shown]
	v_cmp_lt_u32_e32 vcc, v10, v14
	s_and_saveexec_b64 s[28:29], vcc
	s_cbranch_execz .LBB507_288
; %bb.281:
	s_andn2_b64 vcc, exec, s[24:25]
	s_cbranch_vccnz .LBB507_287
; %bb.282:
	v_mul_lo_u32 v14, v9, s16
	v_mul_lo_u32 v15, v8, s17
	v_mad_u64_u32 v[10:11], s[0:1], v8, s16, 0
	v_add3_u32 v11, v11, v15, v14
	v_lshlrev_b64 v[10:11], 3, v[10:11]
	v_mov_b32_e32 v14, s19
	v_add_co_u32_e32 v10, vcc, s18, v10
	v_addc_co_u32_e32 v11, vcc, v14, v11, vcc
	v_mul_lo_u32 v16, v7, s16
	v_mul_lo_u32 v17, v6, s17
	v_mad_u64_u32 v[14:15], s[0:1], v6, s16, 0
	v_add3_u32 v15, v15, v17, v16
	v_lshlrev_b64 v[14:15], 3, v[14:15]
	v_mov_b32_e32 v16, s19
	v_add_co_u32_e32 v14, vcc, s18, v14
	v_addc_co_u32_e32 v15, vcc, v16, v15, vcc
	s_mov_b64 s[30:31], 0
	s_mov_b64 s[40:41], s[16:17]
                                        ; implicit-def: $sgpr34_sgpr35
                                        ; implicit-def: $sgpr36_sgpr37
                                        ; implicit-def: $sgpr0_sgpr1
                                        ; implicit-def: $sgpr38_sgpr39
                                        ; implicit-def: $sgpr42_sgpr43
	s_branch .LBB507_284
.LBB507_283:                            ;   in Loop: Header=BB507_284 Depth=1
	s_or_b64 exec, exec, s[44:45]
	s_and_b64 s[2:3], exec, s[36:37]
	s_or_b64 s[30:31], s[2:3], s[30:31]
	s_andn2_b64 s[2:3], s[42:43], exec
	s_and_b64 s[42:43], s[38:39], exec
	s_or_b64 s[42:43], s[2:3], s[42:43]
	s_andn2_b64 s[2:3], s[34:35], exec
	s_and_b64 s[34:35], s[0:1], exec
	s_or_b64 s[34:35], s[2:3], s[34:35]
	s_andn2_b64 exec, exec, s[30:31]
	s_cbranch_execz .LBB507_286
.LBB507_284:                            ; =>This Inner Loop Header: Depth=1
	global_load_dwordx2 v[16:17], v[10:11], off
	global_load_dwordx2 v[18:19], v[14:15], off
	s_andn2_b64 s[44:45], s[0:1], exec
	s_andn2_b64 s[38:39], s[38:39], exec
	s_or_b64 s[36:37], s[36:37], exec
	s_waitcnt vmcnt(0)
	v_cmp_le_i64_e64 s[0:1], v[16:17], v[18:19]
	v_cmp_lt_i64_e32 vcc, v[16:17], v[18:19]
	s_and_b64 s[0:1], s[0:1], s[42:43]
	s_or_b64 s[46:47], vcc, s[0:1]
	s_and_b64 s[0:1], s[46:47], exec
	v_cmp_eq_u64_e64 s[2:3], v[16:17], v[18:19]
	s_or_b64 s[0:1], s[44:45], s[0:1]
	s_and_saveexec_b64 s[44:45], s[2:3]
	s_cbranch_execz .LBB507_283
; %bb.285:                              ;   in Loop: Header=BB507_284 Depth=1
	s_add_u32 s40, s40, -1
	s_addc_u32 s41, s41, -1
	v_add_co_u32_e32 v10, vcc, 8, v10
	s_cmp_eq_u64 s[40:41], 0
	v_addc_co_u32_e32 v11, vcc, 0, v11, vcc
	s_cselect_b64 s[2:3], -1, 0
	v_add_co_u32_e32 v14, vcc, 8, v14
	s_andn2_b64 s[38:39], s[38:39], exec
	s_and_b64 s[42:43], s[46:47], exec
	s_andn2_b64 s[36:37], s[36:37], exec
	s_and_b64 s[2:3], s[2:3], exec
	v_addc_co_u32_e32 v15, vcc, 0, v15, vcc
	s_or_b64 s[38:39], s[38:39], s[42:43]
	s_andn2_b64 s[0:1], s[0:1], exec
	s_or_b64 s[36:37], s[36:37], s[2:3]
                                        ; implicit-def: $sgpr42_sgpr43
	s_branch .LBB507_283
.LBB507_286:
	s_or_b64 exec, exec, s[30:31]
	v_cndmask_b32_e64 v7, v7, v9, s[34:35]
	v_cndmask_b32_e64 v6, v6, v8, s[34:35]
.LBB507_287:
	v_pk_mov_b32 v[8:9], v[6:7], v[6:7] op_sel:[0,1]
.LBB507_288:
	s_or_b64 exec, exec, s[28:29]
	v_pk_mov_b32 v[6:7], v[8:9], v[8:9] op_sel:[0,1]
.LBB507_289:
	s_or_b64 exec, exec, s[26:27]
.LBB507_290:
	s_or_b64 exec, exec, s[4:5]
	v_and_b32_e32 v17, 0xf80, v27
	v_or_b32_e32 v8, 64, v17
	v_min_u32_e32 v14, 0x400, v8
	v_min_u32_e32 v8, 0x3c0, v8
	v_add_u32_e32 v15, 64, v8
	v_and_b32_e32 v18, 0x7c, v27
	v_sub_u32_e32 v8, v14, v17
	v_sub_u32_e32 v9, v15, v14
	v_sub_u32_e64 v20, v18, v9 clamp
	v_min_u32_e32 v21, v18, v8
	v_lshlrev_b32_e32 v16, 3, v27
	v_lshlrev_b32_e32 v19, 3, v17
	v_cmp_lt_u32_e32 vcc, v20, v21
	; wave barrier
	s_waitcnt lgkmcnt(0)
	s_barrier
	ds_write_b128 v16, v[0:3]
	ds_write_b128 v16, v[4:7] offset:16
	s_waitcnt lgkmcnt(0)
	s_barrier
	s_and_saveexec_b64 s[26:27], vcc
	s_cbranch_execz .LBB507_300
; %bb.291:
	v_lshlrev_b32_e32 v8, 3, v18
	v_lshl_add_u32 v22, v14, 3, v8
	v_cndmask_b32_e64 v8, 0, 1, s[24:25]
	s_lshl_b64 s[30:31], s[16:17], 3
	s_mov_b64 s[28:29], 0
	v_cmp_ne_u32_e64 s[0:1], 1, v8
	s_branch .LBB507_294
.LBB507_292:                            ;   in Loop: Header=BB507_294 Depth=1
	s_or_b64 exec, exec, s[36:37]
.LBB507_293:                            ;   in Loop: Header=BB507_294 Depth=1
	v_add_u32_e32 v8, 1, v23
	v_cndmask_b32_e64 v21, v21, v23, s[34:35]
	v_cndmask_b32_e64 v20, v8, v20, s[34:35]
	v_cmp_ge_u32_e32 vcc, v20, v21
	s_or_b64 s[28:29], vcc, s[28:29]
	s_andn2_b64 exec, exec, s[28:29]
	s_cbranch_execz .LBB507_299
.LBB507_294:                            ; =>This Loop Header: Depth=1
                                        ;     Child Loop BB507_297 Depth 2
	v_add_u32_e32 v8, v21, v20
	v_lshrrev_b32_e32 v23, 1, v8
	s_and_b64 vcc, exec, s[0:1]
	s_mov_b64 s[34:35], 0
	s_cbranch_vccnz .LBB507_293
; %bb.295:                              ;   in Loop: Header=BB507_294 Depth=1
	v_not_b32_e32 v8, v23
	v_lshl_add_u32 v8, v8, 3, v22
	ds_read_b64 v[8:9], v8
	v_lshl_add_u32 v24, v23, 3, v19
	ds_read_b64 v[24:25], v24
	v_pk_mov_b32 v[10:11], s[18:19], s[18:19] op_sel:[0,1]
	s_mov_b64 s[36:37], 0
	s_waitcnt lgkmcnt(1)
	v_mul_lo_u32 v37, s30, v9
	v_mul_lo_u32 v38, s31, v8
	v_mad_u64_u32 v[8:9], s[2:3], s30, v8, v[10:11]
	v_add3_u32 v9, v38, v9, v37
	s_waitcnt lgkmcnt(0)
	v_mul_lo_u32 v25, s30, v25
	v_mul_lo_u32 v37, s31, v24
	v_mad_u64_u32 v[10:11], s[2:3], s30, v24, v[10:11]
	v_add3_u32 v11, v37, v11, v25
	s_mov_b64 s[42:43], s[16:17]
                                        ; implicit-def: $sgpr34_sgpr35
                                        ; implicit-def: $sgpr38_sgpr39
                                        ; implicit-def: $sgpr40_sgpr41
                                        ; implicit-def: $sgpr2_sgpr3
                                        ; implicit-def: $sgpr44_sgpr45
	s_branch .LBB507_297
.LBB507_296:                            ;   in Loop: Header=BB507_297 Depth=2
	s_or_b64 exec, exec, s[46:47]
	s_and_b64 s[4:5], exec, s[38:39]
	s_or_b64 s[36:37], s[4:5], s[36:37]
	s_andn2_b64 s[4:5], s[44:45], exec
	s_and_b64 s[44:45], s[40:41], exec
	s_or_b64 s[44:45], s[4:5], s[44:45]
	s_andn2_b64 s[4:5], s[34:35], exec
	s_and_b64 s[34:35], s[2:3], exec
	s_or_b64 s[34:35], s[4:5], s[34:35]
	s_andn2_b64 exec, exec, s[36:37]
	s_cbranch_execz .LBB507_292
.LBB507_297:                            ;   Parent Loop BB507_294 Depth=1
                                        ; =>  This Inner Loop Header: Depth=2
	global_load_dwordx2 v[24:25], v[8:9], off
	global_load_dwordx2 v[38:39], v[10:11], off
	s_andn2_b64 s[46:47], s[2:3], exec
	s_andn2_b64 s[40:41], s[40:41], exec
	s_or_b64 s[38:39], s[38:39], exec
	s_waitcnt vmcnt(0)
	v_cmp_le_i64_e64 s[2:3], v[24:25], v[38:39]
	v_cmp_lt_i64_e32 vcc, v[24:25], v[38:39]
	s_and_b64 s[2:3], s[2:3], s[44:45]
	s_or_b64 s[48:49], vcc, s[2:3]
	s_and_b64 s[2:3], s[48:49], exec
	v_cmp_eq_u64_e64 s[4:5], v[24:25], v[38:39]
	s_or_b64 s[2:3], s[46:47], s[2:3]
	s_and_saveexec_b64 s[46:47], s[4:5]
	s_cbranch_execz .LBB507_296
; %bb.298:                              ;   in Loop: Header=BB507_297 Depth=2
	s_add_u32 s42, s42, -1
	s_addc_u32 s43, s43, -1
	v_add_co_u32_e32 v8, vcc, 8, v8
	s_cmp_eq_u64 s[42:43], 0
	v_addc_co_u32_e32 v9, vcc, 0, v9, vcc
	s_cselect_b64 s[4:5], -1, 0
	v_add_co_u32_e32 v10, vcc, 8, v10
	s_andn2_b64 s[40:41], s[40:41], exec
	s_and_b64 s[44:45], s[48:49], exec
	s_andn2_b64 s[38:39], s[38:39], exec
	s_and_b64 s[4:5], s[4:5], exec
	v_addc_co_u32_e32 v11, vcc, 0, v11, vcc
	s_andn2_b64 s[2:3], s[2:3], exec
	s_or_b64 s[40:41], s[40:41], s[44:45]
	s_or_b64 s[38:39], s[38:39], s[4:5]
                                        ; implicit-def: $sgpr44_sgpr45
	s_branch .LBB507_296
.LBB507_299:
	s_or_b64 exec, exec, s[28:29]
.LBB507_300:
	s_or_b64 exec, exec, s[26:27]
	v_sub_u32_e32 v8, v18, v20
	v_add_u32_e32 v17, v20, v17
	v_add_u32_e32 v18, v8, v14
	v_cmp_le_u32_e32 vcc, v17, v14
	v_cmp_le_u32_e64 s[0:1], v18, v15
	s_or_b64 s[0:1], vcc, s[0:1]
	s_and_saveexec_b64 s[4:5], s[0:1]
	s_cbranch_execz .LBB507_347
; %bb.301:
	v_cmp_ge_u32_e32 vcc, v17, v14
	v_cmp_lt_u32_e64 s[0:1], v17, v14
                                        ; implicit-def: $vgpr0_vgpr1
	s_and_saveexec_b64 s[2:3], s[0:1]
	s_cbranch_execz .LBB507_303
; %bb.302:
	v_lshl_add_u32 v0, v20, 3, v19
	ds_read_b64 v[0:1], v0
.LBB507_303:
	s_or_b64 exec, exec, s[2:3]
	v_cmp_ge_u32_e64 s[26:27], v18, v15
	v_cmp_lt_u32_e64 s[0:1], v18, v15
                                        ; implicit-def: $vgpr4_vgpr5
	s_and_saveexec_b64 s[2:3], s[0:1]
	s_cbranch_execz .LBB507_305
; %bb.304:
	v_lshlrev_b32_e32 v2, 3, v18
	ds_read_b64 v[4:5], v2
.LBB507_305:
	s_or_b64 exec, exec, s[2:3]
	s_or_b64 s[0:1], vcc, s[26:27]
	s_mov_b64 s[28:29], -1
	s_xor_b64 s[0:1], s[0:1], -1
	s_and_saveexec_b64 s[30:31], s[0:1]
	s_cbranch_execz .LBB507_314
; %bb.306:
	s_andn2_b64 vcc, exec, s[24:25]
	s_cbranch_vccnz .LBB507_312
; %bb.307:
	s_waitcnt lgkmcnt(0)
	v_mul_lo_u32 v6, v5, s16
	v_mul_lo_u32 v7, v4, s17
	v_mad_u64_u32 v[2:3], s[0:1], v4, s16, 0
	v_add3_u32 v3, v3, v7, v6
	v_lshlrev_b64 v[2:3], 3, v[2:3]
	v_mov_b32_e32 v6, s19
	v_add_co_u32_e32 v2, vcc, s18, v2
	v_addc_co_u32_e32 v3, vcc, v6, v3, vcc
	v_mul_lo_u32 v8, v1, s16
	v_mul_lo_u32 v9, v0, s17
	v_mad_u64_u32 v[6:7], s[0:1], v0, s16, 0
	v_add3_u32 v7, v7, v9, v8
	v_lshlrev_b64 v[6:7], 3, v[6:7]
	v_mov_b32_e32 v8, s19
	v_add_co_u32_e32 v6, vcc, s18, v6
	v_addc_co_u32_e32 v7, vcc, v8, v7, vcc
	s_mov_b64 s[34:35], 0
	s_mov_b64 s[42:43], s[16:17]
                                        ; implicit-def: $sgpr36_sgpr37
                                        ; implicit-def: $sgpr38_sgpr39
                                        ; implicit-def: $sgpr0_sgpr1
                                        ; implicit-def: $sgpr40_sgpr41
                                        ; implicit-def: $sgpr44_sgpr45
	s_branch .LBB507_309
.LBB507_308:                            ;   in Loop: Header=BB507_309 Depth=1
	s_or_b64 exec, exec, s[46:47]
	s_and_b64 s[2:3], exec, s[38:39]
	s_or_b64 s[34:35], s[2:3], s[34:35]
	s_andn2_b64 s[2:3], s[44:45], exec
	s_and_b64 s[44:45], s[40:41], exec
	s_or_b64 s[44:45], s[2:3], s[44:45]
	s_andn2_b64 s[2:3], s[36:37], exec
	s_and_b64 s[36:37], s[0:1], exec
	s_or_b64 s[36:37], s[2:3], s[36:37]
	s_andn2_b64 exec, exec, s[34:35]
	s_cbranch_execz .LBB507_311
.LBB507_309:                            ; =>This Inner Loop Header: Depth=1
	global_load_dwordx2 v[8:9], v[2:3], off
	global_load_dwordx2 v[10:11], v[6:7], off
	s_andn2_b64 s[46:47], s[0:1], exec
	s_andn2_b64 s[40:41], s[40:41], exec
	s_or_b64 s[38:39], s[38:39], exec
	s_waitcnt vmcnt(0)
	v_cmp_le_i64_e64 s[0:1], v[8:9], v[10:11]
	v_cmp_lt_i64_e32 vcc, v[8:9], v[10:11]
	s_and_b64 s[0:1], s[0:1], s[44:45]
	s_or_b64 s[48:49], vcc, s[0:1]
	s_and_b64 s[0:1], s[48:49], exec
	v_cmp_eq_u64_e64 s[2:3], v[8:9], v[10:11]
	s_or_b64 s[0:1], s[46:47], s[0:1]
	s_and_saveexec_b64 s[46:47], s[2:3]
	s_cbranch_execz .LBB507_308
; %bb.310:                              ;   in Loop: Header=BB507_309 Depth=1
	s_add_u32 s42, s42, -1
	s_addc_u32 s43, s43, -1
	v_add_co_u32_e32 v2, vcc, 8, v2
	s_cmp_eq_u64 s[42:43], 0
	v_addc_co_u32_e32 v3, vcc, 0, v3, vcc
	s_cselect_b64 s[2:3], -1, 0
	v_add_co_u32_e32 v6, vcc, 8, v6
	s_andn2_b64 s[40:41], s[40:41], exec
	s_and_b64 s[44:45], s[48:49], exec
	s_andn2_b64 s[38:39], s[38:39], exec
	s_and_b64 s[2:3], s[2:3], exec
	v_addc_co_u32_e32 v7, vcc, 0, v7, vcc
	s_or_b64 s[40:41], s[40:41], s[44:45]
	s_andn2_b64 s[0:1], s[0:1], exec
	s_or_b64 s[38:39], s[38:39], s[2:3]
                                        ; implicit-def: $sgpr44_sgpr45
	s_branch .LBB507_308
.LBB507_311:
	s_or_b64 exec, exec, s[34:35]
	s_xor_b64 s[0:1], s[36:37], -1
	s_branch .LBB507_313
.LBB507_312:
	s_mov_b64 s[0:1], -1
.LBB507_313:
	s_andn2_b64 s[2:3], s[26:27], exec
	s_and_b64 s[0:1], s[0:1], exec
	s_or_b64 s[26:27], s[2:3], s[0:1]
.LBB507_314:
	s_or_b64 exec, exec, s[30:31]
	v_cndmask_b32_e64 v2, v18, v17, s[26:27]
	v_cndmask_b32_e64 v3, v15, v14, s[26:27]
	v_add_u32_e32 v6, 1, v2
	v_add_u32_e32 v2, -1, v3
	v_min_u32_e32 v2, v6, v2
	v_lshlrev_b32_e32 v2, 3, v2
	ds_read_b64 v[2:3], v2
	v_cndmask_b32_e64 v19, v6, v18, s[26:27]
	v_cndmask_b32_e64 v23, v17, v6, s[26:27]
	v_cmp_lt_u32_e32 vcc, v19, v15
	s_waitcnt lgkmcnt(0)
	v_cndmask_b32_e64 v8, v3, v5, s[26:27]
	v_cndmask_b32_e64 v9, v2, v4, s[26:27]
	;; [unrolled: 1-line block ×4, first 2 shown]
	s_and_saveexec_b64 s[30:31], vcc
	s_cbranch_execz .LBB507_325
; %bb.315:
	v_cmp_lt_u32_e32 vcc, v23, v14
	s_mov_b64 s[0:1], 0
	s_and_saveexec_b64 s[28:29], vcc
	s_cbranch_execz .LBB507_324
; %bb.316:
	s_andn2_b64 vcc, exec, s[24:25]
	s_cbranch_vccnz .LBB507_322
; %bb.317:
	v_mul_lo_u32 v6, v8, s16
	v_mul_lo_u32 v7, v9, s17
	v_mad_u64_u32 v[2:3], s[0:1], v9, s16, 0
	v_add3_u32 v3, v3, v7, v6
	v_lshlrev_b64 v[2:3], 3, v[2:3]
	v_mov_b32_e32 v6, s19
	v_add_co_u32_e32 v2, vcc, s18, v2
	v_addc_co_u32_e32 v3, vcc, v6, v3, vcc
	v_mul_lo_u32 v17, v10, s16
	v_mul_lo_u32 v18, v11, s17
	v_mad_u64_u32 v[6:7], s[0:1], v11, s16, 0
	v_add3_u32 v7, v7, v18, v17
	v_lshlrev_b64 v[6:7], 3, v[6:7]
	v_mov_b32_e32 v17, s19
	v_add_co_u32_e32 v6, vcc, s18, v6
	v_addc_co_u32_e32 v7, vcc, v17, v7, vcc
	s_mov_b64 s[34:35], 0
	s_mov_b64 s[42:43], s[16:17]
                                        ; implicit-def: $sgpr36_sgpr37
                                        ; implicit-def: $sgpr38_sgpr39
                                        ; implicit-def: $sgpr0_sgpr1
                                        ; implicit-def: $sgpr40_sgpr41
                                        ; implicit-def: $sgpr44_sgpr45
	s_branch .LBB507_319
.LBB507_318:                            ;   in Loop: Header=BB507_319 Depth=1
	s_or_b64 exec, exec, s[46:47]
	s_and_b64 s[2:3], exec, s[38:39]
	s_or_b64 s[34:35], s[2:3], s[34:35]
	s_andn2_b64 s[2:3], s[44:45], exec
	s_and_b64 s[44:45], s[40:41], exec
	s_or_b64 s[44:45], s[2:3], s[44:45]
	s_andn2_b64 s[2:3], s[36:37], exec
	s_and_b64 s[36:37], s[0:1], exec
	s_or_b64 s[36:37], s[2:3], s[36:37]
	s_andn2_b64 exec, exec, s[34:35]
	s_cbranch_execz .LBB507_321
.LBB507_319:                            ; =>This Inner Loop Header: Depth=1
	global_load_dwordx2 v[20:21], v[2:3], off
	global_load_dwordx2 v[24:25], v[6:7], off
	s_andn2_b64 s[46:47], s[0:1], exec
	s_andn2_b64 s[40:41], s[40:41], exec
	s_or_b64 s[38:39], s[38:39], exec
	s_waitcnt vmcnt(0)
	v_cmp_le_i64_e64 s[0:1], v[20:21], v[24:25]
	v_cmp_lt_i64_e32 vcc, v[20:21], v[24:25]
	s_and_b64 s[0:1], s[0:1], s[44:45]
	s_or_b64 s[48:49], vcc, s[0:1]
	s_and_b64 s[0:1], s[48:49], exec
	v_cmp_eq_u64_e64 s[2:3], v[20:21], v[24:25]
	s_or_b64 s[0:1], s[46:47], s[0:1]
	s_and_saveexec_b64 s[46:47], s[2:3]
	s_cbranch_execz .LBB507_318
; %bb.320:                              ;   in Loop: Header=BB507_319 Depth=1
	s_add_u32 s42, s42, -1
	s_addc_u32 s43, s43, -1
	v_add_co_u32_e32 v2, vcc, 8, v2
	s_cmp_eq_u64 s[42:43], 0
	v_addc_co_u32_e32 v3, vcc, 0, v3, vcc
	s_cselect_b64 s[2:3], -1, 0
	v_add_co_u32_e32 v6, vcc, 8, v6
	s_andn2_b64 s[40:41], s[40:41], exec
	s_and_b64 s[44:45], s[48:49], exec
	s_andn2_b64 s[38:39], s[38:39], exec
	s_and_b64 s[2:3], s[2:3], exec
	v_addc_co_u32_e32 v7, vcc, 0, v7, vcc
	s_or_b64 s[40:41], s[40:41], s[44:45]
	s_andn2_b64 s[0:1], s[0:1], exec
	s_or_b64 s[38:39], s[38:39], s[2:3]
                                        ; implicit-def: $sgpr44_sgpr45
	s_branch .LBB507_318
.LBB507_321:
	s_or_b64 exec, exec, s[34:35]
	s_xor_b64 s[0:1], s[36:37], -1
	s_branch .LBB507_323
.LBB507_322:
	s_mov_b64 s[0:1], -1
.LBB507_323:
	s_and_b64 s[0:1], s[0:1], exec
.LBB507_324:
	s_or_b64 exec, exec, s[28:29]
	s_orn2_b64 s[28:29], s[0:1], exec
.LBB507_325:
	s_or_b64 exec, exec, s[30:31]
	v_cndmask_b32_e64 v2, v19, v23, s[28:29]
	v_cndmask_b32_e64 v3, v15, v14, s[28:29]
	v_add_u32_e32 v6, 1, v2
	v_add_u32_e32 v2, -1, v3
	v_min_u32_e32 v2, v6, v2
	v_lshlrev_b32_e32 v2, 3, v2
	ds_read_b64 v[2:3], v2
	v_cndmask_b32_e64 v20, v6, v19, s[28:29]
	v_cndmask_b32_e64 v19, v23, v6, s[28:29]
	v_cmp_lt_u32_e32 vcc, v20, v15
	s_mov_b64 s[0:1], -1
	s_waitcnt lgkmcnt(0)
	v_cndmask_b32_e64 v17, v3, v8, s[28:29]
	v_cndmask_b32_e64 v18, v2, v9, s[28:29]
	;; [unrolled: 1-line block ×4, first 2 shown]
	s_and_saveexec_b64 s[30:31], vcc
	s_cbranch_execz .LBB507_336
; %bb.326:
	v_cmp_lt_u32_e32 vcc, v19, v14
	s_mov_b64 s[0:1], 0
	s_and_saveexec_b64 s[34:35], vcc
	s_cbranch_execz .LBB507_335
; %bb.327:
	s_andn2_b64 vcc, exec, s[24:25]
	s_cbranch_vccnz .LBB507_333
; %bb.328:
	v_mul_lo_u32 v6, v17, s16
	v_mul_lo_u32 v7, v18, s17
	v_mad_u64_u32 v[2:3], s[0:1], v18, s16, 0
	v_add3_u32 v3, v3, v7, v6
	v_lshlrev_b64 v[2:3], 3, v[2:3]
	v_mov_b32_e32 v6, s19
	v_add_co_u32_e32 v2, vcc, s18, v2
	v_addc_co_u32_e32 v3, vcc, v6, v3, vcc
	v_mul_lo_u32 v23, v21, s16
	v_mul_lo_u32 v24, v22, s17
	v_mad_u64_u32 v[6:7], s[0:1], v22, s16, 0
	v_add3_u32 v7, v7, v24, v23
	v_lshlrev_b64 v[6:7], 3, v[6:7]
	v_mov_b32_e32 v23, s19
	v_add_co_u32_e32 v6, vcc, s18, v6
	v_addc_co_u32_e32 v7, vcc, v23, v7, vcc
	s_mov_b64 s[36:37], 0
	s_mov_b64 s[44:45], s[16:17]
                                        ; implicit-def: $sgpr38_sgpr39
                                        ; implicit-def: $sgpr40_sgpr41
                                        ; implicit-def: $sgpr0_sgpr1
                                        ; implicit-def: $sgpr42_sgpr43
                                        ; implicit-def: $sgpr46_sgpr47
	s_branch .LBB507_330
.LBB507_329:                            ;   in Loop: Header=BB507_330 Depth=1
	s_or_b64 exec, exec, s[48:49]
	s_and_b64 s[2:3], exec, s[40:41]
	s_or_b64 s[36:37], s[2:3], s[36:37]
	s_andn2_b64 s[2:3], s[46:47], exec
	s_and_b64 s[46:47], s[42:43], exec
	s_or_b64 s[46:47], s[2:3], s[46:47]
	s_andn2_b64 s[2:3], s[38:39], exec
	s_and_b64 s[38:39], s[0:1], exec
	s_or_b64 s[38:39], s[2:3], s[38:39]
	s_andn2_b64 exec, exec, s[36:37]
	s_cbranch_execz .LBB507_332
.LBB507_330:                            ; =>This Inner Loop Header: Depth=1
	global_load_dwordx2 v[24:25], v[2:3], off
	global_load_dwordx2 v[38:39], v[6:7], off
	s_andn2_b64 s[48:49], s[0:1], exec
	s_andn2_b64 s[42:43], s[42:43], exec
	s_or_b64 s[40:41], s[40:41], exec
	s_waitcnt vmcnt(0)
	v_cmp_le_i64_e64 s[0:1], v[24:25], v[38:39]
	v_cmp_lt_i64_e32 vcc, v[24:25], v[38:39]
	s_and_b64 s[0:1], s[0:1], s[46:47]
	s_or_b64 s[50:51], vcc, s[0:1]
	s_and_b64 s[0:1], s[50:51], exec
	v_cmp_eq_u64_e64 s[2:3], v[24:25], v[38:39]
	s_or_b64 s[0:1], s[48:49], s[0:1]
	s_and_saveexec_b64 s[48:49], s[2:3]
	s_cbranch_execz .LBB507_329
; %bb.331:                              ;   in Loop: Header=BB507_330 Depth=1
	s_add_u32 s44, s44, -1
	s_addc_u32 s45, s45, -1
	v_add_co_u32_e32 v2, vcc, 8, v2
	s_cmp_eq_u64 s[44:45], 0
	v_addc_co_u32_e32 v3, vcc, 0, v3, vcc
	s_cselect_b64 s[2:3], -1, 0
	v_add_co_u32_e32 v6, vcc, 8, v6
	s_andn2_b64 s[42:43], s[42:43], exec
	s_and_b64 s[46:47], s[50:51], exec
	s_andn2_b64 s[40:41], s[40:41], exec
	s_and_b64 s[2:3], s[2:3], exec
	v_addc_co_u32_e32 v7, vcc, 0, v7, vcc
	s_or_b64 s[42:43], s[42:43], s[46:47]
	s_andn2_b64 s[0:1], s[0:1], exec
	s_or_b64 s[40:41], s[40:41], s[2:3]
                                        ; implicit-def: $sgpr46_sgpr47
	s_branch .LBB507_329
.LBB507_332:
	s_or_b64 exec, exec, s[36:37]
	s_xor_b64 s[0:1], s[38:39], -1
	s_branch .LBB507_334
.LBB507_333:
	s_mov_b64 s[0:1], -1
.LBB507_334:
	s_and_b64 s[0:1], s[0:1], exec
.LBB507_335:
	s_or_b64 exec, exec, s[34:35]
	s_orn2_b64 s[0:1], s[0:1], exec
.LBB507_336:
	s_or_b64 exec, exec, s[30:31]
	v_cndmask_b32_e64 v6, v20, v19, s[0:1]
	v_cndmask_b32_e64 v7, v15, v14, s[0:1]
	;; [unrolled: 1-line block ×3, first 2 shown]
	v_add_u32_e32 v10, 1, v6
	v_add_u32_e32 v6, -1, v7
	v_min_u32_e32 v6, v10, v6
	v_lshlrev_b32_e32 v6, 3, v6
	v_cndmask_b32_e64 v2, v9, v11, s[28:29]
	ds_read_b64 v[8:9], v6
	v_cndmask_b32_e64 v11, v10, v20, s[0:1]
	v_cndmask_b32_e64 v1, v5, v1, s[26:27]
	v_cndmask_b32_e64 v0, v4, v0, s[26:27]
	v_cndmask_b32_e64 v5, v17, v21, s[0:1]
	v_cndmask_b32_e64 v4, v18, v22, s[0:1]
	s_waitcnt lgkmcnt(0)
	v_cndmask_b32_e64 v7, v21, v9, s[0:1]
	v_cndmask_b32_e64 v6, v22, v8, s[0:1]
	v_cmp_lt_u32_e32 vcc, v11, v15
	s_and_saveexec_b64 s[26:27], vcc
	s_cbranch_execz .LBB507_346
; %bb.337:
	v_cndmask_b32_e64 v10, v19, v10, s[0:1]
	v_cndmask_b32_e64 v9, v9, v17, s[0:1]
	;; [unrolled: 1-line block ×3, first 2 shown]
	v_cmp_lt_u32_e32 vcc, v10, v14
	s_and_saveexec_b64 s[28:29], vcc
	s_cbranch_execz .LBB507_345
; %bb.338:
	s_andn2_b64 vcc, exec, s[24:25]
	s_cbranch_vccnz .LBB507_344
; %bb.339:
	v_mul_lo_u32 v14, v9, s16
	v_mul_lo_u32 v15, v8, s17
	v_mad_u64_u32 v[10:11], s[0:1], v8, s16, 0
	v_add3_u32 v11, v11, v15, v14
	v_lshlrev_b64 v[10:11], 3, v[10:11]
	v_mov_b32_e32 v14, s19
	v_add_co_u32_e32 v10, vcc, s18, v10
	v_addc_co_u32_e32 v11, vcc, v14, v11, vcc
	v_mul_lo_u32 v17, v7, s16
	v_mul_lo_u32 v18, v6, s17
	v_mad_u64_u32 v[14:15], s[0:1], v6, s16, 0
	v_add3_u32 v15, v15, v18, v17
	v_lshlrev_b64 v[14:15], 3, v[14:15]
	v_mov_b32_e32 v17, s19
	v_add_co_u32_e32 v14, vcc, s18, v14
	v_addc_co_u32_e32 v15, vcc, v17, v15, vcc
	s_mov_b64 s[30:31], 0
	s_mov_b64 s[40:41], s[16:17]
                                        ; implicit-def: $sgpr34_sgpr35
                                        ; implicit-def: $sgpr36_sgpr37
                                        ; implicit-def: $sgpr0_sgpr1
                                        ; implicit-def: $sgpr38_sgpr39
                                        ; implicit-def: $sgpr42_sgpr43
	s_branch .LBB507_341
.LBB507_340:                            ;   in Loop: Header=BB507_341 Depth=1
	s_or_b64 exec, exec, s[44:45]
	s_and_b64 s[2:3], exec, s[36:37]
	s_or_b64 s[30:31], s[2:3], s[30:31]
	s_andn2_b64 s[2:3], s[42:43], exec
	s_and_b64 s[42:43], s[38:39], exec
	s_or_b64 s[42:43], s[2:3], s[42:43]
	s_andn2_b64 s[2:3], s[34:35], exec
	s_and_b64 s[34:35], s[0:1], exec
	s_or_b64 s[34:35], s[2:3], s[34:35]
	s_andn2_b64 exec, exec, s[30:31]
	s_cbranch_execz .LBB507_343
.LBB507_341:                            ; =>This Inner Loop Header: Depth=1
	global_load_dwordx2 v[18:19], v[10:11], off
	global_load_dwordx2 v[20:21], v[14:15], off
	s_andn2_b64 s[44:45], s[0:1], exec
	s_andn2_b64 s[38:39], s[38:39], exec
	s_or_b64 s[36:37], s[36:37], exec
	s_waitcnt vmcnt(0)
	v_cmp_le_i64_e64 s[0:1], v[18:19], v[20:21]
	v_cmp_lt_i64_e32 vcc, v[18:19], v[20:21]
	s_and_b64 s[0:1], s[0:1], s[42:43]
	s_or_b64 s[46:47], vcc, s[0:1]
	s_and_b64 s[0:1], s[46:47], exec
	v_cmp_eq_u64_e64 s[2:3], v[18:19], v[20:21]
	s_or_b64 s[0:1], s[44:45], s[0:1]
	s_and_saveexec_b64 s[44:45], s[2:3]
	s_cbranch_execz .LBB507_340
; %bb.342:                              ;   in Loop: Header=BB507_341 Depth=1
	s_add_u32 s40, s40, -1
	s_addc_u32 s41, s41, -1
	v_add_co_u32_e32 v10, vcc, 8, v10
	s_cmp_eq_u64 s[40:41], 0
	v_addc_co_u32_e32 v11, vcc, 0, v11, vcc
	s_cselect_b64 s[2:3], -1, 0
	v_add_co_u32_e32 v14, vcc, 8, v14
	s_andn2_b64 s[38:39], s[38:39], exec
	s_and_b64 s[42:43], s[46:47], exec
	s_andn2_b64 s[36:37], s[36:37], exec
	s_and_b64 s[2:3], s[2:3], exec
	v_addc_co_u32_e32 v15, vcc, 0, v15, vcc
	s_or_b64 s[38:39], s[38:39], s[42:43]
	s_andn2_b64 s[0:1], s[0:1], exec
	s_or_b64 s[36:37], s[36:37], s[2:3]
                                        ; implicit-def: $sgpr42_sgpr43
	s_branch .LBB507_340
.LBB507_343:
	s_or_b64 exec, exec, s[30:31]
	v_cndmask_b32_e64 v7, v7, v9, s[34:35]
	v_cndmask_b32_e64 v6, v6, v8, s[34:35]
.LBB507_344:
	v_pk_mov_b32 v[8:9], v[6:7], v[6:7] op_sel:[0,1]
.LBB507_345:
	s_or_b64 exec, exec, s[28:29]
	v_pk_mov_b32 v[6:7], v[8:9], v[8:9] op_sel:[0,1]
.LBB507_346:
	s_or_b64 exec, exec, s[26:27]
.LBB507_347:
	s_or_b64 exec, exec, s[4:5]
	v_and_b32_e32 v17, 0xf00, v27
	v_or_b32_e32 v8, 0x80, v17
	v_min_u32_e32 v14, 0x400, v8
	v_min_u32_e32 v8, 0x380, v8
	v_add_u32_e32 v15, 0x80, v8
	v_and_b32_e32 v18, 0xfc, v27
	v_sub_u32_e32 v8, v14, v17
	v_sub_u32_e32 v9, v15, v14
	v_sub_u32_e64 v20, v18, v9 clamp
	v_min_u32_e32 v21, v18, v8
	v_lshlrev_b32_e32 v19, 3, v17
	v_cmp_lt_u32_e32 vcc, v20, v21
	s_barrier
	ds_write_b128 v16, v[0:3]
	ds_write_b128 v16, v[4:7] offset:16
	s_waitcnt lgkmcnt(0)
	s_barrier
	s_and_saveexec_b64 s[26:27], vcc
	s_cbranch_execz .LBB507_357
; %bb.348:
	v_lshlrev_b32_e32 v8, 3, v18
	v_lshl_add_u32 v22, v14, 3, v8
	v_cndmask_b32_e64 v8, 0, 1, s[24:25]
	s_lshl_b64 s[30:31], s[16:17], 3
	s_mov_b64 s[28:29], 0
	v_cmp_ne_u32_e64 s[0:1], 1, v8
	s_branch .LBB507_351
.LBB507_349:                            ;   in Loop: Header=BB507_351 Depth=1
	s_or_b64 exec, exec, s[36:37]
.LBB507_350:                            ;   in Loop: Header=BB507_351 Depth=1
	v_add_u32_e32 v8, 1, v23
	v_cndmask_b32_e64 v21, v21, v23, s[34:35]
	v_cndmask_b32_e64 v20, v8, v20, s[34:35]
	v_cmp_ge_u32_e32 vcc, v20, v21
	s_or_b64 s[28:29], vcc, s[28:29]
	s_andn2_b64 exec, exec, s[28:29]
	s_cbranch_execz .LBB507_356
.LBB507_351:                            ; =>This Loop Header: Depth=1
                                        ;     Child Loop BB507_354 Depth 2
	v_add_u32_e32 v8, v21, v20
	v_lshrrev_b32_e32 v23, 1, v8
	s_and_b64 vcc, exec, s[0:1]
	s_mov_b64 s[34:35], 0
	s_cbranch_vccnz .LBB507_350
; %bb.352:                              ;   in Loop: Header=BB507_351 Depth=1
	v_not_b32_e32 v8, v23
	v_lshl_add_u32 v8, v8, 3, v22
	ds_read_b64 v[8:9], v8
	v_lshl_add_u32 v24, v23, 3, v19
	ds_read_b64 v[24:25], v24
	v_pk_mov_b32 v[10:11], s[18:19], s[18:19] op_sel:[0,1]
	s_mov_b64 s[36:37], 0
	s_waitcnt lgkmcnt(1)
	v_mul_lo_u32 v37, s30, v9
	v_mul_lo_u32 v38, s31, v8
	v_mad_u64_u32 v[8:9], s[2:3], s30, v8, v[10:11]
	v_add3_u32 v9, v38, v9, v37
	s_waitcnt lgkmcnt(0)
	v_mul_lo_u32 v25, s30, v25
	v_mul_lo_u32 v37, s31, v24
	v_mad_u64_u32 v[10:11], s[2:3], s30, v24, v[10:11]
	v_add3_u32 v11, v37, v11, v25
	s_mov_b64 s[42:43], s[16:17]
                                        ; implicit-def: $sgpr34_sgpr35
                                        ; implicit-def: $sgpr38_sgpr39
                                        ; implicit-def: $sgpr40_sgpr41
                                        ; implicit-def: $sgpr2_sgpr3
                                        ; implicit-def: $sgpr44_sgpr45
	s_branch .LBB507_354
.LBB507_353:                            ;   in Loop: Header=BB507_354 Depth=2
	s_or_b64 exec, exec, s[46:47]
	s_and_b64 s[4:5], exec, s[38:39]
	s_or_b64 s[36:37], s[4:5], s[36:37]
	s_andn2_b64 s[4:5], s[44:45], exec
	s_and_b64 s[44:45], s[40:41], exec
	s_or_b64 s[44:45], s[4:5], s[44:45]
	s_andn2_b64 s[4:5], s[34:35], exec
	s_and_b64 s[34:35], s[2:3], exec
	s_or_b64 s[34:35], s[4:5], s[34:35]
	s_andn2_b64 exec, exec, s[36:37]
	s_cbranch_execz .LBB507_349
.LBB507_354:                            ;   Parent Loop BB507_351 Depth=1
                                        ; =>  This Inner Loop Header: Depth=2
	global_load_dwordx2 v[24:25], v[8:9], off
	global_load_dwordx2 v[38:39], v[10:11], off
	s_andn2_b64 s[46:47], s[2:3], exec
	s_andn2_b64 s[40:41], s[40:41], exec
	s_or_b64 s[38:39], s[38:39], exec
	s_waitcnt vmcnt(0)
	v_cmp_le_i64_e64 s[2:3], v[24:25], v[38:39]
	v_cmp_lt_i64_e32 vcc, v[24:25], v[38:39]
	s_and_b64 s[2:3], s[2:3], s[44:45]
	s_or_b64 s[48:49], vcc, s[2:3]
	s_and_b64 s[2:3], s[48:49], exec
	v_cmp_eq_u64_e64 s[4:5], v[24:25], v[38:39]
	s_or_b64 s[2:3], s[46:47], s[2:3]
	s_and_saveexec_b64 s[46:47], s[4:5]
	s_cbranch_execz .LBB507_353
; %bb.355:                              ;   in Loop: Header=BB507_354 Depth=2
	s_add_u32 s42, s42, -1
	s_addc_u32 s43, s43, -1
	v_add_co_u32_e32 v8, vcc, 8, v8
	s_cmp_eq_u64 s[42:43], 0
	v_addc_co_u32_e32 v9, vcc, 0, v9, vcc
	s_cselect_b64 s[4:5], -1, 0
	v_add_co_u32_e32 v10, vcc, 8, v10
	s_andn2_b64 s[40:41], s[40:41], exec
	s_and_b64 s[44:45], s[48:49], exec
	s_andn2_b64 s[38:39], s[38:39], exec
	s_and_b64 s[4:5], s[4:5], exec
	v_addc_co_u32_e32 v11, vcc, 0, v11, vcc
	s_andn2_b64 s[2:3], s[2:3], exec
	s_or_b64 s[40:41], s[40:41], s[44:45]
	s_or_b64 s[38:39], s[38:39], s[4:5]
                                        ; implicit-def: $sgpr44_sgpr45
	s_branch .LBB507_353
.LBB507_356:
	s_or_b64 exec, exec, s[28:29]
.LBB507_357:
	s_or_b64 exec, exec, s[26:27]
	v_sub_u32_e32 v8, v18, v20
	v_add_u32_e32 v17, v20, v17
	v_add_u32_e32 v18, v8, v14
	v_cmp_le_u32_e32 vcc, v17, v14
	v_cmp_le_u32_e64 s[0:1], v18, v15
	s_or_b64 s[0:1], vcc, s[0:1]
	s_and_saveexec_b64 s[4:5], s[0:1]
	s_cbranch_execz .LBB507_404
; %bb.358:
	v_cmp_ge_u32_e32 vcc, v17, v14
	v_cmp_lt_u32_e64 s[0:1], v17, v14
                                        ; implicit-def: $vgpr0_vgpr1
	s_and_saveexec_b64 s[2:3], s[0:1]
	s_cbranch_execz .LBB507_360
; %bb.359:
	v_lshl_add_u32 v0, v20, 3, v19
	ds_read_b64 v[0:1], v0
.LBB507_360:
	s_or_b64 exec, exec, s[2:3]
	v_cmp_ge_u32_e64 s[26:27], v18, v15
	v_cmp_lt_u32_e64 s[0:1], v18, v15
                                        ; implicit-def: $vgpr4_vgpr5
	s_and_saveexec_b64 s[2:3], s[0:1]
	s_cbranch_execz .LBB507_362
; %bb.361:
	v_lshlrev_b32_e32 v2, 3, v18
	ds_read_b64 v[4:5], v2
.LBB507_362:
	s_or_b64 exec, exec, s[2:3]
	s_or_b64 s[0:1], vcc, s[26:27]
	s_mov_b64 s[28:29], -1
	s_xor_b64 s[0:1], s[0:1], -1
	s_and_saveexec_b64 s[30:31], s[0:1]
	s_cbranch_execz .LBB507_371
; %bb.363:
	s_andn2_b64 vcc, exec, s[24:25]
	s_cbranch_vccnz .LBB507_369
; %bb.364:
	s_waitcnt lgkmcnt(0)
	v_mul_lo_u32 v6, v5, s16
	v_mul_lo_u32 v7, v4, s17
	v_mad_u64_u32 v[2:3], s[0:1], v4, s16, 0
	v_add3_u32 v3, v3, v7, v6
	v_lshlrev_b64 v[2:3], 3, v[2:3]
	v_mov_b32_e32 v6, s19
	v_add_co_u32_e32 v2, vcc, s18, v2
	v_addc_co_u32_e32 v3, vcc, v6, v3, vcc
	v_mul_lo_u32 v8, v1, s16
	v_mul_lo_u32 v9, v0, s17
	v_mad_u64_u32 v[6:7], s[0:1], v0, s16, 0
	v_add3_u32 v7, v7, v9, v8
	v_lshlrev_b64 v[6:7], 3, v[6:7]
	v_mov_b32_e32 v8, s19
	v_add_co_u32_e32 v6, vcc, s18, v6
	v_addc_co_u32_e32 v7, vcc, v8, v7, vcc
	s_mov_b64 s[34:35], 0
	s_mov_b64 s[42:43], s[16:17]
                                        ; implicit-def: $sgpr36_sgpr37
                                        ; implicit-def: $sgpr38_sgpr39
                                        ; implicit-def: $sgpr0_sgpr1
                                        ; implicit-def: $sgpr40_sgpr41
                                        ; implicit-def: $sgpr44_sgpr45
	s_branch .LBB507_366
.LBB507_365:                            ;   in Loop: Header=BB507_366 Depth=1
	s_or_b64 exec, exec, s[46:47]
	s_and_b64 s[2:3], exec, s[38:39]
	s_or_b64 s[34:35], s[2:3], s[34:35]
	s_andn2_b64 s[2:3], s[44:45], exec
	s_and_b64 s[44:45], s[40:41], exec
	s_or_b64 s[44:45], s[2:3], s[44:45]
	s_andn2_b64 s[2:3], s[36:37], exec
	s_and_b64 s[36:37], s[0:1], exec
	s_or_b64 s[36:37], s[2:3], s[36:37]
	s_andn2_b64 exec, exec, s[34:35]
	s_cbranch_execz .LBB507_368
.LBB507_366:                            ; =>This Inner Loop Header: Depth=1
	global_load_dwordx2 v[8:9], v[2:3], off
	global_load_dwordx2 v[10:11], v[6:7], off
	s_andn2_b64 s[46:47], s[0:1], exec
	s_andn2_b64 s[40:41], s[40:41], exec
	s_or_b64 s[38:39], s[38:39], exec
	s_waitcnt vmcnt(0)
	v_cmp_le_i64_e64 s[0:1], v[8:9], v[10:11]
	v_cmp_lt_i64_e32 vcc, v[8:9], v[10:11]
	s_and_b64 s[0:1], s[0:1], s[44:45]
	s_or_b64 s[48:49], vcc, s[0:1]
	s_and_b64 s[0:1], s[48:49], exec
	v_cmp_eq_u64_e64 s[2:3], v[8:9], v[10:11]
	s_or_b64 s[0:1], s[46:47], s[0:1]
	s_and_saveexec_b64 s[46:47], s[2:3]
	s_cbranch_execz .LBB507_365
; %bb.367:                              ;   in Loop: Header=BB507_366 Depth=1
	s_add_u32 s42, s42, -1
	s_addc_u32 s43, s43, -1
	v_add_co_u32_e32 v2, vcc, 8, v2
	s_cmp_eq_u64 s[42:43], 0
	v_addc_co_u32_e32 v3, vcc, 0, v3, vcc
	s_cselect_b64 s[2:3], -1, 0
	v_add_co_u32_e32 v6, vcc, 8, v6
	s_andn2_b64 s[40:41], s[40:41], exec
	s_and_b64 s[44:45], s[48:49], exec
	s_andn2_b64 s[38:39], s[38:39], exec
	s_and_b64 s[2:3], s[2:3], exec
	v_addc_co_u32_e32 v7, vcc, 0, v7, vcc
	s_or_b64 s[40:41], s[40:41], s[44:45]
	s_andn2_b64 s[0:1], s[0:1], exec
	s_or_b64 s[38:39], s[38:39], s[2:3]
                                        ; implicit-def: $sgpr44_sgpr45
	s_branch .LBB507_365
.LBB507_368:
	s_or_b64 exec, exec, s[34:35]
	s_xor_b64 s[0:1], s[36:37], -1
	s_branch .LBB507_370
.LBB507_369:
	s_mov_b64 s[0:1], -1
.LBB507_370:
	s_andn2_b64 s[2:3], s[26:27], exec
	s_and_b64 s[0:1], s[0:1], exec
	s_or_b64 s[26:27], s[2:3], s[0:1]
.LBB507_371:
	s_or_b64 exec, exec, s[30:31]
	v_cndmask_b32_e64 v2, v18, v17, s[26:27]
	v_cndmask_b32_e64 v3, v15, v14, s[26:27]
	v_add_u32_e32 v6, 1, v2
	v_add_u32_e32 v2, -1, v3
	v_min_u32_e32 v2, v6, v2
	v_lshlrev_b32_e32 v2, 3, v2
	ds_read_b64 v[2:3], v2
	v_cndmask_b32_e64 v19, v6, v18, s[26:27]
	v_cndmask_b32_e64 v23, v17, v6, s[26:27]
	v_cmp_lt_u32_e32 vcc, v19, v15
	s_waitcnt lgkmcnt(0)
	v_cndmask_b32_e64 v8, v3, v5, s[26:27]
	v_cndmask_b32_e64 v9, v2, v4, s[26:27]
	;; [unrolled: 1-line block ×4, first 2 shown]
	s_and_saveexec_b64 s[30:31], vcc
	s_cbranch_execz .LBB507_382
; %bb.372:
	v_cmp_lt_u32_e32 vcc, v23, v14
	s_mov_b64 s[0:1], 0
	s_and_saveexec_b64 s[28:29], vcc
	s_cbranch_execz .LBB507_381
; %bb.373:
	s_andn2_b64 vcc, exec, s[24:25]
	s_cbranch_vccnz .LBB507_379
; %bb.374:
	v_mul_lo_u32 v6, v8, s16
	v_mul_lo_u32 v7, v9, s17
	v_mad_u64_u32 v[2:3], s[0:1], v9, s16, 0
	v_add3_u32 v3, v3, v7, v6
	v_lshlrev_b64 v[2:3], 3, v[2:3]
	v_mov_b32_e32 v6, s19
	v_add_co_u32_e32 v2, vcc, s18, v2
	v_addc_co_u32_e32 v3, vcc, v6, v3, vcc
	v_mul_lo_u32 v17, v10, s16
	v_mul_lo_u32 v18, v11, s17
	v_mad_u64_u32 v[6:7], s[0:1], v11, s16, 0
	v_add3_u32 v7, v7, v18, v17
	v_lshlrev_b64 v[6:7], 3, v[6:7]
	v_mov_b32_e32 v17, s19
	v_add_co_u32_e32 v6, vcc, s18, v6
	v_addc_co_u32_e32 v7, vcc, v17, v7, vcc
	s_mov_b64 s[34:35], 0
	s_mov_b64 s[42:43], s[16:17]
                                        ; implicit-def: $sgpr36_sgpr37
                                        ; implicit-def: $sgpr38_sgpr39
                                        ; implicit-def: $sgpr0_sgpr1
                                        ; implicit-def: $sgpr40_sgpr41
                                        ; implicit-def: $sgpr44_sgpr45
	s_branch .LBB507_376
.LBB507_375:                            ;   in Loop: Header=BB507_376 Depth=1
	s_or_b64 exec, exec, s[46:47]
	s_and_b64 s[2:3], exec, s[38:39]
	s_or_b64 s[34:35], s[2:3], s[34:35]
	s_andn2_b64 s[2:3], s[44:45], exec
	s_and_b64 s[44:45], s[40:41], exec
	s_or_b64 s[44:45], s[2:3], s[44:45]
	s_andn2_b64 s[2:3], s[36:37], exec
	s_and_b64 s[36:37], s[0:1], exec
	s_or_b64 s[36:37], s[2:3], s[36:37]
	s_andn2_b64 exec, exec, s[34:35]
	s_cbranch_execz .LBB507_378
.LBB507_376:                            ; =>This Inner Loop Header: Depth=1
	global_load_dwordx2 v[20:21], v[2:3], off
	global_load_dwordx2 v[24:25], v[6:7], off
	s_andn2_b64 s[46:47], s[0:1], exec
	s_andn2_b64 s[40:41], s[40:41], exec
	s_or_b64 s[38:39], s[38:39], exec
	s_waitcnt vmcnt(0)
	v_cmp_le_i64_e64 s[0:1], v[20:21], v[24:25]
	v_cmp_lt_i64_e32 vcc, v[20:21], v[24:25]
	s_and_b64 s[0:1], s[0:1], s[44:45]
	s_or_b64 s[48:49], vcc, s[0:1]
	s_and_b64 s[0:1], s[48:49], exec
	v_cmp_eq_u64_e64 s[2:3], v[20:21], v[24:25]
	s_or_b64 s[0:1], s[46:47], s[0:1]
	s_and_saveexec_b64 s[46:47], s[2:3]
	s_cbranch_execz .LBB507_375
; %bb.377:                              ;   in Loop: Header=BB507_376 Depth=1
	s_add_u32 s42, s42, -1
	s_addc_u32 s43, s43, -1
	v_add_co_u32_e32 v2, vcc, 8, v2
	s_cmp_eq_u64 s[42:43], 0
	v_addc_co_u32_e32 v3, vcc, 0, v3, vcc
	s_cselect_b64 s[2:3], -1, 0
	v_add_co_u32_e32 v6, vcc, 8, v6
	s_andn2_b64 s[40:41], s[40:41], exec
	s_and_b64 s[44:45], s[48:49], exec
	s_andn2_b64 s[38:39], s[38:39], exec
	s_and_b64 s[2:3], s[2:3], exec
	v_addc_co_u32_e32 v7, vcc, 0, v7, vcc
	s_or_b64 s[40:41], s[40:41], s[44:45]
	s_andn2_b64 s[0:1], s[0:1], exec
	s_or_b64 s[38:39], s[38:39], s[2:3]
                                        ; implicit-def: $sgpr44_sgpr45
	s_branch .LBB507_375
.LBB507_378:
	s_or_b64 exec, exec, s[34:35]
	s_xor_b64 s[0:1], s[36:37], -1
	s_branch .LBB507_380
.LBB507_379:
	s_mov_b64 s[0:1], -1
.LBB507_380:
	s_and_b64 s[0:1], s[0:1], exec
.LBB507_381:
	s_or_b64 exec, exec, s[28:29]
	s_orn2_b64 s[28:29], s[0:1], exec
.LBB507_382:
	s_or_b64 exec, exec, s[30:31]
	v_cndmask_b32_e64 v2, v19, v23, s[28:29]
	v_cndmask_b32_e64 v3, v15, v14, s[28:29]
	v_add_u32_e32 v6, 1, v2
	v_add_u32_e32 v2, -1, v3
	v_min_u32_e32 v2, v6, v2
	v_lshlrev_b32_e32 v2, 3, v2
	ds_read_b64 v[2:3], v2
	v_cndmask_b32_e64 v20, v6, v19, s[28:29]
	v_cndmask_b32_e64 v19, v23, v6, s[28:29]
	v_cmp_lt_u32_e32 vcc, v20, v15
	s_mov_b64 s[0:1], -1
	s_waitcnt lgkmcnt(0)
	v_cndmask_b32_e64 v17, v3, v8, s[28:29]
	v_cndmask_b32_e64 v18, v2, v9, s[28:29]
	;; [unrolled: 1-line block ×4, first 2 shown]
	s_and_saveexec_b64 s[30:31], vcc
	s_cbranch_execz .LBB507_393
; %bb.383:
	v_cmp_lt_u32_e32 vcc, v19, v14
	s_mov_b64 s[0:1], 0
	s_and_saveexec_b64 s[34:35], vcc
	s_cbranch_execz .LBB507_392
; %bb.384:
	s_andn2_b64 vcc, exec, s[24:25]
	s_cbranch_vccnz .LBB507_390
; %bb.385:
	v_mul_lo_u32 v6, v17, s16
	v_mul_lo_u32 v7, v18, s17
	v_mad_u64_u32 v[2:3], s[0:1], v18, s16, 0
	v_add3_u32 v3, v3, v7, v6
	v_lshlrev_b64 v[2:3], 3, v[2:3]
	v_mov_b32_e32 v6, s19
	v_add_co_u32_e32 v2, vcc, s18, v2
	v_addc_co_u32_e32 v3, vcc, v6, v3, vcc
	v_mul_lo_u32 v23, v21, s16
	v_mul_lo_u32 v24, v22, s17
	v_mad_u64_u32 v[6:7], s[0:1], v22, s16, 0
	v_add3_u32 v7, v7, v24, v23
	v_lshlrev_b64 v[6:7], 3, v[6:7]
	v_mov_b32_e32 v23, s19
	v_add_co_u32_e32 v6, vcc, s18, v6
	v_addc_co_u32_e32 v7, vcc, v23, v7, vcc
	s_mov_b64 s[36:37], 0
	s_mov_b64 s[44:45], s[16:17]
                                        ; implicit-def: $sgpr38_sgpr39
                                        ; implicit-def: $sgpr40_sgpr41
                                        ; implicit-def: $sgpr0_sgpr1
                                        ; implicit-def: $sgpr42_sgpr43
                                        ; implicit-def: $sgpr46_sgpr47
	s_branch .LBB507_387
.LBB507_386:                            ;   in Loop: Header=BB507_387 Depth=1
	s_or_b64 exec, exec, s[48:49]
	s_and_b64 s[2:3], exec, s[40:41]
	s_or_b64 s[36:37], s[2:3], s[36:37]
	s_andn2_b64 s[2:3], s[46:47], exec
	s_and_b64 s[46:47], s[42:43], exec
	s_or_b64 s[46:47], s[2:3], s[46:47]
	s_andn2_b64 s[2:3], s[38:39], exec
	s_and_b64 s[38:39], s[0:1], exec
	s_or_b64 s[38:39], s[2:3], s[38:39]
	s_andn2_b64 exec, exec, s[36:37]
	s_cbranch_execz .LBB507_389
.LBB507_387:                            ; =>This Inner Loop Header: Depth=1
	global_load_dwordx2 v[24:25], v[2:3], off
	global_load_dwordx2 v[38:39], v[6:7], off
	s_andn2_b64 s[48:49], s[0:1], exec
	s_andn2_b64 s[42:43], s[42:43], exec
	s_or_b64 s[40:41], s[40:41], exec
	s_waitcnt vmcnt(0)
	v_cmp_le_i64_e64 s[0:1], v[24:25], v[38:39]
	v_cmp_lt_i64_e32 vcc, v[24:25], v[38:39]
	s_and_b64 s[0:1], s[0:1], s[46:47]
	s_or_b64 s[50:51], vcc, s[0:1]
	s_and_b64 s[0:1], s[50:51], exec
	v_cmp_eq_u64_e64 s[2:3], v[24:25], v[38:39]
	s_or_b64 s[0:1], s[48:49], s[0:1]
	s_and_saveexec_b64 s[48:49], s[2:3]
	s_cbranch_execz .LBB507_386
; %bb.388:                              ;   in Loop: Header=BB507_387 Depth=1
	s_add_u32 s44, s44, -1
	s_addc_u32 s45, s45, -1
	v_add_co_u32_e32 v2, vcc, 8, v2
	s_cmp_eq_u64 s[44:45], 0
	v_addc_co_u32_e32 v3, vcc, 0, v3, vcc
	s_cselect_b64 s[2:3], -1, 0
	v_add_co_u32_e32 v6, vcc, 8, v6
	s_andn2_b64 s[42:43], s[42:43], exec
	s_and_b64 s[46:47], s[50:51], exec
	s_andn2_b64 s[40:41], s[40:41], exec
	s_and_b64 s[2:3], s[2:3], exec
	v_addc_co_u32_e32 v7, vcc, 0, v7, vcc
	s_or_b64 s[42:43], s[42:43], s[46:47]
	s_andn2_b64 s[0:1], s[0:1], exec
	s_or_b64 s[40:41], s[40:41], s[2:3]
                                        ; implicit-def: $sgpr46_sgpr47
	s_branch .LBB507_386
.LBB507_389:
	s_or_b64 exec, exec, s[36:37]
	s_xor_b64 s[0:1], s[38:39], -1
	s_branch .LBB507_391
.LBB507_390:
	s_mov_b64 s[0:1], -1
.LBB507_391:
	s_and_b64 s[0:1], s[0:1], exec
.LBB507_392:
	s_or_b64 exec, exec, s[34:35]
	s_orn2_b64 s[0:1], s[0:1], exec
.LBB507_393:
	s_or_b64 exec, exec, s[30:31]
	v_cndmask_b32_e64 v6, v20, v19, s[0:1]
	v_cndmask_b32_e64 v7, v15, v14, s[0:1]
	;; [unrolled: 1-line block ×3, first 2 shown]
	v_add_u32_e32 v10, 1, v6
	v_add_u32_e32 v6, -1, v7
	v_min_u32_e32 v6, v10, v6
	v_lshlrev_b32_e32 v6, 3, v6
	v_cndmask_b32_e64 v2, v9, v11, s[28:29]
	ds_read_b64 v[8:9], v6
	v_cndmask_b32_e64 v11, v10, v20, s[0:1]
	v_cndmask_b32_e64 v1, v5, v1, s[26:27]
	;; [unrolled: 1-line block ×5, first 2 shown]
	s_waitcnt lgkmcnt(0)
	v_cndmask_b32_e64 v7, v21, v9, s[0:1]
	v_cndmask_b32_e64 v6, v22, v8, s[0:1]
	v_cmp_lt_u32_e32 vcc, v11, v15
	s_and_saveexec_b64 s[26:27], vcc
	s_cbranch_execz .LBB507_403
; %bb.394:
	v_cndmask_b32_e64 v10, v19, v10, s[0:1]
	v_cndmask_b32_e64 v9, v9, v17, s[0:1]
	;; [unrolled: 1-line block ×3, first 2 shown]
	v_cmp_lt_u32_e32 vcc, v10, v14
	s_and_saveexec_b64 s[28:29], vcc
	s_cbranch_execz .LBB507_402
; %bb.395:
	s_andn2_b64 vcc, exec, s[24:25]
	s_cbranch_vccnz .LBB507_401
; %bb.396:
	v_mul_lo_u32 v14, v9, s16
	v_mul_lo_u32 v15, v8, s17
	v_mad_u64_u32 v[10:11], s[0:1], v8, s16, 0
	v_add3_u32 v11, v11, v15, v14
	v_lshlrev_b64 v[10:11], 3, v[10:11]
	v_mov_b32_e32 v14, s19
	v_add_co_u32_e32 v10, vcc, s18, v10
	v_addc_co_u32_e32 v11, vcc, v14, v11, vcc
	v_mul_lo_u32 v17, v7, s16
	v_mul_lo_u32 v18, v6, s17
	v_mad_u64_u32 v[14:15], s[0:1], v6, s16, 0
	v_add3_u32 v15, v15, v18, v17
	v_lshlrev_b64 v[14:15], 3, v[14:15]
	v_mov_b32_e32 v17, s19
	v_add_co_u32_e32 v14, vcc, s18, v14
	v_addc_co_u32_e32 v15, vcc, v17, v15, vcc
	s_mov_b64 s[30:31], 0
	s_mov_b64 s[40:41], s[16:17]
                                        ; implicit-def: $sgpr34_sgpr35
                                        ; implicit-def: $sgpr36_sgpr37
                                        ; implicit-def: $sgpr0_sgpr1
                                        ; implicit-def: $sgpr38_sgpr39
                                        ; implicit-def: $sgpr42_sgpr43
	s_branch .LBB507_398
.LBB507_397:                            ;   in Loop: Header=BB507_398 Depth=1
	s_or_b64 exec, exec, s[44:45]
	s_and_b64 s[2:3], exec, s[36:37]
	s_or_b64 s[30:31], s[2:3], s[30:31]
	s_andn2_b64 s[2:3], s[42:43], exec
	s_and_b64 s[42:43], s[38:39], exec
	s_or_b64 s[42:43], s[2:3], s[42:43]
	s_andn2_b64 s[2:3], s[34:35], exec
	s_and_b64 s[34:35], s[0:1], exec
	s_or_b64 s[34:35], s[2:3], s[34:35]
	s_andn2_b64 exec, exec, s[30:31]
	s_cbranch_execz .LBB507_400
.LBB507_398:                            ; =>This Inner Loop Header: Depth=1
	global_load_dwordx2 v[18:19], v[10:11], off
	global_load_dwordx2 v[20:21], v[14:15], off
	s_andn2_b64 s[44:45], s[0:1], exec
	s_andn2_b64 s[38:39], s[38:39], exec
	s_or_b64 s[36:37], s[36:37], exec
	s_waitcnt vmcnt(0)
	v_cmp_le_i64_e64 s[0:1], v[18:19], v[20:21]
	v_cmp_lt_i64_e32 vcc, v[18:19], v[20:21]
	s_and_b64 s[0:1], s[0:1], s[42:43]
	s_or_b64 s[46:47], vcc, s[0:1]
	s_and_b64 s[0:1], s[46:47], exec
	v_cmp_eq_u64_e64 s[2:3], v[18:19], v[20:21]
	s_or_b64 s[0:1], s[44:45], s[0:1]
	s_and_saveexec_b64 s[44:45], s[2:3]
	s_cbranch_execz .LBB507_397
; %bb.399:                              ;   in Loop: Header=BB507_398 Depth=1
	s_add_u32 s40, s40, -1
	s_addc_u32 s41, s41, -1
	v_add_co_u32_e32 v10, vcc, 8, v10
	s_cmp_eq_u64 s[40:41], 0
	v_addc_co_u32_e32 v11, vcc, 0, v11, vcc
	s_cselect_b64 s[2:3], -1, 0
	v_add_co_u32_e32 v14, vcc, 8, v14
	s_andn2_b64 s[38:39], s[38:39], exec
	s_and_b64 s[42:43], s[46:47], exec
	s_andn2_b64 s[36:37], s[36:37], exec
	s_and_b64 s[2:3], s[2:3], exec
	v_addc_co_u32_e32 v15, vcc, 0, v15, vcc
	s_or_b64 s[38:39], s[38:39], s[42:43]
	s_andn2_b64 s[0:1], s[0:1], exec
	s_or_b64 s[36:37], s[36:37], s[2:3]
                                        ; implicit-def: $sgpr42_sgpr43
	s_branch .LBB507_397
.LBB507_400:
	s_or_b64 exec, exec, s[30:31]
	v_cndmask_b32_e64 v7, v7, v9, s[34:35]
	v_cndmask_b32_e64 v6, v6, v8, s[34:35]
.LBB507_401:
	v_pk_mov_b32 v[8:9], v[6:7], v[6:7] op_sel:[0,1]
.LBB507_402:
	s_or_b64 exec, exec, s[28:29]
	v_pk_mov_b32 v[6:7], v[8:9], v[8:9] op_sel:[0,1]
.LBB507_403:
	s_or_b64 exec, exec, s[26:27]
.LBB507_404:
	s_or_b64 exec, exec, s[4:5]
	v_and_b32_e32 v17, 0xe00, v27
	v_or_b32_e32 v8, 0x100, v17
	v_min_u32_e32 v14, 0x400, v8
	v_min_u32_e32 v8, 0x300, v8
	v_add_u32_e32 v15, 0x100, v8
	v_and_b32_e32 v18, 0x1fc, v27
	v_sub_u32_e32 v8, v14, v17
	v_sub_u32_e32 v9, v15, v14
	v_sub_u32_e64 v20, v18, v9 clamp
	v_min_u32_e32 v21, v18, v8
	v_lshlrev_b32_e32 v19, 3, v17
	v_cmp_lt_u32_e32 vcc, v20, v21
	s_barrier
	ds_write_b128 v16, v[0:3]
	ds_write_b128 v16, v[4:7] offset:16
	s_waitcnt lgkmcnt(0)
	s_barrier
	s_and_saveexec_b64 s[26:27], vcc
	s_cbranch_execz .LBB507_414
; %bb.405:
	v_lshlrev_b32_e32 v8, 3, v18
	v_lshl_add_u32 v22, v14, 3, v8
	v_cndmask_b32_e64 v8, 0, 1, s[24:25]
	s_lshl_b64 s[30:31], s[16:17], 3
	s_mov_b64 s[28:29], 0
	v_cmp_ne_u32_e64 s[0:1], 1, v8
	s_branch .LBB507_408
.LBB507_406:                            ;   in Loop: Header=BB507_408 Depth=1
	s_or_b64 exec, exec, s[36:37]
.LBB507_407:                            ;   in Loop: Header=BB507_408 Depth=1
	v_add_u32_e32 v8, 1, v23
	v_cndmask_b32_e64 v21, v21, v23, s[34:35]
	v_cndmask_b32_e64 v20, v8, v20, s[34:35]
	v_cmp_ge_u32_e32 vcc, v20, v21
	s_or_b64 s[28:29], vcc, s[28:29]
	s_andn2_b64 exec, exec, s[28:29]
	s_cbranch_execz .LBB507_413
.LBB507_408:                            ; =>This Loop Header: Depth=1
                                        ;     Child Loop BB507_411 Depth 2
	v_add_u32_e32 v8, v21, v20
	v_lshrrev_b32_e32 v23, 1, v8
	s_and_b64 vcc, exec, s[0:1]
	s_mov_b64 s[34:35], 0
	s_cbranch_vccnz .LBB507_407
; %bb.409:                              ;   in Loop: Header=BB507_408 Depth=1
	v_not_b32_e32 v8, v23
	v_lshl_add_u32 v8, v8, 3, v22
	ds_read_b64 v[8:9], v8
	v_lshl_add_u32 v24, v23, 3, v19
	ds_read_b64 v[24:25], v24
	v_pk_mov_b32 v[10:11], s[18:19], s[18:19] op_sel:[0,1]
	s_mov_b64 s[36:37], 0
	s_waitcnt lgkmcnt(1)
	v_mul_lo_u32 v37, s30, v9
	v_mul_lo_u32 v38, s31, v8
	v_mad_u64_u32 v[8:9], s[2:3], s30, v8, v[10:11]
	v_add3_u32 v9, v38, v9, v37
	s_waitcnt lgkmcnt(0)
	v_mul_lo_u32 v25, s30, v25
	v_mul_lo_u32 v37, s31, v24
	v_mad_u64_u32 v[10:11], s[2:3], s30, v24, v[10:11]
	v_add3_u32 v11, v37, v11, v25
	s_mov_b64 s[42:43], s[16:17]
                                        ; implicit-def: $sgpr34_sgpr35
                                        ; implicit-def: $sgpr38_sgpr39
                                        ; implicit-def: $sgpr40_sgpr41
                                        ; implicit-def: $sgpr2_sgpr3
                                        ; implicit-def: $sgpr44_sgpr45
	s_branch .LBB507_411
.LBB507_410:                            ;   in Loop: Header=BB507_411 Depth=2
	s_or_b64 exec, exec, s[46:47]
	s_and_b64 s[4:5], exec, s[38:39]
	s_or_b64 s[36:37], s[4:5], s[36:37]
	s_andn2_b64 s[4:5], s[44:45], exec
	s_and_b64 s[44:45], s[40:41], exec
	s_or_b64 s[44:45], s[4:5], s[44:45]
	s_andn2_b64 s[4:5], s[34:35], exec
	s_and_b64 s[34:35], s[2:3], exec
	s_or_b64 s[34:35], s[4:5], s[34:35]
	s_andn2_b64 exec, exec, s[36:37]
	s_cbranch_execz .LBB507_406
.LBB507_411:                            ;   Parent Loop BB507_408 Depth=1
                                        ; =>  This Inner Loop Header: Depth=2
	global_load_dwordx2 v[24:25], v[8:9], off
	global_load_dwordx2 v[38:39], v[10:11], off
	s_andn2_b64 s[46:47], s[2:3], exec
	s_andn2_b64 s[40:41], s[40:41], exec
	s_or_b64 s[38:39], s[38:39], exec
	s_waitcnt vmcnt(0)
	v_cmp_le_i64_e64 s[2:3], v[24:25], v[38:39]
	v_cmp_lt_i64_e32 vcc, v[24:25], v[38:39]
	s_and_b64 s[2:3], s[2:3], s[44:45]
	s_or_b64 s[48:49], vcc, s[2:3]
	s_and_b64 s[2:3], s[48:49], exec
	v_cmp_eq_u64_e64 s[4:5], v[24:25], v[38:39]
	s_or_b64 s[2:3], s[46:47], s[2:3]
	s_and_saveexec_b64 s[46:47], s[4:5]
	s_cbranch_execz .LBB507_410
; %bb.412:                              ;   in Loop: Header=BB507_411 Depth=2
	s_add_u32 s42, s42, -1
	s_addc_u32 s43, s43, -1
	v_add_co_u32_e32 v8, vcc, 8, v8
	s_cmp_eq_u64 s[42:43], 0
	v_addc_co_u32_e32 v9, vcc, 0, v9, vcc
	s_cselect_b64 s[4:5], -1, 0
	v_add_co_u32_e32 v10, vcc, 8, v10
	s_andn2_b64 s[40:41], s[40:41], exec
	s_and_b64 s[44:45], s[48:49], exec
	s_andn2_b64 s[38:39], s[38:39], exec
	s_and_b64 s[4:5], s[4:5], exec
	v_addc_co_u32_e32 v11, vcc, 0, v11, vcc
	s_andn2_b64 s[2:3], s[2:3], exec
	s_or_b64 s[40:41], s[40:41], s[44:45]
	s_or_b64 s[38:39], s[38:39], s[4:5]
                                        ; implicit-def: $sgpr44_sgpr45
	s_branch .LBB507_410
.LBB507_413:
	s_or_b64 exec, exec, s[28:29]
.LBB507_414:
	s_or_b64 exec, exec, s[26:27]
	v_sub_u32_e32 v8, v18, v20
	v_add_u32_e32 v17, v20, v17
	v_add_u32_e32 v18, v8, v14
	v_cmp_le_u32_e32 vcc, v17, v14
	v_cmp_le_u32_e64 s[0:1], v18, v15
	s_or_b64 s[0:1], vcc, s[0:1]
	s_and_saveexec_b64 s[4:5], s[0:1]
	s_cbranch_execz .LBB507_461
; %bb.415:
	v_cmp_ge_u32_e32 vcc, v17, v14
	v_cmp_lt_u32_e64 s[0:1], v17, v14
                                        ; implicit-def: $vgpr0_vgpr1
	s_and_saveexec_b64 s[2:3], s[0:1]
	s_cbranch_execz .LBB507_417
; %bb.416:
	v_lshl_add_u32 v0, v20, 3, v19
	ds_read_b64 v[0:1], v0
.LBB507_417:
	s_or_b64 exec, exec, s[2:3]
	v_cmp_ge_u32_e64 s[26:27], v18, v15
	v_cmp_lt_u32_e64 s[0:1], v18, v15
                                        ; implicit-def: $vgpr4_vgpr5
	s_and_saveexec_b64 s[2:3], s[0:1]
	s_cbranch_execz .LBB507_419
; %bb.418:
	v_lshlrev_b32_e32 v2, 3, v18
	ds_read_b64 v[4:5], v2
.LBB507_419:
	s_or_b64 exec, exec, s[2:3]
	s_or_b64 s[0:1], vcc, s[26:27]
	s_mov_b64 s[28:29], -1
	s_xor_b64 s[0:1], s[0:1], -1
	s_and_saveexec_b64 s[30:31], s[0:1]
	s_cbranch_execz .LBB507_428
; %bb.420:
	s_andn2_b64 vcc, exec, s[24:25]
	s_cbranch_vccnz .LBB507_426
; %bb.421:
	s_waitcnt lgkmcnt(0)
	v_mul_lo_u32 v6, v5, s16
	v_mul_lo_u32 v7, v4, s17
	v_mad_u64_u32 v[2:3], s[0:1], v4, s16, 0
	v_add3_u32 v3, v3, v7, v6
	v_lshlrev_b64 v[2:3], 3, v[2:3]
	v_mov_b32_e32 v6, s19
	v_add_co_u32_e32 v2, vcc, s18, v2
	v_addc_co_u32_e32 v3, vcc, v6, v3, vcc
	v_mul_lo_u32 v8, v1, s16
	v_mul_lo_u32 v9, v0, s17
	v_mad_u64_u32 v[6:7], s[0:1], v0, s16, 0
	v_add3_u32 v7, v7, v9, v8
	v_lshlrev_b64 v[6:7], 3, v[6:7]
	v_mov_b32_e32 v8, s19
	v_add_co_u32_e32 v6, vcc, s18, v6
	v_addc_co_u32_e32 v7, vcc, v8, v7, vcc
	s_mov_b64 s[34:35], 0
	s_mov_b64 s[42:43], s[16:17]
                                        ; implicit-def: $sgpr36_sgpr37
                                        ; implicit-def: $sgpr38_sgpr39
                                        ; implicit-def: $sgpr0_sgpr1
                                        ; implicit-def: $sgpr40_sgpr41
                                        ; implicit-def: $sgpr44_sgpr45
	s_branch .LBB507_423
.LBB507_422:                            ;   in Loop: Header=BB507_423 Depth=1
	s_or_b64 exec, exec, s[46:47]
	s_and_b64 s[2:3], exec, s[38:39]
	s_or_b64 s[34:35], s[2:3], s[34:35]
	s_andn2_b64 s[2:3], s[44:45], exec
	s_and_b64 s[44:45], s[40:41], exec
	s_or_b64 s[44:45], s[2:3], s[44:45]
	s_andn2_b64 s[2:3], s[36:37], exec
	s_and_b64 s[36:37], s[0:1], exec
	s_or_b64 s[36:37], s[2:3], s[36:37]
	s_andn2_b64 exec, exec, s[34:35]
	s_cbranch_execz .LBB507_425
.LBB507_423:                            ; =>This Inner Loop Header: Depth=1
	global_load_dwordx2 v[8:9], v[2:3], off
	global_load_dwordx2 v[10:11], v[6:7], off
	s_andn2_b64 s[46:47], s[0:1], exec
	s_andn2_b64 s[40:41], s[40:41], exec
	s_or_b64 s[38:39], s[38:39], exec
	s_waitcnt vmcnt(0)
	v_cmp_le_i64_e64 s[0:1], v[8:9], v[10:11]
	v_cmp_lt_i64_e32 vcc, v[8:9], v[10:11]
	s_and_b64 s[0:1], s[0:1], s[44:45]
	s_or_b64 s[48:49], vcc, s[0:1]
	s_and_b64 s[0:1], s[48:49], exec
	v_cmp_eq_u64_e64 s[2:3], v[8:9], v[10:11]
	s_or_b64 s[0:1], s[46:47], s[0:1]
	s_and_saveexec_b64 s[46:47], s[2:3]
	s_cbranch_execz .LBB507_422
; %bb.424:                              ;   in Loop: Header=BB507_423 Depth=1
	s_add_u32 s42, s42, -1
	s_addc_u32 s43, s43, -1
	v_add_co_u32_e32 v2, vcc, 8, v2
	s_cmp_eq_u64 s[42:43], 0
	v_addc_co_u32_e32 v3, vcc, 0, v3, vcc
	s_cselect_b64 s[2:3], -1, 0
	v_add_co_u32_e32 v6, vcc, 8, v6
	s_andn2_b64 s[40:41], s[40:41], exec
	s_and_b64 s[44:45], s[48:49], exec
	s_andn2_b64 s[38:39], s[38:39], exec
	s_and_b64 s[2:3], s[2:3], exec
	v_addc_co_u32_e32 v7, vcc, 0, v7, vcc
	s_or_b64 s[40:41], s[40:41], s[44:45]
	s_andn2_b64 s[0:1], s[0:1], exec
	s_or_b64 s[38:39], s[38:39], s[2:3]
                                        ; implicit-def: $sgpr44_sgpr45
	s_branch .LBB507_422
.LBB507_425:
	s_or_b64 exec, exec, s[34:35]
	s_xor_b64 s[0:1], s[36:37], -1
	s_branch .LBB507_427
.LBB507_426:
	s_mov_b64 s[0:1], -1
.LBB507_427:
	s_andn2_b64 s[2:3], s[26:27], exec
	s_and_b64 s[0:1], s[0:1], exec
	s_or_b64 s[26:27], s[2:3], s[0:1]
.LBB507_428:
	s_or_b64 exec, exec, s[30:31]
	v_cndmask_b32_e64 v2, v18, v17, s[26:27]
	v_cndmask_b32_e64 v3, v15, v14, s[26:27]
	v_add_u32_e32 v6, 1, v2
	v_add_u32_e32 v2, -1, v3
	v_min_u32_e32 v2, v6, v2
	v_lshlrev_b32_e32 v2, 3, v2
	ds_read_b64 v[2:3], v2
	v_cndmask_b32_e64 v19, v6, v18, s[26:27]
	v_cndmask_b32_e64 v23, v17, v6, s[26:27]
	v_cmp_lt_u32_e32 vcc, v19, v15
	s_waitcnt lgkmcnt(0)
	v_cndmask_b32_e64 v8, v3, v5, s[26:27]
	v_cndmask_b32_e64 v9, v2, v4, s[26:27]
	;; [unrolled: 1-line block ×4, first 2 shown]
	s_and_saveexec_b64 s[30:31], vcc
	s_cbranch_execz .LBB507_439
; %bb.429:
	v_cmp_lt_u32_e32 vcc, v23, v14
	s_mov_b64 s[0:1], 0
	s_and_saveexec_b64 s[28:29], vcc
	s_cbranch_execz .LBB507_438
; %bb.430:
	s_andn2_b64 vcc, exec, s[24:25]
	s_cbranch_vccnz .LBB507_436
; %bb.431:
	v_mul_lo_u32 v6, v8, s16
	v_mul_lo_u32 v7, v9, s17
	v_mad_u64_u32 v[2:3], s[0:1], v9, s16, 0
	v_add3_u32 v3, v3, v7, v6
	v_lshlrev_b64 v[2:3], 3, v[2:3]
	v_mov_b32_e32 v6, s19
	v_add_co_u32_e32 v2, vcc, s18, v2
	v_addc_co_u32_e32 v3, vcc, v6, v3, vcc
	v_mul_lo_u32 v17, v10, s16
	v_mul_lo_u32 v18, v11, s17
	v_mad_u64_u32 v[6:7], s[0:1], v11, s16, 0
	v_add3_u32 v7, v7, v18, v17
	v_lshlrev_b64 v[6:7], 3, v[6:7]
	v_mov_b32_e32 v17, s19
	v_add_co_u32_e32 v6, vcc, s18, v6
	v_addc_co_u32_e32 v7, vcc, v17, v7, vcc
	s_mov_b64 s[34:35], 0
	s_mov_b64 s[42:43], s[16:17]
                                        ; implicit-def: $sgpr36_sgpr37
                                        ; implicit-def: $sgpr38_sgpr39
                                        ; implicit-def: $sgpr0_sgpr1
                                        ; implicit-def: $sgpr40_sgpr41
                                        ; implicit-def: $sgpr44_sgpr45
	s_branch .LBB507_433
.LBB507_432:                            ;   in Loop: Header=BB507_433 Depth=1
	s_or_b64 exec, exec, s[46:47]
	s_and_b64 s[2:3], exec, s[38:39]
	s_or_b64 s[34:35], s[2:3], s[34:35]
	s_andn2_b64 s[2:3], s[44:45], exec
	s_and_b64 s[44:45], s[40:41], exec
	s_or_b64 s[44:45], s[2:3], s[44:45]
	s_andn2_b64 s[2:3], s[36:37], exec
	s_and_b64 s[36:37], s[0:1], exec
	s_or_b64 s[36:37], s[2:3], s[36:37]
	s_andn2_b64 exec, exec, s[34:35]
	s_cbranch_execz .LBB507_435
.LBB507_433:                            ; =>This Inner Loop Header: Depth=1
	global_load_dwordx2 v[20:21], v[2:3], off
	global_load_dwordx2 v[24:25], v[6:7], off
	s_andn2_b64 s[46:47], s[0:1], exec
	s_andn2_b64 s[40:41], s[40:41], exec
	s_or_b64 s[38:39], s[38:39], exec
	s_waitcnt vmcnt(0)
	v_cmp_le_i64_e64 s[0:1], v[20:21], v[24:25]
	v_cmp_lt_i64_e32 vcc, v[20:21], v[24:25]
	s_and_b64 s[0:1], s[0:1], s[44:45]
	s_or_b64 s[48:49], vcc, s[0:1]
	s_and_b64 s[0:1], s[48:49], exec
	v_cmp_eq_u64_e64 s[2:3], v[20:21], v[24:25]
	s_or_b64 s[0:1], s[46:47], s[0:1]
	s_and_saveexec_b64 s[46:47], s[2:3]
	s_cbranch_execz .LBB507_432
; %bb.434:                              ;   in Loop: Header=BB507_433 Depth=1
	s_add_u32 s42, s42, -1
	s_addc_u32 s43, s43, -1
	v_add_co_u32_e32 v2, vcc, 8, v2
	s_cmp_eq_u64 s[42:43], 0
	v_addc_co_u32_e32 v3, vcc, 0, v3, vcc
	s_cselect_b64 s[2:3], -1, 0
	v_add_co_u32_e32 v6, vcc, 8, v6
	s_andn2_b64 s[40:41], s[40:41], exec
	s_and_b64 s[44:45], s[48:49], exec
	s_andn2_b64 s[38:39], s[38:39], exec
	s_and_b64 s[2:3], s[2:3], exec
	v_addc_co_u32_e32 v7, vcc, 0, v7, vcc
	s_or_b64 s[40:41], s[40:41], s[44:45]
	s_andn2_b64 s[0:1], s[0:1], exec
	s_or_b64 s[38:39], s[38:39], s[2:3]
                                        ; implicit-def: $sgpr44_sgpr45
	s_branch .LBB507_432
.LBB507_435:
	s_or_b64 exec, exec, s[34:35]
	s_xor_b64 s[0:1], s[36:37], -1
	s_branch .LBB507_437
.LBB507_436:
	s_mov_b64 s[0:1], -1
.LBB507_437:
	s_and_b64 s[0:1], s[0:1], exec
.LBB507_438:
	s_or_b64 exec, exec, s[28:29]
	s_orn2_b64 s[28:29], s[0:1], exec
.LBB507_439:
	s_or_b64 exec, exec, s[30:31]
	v_cndmask_b32_e64 v2, v19, v23, s[28:29]
	v_cndmask_b32_e64 v3, v15, v14, s[28:29]
	v_add_u32_e32 v6, 1, v2
	v_add_u32_e32 v2, -1, v3
	v_min_u32_e32 v2, v6, v2
	v_lshlrev_b32_e32 v2, 3, v2
	ds_read_b64 v[2:3], v2
	v_cndmask_b32_e64 v20, v6, v19, s[28:29]
	v_cndmask_b32_e64 v19, v23, v6, s[28:29]
	v_cmp_lt_u32_e32 vcc, v20, v15
	s_mov_b64 s[0:1], -1
	s_waitcnt lgkmcnt(0)
	v_cndmask_b32_e64 v17, v3, v8, s[28:29]
	v_cndmask_b32_e64 v18, v2, v9, s[28:29]
	;; [unrolled: 1-line block ×4, first 2 shown]
	s_and_saveexec_b64 s[30:31], vcc
	s_cbranch_execz .LBB507_450
; %bb.440:
	v_cmp_lt_u32_e32 vcc, v19, v14
	s_mov_b64 s[0:1], 0
	s_and_saveexec_b64 s[34:35], vcc
	s_cbranch_execz .LBB507_449
; %bb.441:
	s_andn2_b64 vcc, exec, s[24:25]
	s_cbranch_vccnz .LBB507_447
; %bb.442:
	v_mul_lo_u32 v6, v17, s16
	v_mul_lo_u32 v7, v18, s17
	v_mad_u64_u32 v[2:3], s[0:1], v18, s16, 0
	v_add3_u32 v3, v3, v7, v6
	v_lshlrev_b64 v[2:3], 3, v[2:3]
	v_mov_b32_e32 v6, s19
	v_add_co_u32_e32 v2, vcc, s18, v2
	v_addc_co_u32_e32 v3, vcc, v6, v3, vcc
	v_mul_lo_u32 v23, v21, s16
	v_mul_lo_u32 v24, v22, s17
	v_mad_u64_u32 v[6:7], s[0:1], v22, s16, 0
	v_add3_u32 v7, v7, v24, v23
	v_lshlrev_b64 v[6:7], 3, v[6:7]
	v_mov_b32_e32 v23, s19
	v_add_co_u32_e32 v6, vcc, s18, v6
	v_addc_co_u32_e32 v7, vcc, v23, v7, vcc
	s_mov_b64 s[36:37], 0
	s_mov_b64 s[44:45], s[16:17]
                                        ; implicit-def: $sgpr38_sgpr39
                                        ; implicit-def: $sgpr40_sgpr41
                                        ; implicit-def: $sgpr0_sgpr1
                                        ; implicit-def: $sgpr42_sgpr43
                                        ; implicit-def: $sgpr46_sgpr47
	s_branch .LBB507_444
.LBB507_443:                            ;   in Loop: Header=BB507_444 Depth=1
	s_or_b64 exec, exec, s[48:49]
	s_and_b64 s[2:3], exec, s[40:41]
	s_or_b64 s[36:37], s[2:3], s[36:37]
	s_andn2_b64 s[2:3], s[46:47], exec
	s_and_b64 s[46:47], s[42:43], exec
	s_or_b64 s[46:47], s[2:3], s[46:47]
	s_andn2_b64 s[2:3], s[38:39], exec
	s_and_b64 s[38:39], s[0:1], exec
	s_or_b64 s[38:39], s[2:3], s[38:39]
	s_andn2_b64 exec, exec, s[36:37]
	s_cbranch_execz .LBB507_446
.LBB507_444:                            ; =>This Inner Loop Header: Depth=1
	global_load_dwordx2 v[24:25], v[2:3], off
	global_load_dwordx2 v[38:39], v[6:7], off
	s_andn2_b64 s[48:49], s[0:1], exec
	s_andn2_b64 s[42:43], s[42:43], exec
	s_or_b64 s[40:41], s[40:41], exec
	s_waitcnt vmcnt(0)
	v_cmp_le_i64_e64 s[0:1], v[24:25], v[38:39]
	v_cmp_lt_i64_e32 vcc, v[24:25], v[38:39]
	s_and_b64 s[0:1], s[0:1], s[46:47]
	s_or_b64 s[50:51], vcc, s[0:1]
	s_and_b64 s[0:1], s[50:51], exec
	v_cmp_eq_u64_e64 s[2:3], v[24:25], v[38:39]
	s_or_b64 s[0:1], s[48:49], s[0:1]
	s_and_saveexec_b64 s[48:49], s[2:3]
	s_cbranch_execz .LBB507_443
; %bb.445:                              ;   in Loop: Header=BB507_444 Depth=1
	s_add_u32 s44, s44, -1
	s_addc_u32 s45, s45, -1
	v_add_co_u32_e32 v2, vcc, 8, v2
	s_cmp_eq_u64 s[44:45], 0
	v_addc_co_u32_e32 v3, vcc, 0, v3, vcc
	s_cselect_b64 s[2:3], -1, 0
	v_add_co_u32_e32 v6, vcc, 8, v6
	s_andn2_b64 s[42:43], s[42:43], exec
	s_and_b64 s[46:47], s[50:51], exec
	s_andn2_b64 s[40:41], s[40:41], exec
	s_and_b64 s[2:3], s[2:3], exec
	v_addc_co_u32_e32 v7, vcc, 0, v7, vcc
	s_or_b64 s[42:43], s[42:43], s[46:47]
	s_andn2_b64 s[0:1], s[0:1], exec
	s_or_b64 s[40:41], s[40:41], s[2:3]
                                        ; implicit-def: $sgpr46_sgpr47
	s_branch .LBB507_443
.LBB507_446:
	s_or_b64 exec, exec, s[36:37]
	s_xor_b64 s[0:1], s[38:39], -1
	s_branch .LBB507_448
.LBB507_447:
	s_mov_b64 s[0:1], -1
.LBB507_448:
	s_and_b64 s[0:1], s[0:1], exec
.LBB507_449:
	s_or_b64 exec, exec, s[34:35]
	s_orn2_b64 s[0:1], s[0:1], exec
.LBB507_450:
	s_or_b64 exec, exec, s[30:31]
	v_cndmask_b32_e64 v6, v20, v19, s[0:1]
	v_cndmask_b32_e64 v7, v15, v14, s[0:1]
	;; [unrolled: 1-line block ×3, first 2 shown]
	v_add_u32_e32 v10, 1, v6
	v_add_u32_e32 v6, -1, v7
	v_min_u32_e32 v6, v10, v6
	v_lshlrev_b32_e32 v6, 3, v6
	v_cndmask_b32_e64 v2, v9, v11, s[28:29]
	ds_read_b64 v[8:9], v6
	v_cndmask_b32_e64 v11, v10, v20, s[0:1]
	v_cndmask_b32_e64 v1, v5, v1, s[26:27]
	;; [unrolled: 1-line block ×5, first 2 shown]
	s_waitcnt lgkmcnt(0)
	v_cndmask_b32_e64 v7, v21, v9, s[0:1]
	v_cndmask_b32_e64 v6, v22, v8, s[0:1]
	v_cmp_lt_u32_e32 vcc, v11, v15
	s_and_saveexec_b64 s[26:27], vcc
	s_cbranch_execz .LBB507_460
; %bb.451:
	v_cndmask_b32_e64 v10, v19, v10, s[0:1]
	v_cndmask_b32_e64 v9, v9, v17, s[0:1]
	;; [unrolled: 1-line block ×3, first 2 shown]
	v_cmp_lt_u32_e32 vcc, v10, v14
	s_and_saveexec_b64 s[28:29], vcc
	s_cbranch_execz .LBB507_459
; %bb.452:
	s_andn2_b64 vcc, exec, s[24:25]
	s_cbranch_vccnz .LBB507_458
; %bb.453:
	v_mul_lo_u32 v14, v9, s16
	v_mul_lo_u32 v15, v8, s17
	v_mad_u64_u32 v[10:11], s[0:1], v8, s16, 0
	v_add3_u32 v11, v11, v15, v14
	v_lshlrev_b64 v[10:11], 3, v[10:11]
	v_mov_b32_e32 v14, s19
	v_add_co_u32_e32 v10, vcc, s18, v10
	v_addc_co_u32_e32 v11, vcc, v14, v11, vcc
	v_mul_lo_u32 v17, v7, s16
	v_mul_lo_u32 v18, v6, s17
	v_mad_u64_u32 v[14:15], s[0:1], v6, s16, 0
	v_add3_u32 v15, v15, v18, v17
	v_lshlrev_b64 v[14:15], 3, v[14:15]
	v_mov_b32_e32 v17, s19
	v_add_co_u32_e32 v14, vcc, s18, v14
	v_addc_co_u32_e32 v15, vcc, v17, v15, vcc
	s_mov_b64 s[30:31], 0
	s_mov_b64 s[40:41], s[16:17]
                                        ; implicit-def: $sgpr34_sgpr35
                                        ; implicit-def: $sgpr36_sgpr37
                                        ; implicit-def: $sgpr0_sgpr1
                                        ; implicit-def: $sgpr38_sgpr39
                                        ; implicit-def: $sgpr42_sgpr43
	s_branch .LBB507_455
.LBB507_454:                            ;   in Loop: Header=BB507_455 Depth=1
	s_or_b64 exec, exec, s[44:45]
	s_and_b64 s[2:3], exec, s[36:37]
	s_or_b64 s[30:31], s[2:3], s[30:31]
	s_andn2_b64 s[2:3], s[42:43], exec
	s_and_b64 s[42:43], s[38:39], exec
	s_or_b64 s[42:43], s[2:3], s[42:43]
	s_andn2_b64 s[2:3], s[34:35], exec
	s_and_b64 s[34:35], s[0:1], exec
	s_or_b64 s[34:35], s[2:3], s[34:35]
	s_andn2_b64 exec, exec, s[30:31]
	s_cbranch_execz .LBB507_457
.LBB507_455:                            ; =>This Inner Loop Header: Depth=1
	global_load_dwordx2 v[18:19], v[10:11], off
	global_load_dwordx2 v[20:21], v[14:15], off
	s_andn2_b64 s[44:45], s[0:1], exec
	s_andn2_b64 s[38:39], s[38:39], exec
	s_or_b64 s[36:37], s[36:37], exec
	s_waitcnt vmcnt(0)
	v_cmp_le_i64_e64 s[0:1], v[18:19], v[20:21]
	v_cmp_lt_i64_e32 vcc, v[18:19], v[20:21]
	s_and_b64 s[0:1], s[0:1], s[42:43]
	s_or_b64 s[46:47], vcc, s[0:1]
	s_and_b64 s[0:1], s[46:47], exec
	v_cmp_eq_u64_e64 s[2:3], v[18:19], v[20:21]
	s_or_b64 s[0:1], s[44:45], s[0:1]
	s_and_saveexec_b64 s[44:45], s[2:3]
	s_cbranch_execz .LBB507_454
; %bb.456:                              ;   in Loop: Header=BB507_455 Depth=1
	s_add_u32 s40, s40, -1
	s_addc_u32 s41, s41, -1
	v_add_co_u32_e32 v10, vcc, 8, v10
	s_cmp_eq_u64 s[40:41], 0
	v_addc_co_u32_e32 v11, vcc, 0, v11, vcc
	s_cselect_b64 s[2:3], -1, 0
	v_add_co_u32_e32 v14, vcc, 8, v14
	s_andn2_b64 s[38:39], s[38:39], exec
	s_and_b64 s[42:43], s[46:47], exec
	s_andn2_b64 s[36:37], s[36:37], exec
	s_and_b64 s[2:3], s[2:3], exec
	v_addc_co_u32_e32 v15, vcc, 0, v15, vcc
	s_or_b64 s[38:39], s[38:39], s[42:43]
	s_andn2_b64 s[0:1], s[0:1], exec
	s_or_b64 s[36:37], s[36:37], s[2:3]
                                        ; implicit-def: $sgpr42_sgpr43
	s_branch .LBB507_454
.LBB507_457:
	s_or_b64 exec, exec, s[30:31]
	v_cndmask_b32_e64 v7, v7, v9, s[34:35]
	v_cndmask_b32_e64 v6, v6, v8, s[34:35]
.LBB507_458:
	v_pk_mov_b32 v[8:9], v[6:7], v[6:7] op_sel:[0,1]
.LBB507_459:
	s_or_b64 exec, exec, s[28:29]
	v_pk_mov_b32 v[6:7], v[8:9], v[8:9] op_sel:[0,1]
.LBB507_460:
	s_or_b64 exec, exec, s[26:27]
.LBB507_461:
	s_or_b64 exec, exec, s[4:5]
	s_barrier
	ds_write_b128 v16, v[0:3]
	ds_write_b128 v16, v[4:7] offset:16
	v_and_b32_e32 v16, 0xc00, v27
	v_or_b32_e32 v8, 0x200, v16
	v_min_u32_e32 v14, 0x400, v8
	v_and_b32_e32 v17, 0x3fc, v27
	v_sub_u32_e32 v8, v14, v16
	v_sub_u32_e32 v9, 0x400, v14
	v_sub_u32_e64 v18, v17, v9 clamp
	v_min_u32_e32 v19, v17, v8
	v_lshlrev_b32_e32 v15, 3, v16
	v_cmp_lt_u32_e32 vcc, v18, v19
	s_waitcnt lgkmcnt(0)
	s_barrier
	s_and_saveexec_b64 s[26:27], vcc
	s_cbranch_execz .LBB507_471
; %bb.462:
	v_lshlrev_b32_e32 v8, 3, v17
	v_lshl_add_u32 v20, v14, 3, v8
	v_cndmask_b32_e64 v8, 0, 1, s[24:25]
	s_lshl_b64 s[30:31], s[16:17], 3
	s_mov_b64 s[28:29], 0
	v_cmp_ne_u32_e64 s[0:1], 1, v8
	s_branch .LBB507_465
.LBB507_463:                            ;   in Loop: Header=BB507_465 Depth=1
	s_or_b64 exec, exec, s[36:37]
.LBB507_464:                            ;   in Loop: Header=BB507_465 Depth=1
	v_add_u32_e32 v8, 1, v21
	v_cndmask_b32_e64 v19, v19, v21, s[34:35]
	v_cndmask_b32_e64 v18, v8, v18, s[34:35]
	v_cmp_ge_u32_e32 vcc, v18, v19
	s_or_b64 s[28:29], vcc, s[28:29]
	s_andn2_b64 exec, exec, s[28:29]
	s_cbranch_execz .LBB507_470
.LBB507_465:                            ; =>This Loop Header: Depth=1
                                        ;     Child Loop BB507_468 Depth 2
	v_add_u32_e32 v8, v19, v18
	v_lshrrev_b32_e32 v21, 1, v8
	s_and_b64 vcc, exec, s[0:1]
	s_mov_b64 s[34:35], 0
	s_cbranch_vccnz .LBB507_464
; %bb.466:                              ;   in Loop: Header=BB507_465 Depth=1
	v_not_b32_e32 v8, v21
	v_lshl_add_u32 v8, v8, 3, v20
	ds_read_b64 v[8:9], v8
	v_lshl_add_u32 v22, v21, 3, v15
	ds_read_b64 v[22:23], v22
	v_pk_mov_b32 v[10:11], s[18:19], s[18:19] op_sel:[0,1]
	s_mov_b64 s[36:37], 0
	s_waitcnt lgkmcnt(1)
	v_mul_lo_u32 v24, s30, v9
	v_mul_lo_u32 v25, s31, v8
	v_mad_u64_u32 v[8:9], s[2:3], s30, v8, v[10:11]
	v_add3_u32 v9, v25, v9, v24
	s_waitcnt lgkmcnt(0)
	v_mul_lo_u32 v23, s30, v23
	v_mul_lo_u32 v24, s31, v22
	v_mad_u64_u32 v[10:11], s[2:3], s30, v22, v[10:11]
	v_add3_u32 v11, v24, v11, v23
	s_mov_b64 s[42:43], s[16:17]
                                        ; implicit-def: $sgpr34_sgpr35
                                        ; implicit-def: $sgpr38_sgpr39
                                        ; implicit-def: $sgpr40_sgpr41
                                        ; implicit-def: $sgpr2_sgpr3
                                        ; implicit-def: $sgpr44_sgpr45
	s_branch .LBB507_468
.LBB507_467:                            ;   in Loop: Header=BB507_468 Depth=2
	s_or_b64 exec, exec, s[46:47]
	s_and_b64 s[4:5], exec, s[38:39]
	s_or_b64 s[36:37], s[4:5], s[36:37]
	s_andn2_b64 s[4:5], s[44:45], exec
	s_and_b64 s[44:45], s[40:41], exec
	s_or_b64 s[44:45], s[4:5], s[44:45]
	s_andn2_b64 s[4:5], s[34:35], exec
	s_and_b64 s[34:35], s[2:3], exec
	s_or_b64 s[34:35], s[4:5], s[34:35]
	s_andn2_b64 exec, exec, s[36:37]
	s_cbranch_execz .LBB507_463
.LBB507_468:                            ;   Parent Loop BB507_465 Depth=1
                                        ; =>  This Inner Loop Header: Depth=2
	global_load_dwordx2 v[22:23], v[8:9], off
	global_load_dwordx2 v[24:25], v[10:11], off
	s_andn2_b64 s[46:47], s[2:3], exec
	s_andn2_b64 s[40:41], s[40:41], exec
	s_or_b64 s[38:39], s[38:39], exec
	s_waitcnt vmcnt(0)
	v_cmp_le_i64_e64 s[2:3], v[22:23], v[24:25]
	v_cmp_lt_i64_e32 vcc, v[22:23], v[24:25]
	s_and_b64 s[2:3], s[2:3], s[44:45]
	s_or_b64 s[48:49], vcc, s[2:3]
	s_and_b64 s[2:3], s[48:49], exec
	v_cmp_eq_u64_e64 s[4:5], v[22:23], v[24:25]
	s_or_b64 s[2:3], s[46:47], s[2:3]
	s_and_saveexec_b64 s[46:47], s[4:5]
	s_cbranch_execz .LBB507_467
; %bb.469:                              ;   in Loop: Header=BB507_468 Depth=2
	s_add_u32 s42, s42, -1
	s_addc_u32 s43, s43, -1
	v_add_co_u32_e32 v8, vcc, 8, v8
	s_cmp_eq_u64 s[42:43], 0
	v_addc_co_u32_e32 v9, vcc, 0, v9, vcc
	s_cselect_b64 s[4:5], -1, 0
	v_add_co_u32_e32 v10, vcc, 8, v10
	s_andn2_b64 s[40:41], s[40:41], exec
	s_and_b64 s[44:45], s[48:49], exec
	s_andn2_b64 s[38:39], s[38:39], exec
	s_and_b64 s[4:5], s[4:5], exec
	v_addc_co_u32_e32 v11, vcc, 0, v11, vcc
	s_andn2_b64 s[2:3], s[2:3], exec
	s_or_b64 s[40:41], s[40:41], s[44:45]
	s_or_b64 s[38:39], s[38:39], s[4:5]
                                        ; implicit-def: $sgpr44_sgpr45
	s_branch .LBB507_467
.LBB507_470:
	s_or_b64 exec, exec, s[28:29]
.LBB507_471:
	s_or_b64 exec, exec, s[26:27]
	v_sub_u32_e32 v8, v17, v18
	v_add_u32_e32 v16, v18, v16
	v_add_u32_e32 v17, v8, v14
	s_movk_i32 s0, 0x401
	v_cmp_le_u32_e32 vcc, v16, v14
	v_cmp_gt_u32_e64 s[0:1], s0, v17
	s_or_b64 s[0:1], vcc, s[0:1]
	s_and_saveexec_b64 s[4:5], s[0:1]
	s_cbranch_execz .LBB507_518
; %bb.472:
	v_cmp_ge_u32_e32 vcc, v16, v14
	v_cmp_lt_u32_e64 s[0:1], v16, v14
                                        ; implicit-def: $vgpr0_vgpr1
	s_and_saveexec_b64 s[2:3], s[0:1]
	s_cbranch_execz .LBB507_474
; %bb.473:
	v_lshl_add_u32 v0, v18, 3, v15
	ds_read_b64 v[0:1], v0
.LBB507_474:
	s_or_b64 exec, exec, s[2:3]
	s_movk_i32 s0, 0x3ff
	v_cmp_lt_u32_e64 s[26:27], s0, v17
	s_movk_i32 s0, 0x400
	v_cmp_gt_u32_e64 s[0:1], s0, v17
                                        ; implicit-def: $vgpr4_vgpr5
	s_and_saveexec_b64 s[2:3], s[0:1]
	s_cbranch_execz .LBB507_476
; %bb.475:
	v_lshlrev_b32_e32 v2, 3, v17
	ds_read_b64 v[4:5], v2
.LBB507_476:
	s_or_b64 exec, exec, s[2:3]
	s_or_b64 s[0:1], vcc, s[26:27]
	s_mov_b64 s[28:29], -1
	s_xor_b64 s[0:1], s[0:1], -1
	s_and_saveexec_b64 s[30:31], s[0:1]
	s_cbranch_execz .LBB507_485
; %bb.477:
	s_andn2_b64 vcc, exec, s[24:25]
	s_cbranch_vccnz .LBB507_483
; %bb.478:
	s_waitcnt lgkmcnt(0)
	v_mul_lo_u32 v6, v5, s16
	v_mul_lo_u32 v7, v4, s17
	v_mad_u64_u32 v[2:3], s[0:1], v4, s16, 0
	v_add3_u32 v3, v3, v7, v6
	v_lshlrev_b64 v[2:3], 3, v[2:3]
	v_mov_b32_e32 v6, s19
	v_add_co_u32_e32 v2, vcc, s18, v2
	v_addc_co_u32_e32 v3, vcc, v6, v3, vcc
	v_mul_lo_u32 v8, v1, s16
	v_mul_lo_u32 v9, v0, s17
	v_mad_u64_u32 v[6:7], s[0:1], v0, s16, 0
	v_add3_u32 v7, v7, v9, v8
	v_lshlrev_b64 v[6:7], 3, v[6:7]
	v_mov_b32_e32 v8, s19
	v_add_co_u32_e32 v6, vcc, s18, v6
	v_addc_co_u32_e32 v7, vcc, v8, v7, vcc
	s_mov_b64 s[34:35], 0
	s_mov_b64 s[42:43], s[16:17]
                                        ; implicit-def: $sgpr36_sgpr37
                                        ; implicit-def: $sgpr38_sgpr39
                                        ; implicit-def: $sgpr0_sgpr1
                                        ; implicit-def: $sgpr40_sgpr41
                                        ; implicit-def: $sgpr44_sgpr45
	s_branch .LBB507_480
.LBB507_479:                            ;   in Loop: Header=BB507_480 Depth=1
	s_or_b64 exec, exec, s[46:47]
	s_and_b64 s[2:3], exec, s[38:39]
	s_or_b64 s[34:35], s[2:3], s[34:35]
	s_andn2_b64 s[2:3], s[44:45], exec
	s_and_b64 s[44:45], s[40:41], exec
	s_or_b64 s[44:45], s[2:3], s[44:45]
	s_andn2_b64 s[2:3], s[36:37], exec
	s_and_b64 s[36:37], s[0:1], exec
	s_or_b64 s[36:37], s[2:3], s[36:37]
	s_andn2_b64 exec, exec, s[34:35]
	s_cbranch_execz .LBB507_482
.LBB507_480:                            ; =>This Inner Loop Header: Depth=1
	global_load_dwordx2 v[8:9], v[2:3], off
	global_load_dwordx2 v[10:11], v[6:7], off
	s_andn2_b64 s[46:47], s[0:1], exec
	s_andn2_b64 s[40:41], s[40:41], exec
	s_or_b64 s[38:39], s[38:39], exec
	s_waitcnt vmcnt(0)
	v_cmp_le_i64_e64 s[0:1], v[8:9], v[10:11]
	v_cmp_lt_i64_e32 vcc, v[8:9], v[10:11]
	s_and_b64 s[0:1], s[0:1], s[44:45]
	s_or_b64 s[48:49], vcc, s[0:1]
	s_and_b64 s[0:1], s[48:49], exec
	v_cmp_eq_u64_e64 s[2:3], v[8:9], v[10:11]
	s_or_b64 s[0:1], s[46:47], s[0:1]
	s_and_saveexec_b64 s[46:47], s[2:3]
	s_cbranch_execz .LBB507_479
; %bb.481:                              ;   in Loop: Header=BB507_480 Depth=1
	s_add_u32 s42, s42, -1
	s_addc_u32 s43, s43, -1
	v_add_co_u32_e32 v2, vcc, 8, v2
	s_cmp_eq_u64 s[42:43], 0
	v_addc_co_u32_e32 v3, vcc, 0, v3, vcc
	s_cselect_b64 s[2:3], -1, 0
	v_add_co_u32_e32 v6, vcc, 8, v6
	s_andn2_b64 s[40:41], s[40:41], exec
	s_and_b64 s[44:45], s[48:49], exec
	s_andn2_b64 s[38:39], s[38:39], exec
	s_and_b64 s[2:3], s[2:3], exec
	v_addc_co_u32_e32 v7, vcc, 0, v7, vcc
	s_or_b64 s[40:41], s[40:41], s[44:45]
	s_andn2_b64 s[0:1], s[0:1], exec
	s_or_b64 s[38:39], s[38:39], s[2:3]
                                        ; implicit-def: $sgpr44_sgpr45
	s_branch .LBB507_479
.LBB507_482:
	s_or_b64 exec, exec, s[34:35]
	s_xor_b64 s[0:1], s[36:37], -1
	s_branch .LBB507_484
.LBB507_483:
	s_mov_b64 s[0:1], -1
.LBB507_484:
	s_andn2_b64 s[2:3], s[26:27], exec
	s_and_b64 s[0:1], s[0:1], exec
	s_or_b64 s[26:27], s[2:3], s[0:1]
.LBB507_485:
	s_or_b64 exec, exec, s[30:31]
	v_cndmask_b32_e64 v2, v17, v16, s[26:27]
	v_add_u32_e32 v8, -1, v14
	v_mov_b32_e32 v18, 0x3ff
	v_add_u32_e32 v6, 1, v2
	v_cndmask_b32_e64 v2, v18, v8, s[26:27]
	v_min_u32_e32 v2, v6, v2
	v_lshlrev_b32_e32 v2, 3, v2
	ds_read_b64 v[2:3], v2
	v_cndmask_b32_e64 v19, v6, v17, s[26:27]
	s_movk_i32 s7, 0x400
	v_cndmask_b32_e64 v22, v16, v6, s[26:27]
	v_cmp_gt_u32_e32 vcc, s7, v19
	s_waitcnt lgkmcnt(0)
	v_cndmask_b32_e64 v9, v3, v5, s[26:27]
	v_cndmask_b32_e64 v10, v2, v4, s[26:27]
	;; [unrolled: 1-line block ×4, first 2 shown]
	s_and_saveexec_b64 s[30:31], vcc
	s_cbranch_execz .LBB507_496
; %bb.486:
	v_cmp_lt_u32_e32 vcc, v22, v14
	s_mov_b64 s[0:1], 0
	s_and_saveexec_b64 s[28:29], vcc
	s_cbranch_execz .LBB507_495
; %bb.487:
	s_andn2_b64 vcc, exec, s[24:25]
	s_cbranch_vccnz .LBB507_493
; %bb.488:
	v_mul_lo_u32 v6, v9, s16
	v_mul_lo_u32 v7, v10, s17
	v_mad_u64_u32 v[2:3], s[0:1], v10, s16, 0
	v_add3_u32 v3, v3, v7, v6
	v_lshlrev_b64 v[2:3], 3, v[2:3]
	v_mov_b32_e32 v6, s19
	v_add_co_u32_e32 v2, vcc, s18, v2
	v_addc_co_u32_e32 v3, vcc, v6, v3, vcc
	v_mul_lo_u32 v16, v11, s16
	v_mul_lo_u32 v17, v15, s17
	v_mad_u64_u32 v[6:7], s[0:1], v15, s16, 0
	v_add3_u32 v7, v7, v17, v16
	v_lshlrev_b64 v[6:7], 3, v[6:7]
	v_mov_b32_e32 v16, s19
	v_add_co_u32_e32 v6, vcc, s18, v6
	v_addc_co_u32_e32 v7, vcc, v16, v7, vcc
	s_mov_b64 s[34:35], 0
	s_mov_b64 s[42:43], s[16:17]
                                        ; implicit-def: $sgpr36_sgpr37
                                        ; implicit-def: $sgpr38_sgpr39
                                        ; implicit-def: $sgpr0_sgpr1
                                        ; implicit-def: $sgpr40_sgpr41
                                        ; implicit-def: $sgpr44_sgpr45
	s_branch .LBB507_490
.LBB507_489:                            ;   in Loop: Header=BB507_490 Depth=1
	s_or_b64 exec, exec, s[46:47]
	s_and_b64 s[2:3], exec, s[38:39]
	s_or_b64 s[34:35], s[2:3], s[34:35]
	s_andn2_b64 s[2:3], s[44:45], exec
	s_and_b64 s[44:45], s[40:41], exec
	s_or_b64 s[44:45], s[2:3], s[44:45]
	s_andn2_b64 s[2:3], s[36:37], exec
	s_and_b64 s[36:37], s[0:1], exec
	s_or_b64 s[36:37], s[2:3], s[36:37]
	s_andn2_b64 exec, exec, s[34:35]
	s_cbranch_execz .LBB507_492
.LBB507_490:                            ; =>This Inner Loop Header: Depth=1
	global_load_dwordx2 v[16:17], v[2:3], off
	global_load_dwordx2 v[20:21], v[6:7], off
	s_andn2_b64 s[46:47], s[0:1], exec
	s_andn2_b64 s[40:41], s[40:41], exec
	s_or_b64 s[38:39], s[38:39], exec
	s_waitcnt vmcnt(0)
	v_cmp_le_i64_e64 s[0:1], v[16:17], v[20:21]
	v_cmp_lt_i64_e32 vcc, v[16:17], v[20:21]
	s_and_b64 s[0:1], s[0:1], s[44:45]
	s_or_b64 s[48:49], vcc, s[0:1]
	s_and_b64 s[0:1], s[48:49], exec
	v_cmp_eq_u64_e64 s[2:3], v[16:17], v[20:21]
	s_or_b64 s[0:1], s[46:47], s[0:1]
	s_and_saveexec_b64 s[46:47], s[2:3]
	s_cbranch_execz .LBB507_489
; %bb.491:                              ;   in Loop: Header=BB507_490 Depth=1
	s_add_u32 s42, s42, -1
	s_addc_u32 s43, s43, -1
	v_add_co_u32_e32 v2, vcc, 8, v2
	s_cmp_eq_u64 s[42:43], 0
	v_addc_co_u32_e32 v3, vcc, 0, v3, vcc
	s_cselect_b64 s[2:3], -1, 0
	v_add_co_u32_e32 v6, vcc, 8, v6
	s_andn2_b64 s[40:41], s[40:41], exec
	s_and_b64 s[44:45], s[48:49], exec
	s_andn2_b64 s[38:39], s[38:39], exec
	s_and_b64 s[2:3], s[2:3], exec
	v_addc_co_u32_e32 v7, vcc, 0, v7, vcc
	s_or_b64 s[40:41], s[40:41], s[44:45]
	s_andn2_b64 s[0:1], s[0:1], exec
	s_or_b64 s[38:39], s[38:39], s[2:3]
                                        ; implicit-def: $sgpr44_sgpr45
	s_branch .LBB507_489
.LBB507_492:
	s_or_b64 exec, exec, s[34:35]
	s_xor_b64 s[0:1], s[36:37], -1
	s_branch .LBB507_494
.LBB507_493:
	s_mov_b64 s[0:1], -1
.LBB507_494:
	s_and_b64 s[0:1], s[0:1], exec
.LBB507_495:
	s_or_b64 exec, exec, s[28:29]
	s_orn2_b64 s[28:29], s[0:1], exec
.LBB507_496:
	s_or_b64 exec, exec, s[30:31]
	v_cndmask_b32_e64 v2, v19, v22, s[28:29]
	v_add_u32_e32 v6, 1, v2
	v_cndmask_b32_e64 v2, v18, v8, s[28:29]
	v_min_u32_e32 v2, v6, v2
	v_lshlrev_b32_e32 v2, 3, v2
	ds_read_b64 v[2:3], v2
	v_cndmask_b32_e64 v19, v6, v19, s[28:29]
	v_cndmask_b32_e64 v18, v22, v6, s[28:29]
	v_cmp_gt_u32_e32 vcc, s7, v19
	s_mov_b64 s[0:1], -1
	s_waitcnt lgkmcnt(0)
	v_cndmask_b32_e64 v16, v3, v9, s[28:29]
	v_cndmask_b32_e64 v17, v2, v10, s[28:29]
	;; [unrolled: 1-line block ×4, first 2 shown]
	s_and_saveexec_b64 s[30:31], vcc
	s_cbranch_execz .LBB507_507
; %bb.497:
	v_cmp_lt_u32_e32 vcc, v18, v14
	s_mov_b64 s[0:1], 0
	s_and_saveexec_b64 s[34:35], vcc
	s_cbranch_execz .LBB507_506
; %bb.498:
	s_andn2_b64 vcc, exec, s[24:25]
	s_cbranch_vccnz .LBB507_504
; %bb.499:
	v_mul_lo_u32 v6, v16, s16
	v_mul_lo_u32 v7, v17, s17
	v_mad_u64_u32 v[2:3], s[0:1], v17, s16, 0
	v_add3_u32 v3, v3, v7, v6
	v_lshlrev_b64 v[2:3], 3, v[2:3]
	v_mov_b32_e32 v6, s19
	v_add_co_u32_e32 v2, vcc, s18, v2
	v_addc_co_u32_e32 v3, vcc, v6, v3, vcc
	v_mul_lo_u32 v22, v20, s16
	v_mul_lo_u32 v23, v21, s17
	v_mad_u64_u32 v[6:7], s[0:1], v21, s16, 0
	v_add3_u32 v7, v7, v23, v22
	v_lshlrev_b64 v[6:7], 3, v[6:7]
	v_mov_b32_e32 v22, s19
	v_add_co_u32_e32 v6, vcc, s18, v6
	v_addc_co_u32_e32 v7, vcc, v22, v7, vcc
	s_mov_b64 s[36:37], 0
	s_mov_b64 s[44:45], s[16:17]
                                        ; implicit-def: $sgpr38_sgpr39
                                        ; implicit-def: $sgpr40_sgpr41
                                        ; implicit-def: $sgpr0_sgpr1
                                        ; implicit-def: $sgpr42_sgpr43
                                        ; implicit-def: $sgpr46_sgpr47
	s_branch .LBB507_501
.LBB507_500:                            ;   in Loop: Header=BB507_501 Depth=1
	s_or_b64 exec, exec, s[48:49]
	s_and_b64 s[2:3], exec, s[40:41]
	s_or_b64 s[36:37], s[2:3], s[36:37]
	s_andn2_b64 s[2:3], s[46:47], exec
	s_and_b64 s[46:47], s[42:43], exec
	s_or_b64 s[46:47], s[2:3], s[46:47]
	s_andn2_b64 s[2:3], s[38:39], exec
	s_and_b64 s[38:39], s[0:1], exec
	s_or_b64 s[38:39], s[2:3], s[38:39]
	s_andn2_b64 exec, exec, s[36:37]
	s_cbranch_execz .LBB507_503
.LBB507_501:                            ; =>This Inner Loop Header: Depth=1
	global_load_dwordx2 v[22:23], v[2:3], off
	global_load_dwordx2 v[24:25], v[6:7], off
	s_andn2_b64 s[48:49], s[0:1], exec
	s_andn2_b64 s[42:43], s[42:43], exec
	s_or_b64 s[40:41], s[40:41], exec
	s_waitcnt vmcnt(0)
	v_cmp_le_i64_e64 s[0:1], v[22:23], v[24:25]
	v_cmp_lt_i64_e32 vcc, v[22:23], v[24:25]
	s_and_b64 s[0:1], s[0:1], s[46:47]
	s_or_b64 s[50:51], vcc, s[0:1]
	s_and_b64 s[0:1], s[50:51], exec
	v_cmp_eq_u64_e64 s[2:3], v[22:23], v[24:25]
	s_or_b64 s[0:1], s[48:49], s[0:1]
	s_and_saveexec_b64 s[48:49], s[2:3]
	s_cbranch_execz .LBB507_500
; %bb.502:                              ;   in Loop: Header=BB507_501 Depth=1
	s_add_u32 s44, s44, -1
	s_addc_u32 s45, s45, -1
	v_add_co_u32_e32 v2, vcc, 8, v2
	s_cmp_eq_u64 s[44:45], 0
	v_addc_co_u32_e32 v3, vcc, 0, v3, vcc
	s_cselect_b64 s[2:3], -1, 0
	v_add_co_u32_e32 v6, vcc, 8, v6
	s_andn2_b64 s[42:43], s[42:43], exec
	s_and_b64 s[46:47], s[50:51], exec
	s_andn2_b64 s[40:41], s[40:41], exec
	s_and_b64 s[2:3], s[2:3], exec
	v_addc_co_u32_e32 v7, vcc, 0, v7, vcc
	s_or_b64 s[42:43], s[42:43], s[46:47]
	s_andn2_b64 s[0:1], s[0:1], exec
	s_or_b64 s[40:41], s[40:41], s[2:3]
                                        ; implicit-def: $sgpr46_sgpr47
	s_branch .LBB507_500
.LBB507_503:
	s_or_b64 exec, exec, s[36:37]
	s_xor_b64 s[0:1], s[38:39], -1
	s_branch .LBB507_505
.LBB507_504:
	s_mov_b64 s[0:1], -1
.LBB507_505:
	s_and_b64 s[0:1], s[0:1], exec
.LBB507_506:
	s_or_b64 exec, exec, s[34:35]
	s_orn2_b64 s[0:1], s[0:1], exec
.LBB507_507:
	s_or_b64 exec, exec, s[30:31]
	v_cndmask_b32_e64 v6, v19, v18, s[0:1]
	v_cndmask_b32_e64 v2, v10, v15, s[28:29]
	v_add_u32_e32 v10, 1, v6
	v_mov_b32_e32 v6, 0x3ff
	v_cndmask_b32_e64 v6, v6, v8, s[0:1]
	v_min_u32_e32 v6, v10, v6
	v_lshlrev_b32_e32 v6, 3, v6
	v_cndmask_b32_e64 v3, v9, v11, s[28:29]
	ds_read_b64 v[8:9], v6
	v_cndmask_b32_e64 v11, v10, v19, s[0:1]
	s_movk_i32 s2, 0x400
	v_cndmask_b32_e64 v1, v5, v1, s[26:27]
	v_cndmask_b32_e64 v0, v4, v0, s[26:27]
	;; [unrolled: 1-line block ×4, first 2 shown]
	s_waitcnt lgkmcnt(0)
	v_cndmask_b32_e64 v7, v20, v9, s[0:1]
	v_cndmask_b32_e64 v6, v21, v8, s[0:1]
	v_cmp_gt_u32_e32 vcc, s2, v11
	s_and_saveexec_b64 s[26:27], vcc
	s_cbranch_execz .LBB507_517
; %bb.508:
	v_cndmask_b32_e64 v10, v18, v10, s[0:1]
	v_cndmask_b32_e64 v9, v9, v16, s[0:1]
	;; [unrolled: 1-line block ×3, first 2 shown]
	v_cmp_lt_u32_e32 vcc, v10, v14
	s_and_saveexec_b64 s[28:29], vcc
	s_cbranch_execz .LBB507_516
; %bb.509:
	s_andn2_b64 vcc, exec, s[24:25]
	s_cbranch_vccnz .LBB507_515
; %bb.510:
	v_mul_lo_u32 v14, v9, s16
	v_mul_lo_u32 v15, v8, s17
	v_mad_u64_u32 v[10:11], s[0:1], v8, s16, 0
	v_add3_u32 v11, v11, v15, v14
	v_lshlrev_b64 v[10:11], 3, v[10:11]
	v_mov_b32_e32 v14, s19
	v_add_co_u32_e32 v10, vcc, s18, v10
	v_addc_co_u32_e32 v11, vcc, v14, v11, vcc
	v_mul_lo_u32 v16, v7, s16
	v_mul_lo_u32 v17, v6, s17
	v_mad_u64_u32 v[14:15], s[0:1], v6, s16, 0
	v_add3_u32 v15, v15, v17, v16
	v_lshlrev_b64 v[14:15], 3, v[14:15]
	v_mov_b32_e32 v16, s19
	v_add_co_u32_e32 v14, vcc, s18, v14
	v_addc_co_u32_e32 v15, vcc, v16, v15, vcc
	s_mov_b64 s[24:25], 0
	s_mov_b64 s[38:39], s[16:17]
                                        ; implicit-def: $sgpr30_sgpr31
                                        ; implicit-def: $sgpr34_sgpr35
                                        ; implicit-def: $sgpr0_sgpr1
                                        ; implicit-def: $sgpr36_sgpr37
                                        ; implicit-def: $sgpr40_sgpr41
	s_branch .LBB507_512
.LBB507_511:                            ;   in Loop: Header=BB507_512 Depth=1
	s_or_b64 exec, exec, s[42:43]
	s_and_b64 s[2:3], exec, s[34:35]
	s_or_b64 s[24:25], s[2:3], s[24:25]
	s_andn2_b64 s[2:3], s[40:41], exec
	s_and_b64 s[40:41], s[36:37], exec
	s_or_b64 s[40:41], s[2:3], s[40:41]
	s_andn2_b64 s[2:3], s[30:31], exec
	s_and_b64 s[30:31], s[0:1], exec
	s_or_b64 s[30:31], s[2:3], s[30:31]
	s_andn2_b64 exec, exec, s[24:25]
	s_cbranch_execz .LBB507_514
.LBB507_512:                            ; =>This Inner Loop Header: Depth=1
	global_load_dwordx2 v[16:17], v[10:11], off
	global_load_dwordx2 v[18:19], v[14:15], off
	s_andn2_b64 s[42:43], s[0:1], exec
	s_andn2_b64 s[36:37], s[36:37], exec
	s_or_b64 s[34:35], s[34:35], exec
	s_waitcnt vmcnt(0)
	v_cmp_le_i64_e64 s[0:1], v[16:17], v[18:19]
	v_cmp_lt_i64_e32 vcc, v[16:17], v[18:19]
	s_and_b64 s[0:1], s[0:1], s[40:41]
	s_or_b64 s[44:45], vcc, s[0:1]
	s_and_b64 s[0:1], s[44:45], exec
	v_cmp_eq_u64_e64 s[2:3], v[16:17], v[18:19]
	s_or_b64 s[0:1], s[42:43], s[0:1]
	s_and_saveexec_b64 s[42:43], s[2:3]
	s_cbranch_execz .LBB507_511
; %bb.513:                              ;   in Loop: Header=BB507_512 Depth=1
	s_add_u32 s38, s38, -1
	s_addc_u32 s39, s39, -1
	v_add_co_u32_e32 v10, vcc, 8, v10
	s_cmp_eq_u64 s[38:39], 0
	v_addc_co_u32_e32 v11, vcc, 0, v11, vcc
	s_cselect_b64 s[2:3], -1, 0
	v_add_co_u32_e32 v14, vcc, 8, v14
	s_andn2_b64 s[36:37], s[36:37], exec
	s_and_b64 s[40:41], s[44:45], exec
	s_andn2_b64 s[34:35], s[34:35], exec
	s_and_b64 s[2:3], s[2:3], exec
	v_addc_co_u32_e32 v15, vcc, 0, v15, vcc
	s_or_b64 s[36:37], s[36:37], s[40:41]
	s_andn2_b64 s[0:1], s[0:1], exec
	s_or_b64 s[34:35], s[34:35], s[2:3]
                                        ; implicit-def: $sgpr40_sgpr41
	s_branch .LBB507_511
.LBB507_514:
	s_or_b64 exec, exec, s[24:25]
	v_cndmask_b32_e64 v7, v7, v9, s[30:31]
	v_cndmask_b32_e64 v6, v6, v8, s[30:31]
.LBB507_515:
	v_pk_mov_b32 v[8:9], v[6:7], v[6:7] op_sel:[0,1]
.LBB507_516:
	s_or_b64 exec, exec, s[28:29]
	v_pk_mov_b32 v[6:7], v[8:9], v[8:9] op_sel:[0,1]
.LBB507_517:
	s_or_b64 exec, exec, s[26:27]
.LBB507_518:
	s_or_b64 exec, exec, s[4:5]
	s_barrier
	s_barrier
	ds_write2_b64 v33, v[0:1], v[2:3] offset1:1
	ds_write2_b64 v33, v[4:5], v[6:7] offset0:2 offset1:3
	s_waitcnt lgkmcnt(0)
	s_barrier
	ds_read_b64 v[2:3], v32
	ds_read_b64 v[4:5], v34 offset:2048
	ds_read_b64 v[6:7], v35 offset:4096
	;; [unrolled: 1-line block ×3, first 2 shown]
	v_mov_b32_e32 v8, s21
	v_add_co_u32_e32 v9, vcc, s20, v26
	v_addc_co_u32_e32 v8, vcc, 0, v8, vcc
	s_waitcnt lgkmcnt(3)
	global_store_dwordx2 v26, v[2:3], s[20:21]
	s_waitcnt lgkmcnt(2)
	global_store_dwordx2 v26, v[4:5], s[20:21] offset:2048
	v_add_co_u32_e32 v2, vcc, 0x1000, v9
	v_addc_co_u32_e32 v3, vcc, 0, v8, vcc
	s_waitcnt lgkmcnt(1)
	global_store_dwordx2 v[2:3], v[6:7], off
	s_mov_b64 s[24:25], -1
	s_branch .LBB507_874
.LBB507_519:
	s_lshl_b64 s[0:1], s[14:15], 10
	s_sub_i32 s33, s22, s0
	v_cmp_gt_u32_e64 s[0:1], s33, v12
                                        ; implicit-def: $vgpr0_vgpr1_vgpr2_vgpr3_vgpr4_vgpr5_vgpr6_vgpr7
	s_and_saveexec_b64 s[2:3], s[0:1]
	s_cbranch_execz .LBB507_521
; %bb.520:
	s_waitcnt lgkmcnt(0)
	global_load_dwordx2 v[0:1], v26, s[8:9]
.LBB507_521:
	s_or_b64 exec, exec, s[2:3]
	v_add_u32_e32 v8, 0x100, v12
	v_cmp_gt_u32_e64 s[2:3], s33, v8
	s_and_saveexec_b64 s[4:5], s[2:3]
	s_cbranch_execz .LBB507_523
; %bb.522:
	global_load_dwordx2 v[2:3], v26, s[8:9] offset:2048
.LBB507_523:
	s_or_b64 exec, exec, s[4:5]
	v_add_u32_e32 v9, 0x200, v12
	v_cmp_gt_u32_e64 s[4:5], s33, v9
	s_and_saveexec_b64 s[14:15], s[4:5]
	s_cbranch_execz .LBB507_525
; %bb.524:
	v_lshlrev_b32_e32 v4, 3, v9
	global_load_dwordx2 v[4:5], v4, s[8:9]
.LBB507_525:
	s_or_b64 exec, exec, s[14:15]
	v_add_u32_e32 v10, 0x300, v12
	v_cmp_gt_u32_e64 s[24:25], s33, v10
	s_and_saveexec_b64 s[14:15], s[24:25]
	s_cbranch_execz .LBB507_527
; %bb.526:
	v_lshlrev_b32_e32 v6, 3, v10
	global_load_dwordx2 v[6:7], v6, s[8:9]
.LBB507_527:
	s_or_b64 exec, exec, s[14:15]
	v_and_b32_e32 v11, 0xf8, v31
	v_add_u32_e32 v14, v11, v26
	s_waitcnt vmcnt(0) lgkmcnt(0)
	ds_write_b64 v14, v[0:1]
	v_lshrrev_b32_e32 v0, 2, v8
	v_and_b32_e32 v0, 0x1f8, v0
	v_add_u32_e32 v13, v0, v26
	v_lshrrev_b32_e32 v0, 2, v9
	v_and_b32_e32 v0, 0x1f8, v0
	v_add_u32_e32 v15, v0, v26
	;; [unrolled: 3-line block ×3, first 2 shown]
	v_add_lshl_u32 v17, v30, v27, 3
	ds_write_b64 v13, v[2:3] offset:2048
	ds_write_b64 v15, v[4:5] offset:4096
	;; [unrolled: 1-line block ×3, first 2 shown]
	s_waitcnt lgkmcnt(0)
	s_barrier
	ds_read2_b64 v[0:3], v17 offset1:1
	ds_read2_b64 v[4:7], v17 offset0:2 offset1:3
	s_waitcnt lgkmcnt(0)
	s_barrier
	s_load_dword s7, s[10:11], 0xc
	v_mov_b32_e32 v8, 0
	v_cmp_gt_i64_e64 s[22:23], s[16:17], 0
	s_waitcnt lgkmcnt(0)
	s_lshr_b32 s8, s7, 16
	s_cmp_lt_u32 s6, s12
	s_cselect_b32 s6, 12, 18
	s_add_u32 s6, s10, s6
	s_addc_u32 s7, s11, 0
	global_load_ushort v8, v8, s[6:7]
	v_mad_u32_u24 v9, v29, s8, v28
	s_waitcnt vmcnt(0)
	v_mul_lo_u32 v8, v9, v8
	v_add_lshl_u32 v18, v8, v12, 2
	v_sub_u32_e64 v19, s33, v18 clamp
	v_cmp_lt_u32_e64 s[6:7], 1, v19
	s_and_saveexec_b64 s[12:13], s[6:7]
	s_cbranch_execz .LBB507_536
; %bb.528:
	s_andn2_b64 vcc, exec, s[22:23]
	s_cbranch_vccnz .LBB507_536
; %bb.529:
	v_mul_lo_u32 v10, v3, s16
	v_mul_lo_u32 v11, v2, s17
	v_mad_u64_u32 v[8:9], s[8:9], v2, s16, 0
	v_add3_u32 v9, v9, v11, v10
	v_lshlrev_b64 v[8:9], 3, v[8:9]
	v_mov_b32_e32 v10, s19
	v_add_co_u32_e32 v8, vcc, s18, v8
	v_addc_co_u32_e32 v9, vcc, v10, v9, vcc
	v_mul_lo_u32 v20, v1, s16
	v_mul_lo_u32 v21, v0, s17
	v_mad_u64_u32 v[10:11], s[8:9], v0, s16, 0
	v_add3_u32 v11, v11, v21, v20
	v_lshlrev_b64 v[10:11], 3, v[10:11]
	v_mov_b32_e32 v20, s19
	v_add_co_u32_e32 v10, vcc, s18, v10
	v_addc_co_u32_e32 v11, vcc, v20, v11, vcc
	s_mov_b64 s[26:27], 0
	s_mov_b64 s[38:39], s[16:17]
                                        ; implicit-def: $sgpr14_sgpr15
                                        ; implicit-def: $sgpr28_sgpr29
                                        ; implicit-def: $sgpr34_sgpr35
                                        ; implicit-def: $sgpr30_sgpr31
                                        ; implicit-def: $sgpr36_sgpr37
                                        ; implicit-def: $sgpr40_sgpr41
	s_branch .LBB507_531
.LBB507_530:                            ;   in Loop: Header=BB507_531 Depth=1
	s_or_b64 exec, exec, s[42:43]
	s_and_b64 s[10:11], exec, s[34:35]
	s_or_b64 s[26:27], s[10:11], s[26:27]
	s_andn2_b64 s[10:11], s[40:41], exec
	s_and_b64 s[40:41], s[36:37], exec
	s_or_b64 s[40:41], s[10:11], s[40:41]
	s_andn2_b64 s[10:11], s[28:29], exec
	s_and_b64 s[28:29], s[30:31], exec
	;; [unrolled: 3-line block ×3, first 2 shown]
	s_or_b64 s[14:15], s[10:11], s[8:9]
	s_andn2_b64 exec, exec, s[26:27]
	s_cbranch_execz .LBB507_533
.LBB507_531:                            ; =>This Inner Loop Header: Depth=1
	global_load_dwordx2 v[20:21], v[8:9], off
	global_load_dwordx2 v[22:23], v[10:11], off
	s_andn2_b64 s[36:37], s[36:37], exec
	s_or_b64 s[30:31], s[30:31], exec
	s_or_b64 s[34:35], s[34:35], exec
	s_waitcnt vmcnt(0)
	v_cmp_le_i64_e64 s[8:9], v[20:21], v[22:23]
	v_cmp_lt_i64_e32 vcc, v[20:21], v[22:23]
	s_and_b64 s[8:9], s[8:9], s[40:41]
	v_cmp_eq_u64_e64 s[10:11], v[20:21], v[22:23]
	s_or_b64 s[8:9], vcc, s[8:9]
	s_and_saveexec_b64 s[42:43], s[10:11]
	s_cbranch_execz .LBB507_530
; %bb.532:                              ;   in Loop: Header=BB507_531 Depth=1
	s_add_u32 s38, s38, -1
	s_addc_u32 s39, s39, -1
	v_add_co_u32_e32 v8, vcc, 8, v8
	s_cmp_eq_u64 s[38:39], 0
	v_addc_co_u32_e32 v9, vcc, 0, v9, vcc
	s_cselect_b64 s[10:11], -1, 0
	v_add_co_u32_e32 v10, vcc, 8, v10
	s_andn2_b64 s[36:37], s[36:37], exec
	s_and_b64 s[40:41], s[8:9], exec
	s_andn2_b64 s[34:35], s[34:35], exec
	s_and_b64 s[10:11], s[10:11], exec
	v_addc_co_u32_e32 v11, vcc, 0, v11, vcc
	s_or_b64 s[36:37], s[36:37], s[40:41]
	s_andn2_b64 s[30:31], s[30:31], exec
	s_or_b64 s[34:35], s[34:35], s[10:11]
                                        ; implicit-def: $sgpr40_sgpr41
	s_branch .LBB507_530
.LBB507_533:
	s_or_b64 exec, exec, s[26:27]
	s_and_saveexec_b64 s[8:9], s[28:29]
	s_xor_b64 s[8:9], exec, s[8:9]
	s_cbranch_execz .LBB507_535
; %bb.534:
	v_cndmask_b32_e64 v29, v1, v3, s[14:15]
	v_cndmask_b32_e64 v28, v0, v2, s[14:15]
	;; [unrolled: 1-line block ×4, first 2 shown]
	v_mov_b32_e32 v32, v4
	v_mov_b32_e32 v33, v5
	;; [unrolled: 1-line block ×4, first 2 shown]
	v_pk_mov_b32 v[0:1], v[28:29], v[28:29] op_sel:[0,1]
	v_pk_mov_b32 v[2:3], v[30:31], v[30:31] op_sel:[0,1]
	;; [unrolled: 1-line block ×4, first 2 shown]
.LBB507_535:
	s_or_b64 exec, exec, s[8:9]
.LBB507_536:
	s_or_b64 exec, exec, s[12:13]
	v_cmp_lt_u32_e64 s[8:9], 3, v19
	s_and_saveexec_b64 s[14:15], s[8:9]
	s_cbranch_execz .LBB507_545
; %bb.537:
	s_andn2_b64 vcc, exec, s[22:23]
	s_cbranch_vccnz .LBB507_545
; %bb.538:
	v_mul_lo_u32 v10, v7, s16
	v_mul_lo_u32 v11, v6, s17
	v_mad_u64_u32 v[8:9], s[10:11], v6, s16, 0
	v_add3_u32 v9, v9, v11, v10
	v_lshlrev_b64 v[8:9], 3, v[8:9]
	v_mov_b32_e32 v10, s19
	v_add_co_u32_e32 v8, vcc, s18, v8
	v_addc_co_u32_e32 v9, vcc, v10, v9, vcc
	v_mul_lo_u32 v20, v5, s16
	v_mul_lo_u32 v21, v4, s17
	v_mad_u64_u32 v[10:11], s[10:11], v4, s16, 0
	v_add3_u32 v11, v11, v21, v20
	v_lshlrev_b64 v[10:11], 3, v[10:11]
	v_mov_b32_e32 v20, s19
	v_add_co_u32_e32 v10, vcc, s18, v10
	v_addc_co_u32_e32 v11, vcc, v20, v11, vcc
	s_mov_b64 s[28:29], 0
	s_mov_b64 s[40:41], s[16:17]
                                        ; implicit-def: $sgpr26_sgpr27
                                        ; implicit-def: $sgpr30_sgpr31
                                        ; implicit-def: $sgpr36_sgpr37
                                        ; implicit-def: $sgpr34_sgpr35
                                        ; implicit-def: $sgpr38_sgpr39
                                        ; implicit-def: $sgpr42_sgpr43
	s_branch .LBB507_540
.LBB507_539:                            ;   in Loop: Header=BB507_540 Depth=1
	s_or_b64 exec, exec, s[44:45]
	s_and_b64 s[12:13], exec, s[36:37]
	s_or_b64 s[28:29], s[12:13], s[28:29]
	s_andn2_b64 s[12:13], s[42:43], exec
	s_and_b64 s[42:43], s[38:39], exec
	s_or_b64 s[42:43], s[12:13], s[42:43]
	s_andn2_b64 s[12:13], s[30:31], exec
	s_and_b64 s[30:31], s[34:35], exec
	;; [unrolled: 3-line block ×3, first 2 shown]
	s_or_b64 s[26:27], s[12:13], s[10:11]
	s_andn2_b64 exec, exec, s[28:29]
	s_cbranch_execz .LBB507_542
.LBB507_540:                            ; =>This Inner Loop Header: Depth=1
	global_load_dwordx2 v[20:21], v[8:9], off
	global_load_dwordx2 v[22:23], v[10:11], off
	s_andn2_b64 s[38:39], s[38:39], exec
	s_or_b64 s[34:35], s[34:35], exec
	s_or_b64 s[36:37], s[36:37], exec
	s_waitcnt vmcnt(0)
	v_cmp_le_i64_e64 s[10:11], v[20:21], v[22:23]
	v_cmp_lt_i64_e32 vcc, v[20:21], v[22:23]
	s_and_b64 s[10:11], s[10:11], s[42:43]
	v_cmp_eq_u64_e64 s[12:13], v[20:21], v[22:23]
	s_or_b64 s[10:11], vcc, s[10:11]
	s_and_saveexec_b64 s[44:45], s[12:13]
	s_cbranch_execz .LBB507_539
; %bb.541:                              ;   in Loop: Header=BB507_540 Depth=1
	s_add_u32 s40, s40, -1
	s_addc_u32 s41, s41, -1
	v_add_co_u32_e32 v8, vcc, 8, v8
	s_cmp_eq_u64 s[40:41], 0
	v_addc_co_u32_e32 v9, vcc, 0, v9, vcc
	s_cselect_b64 s[12:13], -1, 0
	v_add_co_u32_e32 v10, vcc, 8, v10
	s_andn2_b64 s[38:39], s[38:39], exec
	s_and_b64 s[42:43], s[10:11], exec
	s_andn2_b64 s[36:37], s[36:37], exec
	s_and_b64 s[12:13], s[12:13], exec
	v_addc_co_u32_e32 v11, vcc, 0, v11, vcc
	s_or_b64 s[38:39], s[38:39], s[42:43]
	s_andn2_b64 s[34:35], s[34:35], exec
	s_or_b64 s[36:37], s[36:37], s[12:13]
                                        ; implicit-def: $sgpr42_sgpr43
	s_branch .LBB507_539
.LBB507_542:
	s_or_b64 exec, exec, s[28:29]
	s_and_saveexec_b64 s[10:11], s[30:31]
	s_xor_b64 s[10:11], exec, s[10:11]
; %bb.543:
	v_cndmask_b32_e64 v8, v7, v5, s[26:27]
	v_cndmask_b32_e64 v9, v6, v4, s[26:27]
	;; [unrolled: 1-line block ×4, first 2 shown]
	v_mov_b32_e32 v6, v9
	v_mov_b32_e32 v7, v8
; %bb.544:
	s_or_b64 exec, exec, s[10:11]
.LBB507_545:
	s_or_b64 exec, exec, s[14:15]
	v_cmp_lt_u32_e64 s[10:11], 2, v19
	s_and_saveexec_b64 s[12:13], s[10:11]
	s_xor_b64 s[26:27], exec, s[12:13]
	s_cbranch_execz .LBB507_554
; %bb.546:
	s_andn2_b64 vcc, exec, s[22:23]
	s_cbranch_vccnz .LBB507_554
; %bb.547:
	v_mul_lo_u32 v10, v5, s16
	v_mul_lo_u32 v11, v4, s17
	v_mad_u64_u32 v[8:9], s[12:13], v4, s16, 0
	v_add3_u32 v9, v9, v11, v10
	v_lshlrev_b64 v[8:9], 3, v[8:9]
	v_mov_b32_e32 v10, s19
	v_add_co_u32_e32 v8, vcc, s18, v8
	v_addc_co_u32_e32 v9, vcc, v10, v9, vcc
	v_mul_lo_u32 v19, v3, s16
	v_mul_lo_u32 v20, v2, s17
	v_mad_u64_u32 v[10:11], s[12:13], v2, s16, 0
	v_add3_u32 v11, v11, v20, v19
	v_lshlrev_b64 v[10:11], 3, v[10:11]
	v_mov_b32_e32 v19, s19
	v_add_co_u32_e32 v10, vcc, s18, v10
	v_addc_co_u32_e32 v11, vcc, v19, v11, vcc
	s_mov_b64 s[30:31], 0
	s_mov_b64 s[42:43], s[16:17]
                                        ; implicit-def: $sgpr28_sgpr29
                                        ; implicit-def: $sgpr34_sgpr35
                                        ; implicit-def: $sgpr38_sgpr39
                                        ; implicit-def: $sgpr36_sgpr37
                                        ; implicit-def: $sgpr40_sgpr41
                                        ; implicit-def: $sgpr44_sgpr45
	s_branch .LBB507_549
.LBB507_548:                            ;   in Loop: Header=BB507_549 Depth=1
	s_or_b64 exec, exec, s[46:47]
	s_and_b64 s[14:15], exec, s[38:39]
	s_or_b64 s[30:31], s[14:15], s[30:31]
	s_andn2_b64 s[14:15], s[44:45], exec
	s_and_b64 s[44:45], s[40:41], exec
	s_or_b64 s[44:45], s[14:15], s[44:45]
	s_andn2_b64 s[14:15], s[34:35], exec
	s_and_b64 s[34:35], s[36:37], exec
	s_or_b64 s[34:35], s[14:15], s[34:35]
	s_andn2_b64 s[14:15], s[28:29], exec
	s_and_b64 s[12:13], s[12:13], exec
	s_or_b64 s[28:29], s[14:15], s[12:13]
	s_andn2_b64 exec, exec, s[30:31]
	s_cbranch_execz .LBB507_551
.LBB507_549:                            ; =>This Inner Loop Header: Depth=1
	global_load_dwordx2 v[20:21], v[8:9], off
	global_load_dwordx2 v[22:23], v[10:11], off
	s_andn2_b64 s[40:41], s[40:41], exec
	s_or_b64 s[36:37], s[36:37], exec
	s_or_b64 s[38:39], s[38:39], exec
	s_waitcnt vmcnt(0)
	v_cmp_le_i64_e64 s[12:13], v[20:21], v[22:23]
	v_cmp_lt_i64_e32 vcc, v[20:21], v[22:23]
	s_and_b64 s[12:13], s[12:13], s[44:45]
	v_cmp_eq_u64_e64 s[14:15], v[20:21], v[22:23]
	s_or_b64 s[12:13], vcc, s[12:13]
	s_and_saveexec_b64 s[46:47], s[14:15]
	s_cbranch_execz .LBB507_548
; %bb.550:                              ;   in Loop: Header=BB507_549 Depth=1
	s_add_u32 s42, s42, -1
	s_addc_u32 s43, s43, -1
	v_add_co_u32_e32 v8, vcc, 8, v8
	s_cmp_eq_u64 s[42:43], 0
	v_addc_co_u32_e32 v9, vcc, 0, v9, vcc
	s_cselect_b64 s[14:15], -1, 0
	v_add_co_u32_e32 v10, vcc, 8, v10
	s_andn2_b64 s[40:41], s[40:41], exec
	s_and_b64 s[44:45], s[12:13], exec
	s_andn2_b64 s[38:39], s[38:39], exec
	s_and_b64 s[14:15], s[14:15], exec
	v_addc_co_u32_e32 v11, vcc, 0, v11, vcc
	s_or_b64 s[40:41], s[40:41], s[44:45]
	s_andn2_b64 s[36:37], s[36:37], exec
	s_or_b64 s[38:39], s[38:39], s[14:15]
                                        ; implicit-def: $sgpr44_sgpr45
	s_branch .LBB507_548
.LBB507_551:
	s_or_b64 exec, exec, s[30:31]
	s_and_saveexec_b64 s[12:13], s[34:35]
	s_xor_b64 s[12:13], exec, s[12:13]
; %bb.552:
	v_cndmask_b32_e64 v8, v5, v3, s[28:29]
	v_cndmask_b32_e64 v9, v4, v2, s[28:29]
	;; [unrolled: 1-line block ×4, first 2 shown]
	v_mov_b32_e32 v4, v9
	v_mov_b32_e32 v5, v8
; %bb.553:
	s_or_b64 exec, exec, s[12:13]
.LBB507_554:
	s_or_b64 exec, exec, s[26:27]
	s_and_saveexec_b64 s[14:15], s[6:7]
	s_cbranch_execz .LBB507_563
; %bb.555:
	s_andn2_b64 vcc, exec, s[22:23]
	s_cbranch_vccnz .LBB507_563
; %bb.556:
	v_mul_lo_u32 v10, v3, s16
	v_mul_lo_u32 v11, v2, s17
	v_mad_u64_u32 v[8:9], s[6:7], v2, s16, 0
	v_add3_u32 v9, v9, v11, v10
	v_lshlrev_b64 v[8:9], 3, v[8:9]
	v_mov_b32_e32 v10, s19
	v_add_co_u32_e32 v8, vcc, s18, v8
	v_addc_co_u32_e32 v9, vcc, v10, v9, vcc
	v_mul_lo_u32 v19, v1, s16
	v_mul_lo_u32 v20, v0, s17
	v_mad_u64_u32 v[10:11], s[6:7], v0, s16, 0
	v_add3_u32 v11, v11, v20, v19
	v_lshlrev_b64 v[10:11], 3, v[10:11]
	v_mov_b32_e32 v19, s19
	v_add_co_u32_e32 v10, vcc, s18, v10
	v_addc_co_u32_e32 v11, vcc, v19, v11, vcc
	s_mov_b64 s[28:29], 0
	s_mov_b64 s[40:41], s[16:17]
                                        ; implicit-def: $sgpr26_sgpr27
                                        ; implicit-def: $sgpr30_sgpr31
                                        ; implicit-def: $sgpr36_sgpr37
                                        ; implicit-def: $sgpr34_sgpr35
                                        ; implicit-def: $sgpr38_sgpr39
                                        ; implicit-def: $sgpr42_sgpr43
	s_branch .LBB507_558
.LBB507_557:                            ;   in Loop: Header=BB507_558 Depth=1
	s_or_b64 exec, exec, s[44:45]
	s_and_b64 s[12:13], exec, s[36:37]
	s_or_b64 s[28:29], s[12:13], s[28:29]
	s_andn2_b64 s[12:13], s[42:43], exec
	s_and_b64 s[42:43], s[38:39], exec
	s_or_b64 s[42:43], s[12:13], s[42:43]
	s_andn2_b64 s[12:13], s[30:31], exec
	s_and_b64 s[30:31], s[34:35], exec
	;; [unrolled: 3-line block ×3, first 2 shown]
	s_or_b64 s[26:27], s[12:13], s[6:7]
	s_andn2_b64 exec, exec, s[28:29]
	s_cbranch_execz .LBB507_560
.LBB507_558:                            ; =>This Inner Loop Header: Depth=1
	global_load_dwordx2 v[20:21], v[8:9], off
	global_load_dwordx2 v[22:23], v[10:11], off
	s_andn2_b64 s[38:39], s[38:39], exec
	s_or_b64 s[34:35], s[34:35], exec
	s_or_b64 s[36:37], s[36:37], exec
	s_waitcnt vmcnt(0)
	v_cmp_le_i64_e64 s[6:7], v[20:21], v[22:23]
	v_cmp_lt_i64_e32 vcc, v[20:21], v[22:23]
	s_and_b64 s[6:7], s[6:7], s[42:43]
	v_cmp_eq_u64_e64 s[12:13], v[20:21], v[22:23]
	s_or_b64 s[6:7], vcc, s[6:7]
	s_and_saveexec_b64 s[44:45], s[12:13]
	s_cbranch_execz .LBB507_557
; %bb.559:                              ;   in Loop: Header=BB507_558 Depth=1
	s_add_u32 s40, s40, -1
	s_addc_u32 s41, s41, -1
	v_add_co_u32_e32 v8, vcc, 8, v8
	s_cmp_eq_u64 s[40:41], 0
	v_addc_co_u32_e32 v9, vcc, 0, v9, vcc
	s_cselect_b64 s[12:13], -1, 0
	v_add_co_u32_e32 v10, vcc, 8, v10
	s_andn2_b64 s[38:39], s[38:39], exec
	s_and_b64 s[42:43], s[6:7], exec
	s_andn2_b64 s[36:37], s[36:37], exec
	s_and_b64 s[12:13], s[12:13], exec
	v_addc_co_u32_e32 v11, vcc, 0, v11, vcc
	s_or_b64 s[38:39], s[38:39], s[42:43]
	s_andn2_b64 s[34:35], s[34:35], exec
	s_or_b64 s[36:37], s[36:37], s[12:13]
                                        ; implicit-def: $sgpr42_sgpr43
	s_branch .LBB507_557
.LBB507_560:
	s_or_b64 exec, exec, s[28:29]
	s_and_saveexec_b64 s[6:7], s[30:31]
	s_xor_b64 s[6:7], exec, s[6:7]
	s_cbranch_execz .LBB507_562
; %bb.561:
	v_cndmask_b32_e64 v29, v1, v3, s[26:27]
	v_cndmask_b32_e64 v28, v0, v2, s[26:27]
	;; [unrolled: 1-line block ×4, first 2 shown]
	v_mov_b32_e32 v32, v4
	v_mov_b32_e32 v33, v5
	;; [unrolled: 1-line block ×4, first 2 shown]
	v_pk_mov_b32 v[0:1], v[28:29], v[28:29] op_sel:[0,1]
	v_pk_mov_b32 v[2:3], v[30:31], v[30:31] op_sel:[0,1]
	;; [unrolled: 1-line block ×4, first 2 shown]
.LBB507_562:
	s_or_b64 exec, exec, s[6:7]
.LBB507_563:
	s_or_b64 exec, exec, s[14:15]
	s_and_saveexec_b64 s[12:13], s[8:9]
	s_cbranch_execz .LBB507_572
; %bb.564:
	s_andn2_b64 vcc, exec, s[22:23]
	s_cbranch_vccnz .LBB507_572
; %bb.565:
	v_mul_lo_u32 v10, v7, s16
	v_mul_lo_u32 v11, v6, s17
	v_mad_u64_u32 v[8:9], s[6:7], v6, s16, 0
	v_add3_u32 v9, v9, v11, v10
	v_lshlrev_b64 v[8:9], 3, v[8:9]
	v_mov_b32_e32 v10, s19
	v_add_co_u32_e32 v8, vcc, s18, v8
	v_addc_co_u32_e32 v9, vcc, v10, v9, vcc
	v_mul_lo_u32 v19, v5, s16
	v_mul_lo_u32 v20, v4, s17
	v_mad_u64_u32 v[10:11], s[6:7], v4, s16, 0
	v_add3_u32 v11, v11, v20, v19
	v_lshlrev_b64 v[10:11], 3, v[10:11]
	v_mov_b32_e32 v19, s19
	v_add_co_u32_e32 v10, vcc, s18, v10
	v_addc_co_u32_e32 v11, vcc, v19, v11, vcc
	s_mov_b64 s[26:27], 0
	s_mov_b64 s[38:39], s[16:17]
                                        ; implicit-def: $sgpr14_sgpr15
                                        ; implicit-def: $sgpr28_sgpr29
                                        ; implicit-def: $sgpr34_sgpr35
                                        ; implicit-def: $sgpr30_sgpr31
                                        ; implicit-def: $sgpr36_sgpr37
                                        ; implicit-def: $sgpr40_sgpr41
	s_branch .LBB507_567
.LBB507_566:                            ;   in Loop: Header=BB507_567 Depth=1
	s_or_b64 exec, exec, s[42:43]
	s_and_b64 s[8:9], exec, s[34:35]
	s_or_b64 s[26:27], s[8:9], s[26:27]
	s_andn2_b64 s[8:9], s[40:41], exec
	s_and_b64 s[40:41], s[36:37], exec
	s_or_b64 s[40:41], s[8:9], s[40:41]
	s_andn2_b64 s[8:9], s[28:29], exec
	s_and_b64 s[28:29], s[30:31], exec
	;; [unrolled: 3-line block ×3, first 2 shown]
	s_or_b64 s[14:15], s[8:9], s[6:7]
	s_andn2_b64 exec, exec, s[26:27]
	s_cbranch_execz .LBB507_569
.LBB507_567:                            ; =>This Inner Loop Header: Depth=1
	global_load_dwordx2 v[20:21], v[8:9], off
	global_load_dwordx2 v[22:23], v[10:11], off
	s_andn2_b64 s[36:37], s[36:37], exec
	s_or_b64 s[30:31], s[30:31], exec
	s_or_b64 s[34:35], s[34:35], exec
	s_waitcnt vmcnt(0)
	v_cmp_le_i64_e64 s[6:7], v[20:21], v[22:23]
	v_cmp_lt_i64_e32 vcc, v[20:21], v[22:23]
	s_and_b64 s[6:7], s[6:7], s[40:41]
	v_cmp_eq_u64_e64 s[8:9], v[20:21], v[22:23]
	s_or_b64 s[6:7], vcc, s[6:7]
	s_and_saveexec_b64 s[42:43], s[8:9]
	s_cbranch_execz .LBB507_566
; %bb.568:                              ;   in Loop: Header=BB507_567 Depth=1
	s_add_u32 s38, s38, -1
	s_addc_u32 s39, s39, -1
	v_add_co_u32_e32 v8, vcc, 8, v8
	s_cmp_eq_u64 s[38:39], 0
	v_addc_co_u32_e32 v9, vcc, 0, v9, vcc
	s_cselect_b64 s[8:9], -1, 0
	v_add_co_u32_e32 v10, vcc, 8, v10
	s_andn2_b64 s[36:37], s[36:37], exec
	s_and_b64 s[40:41], s[6:7], exec
	s_andn2_b64 s[34:35], s[34:35], exec
	s_and_b64 s[8:9], s[8:9], exec
	v_addc_co_u32_e32 v11, vcc, 0, v11, vcc
	s_or_b64 s[36:37], s[36:37], s[40:41]
	s_andn2_b64 s[30:31], s[30:31], exec
	s_or_b64 s[34:35], s[34:35], s[8:9]
                                        ; implicit-def: $sgpr40_sgpr41
	s_branch .LBB507_566
.LBB507_569:
	s_or_b64 exec, exec, s[26:27]
	s_and_saveexec_b64 s[6:7], s[28:29]
	s_xor_b64 s[6:7], exec, s[6:7]
; %bb.570:
	v_cndmask_b32_e64 v8, v7, v5, s[14:15]
	v_cndmask_b32_e64 v9, v6, v4, s[14:15]
	;; [unrolled: 1-line block ×4, first 2 shown]
	v_mov_b32_e32 v6, v9
	v_mov_b32_e32 v7, v8
; %bb.571:
	s_or_b64 exec, exec, s[6:7]
.LBB507_572:
	s_or_b64 exec, exec, s[12:13]
	s_and_saveexec_b64 s[12:13], s[10:11]
	s_cbranch_execz .LBB507_581
; %bb.573:
	s_andn2_b64 vcc, exec, s[22:23]
	s_cbranch_vccnz .LBB507_581
; %bb.574:
	v_mul_lo_u32 v10, v5, s16
	v_mul_lo_u32 v11, v4, s17
	v_mad_u64_u32 v[8:9], s[6:7], v4, s16, 0
	v_add3_u32 v9, v9, v11, v10
	v_lshlrev_b64 v[8:9], 3, v[8:9]
	v_mov_b32_e32 v10, s19
	v_add_co_u32_e32 v8, vcc, s18, v8
	v_addc_co_u32_e32 v9, vcc, v10, v9, vcc
	v_mul_lo_u32 v19, v3, s16
	v_mul_lo_u32 v20, v2, s17
	v_mad_u64_u32 v[10:11], s[6:7], v2, s16, 0
	v_add3_u32 v11, v11, v20, v19
	v_lshlrev_b64 v[10:11], 3, v[10:11]
	v_mov_b32_e32 v19, s19
	v_add_co_u32_e32 v10, vcc, s18, v10
	v_addc_co_u32_e32 v11, vcc, v19, v11, vcc
	s_mov_b64 s[14:15], 0
	s_mov_b64 s[36:37], s[16:17]
                                        ; implicit-def: $sgpr10_sgpr11
                                        ; implicit-def: $sgpr26_sgpr27
                                        ; implicit-def: $sgpr30_sgpr31
                                        ; implicit-def: $sgpr28_sgpr29
                                        ; implicit-def: $sgpr34_sgpr35
                                        ; implicit-def: $sgpr38_sgpr39
	s_branch .LBB507_576
.LBB507_575:                            ;   in Loop: Header=BB507_576 Depth=1
	s_or_b64 exec, exec, s[40:41]
	s_and_b64 s[8:9], exec, s[30:31]
	s_or_b64 s[14:15], s[8:9], s[14:15]
	s_andn2_b64 s[8:9], s[38:39], exec
	s_and_b64 s[38:39], s[34:35], exec
	s_or_b64 s[38:39], s[8:9], s[38:39]
	s_andn2_b64 s[8:9], s[26:27], exec
	s_and_b64 s[26:27], s[28:29], exec
	;; [unrolled: 3-line block ×3, first 2 shown]
	s_or_b64 s[10:11], s[8:9], s[6:7]
	s_andn2_b64 exec, exec, s[14:15]
	s_cbranch_execz .LBB507_578
.LBB507_576:                            ; =>This Inner Loop Header: Depth=1
	global_load_dwordx2 v[20:21], v[8:9], off
	global_load_dwordx2 v[22:23], v[10:11], off
	s_andn2_b64 s[34:35], s[34:35], exec
	s_or_b64 s[28:29], s[28:29], exec
	s_or_b64 s[30:31], s[30:31], exec
	s_waitcnt vmcnt(0)
	v_cmp_le_i64_e64 s[6:7], v[20:21], v[22:23]
	v_cmp_lt_i64_e32 vcc, v[20:21], v[22:23]
	s_and_b64 s[6:7], s[6:7], s[38:39]
	v_cmp_eq_u64_e64 s[8:9], v[20:21], v[22:23]
	s_or_b64 s[6:7], vcc, s[6:7]
	s_and_saveexec_b64 s[40:41], s[8:9]
	s_cbranch_execz .LBB507_575
; %bb.577:                              ;   in Loop: Header=BB507_576 Depth=1
	s_add_u32 s36, s36, -1
	s_addc_u32 s37, s37, -1
	v_add_co_u32_e32 v8, vcc, 8, v8
	s_cmp_eq_u64 s[36:37], 0
	v_addc_co_u32_e32 v9, vcc, 0, v9, vcc
	s_cselect_b64 s[8:9], -1, 0
	v_add_co_u32_e32 v10, vcc, 8, v10
	s_andn2_b64 s[34:35], s[34:35], exec
	s_and_b64 s[38:39], s[6:7], exec
	s_andn2_b64 s[30:31], s[30:31], exec
	s_and_b64 s[8:9], s[8:9], exec
	v_addc_co_u32_e32 v11, vcc, 0, v11, vcc
	s_or_b64 s[34:35], s[34:35], s[38:39]
	s_andn2_b64 s[28:29], s[28:29], exec
	s_or_b64 s[30:31], s[30:31], s[8:9]
                                        ; implicit-def: $sgpr38_sgpr39
	s_branch .LBB507_575
.LBB507_578:
	s_or_b64 exec, exec, s[14:15]
	s_and_saveexec_b64 s[6:7], s[26:27]
	s_xor_b64 s[6:7], exec, s[6:7]
; %bb.579:
	v_cndmask_b32_e64 v8, v5, v3, s[10:11]
	v_cndmask_b32_e64 v9, v4, v2, s[10:11]
	;; [unrolled: 1-line block ×4, first 2 shown]
	v_mov_b32_e32 v4, v9
	v_mov_b32_e32 v5, v8
; %bb.580:
	s_or_b64 exec, exec, s[6:7]
.LBB507_581:
	s_or_b64 exec, exec, s[12:13]
	v_mbcnt_lo_u32_b32 v8, -1, 0
	v_mbcnt_hi_u32_b32 v8, -1, v8
	v_and_b32_e32 v9, 0xffffff00, v18
	v_lshlrev_b32_e32 v18, 3, v9
	v_lshlrev_b32_e32 v20, 2, v8
	v_sub_u32_e64 v19, s33, v9 clamp
	v_lshl_add_u32 v21, v8, 5, v18
	v_or_b32_e32 v8, 4, v20
	v_min_u32_e32 v22, v19, v8
	v_add_u32_e32 v8, 4, v22
	v_and_b32_e32 v28, 0x1f8, v20
	v_min_u32_e32 v23, v19, v8
	v_and_b32_e32 v8, 4, v20
	v_min_u32_e32 v29, v19, v8
	v_sub_u32_e32 v8, v22, v28
	v_sub_u32_e32 v9, v23, v22
	v_sub_u32_e64 v25, v29, v9 clamp
	v_min_u32_e32 v30, v29, v8
	v_lshl_add_u32 v24, v28, 3, v18
	v_cmp_lt_u32_e32 vcc, v25, v30
	ds_write_b128 v21, v[0:3]
	ds_write_b128 v21, v[4:7] offset:16
	; wave barrier
	s_and_saveexec_b64 s[12:13], vcc
	s_cbranch_execz .LBB507_591
; %bb.582:
	v_lshlrev_b32_e32 v8, 3, v22
	v_lshlrev_b32_e32 v9, 3, v29
	v_add3_u32 v31, v18, v8, v9
	v_cndmask_b32_e64 v8, 0, 1, s[22:23]
	s_lshl_b64 s[26:27], s[16:17], 3
	s_mov_b64 s[14:15], 0
	v_cmp_ne_u32_e64 s[6:7], 1, v8
	s_branch .LBB507_585
.LBB507_583:                            ;   in Loop: Header=BB507_585 Depth=1
	s_or_b64 exec, exec, s[30:31]
.LBB507_584:                            ;   in Loop: Header=BB507_585 Depth=1
	v_add_u32_e32 v8, 1, v32
	v_cndmask_b32_e64 v30, v30, v32, s[28:29]
	v_cndmask_b32_e64 v25, v8, v25, s[28:29]
	v_cmp_ge_u32_e32 vcc, v25, v30
	s_or_b64 s[14:15], vcc, s[14:15]
	s_andn2_b64 exec, exec, s[14:15]
	s_cbranch_execz .LBB507_590
.LBB507_585:                            ; =>This Loop Header: Depth=1
                                        ;     Child Loop BB507_588 Depth 2
	v_add_u32_e32 v8, v30, v25
	v_lshrrev_b32_e32 v32, 1, v8
	s_and_b64 vcc, exec, s[6:7]
	s_mov_b64 s[28:29], 0
	s_cbranch_vccnz .LBB507_584
; %bb.586:                              ;   in Loop: Header=BB507_585 Depth=1
	v_not_b32_e32 v8, v32
	v_lshl_add_u32 v8, v8, 3, v31
	ds_read_b64 v[8:9], v8
	v_lshl_add_u32 v33, v32, 3, v24
	ds_read_b64 v[34:35], v33
	v_pk_mov_b32 v[10:11], s[18:19], s[18:19] op_sel:[0,1]
	s_mov_b64 s[30:31], 0
	s_waitcnt lgkmcnt(1)
	v_mul_lo_u32 v33, s26, v9
	v_mul_lo_u32 v36, s27, v8
	v_mad_u64_u32 v[8:9], s[8:9], s26, v8, v[10:11]
	v_add3_u32 v9, v36, v9, v33
	s_waitcnt lgkmcnt(0)
	v_mul_lo_u32 v33, s26, v35
	v_mul_lo_u32 v35, s27, v34
	v_mad_u64_u32 v[10:11], s[8:9], s26, v34, v[10:11]
	v_add3_u32 v11, v35, v11, v33
	s_mov_b64 s[38:39], s[16:17]
                                        ; implicit-def: $sgpr28_sgpr29
                                        ; implicit-def: $sgpr34_sgpr35
                                        ; implicit-def: $sgpr36_sgpr37
                                        ; implicit-def: $sgpr8_sgpr9
                                        ; implicit-def: $sgpr40_sgpr41
	s_branch .LBB507_588
.LBB507_587:                            ;   in Loop: Header=BB507_588 Depth=2
	s_or_b64 exec, exec, s[42:43]
	s_and_b64 s[10:11], exec, s[34:35]
	s_or_b64 s[30:31], s[10:11], s[30:31]
	s_andn2_b64 s[10:11], s[40:41], exec
	s_and_b64 s[40:41], s[36:37], exec
	s_or_b64 s[40:41], s[10:11], s[40:41]
	s_andn2_b64 s[10:11], s[28:29], exec
	s_and_b64 s[28:29], s[8:9], exec
	s_or_b64 s[28:29], s[10:11], s[28:29]
	s_andn2_b64 exec, exec, s[30:31]
	s_cbranch_execz .LBB507_583
.LBB507_588:                            ;   Parent Loop BB507_585 Depth=1
                                        ; =>  This Inner Loop Header: Depth=2
	global_load_dwordx2 v[34:35], v[8:9], off
	global_load_dwordx2 v[36:37], v[10:11], off
	s_andn2_b64 s[42:43], s[8:9], exec
	s_andn2_b64 s[36:37], s[36:37], exec
	s_or_b64 s[34:35], s[34:35], exec
	s_waitcnt vmcnt(0)
	v_cmp_le_i64_e64 s[8:9], v[34:35], v[36:37]
	v_cmp_lt_i64_e32 vcc, v[34:35], v[36:37]
	s_and_b64 s[8:9], s[8:9], s[40:41]
	s_or_b64 s[44:45], vcc, s[8:9]
	s_and_b64 s[8:9], s[44:45], exec
	v_cmp_eq_u64_e64 s[10:11], v[34:35], v[36:37]
	s_or_b64 s[8:9], s[42:43], s[8:9]
	s_and_saveexec_b64 s[42:43], s[10:11]
	s_cbranch_execz .LBB507_587
; %bb.589:                              ;   in Loop: Header=BB507_588 Depth=2
	s_add_u32 s38, s38, -1
	s_addc_u32 s39, s39, -1
	v_add_co_u32_e32 v8, vcc, 8, v8
	s_cmp_eq_u64 s[38:39], 0
	v_addc_co_u32_e32 v9, vcc, 0, v9, vcc
	s_cselect_b64 s[10:11], -1, 0
	v_add_co_u32_e32 v10, vcc, 8, v10
	s_andn2_b64 s[36:37], s[36:37], exec
	s_and_b64 s[40:41], s[44:45], exec
	s_andn2_b64 s[34:35], s[34:35], exec
	s_and_b64 s[10:11], s[10:11], exec
	v_addc_co_u32_e32 v11, vcc, 0, v11, vcc
	s_andn2_b64 s[8:9], s[8:9], exec
	s_or_b64 s[36:37], s[36:37], s[40:41]
	s_or_b64 s[34:35], s[34:35], s[10:11]
                                        ; implicit-def: $sgpr40_sgpr41
	s_branch .LBB507_587
.LBB507_590:
	s_or_b64 exec, exec, s[14:15]
.LBB507_591:
	s_or_b64 exec, exec, s[12:13]
	v_add_u32_e32 v9, v22, v29
	v_add_u32_e32 v8, v25, v28
	v_sub_u32_e32 v9, v9, v25
	v_cmp_le_u32_e32 vcc, v8, v22
	v_cmp_le_u32_e64 s[6:7], v9, v23
	s_or_b64 s[6:7], vcc, s[6:7]
	s_and_saveexec_b64 s[10:11], s[6:7]
	s_cbranch_execz .LBB507_638
; %bb.592:
	v_cmp_ge_u32_e32 vcc, v8, v22
	v_cmp_lt_u32_e64 s[6:7], v8, v22
                                        ; implicit-def: $vgpr0_vgpr1
	s_and_saveexec_b64 s[8:9], s[6:7]
	s_cbranch_execz .LBB507_594
; %bb.593:
	v_lshl_add_u32 v0, v25, 3, v24
	ds_read_b64 v[0:1], v0
.LBB507_594:
	s_or_b64 exec, exec, s[8:9]
	v_cmp_ge_u32_e64 s[12:13], v9, v23
	v_cmp_lt_u32_e64 s[6:7], v9, v23
                                        ; implicit-def: $vgpr2_vgpr3
	s_and_saveexec_b64 s[8:9], s[6:7]
	s_cbranch_execz .LBB507_596
; %bb.595:
	v_lshl_add_u32 v2, v9, 3, v18
	ds_read_b64 v[2:3], v2
.LBB507_596:
	s_or_b64 exec, exec, s[8:9]
	s_or_b64 s[6:7], vcc, s[12:13]
	s_mov_b64 s[14:15], -1
	s_xor_b64 s[6:7], s[6:7], -1
	s_and_saveexec_b64 s[26:27], s[6:7]
	s_cbranch_execz .LBB507_605
; %bb.597:
	s_andn2_b64 vcc, exec, s[22:23]
	s_cbranch_vccnz .LBB507_603
; %bb.598:
	s_waitcnt lgkmcnt(0)
	v_mul_lo_u32 v6, v3, s16
	v_mul_lo_u32 v7, v2, s17
	v_mad_u64_u32 v[4:5], s[6:7], v2, s16, 0
	v_add3_u32 v5, v5, v7, v6
	v_lshlrev_b64 v[4:5], 3, v[4:5]
	v_mov_b32_e32 v6, s19
	v_add_co_u32_e32 v4, vcc, s18, v4
	v_addc_co_u32_e32 v5, vcc, v6, v5, vcc
	v_mul_lo_u32 v10, v1, s16
	v_mul_lo_u32 v11, v0, s17
	v_mad_u64_u32 v[6:7], s[6:7], v0, s16, 0
	v_add3_u32 v7, v7, v11, v10
	v_lshlrev_b64 v[6:7], 3, v[6:7]
	v_mov_b32_e32 v10, s19
	v_add_co_u32_e32 v6, vcc, s18, v6
	v_addc_co_u32_e32 v7, vcc, v10, v7, vcc
	s_mov_b64 s[28:29], 0
	s_mov_b64 s[38:39], s[16:17]
                                        ; implicit-def: $sgpr30_sgpr31
                                        ; implicit-def: $sgpr34_sgpr35
                                        ; implicit-def: $sgpr6_sgpr7
                                        ; implicit-def: $sgpr36_sgpr37
                                        ; implicit-def: $sgpr40_sgpr41
	s_branch .LBB507_600
.LBB507_599:                            ;   in Loop: Header=BB507_600 Depth=1
	s_or_b64 exec, exec, s[42:43]
	s_and_b64 s[8:9], exec, s[34:35]
	s_or_b64 s[28:29], s[8:9], s[28:29]
	s_andn2_b64 s[8:9], s[40:41], exec
	s_and_b64 s[40:41], s[36:37], exec
	s_or_b64 s[40:41], s[8:9], s[40:41]
	s_andn2_b64 s[8:9], s[30:31], exec
	s_and_b64 s[30:31], s[6:7], exec
	s_or_b64 s[30:31], s[8:9], s[30:31]
	s_andn2_b64 exec, exec, s[28:29]
	s_cbranch_execz .LBB507_602
.LBB507_600:                            ; =>This Inner Loop Header: Depth=1
	global_load_dwordx2 v[10:11], v[4:5], off
	global_load_dwordx2 v[24:25], v[6:7], off
	s_andn2_b64 s[42:43], s[6:7], exec
	s_andn2_b64 s[36:37], s[36:37], exec
	s_or_b64 s[34:35], s[34:35], exec
	s_waitcnt vmcnt(0)
	v_cmp_le_i64_e64 s[6:7], v[10:11], v[24:25]
	v_cmp_lt_i64_e32 vcc, v[10:11], v[24:25]
	s_and_b64 s[6:7], s[6:7], s[40:41]
	s_or_b64 s[44:45], vcc, s[6:7]
	s_and_b64 s[6:7], s[44:45], exec
	v_cmp_eq_u64_e64 s[8:9], v[10:11], v[24:25]
	s_or_b64 s[6:7], s[42:43], s[6:7]
	s_and_saveexec_b64 s[42:43], s[8:9]
	s_cbranch_execz .LBB507_599
; %bb.601:                              ;   in Loop: Header=BB507_600 Depth=1
	s_add_u32 s38, s38, -1
	s_addc_u32 s39, s39, -1
	v_add_co_u32_e32 v4, vcc, 8, v4
	s_cmp_eq_u64 s[38:39], 0
	v_addc_co_u32_e32 v5, vcc, 0, v5, vcc
	s_cselect_b64 s[8:9], -1, 0
	v_add_co_u32_e32 v6, vcc, 8, v6
	s_andn2_b64 s[36:37], s[36:37], exec
	s_and_b64 s[40:41], s[44:45], exec
	s_andn2_b64 s[34:35], s[34:35], exec
	s_and_b64 s[8:9], s[8:9], exec
	v_addc_co_u32_e32 v7, vcc, 0, v7, vcc
	s_or_b64 s[36:37], s[36:37], s[40:41]
	s_andn2_b64 s[6:7], s[6:7], exec
	s_or_b64 s[34:35], s[34:35], s[8:9]
                                        ; implicit-def: $sgpr40_sgpr41
	s_branch .LBB507_599
.LBB507_602:
	s_or_b64 exec, exec, s[28:29]
	s_xor_b64 s[6:7], s[30:31], -1
	s_branch .LBB507_604
.LBB507_603:
	s_mov_b64 s[6:7], -1
.LBB507_604:
	s_andn2_b64 s[8:9], s[12:13], exec
	s_and_b64 s[6:7], s[6:7], exec
	s_or_b64 s[12:13], s[8:9], s[6:7]
.LBB507_605:
	s_or_b64 exec, exec, s[26:27]
	v_cndmask_b32_e64 v4, v9, v8, s[12:13]
	v_cndmask_b32_e64 v5, v23, v22, s[12:13]
	v_add_u32_e32 v6, 1, v4
	v_add_u32_e32 v4, -1, v5
	v_min_u32_e32 v4, v6, v4
	v_lshl_add_u32 v4, v4, 3, v18
	ds_read_b64 v[4:5], v4
	v_cndmask_b32_e64 v9, v6, v9, s[12:13]
	v_cndmask_b32_e64 v8, v8, v6, s[12:13]
	v_cmp_lt_u32_e32 vcc, v9, v23
	s_waitcnt lgkmcnt(0)
	v_cndmask_b32_e64 v24, v5, v3, s[12:13]
	v_cndmask_b32_e64 v25, v4, v2, s[12:13]
	;; [unrolled: 1-line block ×4, first 2 shown]
	s_and_saveexec_b64 s[26:27], vcc
	s_cbranch_execz .LBB507_616
; %bb.606:
	v_cmp_lt_u32_e32 vcc, v8, v22
	s_mov_b64 s[6:7], 0
	s_and_saveexec_b64 s[14:15], vcc
	s_cbranch_execz .LBB507_615
; %bb.607:
	s_andn2_b64 vcc, exec, s[22:23]
	s_cbranch_vccnz .LBB507_613
; %bb.608:
	v_mul_lo_u32 v6, v24, s16
	v_mul_lo_u32 v7, v25, s17
	v_mad_u64_u32 v[4:5], s[6:7], v25, s16, 0
	v_add3_u32 v5, v5, v7, v6
	v_lshlrev_b64 v[4:5], 3, v[4:5]
	v_mov_b32_e32 v6, s19
	v_add_co_u32_e32 v4, vcc, s18, v4
	v_addc_co_u32_e32 v5, vcc, v6, v5, vcc
	v_mul_lo_u32 v10, v28, s16
	v_mul_lo_u32 v11, v29, s17
	v_mad_u64_u32 v[6:7], s[6:7], v29, s16, 0
	v_add3_u32 v7, v7, v11, v10
	v_lshlrev_b64 v[6:7], 3, v[6:7]
	v_mov_b32_e32 v10, s19
	v_add_co_u32_e32 v6, vcc, s18, v6
	v_addc_co_u32_e32 v7, vcc, v10, v7, vcc
	s_mov_b64 s[28:29], 0
	s_mov_b64 s[38:39], s[16:17]
                                        ; implicit-def: $sgpr30_sgpr31
                                        ; implicit-def: $sgpr34_sgpr35
                                        ; implicit-def: $sgpr6_sgpr7
                                        ; implicit-def: $sgpr36_sgpr37
                                        ; implicit-def: $sgpr40_sgpr41
	s_branch .LBB507_610
.LBB507_609:                            ;   in Loop: Header=BB507_610 Depth=1
	s_or_b64 exec, exec, s[42:43]
	s_and_b64 s[8:9], exec, s[34:35]
	s_or_b64 s[28:29], s[8:9], s[28:29]
	s_andn2_b64 s[8:9], s[40:41], exec
	s_and_b64 s[40:41], s[36:37], exec
	s_or_b64 s[40:41], s[8:9], s[40:41]
	s_andn2_b64 s[8:9], s[30:31], exec
	s_and_b64 s[30:31], s[6:7], exec
	s_or_b64 s[30:31], s[8:9], s[30:31]
	s_andn2_b64 exec, exec, s[28:29]
	s_cbranch_execz .LBB507_612
.LBB507_610:                            ; =>This Inner Loop Header: Depth=1
	global_load_dwordx2 v[10:11], v[4:5], off
	global_load_dwordx2 v[30:31], v[6:7], off
	s_andn2_b64 s[42:43], s[6:7], exec
	s_andn2_b64 s[36:37], s[36:37], exec
	s_or_b64 s[34:35], s[34:35], exec
	s_waitcnt vmcnt(0)
	v_cmp_le_i64_e64 s[6:7], v[10:11], v[30:31]
	v_cmp_lt_i64_e32 vcc, v[10:11], v[30:31]
	s_and_b64 s[6:7], s[6:7], s[40:41]
	s_or_b64 s[44:45], vcc, s[6:7]
	s_and_b64 s[6:7], s[44:45], exec
	v_cmp_eq_u64_e64 s[8:9], v[10:11], v[30:31]
	s_or_b64 s[6:7], s[42:43], s[6:7]
	s_and_saveexec_b64 s[42:43], s[8:9]
	s_cbranch_execz .LBB507_609
; %bb.611:                              ;   in Loop: Header=BB507_610 Depth=1
	s_add_u32 s38, s38, -1
	s_addc_u32 s39, s39, -1
	v_add_co_u32_e32 v4, vcc, 8, v4
	s_cmp_eq_u64 s[38:39], 0
	v_addc_co_u32_e32 v5, vcc, 0, v5, vcc
	s_cselect_b64 s[8:9], -1, 0
	v_add_co_u32_e32 v6, vcc, 8, v6
	s_andn2_b64 s[36:37], s[36:37], exec
	s_and_b64 s[40:41], s[44:45], exec
	s_andn2_b64 s[34:35], s[34:35], exec
	s_and_b64 s[8:9], s[8:9], exec
	v_addc_co_u32_e32 v7, vcc, 0, v7, vcc
	s_or_b64 s[36:37], s[36:37], s[40:41]
	s_andn2_b64 s[6:7], s[6:7], exec
	s_or_b64 s[34:35], s[34:35], s[8:9]
                                        ; implicit-def: $sgpr40_sgpr41
	s_branch .LBB507_609
.LBB507_612:
	s_or_b64 exec, exec, s[28:29]
	s_xor_b64 s[6:7], s[30:31], -1
	s_branch .LBB507_614
.LBB507_613:
	s_mov_b64 s[6:7], -1
.LBB507_614:
	s_and_b64 s[6:7], s[6:7], exec
.LBB507_615:
	s_or_b64 exec, exec, s[14:15]
	s_orn2_b64 s[14:15], s[6:7], exec
.LBB507_616:
	s_or_b64 exec, exec, s[26:27]
	v_cndmask_b32_e64 v4, v9, v8, s[14:15]
	v_cndmask_b32_e64 v5, v23, v22, s[14:15]
	v_add_u32_e32 v6, 1, v4
	v_add_u32_e32 v4, -1, v5
	v_min_u32_e32 v4, v6, v4
	v_lshl_add_u32 v4, v4, 3, v18
	ds_read_b64 v[4:5], v4
	v_cndmask_b32_e64 v9, v6, v9, s[14:15]
	v_cndmask_b32_e64 v8, v8, v6, s[14:15]
	v_cmp_lt_u32_e32 vcc, v9, v23
	s_mov_b64 s[26:27], -1
	s_waitcnt lgkmcnt(0)
	v_cndmask_b32_e64 v30, v5, v24, s[14:15]
	v_cndmask_b32_e64 v31, v4, v25, s[14:15]
	;; [unrolled: 1-line block ×4, first 2 shown]
	s_and_saveexec_b64 s[28:29], vcc
	s_cbranch_execz .LBB507_627
; %bb.617:
	v_cmp_lt_u32_e32 vcc, v8, v22
	s_mov_b64 s[6:7], 0
	s_and_saveexec_b64 s[26:27], vcc
	s_cbranch_execz .LBB507_626
; %bb.618:
	s_andn2_b64 vcc, exec, s[22:23]
	s_cbranch_vccnz .LBB507_624
; %bb.619:
	v_mul_lo_u32 v6, v30, s16
	v_mul_lo_u32 v7, v31, s17
	v_mad_u64_u32 v[4:5], s[6:7], v31, s16, 0
	v_add3_u32 v5, v5, v7, v6
	v_lshlrev_b64 v[4:5], 3, v[4:5]
	v_mov_b32_e32 v6, s19
	v_add_co_u32_e32 v4, vcc, s18, v4
	v_addc_co_u32_e32 v5, vcc, v6, v5, vcc
	v_mul_lo_u32 v10, v32, s16
	v_mul_lo_u32 v11, v33, s17
	v_mad_u64_u32 v[6:7], s[6:7], v33, s16, 0
	v_add3_u32 v7, v7, v11, v10
	v_lshlrev_b64 v[6:7], 3, v[6:7]
	v_mov_b32_e32 v10, s19
	v_add_co_u32_e32 v6, vcc, s18, v6
	v_addc_co_u32_e32 v7, vcc, v10, v7, vcc
	s_mov_b64 s[30:31], 0
	s_mov_b64 s[40:41], s[16:17]
                                        ; implicit-def: $sgpr34_sgpr35
                                        ; implicit-def: $sgpr36_sgpr37
                                        ; implicit-def: $sgpr6_sgpr7
                                        ; implicit-def: $sgpr38_sgpr39
                                        ; implicit-def: $sgpr42_sgpr43
	s_branch .LBB507_621
.LBB507_620:                            ;   in Loop: Header=BB507_621 Depth=1
	s_or_b64 exec, exec, s[44:45]
	s_and_b64 s[8:9], exec, s[36:37]
	s_or_b64 s[30:31], s[8:9], s[30:31]
	s_andn2_b64 s[8:9], s[42:43], exec
	s_and_b64 s[42:43], s[38:39], exec
	s_or_b64 s[42:43], s[8:9], s[42:43]
	s_andn2_b64 s[8:9], s[34:35], exec
	s_and_b64 s[34:35], s[6:7], exec
	s_or_b64 s[34:35], s[8:9], s[34:35]
	s_andn2_b64 exec, exec, s[30:31]
	s_cbranch_execz .LBB507_623
.LBB507_621:                            ; =>This Inner Loop Header: Depth=1
	global_load_dwordx2 v[10:11], v[4:5], off
	global_load_dwordx2 v[34:35], v[6:7], off
	s_andn2_b64 s[44:45], s[6:7], exec
	s_andn2_b64 s[38:39], s[38:39], exec
	s_or_b64 s[36:37], s[36:37], exec
	s_waitcnt vmcnt(0)
	v_cmp_le_i64_e64 s[6:7], v[10:11], v[34:35]
	v_cmp_lt_i64_e32 vcc, v[10:11], v[34:35]
	s_and_b64 s[6:7], s[6:7], s[42:43]
	s_or_b64 s[46:47], vcc, s[6:7]
	s_and_b64 s[6:7], s[46:47], exec
	v_cmp_eq_u64_e64 s[8:9], v[10:11], v[34:35]
	s_or_b64 s[6:7], s[44:45], s[6:7]
	s_and_saveexec_b64 s[44:45], s[8:9]
	s_cbranch_execz .LBB507_620
; %bb.622:                              ;   in Loop: Header=BB507_621 Depth=1
	s_add_u32 s40, s40, -1
	s_addc_u32 s41, s41, -1
	v_add_co_u32_e32 v4, vcc, 8, v4
	s_cmp_eq_u64 s[40:41], 0
	v_addc_co_u32_e32 v5, vcc, 0, v5, vcc
	s_cselect_b64 s[8:9], -1, 0
	v_add_co_u32_e32 v6, vcc, 8, v6
	s_andn2_b64 s[38:39], s[38:39], exec
	s_and_b64 s[42:43], s[46:47], exec
	s_andn2_b64 s[36:37], s[36:37], exec
	s_and_b64 s[8:9], s[8:9], exec
	v_addc_co_u32_e32 v7, vcc, 0, v7, vcc
	s_or_b64 s[38:39], s[38:39], s[42:43]
	s_andn2_b64 s[6:7], s[6:7], exec
	s_or_b64 s[36:37], s[36:37], s[8:9]
                                        ; implicit-def: $sgpr42_sgpr43
	s_branch .LBB507_620
.LBB507_623:
	s_or_b64 exec, exec, s[30:31]
	s_xor_b64 s[6:7], s[34:35], -1
	s_branch .LBB507_625
.LBB507_624:
	s_mov_b64 s[6:7], -1
.LBB507_625:
	s_and_b64 s[6:7], s[6:7], exec
.LBB507_626:
	s_or_b64 exec, exec, s[26:27]
	s_orn2_b64 s[26:27], s[6:7], exec
.LBB507_627:
	s_or_b64 exec, exec, s[28:29]
	v_cndmask_b32_e64 v4, v9, v8, s[26:27]
	v_cndmask_b32_e64 v5, v23, v22, s[26:27]
	v_add_u32_e32 v10, 1, v4
	v_add_u32_e32 v4, -1, v5
	v_min_u32_e32 v4, v10, v4
	v_lshl_add_u32 v4, v4, 3, v18
	ds_read_b64 v[4:5], v4
	v_cndmask_b32_e64 v9, v10, v9, s[26:27]
	v_cmp_lt_u32_e32 vcc, v9, v23
	s_waitcnt lgkmcnt(0)
	v_cndmask_b32_e64 v7, v32, v5, s[26:27]
	v_cndmask_b32_e64 v6, v33, v4, s[26:27]
	s_and_saveexec_b64 s[28:29], vcc
	s_cbranch_execz .LBB507_637
; %bb.628:
	v_cndmask_b32_e64 v8, v8, v10, s[26:27]
	v_cndmask_b32_e64 v5, v5, v30, s[26:27]
	;; [unrolled: 1-line block ×3, first 2 shown]
	v_cmp_lt_u32_e32 vcc, v8, v22
	s_and_saveexec_b64 s[30:31], vcc
	s_cbranch_execz .LBB507_636
; %bb.629:
	s_andn2_b64 vcc, exec, s[22:23]
	s_cbranch_vccnz .LBB507_635
; %bb.630:
	v_mul_lo_u32 v10, v5, s16
	v_mul_lo_u32 v11, v4, s17
	v_mad_u64_u32 v[8:9], s[6:7], v4, s16, 0
	v_add3_u32 v9, v9, v11, v10
	v_lshlrev_b64 v[8:9], 3, v[8:9]
	v_mov_b32_e32 v10, s19
	v_add_co_u32_e32 v8, vcc, s18, v8
	v_addc_co_u32_e32 v9, vcc, v10, v9, vcc
	v_mul_lo_u32 v22, v7, s16
	v_mul_lo_u32 v23, v6, s17
	v_mad_u64_u32 v[10:11], s[6:7], v6, s16, 0
	v_add3_u32 v11, v11, v23, v22
	v_lshlrev_b64 v[10:11], 3, v[10:11]
	v_mov_b32_e32 v22, s19
	v_add_co_u32_e32 v10, vcc, s18, v10
	v_addc_co_u32_e32 v11, vcc, v22, v11, vcc
	s_mov_b64 s[34:35], 0
	s_mov_b64 s[42:43], s[16:17]
                                        ; implicit-def: $sgpr36_sgpr37
                                        ; implicit-def: $sgpr38_sgpr39
                                        ; implicit-def: $sgpr6_sgpr7
                                        ; implicit-def: $sgpr40_sgpr41
                                        ; implicit-def: $sgpr44_sgpr45
	s_branch .LBB507_632
.LBB507_631:                            ;   in Loop: Header=BB507_632 Depth=1
	s_or_b64 exec, exec, s[46:47]
	s_and_b64 s[8:9], exec, s[38:39]
	s_or_b64 s[34:35], s[8:9], s[34:35]
	s_andn2_b64 s[8:9], s[44:45], exec
	s_and_b64 s[44:45], s[40:41], exec
	s_or_b64 s[44:45], s[8:9], s[44:45]
	s_andn2_b64 s[8:9], s[36:37], exec
	s_and_b64 s[36:37], s[6:7], exec
	s_or_b64 s[36:37], s[8:9], s[36:37]
	s_andn2_b64 exec, exec, s[34:35]
	s_cbranch_execz .LBB507_634
.LBB507_632:                            ; =>This Inner Loop Header: Depth=1
	global_load_dwordx2 v[22:23], v[8:9], off
	global_load_dwordx2 v[34:35], v[10:11], off
	s_andn2_b64 s[46:47], s[6:7], exec
	s_andn2_b64 s[40:41], s[40:41], exec
	s_or_b64 s[38:39], s[38:39], exec
	s_waitcnt vmcnt(0)
	v_cmp_le_i64_e64 s[6:7], v[22:23], v[34:35]
	v_cmp_lt_i64_e32 vcc, v[22:23], v[34:35]
	s_and_b64 s[6:7], s[6:7], s[44:45]
	s_or_b64 s[48:49], vcc, s[6:7]
	s_and_b64 s[6:7], s[48:49], exec
	v_cmp_eq_u64_e64 s[8:9], v[22:23], v[34:35]
	s_or_b64 s[6:7], s[46:47], s[6:7]
	s_and_saveexec_b64 s[46:47], s[8:9]
	s_cbranch_execz .LBB507_631
; %bb.633:                              ;   in Loop: Header=BB507_632 Depth=1
	s_add_u32 s42, s42, -1
	s_addc_u32 s43, s43, -1
	v_add_co_u32_e32 v8, vcc, 8, v8
	s_cmp_eq_u64 s[42:43], 0
	v_addc_co_u32_e32 v9, vcc, 0, v9, vcc
	s_cselect_b64 s[8:9], -1, 0
	v_add_co_u32_e32 v10, vcc, 8, v10
	s_andn2_b64 s[40:41], s[40:41], exec
	s_and_b64 s[44:45], s[48:49], exec
	s_andn2_b64 s[38:39], s[38:39], exec
	s_and_b64 s[8:9], s[8:9], exec
	v_addc_co_u32_e32 v11, vcc, 0, v11, vcc
	s_or_b64 s[40:41], s[40:41], s[44:45]
	s_andn2_b64 s[6:7], s[6:7], exec
	s_or_b64 s[38:39], s[38:39], s[8:9]
                                        ; implicit-def: $sgpr44_sgpr45
	s_branch .LBB507_631
.LBB507_634:
	s_or_b64 exec, exec, s[34:35]
	v_cndmask_b32_e64 v7, v7, v5, s[36:37]
	v_cndmask_b32_e64 v6, v6, v4, s[36:37]
.LBB507_635:
	v_pk_mov_b32 v[4:5], v[6:7], v[6:7] op_sel:[0,1]
.LBB507_636:
	s_or_b64 exec, exec, s[30:31]
	v_pk_mov_b32 v[6:7], v[4:5], v[4:5] op_sel:[0,1]
.LBB507_637:
	s_or_b64 exec, exec, s[28:29]
	v_cndmask_b32_e64 v1, v3, v1, s[12:13]
	v_cndmask_b32_e64 v0, v2, v0, s[12:13]
	;; [unrolled: 1-line block ×6, first 2 shown]
.LBB507_638:
	s_or_b64 exec, exec, s[10:11]
	v_and_b32_e32 v28, 0x1f0, v20
	v_or_b32_e32 v8, 8, v28
	v_min_u32_e32 v22, v19, v8
	v_add_u32_e32 v8, 8, v22
	v_min_u32_e32 v23, v19, v8
	v_and_b32_e32 v8, 12, v20
	v_min_u32_e32 v29, v19, v8
	v_sub_u32_e32 v8, v22, v28
	v_sub_u32_e32 v9, v23, v22
	v_sub_u32_e64 v25, v29, v9 clamp
	v_min_u32_e32 v30, v29, v8
	v_lshl_add_u32 v24, v28, 3, v18
	v_cmp_lt_u32_e32 vcc, v25, v30
	; wave barrier
	ds_write_b128 v21, v[0:3]
	ds_write_b128 v21, v[4:7] offset:16
	; wave barrier
	s_and_saveexec_b64 s[12:13], vcc
	s_cbranch_execz .LBB507_648
; %bb.639:
	v_lshlrev_b32_e32 v8, 3, v22
	v_lshlrev_b32_e32 v9, 3, v29
	v_add3_u32 v31, v18, v8, v9
	v_cndmask_b32_e64 v8, 0, 1, s[22:23]
	s_lshl_b64 s[26:27], s[16:17], 3
	s_mov_b64 s[14:15], 0
	v_cmp_ne_u32_e64 s[6:7], 1, v8
	s_branch .LBB507_642
.LBB507_640:                            ;   in Loop: Header=BB507_642 Depth=1
	s_or_b64 exec, exec, s[30:31]
.LBB507_641:                            ;   in Loop: Header=BB507_642 Depth=1
	v_add_u32_e32 v8, 1, v32
	v_cndmask_b32_e64 v30, v30, v32, s[28:29]
	v_cndmask_b32_e64 v25, v8, v25, s[28:29]
	v_cmp_ge_u32_e32 vcc, v25, v30
	s_or_b64 s[14:15], vcc, s[14:15]
	s_andn2_b64 exec, exec, s[14:15]
	s_cbranch_execz .LBB507_647
.LBB507_642:                            ; =>This Loop Header: Depth=1
                                        ;     Child Loop BB507_645 Depth 2
	v_add_u32_e32 v8, v30, v25
	v_lshrrev_b32_e32 v32, 1, v8
	s_and_b64 vcc, exec, s[6:7]
	s_mov_b64 s[28:29], 0
	s_cbranch_vccnz .LBB507_641
; %bb.643:                              ;   in Loop: Header=BB507_642 Depth=1
	v_not_b32_e32 v8, v32
	v_lshl_add_u32 v8, v8, 3, v31
	ds_read_b64 v[8:9], v8
	v_lshl_add_u32 v33, v32, 3, v24
	ds_read_b64 v[34:35], v33
	v_pk_mov_b32 v[10:11], s[18:19], s[18:19] op_sel:[0,1]
	s_mov_b64 s[30:31], 0
	s_waitcnt lgkmcnt(1)
	v_mul_lo_u32 v33, s26, v9
	v_mul_lo_u32 v36, s27, v8
	v_mad_u64_u32 v[8:9], s[8:9], s26, v8, v[10:11]
	v_add3_u32 v9, v36, v9, v33
	s_waitcnt lgkmcnt(0)
	v_mul_lo_u32 v33, s26, v35
	v_mul_lo_u32 v35, s27, v34
	v_mad_u64_u32 v[10:11], s[8:9], s26, v34, v[10:11]
	v_add3_u32 v11, v35, v11, v33
	s_mov_b64 s[38:39], s[16:17]
                                        ; implicit-def: $sgpr28_sgpr29
                                        ; implicit-def: $sgpr34_sgpr35
                                        ; implicit-def: $sgpr36_sgpr37
                                        ; implicit-def: $sgpr8_sgpr9
                                        ; implicit-def: $sgpr40_sgpr41
	s_branch .LBB507_645
.LBB507_644:                            ;   in Loop: Header=BB507_645 Depth=2
	s_or_b64 exec, exec, s[42:43]
	s_and_b64 s[10:11], exec, s[34:35]
	s_or_b64 s[30:31], s[10:11], s[30:31]
	s_andn2_b64 s[10:11], s[40:41], exec
	s_and_b64 s[40:41], s[36:37], exec
	s_or_b64 s[40:41], s[10:11], s[40:41]
	s_andn2_b64 s[10:11], s[28:29], exec
	s_and_b64 s[28:29], s[8:9], exec
	s_or_b64 s[28:29], s[10:11], s[28:29]
	s_andn2_b64 exec, exec, s[30:31]
	s_cbranch_execz .LBB507_640
.LBB507_645:                            ;   Parent Loop BB507_642 Depth=1
                                        ; =>  This Inner Loop Header: Depth=2
	global_load_dwordx2 v[34:35], v[8:9], off
	global_load_dwordx2 v[36:37], v[10:11], off
	s_andn2_b64 s[42:43], s[8:9], exec
	s_andn2_b64 s[36:37], s[36:37], exec
	s_or_b64 s[34:35], s[34:35], exec
	s_waitcnt vmcnt(0)
	v_cmp_le_i64_e64 s[8:9], v[34:35], v[36:37]
	v_cmp_lt_i64_e32 vcc, v[34:35], v[36:37]
	s_and_b64 s[8:9], s[8:9], s[40:41]
	s_or_b64 s[44:45], vcc, s[8:9]
	s_and_b64 s[8:9], s[44:45], exec
	v_cmp_eq_u64_e64 s[10:11], v[34:35], v[36:37]
	s_or_b64 s[8:9], s[42:43], s[8:9]
	s_and_saveexec_b64 s[42:43], s[10:11]
	s_cbranch_execz .LBB507_644
; %bb.646:                              ;   in Loop: Header=BB507_645 Depth=2
	s_add_u32 s38, s38, -1
	s_addc_u32 s39, s39, -1
	v_add_co_u32_e32 v8, vcc, 8, v8
	s_cmp_eq_u64 s[38:39], 0
	v_addc_co_u32_e32 v9, vcc, 0, v9, vcc
	s_cselect_b64 s[10:11], -1, 0
	v_add_co_u32_e32 v10, vcc, 8, v10
	s_andn2_b64 s[36:37], s[36:37], exec
	s_and_b64 s[40:41], s[44:45], exec
	s_andn2_b64 s[34:35], s[34:35], exec
	s_and_b64 s[10:11], s[10:11], exec
	v_addc_co_u32_e32 v11, vcc, 0, v11, vcc
	s_andn2_b64 s[8:9], s[8:9], exec
	s_or_b64 s[36:37], s[36:37], s[40:41]
	s_or_b64 s[34:35], s[34:35], s[10:11]
                                        ; implicit-def: $sgpr40_sgpr41
	s_branch .LBB507_644
.LBB507_647:
	s_or_b64 exec, exec, s[14:15]
.LBB507_648:
	s_or_b64 exec, exec, s[12:13]
	v_add_u32_e32 v9, v22, v29
	v_add_u32_e32 v8, v25, v28
	v_sub_u32_e32 v9, v9, v25
	v_cmp_le_u32_e32 vcc, v8, v22
	v_cmp_le_u32_e64 s[6:7], v9, v23
	s_or_b64 s[6:7], vcc, s[6:7]
	s_and_saveexec_b64 s[10:11], s[6:7]
	s_cbranch_execz .LBB507_695
; %bb.649:
	v_cmp_ge_u32_e32 vcc, v8, v22
	v_cmp_lt_u32_e64 s[6:7], v8, v22
                                        ; implicit-def: $vgpr0_vgpr1
	s_and_saveexec_b64 s[8:9], s[6:7]
	s_cbranch_execz .LBB507_651
; %bb.650:
	v_lshl_add_u32 v0, v25, 3, v24
	ds_read_b64 v[0:1], v0
.LBB507_651:
	s_or_b64 exec, exec, s[8:9]
	v_cmp_ge_u32_e64 s[12:13], v9, v23
	v_cmp_lt_u32_e64 s[6:7], v9, v23
                                        ; implicit-def: $vgpr2_vgpr3
	s_and_saveexec_b64 s[8:9], s[6:7]
	s_cbranch_execz .LBB507_653
; %bb.652:
	v_lshl_add_u32 v2, v9, 3, v18
	ds_read_b64 v[2:3], v2
.LBB507_653:
	s_or_b64 exec, exec, s[8:9]
	s_or_b64 s[6:7], vcc, s[12:13]
	s_mov_b64 s[14:15], -1
	s_xor_b64 s[6:7], s[6:7], -1
	s_and_saveexec_b64 s[26:27], s[6:7]
	s_cbranch_execz .LBB507_662
; %bb.654:
	s_andn2_b64 vcc, exec, s[22:23]
	s_cbranch_vccnz .LBB507_660
; %bb.655:
	s_waitcnt lgkmcnt(0)
	v_mul_lo_u32 v6, v3, s16
	v_mul_lo_u32 v7, v2, s17
	v_mad_u64_u32 v[4:5], s[6:7], v2, s16, 0
	v_add3_u32 v5, v5, v7, v6
	v_lshlrev_b64 v[4:5], 3, v[4:5]
	v_mov_b32_e32 v6, s19
	v_add_co_u32_e32 v4, vcc, s18, v4
	v_addc_co_u32_e32 v5, vcc, v6, v5, vcc
	v_mul_lo_u32 v10, v1, s16
	v_mul_lo_u32 v11, v0, s17
	v_mad_u64_u32 v[6:7], s[6:7], v0, s16, 0
	v_add3_u32 v7, v7, v11, v10
	v_lshlrev_b64 v[6:7], 3, v[6:7]
	v_mov_b32_e32 v10, s19
	v_add_co_u32_e32 v6, vcc, s18, v6
	v_addc_co_u32_e32 v7, vcc, v10, v7, vcc
	s_mov_b64 s[28:29], 0
	s_mov_b64 s[38:39], s[16:17]
                                        ; implicit-def: $sgpr30_sgpr31
                                        ; implicit-def: $sgpr34_sgpr35
                                        ; implicit-def: $sgpr6_sgpr7
                                        ; implicit-def: $sgpr36_sgpr37
                                        ; implicit-def: $sgpr40_sgpr41
	s_branch .LBB507_657
.LBB507_656:                            ;   in Loop: Header=BB507_657 Depth=1
	s_or_b64 exec, exec, s[42:43]
	s_and_b64 s[8:9], exec, s[34:35]
	s_or_b64 s[28:29], s[8:9], s[28:29]
	s_andn2_b64 s[8:9], s[40:41], exec
	s_and_b64 s[40:41], s[36:37], exec
	s_or_b64 s[40:41], s[8:9], s[40:41]
	s_andn2_b64 s[8:9], s[30:31], exec
	s_and_b64 s[30:31], s[6:7], exec
	s_or_b64 s[30:31], s[8:9], s[30:31]
	s_andn2_b64 exec, exec, s[28:29]
	s_cbranch_execz .LBB507_659
.LBB507_657:                            ; =>This Inner Loop Header: Depth=1
	global_load_dwordx2 v[10:11], v[4:5], off
	global_load_dwordx2 v[24:25], v[6:7], off
	s_andn2_b64 s[42:43], s[6:7], exec
	s_andn2_b64 s[36:37], s[36:37], exec
	s_or_b64 s[34:35], s[34:35], exec
	s_waitcnt vmcnt(0)
	v_cmp_le_i64_e64 s[6:7], v[10:11], v[24:25]
	v_cmp_lt_i64_e32 vcc, v[10:11], v[24:25]
	s_and_b64 s[6:7], s[6:7], s[40:41]
	s_or_b64 s[44:45], vcc, s[6:7]
	s_and_b64 s[6:7], s[44:45], exec
	v_cmp_eq_u64_e64 s[8:9], v[10:11], v[24:25]
	s_or_b64 s[6:7], s[42:43], s[6:7]
	s_and_saveexec_b64 s[42:43], s[8:9]
	s_cbranch_execz .LBB507_656
; %bb.658:                              ;   in Loop: Header=BB507_657 Depth=1
	s_add_u32 s38, s38, -1
	s_addc_u32 s39, s39, -1
	v_add_co_u32_e32 v4, vcc, 8, v4
	s_cmp_eq_u64 s[38:39], 0
	v_addc_co_u32_e32 v5, vcc, 0, v5, vcc
	s_cselect_b64 s[8:9], -1, 0
	v_add_co_u32_e32 v6, vcc, 8, v6
	s_andn2_b64 s[36:37], s[36:37], exec
	s_and_b64 s[40:41], s[44:45], exec
	s_andn2_b64 s[34:35], s[34:35], exec
	s_and_b64 s[8:9], s[8:9], exec
	v_addc_co_u32_e32 v7, vcc, 0, v7, vcc
	s_or_b64 s[36:37], s[36:37], s[40:41]
	s_andn2_b64 s[6:7], s[6:7], exec
	s_or_b64 s[34:35], s[34:35], s[8:9]
                                        ; implicit-def: $sgpr40_sgpr41
	s_branch .LBB507_656
.LBB507_659:
	s_or_b64 exec, exec, s[28:29]
	s_xor_b64 s[6:7], s[30:31], -1
	s_branch .LBB507_661
.LBB507_660:
	s_mov_b64 s[6:7], -1
.LBB507_661:
	s_andn2_b64 s[8:9], s[12:13], exec
	s_and_b64 s[6:7], s[6:7], exec
	s_or_b64 s[12:13], s[8:9], s[6:7]
.LBB507_662:
	s_or_b64 exec, exec, s[26:27]
	v_cndmask_b32_e64 v4, v9, v8, s[12:13]
	v_cndmask_b32_e64 v5, v23, v22, s[12:13]
	v_add_u32_e32 v6, 1, v4
	v_add_u32_e32 v4, -1, v5
	v_min_u32_e32 v4, v6, v4
	v_lshl_add_u32 v4, v4, 3, v18
	ds_read_b64 v[4:5], v4
	v_cndmask_b32_e64 v9, v6, v9, s[12:13]
	v_cndmask_b32_e64 v8, v8, v6, s[12:13]
	v_cmp_lt_u32_e32 vcc, v9, v23
	s_waitcnt lgkmcnt(0)
	v_cndmask_b32_e64 v24, v5, v3, s[12:13]
	v_cndmask_b32_e64 v25, v4, v2, s[12:13]
	;; [unrolled: 1-line block ×4, first 2 shown]
	s_and_saveexec_b64 s[26:27], vcc
	s_cbranch_execz .LBB507_673
; %bb.663:
	v_cmp_lt_u32_e32 vcc, v8, v22
	s_mov_b64 s[6:7], 0
	s_and_saveexec_b64 s[14:15], vcc
	s_cbranch_execz .LBB507_672
; %bb.664:
	s_andn2_b64 vcc, exec, s[22:23]
	s_cbranch_vccnz .LBB507_670
; %bb.665:
	v_mul_lo_u32 v6, v24, s16
	v_mul_lo_u32 v7, v25, s17
	v_mad_u64_u32 v[4:5], s[6:7], v25, s16, 0
	v_add3_u32 v5, v5, v7, v6
	v_lshlrev_b64 v[4:5], 3, v[4:5]
	v_mov_b32_e32 v6, s19
	v_add_co_u32_e32 v4, vcc, s18, v4
	v_addc_co_u32_e32 v5, vcc, v6, v5, vcc
	v_mul_lo_u32 v10, v28, s16
	v_mul_lo_u32 v11, v29, s17
	v_mad_u64_u32 v[6:7], s[6:7], v29, s16, 0
	v_add3_u32 v7, v7, v11, v10
	v_lshlrev_b64 v[6:7], 3, v[6:7]
	v_mov_b32_e32 v10, s19
	v_add_co_u32_e32 v6, vcc, s18, v6
	v_addc_co_u32_e32 v7, vcc, v10, v7, vcc
	s_mov_b64 s[28:29], 0
	s_mov_b64 s[38:39], s[16:17]
                                        ; implicit-def: $sgpr30_sgpr31
                                        ; implicit-def: $sgpr34_sgpr35
                                        ; implicit-def: $sgpr6_sgpr7
                                        ; implicit-def: $sgpr36_sgpr37
                                        ; implicit-def: $sgpr40_sgpr41
	s_branch .LBB507_667
.LBB507_666:                            ;   in Loop: Header=BB507_667 Depth=1
	s_or_b64 exec, exec, s[42:43]
	s_and_b64 s[8:9], exec, s[34:35]
	s_or_b64 s[28:29], s[8:9], s[28:29]
	s_andn2_b64 s[8:9], s[40:41], exec
	s_and_b64 s[40:41], s[36:37], exec
	s_or_b64 s[40:41], s[8:9], s[40:41]
	s_andn2_b64 s[8:9], s[30:31], exec
	s_and_b64 s[30:31], s[6:7], exec
	s_or_b64 s[30:31], s[8:9], s[30:31]
	s_andn2_b64 exec, exec, s[28:29]
	s_cbranch_execz .LBB507_669
.LBB507_667:                            ; =>This Inner Loop Header: Depth=1
	global_load_dwordx2 v[10:11], v[4:5], off
	global_load_dwordx2 v[30:31], v[6:7], off
	s_andn2_b64 s[42:43], s[6:7], exec
	s_andn2_b64 s[36:37], s[36:37], exec
	s_or_b64 s[34:35], s[34:35], exec
	s_waitcnt vmcnt(0)
	v_cmp_le_i64_e64 s[6:7], v[10:11], v[30:31]
	v_cmp_lt_i64_e32 vcc, v[10:11], v[30:31]
	s_and_b64 s[6:7], s[6:7], s[40:41]
	s_or_b64 s[44:45], vcc, s[6:7]
	s_and_b64 s[6:7], s[44:45], exec
	v_cmp_eq_u64_e64 s[8:9], v[10:11], v[30:31]
	s_or_b64 s[6:7], s[42:43], s[6:7]
	s_and_saveexec_b64 s[42:43], s[8:9]
	s_cbranch_execz .LBB507_666
; %bb.668:                              ;   in Loop: Header=BB507_667 Depth=1
	s_add_u32 s38, s38, -1
	s_addc_u32 s39, s39, -1
	v_add_co_u32_e32 v4, vcc, 8, v4
	s_cmp_eq_u64 s[38:39], 0
	v_addc_co_u32_e32 v5, vcc, 0, v5, vcc
	s_cselect_b64 s[8:9], -1, 0
	v_add_co_u32_e32 v6, vcc, 8, v6
	s_andn2_b64 s[36:37], s[36:37], exec
	s_and_b64 s[40:41], s[44:45], exec
	s_andn2_b64 s[34:35], s[34:35], exec
	s_and_b64 s[8:9], s[8:9], exec
	v_addc_co_u32_e32 v7, vcc, 0, v7, vcc
	s_or_b64 s[36:37], s[36:37], s[40:41]
	s_andn2_b64 s[6:7], s[6:7], exec
	s_or_b64 s[34:35], s[34:35], s[8:9]
                                        ; implicit-def: $sgpr40_sgpr41
	s_branch .LBB507_666
.LBB507_669:
	s_or_b64 exec, exec, s[28:29]
	s_xor_b64 s[6:7], s[30:31], -1
	s_branch .LBB507_671
.LBB507_670:
	s_mov_b64 s[6:7], -1
.LBB507_671:
	s_and_b64 s[6:7], s[6:7], exec
.LBB507_672:
	s_or_b64 exec, exec, s[14:15]
	s_orn2_b64 s[14:15], s[6:7], exec
.LBB507_673:
	s_or_b64 exec, exec, s[26:27]
	v_cndmask_b32_e64 v4, v9, v8, s[14:15]
	v_cndmask_b32_e64 v5, v23, v22, s[14:15]
	v_add_u32_e32 v6, 1, v4
	v_add_u32_e32 v4, -1, v5
	v_min_u32_e32 v4, v6, v4
	v_lshl_add_u32 v4, v4, 3, v18
	ds_read_b64 v[4:5], v4
	v_cndmask_b32_e64 v9, v6, v9, s[14:15]
	v_cndmask_b32_e64 v8, v8, v6, s[14:15]
	v_cmp_lt_u32_e32 vcc, v9, v23
	s_mov_b64 s[26:27], -1
	s_waitcnt lgkmcnt(0)
	v_cndmask_b32_e64 v30, v5, v24, s[14:15]
	v_cndmask_b32_e64 v31, v4, v25, s[14:15]
	;; [unrolled: 1-line block ×4, first 2 shown]
	s_and_saveexec_b64 s[28:29], vcc
	s_cbranch_execz .LBB507_684
; %bb.674:
	v_cmp_lt_u32_e32 vcc, v8, v22
	s_mov_b64 s[6:7], 0
	s_and_saveexec_b64 s[26:27], vcc
	s_cbranch_execz .LBB507_683
; %bb.675:
	s_andn2_b64 vcc, exec, s[22:23]
	s_cbranch_vccnz .LBB507_681
; %bb.676:
	v_mul_lo_u32 v6, v30, s16
	v_mul_lo_u32 v7, v31, s17
	v_mad_u64_u32 v[4:5], s[6:7], v31, s16, 0
	v_add3_u32 v5, v5, v7, v6
	v_lshlrev_b64 v[4:5], 3, v[4:5]
	v_mov_b32_e32 v6, s19
	v_add_co_u32_e32 v4, vcc, s18, v4
	v_addc_co_u32_e32 v5, vcc, v6, v5, vcc
	v_mul_lo_u32 v10, v32, s16
	v_mul_lo_u32 v11, v33, s17
	v_mad_u64_u32 v[6:7], s[6:7], v33, s16, 0
	v_add3_u32 v7, v7, v11, v10
	v_lshlrev_b64 v[6:7], 3, v[6:7]
	v_mov_b32_e32 v10, s19
	v_add_co_u32_e32 v6, vcc, s18, v6
	v_addc_co_u32_e32 v7, vcc, v10, v7, vcc
	s_mov_b64 s[30:31], 0
	s_mov_b64 s[40:41], s[16:17]
                                        ; implicit-def: $sgpr34_sgpr35
                                        ; implicit-def: $sgpr36_sgpr37
                                        ; implicit-def: $sgpr6_sgpr7
                                        ; implicit-def: $sgpr38_sgpr39
                                        ; implicit-def: $sgpr42_sgpr43
	s_branch .LBB507_678
.LBB507_677:                            ;   in Loop: Header=BB507_678 Depth=1
	s_or_b64 exec, exec, s[44:45]
	s_and_b64 s[8:9], exec, s[36:37]
	s_or_b64 s[30:31], s[8:9], s[30:31]
	s_andn2_b64 s[8:9], s[42:43], exec
	s_and_b64 s[42:43], s[38:39], exec
	s_or_b64 s[42:43], s[8:9], s[42:43]
	s_andn2_b64 s[8:9], s[34:35], exec
	s_and_b64 s[34:35], s[6:7], exec
	s_or_b64 s[34:35], s[8:9], s[34:35]
	s_andn2_b64 exec, exec, s[30:31]
	s_cbranch_execz .LBB507_680
.LBB507_678:                            ; =>This Inner Loop Header: Depth=1
	global_load_dwordx2 v[10:11], v[4:5], off
	global_load_dwordx2 v[34:35], v[6:7], off
	s_andn2_b64 s[44:45], s[6:7], exec
	s_andn2_b64 s[38:39], s[38:39], exec
	s_or_b64 s[36:37], s[36:37], exec
	s_waitcnt vmcnt(0)
	v_cmp_le_i64_e64 s[6:7], v[10:11], v[34:35]
	v_cmp_lt_i64_e32 vcc, v[10:11], v[34:35]
	s_and_b64 s[6:7], s[6:7], s[42:43]
	s_or_b64 s[46:47], vcc, s[6:7]
	s_and_b64 s[6:7], s[46:47], exec
	v_cmp_eq_u64_e64 s[8:9], v[10:11], v[34:35]
	s_or_b64 s[6:7], s[44:45], s[6:7]
	s_and_saveexec_b64 s[44:45], s[8:9]
	s_cbranch_execz .LBB507_677
; %bb.679:                              ;   in Loop: Header=BB507_678 Depth=1
	s_add_u32 s40, s40, -1
	s_addc_u32 s41, s41, -1
	v_add_co_u32_e32 v4, vcc, 8, v4
	s_cmp_eq_u64 s[40:41], 0
	v_addc_co_u32_e32 v5, vcc, 0, v5, vcc
	s_cselect_b64 s[8:9], -1, 0
	v_add_co_u32_e32 v6, vcc, 8, v6
	s_andn2_b64 s[38:39], s[38:39], exec
	s_and_b64 s[42:43], s[46:47], exec
	s_andn2_b64 s[36:37], s[36:37], exec
	s_and_b64 s[8:9], s[8:9], exec
	v_addc_co_u32_e32 v7, vcc, 0, v7, vcc
	s_or_b64 s[38:39], s[38:39], s[42:43]
	s_andn2_b64 s[6:7], s[6:7], exec
	s_or_b64 s[36:37], s[36:37], s[8:9]
                                        ; implicit-def: $sgpr42_sgpr43
	s_branch .LBB507_677
.LBB507_680:
	s_or_b64 exec, exec, s[30:31]
	s_xor_b64 s[6:7], s[34:35], -1
	s_branch .LBB507_682
.LBB507_681:
	s_mov_b64 s[6:7], -1
.LBB507_682:
	s_and_b64 s[6:7], s[6:7], exec
.LBB507_683:
	s_or_b64 exec, exec, s[26:27]
	s_orn2_b64 s[26:27], s[6:7], exec
.LBB507_684:
	s_or_b64 exec, exec, s[28:29]
	v_cndmask_b32_e64 v4, v9, v8, s[26:27]
	v_cndmask_b32_e64 v5, v23, v22, s[26:27]
	v_add_u32_e32 v10, 1, v4
	v_add_u32_e32 v4, -1, v5
	v_min_u32_e32 v4, v10, v4
	v_lshl_add_u32 v4, v4, 3, v18
	ds_read_b64 v[4:5], v4
	v_cndmask_b32_e64 v9, v10, v9, s[26:27]
	v_cmp_lt_u32_e32 vcc, v9, v23
	s_waitcnt lgkmcnt(0)
	v_cndmask_b32_e64 v7, v32, v5, s[26:27]
	v_cndmask_b32_e64 v6, v33, v4, s[26:27]
	s_and_saveexec_b64 s[28:29], vcc
	s_cbranch_execz .LBB507_694
; %bb.685:
	v_cndmask_b32_e64 v8, v8, v10, s[26:27]
	v_cndmask_b32_e64 v5, v5, v30, s[26:27]
	;; [unrolled: 1-line block ×3, first 2 shown]
	v_cmp_lt_u32_e32 vcc, v8, v22
	s_and_saveexec_b64 s[30:31], vcc
	s_cbranch_execz .LBB507_693
; %bb.686:
	s_andn2_b64 vcc, exec, s[22:23]
	s_cbranch_vccnz .LBB507_692
; %bb.687:
	v_mul_lo_u32 v10, v5, s16
	v_mul_lo_u32 v11, v4, s17
	v_mad_u64_u32 v[8:9], s[6:7], v4, s16, 0
	v_add3_u32 v9, v9, v11, v10
	v_lshlrev_b64 v[8:9], 3, v[8:9]
	v_mov_b32_e32 v10, s19
	v_add_co_u32_e32 v8, vcc, s18, v8
	v_addc_co_u32_e32 v9, vcc, v10, v9, vcc
	v_mul_lo_u32 v22, v7, s16
	v_mul_lo_u32 v23, v6, s17
	v_mad_u64_u32 v[10:11], s[6:7], v6, s16, 0
	v_add3_u32 v11, v11, v23, v22
	v_lshlrev_b64 v[10:11], 3, v[10:11]
	v_mov_b32_e32 v22, s19
	v_add_co_u32_e32 v10, vcc, s18, v10
	v_addc_co_u32_e32 v11, vcc, v22, v11, vcc
	s_mov_b64 s[34:35], 0
	s_mov_b64 s[42:43], s[16:17]
                                        ; implicit-def: $sgpr36_sgpr37
                                        ; implicit-def: $sgpr38_sgpr39
                                        ; implicit-def: $sgpr6_sgpr7
                                        ; implicit-def: $sgpr40_sgpr41
                                        ; implicit-def: $sgpr44_sgpr45
	s_branch .LBB507_689
.LBB507_688:                            ;   in Loop: Header=BB507_689 Depth=1
	s_or_b64 exec, exec, s[46:47]
	s_and_b64 s[8:9], exec, s[38:39]
	s_or_b64 s[34:35], s[8:9], s[34:35]
	s_andn2_b64 s[8:9], s[44:45], exec
	s_and_b64 s[44:45], s[40:41], exec
	s_or_b64 s[44:45], s[8:9], s[44:45]
	s_andn2_b64 s[8:9], s[36:37], exec
	s_and_b64 s[36:37], s[6:7], exec
	s_or_b64 s[36:37], s[8:9], s[36:37]
	s_andn2_b64 exec, exec, s[34:35]
	s_cbranch_execz .LBB507_691
.LBB507_689:                            ; =>This Inner Loop Header: Depth=1
	global_load_dwordx2 v[22:23], v[8:9], off
	global_load_dwordx2 v[34:35], v[10:11], off
	s_andn2_b64 s[46:47], s[6:7], exec
	s_andn2_b64 s[40:41], s[40:41], exec
	s_or_b64 s[38:39], s[38:39], exec
	s_waitcnt vmcnt(0)
	v_cmp_le_i64_e64 s[6:7], v[22:23], v[34:35]
	v_cmp_lt_i64_e32 vcc, v[22:23], v[34:35]
	s_and_b64 s[6:7], s[6:7], s[44:45]
	s_or_b64 s[48:49], vcc, s[6:7]
	s_and_b64 s[6:7], s[48:49], exec
	v_cmp_eq_u64_e64 s[8:9], v[22:23], v[34:35]
	s_or_b64 s[6:7], s[46:47], s[6:7]
	s_and_saveexec_b64 s[46:47], s[8:9]
	s_cbranch_execz .LBB507_688
; %bb.690:                              ;   in Loop: Header=BB507_689 Depth=1
	s_add_u32 s42, s42, -1
	s_addc_u32 s43, s43, -1
	v_add_co_u32_e32 v8, vcc, 8, v8
	s_cmp_eq_u64 s[42:43], 0
	v_addc_co_u32_e32 v9, vcc, 0, v9, vcc
	s_cselect_b64 s[8:9], -1, 0
	v_add_co_u32_e32 v10, vcc, 8, v10
	s_andn2_b64 s[40:41], s[40:41], exec
	s_and_b64 s[44:45], s[48:49], exec
	s_andn2_b64 s[38:39], s[38:39], exec
	s_and_b64 s[8:9], s[8:9], exec
	v_addc_co_u32_e32 v11, vcc, 0, v11, vcc
	s_or_b64 s[40:41], s[40:41], s[44:45]
	s_andn2_b64 s[6:7], s[6:7], exec
	s_or_b64 s[38:39], s[38:39], s[8:9]
                                        ; implicit-def: $sgpr44_sgpr45
	s_branch .LBB507_688
.LBB507_691:
	s_or_b64 exec, exec, s[34:35]
	v_cndmask_b32_e64 v7, v7, v5, s[36:37]
	v_cndmask_b32_e64 v6, v6, v4, s[36:37]
.LBB507_692:
	v_pk_mov_b32 v[4:5], v[6:7], v[6:7] op_sel:[0,1]
.LBB507_693:
	s_or_b64 exec, exec, s[30:31]
	v_pk_mov_b32 v[6:7], v[4:5], v[4:5] op_sel:[0,1]
.LBB507_694:
	s_or_b64 exec, exec, s[28:29]
	v_cndmask_b32_e64 v1, v3, v1, s[12:13]
	v_cndmask_b32_e64 v0, v2, v0, s[12:13]
	;; [unrolled: 1-line block ×6, first 2 shown]
.LBB507_695:
	s_or_b64 exec, exec, s[10:11]
	v_and_b32_e32 v28, 0x1e0, v20
	v_or_b32_e32 v8, 16, v28
	v_min_u32_e32 v22, v19, v8
	v_add_u32_e32 v8, 16, v22
	v_min_u32_e32 v23, v19, v8
	v_and_b32_e32 v8, 28, v20
	v_min_u32_e32 v29, v19, v8
	v_sub_u32_e32 v8, v22, v28
	v_sub_u32_e32 v9, v23, v22
	v_sub_u32_e64 v25, v29, v9 clamp
	v_min_u32_e32 v30, v29, v8
	v_lshl_add_u32 v24, v28, 3, v18
	v_cmp_lt_u32_e32 vcc, v25, v30
	; wave barrier
	ds_write_b128 v21, v[0:3]
	ds_write_b128 v21, v[4:7] offset:16
	; wave barrier
	s_and_saveexec_b64 s[12:13], vcc
	s_cbranch_execz .LBB507_705
; %bb.696:
	v_lshlrev_b32_e32 v8, 3, v22
	v_lshlrev_b32_e32 v9, 3, v29
	v_add3_u32 v31, v18, v8, v9
	v_cndmask_b32_e64 v8, 0, 1, s[22:23]
	s_lshl_b64 s[26:27], s[16:17], 3
	s_mov_b64 s[14:15], 0
	v_cmp_ne_u32_e64 s[6:7], 1, v8
	s_branch .LBB507_699
.LBB507_697:                            ;   in Loop: Header=BB507_699 Depth=1
	s_or_b64 exec, exec, s[30:31]
.LBB507_698:                            ;   in Loop: Header=BB507_699 Depth=1
	v_add_u32_e32 v8, 1, v32
	v_cndmask_b32_e64 v30, v30, v32, s[28:29]
	v_cndmask_b32_e64 v25, v8, v25, s[28:29]
	v_cmp_ge_u32_e32 vcc, v25, v30
	s_or_b64 s[14:15], vcc, s[14:15]
	s_andn2_b64 exec, exec, s[14:15]
	s_cbranch_execz .LBB507_704
.LBB507_699:                            ; =>This Loop Header: Depth=1
                                        ;     Child Loop BB507_702 Depth 2
	v_add_u32_e32 v8, v30, v25
	v_lshrrev_b32_e32 v32, 1, v8
	s_and_b64 vcc, exec, s[6:7]
	s_mov_b64 s[28:29], 0
	s_cbranch_vccnz .LBB507_698
; %bb.700:                              ;   in Loop: Header=BB507_699 Depth=1
	v_not_b32_e32 v8, v32
	v_lshl_add_u32 v8, v8, 3, v31
	ds_read_b64 v[8:9], v8
	v_lshl_add_u32 v33, v32, 3, v24
	ds_read_b64 v[34:35], v33
	v_pk_mov_b32 v[10:11], s[18:19], s[18:19] op_sel:[0,1]
	s_mov_b64 s[30:31], 0
	s_waitcnt lgkmcnt(1)
	v_mul_lo_u32 v33, s26, v9
	v_mul_lo_u32 v36, s27, v8
	v_mad_u64_u32 v[8:9], s[8:9], s26, v8, v[10:11]
	v_add3_u32 v9, v36, v9, v33
	s_waitcnt lgkmcnt(0)
	v_mul_lo_u32 v33, s26, v35
	v_mul_lo_u32 v35, s27, v34
	v_mad_u64_u32 v[10:11], s[8:9], s26, v34, v[10:11]
	v_add3_u32 v11, v35, v11, v33
	s_mov_b64 s[38:39], s[16:17]
                                        ; implicit-def: $sgpr28_sgpr29
                                        ; implicit-def: $sgpr34_sgpr35
                                        ; implicit-def: $sgpr36_sgpr37
                                        ; implicit-def: $sgpr8_sgpr9
                                        ; implicit-def: $sgpr40_sgpr41
	s_branch .LBB507_702
.LBB507_701:                            ;   in Loop: Header=BB507_702 Depth=2
	s_or_b64 exec, exec, s[42:43]
	s_and_b64 s[10:11], exec, s[34:35]
	s_or_b64 s[30:31], s[10:11], s[30:31]
	s_andn2_b64 s[10:11], s[40:41], exec
	s_and_b64 s[40:41], s[36:37], exec
	s_or_b64 s[40:41], s[10:11], s[40:41]
	s_andn2_b64 s[10:11], s[28:29], exec
	s_and_b64 s[28:29], s[8:9], exec
	s_or_b64 s[28:29], s[10:11], s[28:29]
	s_andn2_b64 exec, exec, s[30:31]
	s_cbranch_execz .LBB507_697
.LBB507_702:                            ;   Parent Loop BB507_699 Depth=1
                                        ; =>  This Inner Loop Header: Depth=2
	global_load_dwordx2 v[34:35], v[8:9], off
	global_load_dwordx2 v[36:37], v[10:11], off
	s_andn2_b64 s[42:43], s[8:9], exec
	s_andn2_b64 s[36:37], s[36:37], exec
	s_or_b64 s[34:35], s[34:35], exec
	s_waitcnt vmcnt(0)
	v_cmp_le_i64_e64 s[8:9], v[34:35], v[36:37]
	v_cmp_lt_i64_e32 vcc, v[34:35], v[36:37]
	s_and_b64 s[8:9], s[8:9], s[40:41]
	s_or_b64 s[44:45], vcc, s[8:9]
	s_and_b64 s[8:9], s[44:45], exec
	v_cmp_eq_u64_e64 s[10:11], v[34:35], v[36:37]
	s_or_b64 s[8:9], s[42:43], s[8:9]
	s_and_saveexec_b64 s[42:43], s[10:11]
	s_cbranch_execz .LBB507_701
; %bb.703:                              ;   in Loop: Header=BB507_702 Depth=2
	s_add_u32 s38, s38, -1
	s_addc_u32 s39, s39, -1
	v_add_co_u32_e32 v8, vcc, 8, v8
	s_cmp_eq_u64 s[38:39], 0
	v_addc_co_u32_e32 v9, vcc, 0, v9, vcc
	s_cselect_b64 s[10:11], -1, 0
	v_add_co_u32_e32 v10, vcc, 8, v10
	s_andn2_b64 s[36:37], s[36:37], exec
	s_and_b64 s[40:41], s[44:45], exec
	s_andn2_b64 s[34:35], s[34:35], exec
	s_and_b64 s[10:11], s[10:11], exec
	v_addc_co_u32_e32 v11, vcc, 0, v11, vcc
	s_andn2_b64 s[8:9], s[8:9], exec
	s_or_b64 s[36:37], s[36:37], s[40:41]
	s_or_b64 s[34:35], s[34:35], s[10:11]
                                        ; implicit-def: $sgpr40_sgpr41
	s_branch .LBB507_701
.LBB507_704:
	s_or_b64 exec, exec, s[14:15]
.LBB507_705:
	s_or_b64 exec, exec, s[12:13]
	v_add_u32_e32 v9, v22, v29
	v_add_u32_e32 v8, v25, v28
	v_sub_u32_e32 v9, v9, v25
	v_cmp_le_u32_e32 vcc, v8, v22
	v_cmp_le_u32_e64 s[6:7], v9, v23
	s_or_b64 s[6:7], vcc, s[6:7]
	s_and_saveexec_b64 s[10:11], s[6:7]
	s_cbranch_execz .LBB507_752
; %bb.706:
	v_cmp_ge_u32_e32 vcc, v8, v22
	v_cmp_lt_u32_e64 s[6:7], v8, v22
                                        ; implicit-def: $vgpr0_vgpr1
	s_and_saveexec_b64 s[8:9], s[6:7]
	s_cbranch_execz .LBB507_708
; %bb.707:
	v_lshl_add_u32 v0, v25, 3, v24
	ds_read_b64 v[0:1], v0
.LBB507_708:
	s_or_b64 exec, exec, s[8:9]
	v_cmp_ge_u32_e64 s[12:13], v9, v23
	v_cmp_lt_u32_e64 s[6:7], v9, v23
                                        ; implicit-def: $vgpr2_vgpr3
	s_and_saveexec_b64 s[8:9], s[6:7]
	s_cbranch_execz .LBB507_710
; %bb.709:
	v_lshl_add_u32 v2, v9, 3, v18
	ds_read_b64 v[2:3], v2
.LBB507_710:
	s_or_b64 exec, exec, s[8:9]
	s_or_b64 s[6:7], vcc, s[12:13]
	s_mov_b64 s[14:15], -1
	s_xor_b64 s[6:7], s[6:7], -1
	s_and_saveexec_b64 s[26:27], s[6:7]
	s_cbranch_execz .LBB507_719
; %bb.711:
	s_andn2_b64 vcc, exec, s[22:23]
	s_cbranch_vccnz .LBB507_717
; %bb.712:
	s_waitcnt lgkmcnt(0)
	v_mul_lo_u32 v6, v3, s16
	v_mul_lo_u32 v7, v2, s17
	v_mad_u64_u32 v[4:5], s[6:7], v2, s16, 0
	v_add3_u32 v5, v5, v7, v6
	v_lshlrev_b64 v[4:5], 3, v[4:5]
	v_mov_b32_e32 v6, s19
	v_add_co_u32_e32 v4, vcc, s18, v4
	v_addc_co_u32_e32 v5, vcc, v6, v5, vcc
	v_mul_lo_u32 v10, v1, s16
	v_mul_lo_u32 v11, v0, s17
	v_mad_u64_u32 v[6:7], s[6:7], v0, s16, 0
	v_add3_u32 v7, v7, v11, v10
	v_lshlrev_b64 v[6:7], 3, v[6:7]
	v_mov_b32_e32 v10, s19
	v_add_co_u32_e32 v6, vcc, s18, v6
	v_addc_co_u32_e32 v7, vcc, v10, v7, vcc
	s_mov_b64 s[28:29], 0
	s_mov_b64 s[38:39], s[16:17]
                                        ; implicit-def: $sgpr30_sgpr31
                                        ; implicit-def: $sgpr34_sgpr35
                                        ; implicit-def: $sgpr6_sgpr7
                                        ; implicit-def: $sgpr36_sgpr37
                                        ; implicit-def: $sgpr40_sgpr41
	s_branch .LBB507_714
.LBB507_713:                            ;   in Loop: Header=BB507_714 Depth=1
	s_or_b64 exec, exec, s[42:43]
	s_and_b64 s[8:9], exec, s[34:35]
	s_or_b64 s[28:29], s[8:9], s[28:29]
	s_andn2_b64 s[8:9], s[40:41], exec
	s_and_b64 s[40:41], s[36:37], exec
	s_or_b64 s[40:41], s[8:9], s[40:41]
	s_andn2_b64 s[8:9], s[30:31], exec
	s_and_b64 s[30:31], s[6:7], exec
	s_or_b64 s[30:31], s[8:9], s[30:31]
	s_andn2_b64 exec, exec, s[28:29]
	s_cbranch_execz .LBB507_716
.LBB507_714:                            ; =>This Inner Loop Header: Depth=1
	global_load_dwordx2 v[10:11], v[4:5], off
	global_load_dwordx2 v[24:25], v[6:7], off
	s_andn2_b64 s[42:43], s[6:7], exec
	s_andn2_b64 s[36:37], s[36:37], exec
	s_or_b64 s[34:35], s[34:35], exec
	s_waitcnt vmcnt(0)
	v_cmp_le_i64_e64 s[6:7], v[10:11], v[24:25]
	v_cmp_lt_i64_e32 vcc, v[10:11], v[24:25]
	s_and_b64 s[6:7], s[6:7], s[40:41]
	s_or_b64 s[44:45], vcc, s[6:7]
	s_and_b64 s[6:7], s[44:45], exec
	v_cmp_eq_u64_e64 s[8:9], v[10:11], v[24:25]
	s_or_b64 s[6:7], s[42:43], s[6:7]
	s_and_saveexec_b64 s[42:43], s[8:9]
	s_cbranch_execz .LBB507_713
; %bb.715:                              ;   in Loop: Header=BB507_714 Depth=1
	s_add_u32 s38, s38, -1
	s_addc_u32 s39, s39, -1
	v_add_co_u32_e32 v4, vcc, 8, v4
	s_cmp_eq_u64 s[38:39], 0
	v_addc_co_u32_e32 v5, vcc, 0, v5, vcc
	s_cselect_b64 s[8:9], -1, 0
	v_add_co_u32_e32 v6, vcc, 8, v6
	s_andn2_b64 s[36:37], s[36:37], exec
	s_and_b64 s[40:41], s[44:45], exec
	s_andn2_b64 s[34:35], s[34:35], exec
	s_and_b64 s[8:9], s[8:9], exec
	v_addc_co_u32_e32 v7, vcc, 0, v7, vcc
	s_or_b64 s[36:37], s[36:37], s[40:41]
	s_andn2_b64 s[6:7], s[6:7], exec
	s_or_b64 s[34:35], s[34:35], s[8:9]
                                        ; implicit-def: $sgpr40_sgpr41
	s_branch .LBB507_713
.LBB507_716:
	s_or_b64 exec, exec, s[28:29]
	s_xor_b64 s[6:7], s[30:31], -1
	s_branch .LBB507_718
.LBB507_717:
	s_mov_b64 s[6:7], -1
.LBB507_718:
	s_andn2_b64 s[8:9], s[12:13], exec
	s_and_b64 s[6:7], s[6:7], exec
	s_or_b64 s[12:13], s[8:9], s[6:7]
.LBB507_719:
	s_or_b64 exec, exec, s[26:27]
	v_cndmask_b32_e64 v4, v9, v8, s[12:13]
	v_cndmask_b32_e64 v5, v23, v22, s[12:13]
	v_add_u32_e32 v6, 1, v4
	v_add_u32_e32 v4, -1, v5
	v_min_u32_e32 v4, v6, v4
	v_lshl_add_u32 v4, v4, 3, v18
	ds_read_b64 v[4:5], v4
	v_cndmask_b32_e64 v9, v6, v9, s[12:13]
	v_cndmask_b32_e64 v8, v8, v6, s[12:13]
	v_cmp_lt_u32_e32 vcc, v9, v23
	s_waitcnt lgkmcnt(0)
	v_cndmask_b32_e64 v24, v5, v3, s[12:13]
	v_cndmask_b32_e64 v25, v4, v2, s[12:13]
	v_cndmask_b32_e64 v28, v1, v5, s[12:13]
	v_cndmask_b32_e64 v29, v0, v4, s[12:13]
	s_and_saveexec_b64 s[26:27], vcc
	s_cbranch_execz .LBB507_730
; %bb.720:
	v_cmp_lt_u32_e32 vcc, v8, v22
	s_mov_b64 s[6:7], 0
	s_and_saveexec_b64 s[14:15], vcc
	s_cbranch_execz .LBB507_729
; %bb.721:
	s_andn2_b64 vcc, exec, s[22:23]
	s_cbranch_vccnz .LBB507_727
; %bb.722:
	v_mul_lo_u32 v6, v24, s16
	v_mul_lo_u32 v7, v25, s17
	v_mad_u64_u32 v[4:5], s[6:7], v25, s16, 0
	v_add3_u32 v5, v5, v7, v6
	v_lshlrev_b64 v[4:5], 3, v[4:5]
	v_mov_b32_e32 v6, s19
	v_add_co_u32_e32 v4, vcc, s18, v4
	v_addc_co_u32_e32 v5, vcc, v6, v5, vcc
	v_mul_lo_u32 v10, v28, s16
	v_mul_lo_u32 v11, v29, s17
	v_mad_u64_u32 v[6:7], s[6:7], v29, s16, 0
	v_add3_u32 v7, v7, v11, v10
	v_lshlrev_b64 v[6:7], 3, v[6:7]
	v_mov_b32_e32 v10, s19
	v_add_co_u32_e32 v6, vcc, s18, v6
	v_addc_co_u32_e32 v7, vcc, v10, v7, vcc
	s_mov_b64 s[28:29], 0
	s_mov_b64 s[38:39], s[16:17]
                                        ; implicit-def: $sgpr30_sgpr31
                                        ; implicit-def: $sgpr34_sgpr35
                                        ; implicit-def: $sgpr6_sgpr7
                                        ; implicit-def: $sgpr36_sgpr37
                                        ; implicit-def: $sgpr40_sgpr41
	s_branch .LBB507_724
.LBB507_723:                            ;   in Loop: Header=BB507_724 Depth=1
	s_or_b64 exec, exec, s[42:43]
	s_and_b64 s[8:9], exec, s[34:35]
	s_or_b64 s[28:29], s[8:9], s[28:29]
	s_andn2_b64 s[8:9], s[40:41], exec
	s_and_b64 s[40:41], s[36:37], exec
	s_or_b64 s[40:41], s[8:9], s[40:41]
	s_andn2_b64 s[8:9], s[30:31], exec
	s_and_b64 s[30:31], s[6:7], exec
	s_or_b64 s[30:31], s[8:9], s[30:31]
	s_andn2_b64 exec, exec, s[28:29]
	s_cbranch_execz .LBB507_726
.LBB507_724:                            ; =>This Inner Loop Header: Depth=1
	global_load_dwordx2 v[10:11], v[4:5], off
	global_load_dwordx2 v[30:31], v[6:7], off
	s_andn2_b64 s[42:43], s[6:7], exec
	s_andn2_b64 s[36:37], s[36:37], exec
	s_or_b64 s[34:35], s[34:35], exec
	s_waitcnt vmcnt(0)
	v_cmp_le_i64_e64 s[6:7], v[10:11], v[30:31]
	v_cmp_lt_i64_e32 vcc, v[10:11], v[30:31]
	s_and_b64 s[6:7], s[6:7], s[40:41]
	s_or_b64 s[44:45], vcc, s[6:7]
	s_and_b64 s[6:7], s[44:45], exec
	v_cmp_eq_u64_e64 s[8:9], v[10:11], v[30:31]
	s_or_b64 s[6:7], s[42:43], s[6:7]
	s_and_saveexec_b64 s[42:43], s[8:9]
	s_cbranch_execz .LBB507_723
; %bb.725:                              ;   in Loop: Header=BB507_724 Depth=1
	s_add_u32 s38, s38, -1
	s_addc_u32 s39, s39, -1
	v_add_co_u32_e32 v4, vcc, 8, v4
	s_cmp_eq_u64 s[38:39], 0
	v_addc_co_u32_e32 v5, vcc, 0, v5, vcc
	s_cselect_b64 s[8:9], -1, 0
	v_add_co_u32_e32 v6, vcc, 8, v6
	s_andn2_b64 s[36:37], s[36:37], exec
	s_and_b64 s[40:41], s[44:45], exec
	s_andn2_b64 s[34:35], s[34:35], exec
	s_and_b64 s[8:9], s[8:9], exec
	v_addc_co_u32_e32 v7, vcc, 0, v7, vcc
	s_or_b64 s[36:37], s[36:37], s[40:41]
	s_andn2_b64 s[6:7], s[6:7], exec
	s_or_b64 s[34:35], s[34:35], s[8:9]
                                        ; implicit-def: $sgpr40_sgpr41
	s_branch .LBB507_723
.LBB507_726:
	s_or_b64 exec, exec, s[28:29]
	s_xor_b64 s[6:7], s[30:31], -1
	s_branch .LBB507_728
.LBB507_727:
	s_mov_b64 s[6:7], -1
.LBB507_728:
	s_and_b64 s[6:7], s[6:7], exec
.LBB507_729:
	s_or_b64 exec, exec, s[14:15]
	s_orn2_b64 s[14:15], s[6:7], exec
.LBB507_730:
	s_or_b64 exec, exec, s[26:27]
	v_cndmask_b32_e64 v4, v9, v8, s[14:15]
	v_cndmask_b32_e64 v5, v23, v22, s[14:15]
	v_add_u32_e32 v6, 1, v4
	v_add_u32_e32 v4, -1, v5
	v_min_u32_e32 v4, v6, v4
	v_lshl_add_u32 v4, v4, 3, v18
	ds_read_b64 v[4:5], v4
	v_cndmask_b32_e64 v9, v6, v9, s[14:15]
	v_cndmask_b32_e64 v8, v8, v6, s[14:15]
	v_cmp_lt_u32_e32 vcc, v9, v23
	s_mov_b64 s[26:27], -1
	s_waitcnt lgkmcnt(0)
	v_cndmask_b32_e64 v30, v5, v24, s[14:15]
	v_cndmask_b32_e64 v31, v4, v25, s[14:15]
	;; [unrolled: 1-line block ×4, first 2 shown]
	s_and_saveexec_b64 s[28:29], vcc
	s_cbranch_execz .LBB507_741
; %bb.731:
	v_cmp_lt_u32_e32 vcc, v8, v22
	s_mov_b64 s[6:7], 0
	s_and_saveexec_b64 s[26:27], vcc
	s_cbranch_execz .LBB507_740
; %bb.732:
	s_andn2_b64 vcc, exec, s[22:23]
	s_cbranch_vccnz .LBB507_738
; %bb.733:
	v_mul_lo_u32 v6, v30, s16
	v_mul_lo_u32 v7, v31, s17
	v_mad_u64_u32 v[4:5], s[6:7], v31, s16, 0
	v_add3_u32 v5, v5, v7, v6
	v_lshlrev_b64 v[4:5], 3, v[4:5]
	v_mov_b32_e32 v6, s19
	v_add_co_u32_e32 v4, vcc, s18, v4
	v_addc_co_u32_e32 v5, vcc, v6, v5, vcc
	v_mul_lo_u32 v10, v32, s16
	v_mul_lo_u32 v11, v33, s17
	v_mad_u64_u32 v[6:7], s[6:7], v33, s16, 0
	v_add3_u32 v7, v7, v11, v10
	v_lshlrev_b64 v[6:7], 3, v[6:7]
	v_mov_b32_e32 v10, s19
	v_add_co_u32_e32 v6, vcc, s18, v6
	v_addc_co_u32_e32 v7, vcc, v10, v7, vcc
	s_mov_b64 s[30:31], 0
	s_mov_b64 s[40:41], s[16:17]
                                        ; implicit-def: $sgpr34_sgpr35
                                        ; implicit-def: $sgpr36_sgpr37
                                        ; implicit-def: $sgpr6_sgpr7
                                        ; implicit-def: $sgpr38_sgpr39
                                        ; implicit-def: $sgpr42_sgpr43
	s_branch .LBB507_735
.LBB507_734:                            ;   in Loop: Header=BB507_735 Depth=1
	s_or_b64 exec, exec, s[44:45]
	s_and_b64 s[8:9], exec, s[36:37]
	s_or_b64 s[30:31], s[8:9], s[30:31]
	s_andn2_b64 s[8:9], s[42:43], exec
	s_and_b64 s[42:43], s[38:39], exec
	s_or_b64 s[42:43], s[8:9], s[42:43]
	s_andn2_b64 s[8:9], s[34:35], exec
	s_and_b64 s[34:35], s[6:7], exec
	s_or_b64 s[34:35], s[8:9], s[34:35]
	s_andn2_b64 exec, exec, s[30:31]
	s_cbranch_execz .LBB507_737
.LBB507_735:                            ; =>This Inner Loop Header: Depth=1
	global_load_dwordx2 v[10:11], v[4:5], off
	global_load_dwordx2 v[34:35], v[6:7], off
	s_andn2_b64 s[44:45], s[6:7], exec
	s_andn2_b64 s[38:39], s[38:39], exec
	s_or_b64 s[36:37], s[36:37], exec
	s_waitcnt vmcnt(0)
	v_cmp_le_i64_e64 s[6:7], v[10:11], v[34:35]
	v_cmp_lt_i64_e32 vcc, v[10:11], v[34:35]
	s_and_b64 s[6:7], s[6:7], s[42:43]
	s_or_b64 s[46:47], vcc, s[6:7]
	s_and_b64 s[6:7], s[46:47], exec
	v_cmp_eq_u64_e64 s[8:9], v[10:11], v[34:35]
	s_or_b64 s[6:7], s[44:45], s[6:7]
	s_and_saveexec_b64 s[44:45], s[8:9]
	s_cbranch_execz .LBB507_734
; %bb.736:                              ;   in Loop: Header=BB507_735 Depth=1
	s_add_u32 s40, s40, -1
	s_addc_u32 s41, s41, -1
	v_add_co_u32_e32 v4, vcc, 8, v4
	s_cmp_eq_u64 s[40:41], 0
	v_addc_co_u32_e32 v5, vcc, 0, v5, vcc
	s_cselect_b64 s[8:9], -1, 0
	v_add_co_u32_e32 v6, vcc, 8, v6
	s_andn2_b64 s[38:39], s[38:39], exec
	s_and_b64 s[42:43], s[46:47], exec
	s_andn2_b64 s[36:37], s[36:37], exec
	s_and_b64 s[8:9], s[8:9], exec
	v_addc_co_u32_e32 v7, vcc, 0, v7, vcc
	s_or_b64 s[38:39], s[38:39], s[42:43]
	s_andn2_b64 s[6:7], s[6:7], exec
	s_or_b64 s[36:37], s[36:37], s[8:9]
                                        ; implicit-def: $sgpr42_sgpr43
	s_branch .LBB507_734
.LBB507_737:
	s_or_b64 exec, exec, s[30:31]
	s_xor_b64 s[6:7], s[34:35], -1
	s_branch .LBB507_739
.LBB507_738:
	s_mov_b64 s[6:7], -1
.LBB507_739:
	s_and_b64 s[6:7], s[6:7], exec
.LBB507_740:
	s_or_b64 exec, exec, s[26:27]
	s_orn2_b64 s[26:27], s[6:7], exec
.LBB507_741:
	s_or_b64 exec, exec, s[28:29]
	v_cndmask_b32_e64 v4, v9, v8, s[26:27]
	v_cndmask_b32_e64 v5, v23, v22, s[26:27]
	v_add_u32_e32 v10, 1, v4
	v_add_u32_e32 v4, -1, v5
	v_min_u32_e32 v4, v10, v4
	v_lshl_add_u32 v4, v4, 3, v18
	ds_read_b64 v[4:5], v4
	v_cndmask_b32_e64 v9, v10, v9, s[26:27]
	v_cmp_lt_u32_e32 vcc, v9, v23
	s_waitcnt lgkmcnt(0)
	v_cndmask_b32_e64 v7, v32, v5, s[26:27]
	v_cndmask_b32_e64 v6, v33, v4, s[26:27]
	s_and_saveexec_b64 s[28:29], vcc
	s_cbranch_execz .LBB507_751
; %bb.742:
	v_cndmask_b32_e64 v8, v8, v10, s[26:27]
	v_cndmask_b32_e64 v5, v5, v30, s[26:27]
	;; [unrolled: 1-line block ×3, first 2 shown]
	v_cmp_lt_u32_e32 vcc, v8, v22
	s_and_saveexec_b64 s[30:31], vcc
	s_cbranch_execz .LBB507_750
; %bb.743:
	s_andn2_b64 vcc, exec, s[22:23]
	s_cbranch_vccnz .LBB507_749
; %bb.744:
	v_mul_lo_u32 v10, v5, s16
	v_mul_lo_u32 v11, v4, s17
	v_mad_u64_u32 v[8:9], s[6:7], v4, s16, 0
	v_add3_u32 v9, v9, v11, v10
	v_lshlrev_b64 v[8:9], 3, v[8:9]
	v_mov_b32_e32 v10, s19
	v_add_co_u32_e32 v8, vcc, s18, v8
	v_addc_co_u32_e32 v9, vcc, v10, v9, vcc
	v_mul_lo_u32 v22, v7, s16
	v_mul_lo_u32 v23, v6, s17
	v_mad_u64_u32 v[10:11], s[6:7], v6, s16, 0
	v_add3_u32 v11, v11, v23, v22
	v_lshlrev_b64 v[10:11], 3, v[10:11]
	v_mov_b32_e32 v22, s19
	v_add_co_u32_e32 v10, vcc, s18, v10
	v_addc_co_u32_e32 v11, vcc, v22, v11, vcc
	s_mov_b64 s[34:35], 0
	s_mov_b64 s[42:43], s[16:17]
                                        ; implicit-def: $sgpr36_sgpr37
                                        ; implicit-def: $sgpr38_sgpr39
                                        ; implicit-def: $sgpr6_sgpr7
                                        ; implicit-def: $sgpr40_sgpr41
                                        ; implicit-def: $sgpr44_sgpr45
	s_branch .LBB507_746
.LBB507_745:                            ;   in Loop: Header=BB507_746 Depth=1
	s_or_b64 exec, exec, s[46:47]
	s_and_b64 s[8:9], exec, s[38:39]
	s_or_b64 s[34:35], s[8:9], s[34:35]
	s_andn2_b64 s[8:9], s[44:45], exec
	s_and_b64 s[44:45], s[40:41], exec
	s_or_b64 s[44:45], s[8:9], s[44:45]
	s_andn2_b64 s[8:9], s[36:37], exec
	s_and_b64 s[36:37], s[6:7], exec
	s_or_b64 s[36:37], s[8:9], s[36:37]
	s_andn2_b64 exec, exec, s[34:35]
	s_cbranch_execz .LBB507_748
.LBB507_746:                            ; =>This Inner Loop Header: Depth=1
	global_load_dwordx2 v[22:23], v[8:9], off
	global_load_dwordx2 v[34:35], v[10:11], off
	s_andn2_b64 s[46:47], s[6:7], exec
	s_andn2_b64 s[40:41], s[40:41], exec
	s_or_b64 s[38:39], s[38:39], exec
	s_waitcnt vmcnt(0)
	v_cmp_le_i64_e64 s[6:7], v[22:23], v[34:35]
	v_cmp_lt_i64_e32 vcc, v[22:23], v[34:35]
	s_and_b64 s[6:7], s[6:7], s[44:45]
	s_or_b64 s[48:49], vcc, s[6:7]
	s_and_b64 s[6:7], s[48:49], exec
	v_cmp_eq_u64_e64 s[8:9], v[22:23], v[34:35]
	s_or_b64 s[6:7], s[46:47], s[6:7]
	s_and_saveexec_b64 s[46:47], s[8:9]
	s_cbranch_execz .LBB507_745
; %bb.747:                              ;   in Loop: Header=BB507_746 Depth=1
	s_add_u32 s42, s42, -1
	s_addc_u32 s43, s43, -1
	v_add_co_u32_e32 v8, vcc, 8, v8
	s_cmp_eq_u64 s[42:43], 0
	v_addc_co_u32_e32 v9, vcc, 0, v9, vcc
	s_cselect_b64 s[8:9], -1, 0
	v_add_co_u32_e32 v10, vcc, 8, v10
	s_andn2_b64 s[40:41], s[40:41], exec
	s_and_b64 s[44:45], s[48:49], exec
	s_andn2_b64 s[38:39], s[38:39], exec
	s_and_b64 s[8:9], s[8:9], exec
	v_addc_co_u32_e32 v11, vcc, 0, v11, vcc
	s_or_b64 s[40:41], s[40:41], s[44:45]
	s_andn2_b64 s[6:7], s[6:7], exec
	s_or_b64 s[38:39], s[38:39], s[8:9]
                                        ; implicit-def: $sgpr44_sgpr45
	s_branch .LBB507_745
.LBB507_748:
	s_or_b64 exec, exec, s[34:35]
	v_cndmask_b32_e64 v7, v7, v5, s[36:37]
	v_cndmask_b32_e64 v6, v6, v4, s[36:37]
.LBB507_749:
	v_pk_mov_b32 v[4:5], v[6:7], v[6:7] op_sel:[0,1]
.LBB507_750:
	s_or_b64 exec, exec, s[30:31]
	v_pk_mov_b32 v[6:7], v[4:5], v[4:5] op_sel:[0,1]
.LBB507_751:
	s_or_b64 exec, exec, s[28:29]
	v_cndmask_b32_e64 v1, v3, v1, s[12:13]
	v_cndmask_b32_e64 v0, v2, v0, s[12:13]
	;; [unrolled: 1-line block ×6, first 2 shown]
.LBB507_752:
	s_or_b64 exec, exec, s[10:11]
	v_and_b32_e32 v23, 0x1c0, v20
	v_or_b32_e32 v8, 32, v23
	; wave barrier
	ds_write_b128 v21, v[0:3]
	ds_write_b128 v21, v[4:7] offset:16
	v_min_u32_e32 v21, v19, v8
	v_add_u32_e32 v8, 32, v21
	v_min_u32_e32 v22, v19, v8
	v_and_b32_e32 v8, 60, v20
	v_min_u32_e32 v24, v19, v8
	v_sub_u32_e32 v8, v21, v23
	v_sub_u32_e32 v9, v22, v21
	v_sub_u32_e64 v20, v24, v9 clamp
	v_min_u32_e32 v25, v24, v8
	v_lshl_add_u32 v19, v23, 3, v18
	v_cmp_lt_u32_e32 vcc, v20, v25
	; wave barrier
	s_and_saveexec_b64 s[12:13], vcc
	s_cbranch_execz .LBB507_762
; %bb.753:
	v_lshlrev_b32_e32 v8, 3, v21
	v_lshlrev_b32_e32 v9, 3, v24
	v_add3_u32 v28, v18, v8, v9
	v_cndmask_b32_e64 v8, 0, 1, s[22:23]
	s_lshl_b64 s[26:27], s[16:17], 3
	s_mov_b64 s[14:15], 0
	v_cmp_ne_u32_e64 s[6:7], 1, v8
	s_branch .LBB507_756
.LBB507_754:                            ;   in Loop: Header=BB507_756 Depth=1
	s_or_b64 exec, exec, s[30:31]
.LBB507_755:                            ;   in Loop: Header=BB507_756 Depth=1
	v_add_u32_e32 v8, 1, v29
	v_cndmask_b32_e64 v25, v25, v29, s[28:29]
	v_cndmask_b32_e64 v20, v8, v20, s[28:29]
	v_cmp_ge_u32_e32 vcc, v20, v25
	s_or_b64 s[14:15], vcc, s[14:15]
	s_andn2_b64 exec, exec, s[14:15]
	s_cbranch_execz .LBB507_761
.LBB507_756:                            ; =>This Loop Header: Depth=1
                                        ;     Child Loop BB507_759 Depth 2
	v_add_u32_e32 v8, v25, v20
	v_lshrrev_b32_e32 v29, 1, v8
	s_and_b64 vcc, exec, s[6:7]
	s_mov_b64 s[28:29], 0
	s_cbranch_vccnz .LBB507_755
; %bb.757:                              ;   in Loop: Header=BB507_756 Depth=1
	v_not_b32_e32 v8, v29
	v_lshl_add_u32 v8, v8, 3, v28
	ds_read_b64 v[8:9], v8
	v_lshl_add_u32 v30, v29, 3, v19
	ds_read_b64 v[30:31], v30
	v_pk_mov_b32 v[10:11], s[18:19], s[18:19] op_sel:[0,1]
	s_mov_b64 s[30:31], 0
	s_waitcnt lgkmcnt(1)
	v_mul_lo_u32 v32, s26, v9
	v_mul_lo_u32 v33, s27, v8
	v_mad_u64_u32 v[8:9], s[8:9], s26, v8, v[10:11]
	v_add3_u32 v9, v33, v9, v32
	s_waitcnt lgkmcnt(0)
	v_mul_lo_u32 v31, s26, v31
	v_mul_lo_u32 v32, s27, v30
	v_mad_u64_u32 v[10:11], s[8:9], s26, v30, v[10:11]
	v_add3_u32 v11, v32, v11, v31
	s_mov_b64 s[38:39], s[16:17]
                                        ; implicit-def: $sgpr28_sgpr29
                                        ; implicit-def: $sgpr34_sgpr35
                                        ; implicit-def: $sgpr36_sgpr37
                                        ; implicit-def: $sgpr8_sgpr9
                                        ; implicit-def: $sgpr40_sgpr41
	s_branch .LBB507_759
.LBB507_758:                            ;   in Loop: Header=BB507_759 Depth=2
	s_or_b64 exec, exec, s[42:43]
	s_and_b64 s[10:11], exec, s[34:35]
	s_or_b64 s[30:31], s[10:11], s[30:31]
	s_andn2_b64 s[10:11], s[40:41], exec
	s_and_b64 s[40:41], s[36:37], exec
	s_or_b64 s[40:41], s[10:11], s[40:41]
	s_andn2_b64 s[10:11], s[28:29], exec
	s_and_b64 s[28:29], s[8:9], exec
	s_or_b64 s[28:29], s[10:11], s[28:29]
	s_andn2_b64 exec, exec, s[30:31]
	s_cbranch_execz .LBB507_754
.LBB507_759:                            ;   Parent Loop BB507_756 Depth=1
                                        ; =>  This Inner Loop Header: Depth=2
	global_load_dwordx2 v[30:31], v[8:9], off
	global_load_dwordx2 v[32:33], v[10:11], off
	s_andn2_b64 s[42:43], s[8:9], exec
	s_andn2_b64 s[36:37], s[36:37], exec
	s_or_b64 s[34:35], s[34:35], exec
	s_waitcnt vmcnt(0)
	v_cmp_le_i64_e64 s[8:9], v[30:31], v[32:33]
	v_cmp_lt_i64_e32 vcc, v[30:31], v[32:33]
	s_and_b64 s[8:9], s[8:9], s[40:41]
	s_or_b64 s[44:45], vcc, s[8:9]
	s_and_b64 s[8:9], s[44:45], exec
	v_cmp_eq_u64_e64 s[10:11], v[30:31], v[32:33]
	s_or_b64 s[8:9], s[42:43], s[8:9]
	s_and_saveexec_b64 s[42:43], s[10:11]
	s_cbranch_execz .LBB507_758
; %bb.760:                              ;   in Loop: Header=BB507_759 Depth=2
	s_add_u32 s38, s38, -1
	s_addc_u32 s39, s39, -1
	v_add_co_u32_e32 v8, vcc, 8, v8
	s_cmp_eq_u64 s[38:39], 0
	v_addc_co_u32_e32 v9, vcc, 0, v9, vcc
	s_cselect_b64 s[10:11], -1, 0
	v_add_co_u32_e32 v10, vcc, 8, v10
	s_andn2_b64 s[36:37], s[36:37], exec
	s_and_b64 s[40:41], s[44:45], exec
	s_andn2_b64 s[34:35], s[34:35], exec
	s_and_b64 s[10:11], s[10:11], exec
	v_addc_co_u32_e32 v11, vcc, 0, v11, vcc
	s_andn2_b64 s[8:9], s[8:9], exec
	s_or_b64 s[36:37], s[36:37], s[40:41]
	s_or_b64 s[34:35], s[34:35], s[10:11]
                                        ; implicit-def: $sgpr40_sgpr41
	s_branch .LBB507_758
.LBB507_761:
	s_or_b64 exec, exec, s[14:15]
.LBB507_762:
	s_or_b64 exec, exec, s[12:13]
	v_add_u32_e32 v9, v21, v24
	v_add_u32_e32 v8, v20, v23
	v_sub_u32_e32 v9, v9, v20
	v_cmp_le_u32_e32 vcc, v8, v21
	v_cmp_le_u32_e64 s[6:7], v9, v22
	s_or_b64 s[6:7], vcc, s[6:7]
	s_and_saveexec_b64 s[10:11], s[6:7]
	s_cbranch_execz .LBB507_809
; %bb.763:
	v_cmp_ge_u32_e32 vcc, v8, v21
	v_cmp_lt_u32_e64 s[6:7], v8, v21
                                        ; implicit-def: $vgpr0_vgpr1
	s_and_saveexec_b64 s[8:9], s[6:7]
	s_cbranch_execz .LBB507_765
; %bb.764:
	v_lshl_add_u32 v0, v20, 3, v19
	ds_read_b64 v[0:1], v0
.LBB507_765:
	s_or_b64 exec, exec, s[8:9]
	v_cmp_ge_u32_e64 s[12:13], v9, v22
	v_cmp_lt_u32_e64 s[6:7], v9, v22
                                        ; implicit-def: $vgpr2_vgpr3
	s_and_saveexec_b64 s[8:9], s[6:7]
	s_cbranch_execz .LBB507_767
; %bb.766:
	v_lshl_add_u32 v2, v9, 3, v18
	ds_read_b64 v[2:3], v2
.LBB507_767:
	s_or_b64 exec, exec, s[8:9]
	s_or_b64 s[6:7], vcc, s[12:13]
	s_mov_b64 s[14:15], -1
	s_xor_b64 s[6:7], s[6:7], -1
	s_and_saveexec_b64 s[26:27], s[6:7]
	s_cbranch_execz .LBB507_776
; %bb.768:
	s_andn2_b64 vcc, exec, s[22:23]
	s_cbranch_vccnz .LBB507_774
; %bb.769:
	s_waitcnt lgkmcnt(0)
	v_mul_lo_u32 v6, v3, s16
	v_mul_lo_u32 v7, v2, s17
	v_mad_u64_u32 v[4:5], s[6:7], v2, s16, 0
	v_add3_u32 v5, v5, v7, v6
	v_lshlrev_b64 v[4:5], 3, v[4:5]
	v_mov_b32_e32 v6, s19
	v_add_co_u32_e32 v4, vcc, s18, v4
	v_addc_co_u32_e32 v5, vcc, v6, v5, vcc
	v_mul_lo_u32 v10, v1, s16
	v_mul_lo_u32 v11, v0, s17
	v_mad_u64_u32 v[6:7], s[6:7], v0, s16, 0
	v_add3_u32 v7, v7, v11, v10
	v_lshlrev_b64 v[6:7], 3, v[6:7]
	v_mov_b32_e32 v10, s19
	v_add_co_u32_e32 v6, vcc, s18, v6
	v_addc_co_u32_e32 v7, vcc, v10, v7, vcc
	s_mov_b64 s[28:29], 0
	s_mov_b64 s[38:39], s[16:17]
                                        ; implicit-def: $sgpr30_sgpr31
                                        ; implicit-def: $sgpr34_sgpr35
                                        ; implicit-def: $sgpr6_sgpr7
                                        ; implicit-def: $sgpr36_sgpr37
                                        ; implicit-def: $sgpr40_sgpr41
	s_branch .LBB507_771
.LBB507_770:                            ;   in Loop: Header=BB507_771 Depth=1
	s_or_b64 exec, exec, s[42:43]
	s_and_b64 s[8:9], exec, s[34:35]
	s_or_b64 s[28:29], s[8:9], s[28:29]
	s_andn2_b64 s[8:9], s[40:41], exec
	s_and_b64 s[40:41], s[36:37], exec
	s_or_b64 s[40:41], s[8:9], s[40:41]
	s_andn2_b64 s[8:9], s[30:31], exec
	s_and_b64 s[30:31], s[6:7], exec
	s_or_b64 s[30:31], s[8:9], s[30:31]
	s_andn2_b64 exec, exec, s[28:29]
	s_cbranch_execz .LBB507_773
.LBB507_771:                            ; =>This Inner Loop Header: Depth=1
	global_load_dwordx2 v[10:11], v[4:5], off
	global_load_dwordx2 v[24:25], v[6:7], off
	s_andn2_b64 s[42:43], s[6:7], exec
	s_andn2_b64 s[36:37], s[36:37], exec
	s_or_b64 s[34:35], s[34:35], exec
	s_waitcnt vmcnt(0)
	v_cmp_le_i64_e64 s[6:7], v[10:11], v[24:25]
	v_cmp_lt_i64_e32 vcc, v[10:11], v[24:25]
	s_and_b64 s[6:7], s[6:7], s[40:41]
	s_or_b64 s[44:45], vcc, s[6:7]
	s_and_b64 s[6:7], s[44:45], exec
	v_cmp_eq_u64_e64 s[8:9], v[10:11], v[24:25]
	s_or_b64 s[6:7], s[42:43], s[6:7]
	s_and_saveexec_b64 s[42:43], s[8:9]
	s_cbranch_execz .LBB507_770
; %bb.772:                              ;   in Loop: Header=BB507_771 Depth=1
	s_add_u32 s38, s38, -1
	s_addc_u32 s39, s39, -1
	v_add_co_u32_e32 v4, vcc, 8, v4
	s_cmp_eq_u64 s[38:39], 0
	v_addc_co_u32_e32 v5, vcc, 0, v5, vcc
	s_cselect_b64 s[8:9], -1, 0
	v_add_co_u32_e32 v6, vcc, 8, v6
	s_andn2_b64 s[36:37], s[36:37], exec
	s_and_b64 s[40:41], s[44:45], exec
	s_andn2_b64 s[34:35], s[34:35], exec
	s_and_b64 s[8:9], s[8:9], exec
	v_addc_co_u32_e32 v7, vcc, 0, v7, vcc
	s_or_b64 s[36:37], s[36:37], s[40:41]
	s_andn2_b64 s[6:7], s[6:7], exec
	s_or_b64 s[34:35], s[34:35], s[8:9]
                                        ; implicit-def: $sgpr40_sgpr41
	s_branch .LBB507_770
.LBB507_773:
	s_or_b64 exec, exec, s[28:29]
	s_xor_b64 s[6:7], s[30:31], -1
	s_branch .LBB507_775
.LBB507_774:
	s_mov_b64 s[6:7], -1
.LBB507_775:
	s_andn2_b64 s[8:9], s[12:13], exec
	s_and_b64 s[6:7], s[6:7], exec
	s_or_b64 s[12:13], s[8:9], s[6:7]
.LBB507_776:
	s_or_b64 exec, exec, s[26:27]
	v_cndmask_b32_e64 v4, v9, v8, s[12:13]
	v_cndmask_b32_e64 v5, v22, v21, s[12:13]
	v_add_u32_e32 v6, 1, v4
	v_add_u32_e32 v4, -1, v5
	v_min_u32_e32 v4, v6, v4
	v_lshl_add_u32 v4, v4, 3, v18
	ds_read_b64 v[4:5], v4
	v_cndmask_b32_e64 v9, v6, v9, s[12:13]
	v_cndmask_b32_e64 v8, v8, v6, s[12:13]
	v_cmp_lt_u32_e32 vcc, v9, v22
	s_waitcnt lgkmcnt(0)
	v_cndmask_b32_e64 v19, v5, v3, s[12:13]
	v_cndmask_b32_e64 v20, v4, v2, s[12:13]
	;; [unrolled: 1-line block ×4, first 2 shown]
	s_and_saveexec_b64 s[26:27], vcc
	s_cbranch_execz .LBB507_787
; %bb.777:
	v_cmp_lt_u32_e32 vcc, v8, v21
	s_mov_b64 s[6:7], 0
	s_and_saveexec_b64 s[14:15], vcc
	s_cbranch_execz .LBB507_786
; %bb.778:
	s_andn2_b64 vcc, exec, s[22:23]
	s_cbranch_vccnz .LBB507_784
; %bb.779:
	v_mul_lo_u32 v6, v19, s16
	v_mul_lo_u32 v7, v20, s17
	v_mad_u64_u32 v[4:5], s[6:7], v20, s16, 0
	v_add3_u32 v5, v5, v7, v6
	v_lshlrev_b64 v[4:5], 3, v[4:5]
	v_mov_b32_e32 v6, s19
	v_add_co_u32_e32 v4, vcc, s18, v4
	v_addc_co_u32_e32 v5, vcc, v6, v5, vcc
	v_mul_lo_u32 v10, v23, s16
	v_mul_lo_u32 v11, v24, s17
	v_mad_u64_u32 v[6:7], s[6:7], v24, s16, 0
	v_add3_u32 v7, v7, v11, v10
	v_lshlrev_b64 v[6:7], 3, v[6:7]
	v_mov_b32_e32 v10, s19
	v_add_co_u32_e32 v6, vcc, s18, v6
	v_addc_co_u32_e32 v7, vcc, v10, v7, vcc
	s_mov_b64 s[28:29], 0
	s_mov_b64 s[38:39], s[16:17]
                                        ; implicit-def: $sgpr30_sgpr31
                                        ; implicit-def: $sgpr34_sgpr35
                                        ; implicit-def: $sgpr6_sgpr7
                                        ; implicit-def: $sgpr36_sgpr37
                                        ; implicit-def: $sgpr40_sgpr41
	s_branch .LBB507_781
.LBB507_780:                            ;   in Loop: Header=BB507_781 Depth=1
	s_or_b64 exec, exec, s[42:43]
	s_and_b64 s[8:9], exec, s[34:35]
	s_or_b64 s[28:29], s[8:9], s[28:29]
	s_andn2_b64 s[8:9], s[40:41], exec
	s_and_b64 s[40:41], s[36:37], exec
	s_or_b64 s[40:41], s[8:9], s[40:41]
	s_andn2_b64 s[8:9], s[30:31], exec
	s_and_b64 s[30:31], s[6:7], exec
	s_or_b64 s[30:31], s[8:9], s[30:31]
	s_andn2_b64 exec, exec, s[28:29]
	s_cbranch_execz .LBB507_783
.LBB507_781:                            ; =>This Inner Loop Header: Depth=1
	global_load_dwordx2 v[10:11], v[4:5], off
	global_load_dwordx2 v[28:29], v[6:7], off
	s_andn2_b64 s[42:43], s[6:7], exec
	s_andn2_b64 s[36:37], s[36:37], exec
	s_or_b64 s[34:35], s[34:35], exec
	s_waitcnt vmcnt(0)
	v_cmp_le_i64_e64 s[6:7], v[10:11], v[28:29]
	v_cmp_lt_i64_e32 vcc, v[10:11], v[28:29]
	s_and_b64 s[6:7], s[6:7], s[40:41]
	s_or_b64 s[44:45], vcc, s[6:7]
	s_and_b64 s[6:7], s[44:45], exec
	v_cmp_eq_u64_e64 s[8:9], v[10:11], v[28:29]
	s_or_b64 s[6:7], s[42:43], s[6:7]
	s_and_saveexec_b64 s[42:43], s[8:9]
	s_cbranch_execz .LBB507_780
; %bb.782:                              ;   in Loop: Header=BB507_781 Depth=1
	s_add_u32 s38, s38, -1
	s_addc_u32 s39, s39, -1
	v_add_co_u32_e32 v4, vcc, 8, v4
	s_cmp_eq_u64 s[38:39], 0
	v_addc_co_u32_e32 v5, vcc, 0, v5, vcc
	s_cselect_b64 s[8:9], -1, 0
	v_add_co_u32_e32 v6, vcc, 8, v6
	s_andn2_b64 s[36:37], s[36:37], exec
	s_and_b64 s[40:41], s[44:45], exec
	s_andn2_b64 s[34:35], s[34:35], exec
	s_and_b64 s[8:9], s[8:9], exec
	v_addc_co_u32_e32 v7, vcc, 0, v7, vcc
	s_or_b64 s[36:37], s[36:37], s[40:41]
	s_andn2_b64 s[6:7], s[6:7], exec
	s_or_b64 s[34:35], s[34:35], s[8:9]
                                        ; implicit-def: $sgpr40_sgpr41
	s_branch .LBB507_780
.LBB507_783:
	s_or_b64 exec, exec, s[28:29]
	s_xor_b64 s[6:7], s[30:31], -1
	s_branch .LBB507_785
.LBB507_784:
	s_mov_b64 s[6:7], -1
.LBB507_785:
	s_and_b64 s[6:7], s[6:7], exec
.LBB507_786:
	s_or_b64 exec, exec, s[14:15]
	s_orn2_b64 s[14:15], s[6:7], exec
.LBB507_787:
	s_or_b64 exec, exec, s[26:27]
	v_cndmask_b32_e64 v4, v9, v8, s[14:15]
	v_cndmask_b32_e64 v5, v22, v21, s[14:15]
	v_add_u32_e32 v6, 1, v4
	v_add_u32_e32 v4, -1, v5
	v_min_u32_e32 v4, v6, v4
	v_lshl_add_u32 v4, v4, 3, v18
	ds_read_b64 v[4:5], v4
	v_cndmask_b32_e64 v9, v6, v9, s[14:15]
	v_cndmask_b32_e64 v8, v8, v6, s[14:15]
	v_cmp_lt_u32_e32 vcc, v9, v22
	s_mov_b64 s[26:27], -1
	s_waitcnt lgkmcnt(0)
	v_cndmask_b32_e64 v25, v5, v19, s[14:15]
	v_cndmask_b32_e64 v28, v4, v20, s[14:15]
	v_cndmask_b32_e64 v29, v23, v5, s[14:15]
	v_cndmask_b32_e64 v30, v24, v4, s[14:15]
	s_and_saveexec_b64 s[28:29], vcc
	s_cbranch_execz .LBB507_798
; %bb.788:
	v_cmp_lt_u32_e32 vcc, v8, v21
	s_mov_b64 s[6:7], 0
	s_and_saveexec_b64 s[26:27], vcc
	s_cbranch_execz .LBB507_797
; %bb.789:
	s_andn2_b64 vcc, exec, s[22:23]
	s_cbranch_vccnz .LBB507_795
; %bb.790:
	v_mul_lo_u32 v6, v25, s16
	v_mul_lo_u32 v7, v28, s17
	v_mad_u64_u32 v[4:5], s[6:7], v28, s16, 0
	v_add3_u32 v5, v5, v7, v6
	v_lshlrev_b64 v[4:5], 3, v[4:5]
	v_mov_b32_e32 v6, s19
	v_add_co_u32_e32 v4, vcc, s18, v4
	v_addc_co_u32_e32 v5, vcc, v6, v5, vcc
	v_mul_lo_u32 v10, v29, s16
	v_mul_lo_u32 v11, v30, s17
	v_mad_u64_u32 v[6:7], s[6:7], v30, s16, 0
	v_add3_u32 v7, v7, v11, v10
	v_lshlrev_b64 v[6:7], 3, v[6:7]
	v_mov_b32_e32 v10, s19
	v_add_co_u32_e32 v6, vcc, s18, v6
	v_addc_co_u32_e32 v7, vcc, v10, v7, vcc
	s_mov_b64 s[30:31], 0
	s_mov_b64 s[40:41], s[16:17]
                                        ; implicit-def: $sgpr34_sgpr35
                                        ; implicit-def: $sgpr36_sgpr37
                                        ; implicit-def: $sgpr6_sgpr7
                                        ; implicit-def: $sgpr38_sgpr39
                                        ; implicit-def: $sgpr42_sgpr43
	s_branch .LBB507_792
.LBB507_791:                            ;   in Loop: Header=BB507_792 Depth=1
	s_or_b64 exec, exec, s[44:45]
	s_and_b64 s[8:9], exec, s[36:37]
	s_or_b64 s[30:31], s[8:9], s[30:31]
	s_andn2_b64 s[8:9], s[42:43], exec
	s_and_b64 s[42:43], s[38:39], exec
	s_or_b64 s[42:43], s[8:9], s[42:43]
	s_andn2_b64 s[8:9], s[34:35], exec
	s_and_b64 s[34:35], s[6:7], exec
	s_or_b64 s[34:35], s[8:9], s[34:35]
	s_andn2_b64 exec, exec, s[30:31]
	s_cbranch_execz .LBB507_794
.LBB507_792:                            ; =>This Inner Loop Header: Depth=1
	global_load_dwordx2 v[10:11], v[4:5], off
	global_load_dwordx2 v[32:33], v[6:7], off
	s_andn2_b64 s[44:45], s[6:7], exec
	s_andn2_b64 s[38:39], s[38:39], exec
	s_or_b64 s[36:37], s[36:37], exec
	s_waitcnt vmcnt(0)
	v_cmp_le_i64_e64 s[6:7], v[10:11], v[32:33]
	v_cmp_lt_i64_e32 vcc, v[10:11], v[32:33]
	s_and_b64 s[6:7], s[6:7], s[42:43]
	s_or_b64 s[46:47], vcc, s[6:7]
	s_and_b64 s[6:7], s[46:47], exec
	v_cmp_eq_u64_e64 s[8:9], v[10:11], v[32:33]
	s_or_b64 s[6:7], s[44:45], s[6:7]
	s_and_saveexec_b64 s[44:45], s[8:9]
	s_cbranch_execz .LBB507_791
; %bb.793:                              ;   in Loop: Header=BB507_792 Depth=1
	s_add_u32 s40, s40, -1
	s_addc_u32 s41, s41, -1
	v_add_co_u32_e32 v4, vcc, 8, v4
	s_cmp_eq_u64 s[40:41], 0
	v_addc_co_u32_e32 v5, vcc, 0, v5, vcc
	s_cselect_b64 s[8:9], -1, 0
	v_add_co_u32_e32 v6, vcc, 8, v6
	s_andn2_b64 s[38:39], s[38:39], exec
	s_and_b64 s[42:43], s[46:47], exec
	s_andn2_b64 s[36:37], s[36:37], exec
	s_and_b64 s[8:9], s[8:9], exec
	v_addc_co_u32_e32 v7, vcc, 0, v7, vcc
	s_or_b64 s[38:39], s[38:39], s[42:43]
	s_andn2_b64 s[6:7], s[6:7], exec
	s_or_b64 s[36:37], s[36:37], s[8:9]
                                        ; implicit-def: $sgpr42_sgpr43
	s_branch .LBB507_791
.LBB507_794:
	s_or_b64 exec, exec, s[30:31]
	s_xor_b64 s[6:7], s[34:35], -1
	s_branch .LBB507_796
.LBB507_795:
	s_mov_b64 s[6:7], -1
.LBB507_796:
	s_and_b64 s[6:7], s[6:7], exec
.LBB507_797:
	s_or_b64 exec, exec, s[26:27]
	s_orn2_b64 s[26:27], s[6:7], exec
.LBB507_798:
	s_or_b64 exec, exec, s[28:29]
	v_cndmask_b32_e64 v4, v9, v8, s[26:27]
	v_cndmask_b32_e64 v5, v22, v21, s[26:27]
	v_add_u32_e32 v10, 1, v4
	v_add_u32_e32 v4, -1, v5
	v_min_u32_e32 v4, v10, v4
	v_lshl_add_u32 v4, v4, 3, v18
	ds_read_b64 v[4:5], v4
	v_cndmask_b32_e64 v9, v10, v9, s[26:27]
	v_cmp_lt_u32_e32 vcc, v9, v22
	s_waitcnt lgkmcnt(0)
	v_cndmask_b32_e64 v7, v29, v5, s[26:27]
	v_cndmask_b32_e64 v6, v30, v4, s[26:27]
	s_and_saveexec_b64 s[28:29], vcc
	s_cbranch_execz .LBB507_808
; %bb.799:
	v_cndmask_b32_e64 v8, v8, v10, s[26:27]
	v_cndmask_b32_e64 v5, v5, v25, s[26:27]
	;; [unrolled: 1-line block ×3, first 2 shown]
	v_cmp_lt_u32_e32 vcc, v8, v21
	s_and_saveexec_b64 s[30:31], vcc
	s_cbranch_execz .LBB507_807
; %bb.800:
	s_andn2_b64 vcc, exec, s[22:23]
	s_cbranch_vccnz .LBB507_806
; %bb.801:
	v_mul_lo_u32 v10, v5, s16
	v_mul_lo_u32 v11, v4, s17
	v_mad_u64_u32 v[8:9], s[6:7], v4, s16, 0
	v_add3_u32 v9, v9, v11, v10
	v_lshlrev_b64 v[8:9], 3, v[8:9]
	v_mov_b32_e32 v10, s19
	v_add_co_u32_e32 v8, vcc, s18, v8
	v_addc_co_u32_e32 v9, vcc, v10, v9, vcc
	v_mul_lo_u32 v18, v7, s16
	v_mul_lo_u32 v21, v6, s17
	v_mad_u64_u32 v[10:11], s[6:7], v6, s16, 0
	v_add3_u32 v11, v11, v21, v18
	v_lshlrev_b64 v[10:11], 3, v[10:11]
	v_mov_b32_e32 v18, s19
	v_add_co_u32_e32 v10, vcc, s18, v10
	v_addc_co_u32_e32 v11, vcc, v18, v11, vcc
	s_mov_b64 s[34:35], 0
	s_mov_b64 s[42:43], s[16:17]
                                        ; implicit-def: $sgpr36_sgpr37
                                        ; implicit-def: $sgpr38_sgpr39
                                        ; implicit-def: $sgpr6_sgpr7
                                        ; implicit-def: $sgpr40_sgpr41
                                        ; implicit-def: $sgpr44_sgpr45
	s_branch .LBB507_803
.LBB507_802:                            ;   in Loop: Header=BB507_803 Depth=1
	s_or_b64 exec, exec, s[46:47]
	s_and_b64 s[8:9], exec, s[38:39]
	s_or_b64 s[34:35], s[8:9], s[34:35]
	s_andn2_b64 s[8:9], s[44:45], exec
	s_and_b64 s[44:45], s[40:41], exec
	s_or_b64 s[44:45], s[8:9], s[44:45]
	s_andn2_b64 s[8:9], s[36:37], exec
	s_and_b64 s[36:37], s[6:7], exec
	s_or_b64 s[36:37], s[8:9], s[36:37]
	s_andn2_b64 exec, exec, s[34:35]
	s_cbranch_execz .LBB507_805
.LBB507_803:                            ; =>This Inner Loop Header: Depth=1
	global_load_dwordx2 v[32:33], v[8:9], off
	global_load_dwordx2 v[34:35], v[10:11], off
	s_andn2_b64 s[46:47], s[6:7], exec
	s_andn2_b64 s[40:41], s[40:41], exec
	s_or_b64 s[38:39], s[38:39], exec
	s_waitcnt vmcnt(0)
	v_cmp_le_i64_e64 s[6:7], v[32:33], v[34:35]
	v_cmp_lt_i64_e32 vcc, v[32:33], v[34:35]
	s_and_b64 s[6:7], s[6:7], s[44:45]
	s_or_b64 s[48:49], vcc, s[6:7]
	s_and_b64 s[6:7], s[48:49], exec
	v_cmp_eq_u64_e64 s[8:9], v[32:33], v[34:35]
	s_or_b64 s[6:7], s[46:47], s[6:7]
	s_and_saveexec_b64 s[46:47], s[8:9]
	s_cbranch_execz .LBB507_802
; %bb.804:                              ;   in Loop: Header=BB507_803 Depth=1
	s_add_u32 s42, s42, -1
	s_addc_u32 s43, s43, -1
	v_add_co_u32_e32 v8, vcc, 8, v8
	s_cmp_eq_u64 s[42:43], 0
	v_addc_co_u32_e32 v9, vcc, 0, v9, vcc
	s_cselect_b64 s[8:9], -1, 0
	v_add_co_u32_e32 v10, vcc, 8, v10
	s_andn2_b64 s[40:41], s[40:41], exec
	s_and_b64 s[44:45], s[48:49], exec
	s_andn2_b64 s[38:39], s[38:39], exec
	s_and_b64 s[8:9], s[8:9], exec
	v_addc_co_u32_e32 v11, vcc, 0, v11, vcc
	s_or_b64 s[40:41], s[40:41], s[44:45]
	s_andn2_b64 s[6:7], s[6:7], exec
	s_or_b64 s[38:39], s[38:39], s[8:9]
                                        ; implicit-def: $sgpr44_sgpr45
	s_branch .LBB507_802
.LBB507_805:
	s_or_b64 exec, exec, s[34:35]
	v_cndmask_b32_e64 v7, v7, v5, s[36:37]
	v_cndmask_b32_e64 v6, v6, v4, s[36:37]
.LBB507_806:
	v_pk_mov_b32 v[4:5], v[6:7], v[6:7] op_sel:[0,1]
.LBB507_807:
	s_or_b64 exec, exec, s[30:31]
	v_pk_mov_b32 v[6:7], v[4:5], v[4:5] op_sel:[0,1]
.LBB507_808:
	s_or_b64 exec, exec, s[28:29]
	v_cndmask_b32_e64 v1, v3, v1, s[12:13]
	v_cndmask_b32_e64 v0, v2, v0, s[12:13]
	;; [unrolled: 1-line block ×6, first 2 shown]
.LBB507_809:
	s_or_b64 exec, exec, s[10:11]
	s_cmpk_lt_u32 s33, 0x41
	; wave barrier
	s_waitcnt lgkmcnt(0)
	s_barrier
	s_cbranch_scc1 .LBB507_869
; %bb.810:
	v_cndmask_b32_e64 v8, 0, 1, s[22:23]
	v_lshlrev_b32_e32 v18, 3, v27
	s_lshl_b64 s[12:13], s[16:17], 3
	s_mov_b32 s52, 64
	v_cmp_ne_u32_e64 s[6:7], 1, v8
	s_branch .LBB507_816
.LBB507_811:                            ;   in Loop: Header=BB507_816 Depth=1
	s_or_b64 exec, exec, s[36:37]
	v_cndmask_b32_e64 v7, v7, v5, s[38:39]
	v_cndmask_b32_e64 v6, v6, v4, s[38:39]
.LBB507_812:                            ;   in Loop: Header=BB507_816 Depth=1
	v_pk_mov_b32 v[4:5], v[6:7], v[6:7] op_sel:[0,1]
.LBB507_813:                            ;   in Loop: Header=BB507_816 Depth=1
	s_or_b64 exec, exec, s[34:35]
	v_pk_mov_b32 v[6:7], v[4:5], v[4:5] op_sel:[0,1]
.LBB507_814:                            ;   in Loop: Header=BB507_816 Depth=1
	s_or_b64 exec, exec, s[30:31]
	v_cndmask_b32_e64 v1, v3, v1, s[22:23]
	v_cndmask_b32_e64 v0, v2, v0, s[22:23]
	;; [unrolled: 1-line block ×6, first 2 shown]
.LBB507_815:                            ;   in Loop: Header=BB507_816 Depth=1
	s_or_b64 exec, exec, s[14:15]
	s_cmp_lt_u32 s52, s33
	s_barrier
	s_cbranch_scc0 .LBB507_869
.LBB507_816:                            ; =>This Loop Header: Depth=1
                                        ;     Child Loop BB507_820 Depth 2
                                        ;       Child Loop BB507_823 Depth 3
                                        ;     Child Loop BB507_835 Depth 2
                                        ;     Child Loop BB507_845 Depth 2
                                        ;     Child Loop BB507_856 Depth 2
                                        ;     Child Loop BB507_867 Depth 2
	s_mov_b32 s8, s52
	s_lshl_b32 s52, s52, 1
	s_sub_i32 s10, 0, s52
	v_and_b32_e32 v23, s10, v27
	v_add_u32_e32 v8, s8, v23
	v_min_u32_e32 v19, s33, v8
	s_add_i32 s9, s52, -1
	v_add_u32_e32 v8, s8, v19
	v_min_u32_e32 v20, s33, v8
	v_and_b32_e32 v8, s9, v27
	v_min_u32_e32 v24, s33, v8
	v_sub_u32_e32 v8, v19, v23
	v_sub_u32_e32 v9, v20, v19
	v_sub_u32_e64 v22, v24, v9 clamp
	v_min_u32_e32 v25, v24, v8
	v_lshlrev_b32_e32 v21, 3, v23
	v_cmp_lt_u32_e32 vcc, v22, v25
	ds_write_b128 v18, v[0:3]
	ds_write_b128 v18, v[4:7] offset:16
	s_waitcnt lgkmcnt(0)
	s_barrier
	s_and_saveexec_b64 s[14:15], vcc
	s_cbranch_execz .LBB507_826
; %bb.817:                              ;   in Loop: Header=BB507_816 Depth=1
	v_lshlrev_b32_e32 v8, 3, v24
	v_lshl_add_u32 v28, v19, 3, v8
	s_mov_b64 s[22:23], 0
	s_branch .LBB507_820
.LBB507_818:                            ;   in Loop: Header=BB507_820 Depth=2
	s_or_b64 exec, exec, s[28:29]
.LBB507_819:                            ;   in Loop: Header=BB507_820 Depth=2
	v_add_u32_e32 v8, 1, v29
	v_cndmask_b32_e64 v25, v25, v29, s[26:27]
	v_cndmask_b32_e64 v22, v8, v22, s[26:27]
	v_cmp_ge_u32_e32 vcc, v22, v25
	s_or_b64 s[22:23], vcc, s[22:23]
	s_andn2_b64 exec, exec, s[22:23]
	s_cbranch_execz .LBB507_825
.LBB507_820:                            ;   Parent Loop BB507_816 Depth=1
                                        ; =>  This Loop Header: Depth=2
                                        ;       Child Loop BB507_823 Depth 3
	v_add_u32_e32 v8, v25, v22
	v_lshrrev_b32_e32 v29, 1, v8
	s_and_b64 vcc, exec, s[6:7]
	s_mov_b64 s[26:27], 0
	s_cbranch_vccnz .LBB507_819
; %bb.821:                              ;   in Loop: Header=BB507_820 Depth=2
	v_not_b32_e32 v8, v29
	v_lshl_add_u32 v8, v8, 3, v28
	ds_read_b64 v[8:9], v8
	v_lshl_add_u32 v30, v29, 3, v21
	ds_read_b64 v[30:31], v30
	v_pk_mov_b32 v[10:11], s[18:19], s[18:19] op_sel:[0,1]
	s_mov_b64 s[28:29], 0
	s_waitcnt lgkmcnt(1)
	v_mul_lo_u32 v32, s12, v9
	v_mul_lo_u32 v33, s13, v8
	v_mad_u64_u32 v[8:9], s[8:9], s12, v8, v[10:11]
	v_add3_u32 v9, v33, v9, v32
	s_waitcnt lgkmcnt(0)
	v_mul_lo_u32 v31, s12, v31
	v_mul_lo_u32 v32, s13, v30
	v_mad_u64_u32 v[10:11], s[8:9], s12, v30, v[10:11]
	v_add3_u32 v11, v32, v11, v31
	s_mov_b64 s[36:37], s[16:17]
                                        ; implicit-def: $sgpr26_sgpr27
                                        ; implicit-def: $sgpr30_sgpr31
                                        ; implicit-def: $sgpr34_sgpr35
                                        ; implicit-def: $sgpr8_sgpr9
                                        ; implicit-def: $sgpr38_sgpr39
	s_branch .LBB507_823
.LBB507_822:                            ;   in Loop: Header=BB507_823 Depth=3
	s_or_b64 exec, exec, s[40:41]
	s_and_b64 s[10:11], exec, s[30:31]
	s_or_b64 s[28:29], s[10:11], s[28:29]
	s_andn2_b64 s[10:11], s[38:39], exec
	s_and_b64 s[38:39], s[34:35], exec
	s_or_b64 s[38:39], s[10:11], s[38:39]
	s_andn2_b64 s[10:11], s[26:27], exec
	s_and_b64 s[26:27], s[8:9], exec
	s_or_b64 s[26:27], s[10:11], s[26:27]
	s_andn2_b64 exec, exec, s[28:29]
	s_cbranch_execz .LBB507_818
.LBB507_823:                            ;   Parent Loop BB507_816 Depth=1
                                        ;     Parent Loop BB507_820 Depth=2
                                        ; =>    This Inner Loop Header: Depth=3
	global_load_dwordx2 v[30:31], v[8:9], off
	global_load_dwordx2 v[32:33], v[10:11], off
	s_andn2_b64 s[40:41], s[8:9], exec
	s_andn2_b64 s[34:35], s[34:35], exec
	s_or_b64 s[30:31], s[30:31], exec
	s_waitcnt vmcnt(0)
	v_cmp_le_i64_e64 s[8:9], v[30:31], v[32:33]
	v_cmp_lt_i64_e32 vcc, v[30:31], v[32:33]
	s_and_b64 s[8:9], s[8:9], s[38:39]
	s_or_b64 s[42:43], vcc, s[8:9]
	s_and_b64 s[8:9], s[42:43], exec
	v_cmp_eq_u64_e64 s[10:11], v[30:31], v[32:33]
	s_or_b64 s[8:9], s[40:41], s[8:9]
	s_and_saveexec_b64 s[40:41], s[10:11]
	s_cbranch_execz .LBB507_822
; %bb.824:                              ;   in Loop: Header=BB507_823 Depth=3
	s_add_u32 s36, s36, -1
	s_addc_u32 s37, s37, -1
	v_add_co_u32_e32 v8, vcc, 8, v8
	s_cmp_eq_u64 s[36:37], 0
	v_addc_co_u32_e32 v9, vcc, 0, v9, vcc
	s_cselect_b64 s[10:11], -1, 0
	v_add_co_u32_e32 v10, vcc, 8, v10
	s_andn2_b64 s[34:35], s[34:35], exec
	s_and_b64 s[38:39], s[42:43], exec
	s_andn2_b64 s[30:31], s[30:31], exec
	s_and_b64 s[10:11], s[10:11], exec
	v_addc_co_u32_e32 v11, vcc, 0, v11, vcc
	s_andn2_b64 s[8:9], s[8:9], exec
	s_or_b64 s[34:35], s[34:35], s[38:39]
	s_or_b64 s[30:31], s[30:31], s[10:11]
                                        ; implicit-def: $sgpr38_sgpr39
	s_branch .LBB507_822
.LBB507_825:                            ;   in Loop: Header=BB507_816 Depth=1
	s_or_b64 exec, exec, s[22:23]
.LBB507_826:                            ;   in Loop: Header=BB507_816 Depth=1
	s_or_b64 exec, exec, s[14:15]
	v_sub_u32_e32 v9, v24, v22
	v_add_u32_e32 v8, v22, v23
	v_add_u32_e32 v9, v9, v19
	v_cmp_le_u32_e32 vcc, v8, v19
	v_cmp_le_u32_e64 s[8:9], v9, v20
	s_or_b64 s[8:9], vcc, s[8:9]
	s_and_saveexec_b64 s[14:15], s[8:9]
	s_cbranch_execz .LBB507_815
; %bb.827:                              ;   in Loop: Header=BB507_816 Depth=1
	v_cmp_ge_u32_e32 vcc, v8, v19
	v_cmp_lt_u32_e64 s[8:9], v8, v19
                                        ; implicit-def: $vgpr0_vgpr1
	s_and_saveexec_b64 s[10:11], s[8:9]
	s_cbranch_execz .LBB507_829
; %bb.828:                              ;   in Loop: Header=BB507_816 Depth=1
	v_lshl_add_u32 v0, v22, 3, v21
	ds_read_b64 v[0:1], v0
.LBB507_829:                            ;   in Loop: Header=BB507_816 Depth=1
	s_or_b64 exec, exec, s[10:11]
	v_cmp_ge_u32_e64 s[22:23], v9, v20
	v_cmp_lt_u32_e64 s[8:9], v9, v20
                                        ; implicit-def: $vgpr2_vgpr3
	s_and_saveexec_b64 s[10:11], s[8:9]
	s_cbranch_execz .LBB507_831
; %bb.830:                              ;   in Loop: Header=BB507_816 Depth=1
	v_lshlrev_b32_e32 v2, 3, v9
	ds_read_b64 v[2:3], v2
.LBB507_831:                            ;   in Loop: Header=BB507_816 Depth=1
	s_or_b64 exec, exec, s[10:11]
	s_or_b64 s[8:9], vcc, s[22:23]
	s_xor_b64 s[8:9], s[8:9], -1
	s_and_saveexec_b64 s[26:27], s[8:9]
	s_cbranch_execz .LBB507_840
; %bb.832:                              ;   in Loop: Header=BB507_816 Depth=1
	s_and_b64 vcc, exec, s[6:7]
	s_cbranch_vccnz .LBB507_838
; %bb.833:                              ;   in Loop: Header=BB507_816 Depth=1
	v_pk_mov_b32 v[6:7], s[18:19], s[18:19] op_sel:[0,1]
	s_waitcnt lgkmcnt(0)
	v_mad_u64_u32 v[4:5], s[8:9], s12, v2, v[6:7]
	v_mul_lo_u32 v10, s12, v3
	v_mul_lo_u32 v11, s13, v2
	v_add3_u32 v5, v11, v5, v10
	v_mad_u64_u32 v[6:7], s[8:9], s12, v0, v[6:7]
	v_mul_lo_u32 v10, s12, v1
	v_mul_lo_u32 v11, s13, v0
	v_add3_u32 v7, v11, v7, v10
	s_mov_b64 s[28:29], 0
	s_mov_b64 s[38:39], s[16:17]
                                        ; implicit-def: $sgpr30_sgpr31
                                        ; implicit-def: $sgpr34_sgpr35
                                        ; implicit-def: $sgpr8_sgpr9
                                        ; implicit-def: $sgpr36_sgpr37
                                        ; implicit-def: $sgpr40_sgpr41
	s_branch .LBB507_835
.LBB507_834:                            ;   in Loop: Header=BB507_835 Depth=2
	s_or_b64 exec, exec, s[42:43]
	s_and_b64 s[10:11], exec, s[34:35]
	s_or_b64 s[28:29], s[10:11], s[28:29]
	s_andn2_b64 s[10:11], s[40:41], exec
	s_and_b64 s[40:41], s[36:37], exec
	s_or_b64 s[40:41], s[10:11], s[40:41]
	s_andn2_b64 s[10:11], s[30:31], exec
	s_and_b64 s[30:31], s[8:9], exec
	s_or_b64 s[30:31], s[10:11], s[30:31]
	s_andn2_b64 exec, exec, s[28:29]
	s_cbranch_execz .LBB507_837
.LBB507_835:                            ;   Parent Loop BB507_816 Depth=1
                                        ; =>  This Inner Loop Header: Depth=2
	global_load_dwordx2 v[10:11], v[4:5], off
	global_load_dwordx2 v[22:23], v[6:7], off
	s_andn2_b64 s[42:43], s[8:9], exec
	s_andn2_b64 s[36:37], s[36:37], exec
	s_or_b64 s[34:35], s[34:35], exec
	s_waitcnt vmcnt(0)
	v_cmp_le_i64_e64 s[8:9], v[10:11], v[22:23]
	v_cmp_lt_i64_e32 vcc, v[10:11], v[22:23]
	s_and_b64 s[8:9], s[8:9], s[40:41]
	s_or_b64 s[44:45], vcc, s[8:9]
	s_and_b64 s[8:9], s[44:45], exec
	v_cmp_eq_u64_e64 s[10:11], v[10:11], v[22:23]
	s_or_b64 s[8:9], s[42:43], s[8:9]
	s_and_saveexec_b64 s[42:43], s[10:11]
	s_cbranch_execz .LBB507_834
; %bb.836:                              ;   in Loop: Header=BB507_835 Depth=2
	s_add_u32 s38, s38, -1
	s_addc_u32 s39, s39, -1
	v_add_co_u32_e32 v4, vcc, 8, v4
	s_cmp_eq_u64 s[38:39], 0
	v_addc_co_u32_e32 v5, vcc, 0, v5, vcc
	s_cselect_b64 s[10:11], -1, 0
	v_add_co_u32_e32 v6, vcc, 8, v6
	s_andn2_b64 s[36:37], s[36:37], exec
	s_and_b64 s[40:41], s[44:45], exec
	s_andn2_b64 s[34:35], s[34:35], exec
	s_and_b64 s[10:11], s[10:11], exec
	v_addc_co_u32_e32 v7, vcc, 0, v7, vcc
	s_or_b64 s[36:37], s[36:37], s[40:41]
	s_andn2_b64 s[8:9], s[8:9], exec
	s_or_b64 s[34:35], s[34:35], s[10:11]
                                        ; implicit-def: $sgpr40_sgpr41
	s_branch .LBB507_834
.LBB507_837:                            ;   in Loop: Header=BB507_816 Depth=1
	s_or_b64 exec, exec, s[28:29]
	s_xor_b64 s[8:9], s[30:31], -1
	s_branch .LBB507_839
.LBB507_838:                            ;   in Loop: Header=BB507_816 Depth=1
	s_mov_b64 s[8:9], -1
.LBB507_839:                            ;   in Loop: Header=BB507_816 Depth=1
	s_andn2_b64 s[10:11], s[22:23], exec
	s_and_b64 s[8:9], s[8:9], exec
	s_or_b64 s[22:23], s[10:11], s[8:9]
.LBB507_840:                            ;   in Loop: Header=BB507_816 Depth=1
	s_or_b64 exec, exec, s[26:27]
	v_cndmask_b32_e64 v4, v9, v8, s[22:23]
	v_cndmask_b32_e64 v5, v20, v19, s[22:23]
	v_add_u32_e32 v6, 1, v4
	v_add_u32_e32 v4, -1, v5
	v_min_u32_e32 v4, v6, v4
	v_lshlrev_b32_e32 v4, 3, v4
	ds_read_b64 v[4:5], v4
	v_cndmask_b32_e64 v9, v6, v9, s[22:23]
	v_cndmask_b32_e64 v8, v8, v6, s[22:23]
	v_cmp_lt_u32_e32 vcc, v9, v20
	s_mov_b64 s[26:27], -1
	s_waitcnt lgkmcnt(0)
	v_cndmask_b32_e64 v21, v5, v3, s[22:23]
	v_cndmask_b32_e64 v22, v4, v2, s[22:23]
	;; [unrolled: 1-line block ×4, first 2 shown]
	s_mov_b64 s[28:29], -1
	s_and_saveexec_b64 s[30:31], vcc
	s_cbranch_execz .LBB507_851
; %bb.841:                              ;   in Loop: Header=BB507_816 Depth=1
	v_cmp_lt_u32_e32 vcc, v8, v19
	s_mov_b64 s[8:9], 0
	s_and_saveexec_b64 s[28:29], vcc
	s_cbranch_execz .LBB507_850
; %bb.842:                              ;   in Loop: Header=BB507_816 Depth=1
	s_and_b64 vcc, exec, s[6:7]
	s_cbranch_vccnz .LBB507_848
; %bb.843:                              ;   in Loop: Header=BB507_816 Depth=1
	v_pk_mov_b32 v[6:7], s[18:19], s[18:19] op_sel:[0,1]
	v_mad_u64_u32 v[4:5], s[8:9], s12, v22, v[6:7]
	v_mul_lo_u32 v10, s12, v21
	v_mul_lo_u32 v11, s13, v22
	v_add3_u32 v5, v11, v5, v10
	v_mad_u64_u32 v[6:7], s[8:9], s12, v24, v[6:7]
	v_mul_lo_u32 v10, s12, v23
	v_mul_lo_u32 v11, s13, v24
	v_add3_u32 v7, v11, v7, v10
	s_mov_b64 s[34:35], 0
	s_mov_b64 s[42:43], s[16:17]
                                        ; implicit-def: $sgpr36_sgpr37
                                        ; implicit-def: $sgpr38_sgpr39
                                        ; implicit-def: $sgpr8_sgpr9
                                        ; implicit-def: $sgpr40_sgpr41
                                        ; implicit-def: $sgpr44_sgpr45
	s_branch .LBB507_845
.LBB507_844:                            ;   in Loop: Header=BB507_845 Depth=2
	s_or_b64 exec, exec, s[46:47]
	s_and_b64 s[10:11], exec, s[38:39]
	s_or_b64 s[34:35], s[10:11], s[34:35]
	s_andn2_b64 s[10:11], s[44:45], exec
	s_and_b64 s[44:45], s[40:41], exec
	s_or_b64 s[44:45], s[10:11], s[44:45]
	s_andn2_b64 s[10:11], s[36:37], exec
	s_and_b64 s[36:37], s[8:9], exec
	s_or_b64 s[36:37], s[10:11], s[36:37]
	s_andn2_b64 exec, exec, s[34:35]
	s_cbranch_execz .LBB507_847
.LBB507_845:                            ;   Parent Loop BB507_816 Depth=1
                                        ; =>  This Inner Loop Header: Depth=2
	global_load_dwordx2 v[10:11], v[4:5], off
	global_load_dwordx2 v[28:29], v[6:7], off
	s_andn2_b64 s[46:47], s[8:9], exec
	s_andn2_b64 s[40:41], s[40:41], exec
	s_or_b64 s[38:39], s[38:39], exec
	s_waitcnt vmcnt(0)
	v_cmp_le_i64_e64 s[8:9], v[10:11], v[28:29]
	v_cmp_lt_i64_e32 vcc, v[10:11], v[28:29]
	s_and_b64 s[8:9], s[8:9], s[44:45]
	s_or_b64 s[48:49], vcc, s[8:9]
	s_and_b64 s[8:9], s[48:49], exec
	v_cmp_eq_u64_e64 s[10:11], v[10:11], v[28:29]
	s_or_b64 s[8:9], s[46:47], s[8:9]
	s_and_saveexec_b64 s[46:47], s[10:11]
	s_cbranch_execz .LBB507_844
; %bb.846:                              ;   in Loop: Header=BB507_845 Depth=2
	s_add_u32 s42, s42, -1
	s_addc_u32 s43, s43, -1
	v_add_co_u32_e32 v4, vcc, 8, v4
	s_cmp_eq_u64 s[42:43], 0
	v_addc_co_u32_e32 v5, vcc, 0, v5, vcc
	s_cselect_b64 s[10:11], -1, 0
	v_add_co_u32_e32 v6, vcc, 8, v6
	s_andn2_b64 s[40:41], s[40:41], exec
	s_and_b64 s[44:45], s[48:49], exec
	s_andn2_b64 s[38:39], s[38:39], exec
	s_and_b64 s[10:11], s[10:11], exec
	v_addc_co_u32_e32 v7, vcc, 0, v7, vcc
	s_or_b64 s[40:41], s[40:41], s[44:45]
	s_andn2_b64 s[8:9], s[8:9], exec
	s_or_b64 s[38:39], s[38:39], s[10:11]
                                        ; implicit-def: $sgpr44_sgpr45
	s_branch .LBB507_844
.LBB507_847:                            ;   in Loop: Header=BB507_816 Depth=1
	s_or_b64 exec, exec, s[34:35]
	s_xor_b64 s[8:9], s[36:37], -1
	s_branch .LBB507_849
.LBB507_848:                            ;   in Loop: Header=BB507_816 Depth=1
	s_mov_b64 s[8:9], -1
.LBB507_849:                            ;   in Loop: Header=BB507_816 Depth=1
	s_and_b64 s[8:9], s[8:9], exec
.LBB507_850:                            ;   in Loop: Header=BB507_816 Depth=1
	s_or_b64 exec, exec, s[28:29]
	s_orn2_b64 s[28:29], s[8:9], exec
.LBB507_851:                            ;   in Loop: Header=BB507_816 Depth=1
	s_or_b64 exec, exec, s[30:31]
	v_cndmask_b32_e64 v4, v9, v8, s[28:29]
	v_cndmask_b32_e64 v5, v20, v19, s[28:29]
	v_add_u32_e32 v6, 1, v4
	v_add_u32_e32 v4, -1, v5
	v_min_u32_e32 v4, v6, v4
	v_lshlrev_b32_e32 v4, 3, v4
	ds_read_b64 v[4:5], v4
	v_cndmask_b32_e64 v9, v6, v9, s[28:29]
	v_cndmask_b32_e64 v8, v8, v6, s[28:29]
	v_cmp_lt_u32_e32 vcc, v9, v20
	s_waitcnt lgkmcnt(0)
	v_cndmask_b32_e64 v25, v5, v21, s[28:29]
	v_cndmask_b32_e64 v28, v4, v22, s[28:29]
	;; [unrolled: 1-line block ×4, first 2 shown]
	s_and_saveexec_b64 s[30:31], vcc
	s_cbranch_execz .LBB507_862
; %bb.852:                              ;   in Loop: Header=BB507_816 Depth=1
	v_cmp_lt_u32_e32 vcc, v8, v19
	s_mov_b64 s[8:9], 0
	s_and_saveexec_b64 s[26:27], vcc
	s_cbranch_execz .LBB507_861
; %bb.853:                              ;   in Loop: Header=BB507_816 Depth=1
	s_and_b64 vcc, exec, s[6:7]
	s_cbranch_vccnz .LBB507_859
; %bb.854:                              ;   in Loop: Header=BB507_816 Depth=1
	v_pk_mov_b32 v[6:7], s[18:19], s[18:19] op_sel:[0,1]
	v_mad_u64_u32 v[4:5], s[8:9], s12, v28, v[6:7]
	v_mul_lo_u32 v10, s12, v25
	v_mul_lo_u32 v11, s13, v28
	v_add3_u32 v5, v11, v5, v10
	v_mad_u64_u32 v[6:7], s[8:9], s12, v30, v[6:7]
	v_mul_lo_u32 v10, s12, v29
	v_mul_lo_u32 v11, s13, v30
	v_add3_u32 v7, v11, v7, v10
	s_mov_b64 s[34:35], 0
	s_mov_b64 s[42:43], s[16:17]
                                        ; implicit-def: $sgpr36_sgpr37
                                        ; implicit-def: $sgpr38_sgpr39
                                        ; implicit-def: $sgpr8_sgpr9
                                        ; implicit-def: $sgpr40_sgpr41
                                        ; implicit-def: $sgpr44_sgpr45
	s_branch .LBB507_856
.LBB507_855:                            ;   in Loop: Header=BB507_856 Depth=2
	s_or_b64 exec, exec, s[46:47]
	s_and_b64 s[10:11], exec, s[38:39]
	s_or_b64 s[34:35], s[10:11], s[34:35]
	s_andn2_b64 s[10:11], s[44:45], exec
	s_and_b64 s[44:45], s[40:41], exec
	s_or_b64 s[44:45], s[10:11], s[44:45]
	s_andn2_b64 s[10:11], s[36:37], exec
	s_and_b64 s[36:37], s[8:9], exec
	s_or_b64 s[36:37], s[10:11], s[36:37]
	s_andn2_b64 exec, exec, s[34:35]
	s_cbranch_execz .LBB507_858
.LBB507_856:                            ;   Parent Loop BB507_816 Depth=1
                                        ; =>  This Inner Loop Header: Depth=2
	global_load_dwordx2 v[10:11], v[4:5], off
	global_load_dwordx2 v[32:33], v[6:7], off
	s_andn2_b64 s[46:47], s[8:9], exec
	s_andn2_b64 s[40:41], s[40:41], exec
	s_or_b64 s[38:39], s[38:39], exec
	s_waitcnt vmcnt(0)
	v_cmp_le_i64_e64 s[8:9], v[10:11], v[32:33]
	v_cmp_lt_i64_e32 vcc, v[10:11], v[32:33]
	s_and_b64 s[8:9], s[8:9], s[44:45]
	s_or_b64 s[48:49], vcc, s[8:9]
	s_and_b64 s[8:9], s[48:49], exec
	v_cmp_eq_u64_e64 s[10:11], v[10:11], v[32:33]
	s_or_b64 s[8:9], s[46:47], s[8:9]
	s_and_saveexec_b64 s[46:47], s[10:11]
	s_cbranch_execz .LBB507_855
; %bb.857:                              ;   in Loop: Header=BB507_856 Depth=2
	s_add_u32 s42, s42, -1
	s_addc_u32 s43, s43, -1
	v_add_co_u32_e32 v4, vcc, 8, v4
	s_cmp_eq_u64 s[42:43], 0
	v_addc_co_u32_e32 v5, vcc, 0, v5, vcc
	s_cselect_b64 s[10:11], -1, 0
	v_add_co_u32_e32 v6, vcc, 8, v6
	s_andn2_b64 s[40:41], s[40:41], exec
	s_and_b64 s[44:45], s[48:49], exec
	s_andn2_b64 s[38:39], s[38:39], exec
	s_and_b64 s[10:11], s[10:11], exec
	v_addc_co_u32_e32 v7, vcc, 0, v7, vcc
	s_or_b64 s[40:41], s[40:41], s[44:45]
	s_andn2_b64 s[8:9], s[8:9], exec
	s_or_b64 s[38:39], s[38:39], s[10:11]
                                        ; implicit-def: $sgpr44_sgpr45
	s_branch .LBB507_855
.LBB507_858:                            ;   in Loop: Header=BB507_816 Depth=1
	s_or_b64 exec, exec, s[34:35]
	s_xor_b64 s[8:9], s[36:37], -1
	s_branch .LBB507_860
.LBB507_859:                            ;   in Loop: Header=BB507_816 Depth=1
	s_mov_b64 s[8:9], -1
.LBB507_860:                            ;   in Loop: Header=BB507_816 Depth=1
	s_and_b64 s[8:9], s[8:9], exec
.LBB507_861:                            ;   in Loop: Header=BB507_816 Depth=1
	s_or_b64 exec, exec, s[26:27]
	s_orn2_b64 s[26:27], s[8:9], exec
.LBB507_862:                            ;   in Loop: Header=BB507_816 Depth=1
	s_or_b64 exec, exec, s[30:31]
	v_cndmask_b32_e64 v4, v9, v8, s[26:27]
	v_cndmask_b32_e64 v5, v20, v19, s[26:27]
	v_add_u32_e32 v10, 1, v4
	v_add_u32_e32 v4, -1, v5
	v_min_u32_e32 v4, v10, v4
	v_lshlrev_b32_e32 v4, 3, v4
	ds_read_b64 v[4:5], v4
	v_cndmask_b32_e64 v9, v10, v9, s[26:27]
	v_cmp_lt_u32_e32 vcc, v9, v20
	s_waitcnt lgkmcnt(0)
	v_cndmask_b32_e64 v7, v29, v5, s[26:27]
	v_cndmask_b32_e64 v6, v30, v4, s[26:27]
	s_and_saveexec_b64 s[30:31], vcc
	s_cbranch_execz .LBB507_814
; %bb.863:                              ;   in Loop: Header=BB507_816 Depth=1
	v_cndmask_b32_e64 v8, v8, v10, s[26:27]
	v_cndmask_b32_e64 v5, v5, v25, s[26:27]
	;; [unrolled: 1-line block ×3, first 2 shown]
	v_cmp_lt_u32_e32 vcc, v8, v19
	s_and_saveexec_b64 s[34:35], vcc
	s_cbranch_execz .LBB507_813
; %bb.864:                              ;   in Loop: Header=BB507_816 Depth=1
	s_and_b64 vcc, exec, s[6:7]
	s_cbranch_vccnz .LBB507_812
; %bb.865:                              ;   in Loop: Header=BB507_816 Depth=1
	v_pk_mov_b32 v[10:11], s[18:19], s[18:19] op_sel:[0,1]
	v_mad_u64_u32 v[8:9], s[8:9], s12, v4, v[10:11]
	v_mul_lo_u32 v19, s12, v5
	v_mul_lo_u32 v20, s13, v4
	v_add3_u32 v9, v20, v9, v19
	v_mad_u64_u32 v[10:11], s[8:9], s12, v6, v[10:11]
	v_mul_lo_u32 v19, s12, v7
	v_mul_lo_u32 v20, s13, v6
	v_add3_u32 v11, v20, v11, v19
	s_mov_b64 s[36:37], 0
	s_mov_b64 s[44:45], s[16:17]
                                        ; implicit-def: $sgpr38_sgpr39
                                        ; implicit-def: $sgpr40_sgpr41
                                        ; implicit-def: $sgpr8_sgpr9
                                        ; implicit-def: $sgpr42_sgpr43
                                        ; implicit-def: $sgpr46_sgpr47
	s_branch .LBB507_867
.LBB507_866:                            ;   in Loop: Header=BB507_867 Depth=2
	s_or_b64 exec, exec, s[48:49]
	s_and_b64 s[10:11], exec, s[40:41]
	s_or_b64 s[36:37], s[10:11], s[36:37]
	s_andn2_b64 s[10:11], s[46:47], exec
	s_and_b64 s[46:47], s[42:43], exec
	s_or_b64 s[46:47], s[10:11], s[46:47]
	s_andn2_b64 s[10:11], s[38:39], exec
	s_and_b64 s[38:39], s[8:9], exec
	s_or_b64 s[38:39], s[10:11], s[38:39]
	s_andn2_b64 exec, exec, s[36:37]
	s_cbranch_execz .LBB507_811
.LBB507_867:                            ;   Parent Loop BB507_816 Depth=1
                                        ; =>  This Inner Loop Header: Depth=2
	global_load_dwordx2 v[32:33], v[8:9], off
	global_load_dwordx2 v[34:35], v[10:11], off
	s_andn2_b64 s[48:49], s[8:9], exec
	s_andn2_b64 s[42:43], s[42:43], exec
	s_or_b64 s[40:41], s[40:41], exec
	s_waitcnt vmcnt(0)
	v_cmp_le_i64_e64 s[8:9], v[32:33], v[34:35]
	v_cmp_lt_i64_e32 vcc, v[32:33], v[34:35]
	s_and_b64 s[8:9], s[8:9], s[46:47]
	s_or_b64 s[50:51], vcc, s[8:9]
	s_and_b64 s[8:9], s[50:51], exec
	v_cmp_eq_u64_e64 s[10:11], v[32:33], v[34:35]
	s_or_b64 s[8:9], s[48:49], s[8:9]
	s_and_saveexec_b64 s[48:49], s[10:11]
	s_cbranch_execz .LBB507_866
; %bb.868:                              ;   in Loop: Header=BB507_867 Depth=2
	s_add_u32 s44, s44, -1
	s_addc_u32 s45, s45, -1
	v_add_co_u32_e32 v8, vcc, 8, v8
	s_cmp_eq_u64 s[44:45], 0
	v_addc_co_u32_e32 v9, vcc, 0, v9, vcc
	s_cselect_b64 s[10:11], -1, 0
	v_add_co_u32_e32 v10, vcc, 8, v10
	s_andn2_b64 s[42:43], s[42:43], exec
	s_and_b64 s[46:47], s[50:51], exec
	s_andn2_b64 s[40:41], s[40:41], exec
	s_and_b64 s[10:11], s[10:11], exec
	v_addc_co_u32_e32 v11, vcc, 0, v11, vcc
	s_or_b64 s[42:43], s[42:43], s[46:47]
	s_andn2_b64 s[8:9], s[8:9], exec
	s_or_b64 s[40:41], s[40:41], s[10:11]
                                        ; implicit-def: $sgpr46_sgpr47
	s_branch .LBB507_866
.LBB507_869:
	s_barrier
	ds_write2_b64 v17, v[0:1], v[2:3] offset1:1
	ds_write2_b64 v17, v[4:5], v[6:7] offset0:2 offset1:3
	s_waitcnt lgkmcnt(0)
	s_barrier
	ds_read_b64 v[6:7], v13 offset:2048
	ds_read_b64 v[2:3], v15 offset:4096
	;; [unrolled: 1-line block ×3, first 2 shown]
	v_mov_b32_e32 v5, s21
	v_add_co_u32_e32 v4, vcc, s20, v26
	v_mov_b32_e32 v13, 0
	v_addc_co_u32_e32 v5, vcc, 0, v5, vcc
	s_and_saveexec_b64 s[6:7], s[0:1]
	s_cbranch_execnz .LBB507_877
; %bb.870:
	s_or_b64 exec, exec, s[6:7]
	s_and_saveexec_b64 s[0:1], s[2:3]
	s_cbranch_execnz .LBB507_878
.LBB507_871:
	s_or_b64 exec, exec, s[0:1]
	s_and_saveexec_b64 s[0:1], s[4:5]
	s_cbranch_execz .LBB507_873
.LBB507_872:
	v_add_co_u32_e32 v4, vcc, 0x1000, v4
	v_addc_co_u32_e32 v5, vcc, 0, v5, vcc
	s_waitcnt lgkmcnt(1)
	global_store_dwordx2 v[4:5], v[2:3], off
.LBB507_873:
	s_or_b64 exec, exec, s[0:1]
.LBB507_874:
	s_and_saveexec_b64 s[0:1], s[24:25]
	s_cbranch_execz .LBB507_876
; %bb.875:
	s_waitcnt lgkmcnt(1)
	v_lshlrev_b64 v[2:3], 3, v[12:13]
	v_mov_b32_e32 v4, s21
	v_add_co_u32_e32 v2, vcc, s20, v2
	v_addc_co_u32_e32 v3, vcc, v4, v3, vcc
	v_add_co_u32_e32 v2, vcc, 0x1000, v2
	v_addc_co_u32_e32 v3, vcc, 0, v3, vcc
	s_waitcnt lgkmcnt(0)
	global_store_dwordx2 v[2:3], v[0:1], off offset:2048
.LBB507_876:
	s_endpgm
.LBB507_877:
	ds_read_b64 v[8:9], v14
	s_waitcnt lgkmcnt(0)
	global_store_dwordx2 v[4:5], v[8:9], off
	s_or_b64 exec, exec, s[6:7]
	s_and_saveexec_b64 s[0:1], s[2:3]
	s_cbranch_execz .LBB507_871
.LBB507_878:
	s_waitcnt lgkmcnt(2)
	global_store_dwordx2 v[4:5], v[6:7], off offset:2048
	s_or_b64 exec, exec, s[0:1]
	s_and_saveexec_b64 s[0:1], s[4:5]
	s_cbranch_execnz .LBB507_872
	s_branch .LBB507_873
	.section	.rodata,"a",@progbits
	.p2align	6, 0x0
	.amdhsa_kernel _ZN7rocprim17ROCPRIM_400000_NS6detail17trampoline_kernelINS0_14default_configENS1_37merge_sort_block_sort_config_selectorIlNS0_10empty_typeEEEZNS1_21merge_sort_block_sortIS3_PlS8_PS5_S9_ZN2at6native12_GLOBAL__N_124unique_dim_cuda_templateIlEESt5tupleIJNSA_6TensorESF_SF_EERKSF_lbbbEUlllE_EE10hipError_tT0_T1_T2_T3_mRjT4_P12ihipStream_tbNS1_7vsmem_tEEUlT_E_NS1_11comp_targetILNS1_3genE4ELNS1_11target_archE910ELNS1_3gpuE8ELNS1_3repE0EEENS1_30default_config_static_selectorELNS0_4arch9wavefront6targetE1EEEvSM_
		.amdhsa_group_segment_fixed_size 8448
		.amdhsa_private_segment_fixed_size 0
		.amdhsa_kernarg_size 328
		.amdhsa_user_sgpr_count 6
		.amdhsa_user_sgpr_private_segment_buffer 1
		.amdhsa_user_sgpr_dispatch_ptr 0
		.amdhsa_user_sgpr_queue_ptr 0
		.amdhsa_user_sgpr_kernarg_segment_ptr 1
		.amdhsa_user_sgpr_dispatch_id 0
		.amdhsa_user_sgpr_flat_scratch_init 0
		.amdhsa_user_sgpr_kernarg_preload_length 0
		.amdhsa_user_sgpr_kernarg_preload_offset 0
		.amdhsa_user_sgpr_private_segment_size 0
		.amdhsa_uses_dynamic_stack 0
		.amdhsa_system_sgpr_private_segment_wavefront_offset 0
		.amdhsa_system_sgpr_workgroup_id_x 1
		.amdhsa_system_sgpr_workgroup_id_y 1
		.amdhsa_system_sgpr_workgroup_id_z 1
		.amdhsa_system_sgpr_workgroup_info 0
		.amdhsa_system_vgpr_workitem_id 2
		.amdhsa_next_free_vgpr 46
		.amdhsa_next_free_sgpr 54
		.amdhsa_accum_offset 48
		.amdhsa_reserve_vcc 1
		.amdhsa_reserve_flat_scratch 0
		.amdhsa_float_round_mode_32 0
		.amdhsa_float_round_mode_16_64 0
		.amdhsa_float_denorm_mode_32 3
		.amdhsa_float_denorm_mode_16_64 3
		.amdhsa_dx10_clamp 1
		.amdhsa_ieee_mode 1
		.amdhsa_fp16_overflow 0
		.amdhsa_tg_split 0
		.amdhsa_exception_fp_ieee_invalid_op 0
		.amdhsa_exception_fp_denorm_src 0
		.amdhsa_exception_fp_ieee_div_zero 0
		.amdhsa_exception_fp_ieee_overflow 0
		.amdhsa_exception_fp_ieee_underflow 0
		.amdhsa_exception_fp_ieee_inexact 0
		.amdhsa_exception_int_div_zero 0
	.end_amdhsa_kernel
	.section	.text._ZN7rocprim17ROCPRIM_400000_NS6detail17trampoline_kernelINS0_14default_configENS1_37merge_sort_block_sort_config_selectorIlNS0_10empty_typeEEEZNS1_21merge_sort_block_sortIS3_PlS8_PS5_S9_ZN2at6native12_GLOBAL__N_124unique_dim_cuda_templateIlEESt5tupleIJNSA_6TensorESF_SF_EERKSF_lbbbEUlllE_EE10hipError_tT0_T1_T2_T3_mRjT4_P12ihipStream_tbNS1_7vsmem_tEEUlT_E_NS1_11comp_targetILNS1_3genE4ELNS1_11target_archE910ELNS1_3gpuE8ELNS1_3repE0EEENS1_30default_config_static_selectorELNS0_4arch9wavefront6targetE1EEEvSM_,"axG",@progbits,_ZN7rocprim17ROCPRIM_400000_NS6detail17trampoline_kernelINS0_14default_configENS1_37merge_sort_block_sort_config_selectorIlNS0_10empty_typeEEEZNS1_21merge_sort_block_sortIS3_PlS8_PS5_S9_ZN2at6native12_GLOBAL__N_124unique_dim_cuda_templateIlEESt5tupleIJNSA_6TensorESF_SF_EERKSF_lbbbEUlllE_EE10hipError_tT0_T1_T2_T3_mRjT4_P12ihipStream_tbNS1_7vsmem_tEEUlT_E_NS1_11comp_targetILNS1_3genE4ELNS1_11target_archE910ELNS1_3gpuE8ELNS1_3repE0EEENS1_30default_config_static_selectorELNS0_4arch9wavefront6targetE1EEEvSM_,comdat
.Lfunc_end507:
	.size	_ZN7rocprim17ROCPRIM_400000_NS6detail17trampoline_kernelINS0_14default_configENS1_37merge_sort_block_sort_config_selectorIlNS0_10empty_typeEEEZNS1_21merge_sort_block_sortIS3_PlS8_PS5_S9_ZN2at6native12_GLOBAL__N_124unique_dim_cuda_templateIlEESt5tupleIJNSA_6TensorESF_SF_EERKSF_lbbbEUlllE_EE10hipError_tT0_T1_T2_T3_mRjT4_P12ihipStream_tbNS1_7vsmem_tEEUlT_E_NS1_11comp_targetILNS1_3genE4ELNS1_11target_archE910ELNS1_3gpuE8ELNS1_3repE0EEENS1_30default_config_static_selectorELNS0_4arch9wavefront6targetE1EEEvSM_, .Lfunc_end507-_ZN7rocprim17ROCPRIM_400000_NS6detail17trampoline_kernelINS0_14default_configENS1_37merge_sort_block_sort_config_selectorIlNS0_10empty_typeEEEZNS1_21merge_sort_block_sortIS3_PlS8_PS5_S9_ZN2at6native12_GLOBAL__N_124unique_dim_cuda_templateIlEESt5tupleIJNSA_6TensorESF_SF_EERKSF_lbbbEUlllE_EE10hipError_tT0_T1_T2_T3_mRjT4_P12ihipStream_tbNS1_7vsmem_tEEUlT_E_NS1_11comp_targetILNS1_3genE4ELNS1_11target_archE910ELNS1_3gpuE8ELNS1_3repE0EEENS1_30default_config_static_selectorELNS0_4arch9wavefront6targetE1EEEvSM_
                                        ; -- End function
	.section	.AMDGPU.csdata,"",@progbits
; Kernel info:
; codeLenInByte = 37876
; NumSgprs: 58
; NumVgprs: 46
; NumAgprs: 0
; TotalNumVgprs: 46
; ScratchSize: 0
; MemoryBound: 0
; FloatMode: 240
; IeeeMode: 1
; LDSByteSize: 8448 bytes/workgroup (compile time only)
; SGPRBlocks: 7
; VGPRBlocks: 5
; NumSGPRsForWavesPerEU: 58
; NumVGPRsForWavesPerEU: 46
; AccumOffset: 48
; Occupancy: 7
; WaveLimiterHint : 1
; COMPUTE_PGM_RSRC2:SCRATCH_EN: 0
; COMPUTE_PGM_RSRC2:USER_SGPR: 6
; COMPUTE_PGM_RSRC2:TRAP_HANDLER: 0
; COMPUTE_PGM_RSRC2:TGID_X_EN: 1
; COMPUTE_PGM_RSRC2:TGID_Y_EN: 1
; COMPUTE_PGM_RSRC2:TGID_Z_EN: 1
; COMPUTE_PGM_RSRC2:TIDIG_COMP_CNT: 2
; COMPUTE_PGM_RSRC3_GFX90A:ACCUM_OFFSET: 11
; COMPUTE_PGM_RSRC3_GFX90A:TG_SPLIT: 0
	.section	.text._ZN7rocprim17ROCPRIM_400000_NS6detail17trampoline_kernelINS0_14default_configENS1_37merge_sort_block_sort_config_selectorIlNS0_10empty_typeEEEZNS1_21merge_sort_block_sortIS3_PlS8_PS5_S9_ZN2at6native12_GLOBAL__N_124unique_dim_cuda_templateIlEESt5tupleIJNSA_6TensorESF_SF_EERKSF_lbbbEUlllE_EE10hipError_tT0_T1_T2_T3_mRjT4_P12ihipStream_tbNS1_7vsmem_tEEUlT_E_NS1_11comp_targetILNS1_3genE3ELNS1_11target_archE908ELNS1_3gpuE7ELNS1_3repE0EEENS1_30default_config_static_selectorELNS0_4arch9wavefront6targetE1EEEvSM_,"axG",@progbits,_ZN7rocprim17ROCPRIM_400000_NS6detail17trampoline_kernelINS0_14default_configENS1_37merge_sort_block_sort_config_selectorIlNS0_10empty_typeEEEZNS1_21merge_sort_block_sortIS3_PlS8_PS5_S9_ZN2at6native12_GLOBAL__N_124unique_dim_cuda_templateIlEESt5tupleIJNSA_6TensorESF_SF_EERKSF_lbbbEUlllE_EE10hipError_tT0_T1_T2_T3_mRjT4_P12ihipStream_tbNS1_7vsmem_tEEUlT_E_NS1_11comp_targetILNS1_3genE3ELNS1_11target_archE908ELNS1_3gpuE7ELNS1_3repE0EEENS1_30default_config_static_selectorELNS0_4arch9wavefront6targetE1EEEvSM_,comdat
	.globl	_ZN7rocprim17ROCPRIM_400000_NS6detail17trampoline_kernelINS0_14default_configENS1_37merge_sort_block_sort_config_selectorIlNS0_10empty_typeEEEZNS1_21merge_sort_block_sortIS3_PlS8_PS5_S9_ZN2at6native12_GLOBAL__N_124unique_dim_cuda_templateIlEESt5tupleIJNSA_6TensorESF_SF_EERKSF_lbbbEUlllE_EE10hipError_tT0_T1_T2_T3_mRjT4_P12ihipStream_tbNS1_7vsmem_tEEUlT_E_NS1_11comp_targetILNS1_3genE3ELNS1_11target_archE908ELNS1_3gpuE7ELNS1_3repE0EEENS1_30default_config_static_selectorELNS0_4arch9wavefront6targetE1EEEvSM_ ; -- Begin function _ZN7rocprim17ROCPRIM_400000_NS6detail17trampoline_kernelINS0_14default_configENS1_37merge_sort_block_sort_config_selectorIlNS0_10empty_typeEEEZNS1_21merge_sort_block_sortIS3_PlS8_PS5_S9_ZN2at6native12_GLOBAL__N_124unique_dim_cuda_templateIlEESt5tupleIJNSA_6TensorESF_SF_EERKSF_lbbbEUlllE_EE10hipError_tT0_T1_T2_T3_mRjT4_P12ihipStream_tbNS1_7vsmem_tEEUlT_E_NS1_11comp_targetILNS1_3genE3ELNS1_11target_archE908ELNS1_3gpuE7ELNS1_3repE0EEENS1_30default_config_static_selectorELNS0_4arch9wavefront6targetE1EEEvSM_
	.p2align	8
	.type	_ZN7rocprim17ROCPRIM_400000_NS6detail17trampoline_kernelINS0_14default_configENS1_37merge_sort_block_sort_config_selectorIlNS0_10empty_typeEEEZNS1_21merge_sort_block_sortIS3_PlS8_PS5_S9_ZN2at6native12_GLOBAL__N_124unique_dim_cuda_templateIlEESt5tupleIJNSA_6TensorESF_SF_EERKSF_lbbbEUlllE_EE10hipError_tT0_T1_T2_T3_mRjT4_P12ihipStream_tbNS1_7vsmem_tEEUlT_E_NS1_11comp_targetILNS1_3genE3ELNS1_11target_archE908ELNS1_3gpuE7ELNS1_3repE0EEENS1_30default_config_static_selectorELNS0_4arch9wavefront6targetE1EEEvSM_,@function
_ZN7rocprim17ROCPRIM_400000_NS6detail17trampoline_kernelINS0_14default_configENS1_37merge_sort_block_sort_config_selectorIlNS0_10empty_typeEEEZNS1_21merge_sort_block_sortIS3_PlS8_PS5_S9_ZN2at6native12_GLOBAL__N_124unique_dim_cuda_templateIlEESt5tupleIJNSA_6TensorESF_SF_EERKSF_lbbbEUlllE_EE10hipError_tT0_T1_T2_T3_mRjT4_P12ihipStream_tbNS1_7vsmem_tEEUlT_E_NS1_11comp_targetILNS1_3genE3ELNS1_11target_archE908ELNS1_3gpuE7ELNS1_3repE0EEENS1_30default_config_static_selectorELNS0_4arch9wavefront6targetE1EEEvSM_: ; @_ZN7rocprim17ROCPRIM_400000_NS6detail17trampoline_kernelINS0_14default_configENS1_37merge_sort_block_sort_config_selectorIlNS0_10empty_typeEEEZNS1_21merge_sort_block_sortIS3_PlS8_PS5_S9_ZN2at6native12_GLOBAL__N_124unique_dim_cuda_templateIlEESt5tupleIJNSA_6TensorESF_SF_EERKSF_lbbbEUlllE_EE10hipError_tT0_T1_T2_T3_mRjT4_P12ihipStream_tbNS1_7vsmem_tEEUlT_E_NS1_11comp_targetILNS1_3genE3ELNS1_11target_archE908ELNS1_3gpuE7ELNS1_3repE0EEENS1_30default_config_static_selectorELNS0_4arch9wavefront6targetE1EEEvSM_
; %bb.0:
	.section	.rodata,"a",@progbits
	.p2align	6, 0x0
	.amdhsa_kernel _ZN7rocprim17ROCPRIM_400000_NS6detail17trampoline_kernelINS0_14default_configENS1_37merge_sort_block_sort_config_selectorIlNS0_10empty_typeEEEZNS1_21merge_sort_block_sortIS3_PlS8_PS5_S9_ZN2at6native12_GLOBAL__N_124unique_dim_cuda_templateIlEESt5tupleIJNSA_6TensorESF_SF_EERKSF_lbbbEUlllE_EE10hipError_tT0_T1_T2_T3_mRjT4_P12ihipStream_tbNS1_7vsmem_tEEUlT_E_NS1_11comp_targetILNS1_3genE3ELNS1_11target_archE908ELNS1_3gpuE7ELNS1_3repE0EEENS1_30default_config_static_selectorELNS0_4arch9wavefront6targetE1EEEvSM_
		.amdhsa_group_segment_fixed_size 0
		.amdhsa_private_segment_fixed_size 0
		.amdhsa_kernarg_size 72
		.amdhsa_user_sgpr_count 6
		.amdhsa_user_sgpr_private_segment_buffer 1
		.amdhsa_user_sgpr_dispatch_ptr 0
		.amdhsa_user_sgpr_queue_ptr 0
		.amdhsa_user_sgpr_kernarg_segment_ptr 1
		.amdhsa_user_sgpr_dispatch_id 0
		.amdhsa_user_sgpr_flat_scratch_init 0
		.amdhsa_user_sgpr_kernarg_preload_length 0
		.amdhsa_user_sgpr_kernarg_preload_offset 0
		.amdhsa_user_sgpr_private_segment_size 0
		.amdhsa_uses_dynamic_stack 0
		.amdhsa_system_sgpr_private_segment_wavefront_offset 0
		.amdhsa_system_sgpr_workgroup_id_x 1
		.amdhsa_system_sgpr_workgroup_id_y 0
		.amdhsa_system_sgpr_workgroup_id_z 0
		.amdhsa_system_sgpr_workgroup_info 0
		.amdhsa_system_vgpr_workitem_id 0
		.amdhsa_next_free_vgpr 1
		.amdhsa_next_free_sgpr 0
		.amdhsa_accum_offset 4
		.amdhsa_reserve_vcc 0
		.amdhsa_reserve_flat_scratch 0
		.amdhsa_float_round_mode_32 0
		.amdhsa_float_round_mode_16_64 0
		.amdhsa_float_denorm_mode_32 3
		.amdhsa_float_denorm_mode_16_64 3
		.amdhsa_dx10_clamp 1
		.amdhsa_ieee_mode 1
		.amdhsa_fp16_overflow 0
		.amdhsa_tg_split 0
		.amdhsa_exception_fp_ieee_invalid_op 0
		.amdhsa_exception_fp_denorm_src 0
		.amdhsa_exception_fp_ieee_div_zero 0
		.amdhsa_exception_fp_ieee_overflow 0
		.amdhsa_exception_fp_ieee_underflow 0
		.amdhsa_exception_fp_ieee_inexact 0
		.amdhsa_exception_int_div_zero 0
	.end_amdhsa_kernel
	.section	.text._ZN7rocprim17ROCPRIM_400000_NS6detail17trampoline_kernelINS0_14default_configENS1_37merge_sort_block_sort_config_selectorIlNS0_10empty_typeEEEZNS1_21merge_sort_block_sortIS3_PlS8_PS5_S9_ZN2at6native12_GLOBAL__N_124unique_dim_cuda_templateIlEESt5tupleIJNSA_6TensorESF_SF_EERKSF_lbbbEUlllE_EE10hipError_tT0_T1_T2_T3_mRjT4_P12ihipStream_tbNS1_7vsmem_tEEUlT_E_NS1_11comp_targetILNS1_3genE3ELNS1_11target_archE908ELNS1_3gpuE7ELNS1_3repE0EEENS1_30default_config_static_selectorELNS0_4arch9wavefront6targetE1EEEvSM_,"axG",@progbits,_ZN7rocprim17ROCPRIM_400000_NS6detail17trampoline_kernelINS0_14default_configENS1_37merge_sort_block_sort_config_selectorIlNS0_10empty_typeEEEZNS1_21merge_sort_block_sortIS3_PlS8_PS5_S9_ZN2at6native12_GLOBAL__N_124unique_dim_cuda_templateIlEESt5tupleIJNSA_6TensorESF_SF_EERKSF_lbbbEUlllE_EE10hipError_tT0_T1_T2_T3_mRjT4_P12ihipStream_tbNS1_7vsmem_tEEUlT_E_NS1_11comp_targetILNS1_3genE3ELNS1_11target_archE908ELNS1_3gpuE7ELNS1_3repE0EEENS1_30default_config_static_selectorELNS0_4arch9wavefront6targetE1EEEvSM_,comdat
.Lfunc_end508:
	.size	_ZN7rocprim17ROCPRIM_400000_NS6detail17trampoline_kernelINS0_14default_configENS1_37merge_sort_block_sort_config_selectorIlNS0_10empty_typeEEEZNS1_21merge_sort_block_sortIS3_PlS8_PS5_S9_ZN2at6native12_GLOBAL__N_124unique_dim_cuda_templateIlEESt5tupleIJNSA_6TensorESF_SF_EERKSF_lbbbEUlllE_EE10hipError_tT0_T1_T2_T3_mRjT4_P12ihipStream_tbNS1_7vsmem_tEEUlT_E_NS1_11comp_targetILNS1_3genE3ELNS1_11target_archE908ELNS1_3gpuE7ELNS1_3repE0EEENS1_30default_config_static_selectorELNS0_4arch9wavefront6targetE1EEEvSM_, .Lfunc_end508-_ZN7rocprim17ROCPRIM_400000_NS6detail17trampoline_kernelINS0_14default_configENS1_37merge_sort_block_sort_config_selectorIlNS0_10empty_typeEEEZNS1_21merge_sort_block_sortIS3_PlS8_PS5_S9_ZN2at6native12_GLOBAL__N_124unique_dim_cuda_templateIlEESt5tupleIJNSA_6TensorESF_SF_EERKSF_lbbbEUlllE_EE10hipError_tT0_T1_T2_T3_mRjT4_P12ihipStream_tbNS1_7vsmem_tEEUlT_E_NS1_11comp_targetILNS1_3genE3ELNS1_11target_archE908ELNS1_3gpuE7ELNS1_3repE0EEENS1_30default_config_static_selectorELNS0_4arch9wavefront6targetE1EEEvSM_
                                        ; -- End function
	.section	.AMDGPU.csdata,"",@progbits
; Kernel info:
; codeLenInByte = 0
; NumSgprs: 4
; NumVgprs: 0
; NumAgprs: 0
; TotalNumVgprs: 0
; ScratchSize: 0
; MemoryBound: 0
; FloatMode: 240
; IeeeMode: 1
; LDSByteSize: 0 bytes/workgroup (compile time only)
; SGPRBlocks: 0
; VGPRBlocks: 0
; NumSGPRsForWavesPerEU: 4
; NumVGPRsForWavesPerEU: 1
; AccumOffset: 4
; Occupancy: 8
; WaveLimiterHint : 0
; COMPUTE_PGM_RSRC2:SCRATCH_EN: 0
; COMPUTE_PGM_RSRC2:USER_SGPR: 6
; COMPUTE_PGM_RSRC2:TRAP_HANDLER: 0
; COMPUTE_PGM_RSRC2:TGID_X_EN: 1
; COMPUTE_PGM_RSRC2:TGID_Y_EN: 0
; COMPUTE_PGM_RSRC2:TGID_Z_EN: 0
; COMPUTE_PGM_RSRC2:TIDIG_COMP_CNT: 0
; COMPUTE_PGM_RSRC3_GFX90A:ACCUM_OFFSET: 0
; COMPUTE_PGM_RSRC3_GFX90A:TG_SPLIT: 0
	.section	.text._ZN7rocprim17ROCPRIM_400000_NS6detail17trampoline_kernelINS0_14default_configENS1_37merge_sort_block_sort_config_selectorIlNS0_10empty_typeEEEZNS1_21merge_sort_block_sortIS3_PlS8_PS5_S9_ZN2at6native12_GLOBAL__N_124unique_dim_cuda_templateIlEESt5tupleIJNSA_6TensorESF_SF_EERKSF_lbbbEUlllE_EE10hipError_tT0_T1_T2_T3_mRjT4_P12ihipStream_tbNS1_7vsmem_tEEUlT_E_NS1_11comp_targetILNS1_3genE2ELNS1_11target_archE906ELNS1_3gpuE6ELNS1_3repE0EEENS1_30default_config_static_selectorELNS0_4arch9wavefront6targetE1EEEvSM_,"axG",@progbits,_ZN7rocprim17ROCPRIM_400000_NS6detail17trampoline_kernelINS0_14default_configENS1_37merge_sort_block_sort_config_selectorIlNS0_10empty_typeEEEZNS1_21merge_sort_block_sortIS3_PlS8_PS5_S9_ZN2at6native12_GLOBAL__N_124unique_dim_cuda_templateIlEESt5tupleIJNSA_6TensorESF_SF_EERKSF_lbbbEUlllE_EE10hipError_tT0_T1_T2_T3_mRjT4_P12ihipStream_tbNS1_7vsmem_tEEUlT_E_NS1_11comp_targetILNS1_3genE2ELNS1_11target_archE906ELNS1_3gpuE6ELNS1_3repE0EEENS1_30default_config_static_selectorELNS0_4arch9wavefront6targetE1EEEvSM_,comdat
	.globl	_ZN7rocprim17ROCPRIM_400000_NS6detail17trampoline_kernelINS0_14default_configENS1_37merge_sort_block_sort_config_selectorIlNS0_10empty_typeEEEZNS1_21merge_sort_block_sortIS3_PlS8_PS5_S9_ZN2at6native12_GLOBAL__N_124unique_dim_cuda_templateIlEESt5tupleIJNSA_6TensorESF_SF_EERKSF_lbbbEUlllE_EE10hipError_tT0_T1_T2_T3_mRjT4_P12ihipStream_tbNS1_7vsmem_tEEUlT_E_NS1_11comp_targetILNS1_3genE2ELNS1_11target_archE906ELNS1_3gpuE6ELNS1_3repE0EEENS1_30default_config_static_selectorELNS0_4arch9wavefront6targetE1EEEvSM_ ; -- Begin function _ZN7rocprim17ROCPRIM_400000_NS6detail17trampoline_kernelINS0_14default_configENS1_37merge_sort_block_sort_config_selectorIlNS0_10empty_typeEEEZNS1_21merge_sort_block_sortIS3_PlS8_PS5_S9_ZN2at6native12_GLOBAL__N_124unique_dim_cuda_templateIlEESt5tupleIJNSA_6TensorESF_SF_EERKSF_lbbbEUlllE_EE10hipError_tT0_T1_T2_T3_mRjT4_P12ihipStream_tbNS1_7vsmem_tEEUlT_E_NS1_11comp_targetILNS1_3genE2ELNS1_11target_archE906ELNS1_3gpuE6ELNS1_3repE0EEENS1_30default_config_static_selectorELNS0_4arch9wavefront6targetE1EEEvSM_
	.p2align	8
	.type	_ZN7rocprim17ROCPRIM_400000_NS6detail17trampoline_kernelINS0_14default_configENS1_37merge_sort_block_sort_config_selectorIlNS0_10empty_typeEEEZNS1_21merge_sort_block_sortIS3_PlS8_PS5_S9_ZN2at6native12_GLOBAL__N_124unique_dim_cuda_templateIlEESt5tupleIJNSA_6TensorESF_SF_EERKSF_lbbbEUlllE_EE10hipError_tT0_T1_T2_T3_mRjT4_P12ihipStream_tbNS1_7vsmem_tEEUlT_E_NS1_11comp_targetILNS1_3genE2ELNS1_11target_archE906ELNS1_3gpuE6ELNS1_3repE0EEENS1_30default_config_static_selectorELNS0_4arch9wavefront6targetE1EEEvSM_,@function
_ZN7rocprim17ROCPRIM_400000_NS6detail17trampoline_kernelINS0_14default_configENS1_37merge_sort_block_sort_config_selectorIlNS0_10empty_typeEEEZNS1_21merge_sort_block_sortIS3_PlS8_PS5_S9_ZN2at6native12_GLOBAL__N_124unique_dim_cuda_templateIlEESt5tupleIJNSA_6TensorESF_SF_EERKSF_lbbbEUlllE_EE10hipError_tT0_T1_T2_T3_mRjT4_P12ihipStream_tbNS1_7vsmem_tEEUlT_E_NS1_11comp_targetILNS1_3genE2ELNS1_11target_archE906ELNS1_3gpuE6ELNS1_3repE0EEENS1_30default_config_static_selectorELNS0_4arch9wavefront6targetE1EEEvSM_: ; @_ZN7rocprim17ROCPRIM_400000_NS6detail17trampoline_kernelINS0_14default_configENS1_37merge_sort_block_sort_config_selectorIlNS0_10empty_typeEEEZNS1_21merge_sort_block_sortIS3_PlS8_PS5_S9_ZN2at6native12_GLOBAL__N_124unique_dim_cuda_templateIlEESt5tupleIJNSA_6TensorESF_SF_EERKSF_lbbbEUlllE_EE10hipError_tT0_T1_T2_T3_mRjT4_P12ihipStream_tbNS1_7vsmem_tEEUlT_E_NS1_11comp_targetILNS1_3genE2ELNS1_11target_archE906ELNS1_3gpuE6ELNS1_3repE0EEENS1_30default_config_static_selectorELNS0_4arch9wavefront6targetE1EEEvSM_
; %bb.0:
	.section	.rodata,"a",@progbits
	.p2align	6, 0x0
	.amdhsa_kernel _ZN7rocprim17ROCPRIM_400000_NS6detail17trampoline_kernelINS0_14default_configENS1_37merge_sort_block_sort_config_selectorIlNS0_10empty_typeEEEZNS1_21merge_sort_block_sortIS3_PlS8_PS5_S9_ZN2at6native12_GLOBAL__N_124unique_dim_cuda_templateIlEESt5tupleIJNSA_6TensorESF_SF_EERKSF_lbbbEUlllE_EE10hipError_tT0_T1_T2_T3_mRjT4_P12ihipStream_tbNS1_7vsmem_tEEUlT_E_NS1_11comp_targetILNS1_3genE2ELNS1_11target_archE906ELNS1_3gpuE6ELNS1_3repE0EEENS1_30default_config_static_selectorELNS0_4arch9wavefront6targetE1EEEvSM_
		.amdhsa_group_segment_fixed_size 0
		.amdhsa_private_segment_fixed_size 0
		.amdhsa_kernarg_size 72
		.amdhsa_user_sgpr_count 6
		.amdhsa_user_sgpr_private_segment_buffer 1
		.amdhsa_user_sgpr_dispatch_ptr 0
		.amdhsa_user_sgpr_queue_ptr 0
		.amdhsa_user_sgpr_kernarg_segment_ptr 1
		.amdhsa_user_sgpr_dispatch_id 0
		.amdhsa_user_sgpr_flat_scratch_init 0
		.amdhsa_user_sgpr_kernarg_preload_length 0
		.amdhsa_user_sgpr_kernarg_preload_offset 0
		.amdhsa_user_sgpr_private_segment_size 0
		.amdhsa_uses_dynamic_stack 0
		.amdhsa_system_sgpr_private_segment_wavefront_offset 0
		.amdhsa_system_sgpr_workgroup_id_x 1
		.amdhsa_system_sgpr_workgroup_id_y 0
		.amdhsa_system_sgpr_workgroup_id_z 0
		.amdhsa_system_sgpr_workgroup_info 0
		.amdhsa_system_vgpr_workitem_id 0
		.amdhsa_next_free_vgpr 1
		.amdhsa_next_free_sgpr 0
		.amdhsa_accum_offset 4
		.amdhsa_reserve_vcc 0
		.amdhsa_reserve_flat_scratch 0
		.amdhsa_float_round_mode_32 0
		.amdhsa_float_round_mode_16_64 0
		.amdhsa_float_denorm_mode_32 3
		.amdhsa_float_denorm_mode_16_64 3
		.amdhsa_dx10_clamp 1
		.amdhsa_ieee_mode 1
		.amdhsa_fp16_overflow 0
		.amdhsa_tg_split 0
		.amdhsa_exception_fp_ieee_invalid_op 0
		.amdhsa_exception_fp_denorm_src 0
		.amdhsa_exception_fp_ieee_div_zero 0
		.amdhsa_exception_fp_ieee_overflow 0
		.amdhsa_exception_fp_ieee_underflow 0
		.amdhsa_exception_fp_ieee_inexact 0
		.amdhsa_exception_int_div_zero 0
	.end_amdhsa_kernel
	.section	.text._ZN7rocprim17ROCPRIM_400000_NS6detail17trampoline_kernelINS0_14default_configENS1_37merge_sort_block_sort_config_selectorIlNS0_10empty_typeEEEZNS1_21merge_sort_block_sortIS3_PlS8_PS5_S9_ZN2at6native12_GLOBAL__N_124unique_dim_cuda_templateIlEESt5tupleIJNSA_6TensorESF_SF_EERKSF_lbbbEUlllE_EE10hipError_tT0_T1_T2_T3_mRjT4_P12ihipStream_tbNS1_7vsmem_tEEUlT_E_NS1_11comp_targetILNS1_3genE2ELNS1_11target_archE906ELNS1_3gpuE6ELNS1_3repE0EEENS1_30default_config_static_selectorELNS0_4arch9wavefront6targetE1EEEvSM_,"axG",@progbits,_ZN7rocprim17ROCPRIM_400000_NS6detail17trampoline_kernelINS0_14default_configENS1_37merge_sort_block_sort_config_selectorIlNS0_10empty_typeEEEZNS1_21merge_sort_block_sortIS3_PlS8_PS5_S9_ZN2at6native12_GLOBAL__N_124unique_dim_cuda_templateIlEESt5tupleIJNSA_6TensorESF_SF_EERKSF_lbbbEUlllE_EE10hipError_tT0_T1_T2_T3_mRjT4_P12ihipStream_tbNS1_7vsmem_tEEUlT_E_NS1_11comp_targetILNS1_3genE2ELNS1_11target_archE906ELNS1_3gpuE6ELNS1_3repE0EEENS1_30default_config_static_selectorELNS0_4arch9wavefront6targetE1EEEvSM_,comdat
.Lfunc_end509:
	.size	_ZN7rocprim17ROCPRIM_400000_NS6detail17trampoline_kernelINS0_14default_configENS1_37merge_sort_block_sort_config_selectorIlNS0_10empty_typeEEEZNS1_21merge_sort_block_sortIS3_PlS8_PS5_S9_ZN2at6native12_GLOBAL__N_124unique_dim_cuda_templateIlEESt5tupleIJNSA_6TensorESF_SF_EERKSF_lbbbEUlllE_EE10hipError_tT0_T1_T2_T3_mRjT4_P12ihipStream_tbNS1_7vsmem_tEEUlT_E_NS1_11comp_targetILNS1_3genE2ELNS1_11target_archE906ELNS1_3gpuE6ELNS1_3repE0EEENS1_30default_config_static_selectorELNS0_4arch9wavefront6targetE1EEEvSM_, .Lfunc_end509-_ZN7rocprim17ROCPRIM_400000_NS6detail17trampoline_kernelINS0_14default_configENS1_37merge_sort_block_sort_config_selectorIlNS0_10empty_typeEEEZNS1_21merge_sort_block_sortIS3_PlS8_PS5_S9_ZN2at6native12_GLOBAL__N_124unique_dim_cuda_templateIlEESt5tupleIJNSA_6TensorESF_SF_EERKSF_lbbbEUlllE_EE10hipError_tT0_T1_T2_T3_mRjT4_P12ihipStream_tbNS1_7vsmem_tEEUlT_E_NS1_11comp_targetILNS1_3genE2ELNS1_11target_archE906ELNS1_3gpuE6ELNS1_3repE0EEENS1_30default_config_static_selectorELNS0_4arch9wavefront6targetE1EEEvSM_
                                        ; -- End function
	.section	.AMDGPU.csdata,"",@progbits
; Kernel info:
; codeLenInByte = 0
; NumSgprs: 4
; NumVgprs: 0
; NumAgprs: 0
; TotalNumVgprs: 0
; ScratchSize: 0
; MemoryBound: 0
; FloatMode: 240
; IeeeMode: 1
; LDSByteSize: 0 bytes/workgroup (compile time only)
; SGPRBlocks: 0
; VGPRBlocks: 0
; NumSGPRsForWavesPerEU: 4
; NumVGPRsForWavesPerEU: 1
; AccumOffset: 4
; Occupancy: 8
; WaveLimiterHint : 0
; COMPUTE_PGM_RSRC2:SCRATCH_EN: 0
; COMPUTE_PGM_RSRC2:USER_SGPR: 6
; COMPUTE_PGM_RSRC2:TRAP_HANDLER: 0
; COMPUTE_PGM_RSRC2:TGID_X_EN: 1
; COMPUTE_PGM_RSRC2:TGID_Y_EN: 0
; COMPUTE_PGM_RSRC2:TGID_Z_EN: 0
; COMPUTE_PGM_RSRC2:TIDIG_COMP_CNT: 0
; COMPUTE_PGM_RSRC3_GFX90A:ACCUM_OFFSET: 0
; COMPUTE_PGM_RSRC3_GFX90A:TG_SPLIT: 0
	.section	.text._ZN7rocprim17ROCPRIM_400000_NS6detail17trampoline_kernelINS0_14default_configENS1_37merge_sort_block_sort_config_selectorIlNS0_10empty_typeEEEZNS1_21merge_sort_block_sortIS3_PlS8_PS5_S9_ZN2at6native12_GLOBAL__N_124unique_dim_cuda_templateIlEESt5tupleIJNSA_6TensorESF_SF_EERKSF_lbbbEUlllE_EE10hipError_tT0_T1_T2_T3_mRjT4_P12ihipStream_tbNS1_7vsmem_tEEUlT_E_NS1_11comp_targetILNS1_3genE10ELNS1_11target_archE1201ELNS1_3gpuE5ELNS1_3repE0EEENS1_30default_config_static_selectorELNS0_4arch9wavefront6targetE1EEEvSM_,"axG",@progbits,_ZN7rocprim17ROCPRIM_400000_NS6detail17trampoline_kernelINS0_14default_configENS1_37merge_sort_block_sort_config_selectorIlNS0_10empty_typeEEEZNS1_21merge_sort_block_sortIS3_PlS8_PS5_S9_ZN2at6native12_GLOBAL__N_124unique_dim_cuda_templateIlEESt5tupleIJNSA_6TensorESF_SF_EERKSF_lbbbEUlllE_EE10hipError_tT0_T1_T2_T3_mRjT4_P12ihipStream_tbNS1_7vsmem_tEEUlT_E_NS1_11comp_targetILNS1_3genE10ELNS1_11target_archE1201ELNS1_3gpuE5ELNS1_3repE0EEENS1_30default_config_static_selectorELNS0_4arch9wavefront6targetE1EEEvSM_,comdat
	.globl	_ZN7rocprim17ROCPRIM_400000_NS6detail17trampoline_kernelINS0_14default_configENS1_37merge_sort_block_sort_config_selectorIlNS0_10empty_typeEEEZNS1_21merge_sort_block_sortIS3_PlS8_PS5_S9_ZN2at6native12_GLOBAL__N_124unique_dim_cuda_templateIlEESt5tupleIJNSA_6TensorESF_SF_EERKSF_lbbbEUlllE_EE10hipError_tT0_T1_T2_T3_mRjT4_P12ihipStream_tbNS1_7vsmem_tEEUlT_E_NS1_11comp_targetILNS1_3genE10ELNS1_11target_archE1201ELNS1_3gpuE5ELNS1_3repE0EEENS1_30default_config_static_selectorELNS0_4arch9wavefront6targetE1EEEvSM_ ; -- Begin function _ZN7rocprim17ROCPRIM_400000_NS6detail17trampoline_kernelINS0_14default_configENS1_37merge_sort_block_sort_config_selectorIlNS0_10empty_typeEEEZNS1_21merge_sort_block_sortIS3_PlS8_PS5_S9_ZN2at6native12_GLOBAL__N_124unique_dim_cuda_templateIlEESt5tupleIJNSA_6TensorESF_SF_EERKSF_lbbbEUlllE_EE10hipError_tT0_T1_T2_T3_mRjT4_P12ihipStream_tbNS1_7vsmem_tEEUlT_E_NS1_11comp_targetILNS1_3genE10ELNS1_11target_archE1201ELNS1_3gpuE5ELNS1_3repE0EEENS1_30default_config_static_selectorELNS0_4arch9wavefront6targetE1EEEvSM_
	.p2align	8
	.type	_ZN7rocprim17ROCPRIM_400000_NS6detail17trampoline_kernelINS0_14default_configENS1_37merge_sort_block_sort_config_selectorIlNS0_10empty_typeEEEZNS1_21merge_sort_block_sortIS3_PlS8_PS5_S9_ZN2at6native12_GLOBAL__N_124unique_dim_cuda_templateIlEESt5tupleIJNSA_6TensorESF_SF_EERKSF_lbbbEUlllE_EE10hipError_tT0_T1_T2_T3_mRjT4_P12ihipStream_tbNS1_7vsmem_tEEUlT_E_NS1_11comp_targetILNS1_3genE10ELNS1_11target_archE1201ELNS1_3gpuE5ELNS1_3repE0EEENS1_30default_config_static_selectorELNS0_4arch9wavefront6targetE1EEEvSM_,@function
_ZN7rocprim17ROCPRIM_400000_NS6detail17trampoline_kernelINS0_14default_configENS1_37merge_sort_block_sort_config_selectorIlNS0_10empty_typeEEEZNS1_21merge_sort_block_sortIS3_PlS8_PS5_S9_ZN2at6native12_GLOBAL__N_124unique_dim_cuda_templateIlEESt5tupleIJNSA_6TensorESF_SF_EERKSF_lbbbEUlllE_EE10hipError_tT0_T1_T2_T3_mRjT4_P12ihipStream_tbNS1_7vsmem_tEEUlT_E_NS1_11comp_targetILNS1_3genE10ELNS1_11target_archE1201ELNS1_3gpuE5ELNS1_3repE0EEENS1_30default_config_static_selectorELNS0_4arch9wavefront6targetE1EEEvSM_: ; @_ZN7rocprim17ROCPRIM_400000_NS6detail17trampoline_kernelINS0_14default_configENS1_37merge_sort_block_sort_config_selectorIlNS0_10empty_typeEEEZNS1_21merge_sort_block_sortIS3_PlS8_PS5_S9_ZN2at6native12_GLOBAL__N_124unique_dim_cuda_templateIlEESt5tupleIJNSA_6TensorESF_SF_EERKSF_lbbbEUlllE_EE10hipError_tT0_T1_T2_T3_mRjT4_P12ihipStream_tbNS1_7vsmem_tEEUlT_E_NS1_11comp_targetILNS1_3genE10ELNS1_11target_archE1201ELNS1_3gpuE5ELNS1_3repE0EEENS1_30default_config_static_selectorELNS0_4arch9wavefront6targetE1EEEvSM_
; %bb.0:
	.section	.rodata,"a",@progbits
	.p2align	6, 0x0
	.amdhsa_kernel _ZN7rocprim17ROCPRIM_400000_NS6detail17trampoline_kernelINS0_14default_configENS1_37merge_sort_block_sort_config_selectorIlNS0_10empty_typeEEEZNS1_21merge_sort_block_sortIS3_PlS8_PS5_S9_ZN2at6native12_GLOBAL__N_124unique_dim_cuda_templateIlEESt5tupleIJNSA_6TensorESF_SF_EERKSF_lbbbEUlllE_EE10hipError_tT0_T1_T2_T3_mRjT4_P12ihipStream_tbNS1_7vsmem_tEEUlT_E_NS1_11comp_targetILNS1_3genE10ELNS1_11target_archE1201ELNS1_3gpuE5ELNS1_3repE0EEENS1_30default_config_static_selectorELNS0_4arch9wavefront6targetE1EEEvSM_
		.amdhsa_group_segment_fixed_size 0
		.amdhsa_private_segment_fixed_size 0
		.amdhsa_kernarg_size 72
		.amdhsa_user_sgpr_count 6
		.amdhsa_user_sgpr_private_segment_buffer 1
		.amdhsa_user_sgpr_dispatch_ptr 0
		.amdhsa_user_sgpr_queue_ptr 0
		.amdhsa_user_sgpr_kernarg_segment_ptr 1
		.amdhsa_user_sgpr_dispatch_id 0
		.amdhsa_user_sgpr_flat_scratch_init 0
		.amdhsa_user_sgpr_kernarg_preload_length 0
		.amdhsa_user_sgpr_kernarg_preload_offset 0
		.amdhsa_user_sgpr_private_segment_size 0
		.amdhsa_uses_dynamic_stack 0
		.amdhsa_system_sgpr_private_segment_wavefront_offset 0
		.amdhsa_system_sgpr_workgroup_id_x 1
		.amdhsa_system_sgpr_workgroup_id_y 0
		.amdhsa_system_sgpr_workgroup_id_z 0
		.amdhsa_system_sgpr_workgroup_info 0
		.amdhsa_system_vgpr_workitem_id 0
		.amdhsa_next_free_vgpr 1
		.amdhsa_next_free_sgpr 0
		.amdhsa_accum_offset 4
		.amdhsa_reserve_vcc 0
		.amdhsa_reserve_flat_scratch 0
		.amdhsa_float_round_mode_32 0
		.amdhsa_float_round_mode_16_64 0
		.amdhsa_float_denorm_mode_32 3
		.amdhsa_float_denorm_mode_16_64 3
		.amdhsa_dx10_clamp 1
		.amdhsa_ieee_mode 1
		.amdhsa_fp16_overflow 0
		.amdhsa_tg_split 0
		.amdhsa_exception_fp_ieee_invalid_op 0
		.amdhsa_exception_fp_denorm_src 0
		.amdhsa_exception_fp_ieee_div_zero 0
		.amdhsa_exception_fp_ieee_overflow 0
		.amdhsa_exception_fp_ieee_underflow 0
		.amdhsa_exception_fp_ieee_inexact 0
		.amdhsa_exception_int_div_zero 0
	.end_amdhsa_kernel
	.section	.text._ZN7rocprim17ROCPRIM_400000_NS6detail17trampoline_kernelINS0_14default_configENS1_37merge_sort_block_sort_config_selectorIlNS0_10empty_typeEEEZNS1_21merge_sort_block_sortIS3_PlS8_PS5_S9_ZN2at6native12_GLOBAL__N_124unique_dim_cuda_templateIlEESt5tupleIJNSA_6TensorESF_SF_EERKSF_lbbbEUlllE_EE10hipError_tT0_T1_T2_T3_mRjT4_P12ihipStream_tbNS1_7vsmem_tEEUlT_E_NS1_11comp_targetILNS1_3genE10ELNS1_11target_archE1201ELNS1_3gpuE5ELNS1_3repE0EEENS1_30default_config_static_selectorELNS0_4arch9wavefront6targetE1EEEvSM_,"axG",@progbits,_ZN7rocprim17ROCPRIM_400000_NS6detail17trampoline_kernelINS0_14default_configENS1_37merge_sort_block_sort_config_selectorIlNS0_10empty_typeEEEZNS1_21merge_sort_block_sortIS3_PlS8_PS5_S9_ZN2at6native12_GLOBAL__N_124unique_dim_cuda_templateIlEESt5tupleIJNSA_6TensorESF_SF_EERKSF_lbbbEUlllE_EE10hipError_tT0_T1_T2_T3_mRjT4_P12ihipStream_tbNS1_7vsmem_tEEUlT_E_NS1_11comp_targetILNS1_3genE10ELNS1_11target_archE1201ELNS1_3gpuE5ELNS1_3repE0EEENS1_30default_config_static_selectorELNS0_4arch9wavefront6targetE1EEEvSM_,comdat
.Lfunc_end510:
	.size	_ZN7rocprim17ROCPRIM_400000_NS6detail17trampoline_kernelINS0_14default_configENS1_37merge_sort_block_sort_config_selectorIlNS0_10empty_typeEEEZNS1_21merge_sort_block_sortIS3_PlS8_PS5_S9_ZN2at6native12_GLOBAL__N_124unique_dim_cuda_templateIlEESt5tupleIJNSA_6TensorESF_SF_EERKSF_lbbbEUlllE_EE10hipError_tT0_T1_T2_T3_mRjT4_P12ihipStream_tbNS1_7vsmem_tEEUlT_E_NS1_11comp_targetILNS1_3genE10ELNS1_11target_archE1201ELNS1_3gpuE5ELNS1_3repE0EEENS1_30default_config_static_selectorELNS0_4arch9wavefront6targetE1EEEvSM_, .Lfunc_end510-_ZN7rocprim17ROCPRIM_400000_NS6detail17trampoline_kernelINS0_14default_configENS1_37merge_sort_block_sort_config_selectorIlNS0_10empty_typeEEEZNS1_21merge_sort_block_sortIS3_PlS8_PS5_S9_ZN2at6native12_GLOBAL__N_124unique_dim_cuda_templateIlEESt5tupleIJNSA_6TensorESF_SF_EERKSF_lbbbEUlllE_EE10hipError_tT0_T1_T2_T3_mRjT4_P12ihipStream_tbNS1_7vsmem_tEEUlT_E_NS1_11comp_targetILNS1_3genE10ELNS1_11target_archE1201ELNS1_3gpuE5ELNS1_3repE0EEENS1_30default_config_static_selectorELNS0_4arch9wavefront6targetE1EEEvSM_
                                        ; -- End function
	.section	.AMDGPU.csdata,"",@progbits
; Kernel info:
; codeLenInByte = 0
; NumSgprs: 4
; NumVgprs: 0
; NumAgprs: 0
; TotalNumVgprs: 0
; ScratchSize: 0
; MemoryBound: 0
; FloatMode: 240
; IeeeMode: 1
; LDSByteSize: 0 bytes/workgroup (compile time only)
; SGPRBlocks: 0
; VGPRBlocks: 0
; NumSGPRsForWavesPerEU: 4
; NumVGPRsForWavesPerEU: 1
; AccumOffset: 4
; Occupancy: 8
; WaveLimiterHint : 0
; COMPUTE_PGM_RSRC2:SCRATCH_EN: 0
; COMPUTE_PGM_RSRC2:USER_SGPR: 6
; COMPUTE_PGM_RSRC2:TRAP_HANDLER: 0
; COMPUTE_PGM_RSRC2:TGID_X_EN: 1
; COMPUTE_PGM_RSRC2:TGID_Y_EN: 0
; COMPUTE_PGM_RSRC2:TGID_Z_EN: 0
; COMPUTE_PGM_RSRC2:TIDIG_COMP_CNT: 0
; COMPUTE_PGM_RSRC3_GFX90A:ACCUM_OFFSET: 0
; COMPUTE_PGM_RSRC3_GFX90A:TG_SPLIT: 0
	.section	.text._ZN7rocprim17ROCPRIM_400000_NS6detail17trampoline_kernelINS0_14default_configENS1_37merge_sort_block_sort_config_selectorIlNS0_10empty_typeEEEZNS1_21merge_sort_block_sortIS3_PlS8_PS5_S9_ZN2at6native12_GLOBAL__N_124unique_dim_cuda_templateIlEESt5tupleIJNSA_6TensorESF_SF_EERKSF_lbbbEUlllE_EE10hipError_tT0_T1_T2_T3_mRjT4_P12ihipStream_tbNS1_7vsmem_tEEUlT_E_NS1_11comp_targetILNS1_3genE10ELNS1_11target_archE1200ELNS1_3gpuE4ELNS1_3repE0EEENS1_30default_config_static_selectorELNS0_4arch9wavefront6targetE1EEEvSM_,"axG",@progbits,_ZN7rocprim17ROCPRIM_400000_NS6detail17trampoline_kernelINS0_14default_configENS1_37merge_sort_block_sort_config_selectorIlNS0_10empty_typeEEEZNS1_21merge_sort_block_sortIS3_PlS8_PS5_S9_ZN2at6native12_GLOBAL__N_124unique_dim_cuda_templateIlEESt5tupleIJNSA_6TensorESF_SF_EERKSF_lbbbEUlllE_EE10hipError_tT0_T1_T2_T3_mRjT4_P12ihipStream_tbNS1_7vsmem_tEEUlT_E_NS1_11comp_targetILNS1_3genE10ELNS1_11target_archE1200ELNS1_3gpuE4ELNS1_3repE0EEENS1_30default_config_static_selectorELNS0_4arch9wavefront6targetE1EEEvSM_,comdat
	.globl	_ZN7rocprim17ROCPRIM_400000_NS6detail17trampoline_kernelINS0_14default_configENS1_37merge_sort_block_sort_config_selectorIlNS0_10empty_typeEEEZNS1_21merge_sort_block_sortIS3_PlS8_PS5_S9_ZN2at6native12_GLOBAL__N_124unique_dim_cuda_templateIlEESt5tupleIJNSA_6TensorESF_SF_EERKSF_lbbbEUlllE_EE10hipError_tT0_T1_T2_T3_mRjT4_P12ihipStream_tbNS1_7vsmem_tEEUlT_E_NS1_11comp_targetILNS1_3genE10ELNS1_11target_archE1200ELNS1_3gpuE4ELNS1_3repE0EEENS1_30default_config_static_selectorELNS0_4arch9wavefront6targetE1EEEvSM_ ; -- Begin function _ZN7rocprim17ROCPRIM_400000_NS6detail17trampoline_kernelINS0_14default_configENS1_37merge_sort_block_sort_config_selectorIlNS0_10empty_typeEEEZNS1_21merge_sort_block_sortIS3_PlS8_PS5_S9_ZN2at6native12_GLOBAL__N_124unique_dim_cuda_templateIlEESt5tupleIJNSA_6TensorESF_SF_EERKSF_lbbbEUlllE_EE10hipError_tT0_T1_T2_T3_mRjT4_P12ihipStream_tbNS1_7vsmem_tEEUlT_E_NS1_11comp_targetILNS1_3genE10ELNS1_11target_archE1200ELNS1_3gpuE4ELNS1_3repE0EEENS1_30default_config_static_selectorELNS0_4arch9wavefront6targetE1EEEvSM_
	.p2align	8
	.type	_ZN7rocprim17ROCPRIM_400000_NS6detail17trampoline_kernelINS0_14default_configENS1_37merge_sort_block_sort_config_selectorIlNS0_10empty_typeEEEZNS1_21merge_sort_block_sortIS3_PlS8_PS5_S9_ZN2at6native12_GLOBAL__N_124unique_dim_cuda_templateIlEESt5tupleIJNSA_6TensorESF_SF_EERKSF_lbbbEUlllE_EE10hipError_tT0_T1_T2_T3_mRjT4_P12ihipStream_tbNS1_7vsmem_tEEUlT_E_NS1_11comp_targetILNS1_3genE10ELNS1_11target_archE1200ELNS1_3gpuE4ELNS1_3repE0EEENS1_30default_config_static_selectorELNS0_4arch9wavefront6targetE1EEEvSM_,@function
_ZN7rocprim17ROCPRIM_400000_NS6detail17trampoline_kernelINS0_14default_configENS1_37merge_sort_block_sort_config_selectorIlNS0_10empty_typeEEEZNS1_21merge_sort_block_sortIS3_PlS8_PS5_S9_ZN2at6native12_GLOBAL__N_124unique_dim_cuda_templateIlEESt5tupleIJNSA_6TensorESF_SF_EERKSF_lbbbEUlllE_EE10hipError_tT0_T1_T2_T3_mRjT4_P12ihipStream_tbNS1_7vsmem_tEEUlT_E_NS1_11comp_targetILNS1_3genE10ELNS1_11target_archE1200ELNS1_3gpuE4ELNS1_3repE0EEENS1_30default_config_static_selectorELNS0_4arch9wavefront6targetE1EEEvSM_: ; @_ZN7rocprim17ROCPRIM_400000_NS6detail17trampoline_kernelINS0_14default_configENS1_37merge_sort_block_sort_config_selectorIlNS0_10empty_typeEEEZNS1_21merge_sort_block_sortIS3_PlS8_PS5_S9_ZN2at6native12_GLOBAL__N_124unique_dim_cuda_templateIlEESt5tupleIJNSA_6TensorESF_SF_EERKSF_lbbbEUlllE_EE10hipError_tT0_T1_T2_T3_mRjT4_P12ihipStream_tbNS1_7vsmem_tEEUlT_E_NS1_11comp_targetILNS1_3genE10ELNS1_11target_archE1200ELNS1_3gpuE4ELNS1_3repE0EEENS1_30default_config_static_selectorELNS0_4arch9wavefront6targetE1EEEvSM_
; %bb.0:
	.section	.rodata,"a",@progbits
	.p2align	6, 0x0
	.amdhsa_kernel _ZN7rocprim17ROCPRIM_400000_NS6detail17trampoline_kernelINS0_14default_configENS1_37merge_sort_block_sort_config_selectorIlNS0_10empty_typeEEEZNS1_21merge_sort_block_sortIS3_PlS8_PS5_S9_ZN2at6native12_GLOBAL__N_124unique_dim_cuda_templateIlEESt5tupleIJNSA_6TensorESF_SF_EERKSF_lbbbEUlllE_EE10hipError_tT0_T1_T2_T3_mRjT4_P12ihipStream_tbNS1_7vsmem_tEEUlT_E_NS1_11comp_targetILNS1_3genE10ELNS1_11target_archE1200ELNS1_3gpuE4ELNS1_3repE0EEENS1_30default_config_static_selectorELNS0_4arch9wavefront6targetE1EEEvSM_
		.amdhsa_group_segment_fixed_size 0
		.amdhsa_private_segment_fixed_size 0
		.amdhsa_kernarg_size 72
		.amdhsa_user_sgpr_count 6
		.amdhsa_user_sgpr_private_segment_buffer 1
		.amdhsa_user_sgpr_dispatch_ptr 0
		.amdhsa_user_sgpr_queue_ptr 0
		.amdhsa_user_sgpr_kernarg_segment_ptr 1
		.amdhsa_user_sgpr_dispatch_id 0
		.amdhsa_user_sgpr_flat_scratch_init 0
		.amdhsa_user_sgpr_kernarg_preload_length 0
		.amdhsa_user_sgpr_kernarg_preload_offset 0
		.amdhsa_user_sgpr_private_segment_size 0
		.amdhsa_uses_dynamic_stack 0
		.amdhsa_system_sgpr_private_segment_wavefront_offset 0
		.amdhsa_system_sgpr_workgroup_id_x 1
		.amdhsa_system_sgpr_workgroup_id_y 0
		.amdhsa_system_sgpr_workgroup_id_z 0
		.amdhsa_system_sgpr_workgroup_info 0
		.amdhsa_system_vgpr_workitem_id 0
		.amdhsa_next_free_vgpr 1
		.amdhsa_next_free_sgpr 0
		.amdhsa_accum_offset 4
		.amdhsa_reserve_vcc 0
		.amdhsa_reserve_flat_scratch 0
		.amdhsa_float_round_mode_32 0
		.amdhsa_float_round_mode_16_64 0
		.amdhsa_float_denorm_mode_32 3
		.amdhsa_float_denorm_mode_16_64 3
		.amdhsa_dx10_clamp 1
		.amdhsa_ieee_mode 1
		.amdhsa_fp16_overflow 0
		.amdhsa_tg_split 0
		.amdhsa_exception_fp_ieee_invalid_op 0
		.amdhsa_exception_fp_denorm_src 0
		.amdhsa_exception_fp_ieee_div_zero 0
		.amdhsa_exception_fp_ieee_overflow 0
		.amdhsa_exception_fp_ieee_underflow 0
		.amdhsa_exception_fp_ieee_inexact 0
		.amdhsa_exception_int_div_zero 0
	.end_amdhsa_kernel
	.section	.text._ZN7rocprim17ROCPRIM_400000_NS6detail17trampoline_kernelINS0_14default_configENS1_37merge_sort_block_sort_config_selectorIlNS0_10empty_typeEEEZNS1_21merge_sort_block_sortIS3_PlS8_PS5_S9_ZN2at6native12_GLOBAL__N_124unique_dim_cuda_templateIlEESt5tupleIJNSA_6TensorESF_SF_EERKSF_lbbbEUlllE_EE10hipError_tT0_T1_T2_T3_mRjT4_P12ihipStream_tbNS1_7vsmem_tEEUlT_E_NS1_11comp_targetILNS1_3genE10ELNS1_11target_archE1200ELNS1_3gpuE4ELNS1_3repE0EEENS1_30default_config_static_selectorELNS0_4arch9wavefront6targetE1EEEvSM_,"axG",@progbits,_ZN7rocprim17ROCPRIM_400000_NS6detail17trampoline_kernelINS0_14default_configENS1_37merge_sort_block_sort_config_selectorIlNS0_10empty_typeEEEZNS1_21merge_sort_block_sortIS3_PlS8_PS5_S9_ZN2at6native12_GLOBAL__N_124unique_dim_cuda_templateIlEESt5tupleIJNSA_6TensorESF_SF_EERKSF_lbbbEUlllE_EE10hipError_tT0_T1_T2_T3_mRjT4_P12ihipStream_tbNS1_7vsmem_tEEUlT_E_NS1_11comp_targetILNS1_3genE10ELNS1_11target_archE1200ELNS1_3gpuE4ELNS1_3repE0EEENS1_30default_config_static_selectorELNS0_4arch9wavefront6targetE1EEEvSM_,comdat
.Lfunc_end511:
	.size	_ZN7rocprim17ROCPRIM_400000_NS6detail17trampoline_kernelINS0_14default_configENS1_37merge_sort_block_sort_config_selectorIlNS0_10empty_typeEEEZNS1_21merge_sort_block_sortIS3_PlS8_PS5_S9_ZN2at6native12_GLOBAL__N_124unique_dim_cuda_templateIlEESt5tupleIJNSA_6TensorESF_SF_EERKSF_lbbbEUlllE_EE10hipError_tT0_T1_T2_T3_mRjT4_P12ihipStream_tbNS1_7vsmem_tEEUlT_E_NS1_11comp_targetILNS1_3genE10ELNS1_11target_archE1200ELNS1_3gpuE4ELNS1_3repE0EEENS1_30default_config_static_selectorELNS0_4arch9wavefront6targetE1EEEvSM_, .Lfunc_end511-_ZN7rocprim17ROCPRIM_400000_NS6detail17trampoline_kernelINS0_14default_configENS1_37merge_sort_block_sort_config_selectorIlNS0_10empty_typeEEEZNS1_21merge_sort_block_sortIS3_PlS8_PS5_S9_ZN2at6native12_GLOBAL__N_124unique_dim_cuda_templateIlEESt5tupleIJNSA_6TensorESF_SF_EERKSF_lbbbEUlllE_EE10hipError_tT0_T1_T2_T3_mRjT4_P12ihipStream_tbNS1_7vsmem_tEEUlT_E_NS1_11comp_targetILNS1_3genE10ELNS1_11target_archE1200ELNS1_3gpuE4ELNS1_3repE0EEENS1_30default_config_static_selectorELNS0_4arch9wavefront6targetE1EEEvSM_
                                        ; -- End function
	.section	.AMDGPU.csdata,"",@progbits
; Kernel info:
; codeLenInByte = 0
; NumSgprs: 4
; NumVgprs: 0
; NumAgprs: 0
; TotalNumVgprs: 0
; ScratchSize: 0
; MemoryBound: 0
; FloatMode: 240
; IeeeMode: 1
; LDSByteSize: 0 bytes/workgroup (compile time only)
; SGPRBlocks: 0
; VGPRBlocks: 0
; NumSGPRsForWavesPerEU: 4
; NumVGPRsForWavesPerEU: 1
; AccumOffset: 4
; Occupancy: 8
; WaveLimiterHint : 0
; COMPUTE_PGM_RSRC2:SCRATCH_EN: 0
; COMPUTE_PGM_RSRC2:USER_SGPR: 6
; COMPUTE_PGM_RSRC2:TRAP_HANDLER: 0
; COMPUTE_PGM_RSRC2:TGID_X_EN: 1
; COMPUTE_PGM_RSRC2:TGID_Y_EN: 0
; COMPUTE_PGM_RSRC2:TGID_Z_EN: 0
; COMPUTE_PGM_RSRC2:TIDIG_COMP_CNT: 0
; COMPUTE_PGM_RSRC3_GFX90A:ACCUM_OFFSET: 0
; COMPUTE_PGM_RSRC3_GFX90A:TG_SPLIT: 0
	.section	.text._ZN7rocprim17ROCPRIM_400000_NS6detail17trampoline_kernelINS0_14default_configENS1_37merge_sort_block_sort_config_selectorIlNS0_10empty_typeEEEZNS1_21merge_sort_block_sortIS3_PlS8_PS5_S9_ZN2at6native12_GLOBAL__N_124unique_dim_cuda_templateIlEESt5tupleIJNSA_6TensorESF_SF_EERKSF_lbbbEUlllE_EE10hipError_tT0_T1_T2_T3_mRjT4_P12ihipStream_tbNS1_7vsmem_tEEUlT_E_NS1_11comp_targetILNS1_3genE9ELNS1_11target_archE1100ELNS1_3gpuE3ELNS1_3repE0EEENS1_30default_config_static_selectorELNS0_4arch9wavefront6targetE1EEEvSM_,"axG",@progbits,_ZN7rocprim17ROCPRIM_400000_NS6detail17trampoline_kernelINS0_14default_configENS1_37merge_sort_block_sort_config_selectorIlNS0_10empty_typeEEEZNS1_21merge_sort_block_sortIS3_PlS8_PS5_S9_ZN2at6native12_GLOBAL__N_124unique_dim_cuda_templateIlEESt5tupleIJNSA_6TensorESF_SF_EERKSF_lbbbEUlllE_EE10hipError_tT0_T1_T2_T3_mRjT4_P12ihipStream_tbNS1_7vsmem_tEEUlT_E_NS1_11comp_targetILNS1_3genE9ELNS1_11target_archE1100ELNS1_3gpuE3ELNS1_3repE0EEENS1_30default_config_static_selectorELNS0_4arch9wavefront6targetE1EEEvSM_,comdat
	.globl	_ZN7rocprim17ROCPRIM_400000_NS6detail17trampoline_kernelINS0_14default_configENS1_37merge_sort_block_sort_config_selectorIlNS0_10empty_typeEEEZNS1_21merge_sort_block_sortIS3_PlS8_PS5_S9_ZN2at6native12_GLOBAL__N_124unique_dim_cuda_templateIlEESt5tupleIJNSA_6TensorESF_SF_EERKSF_lbbbEUlllE_EE10hipError_tT0_T1_T2_T3_mRjT4_P12ihipStream_tbNS1_7vsmem_tEEUlT_E_NS1_11comp_targetILNS1_3genE9ELNS1_11target_archE1100ELNS1_3gpuE3ELNS1_3repE0EEENS1_30default_config_static_selectorELNS0_4arch9wavefront6targetE1EEEvSM_ ; -- Begin function _ZN7rocprim17ROCPRIM_400000_NS6detail17trampoline_kernelINS0_14default_configENS1_37merge_sort_block_sort_config_selectorIlNS0_10empty_typeEEEZNS1_21merge_sort_block_sortIS3_PlS8_PS5_S9_ZN2at6native12_GLOBAL__N_124unique_dim_cuda_templateIlEESt5tupleIJNSA_6TensorESF_SF_EERKSF_lbbbEUlllE_EE10hipError_tT0_T1_T2_T3_mRjT4_P12ihipStream_tbNS1_7vsmem_tEEUlT_E_NS1_11comp_targetILNS1_3genE9ELNS1_11target_archE1100ELNS1_3gpuE3ELNS1_3repE0EEENS1_30default_config_static_selectorELNS0_4arch9wavefront6targetE1EEEvSM_
	.p2align	8
	.type	_ZN7rocprim17ROCPRIM_400000_NS6detail17trampoline_kernelINS0_14default_configENS1_37merge_sort_block_sort_config_selectorIlNS0_10empty_typeEEEZNS1_21merge_sort_block_sortIS3_PlS8_PS5_S9_ZN2at6native12_GLOBAL__N_124unique_dim_cuda_templateIlEESt5tupleIJNSA_6TensorESF_SF_EERKSF_lbbbEUlllE_EE10hipError_tT0_T1_T2_T3_mRjT4_P12ihipStream_tbNS1_7vsmem_tEEUlT_E_NS1_11comp_targetILNS1_3genE9ELNS1_11target_archE1100ELNS1_3gpuE3ELNS1_3repE0EEENS1_30default_config_static_selectorELNS0_4arch9wavefront6targetE1EEEvSM_,@function
_ZN7rocprim17ROCPRIM_400000_NS6detail17trampoline_kernelINS0_14default_configENS1_37merge_sort_block_sort_config_selectorIlNS0_10empty_typeEEEZNS1_21merge_sort_block_sortIS3_PlS8_PS5_S9_ZN2at6native12_GLOBAL__N_124unique_dim_cuda_templateIlEESt5tupleIJNSA_6TensorESF_SF_EERKSF_lbbbEUlllE_EE10hipError_tT0_T1_T2_T3_mRjT4_P12ihipStream_tbNS1_7vsmem_tEEUlT_E_NS1_11comp_targetILNS1_3genE9ELNS1_11target_archE1100ELNS1_3gpuE3ELNS1_3repE0EEENS1_30default_config_static_selectorELNS0_4arch9wavefront6targetE1EEEvSM_: ; @_ZN7rocprim17ROCPRIM_400000_NS6detail17trampoline_kernelINS0_14default_configENS1_37merge_sort_block_sort_config_selectorIlNS0_10empty_typeEEEZNS1_21merge_sort_block_sortIS3_PlS8_PS5_S9_ZN2at6native12_GLOBAL__N_124unique_dim_cuda_templateIlEESt5tupleIJNSA_6TensorESF_SF_EERKSF_lbbbEUlllE_EE10hipError_tT0_T1_T2_T3_mRjT4_P12ihipStream_tbNS1_7vsmem_tEEUlT_E_NS1_11comp_targetILNS1_3genE9ELNS1_11target_archE1100ELNS1_3gpuE3ELNS1_3repE0EEENS1_30default_config_static_selectorELNS0_4arch9wavefront6targetE1EEEvSM_
; %bb.0:
	.section	.rodata,"a",@progbits
	.p2align	6, 0x0
	.amdhsa_kernel _ZN7rocprim17ROCPRIM_400000_NS6detail17trampoline_kernelINS0_14default_configENS1_37merge_sort_block_sort_config_selectorIlNS0_10empty_typeEEEZNS1_21merge_sort_block_sortIS3_PlS8_PS5_S9_ZN2at6native12_GLOBAL__N_124unique_dim_cuda_templateIlEESt5tupleIJNSA_6TensorESF_SF_EERKSF_lbbbEUlllE_EE10hipError_tT0_T1_T2_T3_mRjT4_P12ihipStream_tbNS1_7vsmem_tEEUlT_E_NS1_11comp_targetILNS1_3genE9ELNS1_11target_archE1100ELNS1_3gpuE3ELNS1_3repE0EEENS1_30default_config_static_selectorELNS0_4arch9wavefront6targetE1EEEvSM_
		.amdhsa_group_segment_fixed_size 0
		.amdhsa_private_segment_fixed_size 0
		.amdhsa_kernarg_size 72
		.amdhsa_user_sgpr_count 6
		.amdhsa_user_sgpr_private_segment_buffer 1
		.amdhsa_user_sgpr_dispatch_ptr 0
		.amdhsa_user_sgpr_queue_ptr 0
		.amdhsa_user_sgpr_kernarg_segment_ptr 1
		.amdhsa_user_sgpr_dispatch_id 0
		.amdhsa_user_sgpr_flat_scratch_init 0
		.amdhsa_user_sgpr_kernarg_preload_length 0
		.amdhsa_user_sgpr_kernarg_preload_offset 0
		.amdhsa_user_sgpr_private_segment_size 0
		.amdhsa_uses_dynamic_stack 0
		.amdhsa_system_sgpr_private_segment_wavefront_offset 0
		.amdhsa_system_sgpr_workgroup_id_x 1
		.amdhsa_system_sgpr_workgroup_id_y 0
		.amdhsa_system_sgpr_workgroup_id_z 0
		.amdhsa_system_sgpr_workgroup_info 0
		.amdhsa_system_vgpr_workitem_id 0
		.amdhsa_next_free_vgpr 1
		.amdhsa_next_free_sgpr 0
		.amdhsa_accum_offset 4
		.amdhsa_reserve_vcc 0
		.amdhsa_reserve_flat_scratch 0
		.amdhsa_float_round_mode_32 0
		.amdhsa_float_round_mode_16_64 0
		.amdhsa_float_denorm_mode_32 3
		.amdhsa_float_denorm_mode_16_64 3
		.amdhsa_dx10_clamp 1
		.amdhsa_ieee_mode 1
		.amdhsa_fp16_overflow 0
		.amdhsa_tg_split 0
		.amdhsa_exception_fp_ieee_invalid_op 0
		.amdhsa_exception_fp_denorm_src 0
		.amdhsa_exception_fp_ieee_div_zero 0
		.amdhsa_exception_fp_ieee_overflow 0
		.amdhsa_exception_fp_ieee_underflow 0
		.amdhsa_exception_fp_ieee_inexact 0
		.amdhsa_exception_int_div_zero 0
	.end_amdhsa_kernel
	.section	.text._ZN7rocprim17ROCPRIM_400000_NS6detail17trampoline_kernelINS0_14default_configENS1_37merge_sort_block_sort_config_selectorIlNS0_10empty_typeEEEZNS1_21merge_sort_block_sortIS3_PlS8_PS5_S9_ZN2at6native12_GLOBAL__N_124unique_dim_cuda_templateIlEESt5tupleIJNSA_6TensorESF_SF_EERKSF_lbbbEUlllE_EE10hipError_tT0_T1_T2_T3_mRjT4_P12ihipStream_tbNS1_7vsmem_tEEUlT_E_NS1_11comp_targetILNS1_3genE9ELNS1_11target_archE1100ELNS1_3gpuE3ELNS1_3repE0EEENS1_30default_config_static_selectorELNS0_4arch9wavefront6targetE1EEEvSM_,"axG",@progbits,_ZN7rocprim17ROCPRIM_400000_NS6detail17trampoline_kernelINS0_14default_configENS1_37merge_sort_block_sort_config_selectorIlNS0_10empty_typeEEEZNS1_21merge_sort_block_sortIS3_PlS8_PS5_S9_ZN2at6native12_GLOBAL__N_124unique_dim_cuda_templateIlEESt5tupleIJNSA_6TensorESF_SF_EERKSF_lbbbEUlllE_EE10hipError_tT0_T1_T2_T3_mRjT4_P12ihipStream_tbNS1_7vsmem_tEEUlT_E_NS1_11comp_targetILNS1_3genE9ELNS1_11target_archE1100ELNS1_3gpuE3ELNS1_3repE0EEENS1_30default_config_static_selectorELNS0_4arch9wavefront6targetE1EEEvSM_,comdat
.Lfunc_end512:
	.size	_ZN7rocprim17ROCPRIM_400000_NS6detail17trampoline_kernelINS0_14default_configENS1_37merge_sort_block_sort_config_selectorIlNS0_10empty_typeEEEZNS1_21merge_sort_block_sortIS3_PlS8_PS5_S9_ZN2at6native12_GLOBAL__N_124unique_dim_cuda_templateIlEESt5tupleIJNSA_6TensorESF_SF_EERKSF_lbbbEUlllE_EE10hipError_tT0_T1_T2_T3_mRjT4_P12ihipStream_tbNS1_7vsmem_tEEUlT_E_NS1_11comp_targetILNS1_3genE9ELNS1_11target_archE1100ELNS1_3gpuE3ELNS1_3repE0EEENS1_30default_config_static_selectorELNS0_4arch9wavefront6targetE1EEEvSM_, .Lfunc_end512-_ZN7rocprim17ROCPRIM_400000_NS6detail17trampoline_kernelINS0_14default_configENS1_37merge_sort_block_sort_config_selectorIlNS0_10empty_typeEEEZNS1_21merge_sort_block_sortIS3_PlS8_PS5_S9_ZN2at6native12_GLOBAL__N_124unique_dim_cuda_templateIlEESt5tupleIJNSA_6TensorESF_SF_EERKSF_lbbbEUlllE_EE10hipError_tT0_T1_T2_T3_mRjT4_P12ihipStream_tbNS1_7vsmem_tEEUlT_E_NS1_11comp_targetILNS1_3genE9ELNS1_11target_archE1100ELNS1_3gpuE3ELNS1_3repE0EEENS1_30default_config_static_selectorELNS0_4arch9wavefront6targetE1EEEvSM_
                                        ; -- End function
	.section	.AMDGPU.csdata,"",@progbits
; Kernel info:
; codeLenInByte = 0
; NumSgprs: 4
; NumVgprs: 0
; NumAgprs: 0
; TotalNumVgprs: 0
; ScratchSize: 0
; MemoryBound: 0
; FloatMode: 240
; IeeeMode: 1
; LDSByteSize: 0 bytes/workgroup (compile time only)
; SGPRBlocks: 0
; VGPRBlocks: 0
; NumSGPRsForWavesPerEU: 4
; NumVGPRsForWavesPerEU: 1
; AccumOffset: 4
; Occupancy: 8
; WaveLimiterHint : 0
; COMPUTE_PGM_RSRC2:SCRATCH_EN: 0
; COMPUTE_PGM_RSRC2:USER_SGPR: 6
; COMPUTE_PGM_RSRC2:TRAP_HANDLER: 0
; COMPUTE_PGM_RSRC2:TGID_X_EN: 1
; COMPUTE_PGM_RSRC2:TGID_Y_EN: 0
; COMPUTE_PGM_RSRC2:TGID_Z_EN: 0
; COMPUTE_PGM_RSRC2:TIDIG_COMP_CNT: 0
; COMPUTE_PGM_RSRC3_GFX90A:ACCUM_OFFSET: 0
; COMPUTE_PGM_RSRC3_GFX90A:TG_SPLIT: 0
	.section	.text._ZN7rocprim17ROCPRIM_400000_NS6detail17trampoline_kernelINS0_14default_configENS1_37merge_sort_block_sort_config_selectorIlNS0_10empty_typeEEEZNS1_21merge_sort_block_sortIS3_PlS8_PS5_S9_ZN2at6native12_GLOBAL__N_124unique_dim_cuda_templateIlEESt5tupleIJNSA_6TensorESF_SF_EERKSF_lbbbEUlllE_EE10hipError_tT0_T1_T2_T3_mRjT4_P12ihipStream_tbNS1_7vsmem_tEEUlT_E_NS1_11comp_targetILNS1_3genE8ELNS1_11target_archE1030ELNS1_3gpuE2ELNS1_3repE0EEENS1_30default_config_static_selectorELNS0_4arch9wavefront6targetE1EEEvSM_,"axG",@progbits,_ZN7rocprim17ROCPRIM_400000_NS6detail17trampoline_kernelINS0_14default_configENS1_37merge_sort_block_sort_config_selectorIlNS0_10empty_typeEEEZNS1_21merge_sort_block_sortIS3_PlS8_PS5_S9_ZN2at6native12_GLOBAL__N_124unique_dim_cuda_templateIlEESt5tupleIJNSA_6TensorESF_SF_EERKSF_lbbbEUlllE_EE10hipError_tT0_T1_T2_T3_mRjT4_P12ihipStream_tbNS1_7vsmem_tEEUlT_E_NS1_11comp_targetILNS1_3genE8ELNS1_11target_archE1030ELNS1_3gpuE2ELNS1_3repE0EEENS1_30default_config_static_selectorELNS0_4arch9wavefront6targetE1EEEvSM_,comdat
	.globl	_ZN7rocprim17ROCPRIM_400000_NS6detail17trampoline_kernelINS0_14default_configENS1_37merge_sort_block_sort_config_selectorIlNS0_10empty_typeEEEZNS1_21merge_sort_block_sortIS3_PlS8_PS5_S9_ZN2at6native12_GLOBAL__N_124unique_dim_cuda_templateIlEESt5tupleIJNSA_6TensorESF_SF_EERKSF_lbbbEUlllE_EE10hipError_tT0_T1_T2_T3_mRjT4_P12ihipStream_tbNS1_7vsmem_tEEUlT_E_NS1_11comp_targetILNS1_3genE8ELNS1_11target_archE1030ELNS1_3gpuE2ELNS1_3repE0EEENS1_30default_config_static_selectorELNS0_4arch9wavefront6targetE1EEEvSM_ ; -- Begin function _ZN7rocprim17ROCPRIM_400000_NS6detail17trampoline_kernelINS0_14default_configENS1_37merge_sort_block_sort_config_selectorIlNS0_10empty_typeEEEZNS1_21merge_sort_block_sortIS3_PlS8_PS5_S9_ZN2at6native12_GLOBAL__N_124unique_dim_cuda_templateIlEESt5tupleIJNSA_6TensorESF_SF_EERKSF_lbbbEUlllE_EE10hipError_tT0_T1_T2_T3_mRjT4_P12ihipStream_tbNS1_7vsmem_tEEUlT_E_NS1_11comp_targetILNS1_3genE8ELNS1_11target_archE1030ELNS1_3gpuE2ELNS1_3repE0EEENS1_30default_config_static_selectorELNS0_4arch9wavefront6targetE1EEEvSM_
	.p2align	8
	.type	_ZN7rocprim17ROCPRIM_400000_NS6detail17trampoline_kernelINS0_14default_configENS1_37merge_sort_block_sort_config_selectorIlNS0_10empty_typeEEEZNS1_21merge_sort_block_sortIS3_PlS8_PS5_S9_ZN2at6native12_GLOBAL__N_124unique_dim_cuda_templateIlEESt5tupleIJNSA_6TensorESF_SF_EERKSF_lbbbEUlllE_EE10hipError_tT0_T1_T2_T3_mRjT4_P12ihipStream_tbNS1_7vsmem_tEEUlT_E_NS1_11comp_targetILNS1_3genE8ELNS1_11target_archE1030ELNS1_3gpuE2ELNS1_3repE0EEENS1_30default_config_static_selectorELNS0_4arch9wavefront6targetE1EEEvSM_,@function
_ZN7rocprim17ROCPRIM_400000_NS6detail17trampoline_kernelINS0_14default_configENS1_37merge_sort_block_sort_config_selectorIlNS0_10empty_typeEEEZNS1_21merge_sort_block_sortIS3_PlS8_PS5_S9_ZN2at6native12_GLOBAL__N_124unique_dim_cuda_templateIlEESt5tupleIJNSA_6TensorESF_SF_EERKSF_lbbbEUlllE_EE10hipError_tT0_T1_T2_T3_mRjT4_P12ihipStream_tbNS1_7vsmem_tEEUlT_E_NS1_11comp_targetILNS1_3genE8ELNS1_11target_archE1030ELNS1_3gpuE2ELNS1_3repE0EEENS1_30default_config_static_selectorELNS0_4arch9wavefront6targetE1EEEvSM_: ; @_ZN7rocprim17ROCPRIM_400000_NS6detail17trampoline_kernelINS0_14default_configENS1_37merge_sort_block_sort_config_selectorIlNS0_10empty_typeEEEZNS1_21merge_sort_block_sortIS3_PlS8_PS5_S9_ZN2at6native12_GLOBAL__N_124unique_dim_cuda_templateIlEESt5tupleIJNSA_6TensorESF_SF_EERKSF_lbbbEUlllE_EE10hipError_tT0_T1_T2_T3_mRjT4_P12ihipStream_tbNS1_7vsmem_tEEUlT_E_NS1_11comp_targetILNS1_3genE8ELNS1_11target_archE1030ELNS1_3gpuE2ELNS1_3repE0EEENS1_30default_config_static_selectorELNS0_4arch9wavefront6targetE1EEEvSM_
; %bb.0:
	.section	.rodata,"a",@progbits
	.p2align	6, 0x0
	.amdhsa_kernel _ZN7rocprim17ROCPRIM_400000_NS6detail17trampoline_kernelINS0_14default_configENS1_37merge_sort_block_sort_config_selectorIlNS0_10empty_typeEEEZNS1_21merge_sort_block_sortIS3_PlS8_PS5_S9_ZN2at6native12_GLOBAL__N_124unique_dim_cuda_templateIlEESt5tupleIJNSA_6TensorESF_SF_EERKSF_lbbbEUlllE_EE10hipError_tT0_T1_T2_T3_mRjT4_P12ihipStream_tbNS1_7vsmem_tEEUlT_E_NS1_11comp_targetILNS1_3genE8ELNS1_11target_archE1030ELNS1_3gpuE2ELNS1_3repE0EEENS1_30default_config_static_selectorELNS0_4arch9wavefront6targetE1EEEvSM_
		.amdhsa_group_segment_fixed_size 0
		.amdhsa_private_segment_fixed_size 0
		.amdhsa_kernarg_size 72
		.amdhsa_user_sgpr_count 6
		.amdhsa_user_sgpr_private_segment_buffer 1
		.amdhsa_user_sgpr_dispatch_ptr 0
		.amdhsa_user_sgpr_queue_ptr 0
		.amdhsa_user_sgpr_kernarg_segment_ptr 1
		.amdhsa_user_sgpr_dispatch_id 0
		.amdhsa_user_sgpr_flat_scratch_init 0
		.amdhsa_user_sgpr_kernarg_preload_length 0
		.amdhsa_user_sgpr_kernarg_preload_offset 0
		.amdhsa_user_sgpr_private_segment_size 0
		.amdhsa_uses_dynamic_stack 0
		.amdhsa_system_sgpr_private_segment_wavefront_offset 0
		.amdhsa_system_sgpr_workgroup_id_x 1
		.amdhsa_system_sgpr_workgroup_id_y 0
		.amdhsa_system_sgpr_workgroup_id_z 0
		.amdhsa_system_sgpr_workgroup_info 0
		.amdhsa_system_vgpr_workitem_id 0
		.amdhsa_next_free_vgpr 1
		.amdhsa_next_free_sgpr 0
		.amdhsa_accum_offset 4
		.amdhsa_reserve_vcc 0
		.amdhsa_reserve_flat_scratch 0
		.amdhsa_float_round_mode_32 0
		.amdhsa_float_round_mode_16_64 0
		.amdhsa_float_denorm_mode_32 3
		.amdhsa_float_denorm_mode_16_64 3
		.amdhsa_dx10_clamp 1
		.amdhsa_ieee_mode 1
		.amdhsa_fp16_overflow 0
		.amdhsa_tg_split 0
		.amdhsa_exception_fp_ieee_invalid_op 0
		.amdhsa_exception_fp_denorm_src 0
		.amdhsa_exception_fp_ieee_div_zero 0
		.amdhsa_exception_fp_ieee_overflow 0
		.amdhsa_exception_fp_ieee_underflow 0
		.amdhsa_exception_fp_ieee_inexact 0
		.amdhsa_exception_int_div_zero 0
	.end_amdhsa_kernel
	.section	.text._ZN7rocprim17ROCPRIM_400000_NS6detail17trampoline_kernelINS0_14default_configENS1_37merge_sort_block_sort_config_selectorIlNS0_10empty_typeEEEZNS1_21merge_sort_block_sortIS3_PlS8_PS5_S9_ZN2at6native12_GLOBAL__N_124unique_dim_cuda_templateIlEESt5tupleIJNSA_6TensorESF_SF_EERKSF_lbbbEUlllE_EE10hipError_tT0_T1_T2_T3_mRjT4_P12ihipStream_tbNS1_7vsmem_tEEUlT_E_NS1_11comp_targetILNS1_3genE8ELNS1_11target_archE1030ELNS1_3gpuE2ELNS1_3repE0EEENS1_30default_config_static_selectorELNS0_4arch9wavefront6targetE1EEEvSM_,"axG",@progbits,_ZN7rocprim17ROCPRIM_400000_NS6detail17trampoline_kernelINS0_14default_configENS1_37merge_sort_block_sort_config_selectorIlNS0_10empty_typeEEEZNS1_21merge_sort_block_sortIS3_PlS8_PS5_S9_ZN2at6native12_GLOBAL__N_124unique_dim_cuda_templateIlEESt5tupleIJNSA_6TensorESF_SF_EERKSF_lbbbEUlllE_EE10hipError_tT0_T1_T2_T3_mRjT4_P12ihipStream_tbNS1_7vsmem_tEEUlT_E_NS1_11comp_targetILNS1_3genE8ELNS1_11target_archE1030ELNS1_3gpuE2ELNS1_3repE0EEENS1_30default_config_static_selectorELNS0_4arch9wavefront6targetE1EEEvSM_,comdat
.Lfunc_end513:
	.size	_ZN7rocprim17ROCPRIM_400000_NS6detail17trampoline_kernelINS0_14default_configENS1_37merge_sort_block_sort_config_selectorIlNS0_10empty_typeEEEZNS1_21merge_sort_block_sortIS3_PlS8_PS5_S9_ZN2at6native12_GLOBAL__N_124unique_dim_cuda_templateIlEESt5tupleIJNSA_6TensorESF_SF_EERKSF_lbbbEUlllE_EE10hipError_tT0_T1_T2_T3_mRjT4_P12ihipStream_tbNS1_7vsmem_tEEUlT_E_NS1_11comp_targetILNS1_3genE8ELNS1_11target_archE1030ELNS1_3gpuE2ELNS1_3repE0EEENS1_30default_config_static_selectorELNS0_4arch9wavefront6targetE1EEEvSM_, .Lfunc_end513-_ZN7rocprim17ROCPRIM_400000_NS6detail17trampoline_kernelINS0_14default_configENS1_37merge_sort_block_sort_config_selectorIlNS0_10empty_typeEEEZNS1_21merge_sort_block_sortIS3_PlS8_PS5_S9_ZN2at6native12_GLOBAL__N_124unique_dim_cuda_templateIlEESt5tupleIJNSA_6TensorESF_SF_EERKSF_lbbbEUlllE_EE10hipError_tT0_T1_T2_T3_mRjT4_P12ihipStream_tbNS1_7vsmem_tEEUlT_E_NS1_11comp_targetILNS1_3genE8ELNS1_11target_archE1030ELNS1_3gpuE2ELNS1_3repE0EEENS1_30default_config_static_selectorELNS0_4arch9wavefront6targetE1EEEvSM_
                                        ; -- End function
	.section	.AMDGPU.csdata,"",@progbits
; Kernel info:
; codeLenInByte = 0
; NumSgprs: 4
; NumVgprs: 0
; NumAgprs: 0
; TotalNumVgprs: 0
; ScratchSize: 0
; MemoryBound: 0
; FloatMode: 240
; IeeeMode: 1
; LDSByteSize: 0 bytes/workgroup (compile time only)
; SGPRBlocks: 0
; VGPRBlocks: 0
; NumSGPRsForWavesPerEU: 4
; NumVGPRsForWavesPerEU: 1
; AccumOffset: 4
; Occupancy: 8
; WaveLimiterHint : 0
; COMPUTE_PGM_RSRC2:SCRATCH_EN: 0
; COMPUTE_PGM_RSRC2:USER_SGPR: 6
; COMPUTE_PGM_RSRC2:TRAP_HANDLER: 0
; COMPUTE_PGM_RSRC2:TGID_X_EN: 1
; COMPUTE_PGM_RSRC2:TGID_Y_EN: 0
; COMPUTE_PGM_RSRC2:TGID_Z_EN: 0
; COMPUTE_PGM_RSRC2:TIDIG_COMP_CNT: 0
; COMPUTE_PGM_RSRC3_GFX90A:ACCUM_OFFSET: 0
; COMPUTE_PGM_RSRC3_GFX90A:TG_SPLIT: 0
	.section	.text._ZN7rocprim17ROCPRIM_400000_NS6detail17trampoline_kernelINS0_14default_configENS1_38merge_sort_block_merge_config_selectorIlNS0_10empty_typeEEEZZNS1_27merge_sort_block_merge_implIS3_PlPS5_mZN2at6native12_GLOBAL__N_124unique_dim_cuda_templateIlEESt5tupleIJNSA_6TensorESF_SF_EERKSF_lbbbEUlllE_EE10hipError_tT0_T1_T2_jT3_P12ihipStream_tbPNSt15iterator_traitsISL_E10value_typeEPNSR_ISM_E10value_typeEPSN_NS1_7vsmem_tEENKUlT_SL_SM_SN_E_clIS8_S8_S9_S9_EESK_S10_SL_SM_SN_EUlS10_E_NS1_11comp_targetILNS1_3genE0ELNS1_11target_archE4294967295ELNS1_3gpuE0ELNS1_3repE0EEENS1_48merge_mergepath_partition_config_static_selectorELNS0_4arch9wavefront6targetE1EEEvSM_,"axG",@progbits,_ZN7rocprim17ROCPRIM_400000_NS6detail17trampoline_kernelINS0_14default_configENS1_38merge_sort_block_merge_config_selectorIlNS0_10empty_typeEEEZZNS1_27merge_sort_block_merge_implIS3_PlPS5_mZN2at6native12_GLOBAL__N_124unique_dim_cuda_templateIlEESt5tupleIJNSA_6TensorESF_SF_EERKSF_lbbbEUlllE_EE10hipError_tT0_T1_T2_jT3_P12ihipStream_tbPNSt15iterator_traitsISL_E10value_typeEPNSR_ISM_E10value_typeEPSN_NS1_7vsmem_tEENKUlT_SL_SM_SN_E_clIS8_S8_S9_S9_EESK_S10_SL_SM_SN_EUlS10_E_NS1_11comp_targetILNS1_3genE0ELNS1_11target_archE4294967295ELNS1_3gpuE0ELNS1_3repE0EEENS1_48merge_mergepath_partition_config_static_selectorELNS0_4arch9wavefront6targetE1EEEvSM_,comdat
	.globl	_ZN7rocprim17ROCPRIM_400000_NS6detail17trampoline_kernelINS0_14default_configENS1_38merge_sort_block_merge_config_selectorIlNS0_10empty_typeEEEZZNS1_27merge_sort_block_merge_implIS3_PlPS5_mZN2at6native12_GLOBAL__N_124unique_dim_cuda_templateIlEESt5tupleIJNSA_6TensorESF_SF_EERKSF_lbbbEUlllE_EE10hipError_tT0_T1_T2_jT3_P12ihipStream_tbPNSt15iterator_traitsISL_E10value_typeEPNSR_ISM_E10value_typeEPSN_NS1_7vsmem_tEENKUlT_SL_SM_SN_E_clIS8_S8_S9_S9_EESK_S10_SL_SM_SN_EUlS10_E_NS1_11comp_targetILNS1_3genE0ELNS1_11target_archE4294967295ELNS1_3gpuE0ELNS1_3repE0EEENS1_48merge_mergepath_partition_config_static_selectorELNS0_4arch9wavefront6targetE1EEEvSM_ ; -- Begin function _ZN7rocprim17ROCPRIM_400000_NS6detail17trampoline_kernelINS0_14default_configENS1_38merge_sort_block_merge_config_selectorIlNS0_10empty_typeEEEZZNS1_27merge_sort_block_merge_implIS3_PlPS5_mZN2at6native12_GLOBAL__N_124unique_dim_cuda_templateIlEESt5tupleIJNSA_6TensorESF_SF_EERKSF_lbbbEUlllE_EE10hipError_tT0_T1_T2_jT3_P12ihipStream_tbPNSt15iterator_traitsISL_E10value_typeEPNSR_ISM_E10value_typeEPSN_NS1_7vsmem_tEENKUlT_SL_SM_SN_E_clIS8_S8_S9_S9_EESK_S10_SL_SM_SN_EUlS10_E_NS1_11comp_targetILNS1_3genE0ELNS1_11target_archE4294967295ELNS1_3gpuE0ELNS1_3repE0EEENS1_48merge_mergepath_partition_config_static_selectorELNS0_4arch9wavefront6targetE1EEEvSM_
	.p2align	8
	.type	_ZN7rocprim17ROCPRIM_400000_NS6detail17trampoline_kernelINS0_14default_configENS1_38merge_sort_block_merge_config_selectorIlNS0_10empty_typeEEEZZNS1_27merge_sort_block_merge_implIS3_PlPS5_mZN2at6native12_GLOBAL__N_124unique_dim_cuda_templateIlEESt5tupleIJNSA_6TensorESF_SF_EERKSF_lbbbEUlllE_EE10hipError_tT0_T1_T2_jT3_P12ihipStream_tbPNSt15iterator_traitsISL_E10value_typeEPNSR_ISM_E10value_typeEPSN_NS1_7vsmem_tEENKUlT_SL_SM_SN_E_clIS8_S8_S9_S9_EESK_S10_SL_SM_SN_EUlS10_E_NS1_11comp_targetILNS1_3genE0ELNS1_11target_archE4294967295ELNS1_3gpuE0ELNS1_3repE0EEENS1_48merge_mergepath_partition_config_static_selectorELNS0_4arch9wavefront6targetE1EEEvSM_,@function
_ZN7rocprim17ROCPRIM_400000_NS6detail17trampoline_kernelINS0_14default_configENS1_38merge_sort_block_merge_config_selectorIlNS0_10empty_typeEEEZZNS1_27merge_sort_block_merge_implIS3_PlPS5_mZN2at6native12_GLOBAL__N_124unique_dim_cuda_templateIlEESt5tupleIJNSA_6TensorESF_SF_EERKSF_lbbbEUlllE_EE10hipError_tT0_T1_T2_jT3_P12ihipStream_tbPNSt15iterator_traitsISL_E10value_typeEPNSR_ISM_E10value_typeEPSN_NS1_7vsmem_tEENKUlT_SL_SM_SN_E_clIS8_S8_S9_S9_EESK_S10_SL_SM_SN_EUlS10_E_NS1_11comp_targetILNS1_3genE0ELNS1_11target_archE4294967295ELNS1_3gpuE0ELNS1_3repE0EEENS1_48merge_mergepath_partition_config_static_selectorELNS0_4arch9wavefront6targetE1EEEvSM_: ; @_ZN7rocprim17ROCPRIM_400000_NS6detail17trampoline_kernelINS0_14default_configENS1_38merge_sort_block_merge_config_selectorIlNS0_10empty_typeEEEZZNS1_27merge_sort_block_merge_implIS3_PlPS5_mZN2at6native12_GLOBAL__N_124unique_dim_cuda_templateIlEESt5tupleIJNSA_6TensorESF_SF_EERKSF_lbbbEUlllE_EE10hipError_tT0_T1_T2_jT3_P12ihipStream_tbPNSt15iterator_traitsISL_E10value_typeEPNSR_ISM_E10value_typeEPSN_NS1_7vsmem_tEENKUlT_SL_SM_SN_E_clIS8_S8_S9_S9_EESK_S10_SL_SM_SN_EUlS10_E_NS1_11comp_targetILNS1_3genE0ELNS1_11target_archE4294967295ELNS1_3gpuE0ELNS1_3repE0EEENS1_48merge_mergepath_partition_config_static_selectorELNS0_4arch9wavefront6targetE1EEEvSM_
; %bb.0:
	.section	.rodata,"a",@progbits
	.p2align	6, 0x0
	.amdhsa_kernel _ZN7rocprim17ROCPRIM_400000_NS6detail17trampoline_kernelINS0_14default_configENS1_38merge_sort_block_merge_config_selectorIlNS0_10empty_typeEEEZZNS1_27merge_sort_block_merge_implIS3_PlPS5_mZN2at6native12_GLOBAL__N_124unique_dim_cuda_templateIlEESt5tupleIJNSA_6TensorESF_SF_EERKSF_lbbbEUlllE_EE10hipError_tT0_T1_T2_jT3_P12ihipStream_tbPNSt15iterator_traitsISL_E10value_typeEPNSR_ISM_E10value_typeEPSN_NS1_7vsmem_tEENKUlT_SL_SM_SN_E_clIS8_S8_S9_S9_EESK_S10_SL_SM_SN_EUlS10_E_NS1_11comp_targetILNS1_3genE0ELNS1_11target_archE4294967295ELNS1_3gpuE0ELNS1_3repE0EEENS1_48merge_mergepath_partition_config_static_selectorELNS0_4arch9wavefront6targetE1EEEvSM_
		.amdhsa_group_segment_fixed_size 0
		.amdhsa_private_segment_fixed_size 0
		.amdhsa_kernarg_size 56
		.amdhsa_user_sgpr_count 6
		.amdhsa_user_sgpr_private_segment_buffer 1
		.amdhsa_user_sgpr_dispatch_ptr 0
		.amdhsa_user_sgpr_queue_ptr 0
		.amdhsa_user_sgpr_kernarg_segment_ptr 1
		.amdhsa_user_sgpr_dispatch_id 0
		.amdhsa_user_sgpr_flat_scratch_init 0
		.amdhsa_user_sgpr_kernarg_preload_length 0
		.amdhsa_user_sgpr_kernarg_preload_offset 0
		.amdhsa_user_sgpr_private_segment_size 0
		.amdhsa_uses_dynamic_stack 0
		.amdhsa_system_sgpr_private_segment_wavefront_offset 0
		.amdhsa_system_sgpr_workgroup_id_x 1
		.amdhsa_system_sgpr_workgroup_id_y 0
		.amdhsa_system_sgpr_workgroup_id_z 0
		.amdhsa_system_sgpr_workgroup_info 0
		.amdhsa_system_vgpr_workitem_id 0
		.amdhsa_next_free_vgpr 1
		.amdhsa_next_free_sgpr 0
		.amdhsa_accum_offset 4
		.amdhsa_reserve_vcc 0
		.amdhsa_reserve_flat_scratch 0
		.amdhsa_float_round_mode_32 0
		.amdhsa_float_round_mode_16_64 0
		.amdhsa_float_denorm_mode_32 3
		.amdhsa_float_denorm_mode_16_64 3
		.amdhsa_dx10_clamp 1
		.amdhsa_ieee_mode 1
		.amdhsa_fp16_overflow 0
		.amdhsa_tg_split 0
		.amdhsa_exception_fp_ieee_invalid_op 0
		.amdhsa_exception_fp_denorm_src 0
		.amdhsa_exception_fp_ieee_div_zero 0
		.amdhsa_exception_fp_ieee_overflow 0
		.amdhsa_exception_fp_ieee_underflow 0
		.amdhsa_exception_fp_ieee_inexact 0
		.amdhsa_exception_int_div_zero 0
	.end_amdhsa_kernel
	.section	.text._ZN7rocprim17ROCPRIM_400000_NS6detail17trampoline_kernelINS0_14default_configENS1_38merge_sort_block_merge_config_selectorIlNS0_10empty_typeEEEZZNS1_27merge_sort_block_merge_implIS3_PlPS5_mZN2at6native12_GLOBAL__N_124unique_dim_cuda_templateIlEESt5tupleIJNSA_6TensorESF_SF_EERKSF_lbbbEUlllE_EE10hipError_tT0_T1_T2_jT3_P12ihipStream_tbPNSt15iterator_traitsISL_E10value_typeEPNSR_ISM_E10value_typeEPSN_NS1_7vsmem_tEENKUlT_SL_SM_SN_E_clIS8_S8_S9_S9_EESK_S10_SL_SM_SN_EUlS10_E_NS1_11comp_targetILNS1_3genE0ELNS1_11target_archE4294967295ELNS1_3gpuE0ELNS1_3repE0EEENS1_48merge_mergepath_partition_config_static_selectorELNS0_4arch9wavefront6targetE1EEEvSM_,"axG",@progbits,_ZN7rocprim17ROCPRIM_400000_NS6detail17trampoline_kernelINS0_14default_configENS1_38merge_sort_block_merge_config_selectorIlNS0_10empty_typeEEEZZNS1_27merge_sort_block_merge_implIS3_PlPS5_mZN2at6native12_GLOBAL__N_124unique_dim_cuda_templateIlEESt5tupleIJNSA_6TensorESF_SF_EERKSF_lbbbEUlllE_EE10hipError_tT0_T1_T2_jT3_P12ihipStream_tbPNSt15iterator_traitsISL_E10value_typeEPNSR_ISM_E10value_typeEPSN_NS1_7vsmem_tEENKUlT_SL_SM_SN_E_clIS8_S8_S9_S9_EESK_S10_SL_SM_SN_EUlS10_E_NS1_11comp_targetILNS1_3genE0ELNS1_11target_archE4294967295ELNS1_3gpuE0ELNS1_3repE0EEENS1_48merge_mergepath_partition_config_static_selectorELNS0_4arch9wavefront6targetE1EEEvSM_,comdat
.Lfunc_end514:
	.size	_ZN7rocprim17ROCPRIM_400000_NS6detail17trampoline_kernelINS0_14default_configENS1_38merge_sort_block_merge_config_selectorIlNS0_10empty_typeEEEZZNS1_27merge_sort_block_merge_implIS3_PlPS5_mZN2at6native12_GLOBAL__N_124unique_dim_cuda_templateIlEESt5tupleIJNSA_6TensorESF_SF_EERKSF_lbbbEUlllE_EE10hipError_tT0_T1_T2_jT3_P12ihipStream_tbPNSt15iterator_traitsISL_E10value_typeEPNSR_ISM_E10value_typeEPSN_NS1_7vsmem_tEENKUlT_SL_SM_SN_E_clIS8_S8_S9_S9_EESK_S10_SL_SM_SN_EUlS10_E_NS1_11comp_targetILNS1_3genE0ELNS1_11target_archE4294967295ELNS1_3gpuE0ELNS1_3repE0EEENS1_48merge_mergepath_partition_config_static_selectorELNS0_4arch9wavefront6targetE1EEEvSM_, .Lfunc_end514-_ZN7rocprim17ROCPRIM_400000_NS6detail17trampoline_kernelINS0_14default_configENS1_38merge_sort_block_merge_config_selectorIlNS0_10empty_typeEEEZZNS1_27merge_sort_block_merge_implIS3_PlPS5_mZN2at6native12_GLOBAL__N_124unique_dim_cuda_templateIlEESt5tupleIJNSA_6TensorESF_SF_EERKSF_lbbbEUlllE_EE10hipError_tT0_T1_T2_jT3_P12ihipStream_tbPNSt15iterator_traitsISL_E10value_typeEPNSR_ISM_E10value_typeEPSN_NS1_7vsmem_tEENKUlT_SL_SM_SN_E_clIS8_S8_S9_S9_EESK_S10_SL_SM_SN_EUlS10_E_NS1_11comp_targetILNS1_3genE0ELNS1_11target_archE4294967295ELNS1_3gpuE0ELNS1_3repE0EEENS1_48merge_mergepath_partition_config_static_selectorELNS0_4arch9wavefront6targetE1EEEvSM_
                                        ; -- End function
	.section	.AMDGPU.csdata,"",@progbits
; Kernel info:
; codeLenInByte = 0
; NumSgprs: 4
; NumVgprs: 0
; NumAgprs: 0
; TotalNumVgprs: 0
; ScratchSize: 0
; MemoryBound: 0
; FloatMode: 240
; IeeeMode: 1
; LDSByteSize: 0 bytes/workgroup (compile time only)
; SGPRBlocks: 0
; VGPRBlocks: 0
; NumSGPRsForWavesPerEU: 4
; NumVGPRsForWavesPerEU: 1
; AccumOffset: 4
; Occupancy: 8
; WaveLimiterHint : 0
; COMPUTE_PGM_RSRC2:SCRATCH_EN: 0
; COMPUTE_PGM_RSRC2:USER_SGPR: 6
; COMPUTE_PGM_RSRC2:TRAP_HANDLER: 0
; COMPUTE_PGM_RSRC2:TGID_X_EN: 1
; COMPUTE_PGM_RSRC2:TGID_Y_EN: 0
; COMPUTE_PGM_RSRC2:TGID_Z_EN: 0
; COMPUTE_PGM_RSRC2:TIDIG_COMP_CNT: 0
; COMPUTE_PGM_RSRC3_GFX90A:ACCUM_OFFSET: 0
; COMPUTE_PGM_RSRC3_GFX90A:TG_SPLIT: 0
	.section	.text._ZN7rocprim17ROCPRIM_400000_NS6detail17trampoline_kernelINS0_14default_configENS1_38merge_sort_block_merge_config_selectorIlNS0_10empty_typeEEEZZNS1_27merge_sort_block_merge_implIS3_PlPS5_mZN2at6native12_GLOBAL__N_124unique_dim_cuda_templateIlEESt5tupleIJNSA_6TensorESF_SF_EERKSF_lbbbEUlllE_EE10hipError_tT0_T1_T2_jT3_P12ihipStream_tbPNSt15iterator_traitsISL_E10value_typeEPNSR_ISM_E10value_typeEPSN_NS1_7vsmem_tEENKUlT_SL_SM_SN_E_clIS8_S8_S9_S9_EESK_S10_SL_SM_SN_EUlS10_E_NS1_11comp_targetILNS1_3genE10ELNS1_11target_archE1201ELNS1_3gpuE5ELNS1_3repE0EEENS1_48merge_mergepath_partition_config_static_selectorELNS0_4arch9wavefront6targetE1EEEvSM_,"axG",@progbits,_ZN7rocprim17ROCPRIM_400000_NS6detail17trampoline_kernelINS0_14default_configENS1_38merge_sort_block_merge_config_selectorIlNS0_10empty_typeEEEZZNS1_27merge_sort_block_merge_implIS3_PlPS5_mZN2at6native12_GLOBAL__N_124unique_dim_cuda_templateIlEESt5tupleIJNSA_6TensorESF_SF_EERKSF_lbbbEUlllE_EE10hipError_tT0_T1_T2_jT3_P12ihipStream_tbPNSt15iterator_traitsISL_E10value_typeEPNSR_ISM_E10value_typeEPSN_NS1_7vsmem_tEENKUlT_SL_SM_SN_E_clIS8_S8_S9_S9_EESK_S10_SL_SM_SN_EUlS10_E_NS1_11comp_targetILNS1_3genE10ELNS1_11target_archE1201ELNS1_3gpuE5ELNS1_3repE0EEENS1_48merge_mergepath_partition_config_static_selectorELNS0_4arch9wavefront6targetE1EEEvSM_,comdat
	.globl	_ZN7rocprim17ROCPRIM_400000_NS6detail17trampoline_kernelINS0_14default_configENS1_38merge_sort_block_merge_config_selectorIlNS0_10empty_typeEEEZZNS1_27merge_sort_block_merge_implIS3_PlPS5_mZN2at6native12_GLOBAL__N_124unique_dim_cuda_templateIlEESt5tupleIJNSA_6TensorESF_SF_EERKSF_lbbbEUlllE_EE10hipError_tT0_T1_T2_jT3_P12ihipStream_tbPNSt15iterator_traitsISL_E10value_typeEPNSR_ISM_E10value_typeEPSN_NS1_7vsmem_tEENKUlT_SL_SM_SN_E_clIS8_S8_S9_S9_EESK_S10_SL_SM_SN_EUlS10_E_NS1_11comp_targetILNS1_3genE10ELNS1_11target_archE1201ELNS1_3gpuE5ELNS1_3repE0EEENS1_48merge_mergepath_partition_config_static_selectorELNS0_4arch9wavefront6targetE1EEEvSM_ ; -- Begin function _ZN7rocprim17ROCPRIM_400000_NS6detail17trampoline_kernelINS0_14default_configENS1_38merge_sort_block_merge_config_selectorIlNS0_10empty_typeEEEZZNS1_27merge_sort_block_merge_implIS3_PlPS5_mZN2at6native12_GLOBAL__N_124unique_dim_cuda_templateIlEESt5tupleIJNSA_6TensorESF_SF_EERKSF_lbbbEUlllE_EE10hipError_tT0_T1_T2_jT3_P12ihipStream_tbPNSt15iterator_traitsISL_E10value_typeEPNSR_ISM_E10value_typeEPSN_NS1_7vsmem_tEENKUlT_SL_SM_SN_E_clIS8_S8_S9_S9_EESK_S10_SL_SM_SN_EUlS10_E_NS1_11comp_targetILNS1_3genE10ELNS1_11target_archE1201ELNS1_3gpuE5ELNS1_3repE0EEENS1_48merge_mergepath_partition_config_static_selectorELNS0_4arch9wavefront6targetE1EEEvSM_
	.p2align	8
	.type	_ZN7rocprim17ROCPRIM_400000_NS6detail17trampoline_kernelINS0_14default_configENS1_38merge_sort_block_merge_config_selectorIlNS0_10empty_typeEEEZZNS1_27merge_sort_block_merge_implIS3_PlPS5_mZN2at6native12_GLOBAL__N_124unique_dim_cuda_templateIlEESt5tupleIJNSA_6TensorESF_SF_EERKSF_lbbbEUlllE_EE10hipError_tT0_T1_T2_jT3_P12ihipStream_tbPNSt15iterator_traitsISL_E10value_typeEPNSR_ISM_E10value_typeEPSN_NS1_7vsmem_tEENKUlT_SL_SM_SN_E_clIS8_S8_S9_S9_EESK_S10_SL_SM_SN_EUlS10_E_NS1_11comp_targetILNS1_3genE10ELNS1_11target_archE1201ELNS1_3gpuE5ELNS1_3repE0EEENS1_48merge_mergepath_partition_config_static_selectorELNS0_4arch9wavefront6targetE1EEEvSM_,@function
_ZN7rocprim17ROCPRIM_400000_NS6detail17trampoline_kernelINS0_14default_configENS1_38merge_sort_block_merge_config_selectorIlNS0_10empty_typeEEEZZNS1_27merge_sort_block_merge_implIS3_PlPS5_mZN2at6native12_GLOBAL__N_124unique_dim_cuda_templateIlEESt5tupleIJNSA_6TensorESF_SF_EERKSF_lbbbEUlllE_EE10hipError_tT0_T1_T2_jT3_P12ihipStream_tbPNSt15iterator_traitsISL_E10value_typeEPNSR_ISM_E10value_typeEPSN_NS1_7vsmem_tEENKUlT_SL_SM_SN_E_clIS8_S8_S9_S9_EESK_S10_SL_SM_SN_EUlS10_E_NS1_11comp_targetILNS1_3genE10ELNS1_11target_archE1201ELNS1_3gpuE5ELNS1_3repE0EEENS1_48merge_mergepath_partition_config_static_selectorELNS0_4arch9wavefront6targetE1EEEvSM_: ; @_ZN7rocprim17ROCPRIM_400000_NS6detail17trampoline_kernelINS0_14default_configENS1_38merge_sort_block_merge_config_selectorIlNS0_10empty_typeEEEZZNS1_27merge_sort_block_merge_implIS3_PlPS5_mZN2at6native12_GLOBAL__N_124unique_dim_cuda_templateIlEESt5tupleIJNSA_6TensorESF_SF_EERKSF_lbbbEUlllE_EE10hipError_tT0_T1_T2_jT3_P12ihipStream_tbPNSt15iterator_traitsISL_E10value_typeEPNSR_ISM_E10value_typeEPSN_NS1_7vsmem_tEENKUlT_SL_SM_SN_E_clIS8_S8_S9_S9_EESK_S10_SL_SM_SN_EUlS10_E_NS1_11comp_targetILNS1_3genE10ELNS1_11target_archE1201ELNS1_3gpuE5ELNS1_3repE0EEENS1_48merge_mergepath_partition_config_static_selectorELNS0_4arch9wavefront6targetE1EEEvSM_
; %bb.0:
	.section	.rodata,"a",@progbits
	.p2align	6, 0x0
	.amdhsa_kernel _ZN7rocprim17ROCPRIM_400000_NS6detail17trampoline_kernelINS0_14default_configENS1_38merge_sort_block_merge_config_selectorIlNS0_10empty_typeEEEZZNS1_27merge_sort_block_merge_implIS3_PlPS5_mZN2at6native12_GLOBAL__N_124unique_dim_cuda_templateIlEESt5tupleIJNSA_6TensorESF_SF_EERKSF_lbbbEUlllE_EE10hipError_tT0_T1_T2_jT3_P12ihipStream_tbPNSt15iterator_traitsISL_E10value_typeEPNSR_ISM_E10value_typeEPSN_NS1_7vsmem_tEENKUlT_SL_SM_SN_E_clIS8_S8_S9_S9_EESK_S10_SL_SM_SN_EUlS10_E_NS1_11comp_targetILNS1_3genE10ELNS1_11target_archE1201ELNS1_3gpuE5ELNS1_3repE0EEENS1_48merge_mergepath_partition_config_static_selectorELNS0_4arch9wavefront6targetE1EEEvSM_
		.amdhsa_group_segment_fixed_size 0
		.amdhsa_private_segment_fixed_size 0
		.amdhsa_kernarg_size 56
		.amdhsa_user_sgpr_count 6
		.amdhsa_user_sgpr_private_segment_buffer 1
		.amdhsa_user_sgpr_dispatch_ptr 0
		.amdhsa_user_sgpr_queue_ptr 0
		.amdhsa_user_sgpr_kernarg_segment_ptr 1
		.amdhsa_user_sgpr_dispatch_id 0
		.amdhsa_user_sgpr_flat_scratch_init 0
		.amdhsa_user_sgpr_kernarg_preload_length 0
		.amdhsa_user_sgpr_kernarg_preload_offset 0
		.amdhsa_user_sgpr_private_segment_size 0
		.amdhsa_uses_dynamic_stack 0
		.amdhsa_system_sgpr_private_segment_wavefront_offset 0
		.amdhsa_system_sgpr_workgroup_id_x 1
		.amdhsa_system_sgpr_workgroup_id_y 0
		.amdhsa_system_sgpr_workgroup_id_z 0
		.amdhsa_system_sgpr_workgroup_info 0
		.amdhsa_system_vgpr_workitem_id 0
		.amdhsa_next_free_vgpr 1
		.amdhsa_next_free_sgpr 0
		.amdhsa_accum_offset 4
		.amdhsa_reserve_vcc 0
		.amdhsa_reserve_flat_scratch 0
		.amdhsa_float_round_mode_32 0
		.amdhsa_float_round_mode_16_64 0
		.amdhsa_float_denorm_mode_32 3
		.amdhsa_float_denorm_mode_16_64 3
		.amdhsa_dx10_clamp 1
		.amdhsa_ieee_mode 1
		.amdhsa_fp16_overflow 0
		.amdhsa_tg_split 0
		.amdhsa_exception_fp_ieee_invalid_op 0
		.amdhsa_exception_fp_denorm_src 0
		.amdhsa_exception_fp_ieee_div_zero 0
		.amdhsa_exception_fp_ieee_overflow 0
		.amdhsa_exception_fp_ieee_underflow 0
		.amdhsa_exception_fp_ieee_inexact 0
		.amdhsa_exception_int_div_zero 0
	.end_amdhsa_kernel
	.section	.text._ZN7rocprim17ROCPRIM_400000_NS6detail17trampoline_kernelINS0_14default_configENS1_38merge_sort_block_merge_config_selectorIlNS0_10empty_typeEEEZZNS1_27merge_sort_block_merge_implIS3_PlPS5_mZN2at6native12_GLOBAL__N_124unique_dim_cuda_templateIlEESt5tupleIJNSA_6TensorESF_SF_EERKSF_lbbbEUlllE_EE10hipError_tT0_T1_T2_jT3_P12ihipStream_tbPNSt15iterator_traitsISL_E10value_typeEPNSR_ISM_E10value_typeEPSN_NS1_7vsmem_tEENKUlT_SL_SM_SN_E_clIS8_S8_S9_S9_EESK_S10_SL_SM_SN_EUlS10_E_NS1_11comp_targetILNS1_3genE10ELNS1_11target_archE1201ELNS1_3gpuE5ELNS1_3repE0EEENS1_48merge_mergepath_partition_config_static_selectorELNS0_4arch9wavefront6targetE1EEEvSM_,"axG",@progbits,_ZN7rocprim17ROCPRIM_400000_NS6detail17trampoline_kernelINS0_14default_configENS1_38merge_sort_block_merge_config_selectorIlNS0_10empty_typeEEEZZNS1_27merge_sort_block_merge_implIS3_PlPS5_mZN2at6native12_GLOBAL__N_124unique_dim_cuda_templateIlEESt5tupleIJNSA_6TensorESF_SF_EERKSF_lbbbEUlllE_EE10hipError_tT0_T1_T2_jT3_P12ihipStream_tbPNSt15iterator_traitsISL_E10value_typeEPNSR_ISM_E10value_typeEPSN_NS1_7vsmem_tEENKUlT_SL_SM_SN_E_clIS8_S8_S9_S9_EESK_S10_SL_SM_SN_EUlS10_E_NS1_11comp_targetILNS1_3genE10ELNS1_11target_archE1201ELNS1_3gpuE5ELNS1_3repE0EEENS1_48merge_mergepath_partition_config_static_selectorELNS0_4arch9wavefront6targetE1EEEvSM_,comdat
.Lfunc_end515:
	.size	_ZN7rocprim17ROCPRIM_400000_NS6detail17trampoline_kernelINS0_14default_configENS1_38merge_sort_block_merge_config_selectorIlNS0_10empty_typeEEEZZNS1_27merge_sort_block_merge_implIS3_PlPS5_mZN2at6native12_GLOBAL__N_124unique_dim_cuda_templateIlEESt5tupleIJNSA_6TensorESF_SF_EERKSF_lbbbEUlllE_EE10hipError_tT0_T1_T2_jT3_P12ihipStream_tbPNSt15iterator_traitsISL_E10value_typeEPNSR_ISM_E10value_typeEPSN_NS1_7vsmem_tEENKUlT_SL_SM_SN_E_clIS8_S8_S9_S9_EESK_S10_SL_SM_SN_EUlS10_E_NS1_11comp_targetILNS1_3genE10ELNS1_11target_archE1201ELNS1_3gpuE5ELNS1_3repE0EEENS1_48merge_mergepath_partition_config_static_selectorELNS0_4arch9wavefront6targetE1EEEvSM_, .Lfunc_end515-_ZN7rocprim17ROCPRIM_400000_NS6detail17trampoline_kernelINS0_14default_configENS1_38merge_sort_block_merge_config_selectorIlNS0_10empty_typeEEEZZNS1_27merge_sort_block_merge_implIS3_PlPS5_mZN2at6native12_GLOBAL__N_124unique_dim_cuda_templateIlEESt5tupleIJNSA_6TensorESF_SF_EERKSF_lbbbEUlllE_EE10hipError_tT0_T1_T2_jT3_P12ihipStream_tbPNSt15iterator_traitsISL_E10value_typeEPNSR_ISM_E10value_typeEPSN_NS1_7vsmem_tEENKUlT_SL_SM_SN_E_clIS8_S8_S9_S9_EESK_S10_SL_SM_SN_EUlS10_E_NS1_11comp_targetILNS1_3genE10ELNS1_11target_archE1201ELNS1_3gpuE5ELNS1_3repE0EEENS1_48merge_mergepath_partition_config_static_selectorELNS0_4arch9wavefront6targetE1EEEvSM_
                                        ; -- End function
	.section	.AMDGPU.csdata,"",@progbits
; Kernel info:
; codeLenInByte = 0
; NumSgprs: 4
; NumVgprs: 0
; NumAgprs: 0
; TotalNumVgprs: 0
; ScratchSize: 0
; MemoryBound: 0
; FloatMode: 240
; IeeeMode: 1
; LDSByteSize: 0 bytes/workgroup (compile time only)
; SGPRBlocks: 0
; VGPRBlocks: 0
; NumSGPRsForWavesPerEU: 4
; NumVGPRsForWavesPerEU: 1
; AccumOffset: 4
; Occupancy: 8
; WaveLimiterHint : 0
; COMPUTE_PGM_RSRC2:SCRATCH_EN: 0
; COMPUTE_PGM_RSRC2:USER_SGPR: 6
; COMPUTE_PGM_RSRC2:TRAP_HANDLER: 0
; COMPUTE_PGM_RSRC2:TGID_X_EN: 1
; COMPUTE_PGM_RSRC2:TGID_Y_EN: 0
; COMPUTE_PGM_RSRC2:TGID_Z_EN: 0
; COMPUTE_PGM_RSRC2:TIDIG_COMP_CNT: 0
; COMPUTE_PGM_RSRC3_GFX90A:ACCUM_OFFSET: 0
; COMPUTE_PGM_RSRC3_GFX90A:TG_SPLIT: 0
	.section	.text._ZN7rocprim17ROCPRIM_400000_NS6detail17trampoline_kernelINS0_14default_configENS1_38merge_sort_block_merge_config_selectorIlNS0_10empty_typeEEEZZNS1_27merge_sort_block_merge_implIS3_PlPS5_mZN2at6native12_GLOBAL__N_124unique_dim_cuda_templateIlEESt5tupleIJNSA_6TensorESF_SF_EERKSF_lbbbEUlllE_EE10hipError_tT0_T1_T2_jT3_P12ihipStream_tbPNSt15iterator_traitsISL_E10value_typeEPNSR_ISM_E10value_typeEPSN_NS1_7vsmem_tEENKUlT_SL_SM_SN_E_clIS8_S8_S9_S9_EESK_S10_SL_SM_SN_EUlS10_E_NS1_11comp_targetILNS1_3genE5ELNS1_11target_archE942ELNS1_3gpuE9ELNS1_3repE0EEENS1_48merge_mergepath_partition_config_static_selectorELNS0_4arch9wavefront6targetE1EEEvSM_,"axG",@progbits,_ZN7rocprim17ROCPRIM_400000_NS6detail17trampoline_kernelINS0_14default_configENS1_38merge_sort_block_merge_config_selectorIlNS0_10empty_typeEEEZZNS1_27merge_sort_block_merge_implIS3_PlPS5_mZN2at6native12_GLOBAL__N_124unique_dim_cuda_templateIlEESt5tupleIJNSA_6TensorESF_SF_EERKSF_lbbbEUlllE_EE10hipError_tT0_T1_T2_jT3_P12ihipStream_tbPNSt15iterator_traitsISL_E10value_typeEPNSR_ISM_E10value_typeEPSN_NS1_7vsmem_tEENKUlT_SL_SM_SN_E_clIS8_S8_S9_S9_EESK_S10_SL_SM_SN_EUlS10_E_NS1_11comp_targetILNS1_3genE5ELNS1_11target_archE942ELNS1_3gpuE9ELNS1_3repE0EEENS1_48merge_mergepath_partition_config_static_selectorELNS0_4arch9wavefront6targetE1EEEvSM_,comdat
	.globl	_ZN7rocprim17ROCPRIM_400000_NS6detail17trampoline_kernelINS0_14default_configENS1_38merge_sort_block_merge_config_selectorIlNS0_10empty_typeEEEZZNS1_27merge_sort_block_merge_implIS3_PlPS5_mZN2at6native12_GLOBAL__N_124unique_dim_cuda_templateIlEESt5tupleIJNSA_6TensorESF_SF_EERKSF_lbbbEUlllE_EE10hipError_tT0_T1_T2_jT3_P12ihipStream_tbPNSt15iterator_traitsISL_E10value_typeEPNSR_ISM_E10value_typeEPSN_NS1_7vsmem_tEENKUlT_SL_SM_SN_E_clIS8_S8_S9_S9_EESK_S10_SL_SM_SN_EUlS10_E_NS1_11comp_targetILNS1_3genE5ELNS1_11target_archE942ELNS1_3gpuE9ELNS1_3repE0EEENS1_48merge_mergepath_partition_config_static_selectorELNS0_4arch9wavefront6targetE1EEEvSM_ ; -- Begin function _ZN7rocprim17ROCPRIM_400000_NS6detail17trampoline_kernelINS0_14default_configENS1_38merge_sort_block_merge_config_selectorIlNS0_10empty_typeEEEZZNS1_27merge_sort_block_merge_implIS3_PlPS5_mZN2at6native12_GLOBAL__N_124unique_dim_cuda_templateIlEESt5tupleIJNSA_6TensorESF_SF_EERKSF_lbbbEUlllE_EE10hipError_tT0_T1_T2_jT3_P12ihipStream_tbPNSt15iterator_traitsISL_E10value_typeEPNSR_ISM_E10value_typeEPSN_NS1_7vsmem_tEENKUlT_SL_SM_SN_E_clIS8_S8_S9_S9_EESK_S10_SL_SM_SN_EUlS10_E_NS1_11comp_targetILNS1_3genE5ELNS1_11target_archE942ELNS1_3gpuE9ELNS1_3repE0EEENS1_48merge_mergepath_partition_config_static_selectorELNS0_4arch9wavefront6targetE1EEEvSM_
	.p2align	8
	.type	_ZN7rocprim17ROCPRIM_400000_NS6detail17trampoline_kernelINS0_14default_configENS1_38merge_sort_block_merge_config_selectorIlNS0_10empty_typeEEEZZNS1_27merge_sort_block_merge_implIS3_PlPS5_mZN2at6native12_GLOBAL__N_124unique_dim_cuda_templateIlEESt5tupleIJNSA_6TensorESF_SF_EERKSF_lbbbEUlllE_EE10hipError_tT0_T1_T2_jT3_P12ihipStream_tbPNSt15iterator_traitsISL_E10value_typeEPNSR_ISM_E10value_typeEPSN_NS1_7vsmem_tEENKUlT_SL_SM_SN_E_clIS8_S8_S9_S9_EESK_S10_SL_SM_SN_EUlS10_E_NS1_11comp_targetILNS1_3genE5ELNS1_11target_archE942ELNS1_3gpuE9ELNS1_3repE0EEENS1_48merge_mergepath_partition_config_static_selectorELNS0_4arch9wavefront6targetE1EEEvSM_,@function
_ZN7rocprim17ROCPRIM_400000_NS6detail17trampoline_kernelINS0_14default_configENS1_38merge_sort_block_merge_config_selectorIlNS0_10empty_typeEEEZZNS1_27merge_sort_block_merge_implIS3_PlPS5_mZN2at6native12_GLOBAL__N_124unique_dim_cuda_templateIlEESt5tupleIJNSA_6TensorESF_SF_EERKSF_lbbbEUlllE_EE10hipError_tT0_T1_T2_jT3_P12ihipStream_tbPNSt15iterator_traitsISL_E10value_typeEPNSR_ISM_E10value_typeEPSN_NS1_7vsmem_tEENKUlT_SL_SM_SN_E_clIS8_S8_S9_S9_EESK_S10_SL_SM_SN_EUlS10_E_NS1_11comp_targetILNS1_3genE5ELNS1_11target_archE942ELNS1_3gpuE9ELNS1_3repE0EEENS1_48merge_mergepath_partition_config_static_selectorELNS0_4arch9wavefront6targetE1EEEvSM_: ; @_ZN7rocprim17ROCPRIM_400000_NS6detail17trampoline_kernelINS0_14default_configENS1_38merge_sort_block_merge_config_selectorIlNS0_10empty_typeEEEZZNS1_27merge_sort_block_merge_implIS3_PlPS5_mZN2at6native12_GLOBAL__N_124unique_dim_cuda_templateIlEESt5tupleIJNSA_6TensorESF_SF_EERKSF_lbbbEUlllE_EE10hipError_tT0_T1_T2_jT3_P12ihipStream_tbPNSt15iterator_traitsISL_E10value_typeEPNSR_ISM_E10value_typeEPSN_NS1_7vsmem_tEENKUlT_SL_SM_SN_E_clIS8_S8_S9_S9_EESK_S10_SL_SM_SN_EUlS10_E_NS1_11comp_targetILNS1_3genE5ELNS1_11target_archE942ELNS1_3gpuE9ELNS1_3repE0EEENS1_48merge_mergepath_partition_config_static_selectorELNS0_4arch9wavefront6targetE1EEEvSM_
; %bb.0:
	.section	.rodata,"a",@progbits
	.p2align	6, 0x0
	.amdhsa_kernel _ZN7rocprim17ROCPRIM_400000_NS6detail17trampoline_kernelINS0_14default_configENS1_38merge_sort_block_merge_config_selectorIlNS0_10empty_typeEEEZZNS1_27merge_sort_block_merge_implIS3_PlPS5_mZN2at6native12_GLOBAL__N_124unique_dim_cuda_templateIlEESt5tupleIJNSA_6TensorESF_SF_EERKSF_lbbbEUlllE_EE10hipError_tT0_T1_T2_jT3_P12ihipStream_tbPNSt15iterator_traitsISL_E10value_typeEPNSR_ISM_E10value_typeEPSN_NS1_7vsmem_tEENKUlT_SL_SM_SN_E_clIS8_S8_S9_S9_EESK_S10_SL_SM_SN_EUlS10_E_NS1_11comp_targetILNS1_3genE5ELNS1_11target_archE942ELNS1_3gpuE9ELNS1_3repE0EEENS1_48merge_mergepath_partition_config_static_selectorELNS0_4arch9wavefront6targetE1EEEvSM_
		.amdhsa_group_segment_fixed_size 0
		.amdhsa_private_segment_fixed_size 0
		.amdhsa_kernarg_size 56
		.amdhsa_user_sgpr_count 6
		.amdhsa_user_sgpr_private_segment_buffer 1
		.amdhsa_user_sgpr_dispatch_ptr 0
		.amdhsa_user_sgpr_queue_ptr 0
		.amdhsa_user_sgpr_kernarg_segment_ptr 1
		.amdhsa_user_sgpr_dispatch_id 0
		.amdhsa_user_sgpr_flat_scratch_init 0
		.amdhsa_user_sgpr_kernarg_preload_length 0
		.amdhsa_user_sgpr_kernarg_preload_offset 0
		.amdhsa_user_sgpr_private_segment_size 0
		.amdhsa_uses_dynamic_stack 0
		.amdhsa_system_sgpr_private_segment_wavefront_offset 0
		.amdhsa_system_sgpr_workgroup_id_x 1
		.amdhsa_system_sgpr_workgroup_id_y 0
		.amdhsa_system_sgpr_workgroup_id_z 0
		.amdhsa_system_sgpr_workgroup_info 0
		.amdhsa_system_vgpr_workitem_id 0
		.amdhsa_next_free_vgpr 1
		.amdhsa_next_free_sgpr 0
		.amdhsa_accum_offset 4
		.amdhsa_reserve_vcc 0
		.amdhsa_reserve_flat_scratch 0
		.amdhsa_float_round_mode_32 0
		.amdhsa_float_round_mode_16_64 0
		.amdhsa_float_denorm_mode_32 3
		.amdhsa_float_denorm_mode_16_64 3
		.amdhsa_dx10_clamp 1
		.amdhsa_ieee_mode 1
		.amdhsa_fp16_overflow 0
		.amdhsa_tg_split 0
		.amdhsa_exception_fp_ieee_invalid_op 0
		.amdhsa_exception_fp_denorm_src 0
		.amdhsa_exception_fp_ieee_div_zero 0
		.amdhsa_exception_fp_ieee_overflow 0
		.amdhsa_exception_fp_ieee_underflow 0
		.amdhsa_exception_fp_ieee_inexact 0
		.amdhsa_exception_int_div_zero 0
	.end_amdhsa_kernel
	.section	.text._ZN7rocprim17ROCPRIM_400000_NS6detail17trampoline_kernelINS0_14default_configENS1_38merge_sort_block_merge_config_selectorIlNS0_10empty_typeEEEZZNS1_27merge_sort_block_merge_implIS3_PlPS5_mZN2at6native12_GLOBAL__N_124unique_dim_cuda_templateIlEESt5tupleIJNSA_6TensorESF_SF_EERKSF_lbbbEUlllE_EE10hipError_tT0_T1_T2_jT3_P12ihipStream_tbPNSt15iterator_traitsISL_E10value_typeEPNSR_ISM_E10value_typeEPSN_NS1_7vsmem_tEENKUlT_SL_SM_SN_E_clIS8_S8_S9_S9_EESK_S10_SL_SM_SN_EUlS10_E_NS1_11comp_targetILNS1_3genE5ELNS1_11target_archE942ELNS1_3gpuE9ELNS1_3repE0EEENS1_48merge_mergepath_partition_config_static_selectorELNS0_4arch9wavefront6targetE1EEEvSM_,"axG",@progbits,_ZN7rocprim17ROCPRIM_400000_NS6detail17trampoline_kernelINS0_14default_configENS1_38merge_sort_block_merge_config_selectorIlNS0_10empty_typeEEEZZNS1_27merge_sort_block_merge_implIS3_PlPS5_mZN2at6native12_GLOBAL__N_124unique_dim_cuda_templateIlEESt5tupleIJNSA_6TensorESF_SF_EERKSF_lbbbEUlllE_EE10hipError_tT0_T1_T2_jT3_P12ihipStream_tbPNSt15iterator_traitsISL_E10value_typeEPNSR_ISM_E10value_typeEPSN_NS1_7vsmem_tEENKUlT_SL_SM_SN_E_clIS8_S8_S9_S9_EESK_S10_SL_SM_SN_EUlS10_E_NS1_11comp_targetILNS1_3genE5ELNS1_11target_archE942ELNS1_3gpuE9ELNS1_3repE0EEENS1_48merge_mergepath_partition_config_static_selectorELNS0_4arch9wavefront6targetE1EEEvSM_,comdat
.Lfunc_end516:
	.size	_ZN7rocprim17ROCPRIM_400000_NS6detail17trampoline_kernelINS0_14default_configENS1_38merge_sort_block_merge_config_selectorIlNS0_10empty_typeEEEZZNS1_27merge_sort_block_merge_implIS3_PlPS5_mZN2at6native12_GLOBAL__N_124unique_dim_cuda_templateIlEESt5tupleIJNSA_6TensorESF_SF_EERKSF_lbbbEUlllE_EE10hipError_tT0_T1_T2_jT3_P12ihipStream_tbPNSt15iterator_traitsISL_E10value_typeEPNSR_ISM_E10value_typeEPSN_NS1_7vsmem_tEENKUlT_SL_SM_SN_E_clIS8_S8_S9_S9_EESK_S10_SL_SM_SN_EUlS10_E_NS1_11comp_targetILNS1_3genE5ELNS1_11target_archE942ELNS1_3gpuE9ELNS1_3repE0EEENS1_48merge_mergepath_partition_config_static_selectorELNS0_4arch9wavefront6targetE1EEEvSM_, .Lfunc_end516-_ZN7rocprim17ROCPRIM_400000_NS6detail17trampoline_kernelINS0_14default_configENS1_38merge_sort_block_merge_config_selectorIlNS0_10empty_typeEEEZZNS1_27merge_sort_block_merge_implIS3_PlPS5_mZN2at6native12_GLOBAL__N_124unique_dim_cuda_templateIlEESt5tupleIJNSA_6TensorESF_SF_EERKSF_lbbbEUlllE_EE10hipError_tT0_T1_T2_jT3_P12ihipStream_tbPNSt15iterator_traitsISL_E10value_typeEPNSR_ISM_E10value_typeEPSN_NS1_7vsmem_tEENKUlT_SL_SM_SN_E_clIS8_S8_S9_S9_EESK_S10_SL_SM_SN_EUlS10_E_NS1_11comp_targetILNS1_3genE5ELNS1_11target_archE942ELNS1_3gpuE9ELNS1_3repE0EEENS1_48merge_mergepath_partition_config_static_selectorELNS0_4arch9wavefront6targetE1EEEvSM_
                                        ; -- End function
	.section	.AMDGPU.csdata,"",@progbits
; Kernel info:
; codeLenInByte = 0
; NumSgprs: 4
; NumVgprs: 0
; NumAgprs: 0
; TotalNumVgprs: 0
; ScratchSize: 0
; MemoryBound: 0
; FloatMode: 240
; IeeeMode: 1
; LDSByteSize: 0 bytes/workgroup (compile time only)
; SGPRBlocks: 0
; VGPRBlocks: 0
; NumSGPRsForWavesPerEU: 4
; NumVGPRsForWavesPerEU: 1
; AccumOffset: 4
; Occupancy: 8
; WaveLimiterHint : 0
; COMPUTE_PGM_RSRC2:SCRATCH_EN: 0
; COMPUTE_PGM_RSRC2:USER_SGPR: 6
; COMPUTE_PGM_RSRC2:TRAP_HANDLER: 0
; COMPUTE_PGM_RSRC2:TGID_X_EN: 1
; COMPUTE_PGM_RSRC2:TGID_Y_EN: 0
; COMPUTE_PGM_RSRC2:TGID_Z_EN: 0
; COMPUTE_PGM_RSRC2:TIDIG_COMP_CNT: 0
; COMPUTE_PGM_RSRC3_GFX90A:ACCUM_OFFSET: 0
; COMPUTE_PGM_RSRC3_GFX90A:TG_SPLIT: 0
	.section	.text._ZN7rocprim17ROCPRIM_400000_NS6detail17trampoline_kernelINS0_14default_configENS1_38merge_sort_block_merge_config_selectorIlNS0_10empty_typeEEEZZNS1_27merge_sort_block_merge_implIS3_PlPS5_mZN2at6native12_GLOBAL__N_124unique_dim_cuda_templateIlEESt5tupleIJNSA_6TensorESF_SF_EERKSF_lbbbEUlllE_EE10hipError_tT0_T1_T2_jT3_P12ihipStream_tbPNSt15iterator_traitsISL_E10value_typeEPNSR_ISM_E10value_typeEPSN_NS1_7vsmem_tEENKUlT_SL_SM_SN_E_clIS8_S8_S9_S9_EESK_S10_SL_SM_SN_EUlS10_E_NS1_11comp_targetILNS1_3genE4ELNS1_11target_archE910ELNS1_3gpuE8ELNS1_3repE0EEENS1_48merge_mergepath_partition_config_static_selectorELNS0_4arch9wavefront6targetE1EEEvSM_,"axG",@progbits,_ZN7rocprim17ROCPRIM_400000_NS6detail17trampoline_kernelINS0_14default_configENS1_38merge_sort_block_merge_config_selectorIlNS0_10empty_typeEEEZZNS1_27merge_sort_block_merge_implIS3_PlPS5_mZN2at6native12_GLOBAL__N_124unique_dim_cuda_templateIlEESt5tupleIJNSA_6TensorESF_SF_EERKSF_lbbbEUlllE_EE10hipError_tT0_T1_T2_jT3_P12ihipStream_tbPNSt15iterator_traitsISL_E10value_typeEPNSR_ISM_E10value_typeEPSN_NS1_7vsmem_tEENKUlT_SL_SM_SN_E_clIS8_S8_S9_S9_EESK_S10_SL_SM_SN_EUlS10_E_NS1_11comp_targetILNS1_3genE4ELNS1_11target_archE910ELNS1_3gpuE8ELNS1_3repE0EEENS1_48merge_mergepath_partition_config_static_selectorELNS0_4arch9wavefront6targetE1EEEvSM_,comdat
	.globl	_ZN7rocprim17ROCPRIM_400000_NS6detail17trampoline_kernelINS0_14default_configENS1_38merge_sort_block_merge_config_selectorIlNS0_10empty_typeEEEZZNS1_27merge_sort_block_merge_implIS3_PlPS5_mZN2at6native12_GLOBAL__N_124unique_dim_cuda_templateIlEESt5tupleIJNSA_6TensorESF_SF_EERKSF_lbbbEUlllE_EE10hipError_tT0_T1_T2_jT3_P12ihipStream_tbPNSt15iterator_traitsISL_E10value_typeEPNSR_ISM_E10value_typeEPSN_NS1_7vsmem_tEENKUlT_SL_SM_SN_E_clIS8_S8_S9_S9_EESK_S10_SL_SM_SN_EUlS10_E_NS1_11comp_targetILNS1_3genE4ELNS1_11target_archE910ELNS1_3gpuE8ELNS1_3repE0EEENS1_48merge_mergepath_partition_config_static_selectorELNS0_4arch9wavefront6targetE1EEEvSM_ ; -- Begin function _ZN7rocprim17ROCPRIM_400000_NS6detail17trampoline_kernelINS0_14default_configENS1_38merge_sort_block_merge_config_selectorIlNS0_10empty_typeEEEZZNS1_27merge_sort_block_merge_implIS3_PlPS5_mZN2at6native12_GLOBAL__N_124unique_dim_cuda_templateIlEESt5tupleIJNSA_6TensorESF_SF_EERKSF_lbbbEUlllE_EE10hipError_tT0_T1_T2_jT3_P12ihipStream_tbPNSt15iterator_traitsISL_E10value_typeEPNSR_ISM_E10value_typeEPSN_NS1_7vsmem_tEENKUlT_SL_SM_SN_E_clIS8_S8_S9_S9_EESK_S10_SL_SM_SN_EUlS10_E_NS1_11comp_targetILNS1_3genE4ELNS1_11target_archE910ELNS1_3gpuE8ELNS1_3repE0EEENS1_48merge_mergepath_partition_config_static_selectorELNS0_4arch9wavefront6targetE1EEEvSM_
	.p2align	8
	.type	_ZN7rocprim17ROCPRIM_400000_NS6detail17trampoline_kernelINS0_14default_configENS1_38merge_sort_block_merge_config_selectorIlNS0_10empty_typeEEEZZNS1_27merge_sort_block_merge_implIS3_PlPS5_mZN2at6native12_GLOBAL__N_124unique_dim_cuda_templateIlEESt5tupleIJNSA_6TensorESF_SF_EERKSF_lbbbEUlllE_EE10hipError_tT0_T1_T2_jT3_P12ihipStream_tbPNSt15iterator_traitsISL_E10value_typeEPNSR_ISM_E10value_typeEPSN_NS1_7vsmem_tEENKUlT_SL_SM_SN_E_clIS8_S8_S9_S9_EESK_S10_SL_SM_SN_EUlS10_E_NS1_11comp_targetILNS1_3genE4ELNS1_11target_archE910ELNS1_3gpuE8ELNS1_3repE0EEENS1_48merge_mergepath_partition_config_static_selectorELNS0_4arch9wavefront6targetE1EEEvSM_,@function
_ZN7rocprim17ROCPRIM_400000_NS6detail17trampoline_kernelINS0_14default_configENS1_38merge_sort_block_merge_config_selectorIlNS0_10empty_typeEEEZZNS1_27merge_sort_block_merge_implIS3_PlPS5_mZN2at6native12_GLOBAL__N_124unique_dim_cuda_templateIlEESt5tupleIJNSA_6TensorESF_SF_EERKSF_lbbbEUlllE_EE10hipError_tT0_T1_T2_jT3_P12ihipStream_tbPNSt15iterator_traitsISL_E10value_typeEPNSR_ISM_E10value_typeEPSN_NS1_7vsmem_tEENKUlT_SL_SM_SN_E_clIS8_S8_S9_S9_EESK_S10_SL_SM_SN_EUlS10_E_NS1_11comp_targetILNS1_3genE4ELNS1_11target_archE910ELNS1_3gpuE8ELNS1_3repE0EEENS1_48merge_mergepath_partition_config_static_selectorELNS0_4arch9wavefront6targetE1EEEvSM_: ; @_ZN7rocprim17ROCPRIM_400000_NS6detail17trampoline_kernelINS0_14default_configENS1_38merge_sort_block_merge_config_selectorIlNS0_10empty_typeEEEZZNS1_27merge_sort_block_merge_implIS3_PlPS5_mZN2at6native12_GLOBAL__N_124unique_dim_cuda_templateIlEESt5tupleIJNSA_6TensorESF_SF_EERKSF_lbbbEUlllE_EE10hipError_tT0_T1_T2_jT3_P12ihipStream_tbPNSt15iterator_traitsISL_E10value_typeEPNSR_ISM_E10value_typeEPSN_NS1_7vsmem_tEENKUlT_SL_SM_SN_E_clIS8_S8_S9_S9_EESK_S10_SL_SM_SN_EUlS10_E_NS1_11comp_targetILNS1_3genE4ELNS1_11target_archE910ELNS1_3gpuE8ELNS1_3repE0EEENS1_48merge_mergepath_partition_config_static_selectorELNS0_4arch9wavefront6targetE1EEEvSM_
; %bb.0:
	s_load_dword s0, s[4:5], 0x0
	v_lshl_or_b32 v0, s6, 7, v0
	s_waitcnt lgkmcnt(0)
	v_cmp_gt_u32_e32 vcc, s0, v0
	s_and_saveexec_b64 s[0:1], vcc
	s_cbranch_execz .LBB517_12
; %bb.1:
	s_load_dwordx4 s[0:3], s[4:5], 0x8
	s_load_dwordx8 s[8:15], s[4:5], 0x18
	v_mov_b32_e32 v5, 0
	s_waitcnt lgkmcnt(0)
	v_mov_b32_e32 v1, s0
	v_alignbit_b32 v1, s1, v1, 9
	v_and_b32_e32 v1, -2, v1
	v_add_u32_e32 v2, -1, v1
	v_sub_u32_e32 v1, 0, v1
	v_and_b32_e32 v4, v0, v1
	v_lshlrev_b64 v[8:9], 10, v[4:5]
	v_mov_b32_e32 v1, s3
	v_cmp_lt_u64_e32 vcc, s[2:3], v[8:9]
	v_mov_b32_e32 v4, s2
	v_and_b32_e32 v6, v2, v0
	v_cndmask_b32_e32 v3, v9, v1, vcc
	v_cndmask_b32_e32 v2, v8, v4, vcc
	v_mov_b32_e32 v7, s1
	v_add_co_u32_e32 v8, vcc, s0, v8
	v_addc_co_u32_e32 v9, vcc, v9, v7, vcc
	v_cmp_lt_u64_e32 vcc, s[2:3], v[8:9]
	v_cndmask_b32_e32 v8, v8, v4, vcc
	v_cndmask_b32_e32 v9, v9, v1, vcc
	v_add_co_u32_e32 v10, vcc, s0, v8
	v_addc_co_u32_e32 v11, vcc, v9, v7, vcc
	v_cmp_lt_u64_e32 vcc, s[2:3], v[10:11]
	v_cndmask_b32_e32 v12, v10, v4, vcc
	v_cndmask_b32_e32 v1, v11, v1, vcc
	v_sub_co_u32_e32 v10, vcc, v12, v2
	v_mov_b32_e32 v7, v5
	v_subb_co_u32_e32 v11, vcc, v1, v3, vcc
	v_lshlrev_b64 v[4:5], 10, v[6:7]
	v_cmp_lt_u64_e32 vcc, v[10:11], v[4:5]
	v_cndmask_b32_e32 v11, v5, v11, vcc
	v_cndmask_b32_e32 v10, v4, v10, vcc
	v_sub_co_u32_e32 v6, vcc, v8, v2
	v_subb_co_u32_e32 v7, vcc, v9, v3, vcc
	v_sub_co_u32_e32 v4, vcc, v8, v12
	v_subb_co_u32_e32 v1, vcc, v9, v1, vcc
	v_add_co_u32_e32 v4, vcc, v10, v4
	v_addc_co_u32_e32 v5, vcc, v11, v1, vcc
	v_cmp_gt_u64_e32 vcc, v[4:5], v[10:11]
	v_cndmask_b32_e64 v5, v5, 0, vcc
	v_cndmask_b32_e64 v4, v4, 0, vcc
	v_cmp_lt_u64_e32 vcc, v[10:11], v[6:7]
	v_cndmask_b32_e32 v7, v7, v11, vcc
	v_cndmask_b32_e32 v6, v6, v10, vcc
	v_cmp_lt_u64_e32 vcc, v[4:5], v[6:7]
	s_and_saveexec_b64 s[6:7], vcc
	s_cbranch_execz .LBB517_11
; %bb.2:
	v_lshlrev_b64 v[12:13], 3, v[2:3]
	v_mov_b32_e32 v14, s9
	v_add_co_u32_e32 v1, vcc, s8, v12
	v_addc_co_u32_e32 v14, vcc, v14, v13, vcc
	v_lshlrev_b64 v[8:9], 3, v[8:9]
	v_mov_b32_e32 v12, s9
	v_add_co_u32_e32 v13, vcc, s8, v8
	v_addc_co_u32_e32 v12, vcc, v12, v9, vcc
	v_lshlrev_b64 v[8:9], 3, v[10:11]
	v_cmp_gt_i64_e64 s[0:1], s[10:11], 0
	v_add_co_u32_e32 v15, vcc, v13, v8
	v_cndmask_b32_e64 v8, 0, 1, s[0:1]
	v_addc_co_u32_e32 v16, vcc, v12, v9, vcc
	s_mov_b64 s[8:9], 0
	s_lshl_b64 s[16:17], s[10:11], 3
	v_cmp_ne_u32_e64 s[0:1], 1, v8
	s_branch .LBB517_5
.LBB517_3:                              ;   in Loop: Header=BB517_5 Depth=1
	s_or_b64 exec, exec, s[20:21]
.LBB517_4:                              ;   in Loop: Header=BB517_5 Depth=1
	v_add_co_u32_e32 v10, vcc, 1, v8
	v_addc_co_u32_e32 v11, vcc, 0, v9, vcc
	v_cndmask_b32_e64 v7, v7, v9, s[18:19]
	v_cndmask_b32_e64 v6, v6, v8, s[18:19]
	;; [unrolled: 1-line block ×4, first 2 shown]
	v_cmp_ge_u64_e32 vcc, v[4:5], v[6:7]
	s_or_b64 s[8:9], vcc, s[8:9]
	s_andn2_b64 exec, exec, s[8:9]
	s_cbranch_execz .LBB517_10
.LBB517_5:                              ; =>This Loop Header: Depth=1
                                        ;     Child Loop BB517_8 Depth 2
	v_add_co_u32_e32 v8, vcc, v6, v4
	v_addc_co_u32_e32 v9, vcc, v7, v5, vcc
	v_lshrrev_b64 v[8:9], 1, v[8:9]
	s_and_b64 vcc, exec, s[0:1]
	s_mov_b64 s[18:19], 0
	s_cbranch_vccnz .LBB517_4
; %bb.6:                                ;   in Loop: Header=BB517_5 Depth=1
	v_not_b32_e32 v11, v9
	v_not_b32_e32 v10, v8
	v_lshlrev_b64 v[10:11], 3, v[10:11]
	v_add_co_u32_e32 v10, vcc, v15, v10
	v_addc_co_u32_e32 v11, vcc, v16, v11, vcc
	v_lshlrev_b64 v[12:13], 3, v[8:9]
	v_add_co_u32_e32 v12, vcc, v1, v12
	v_addc_co_u32_e32 v13, vcc, v14, v13, vcc
	global_load_dwordx2 v[10:11], v[10:11], off
	v_pk_mov_b32 v[18:19], s[12:13], s[12:13] op_sel:[0,1]
	global_load_dwordx2 v[12:13], v[12:13], off
	s_mov_b64 s[20:21], 0
	s_mov_b64 s[26:27], s[10:11]
                                        ; implicit-def: $sgpr18_sgpr19
                                        ; implicit-def: $sgpr22_sgpr23
                                        ; implicit-def: $sgpr24_sgpr25
                                        ; implicit-def: $sgpr2_sgpr3
                                        ; implicit-def: $sgpr28_sgpr29
	s_waitcnt vmcnt(1)
	v_mul_lo_u32 v17, s16, v11
	v_mul_lo_u32 v20, s17, v10
	v_mad_u64_u32 v[10:11], s[4:5], s16, v10, v[18:19]
	s_waitcnt vmcnt(0)
	v_mul_lo_u32 v21, s16, v13
	v_mul_lo_u32 v22, s17, v12
	v_mad_u64_u32 v[12:13], s[4:5], s16, v12, v[18:19]
	v_add3_u32 v11, v20, v11, v17
	v_add3_u32 v13, v22, v13, v21
	s_branch .LBB517_8
.LBB517_7:                              ;   in Loop: Header=BB517_8 Depth=2
	s_or_b64 exec, exec, s[30:31]
	s_and_b64 s[4:5], exec, s[22:23]
	s_or_b64 s[20:21], s[4:5], s[20:21]
	s_andn2_b64 s[4:5], s[28:29], exec
	s_and_b64 s[28:29], s[24:25], exec
	s_or_b64 s[28:29], s[4:5], s[28:29]
	s_andn2_b64 s[4:5], s[18:19], exec
	s_and_b64 s[18:19], s[2:3], exec
	s_or_b64 s[18:19], s[4:5], s[18:19]
	s_andn2_b64 exec, exec, s[20:21]
	s_cbranch_execz .LBB517_3
.LBB517_8:                              ;   Parent Loop BB517_5 Depth=1
                                        ; =>  This Inner Loop Header: Depth=2
	global_load_dwordx2 v[18:19], v[10:11], off
	global_load_dwordx2 v[20:21], v[12:13], off
	s_andn2_b64 s[30:31], s[2:3], exec
	s_andn2_b64 s[24:25], s[24:25], exec
	s_or_b64 s[22:23], s[22:23], exec
	s_waitcnt vmcnt(0)
	v_cmp_le_i64_e64 s[2:3], v[18:19], v[20:21]
	v_cmp_lt_i64_e32 vcc, v[18:19], v[20:21]
	s_and_b64 s[2:3], s[2:3], s[28:29]
	s_or_b64 s[34:35], vcc, s[2:3]
	s_and_b64 s[2:3], s[34:35], exec
	v_cmp_eq_u64_e64 s[4:5], v[18:19], v[20:21]
	s_or_b64 s[2:3], s[30:31], s[2:3]
	s_and_saveexec_b64 s[30:31], s[4:5]
	s_cbranch_execz .LBB517_7
; %bb.9:                                ;   in Loop: Header=BB517_8 Depth=2
	s_add_u32 s26, s26, -1
	s_addc_u32 s27, s27, -1
	v_add_co_u32_e32 v10, vcc, 8, v10
	s_cmp_eq_u64 s[26:27], 0
	v_addc_co_u32_e32 v11, vcc, 0, v11, vcc
	s_cselect_b64 s[4:5], -1, 0
	v_add_co_u32_e32 v12, vcc, 8, v12
	s_andn2_b64 s[24:25], s[24:25], exec
	s_and_b64 s[28:29], s[34:35], exec
	s_andn2_b64 s[22:23], s[22:23], exec
	s_and_b64 s[4:5], s[4:5], exec
	v_addc_co_u32_e32 v13, vcc, 0, v13, vcc
	s_andn2_b64 s[2:3], s[2:3], exec
	s_or_b64 s[24:25], s[24:25], s[28:29]
	s_or_b64 s[22:23], s[22:23], s[4:5]
                                        ; implicit-def: $sgpr28_sgpr29
	s_branch .LBB517_7
.LBB517_10:
	s_or_b64 exec, exec, s[8:9]
.LBB517_11:
	s_or_b64 exec, exec, s[6:7]
	v_add_co_u32_e32 v2, vcc, v4, v2
	v_mov_b32_e32 v1, 0
	v_addc_co_u32_e32 v3, vcc, v5, v3, vcc
	v_lshlrev_b64 v[0:1], 3, v[0:1]
	v_mov_b32_e32 v4, s15
	v_add_co_u32_e32 v0, vcc, s14, v0
	v_addc_co_u32_e32 v1, vcc, v4, v1, vcc
	global_store_dwordx2 v[0:1], v[2:3], off
.LBB517_12:
	s_endpgm
	.section	.rodata,"a",@progbits
	.p2align	6, 0x0
	.amdhsa_kernel _ZN7rocprim17ROCPRIM_400000_NS6detail17trampoline_kernelINS0_14default_configENS1_38merge_sort_block_merge_config_selectorIlNS0_10empty_typeEEEZZNS1_27merge_sort_block_merge_implIS3_PlPS5_mZN2at6native12_GLOBAL__N_124unique_dim_cuda_templateIlEESt5tupleIJNSA_6TensorESF_SF_EERKSF_lbbbEUlllE_EE10hipError_tT0_T1_T2_jT3_P12ihipStream_tbPNSt15iterator_traitsISL_E10value_typeEPNSR_ISM_E10value_typeEPSN_NS1_7vsmem_tEENKUlT_SL_SM_SN_E_clIS8_S8_S9_S9_EESK_S10_SL_SM_SN_EUlS10_E_NS1_11comp_targetILNS1_3genE4ELNS1_11target_archE910ELNS1_3gpuE8ELNS1_3repE0EEENS1_48merge_mergepath_partition_config_static_selectorELNS0_4arch9wavefront6targetE1EEEvSM_
		.amdhsa_group_segment_fixed_size 0
		.amdhsa_private_segment_fixed_size 0
		.amdhsa_kernarg_size 56
		.amdhsa_user_sgpr_count 6
		.amdhsa_user_sgpr_private_segment_buffer 1
		.amdhsa_user_sgpr_dispatch_ptr 0
		.amdhsa_user_sgpr_queue_ptr 0
		.amdhsa_user_sgpr_kernarg_segment_ptr 1
		.amdhsa_user_sgpr_dispatch_id 0
		.amdhsa_user_sgpr_flat_scratch_init 0
		.amdhsa_user_sgpr_kernarg_preload_length 0
		.amdhsa_user_sgpr_kernarg_preload_offset 0
		.amdhsa_user_sgpr_private_segment_size 0
		.amdhsa_uses_dynamic_stack 0
		.amdhsa_system_sgpr_private_segment_wavefront_offset 0
		.amdhsa_system_sgpr_workgroup_id_x 1
		.amdhsa_system_sgpr_workgroup_id_y 0
		.amdhsa_system_sgpr_workgroup_id_z 0
		.amdhsa_system_sgpr_workgroup_info 0
		.amdhsa_system_vgpr_workitem_id 0
		.amdhsa_next_free_vgpr 23
		.amdhsa_next_free_sgpr 36
		.amdhsa_accum_offset 24
		.amdhsa_reserve_vcc 1
		.amdhsa_reserve_flat_scratch 0
		.amdhsa_float_round_mode_32 0
		.amdhsa_float_round_mode_16_64 0
		.amdhsa_float_denorm_mode_32 3
		.amdhsa_float_denorm_mode_16_64 3
		.amdhsa_dx10_clamp 1
		.amdhsa_ieee_mode 1
		.amdhsa_fp16_overflow 0
		.amdhsa_tg_split 0
		.amdhsa_exception_fp_ieee_invalid_op 0
		.amdhsa_exception_fp_denorm_src 0
		.amdhsa_exception_fp_ieee_div_zero 0
		.amdhsa_exception_fp_ieee_overflow 0
		.amdhsa_exception_fp_ieee_underflow 0
		.amdhsa_exception_fp_ieee_inexact 0
		.amdhsa_exception_int_div_zero 0
	.end_amdhsa_kernel
	.section	.text._ZN7rocprim17ROCPRIM_400000_NS6detail17trampoline_kernelINS0_14default_configENS1_38merge_sort_block_merge_config_selectorIlNS0_10empty_typeEEEZZNS1_27merge_sort_block_merge_implIS3_PlPS5_mZN2at6native12_GLOBAL__N_124unique_dim_cuda_templateIlEESt5tupleIJNSA_6TensorESF_SF_EERKSF_lbbbEUlllE_EE10hipError_tT0_T1_T2_jT3_P12ihipStream_tbPNSt15iterator_traitsISL_E10value_typeEPNSR_ISM_E10value_typeEPSN_NS1_7vsmem_tEENKUlT_SL_SM_SN_E_clIS8_S8_S9_S9_EESK_S10_SL_SM_SN_EUlS10_E_NS1_11comp_targetILNS1_3genE4ELNS1_11target_archE910ELNS1_3gpuE8ELNS1_3repE0EEENS1_48merge_mergepath_partition_config_static_selectorELNS0_4arch9wavefront6targetE1EEEvSM_,"axG",@progbits,_ZN7rocprim17ROCPRIM_400000_NS6detail17trampoline_kernelINS0_14default_configENS1_38merge_sort_block_merge_config_selectorIlNS0_10empty_typeEEEZZNS1_27merge_sort_block_merge_implIS3_PlPS5_mZN2at6native12_GLOBAL__N_124unique_dim_cuda_templateIlEESt5tupleIJNSA_6TensorESF_SF_EERKSF_lbbbEUlllE_EE10hipError_tT0_T1_T2_jT3_P12ihipStream_tbPNSt15iterator_traitsISL_E10value_typeEPNSR_ISM_E10value_typeEPSN_NS1_7vsmem_tEENKUlT_SL_SM_SN_E_clIS8_S8_S9_S9_EESK_S10_SL_SM_SN_EUlS10_E_NS1_11comp_targetILNS1_3genE4ELNS1_11target_archE910ELNS1_3gpuE8ELNS1_3repE0EEENS1_48merge_mergepath_partition_config_static_selectorELNS0_4arch9wavefront6targetE1EEEvSM_,comdat
.Lfunc_end517:
	.size	_ZN7rocprim17ROCPRIM_400000_NS6detail17trampoline_kernelINS0_14default_configENS1_38merge_sort_block_merge_config_selectorIlNS0_10empty_typeEEEZZNS1_27merge_sort_block_merge_implIS3_PlPS5_mZN2at6native12_GLOBAL__N_124unique_dim_cuda_templateIlEESt5tupleIJNSA_6TensorESF_SF_EERKSF_lbbbEUlllE_EE10hipError_tT0_T1_T2_jT3_P12ihipStream_tbPNSt15iterator_traitsISL_E10value_typeEPNSR_ISM_E10value_typeEPSN_NS1_7vsmem_tEENKUlT_SL_SM_SN_E_clIS8_S8_S9_S9_EESK_S10_SL_SM_SN_EUlS10_E_NS1_11comp_targetILNS1_3genE4ELNS1_11target_archE910ELNS1_3gpuE8ELNS1_3repE0EEENS1_48merge_mergepath_partition_config_static_selectorELNS0_4arch9wavefront6targetE1EEEvSM_, .Lfunc_end517-_ZN7rocprim17ROCPRIM_400000_NS6detail17trampoline_kernelINS0_14default_configENS1_38merge_sort_block_merge_config_selectorIlNS0_10empty_typeEEEZZNS1_27merge_sort_block_merge_implIS3_PlPS5_mZN2at6native12_GLOBAL__N_124unique_dim_cuda_templateIlEESt5tupleIJNSA_6TensorESF_SF_EERKSF_lbbbEUlllE_EE10hipError_tT0_T1_T2_jT3_P12ihipStream_tbPNSt15iterator_traitsISL_E10value_typeEPNSR_ISM_E10value_typeEPSN_NS1_7vsmem_tEENKUlT_SL_SM_SN_E_clIS8_S8_S9_S9_EESK_S10_SL_SM_SN_EUlS10_E_NS1_11comp_targetILNS1_3genE4ELNS1_11target_archE910ELNS1_3gpuE8ELNS1_3repE0EEENS1_48merge_mergepath_partition_config_static_selectorELNS0_4arch9wavefront6targetE1EEEvSM_
                                        ; -- End function
	.section	.AMDGPU.csdata,"",@progbits
; Kernel info:
; codeLenInByte = 824
; NumSgprs: 40
; NumVgprs: 23
; NumAgprs: 0
; TotalNumVgprs: 23
; ScratchSize: 0
; MemoryBound: 0
; FloatMode: 240
; IeeeMode: 1
; LDSByteSize: 0 bytes/workgroup (compile time only)
; SGPRBlocks: 4
; VGPRBlocks: 2
; NumSGPRsForWavesPerEU: 40
; NumVGPRsForWavesPerEU: 23
; AccumOffset: 24
; Occupancy: 8
; WaveLimiterHint : 0
; COMPUTE_PGM_RSRC2:SCRATCH_EN: 0
; COMPUTE_PGM_RSRC2:USER_SGPR: 6
; COMPUTE_PGM_RSRC2:TRAP_HANDLER: 0
; COMPUTE_PGM_RSRC2:TGID_X_EN: 1
; COMPUTE_PGM_RSRC2:TGID_Y_EN: 0
; COMPUTE_PGM_RSRC2:TGID_Z_EN: 0
; COMPUTE_PGM_RSRC2:TIDIG_COMP_CNT: 0
; COMPUTE_PGM_RSRC3_GFX90A:ACCUM_OFFSET: 5
; COMPUTE_PGM_RSRC3_GFX90A:TG_SPLIT: 0
	.section	.text._ZN7rocprim17ROCPRIM_400000_NS6detail17trampoline_kernelINS0_14default_configENS1_38merge_sort_block_merge_config_selectorIlNS0_10empty_typeEEEZZNS1_27merge_sort_block_merge_implIS3_PlPS5_mZN2at6native12_GLOBAL__N_124unique_dim_cuda_templateIlEESt5tupleIJNSA_6TensorESF_SF_EERKSF_lbbbEUlllE_EE10hipError_tT0_T1_T2_jT3_P12ihipStream_tbPNSt15iterator_traitsISL_E10value_typeEPNSR_ISM_E10value_typeEPSN_NS1_7vsmem_tEENKUlT_SL_SM_SN_E_clIS8_S8_S9_S9_EESK_S10_SL_SM_SN_EUlS10_E_NS1_11comp_targetILNS1_3genE3ELNS1_11target_archE908ELNS1_3gpuE7ELNS1_3repE0EEENS1_48merge_mergepath_partition_config_static_selectorELNS0_4arch9wavefront6targetE1EEEvSM_,"axG",@progbits,_ZN7rocprim17ROCPRIM_400000_NS6detail17trampoline_kernelINS0_14default_configENS1_38merge_sort_block_merge_config_selectorIlNS0_10empty_typeEEEZZNS1_27merge_sort_block_merge_implIS3_PlPS5_mZN2at6native12_GLOBAL__N_124unique_dim_cuda_templateIlEESt5tupleIJNSA_6TensorESF_SF_EERKSF_lbbbEUlllE_EE10hipError_tT0_T1_T2_jT3_P12ihipStream_tbPNSt15iterator_traitsISL_E10value_typeEPNSR_ISM_E10value_typeEPSN_NS1_7vsmem_tEENKUlT_SL_SM_SN_E_clIS8_S8_S9_S9_EESK_S10_SL_SM_SN_EUlS10_E_NS1_11comp_targetILNS1_3genE3ELNS1_11target_archE908ELNS1_3gpuE7ELNS1_3repE0EEENS1_48merge_mergepath_partition_config_static_selectorELNS0_4arch9wavefront6targetE1EEEvSM_,comdat
	.globl	_ZN7rocprim17ROCPRIM_400000_NS6detail17trampoline_kernelINS0_14default_configENS1_38merge_sort_block_merge_config_selectorIlNS0_10empty_typeEEEZZNS1_27merge_sort_block_merge_implIS3_PlPS5_mZN2at6native12_GLOBAL__N_124unique_dim_cuda_templateIlEESt5tupleIJNSA_6TensorESF_SF_EERKSF_lbbbEUlllE_EE10hipError_tT0_T1_T2_jT3_P12ihipStream_tbPNSt15iterator_traitsISL_E10value_typeEPNSR_ISM_E10value_typeEPSN_NS1_7vsmem_tEENKUlT_SL_SM_SN_E_clIS8_S8_S9_S9_EESK_S10_SL_SM_SN_EUlS10_E_NS1_11comp_targetILNS1_3genE3ELNS1_11target_archE908ELNS1_3gpuE7ELNS1_3repE0EEENS1_48merge_mergepath_partition_config_static_selectorELNS0_4arch9wavefront6targetE1EEEvSM_ ; -- Begin function _ZN7rocprim17ROCPRIM_400000_NS6detail17trampoline_kernelINS0_14default_configENS1_38merge_sort_block_merge_config_selectorIlNS0_10empty_typeEEEZZNS1_27merge_sort_block_merge_implIS3_PlPS5_mZN2at6native12_GLOBAL__N_124unique_dim_cuda_templateIlEESt5tupleIJNSA_6TensorESF_SF_EERKSF_lbbbEUlllE_EE10hipError_tT0_T1_T2_jT3_P12ihipStream_tbPNSt15iterator_traitsISL_E10value_typeEPNSR_ISM_E10value_typeEPSN_NS1_7vsmem_tEENKUlT_SL_SM_SN_E_clIS8_S8_S9_S9_EESK_S10_SL_SM_SN_EUlS10_E_NS1_11comp_targetILNS1_3genE3ELNS1_11target_archE908ELNS1_3gpuE7ELNS1_3repE0EEENS1_48merge_mergepath_partition_config_static_selectorELNS0_4arch9wavefront6targetE1EEEvSM_
	.p2align	8
	.type	_ZN7rocprim17ROCPRIM_400000_NS6detail17trampoline_kernelINS0_14default_configENS1_38merge_sort_block_merge_config_selectorIlNS0_10empty_typeEEEZZNS1_27merge_sort_block_merge_implIS3_PlPS5_mZN2at6native12_GLOBAL__N_124unique_dim_cuda_templateIlEESt5tupleIJNSA_6TensorESF_SF_EERKSF_lbbbEUlllE_EE10hipError_tT0_T1_T2_jT3_P12ihipStream_tbPNSt15iterator_traitsISL_E10value_typeEPNSR_ISM_E10value_typeEPSN_NS1_7vsmem_tEENKUlT_SL_SM_SN_E_clIS8_S8_S9_S9_EESK_S10_SL_SM_SN_EUlS10_E_NS1_11comp_targetILNS1_3genE3ELNS1_11target_archE908ELNS1_3gpuE7ELNS1_3repE0EEENS1_48merge_mergepath_partition_config_static_selectorELNS0_4arch9wavefront6targetE1EEEvSM_,@function
_ZN7rocprim17ROCPRIM_400000_NS6detail17trampoline_kernelINS0_14default_configENS1_38merge_sort_block_merge_config_selectorIlNS0_10empty_typeEEEZZNS1_27merge_sort_block_merge_implIS3_PlPS5_mZN2at6native12_GLOBAL__N_124unique_dim_cuda_templateIlEESt5tupleIJNSA_6TensorESF_SF_EERKSF_lbbbEUlllE_EE10hipError_tT0_T1_T2_jT3_P12ihipStream_tbPNSt15iterator_traitsISL_E10value_typeEPNSR_ISM_E10value_typeEPSN_NS1_7vsmem_tEENKUlT_SL_SM_SN_E_clIS8_S8_S9_S9_EESK_S10_SL_SM_SN_EUlS10_E_NS1_11comp_targetILNS1_3genE3ELNS1_11target_archE908ELNS1_3gpuE7ELNS1_3repE0EEENS1_48merge_mergepath_partition_config_static_selectorELNS0_4arch9wavefront6targetE1EEEvSM_: ; @_ZN7rocprim17ROCPRIM_400000_NS6detail17trampoline_kernelINS0_14default_configENS1_38merge_sort_block_merge_config_selectorIlNS0_10empty_typeEEEZZNS1_27merge_sort_block_merge_implIS3_PlPS5_mZN2at6native12_GLOBAL__N_124unique_dim_cuda_templateIlEESt5tupleIJNSA_6TensorESF_SF_EERKSF_lbbbEUlllE_EE10hipError_tT0_T1_T2_jT3_P12ihipStream_tbPNSt15iterator_traitsISL_E10value_typeEPNSR_ISM_E10value_typeEPSN_NS1_7vsmem_tEENKUlT_SL_SM_SN_E_clIS8_S8_S9_S9_EESK_S10_SL_SM_SN_EUlS10_E_NS1_11comp_targetILNS1_3genE3ELNS1_11target_archE908ELNS1_3gpuE7ELNS1_3repE0EEENS1_48merge_mergepath_partition_config_static_selectorELNS0_4arch9wavefront6targetE1EEEvSM_
; %bb.0:
	.section	.rodata,"a",@progbits
	.p2align	6, 0x0
	.amdhsa_kernel _ZN7rocprim17ROCPRIM_400000_NS6detail17trampoline_kernelINS0_14default_configENS1_38merge_sort_block_merge_config_selectorIlNS0_10empty_typeEEEZZNS1_27merge_sort_block_merge_implIS3_PlPS5_mZN2at6native12_GLOBAL__N_124unique_dim_cuda_templateIlEESt5tupleIJNSA_6TensorESF_SF_EERKSF_lbbbEUlllE_EE10hipError_tT0_T1_T2_jT3_P12ihipStream_tbPNSt15iterator_traitsISL_E10value_typeEPNSR_ISM_E10value_typeEPSN_NS1_7vsmem_tEENKUlT_SL_SM_SN_E_clIS8_S8_S9_S9_EESK_S10_SL_SM_SN_EUlS10_E_NS1_11comp_targetILNS1_3genE3ELNS1_11target_archE908ELNS1_3gpuE7ELNS1_3repE0EEENS1_48merge_mergepath_partition_config_static_selectorELNS0_4arch9wavefront6targetE1EEEvSM_
		.amdhsa_group_segment_fixed_size 0
		.amdhsa_private_segment_fixed_size 0
		.amdhsa_kernarg_size 56
		.amdhsa_user_sgpr_count 6
		.amdhsa_user_sgpr_private_segment_buffer 1
		.amdhsa_user_sgpr_dispatch_ptr 0
		.amdhsa_user_sgpr_queue_ptr 0
		.amdhsa_user_sgpr_kernarg_segment_ptr 1
		.amdhsa_user_sgpr_dispatch_id 0
		.amdhsa_user_sgpr_flat_scratch_init 0
		.amdhsa_user_sgpr_kernarg_preload_length 0
		.amdhsa_user_sgpr_kernarg_preload_offset 0
		.amdhsa_user_sgpr_private_segment_size 0
		.amdhsa_uses_dynamic_stack 0
		.amdhsa_system_sgpr_private_segment_wavefront_offset 0
		.amdhsa_system_sgpr_workgroup_id_x 1
		.amdhsa_system_sgpr_workgroup_id_y 0
		.amdhsa_system_sgpr_workgroup_id_z 0
		.amdhsa_system_sgpr_workgroup_info 0
		.amdhsa_system_vgpr_workitem_id 0
		.amdhsa_next_free_vgpr 1
		.amdhsa_next_free_sgpr 0
		.amdhsa_accum_offset 4
		.amdhsa_reserve_vcc 0
		.amdhsa_reserve_flat_scratch 0
		.amdhsa_float_round_mode_32 0
		.amdhsa_float_round_mode_16_64 0
		.amdhsa_float_denorm_mode_32 3
		.amdhsa_float_denorm_mode_16_64 3
		.amdhsa_dx10_clamp 1
		.amdhsa_ieee_mode 1
		.amdhsa_fp16_overflow 0
		.amdhsa_tg_split 0
		.amdhsa_exception_fp_ieee_invalid_op 0
		.amdhsa_exception_fp_denorm_src 0
		.amdhsa_exception_fp_ieee_div_zero 0
		.amdhsa_exception_fp_ieee_overflow 0
		.amdhsa_exception_fp_ieee_underflow 0
		.amdhsa_exception_fp_ieee_inexact 0
		.amdhsa_exception_int_div_zero 0
	.end_amdhsa_kernel
	.section	.text._ZN7rocprim17ROCPRIM_400000_NS6detail17trampoline_kernelINS0_14default_configENS1_38merge_sort_block_merge_config_selectorIlNS0_10empty_typeEEEZZNS1_27merge_sort_block_merge_implIS3_PlPS5_mZN2at6native12_GLOBAL__N_124unique_dim_cuda_templateIlEESt5tupleIJNSA_6TensorESF_SF_EERKSF_lbbbEUlllE_EE10hipError_tT0_T1_T2_jT3_P12ihipStream_tbPNSt15iterator_traitsISL_E10value_typeEPNSR_ISM_E10value_typeEPSN_NS1_7vsmem_tEENKUlT_SL_SM_SN_E_clIS8_S8_S9_S9_EESK_S10_SL_SM_SN_EUlS10_E_NS1_11comp_targetILNS1_3genE3ELNS1_11target_archE908ELNS1_3gpuE7ELNS1_3repE0EEENS1_48merge_mergepath_partition_config_static_selectorELNS0_4arch9wavefront6targetE1EEEvSM_,"axG",@progbits,_ZN7rocprim17ROCPRIM_400000_NS6detail17trampoline_kernelINS0_14default_configENS1_38merge_sort_block_merge_config_selectorIlNS0_10empty_typeEEEZZNS1_27merge_sort_block_merge_implIS3_PlPS5_mZN2at6native12_GLOBAL__N_124unique_dim_cuda_templateIlEESt5tupleIJNSA_6TensorESF_SF_EERKSF_lbbbEUlllE_EE10hipError_tT0_T1_T2_jT3_P12ihipStream_tbPNSt15iterator_traitsISL_E10value_typeEPNSR_ISM_E10value_typeEPSN_NS1_7vsmem_tEENKUlT_SL_SM_SN_E_clIS8_S8_S9_S9_EESK_S10_SL_SM_SN_EUlS10_E_NS1_11comp_targetILNS1_3genE3ELNS1_11target_archE908ELNS1_3gpuE7ELNS1_3repE0EEENS1_48merge_mergepath_partition_config_static_selectorELNS0_4arch9wavefront6targetE1EEEvSM_,comdat
.Lfunc_end518:
	.size	_ZN7rocprim17ROCPRIM_400000_NS6detail17trampoline_kernelINS0_14default_configENS1_38merge_sort_block_merge_config_selectorIlNS0_10empty_typeEEEZZNS1_27merge_sort_block_merge_implIS3_PlPS5_mZN2at6native12_GLOBAL__N_124unique_dim_cuda_templateIlEESt5tupleIJNSA_6TensorESF_SF_EERKSF_lbbbEUlllE_EE10hipError_tT0_T1_T2_jT3_P12ihipStream_tbPNSt15iterator_traitsISL_E10value_typeEPNSR_ISM_E10value_typeEPSN_NS1_7vsmem_tEENKUlT_SL_SM_SN_E_clIS8_S8_S9_S9_EESK_S10_SL_SM_SN_EUlS10_E_NS1_11comp_targetILNS1_3genE3ELNS1_11target_archE908ELNS1_3gpuE7ELNS1_3repE0EEENS1_48merge_mergepath_partition_config_static_selectorELNS0_4arch9wavefront6targetE1EEEvSM_, .Lfunc_end518-_ZN7rocprim17ROCPRIM_400000_NS6detail17trampoline_kernelINS0_14default_configENS1_38merge_sort_block_merge_config_selectorIlNS0_10empty_typeEEEZZNS1_27merge_sort_block_merge_implIS3_PlPS5_mZN2at6native12_GLOBAL__N_124unique_dim_cuda_templateIlEESt5tupleIJNSA_6TensorESF_SF_EERKSF_lbbbEUlllE_EE10hipError_tT0_T1_T2_jT3_P12ihipStream_tbPNSt15iterator_traitsISL_E10value_typeEPNSR_ISM_E10value_typeEPSN_NS1_7vsmem_tEENKUlT_SL_SM_SN_E_clIS8_S8_S9_S9_EESK_S10_SL_SM_SN_EUlS10_E_NS1_11comp_targetILNS1_3genE3ELNS1_11target_archE908ELNS1_3gpuE7ELNS1_3repE0EEENS1_48merge_mergepath_partition_config_static_selectorELNS0_4arch9wavefront6targetE1EEEvSM_
                                        ; -- End function
	.section	.AMDGPU.csdata,"",@progbits
; Kernel info:
; codeLenInByte = 0
; NumSgprs: 4
; NumVgprs: 0
; NumAgprs: 0
; TotalNumVgprs: 0
; ScratchSize: 0
; MemoryBound: 0
; FloatMode: 240
; IeeeMode: 1
; LDSByteSize: 0 bytes/workgroup (compile time only)
; SGPRBlocks: 0
; VGPRBlocks: 0
; NumSGPRsForWavesPerEU: 4
; NumVGPRsForWavesPerEU: 1
; AccumOffset: 4
; Occupancy: 8
; WaveLimiterHint : 0
; COMPUTE_PGM_RSRC2:SCRATCH_EN: 0
; COMPUTE_PGM_RSRC2:USER_SGPR: 6
; COMPUTE_PGM_RSRC2:TRAP_HANDLER: 0
; COMPUTE_PGM_RSRC2:TGID_X_EN: 1
; COMPUTE_PGM_RSRC2:TGID_Y_EN: 0
; COMPUTE_PGM_RSRC2:TGID_Z_EN: 0
; COMPUTE_PGM_RSRC2:TIDIG_COMP_CNT: 0
; COMPUTE_PGM_RSRC3_GFX90A:ACCUM_OFFSET: 0
; COMPUTE_PGM_RSRC3_GFX90A:TG_SPLIT: 0
	.section	.text._ZN7rocprim17ROCPRIM_400000_NS6detail17trampoline_kernelINS0_14default_configENS1_38merge_sort_block_merge_config_selectorIlNS0_10empty_typeEEEZZNS1_27merge_sort_block_merge_implIS3_PlPS5_mZN2at6native12_GLOBAL__N_124unique_dim_cuda_templateIlEESt5tupleIJNSA_6TensorESF_SF_EERKSF_lbbbEUlllE_EE10hipError_tT0_T1_T2_jT3_P12ihipStream_tbPNSt15iterator_traitsISL_E10value_typeEPNSR_ISM_E10value_typeEPSN_NS1_7vsmem_tEENKUlT_SL_SM_SN_E_clIS8_S8_S9_S9_EESK_S10_SL_SM_SN_EUlS10_E_NS1_11comp_targetILNS1_3genE2ELNS1_11target_archE906ELNS1_3gpuE6ELNS1_3repE0EEENS1_48merge_mergepath_partition_config_static_selectorELNS0_4arch9wavefront6targetE1EEEvSM_,"axG",@progbits,_ZN7rocprim17ROCPRIM_400000_NS6detail17trampoline_kernelINS0_14default_configENS1_38merge_sort_block_merge_config_selectorIlNS0_10empty_typeEEEZZNS1_27merge_sort_block_merge_implIS3_PlPS5_mZN2at6native12_GLOBAL__N_124unique_dim_cuda_templateIlEESt5tupleIJNSA_6TensorESF_SF_EERKSF_lbbbEUlllE_EE10hipError_tT0_T1_T2_jT3_P12ihipStream_tbPNSt15iterator_traitsISL_E10value_typeEPNSR_ISM_E10value_typeEPSN_NS1_7vsmem_tEENKUlT_SL_SM_SN_E_clIS8_S8_S9_S9_EESK_S10_SL_SM_SN_EUlS10_E_NS1_11comp_targetILNS1_3genE2ELNS1_11target_archE906ELNS1_3gpuE6ELNS1_3repE0EEENS1_48merge_mergepath_partition_config_static_selectorELNS0_4arch9wavefront6targetE1EEEvSM_,comdat
	.globl	_ZN7rocprim17ROCPRIM_400000_NS6detail17trampoline_kernelINS0_14default_configENS1_38merge_sort_block_merge_config_selectorIlNS0_10empty_typeEEEZZNS1_27merge_sort_block_merge_implIS3_PlPS5_mZN2at6native12_GLOBAL__N_124unique_dim_cuda_templateIlEESt5tupleIJNSA_6TensorESF_SF_EERKSF_lbbbEUlllE_EE10hipError_tT0_T1_T2_jT3_P12ihipStream_tbPNSt15iterator_traitsISL_E10value_typeEPNSR_ISM_E10value_typeEPSN_NS1_7vsmem_tEENKUlT_SL_SM_SN_E_clIS8_S8_S9_S9_EESK_S10_SL_SM_SN_EUlS10_E_NS1_11comp_targetILNS1_3genE2ELNS1_11target_archE906ELNS1_3gpuE6ELNS1_3repE0EEENS1_48merge_mergepath_partition_config_static_selectorELNS0_4arch9wavefront6targetE1EEEvSM_ ; -- Begin function _ZN7rocprim17ROCPRIM_400000_NS6detail17trampoline_kernelINS0_14default_configENS1_38merge_sort_block_merge_config_selectorIlNS0_10empty_typeEEEZZNS1_27merge_sort_block_merge_implIS3_PlPS5_mZN2at6native12_GLOBAL__N_124unique_dim_cuda_templateIlEESt5tupleIJNSA_6TensorESF_SF_EERKSF_lbbbEUlllE_EE10hipError_tT0_T1_T2_jT3_P12ihipStream_tbPNSt15iterator_traitsISL_E10value_typeEPNSR_ISM_E10value_typeEPSN_NS1_7vsmem_tEENKUlT_SL_SM_SN_E_clIS8_S8_S9_S9_EESK_S10_SL_SM_SN_EUlS10_E_NS1_11comp_targetILNS1_3genE2ELNS1_11target_archE906ELNS1_3gpuE6ELNS1_3repE0EEENS1_48merge_mergepath_partition_config_static_selectorELNS0_4arch9wavefront6targetE1EEEvSM_
	.p2align	8
	.type	_ZN7rocprim17ROCPRIM_400000_NS6detail17trampoline_kernelINS0_14default_configENS1_38merge_sort_block_merge_config_selectorIlNS0_10empty_typeEEEZZNS1_27merge_sort_block_merge_implIS3_PlPS5_mZN2at6native12_GLOBAL__N_124unique_dim_cuda_templateIlEESt5tupleIJNSA_6TensorESF_SF_EERKSF_lbbbEUlllE_EE10hipError_tT0_T1_T2_jT3_P12ihipStream_tbPNSt15iterator_traitsISL_E10value_typeEPNSR_ISM_E10value_typeEPSN_NS1_7vsmem_tEENKUlT_SL_SM_SN_E_clIS8_S8_S9_S9_EESK_S10_SL_SM_SN_EUlS10_E_NS1_11comp_targetILNS1_3genE2ELNS1_11target_archE906ELNS1_3gpuE6ELNS1_3repE0EEENS1_48merge_mergepath_partition_config_static_selectorELNS0_4arch9wavefront6targetE1EEEvSM_,@function
_ZN7rocprim17ROCPRIM_400000_NS6detail17trampoline_kernelINS0_14default_configENS1_38merge_sort_block_merge_config_selectorIlNS0_10empty_typeEEEZZNS1_27merge_sort_block_merge_implIS3_PlPS5_mZN2at6native12_GLOBAL__N_124unique_dim_cuda_templateIlEESt5tupleIJNSA_6TensorESF_SF_EERKSF_lbbbEUlllE_EE10hipError_tT0_T1_T2_jT3_P12ihipStream_tbPNSt15iterator_traitsISL_E10value_typeEPNSR_ISM_E10value_typeEPSN_NS1_7vsmem_tEENKUlT_SL_SM_SN_E_clIS8_S8_S9_S9_EESK_S10_SL_SM_SN_EUlS10_E_NS1_11comp_targetILNS1_3genE2ELNS1_11target_archE906ELNS1_3gpuE6ELNS1_3repE0EEENS1_48merge_mergepath_partition_config_static_selectorELNS0_4arch9wavefront6targetE1EEEvSM_: ; @_ZN7rocprim17ROCPRIM_400000_NS6detail17trampoline_kernelINS0_14default_configENS1_38merge_sort_block_merge_config_selectorIlNS0_10empty_typeEEEZZNS1_27merge_sort_block_merge_implIS3_PlPS5_mZN2at6native12_GLOBAL__N_124unique_dim_cuda_templateIlEESt5tupleIJNSA_6TensorESF_SF_EERKSF_lbbbEUlllE_EE10hipError_tT0_T1_T2_jT3_P12ihipStream_tbPNSt15iterator_traitsISL_E10value_typeEPNSR_ISM_E10value_typeEPSN_NS1_7vsmem_tEENKUlT_SL_SM_SN_E_clIS8_S8_S9_S9_EESK_S10_SL_SM_SN_EUlS10_E_NS1_11comp_targetILNS1_3genE2ELNS1_11target_archE906ELNS1_3gpuE6ELNS1_3repE0EEENS1_48merge_mergepath_partition_config_static_selectorELNS0_4arch9wavefront6targetE1EEEvSM_
; %bb.0:
	.section	.rodata,"a",@progbits
	.p2align	6, 0x0
	.amdhsa_kernel _ZN7rocprim17ROCPRIM_400000_NS6detail17trampoline_kernelINS0_14default_configENS1_38merge_sort_block_merge_config_selectorIlNS0_10empty_typeEEEZZNS1_27merge_sort_block_merge_implIS3_PlPS5_mZN2at6native12_GLOBAL__N_124unique_dim_cuda_templateIlEESt5tupleIJNSA_6TensorESF_SF_EERKSF_lbbbEUlllE_EE10hipError_tT0_T1_T2_jT3_P12ihipStream_tbPNSt15iterator_traitsISL_E10value_typeEPNSR_ISM_E10value_typeEPSN_NS1_7vsmem_tEENKUlT_SL_SM_SN_E_clIS8_S8_S9_S9_EESK_S10_SL_SM_SN_EUlS10_E_NS1_11comp_targetILNS1_3genE2ELNS1_11target_archE906ELNS1_3gpuE6ELNS1_3repE0EEENS1_48merge_mergepath_partition_config_static_selectorELNS0_4arch9wavefront6targetE1EEEvSM_
		.amdhsa_group_segment_fixed_size 0
		.amdhsa_private_segment_fixed_size 0
		.amdhsa_kernarg_size 56
		.amdhsa_user_sgpr_count 6
		.amdhsa_user_sgpr_private_segment_buffer 1
		.amdhsa_user_sgpr_dispatch_ptr 0
		.amdhsa_user_sgpr_queue_ptr 0
		.amdhsa_user_sgpr_kernarg_segment_ptr 1
		.amdhsa_user_sgpr_dispatch_id 0
		.amdhsa_user_sgpr_flat_scratch_init 0
		.amdhsa_user_sgpr_kernarg_preload_length 0
		.amdhsa_user_sgpr_kernarg_preload_offset 0
		.amdhsa_user_sgpr_private_segment_size 0
		.amdhsa_uses_dynamic_stack 0
		.amdhsa_system_sgpr_private_segment_wavefront_offset 0
		.amdhsa_system_sgpr_workgroup_id_x 1
		.amdhsa_system_sgpr_workgroup_id_y 0
		.amdhsa_system_sgpr_workgroup_id_z 0
		.amdhsa_system_sgpr_workgroup_info 0
		.amdhsa_system_vgpr_workitem_id 0
		.amdhsa_next_free_vgpr 1
		.amdhsa_next_free_sgpr 0
		.amdhsa_accum_offset 4
		.amdhsa_reserve_vcc 0
		.amdhsa_reserve_flat_scratch 0
		.amdhsa_float_round_mode_32 0
		.amdhsa_float_round_mode_16_64 0
		.amdhsa_float_denorm_mode_32 3
		.amdhsa_float_denorm_mode_16_64 3
		.amdhsa_dx10_clamp 1
		.amdhsa_ieee_mode 1
		.amdhsa_fp16_overflow 0
		.amdhsa_tg_split 0
		.amdhsa_exception_fp_ieee_invalid_op 0
		.amdhsa_exception_fp_denorm_src 0
		.amdhsa_exception_fp_ieee_div_zero 0
		.amdhsa_exception_fp_ieee_overflow 0
		.amdhsa_exception_fp_ieee_underflow 0
		.amdhsa_exception_fp_ieee_inexact 0
		.amdhsa_exception_int_div_zero 0
	.end_amdhsa_kernel
	.section	.text._ZN7rocprim17ROCPRIM_400000_NS6detail17trampoline_kernelINS0_14default_configENS1_38merge_sort_block_merge_config_selectorIlNS0_10empty_typeEEEZZNS1_27merge_sort_block_merge_implIS3_PlPS5_mZN2at6native12_GLOBAL__N_124unique_dim_cuda_templateIlEESt5tupleIJNSA_6TensorESF_SF_EERKSF_lbbbEUlllE_EE10hipError_tT0_T1_T2_jT3_P12ihipStream_tbPNSt15iterator_traitsISL_E10value_typeEPNSR_ISM_E10value_typeEPSN_NS1_7vsmem_tEENKUlT_SL_SM_SN_E_clIS8_S8_S9_S9_EESK_S10_SL_SM_SN_EUlS10_E_NS1_11comp_targetILNS1_3genE2ELNS1_11target_archE906ELNS1_3gpuE6ELNS1_3repE0EEENS1_48merge_mergepath_partition_config_static_selectorELNS0_4arch9wavefront6targetE1EEEvSM_,"axG",@progbits,_ZN7rocprim17ROCPRIM_400000_NS6detail17trampoline_kernelINS0_14default_configENS1_38merge_sort_block_merge_config_selectorIlNS0_10empty_typeEEEZZNS1_27merge_sort_block_merge_implIS3_PlPS5_mZN2at6native12_GLOBAL__N_124unique_dim_cuda_templateIlEESt5tupleIJNSA_6TensorESF_SF_EERKSF_lbbbEUlllE_EE10hipError_tT0_T1_T2_jT3_P12ihipStream_tbPNSt15iterator_traitsISL_E10value_typeEPNSR_ISM_E10value_typeEPSN_NS1_7vsmem_tEENKUlT_SL_SM_SN_E_clIS8_S8_S9_S9_EESK_S10_SL_SM_SN_EUlS10_E_NS1_11comp_targetILNS1_3genE2ELNS1_11target_archE906ELNS1_3gpuE6ELNS1_3repE0EEENS1_48merge_mergepath_partition_config_static_selectorELNS0_4arch9wavefront6targetE1EEEvSM_,comdat
.Lfunc_end519:
	.size	_ZN7rocprim17ROCPRIM_400000_NS6detail17trampoline_kernelINS0_14default_configENS1_38merge_sort_block_merge_config_selectorIlNS0_10empty_typeEEEZZNS1_27merge_sort_block_merge_implIS3_PlPS5_mZN2at6native12_GLOBAL__N_124unique_dim_cuda_templateIlEESt5tupleIJNSA_6TensorESF_SF_EERKSF_lbbbEUlllE_EE10hipError_tT0_T1_T2_jT3_P12ihipStream_tbPNSt15iterator_traitsISL_E10value_typeEPNSR_ISM_E10value_typeEPSN_NS1_7vsmem_tEENKUlT_SL_SM_SN_E_clIS8_S8_S9_S9_EESK_S10_SL_SM_SN_EUlS10_E_NS1_11comp_targetILNS1_3genE2ELNS1_11target_archE906ELNS1_3gpuE6ELNS1_3repE0EEENS1_48merge_mergepath_partition_config_static_selectorELNS0_4arch9wavefront6targetE1EEEvSM_, .Lfunc_end519-_ZN7rocprim17ROCPRIM_400000_NS6detail17trampoline_kernelINS0_14default_configENS1_38merge_sort_block_merge_config_selectorIlNS0_10empty_typeEEEZZNS1_27merge_sort_block_merge_implIS3_PlPS5_mZN2at6native12_GLOBAL__N_124unique_dim_cuda_templateIlEESt5tupleIJNSA_6TensorESF_SF_EERKSF_lbbbEUlllE_EE10hipError_tT0_T1_T2_jT3_P12ihipStream_tbPNSt15iterator_traitsISL_E10value_typeEPNSR_ISM_E10value_typeEPSN_NS1_7vsmem_tEENKUlT_SL_SM_SN_E_clIS8_S8_S9_S9_EESK_S10_SL_SM_SN_EUlS10_E_NS1_11comp_targetILNS1_3genE2ELNS1_11target_archE906ELNS1_3gpuE6ELNS1_3repE0EEENS1_48merge_mergepath_partition_config_static_selectorELNS0_4arch9wavefront6targetE1EEEvSM_
                                        ; -- End function
	.section	.AMDGPU.csdata,"",@progbits
; Kernel info:
; codeLenInByte = 0
; NumSgprs: 4
; NumVgprs: 0
; NumAgprs: 0
; TotalNumVgprs: 0
; ScratchSize: 0
; MemoryBound: 0
; FloatMode: 240
; IeeeMode: 1
; LDSByteSize: 0 bytes/workgroup (compile time only)
; SGPRBlocks: 0
; VGPRBlocks: 0
; NumSGPRsForWavesPerEU: 4
; NumVGPRsForWavesPerEU: 1
; AccumOffset: 4
; Occupancy: 8
; WaveLimiterHint : 0
; COMPUTE_PGM_RSRC2:SCRATCH_EN: 0
; COMPUTE_PGM_RSRC2:USER_SGPR: 6
; COMPUTE_PGM_RSRC2:TRAP_HANDLER: 0
; COMPUTE_PGM_RSRC2:TGID_X_EN: 1
; COMPUTE_PGM_RSRC2:TGID_Y_EN: 0
; COMPUTE_PGM_RSRC2:TGID_Z_EN: 0
; COMPUTE_PGM_RSRC2:TIDIG_COMP_CNT: 0
; COMPUTE_PGM_RSRC3_GFX90A:ACCUM_OFFSET: 0
; COMPUTE_PGM_RSRC3_GFX90A:TG_SPLIT: 0
	.section	.text._ZN7rocprim17ROCPRIM_400000_NS6detail17trampoline_kernelINS0_14default_configENS1_38merge_sort_block_merge_config_selectorIlNS0_10empty_typeEEEZZNS1_27merge_sort_block_merge_implIS3_PlPS5_mZN2at6native12_GLOBAL__N_124unique_dim_cuda_templateIlEESt5tupleIJNSA_6TensorESF_SF_EERKSF_lbbbEUlllE_EE10hipError_tT0_T1_T2_jT3_P12ihipStream_tbPNSt15iterator_traitsISL_E10value_typeEPNSR_ISM_E10value_typeEPSN_NS1_7vsmem_tEENKUlT_SL_SM_SN_E_clIS8_S8_S9_S9_EESK_S10_SL_SM_SN_EUlS10_E_NS1_11comp_targetILNS1_3genE9ELNS1_11target_archE1100ELNS1_3gpuE3ELNS1_3repE0EEENS1_48merge_mergepath_partition_config_static_selectorELNS0_4arch9wavefront6targetE1EEEvSM_,"axG",@progbits,_ZN7rocprim17ROCPRIM_400000_NS6detail17trampoline_kernelINS0_14default_configENS1_38merge_sort_block_merge_config_selectorIlNS0_10empty_typeEEEZZNS1_27merge_sort_block_merge_implIS3_PlPS5_mZN2at6native12_GLOBAL__N_124unique_dim_cuda_templateIlEESt5tupleIJNSA_6TensorESF_SF_EERKSF_lbbbEUlllE_EE10hipError_tT0_T1_T2_jT3_P12ihipStream_tbPNSt15iterator_traitsISL_E10value_typeEPNSR_ISM_E10value_typeEPSN_NS1_7vsmem_tEENKUlT_SL_SM_SN_E_clIS8_S8_S9_S9_EESK_S10_SL_SM_SN_EUlS10_E_NS1_11comp_targetILNS1_3genE9ELNS1_11target_archE1100ELNS1_3gpuE3ELNS1_3repE0EEENS1_48merge_mergepath_partition_config_static_selectorELNS0_4arch9wavefront6targetE1EEEvSM_,comdat
	.globl	_ZN7rocprim17ROCPRIM_400000_NS6detail17trampoline_kernelINS0_14default_configENS1_38merge_sort_block_merge_config_selectorIlNS0_10empty_typeEEEZZNS1_27merge_sort_block_merge_implIS3_PlPS5_mZN2at6native12_GLOBAL__N_124unique_dim_cuda_templateIlEESt5tupleIJNSA_6TensorESF_SF_EERKSF_lbbbEUlllE_EE10hipError_tT0_T1_T2_jT3_P12ihipStream_tbPNSt15iterator_traitsISL_E10value_typeEPNSR_ISM_E10value_typeEPSN_NS1_7vsmem_tEENKUlT_SL_SM_SN_E_clIS8_S8_S9_S9_EESK_S10_SL_SM_SN_EUlS10_E_NS1_11comp_targetILNS1_3genE9ELNS1_11target_archE1100ELNS1_3gpuE3ELNS1_3repE0EEENS1_48merge_mergepath_partition_config_static_selectorELNS0_4arch9wavefront6targetE1EEEvSM_ ; -- Begin function _ZN7rocprim17ROCPRIM_400000_NS6detail17trampoline_kernelINS0_14default_configENS1_38merge_sort_block_merge_config_selectorIlNS0_10empty_typeEEEZZNS1_27merge_sort_block_merge_implIS3_PlPS5_mZN2at6native12_GLOBAL__N_124unique_dim_cuda_templateIlEESt5tupleIJNSA_6TensorESF_SF_EERKSF_lbbbEUlllE_EE10hipError_tT0_T1_T2_jT3_P12ihipStream_tbPNSt15iterator_traitsISL_E10value_typeEPNSR_ISM_E10value_typeEPSN_NS1_7vsmem_tEENKUlT_SL_SM_SN_E_clIS8_S8_S9_S9_EESK_S10_SL_SM_SN_EUlS10_E_NS1_11comp_targetILNS1_3genE9ELNS1_11target_archE1100ELNS1_3gpuE3ELNS1_3repE0EEENS1_48merge_mergepath_partition_config_static_selectorELNS0_4arch9wavefront6targetE1EEEvSM_
	.p2align	8
	.type	_ZN7rocprim17ROCPRIM_400000_NS6detail17trampoline_kernelINS0_14default_configENS1_38merge_sort_block_merge_config_selectorIlNS0_10empty_typeEEEZZNS1_27merge_sort_block_merge_implIS3_PlPS5_mZN2at6native12_GLOBAL__N_124unique_dim_cuda_templateIlEESt5tupleIJNSA_6TensorESF_SF_EERKSF_lbbbEUlllE_EE10hipError_tT0_T1_T2_jT3_P12ihipStream_tbPNSt15iterator_traitsISL_E10value_typeEPNSR_ISM_E10value_typeEPSN_NS1_7vsmem_tEENKUlT_SL_SM_SN_E_clIS8_S8_S9_S9_EESK_S10_SL_SM_SN_EUlS10_E_NS1_11comp_targetILNS1_3genE9ELNS1_11target_archE1100ELNS1_3gpuE3ELNS1_3repE0EEENS1_48merge_mergepath_partition_config_static_selectorELNS0_4arch9wavefront6targetE1EEEvSM_,@function
_ZN7rocprim17ROCPRIM_400000_NS6detail17trampoline_kernelINS0_14default_configENS1_38merge_sort_block_merge_config_selectorIlNS0_10empty_typeEEEZZNS1_27merge_sort_block_merge_implIS3_PlPS5_mZN2at6native12_GLOBAL__N_124unique_dim_cuda_templateIlEESt5tupleIJNSA_6TensorESF_SF_EERKSF_lbbbEUlllE_EE10hipError_tT0_T1_T2_jT3_P12ihipStream_tbPNSt15iterator_traitsISL_E10value_typeEPNSR_ISM_E10value_typeEPSN_NS1_7vsmem_tEENKUlT_SL_SM_SN_E_clIS8_S8_S9_S9_EESK_S10_SL_SM_SN_EUlS10_E_NS1_11comp_targetILNS1_3genE9ELNS1_11target_archE1100ELNS1_3gpuE3ELNS1_3repE0EEENS1_48merge_mergepath_partition_config_static_selectorELNS0_4arch9wavefront6targetE1EEEvSM_: ; @_ZN7rocprim17ROCPRIM_400000_NS6detail17trampoline_kernelINS0_14default_configENS1_38merge_sort_block_merge_config_selectorIlNS0_10empty_typeEEEZZNS1_27merge_sort_block_merge_implIS3_PlPS5_mZN2at6native12_GLOBAL__N_124unique_dim_cuda_templateIlEESt5tupleIJNSA_6TensorESF_SF_EERKSF_lbbbEUlllE_EE10hipError_tT0_T1_T2_jT3_P12ihipStream_tbPNSt15iterator_traitsISL_E10value_typeEPNSR_ISM_E10value_typeEPSN_NS1_7vsmem_tEENKUlT_SL_SM_SN_E_clIS8_S8_S9_S9_EESK_S10_SL_SM_SN_EUlS10_E_NS1_11comp_targetILNS1_3genE9ELNS1_11target_archE1100ELNS1_3gpuE3ELNS1_3repE0EEENS1_48merge_mergepath_partition_config_static_selectorELNS0_4arch9wavefront6targetE1EEEvSM_
; %bb.0:
	.section	.rodata,"a",@progbits
	.p2align	6, 0x0
	.amdhsa_kernel _ZN7rocprim17ROCPRIM_400000_NS6detail17trampoline_kernelINS0_14default_configENS1_38merge_sort_block_merge_config_selectorIlNS0_10empty_typeEEEZZNS1_27merge_sort_block_merge_implIS3_PlPS5_mZN2at6native12_GLOBAL__N_124unique_dim_cuda_templateIlEESt5tupleIJNSA_6TensorESF_SF_EERKSF_lbbbEUlllE_EE10hipError_tT0_T1_T2_jT3_P12ihipStream_tbPNSt15iterator_traitsISL_E10value_typeEPNSR_ISM_E10value_typeEPSN_NS1_7vsmem_tEENKUlT_SL_SM_SN_E_clIS8_S8_S9_S9_EESK_S10_SL_SM_SN_EUlS10_E_NS1_11comp_targetILNS1_3genE9ELNS1_11target_archE1100ELNS1_3gpuE3ELNS1_3repE0EEENS1_48merge_mergepath_partition_config_static_selectorELNS0_4arch9wavefront6targetE1EEEvSM_
		.amdhsa_group_segment_fixed_size 0
		.amdhsa_private_segment_fixed_size 0
		.amdhsa_kernarg_size 56
		.amdhsa_user_sgpr_count 6
		.amdhsa_user_sgpr_private_segment_buffer 1
		.amdhsa_user_sgpr_dispatch_ptr 0
		.amdhsa_user_sgpr_queue_ptr 0
		.amdhsa_user_sgpr_kernarg_segment_ptr 1
		.amdhsa_user_sgpr_dispatch_id 0
		.amdhsa_user_sgpr_flat_scratch_init 0
		.amdhsa_user_sgpr_kernarg_preload_length 0
		.amdhsa_user_sgpr_kernarg_preload_offset 0
		.amdhsa_user_sgpr_private_segment_size 0
		.amdhsa_uses_dynamic_stack 0
		.amdhsa_system_sgpr_private_segment_wavefront_offset 0
		.amdhsa_system_sgpr_workgroup_id_x 1
		.amdhsa_system_sgpr_workgroup_id_y 0
		.amdhsa_system_sgpr_workgroup_id_z 0
		.amdhsa_system_sgpr_workgroup_info 0
		.amdhsa_system_vgpr_workitem_id 0
		.amdhsa_next_free_vgpr 1
		.amdhsa_next_free_sgpr 0
		.amdhsa_accum_offset 4
		.amdhsa_reserve_vcc 0
		.amdhsa_reserve_flat_scratch 0
		.amdhsa_float_round_mode_32 0
		.amdhsa_float_round_mode_16_64 0
		.amdhsa_float_denorm_mode_32 3
		.amdhsa_float_denorm_mode_16_64 3
		.amdhsa_dx10_clamp 1
		.amdhsa_ieee_mode 1
		.amdhsa_fp16_overflow 0
		.amdhsa_tg_split 0
		.amdhsa_exception_fp_ieee_invalid_op 0
		.amdhsa_exception_fp_denorm_src 0
		.amdhsa_exception_fp_ieee_div_zero 0
		.amdhsa_exception_fp_ieee_overflow 0
		.amdhsa_exception_fp_ieee_underflow 0
		.amdhsa_exception_fp_ieee_inexact 0
		.amdhsa_exception_int_div_zero 0
	.end_amdhsa_kernel
	.section	.text._ZN7rocprim17ROCPRIM_400000_NS6detail17trampoline_kernelINS0_14default_configENS1_38merge_sort_block_merge_config_selectorIlNS0_10empty_typeEEEZZNS1_27merge_sort_block_merge_implIS3_PlPS5_mZN2at6native12_GLOBAL__N_124unique_dim_cuda_templateIlEESt5tupleIJNSA_6TensorESF_SF_EERKSF_lbbbEUlllE_EE10hipError_tT0_T1_T2_jT3_P12ihipStream_tbPNSt15iterator_traitsISL_E10value_typeEPNSR_ISM_E10value_typeEPSN_NS1_7vsmem_tEENKUlT_SL_SM_SN_E_clIS8_S8_S9_S9_EESK_S10_SL_SM_SN_EUlS10_E_NS1_11comp_targetILNS1_3genE9ELNS1_11target_archE1100ELNS1_3gpuE3ELNS1_3repE0EEENS1_48merge_mergepath_partition_config_static_selectorELNS0_4arch9wavefront6targetE1EEEvSM_,"axG",@progbits,_ZN7rocprim17ROCPRIM_400000_NS6detail17trampoline_kernelINS0_14default_configENS1_38merge_sort_block_merge_config_selectorIlNS0_10empty_typeEEEZZNS1_27merge_sort_block_merge_implIS3_PlPS5_mZN2at6native12_GLOBAL__N_124unique_dim_cuda_templateIlEESt5tupleIJNSA_6TensorESF_SF_EERKSF_lbbbEUlllE_EE10hipError_tT0_T1_T2_jT3_P12ihipStream_tbPNSt15iterator_traitsISL_E10value_typeEPNSR_ISM_E10value_typeEPSN_NS1_7vsmem_tEENKUlT_SL_SM_SN_E_clIS8_S8_S9_S9_EESK_S10_SL_SM_SN_EUlS10_E_NS1_11comp_targetILNS1_3genE9ELNS1_11target_archE1100ELNS1_3gpuE3ELNS1_3repE0EEENS1_48merge_mergepath_partition_config_static_selectorELNS0_4arch9wavefront6targetE1EEEvSM_,comdat
.Lfunc_end520:
	.size	_ZN7rocprim17ROCPRIM_400000_NS6detail17trampoline_kernelINS0_14default_configENS1_38merge_sort_block_merge_config_selectorIlNS0_10empty_typeEEEZZNS1_27merge_sort_block_merge_implIS3_PlPS5_mZN2at6native12_GLOBAL__N_124unique_dim_cuda_templateIlEESt5tupleIJNSA_6TensorESF_SF_EERKSF_lbbbEUlllE_EE10hipError_tT0_T1_T2_jT3_P12ihipStream_tbPNSt15iterator_traitsISL_E10value_typeEPNSR_ISM_E10value_typeEPSN_NS1_7vsmem_tEENKUlT_SL_SM_SN_E_clIS8_S8_S9_S9_EESK_S10_SL_SM_SN_EUlS10_E_NS1_11comp_targetILNS1_3genE9ELNS1_11target_archE1100ELNS1_3gpuE3ELNS1_3repE0EEENS1_48merge_mergepath_partition_config_static_selectorELNS0_4arch9wavefront6targetE1EEEvSM_, .Lfunc_end520-_ZN7rocprim17ROCPRIM_400000_NS6detail17trampoline_kernelINS0_14default_configENS1_38merge_sort_block_merge_config_selectorIlNS0_10empty_typeEEEZZNS1_27merge_sort_block_merge_implIS3_PlPS5_mZN2at6native12_GLOBAL__N_124unique_dim_cuda_templateIlEESt5tupleIJNSA_6TensorESF_SF_EERKSF_lbbbEUlllE_EE10hipError_tT0_T1_T2_jT3_P12ihipStream_tbPNSt15iterator_traitsISL_E10value_typeEPNSR_ISM_E10value_typeEPSN_NS1_7vsmem_tEENKUlT_SL_SM_SN_E_clIS8_S8_S9_S9_EESK_S10_SL_SM_SN_EUlS10_E_NS1_11comp_targetILNS1_3genE9ELNS1_11target_archE1100ELNS1_3gpuE3ELNS1_3repE0EEENS1_48merge_mergepath_partition_config_static_selectorELNS0_4arch9wavefront6targetE1EEEvSM_
                                        ; -- End function
	.section	.AMDGPU.csdata,"",@progbits
; Kernel info:
; codeLenInByte = 0
; NumSgprs: 4
; NumVgprs: 0
; NumAgprs: 0
; TotalNumVgprs: 0
; ScratchSize: 0
; MemoryBound: 0
; FloatMode: 240
; IeeeMode: 1
; LDSByteSize: 0 bytes/workgroup (compile time only)
; SGPRBlocks: 0
; VGPRBlocks: 0
; NumSGPRsForWavesPerEU: 4
; NumVGPRsForWavesPerEU: 1
; AccumOffset: 4
; Occupancy: 8
; WaveLimiterHint : 0
; COMPUTE_PGM_RSRC2:SCRATCH_EN: 0
; COMPUTE_PGM_RSRC2:USER_SGPR: 6
; COMPUTE_PGM_RSRC2:TRAP_HANDLER: 0
; COMPUTE_PGM_RSRC2:TGID_X_EN: 1
; COMPUTE_PGM_RSRC2:TGID_Y_EN: 0
; COMPUTE_PGM_RSRC2:TGID_Z_EN: 0
; COMPUTE_PGM_RSRC2:TIDIG_COMP_CNT: 0
; COMPUTE_PGM_RSRC3_GFX90A:ACCUM_OFFSET: 0
; COMPUTE_PGM_RSRC3_GFX90A:TG_SPLIT: 0
	.section	.text._ZN7rocprim17ROCPRIM_400000_NS6detail17trampoline_kernelINS0_14default_configENS1_38merge_sort_block_merge_config_selectorIlNS0_10empty_typeEEEZZNS1_27merge_sort_block_merge_implIS3_PlPS5_mZN2at6native12_GLOBAL__N_124unique_dim_cuda_templateIlEESt5tupleIJNSA_6TensorESF_SF_EERKSF_lbbbEUlllE_EE10hipError_tT0_T1_T2_jT3_P12ihipStream_tbPNSt15iterator_traitsISL_E10value_typeEPNSR_ISM_E10value_typeEPSN_NS1_7vsmem_tEENKUlT_SL_SM_SN_E_clIS8_S8_S9_S9_EESK_S10_SL_SM_SN_EUlS10_E_NS1_11comp_targetILNS1_3genE8ELNS1_11target_archE1030ELNS1_3gpuE2ELNS1_3repE0EEENS1_48merge_mergepath_partition_config_static_selectorELNS0_4arch9wavefront6targetE1EEEvSM_,"axG",@progbits,_ZN7rocprim17ROCPRIM_400000_NS6detail17trampoline_kernelINS0_14default_configENS1_38merge_sort_block_merge_config_selectorIlNS0_10empty_typeEEEZZNS1_27merge_sort_block_merge_implIS3_PlPS5_mZN2at6native12_GLOBAL__N_124unique_dim_cuda_templateIlEESt5tupleIJNSA_6TensorESF_SF_EERKSF_lbbbEUlllE_EE10hipError_tT0_T1_T2_jT3_P12ihipStream_tbPNSt15iterator_traitsISL_E10value_typeEPNSR_ISM_E10value_typeEPSN_NS1_7vsmem_tEENKUlT_SL_SM_SN_E_clIS8_S8_S9_S9_EESK_S10_SL_SM_SN_EUlS10_E_NS1_11comp_targetILNS1_3genE8ELNS1_11target_archE1030ELNS1_3gpuE2ELNS1_3repE0EEENS1_48merge_mergepath_partition_config_static_selectorELNS0_4arch9wavefront6targetE1EEEvSM_,comdat
	.globl	_ZN7rocprim17ROCPRIM_400000_NS6detail17trampoline_kernelINS0_14default_configENS1_38merge_sort_block_merge_config_selectorIlNS0_10empty_typeEEEZZNS1_27merge_sort_block_merge_implIS3_PlPS5_mZN2at6native12_GLOBAL__N_124unique_dim_cuda_templateIlEESt5tupleIJNSA_6TensorESF_SF_EERKSF_lbbbEUlllE_EE10hipError_tT0_T1_T2_jT3_P12ihipStream_tbPNSt15iterator_traitsISL_E10value_typeEPNSR_ISM_E10value_typeEPSN_NS1_7vsmem_tEENKUlT_SL_SM_SN_E_clIS8_S8_S9_S9_EESK_S10_SL_SM_SN_EUlS10_E_NS1_11comp_targetILNS1_3genE8ELNS1_11target_archE1030ELNS1_3gpuE2ELNS1_3repE0EEENS1_48merge_mergepath_partition_config_static_selectorELNS0_4arch9wavefront6targetE1EEEvSM_ ; -- Begin function _ZN7rocprim17ROCPRIM_400000_NS6detail17trampoline_kernelINS0_14default_configENS1_38merge_sort_block_merge_config_selectorIlNS0_10empty_typeEEEZZNS1_27merge_sort_block_merge_implIS3_PlPS5_mZN2at6native12_GLOBAL__N_124unique_dim_cuda_templateIlEESt5tupleIJNSA_6TensorESF_SF_EERKSF_lbbbEUlllE_EE10hipError_tT0_T1_T2_jT3_P12ihipStream_tbPNSt15iterator_traitsISL_E10value_typeEPNSR_ISM_E10value_typeEPSN_NS1_7vsmem_tEENKUlT_SL_SM_SN_E_clIS8_S8_S9_S9_EESK_S10_SL_SM_SN_EUlS10_E_NS1_11comp_targetILNS1_3genE8ELNS1_11target_archE1030ELNS1_3gpuE2ELNS1_3repE0EEENS1_48merge_mergepath_partition_config_static_selectorELNS0_4arch9wavefront6targetE1EEEvSM_
	.p2align	8
	.type	_ZN7rocprim17ROCPRIM_400000_NS6detail17trampoline_kernelINS0_14default_configENS1_38merge_sort_block_merge_config_selectorIlNS0_10empty_typeEEEZZNS1_27merge_sort_block_merge_implIS3_PlPS5_mZN2at6native12_GLOBAL__N_124unique_dim_cuda_templateIlEESt5tupleIJNSA_6TensorESF_SF_EERKSF_lbbbEUlllE_EE10hipError_tT0_T1_T2_jT3_P12ihipStream_tbPNSt15iterator_traitsISL_E10value_typeEPNSR_ISM_E10value_typeEPSN_NS1_7vsmem_tEENKUlT_SL_SM_SN_E_clIS8_S8_S9_S9_EESK_S10_SL_SM_SN_EUlS10_E_NS1_11comp_targetILNS1_3genE8ELNS1_11target_archE1030ELNS1_3gpuE2ELNS1_3repE0EEENS1_48merge_mergepath_partition_config_static_selectorELNS0_4arch9wavefront6targetE1EEEvSM_,@function
_ZN7rocprim17ROCPRIM_400000_NS6detail17trampoline_kernelINS0_14default_configENS1_38merge_sort_block_merge_config_selectorIlNS0_10empty_typeEEEZZNS1_27merge_sort_block_merge_implIS3_PlPS5_mZN2at6native12_GLOBAL__N_124unique_dim_cuda_templateIlEESt5tupleIJNSA_6TensorESF_SF_EERKSF_lbbbEUlllE_EE10hipError_tT0_T1_T2_jT3_P12ihipStream_tbPNSt15iterator_traitsISL_E10value_typeEPNSR_ISM_E10value_typeEPSN_NS1_7vsmem_tEENKUlT_SL_SM_SN_E_clIS8_S8_S9_S9_EESK_S10_SL_SM_SN_EUlS10_E_NS1_11comp_targetILNS1_3genE8ELNS1_11target_archE1030ELNS1_3gpuE2ELNS1_3repE0EEENS1_48merge_mergepath_partition_config_static_selectorELNS0_4arch9wavefront6targetE1EEEvSM_: ; @_ZN7rocprim17ROCPRIM_400000_NS6detail17trampoline_kernelINS0_14default_configENS1_38merge_sort_block_merge_config_selectorIlNS0_10empty_typeEEEZZNS1_27merge_sort_block_merge_implIS3_PlPS5_mZN2at6native12_GLOBAL__N_124unique_dim_cuda_templateIlEESt5tupleIJNSA_6TensorESF_SF_EERKSF_lbbbEUlllE_EE10hipError_tT0_T1_T2_jT3_P12ihipStream_tbPNSt15iterator_traitsISL_E10value_typeEPNSR_ISM_E10value_typeEPSN_NS1_7vsmem_tEENKUlT_SL_SM_SN_E_clIS8_S8_S9_S9_EESK_S10_SL_SM_SN_EUlS10_E_NS1_11comp_targetILNS1_3genE8ELNS1_11target_archE1030ELNS1_3gpuE2ELNS1_3repE0EEENS1_48merge_mergepath_partition_config_static_selectorELNS0_4arch9wavefront6targetE1EEEvSM_
; %bb.0:
	.section	.rodata,"a",@progbits
	.p2align	6, 0x0
	.amdhsa_kernel _ZN7rocprim17ROCPRIM_400000_NS6detail17trampoline_kernelINS0_14default_configENS1_38merge_sort_block_merge_config_selectorIlNS0_10empty_typeEEEZZNS1_27merge_sort_block_merge_implIS3_PlPS5_mZN2at6native12_GLOBAL__N_124unique_dim_cuda_templateIlEESt5tupleIJNSA_6TensorESF_SF_EERKSF_lbbbEUlllE_EE10hipError_tT0_T1_T2_jT3_P12ihipStream_tbPNSt15iterator_traitsISL_E10value_typeEPNSR_ISM_E10value_typeEPSN_NS1_7vsmem_tEENKUlT_SL_SM_SN_E_clIS8_S8_S9_S9_EESK_S10_SL_SM_SN_EUlS10_E_NS1_11comp_targetILNS1_3genE8ELNS1_11target_archE1030ELNS1_3gpuE2ELNS1_3repE0EEENS1_48merge_mergepath_partition_config_static_selectorELNS0_4arch9wavefront6targetE1EEEvSM_
		.amdhsa_group_segment_fixed_size 0
		.amdhsa_private_segment_fixed_size 0
		.amdhsa_kernarg_size 56
		.amdhsa_user_sgpr_count 6
		.amdhsa_user_sgpr_private_segment_buffer 1
		.amdhsa_user_sgpr_dispatch_ptr 0
		.amdhsa_user_sgpr_queue_ptr 0
		.amdhsa_user_sgpr_kernarg_segment_ptr 1
		.amdhsa_user_sgpr_dispatch_id 0
		.amdhsa_user_sgpr_flat_scratch_init 0
		.amdhsa_user_sgpr_kernarg_preload_length 0
		.amdhsa_user_sgpr_kernarg_preload_offset 0
		.amdhsa_user_sgpr_private_segment_size 0
		.amdhsa_uses_dynamic_stack 0
		.amdhsa_system_sgpr_private_segment_wavefront_offset 0
		.amdhsa_system_sgpr_workgroup_id_x 1
		.amdhsa_system_sgpr_workgroup_id_y 0
		.amdhsa_system_sgpr_workgroup_id_z 0
		.amdhsa_system_sgpr_workgroup_info 0
		.amdhsa_system_vgpr_workitem_id 0
		.amdhsa_next_free_vgpr 1
		.amdhsa_next_free_sgpr 0
		.amdhsa_accum_offset 4
		.amdhsa_reserve_vcc 0
		.amdhsa_reserve_flat_scratch 0
		.amdhsa_float_round_mode_32 0
		.amdhsa_float_round_mode_16_64 0
		.amdhsa_float_denorm_mode_32 3
		.amdhsa_float_denorm_mode_16_64 3
		.amdhsa_dx10_clamp 1
		.amdhsa_ieee_mode 1
		.amdhsa_fp16_overflow 0
		.amdhsa_tg_split 0
		.amdhsa_exception_fp_ieee_invalid_op 0
		.amdhsa_exception_fp_denorm_src 0
		.amdhsa_exception_fp_ieee_div_zero 0
		.amdhsa_exception_fp_ieee_overflow 0
		.amdhsa_exception_fp_ieee_underflow 0
		.amdhsa_exception_fp_ieee_inexact 0
		.amdhsa_exception_int_div_zero 0
	.end_amdhsa_kernel
	.section	.text._ZN7rocprim17ROCPRIM_400000_NS6detail17trampoline_kernelINS0_14default_configENS1_38merge_sort_block_merge_config_selectorIlNS0_10empty_typeEEEZZNS1_27merge_sort_block_merge_implIS3_PlPS5_mZN2at6native12_GLOBAL__N_124unique_dim_cuda_templateIlEESt5tupleIJNSA_6TensorESF_SF_EERKSF_lbbbEUlllE_EE10hipError_tT0_T1_T2_jT3_P12ihipStream_tbPNSt15iterator_traitsISL_E10value_typeEPNSR_ISM_E10value_typeEPSN_NS1_7vsmem_tEENKUlT_SL_SM_SN_E_clIS8_S8_S9_S9_EESK_S10_SL_SM_SN_EUlS10_E_NS1_11comp_targetILNS1_3genE8ELNS1_11target_archE1030ELNS1_3gpuE2ELNS1_3repE0EEENS1_48merge_mergepath_partition_config_static_selectorELNS0_4arch9wavefront6targetE1EEEvSM_,"axG",@progbits,_ZN7rocprim17ROCPRIM_400000_NS6detail17trampoline_kernelINS0_14default_configENS1_38merge_sort_block_merge_config_selectorIlNS0_10empty_typeEEEZZNS1_27merge_sort_block_merge_implIS3_PlPS5_mZN2at6native12_GLOBAL__N_124unique_dim_cuda_templateIlEESt5tupleIJNSA_6TensorESF_SF_EERKSF_lbbbEUlllE_EE10hipError_tT0_T1_T2_jT3_P12ihipStream_tbPNSt15iterator_traitsISL_E10value_typeEPNSR_ISM_E10value_typeEPSN_NS1_7vsmem_tEENKUlT_SL_SM_SN_E_clIS8_S8_S9_S9_EESK_S10_SL_SM_SN_EUlS10_E_NS1_11comp_targetILNS1_3genE8ELNS1_11target_archE1030ELNS1_3gpuE2ELNS1_3repE0EEENS1_48merge_mergepath_partition_config_static_selectorELNS0_4arch9wavefront6targetE1EEEvSM_,comdat
.Lfunc_end521:
	.size	_ZN7rocprim17ROCPRIM_400000_NS6detail17trampoline_kernelINS0_14default_configENS1_38merge_sort_block_merge_config_selectorIlNS0_10empty_typeEEEZZNS1_27merge_sort_block_merge_implIS3_PlPS5_mZN2at6native12_GLOBAL__N_124unique_dim_cuda_templateIlEESt5tupleIJNSA_6TensorESF_SF_EERKSF_lbbbEUlllE_EE10hipError_tT0_T1_T2_jT3_P12ihipStream_tbPNSt15iterator_traitsISL_E10value_typeEPNSR_ISM_E10value_typeEPSN_NS1_7vsmem_tEENKUlT_SL_SM_SN_E_clIS8_S8_S9_S9_EESK_S10_SL_SM_SN_EUlS10_E_NS1_11comp_targetILNS1_3genE8ELNS1_11target_archE1030ELNS1_3gpuE2ELNS1_3repE0EEENS1_48merge_mergepath_partition_config_static_selectorELNS0_4arch9wavefront6targetE1EEEvSM_, .Lfunc_end521-_ZN7rocprim17ROCPRIM_400000_NS6detail17trampoline_kernelINS0_14default_configENS1_38merge_sort_block_merge_config_selectorIlNS0_10empty_typeEEEZZNS1_27merge_sort_block_merge_implIS3_PlPS5_mZN2at6native12_GLOBAL__N_124unique_dim_cuda_templateIlEESt5tupleIJNSA_6TensorESF_SF_EERKSF_lbbbEUlllE_EE10hipError_tT0_T1_T2_jT3_P12ihipStream_tbPNSt15iterator_traitsISL_E10value_typeEPNSR_ISM_E10value_typeEPSN_NS1_7vsmem_tEENKUlT_SL_SM_SN_E_clIS8_S8_S9_S9_EESK_S10_SL_SM_SN_EUlS10_E_NS1_11comp_targetILNS1_3genE8ELNS1_11target_archE1030ELNS1_3gpuE2ELNS1_3repE0EEENS1_48merge_mergepath_partition_config_static_selectorELNS0_4arch9wavefront6targetE1EEEvSM_
                                        ; -- End function
	.section	.AMDGPU.csdata,"",@progbits
; Kernel info:
; codeLenInByte = 0
; NumSgprs: 4
; NumVgprs: 0
; NumAgprs: 0
; TotalNumVgprs: 0
; ScratchSize: 0
; MemoryBound: 0
; FloatMode: 240
; IeeeMode: 1
; LDSByteSize: 0 bytes/workgroup (compile time only)
; SGPRBlocks: 0
; VGPRBlocks: 0
; NumSGPRsForWavesPerEU: 4
; NumVGPRsForWavesPerEU: 1
; AccumOffset: 4
; Occupancy: 8
; WaveLimiterHint : 0
; COMPUTE_PGM_RSRC2:SCRATCH_EN: 0
; COMPUTE_PGM_RSRC2:USER_SGPR: 6
; COMPUTE_PGM_RSRC2:TRAP_HANDLER: 0
; COMPUTE_PGM_RSRC2:TGID_X_EN: 1
; COMPUTE_PGM_RSRC2:TGID_Y_EN: 0
; COMPUTE_PGM_RSRC2:TGID_Z_EN: 0
; COMPUTE_PGM_RSRC2:TIDIG_COMP_CNT: 0
; COMPUTE_PGM_RSRC3_GFX90A:ACCUM_OFFSET: 0
; COMPUTE_PGM_RSRC3_GFX90A:TG_SPLIT: 0
	.section	.text._ZN7rocprim17ROCPRIM_400000_NS6detail17trampoline_kernelINS0_14default_configENS1_38merge_sort_block_merge_config_selectorIlNS0_10empty_typeEEEZZNS1_27merge_sort_block_merge_implIS3_PlPS5_mZN2at6native12_GLOBAL__N_124unique_dim_cuda_templateIlEESt5tupleIJNSA_6TensorESF_SF_EERKSF_lbbbEUlllE_EE10hipError_tT0_T1_T2_jT3_P12ihipStream_tbPNSt15iterator_traitsISL_E10value_typeEPNSR_ISM_E10value_typeEPSN_NS1_7vsmem_tEENKUlT_SL_SM_SN_E_clIS8_S8_S9_S9_EESK_S10_SL_SM_SN_EUlS10_E0_NS1_11comp_targetILNS1_3genE0ELNS1_11target_archE4294967295ELNS1_3gpuE0ELNS1_3repE0EEENS1_38merge_mergepath_config_static_selectorELNS0_4arch9wavefront6targetE1EEEvSM_,"axG",@progbits,_ZN7rocprim17ROCPRIM_400000_NS6detail17trampoline_kernelINS0_14default_configENS1_38merge_sort_block_merge_config_selectorIlNS0_10empty_typeEEEZZNS1_27merge_sort_block_merge_implIS3_PlPS5_mZN2at6native12_GLOBAL__N_124unique_dim_cuda_templateIlEESt5tupleIJNSA_6TensorESF_SF_EERKSF_lbbbEUlllE_EE10hipError_tT0_T1_T2_jT3_P12ihipStream_tbPNSt15iterator_traitsISL_E10value_typeEPNSR_ISM_E10value_typeEPSN_NS1_7vsmem_tEENKUlT_SL_SM_SN_E_clIS8_S8_S9_S9_EESK_S10_SL_SM_SN_EUlS10_E0_NS1_11comp_targetILNS1_3genE0ELNS1_11target_archE4294967295ELNS1_3gpuE0ELNS1_3repE0EEENS1_38merge_mergepath_config_static_selectorELNS0_4arch9wavefront6targetE1EEEvSM_,comdat
	.globl	_ZN7rocprim17ROCPRIM_400000_NS6detail17trampoline_kernelINS0_14default_configENS1_38merge_sort_block_merge_config_selectorIlNS0_10empty_typeEEEZZNS1_27merge_sort_block_merge_implIS3_PlPS5_mZN2at6native12_GLOBAL__N_124unique_dim_cuda_templateIlEESt5tupleIJNSA_6TensorESF_SF_EERKSF_lbbbEUlllE_EE10hipError_tT0_T1_T2_jT3_P12ihipStream_tbPNSt15iterator_traitsISL_E10value_typeEPNSR_ISM_E10value_typeEPSN_NS1_7vsmem_tEENKUlT_SL_SM_SN_E_clIS8_S8_S9_S9_EESK_S10_SL_SM_SN_EUlS10_E0_NS1_11comp_targetILNS1_3genE0ELNS1_11target_archE4294967295ELNS1_3gpuE0ELNS1_3repE0EEENS1_38merge_mergepath_config_static_selectorELNS0_4arch9wavefront6targetE1EEEvSM_ ; -- Begin function _ZN7rocprim17ROCPRIM_400000_NS6detail17trampoline_kernelINS0_14default_configENS1_38merge_sort_block_merge_config_selectorIlNS0_10empty_typeEEEZZNS1_27merge_sort_block_merge_implIS3_PlPS5_mZN2at6native12_GLOBAL__N_124unique_dim_cuda_templateIlEESt5tupleIJNSA_6TensorESF_SF_EERKSF_lbbbEUlllE_EE10hipError_tT0_T1_T2_jT3_P12ihipStream_tbPNSt15iterator_traitsISL_E10value_typeEPNSR_ISM_E10value_typeEPSN_NS1_7vsmem_tEENKUlT_SL_SM_SN_E_clIS8_S8_S9_S9_EESK_S10_SL_SM_SN_EUlS10_E0_NS1_11comp_targetILNS1_3genE0ELNS1_11target_archE4294967295ELNS1_3gpuE0ELNS1_3repE0EEENS1_38merge_mergepath_config_static_selectorELNS0_4arch9wavefront6targetE1EEEvSM_
	.p2align	8
	.type	_ZN7rocprim17ROCPRIM_400000_NS6detail17trampoline_kernelINS0_14default_configENS1_38merge_sort_block_merge_config_selectorIlNS0_10empty_typeEEEZZNS1_27merge_sort_block_merge_implIS3_PlPS5_mZN2at6native12_GLOBAL__N_124unique_dim_cuda_templateIlEESt5tupleIJNSA_6TensorESF_SF_EERKSF_lbbbEUlllE_EE10hipError_tT0_T1_T2_jT3_P12ihipStream_tbPNSt15iterator_traitsISL_E10value_typeEPNSR_ISM_E10value_typeEPSN_NS1_7vsmem_tEENKUlT_SL_SM_SN_E_clIS8_S8_S9_S9_EESK_S10_SL_SM_SN_EUlS10_E0_NS1_11comp_targetILNS1_3genE0ELNS1_11target_archE4294967295ELNS1_3gpuE0ELNS1_3repE0EEENS1_38merge_mergepath_config_static_selectorELNS0_4arch9wavefront6targetE1EEEvSM_,@function
_ZN7rocprim17ROCPRIM_400000_NS6detail17trampoline_kernelINS0_14default_configENS1_38merge_sort_block_merge_config_selectorIlNS0_10empty_typeEEEZZNS1_27merge_sort_block_merge_implIS3_PlPS5_mZN2at6native12_GLOBAL__N_124unique_dim_cuda_templateIlEESt5tupleIJNSA_6TensorESF_SF_EERKSF_lbbbEUlllE_EE10hipError_tT0_T1_T2_jT3_P12ihipStream_tbPNSt15iterator_traitsISL_E10value_typeEPNSR_ISM_E10value_typeEPSN_NS1_7vsmem_tEENKUlT_SL_SM_SN_E_clIS8_S8_S9_S9_EESK_S10_SL_SM_SN_EUlS10_E0_NS1_11comp_targetILNS1_3genE0ELNS1_11target_archE4294967295ELNS1_3gpuE0ELNS1_3repE0EEENS1_38merge_mergepath_config_static_selectorELNS0_4arch9wavefront6targetE1EEEvSM_: ; @_ZN7rocprim17ROCPRIM_400000_NS6detail17trampoline_kernelINS0_14default_configENS1_38merge_sort_block_merge_config_selectorIlNS0_10empty_typeEEEZZNS1_27merge_sort_block_merge_implIS3_PlPS5_mZN2at6native12_GLOBAL__N_124unique_dim_cuda_templateIlEESt5tupleIJNSA_6TensorESF_SF_EERKSF_lbbbEUlllE_EE10hipError_tT0_T1_T2_jT3_P12ihipStream_tbPNSt15iterator_traitsISL_E10value_typeEPNSR_ISM_E10value_typeEPSN_NS1_7vsmem_tEENKUlT_SL_SM_SN_E_clIS8_S8_S9_S9_EESK_S10_SL_SM_SN_EUlS10_E0_NS1_11comp_targetILNS1_3genE0ELNS1_11target_archE4294967295ELNS1_3gpuE0ELNS1_3repE0EEENS1_38merge_mergepath_config_static_selectorELNS0_4arch9wavefront6targetE1EEEvSM_
; %bb.0:
	.section	.rodata,"a",@progbits
	.p2align	6, 0x0
	.amdhsa_kernel _ZN7rocprim17ROCPRIM_400000_NS6detail17trampoline_kernelINS0_14default_configENS1_38merge_sort_block_merge_config_selectorIlNS0_10empty_typeEEEZZNS1_27merge_sort_block_merge_implIS3_PlPS5_mZN2at6native12_GLOBAL__N_124unique_dim_cuda_templateIlEESt5tupleIJNSA_6TensorESF_SF_EERKSF_lbbbEUlllE_EE10hipError_tT0_T1_T2_jT3_P12ihipStream_tbPNSt15iterator_traitsISL_E10value_typeEPNSR_ISM_E10value_typeEPSN_NS1_7vsmem_tEENKUlT_SL_SM_SN_E_clIS8_S8_S9_S9_EESK_S10_SL_SM_SN_EUlS10_E0_NS1_11comp_targetILNS1_3genE0ELNS1_11target_archE4294967295ELNS1_3gpuE0ELNS1_3repE0EEENS1_38merge_mergepath_config_static_selectorELNS0_4arch9wavefront6targetE1EEEvSM_
		.amdhsa_group_segment_fixed_size 0
		.amdhsa_private_segment_fixed_size 0
		.amdhsa_kernarg_size 88
		.amdhsa_user_sgpr_count 6
		.amdhsa_user_sgpr_private_segment_buffer 1
		.amdhsa_user_sgpr_dispatch_ptr 0
		.amdhsa_user_sgpr_queue_ptr 0
		.amdhsa_user_sgpr_kernarg_segment_ptr 1
		.amdhsa_user_sgpr_dispatch_id 0
		.amdhsa_user_sgpr_flat_scratch_init 0
		.amdhsa_user_sgpr_kernarg_preload_length 0
		.amdhsa_user_sgpr_kernarg_preload_offset 0
		.amdhsa_user_sgpr_private_segment_size 0
		.amdhsa_uses_dynamic_stack 0
		.amdhsa_system_sgpr_private_segment_wavefront_offset 0
		.amdhsa_system_sgpr_workgroup_id_x 1
		.amdhsa_system_sgpr_workgroup_id_y 0
		.amdhsa_system_sgpr_workgroup_id_z 0
		.amdhsa_system_sgpr_workgroup_info 0
		.amdhsa_system_vgpr_workitem_id 0
		.amdhsa_next_free_vgpr 1
		.amdhsa_next_free_sgpr 0
		.amdhsa_accum_offset 4
		.amdhsa_reserve_vcc 0
		.amdhsa_reserve_flat_scratch 0
		.amdhsa_float_round_mode_32 0
		.amdhsa_float_round_mode_16_64 0
		.amdhsa_float_denorm_mode_32 3
		.amdhsa_float_denorm_mode_16_64 3
		.amdhsa_dx10_clamp 1
		.amdhsa_ieee_mode 1
		.amdhsa_fp16_overflow 0
		.amdhsa_tg_split 0
		.amdhsa_exception_fp_ieee_invalid_op 0
		.amdhsa_exception_fp_denorm_src 0
		.amdhsa_exception_fp_ieee_div_zero 0
		.amdhsa_exception_fp_ieee_overflow 0
		.amdhsa_exception_fp_ieee_underflow 0
		.amdhsa_exception_fp_ieee_inexact 0
		.amdhsa_exception_int_div_zero 0
	.end_amdhsa_kernel
	.section	.text._ZN7rocprim17ROCPRIM_400000_NS6detail17trampoline_kernelINS0_14default_configENS1_38merge_sort_block_merge_config_selectorIlNS0_10empty_typeEEEZZNS1_27merge_sort_block_merge_implIS3_PlPS5_mZN2at6native12_GLOBAL__N_124unique_dim_cuda_templateIlEESt5tupleIJNSA_6TensorESF_SF_EERKSF_lbbbEUlllE_EE10hipError_tT0_T1_T2_jT3_P12ihipStream_tbPNSt15iterator_traitsISL_E10value_typeEPNSR_ISM_E10value_typeEPSN_NS1_7vsmem_tEENKUlT_SL_SM_SN_E_clIS8_S8_S9_S9_EESK_S10_SL_SM_SN_EUlS10_E0_NS1_11comp_targetILNS1_3genE0ELNS1_11target_archE4294967295ELNS1_3gpuE0ELNS1_3repE0EEENS1_38merge_mergepath_config_static_selectorELNS0_4arch9wavefront6targetE1EEEvSM_,"axG",@progbits,_ZN7rocprim17ROCPRIM_400000_NS6detail17trampoline_kernelINS0_14default_configENS1_38merge_sort_block_merge_config_selectorIlNS0_10empty_typeEEEZZNS1_27merge_sort_block_merge_implIS3_PlPS5_mZN2at6native12_GLOBAL__N_124unique_dim_cuda_templateIlEESt5tupleIJNSA_6TensorESF_SF_EERKSF_lbbbEUlllE_EE10hipError_tT0_T1_T2_jT3_P12ihipStream_tbPNSt15iterator_traitsISL_E10value_typeEPNSR_ISM_E10value_typeEPSN_NS1_7vsmem_tEENKUlT_SL_SM_SN_E_clIS8_S8_S9_S9_EESK_S10_SL_SM_SN_EUlS10_E0_NS1_11comp_targetILNS1_3genE0ELNS1_11target_archE4294967295ELNS1_3gpuE0ELNS1_3repE0EEENS1_38merge_mergepath_config_static_selectorELNS0_4arch9wavefront6targetE1EEEvSM_,comdat
.Lfunc_end522:
	.size	_ZN7rocprim17ROCPRIM_400000_NS6detail17trampoline_kernelINS0_14default_configENS1_38merge_sort_block_merge_config_selectorIlNS0_10empty_typeEEEZZNS1_27merge_sort_block_merge_implIS3_PlPS5_mZN2at6native12_GLOBAL__N_124unique_dim_cuda_templateIlEESt5tupleIJNSA_6TensorESF_SF_EERKSF_lbbbEUlllE_EE10hipError_tT0_T1_T2_jT3_P12ihipStream_tbPNSt15iterator_traitsISL_E10value_typeEPNSR_ISM_E10value_typeEPSN_NS1_7vsmem_tEENKUlT_SL_SM_SN_E_clIS8_S8_S9_S9_EESK_S10_SL_SM_SN_EUlS10_E0_NS1_11comp_targetILNS1_3genE0ELNS1_11target_archE4294967295ELNS1_3gpuE0ELNS1_3repE0EEENS1_38merge_mergepath_config_static_selectorELNS0_4arch9wavefront6targetE1EEEvSM_, .Lfunc_end522-_ZN7rocprim17ROCPRIM_400000_NS6detail17trampoline_kernelINS0_14default_configENS1_38merge_sort_block_merge_config_selectorIlNS0_10empty_typeEEEZZNS1_27merge_sort_block_merge_implIS3_PlPS5_mZN2at6native12_GLOBAL__N_124unique_dim_cuda_templateIlEESt5tupleIJNSA_6TensorESF_SF_EERKSF_lbbbEUlllE_EE10hipError_tT0_T1_T2_jT3_P12ihipStream_tbPNSt15iterator_traitsISL_E10value_typeEPNSR_ISM_E10value_typeEPSN_NS1_7vsmem_tEENKUlT_SL_SM_SN_E_clIS8_S8_S9_S9_EESK_S10_SL_SM_SN_EUlS10_E0_NS1_11comp_targetILNS1_3genE0ELNS1_11target_archE4294967295ELNS1_3gpuE0ELNS1_3repE0EEENS1_38merge_mergepath_config_static_selectorELNS0_4arch9wavefront6targetE1EEEvSM_
                                        ; -- End function
	.section	.AMDGPU.csdata,"",@progbits
; Kernel info:
; codeLenInByte = 0
; NumSgprs: 4
; NumVgprs: 0
; NumAgprs: 0
; TotalNumVgprs: 0
; ScratchSize: 0
; MemoryBound: 0
; FloatMode: 240
; IeeeMode: 1
; LDSByteSize: 0 bytes/workgroup (compile time only)
; SGPRBlocks: 0
; VGPRBlocks: 0
; NumSGPRsForWavesPerEU: 4
; NumVGPRsForWavesPerEU: 1
; AccumOffset: 4
; Occupancy: 8
; WaveLimiterHint : 0
; COMPUTE_PGM_RSRC2:SCRATCH_EN: 0
; COMPUTE_PGM_RSRC2:USER_SGPR: 6
; COMPUTE_PGM_RSRC2:TRAP_HANDLER: 0
; COMPUTE_PGM_RSRC2:TGID_X_EN: 1
; COMPUTE_PGM_RSRC2:TGID_Y_EN: 0
; COMPUTE_PGM_RSRC2:TGID_Z_EN: 0
; COMPUTE_PGM_RSRC2:TIDIG_COMP_CNT: 0
; COMPUTE_PGM_RSRC3_GFX90A:ACCUM_OFFSET: 0
; COMPUTE_PGM_RSRC3_GFX90A:TG_SPLIT: 0
	.section	.text._ZN7rocprim17ROCPRIM_400000_NS6detail17trampoline_kernelINS0_14default_configENS1_38merge_sort_block_merge_config_selectorIlNS0_10empty_typeEEEZZNS1_27merge_sort_block_merge_implIS3_PlPS5_mZN2at6native12_GLOBAL__N_124unique_dim_cuda_templateIlEESt5tupleIJNSA_6TensorESF_SF_EERKSF_lbbbEUlllE_EE10hipError_tT0_T1_T2_jT3_P12ihipStream_tbPNSt15iterator_traitsISL_E10value_typeEPNSR_ISM_E10value_typeEPSN_NS1_7vsmem_tEENKUlT_SL_SM_SN_E_clIS8_S8_S9_S9_EESK_S10_SL_SM_SN_EUlS10_E0_NS1_11comp_targetILNS1_3genE10ELNS1_11target_archE1201ELNS1_3gpuE5ELNS1_3repE0EEENS1_38merge_mergepath_config_static_selectorELNS0_4arch9wavefront6targetE1EEEvSM_,"axG",@progbits,_ZN7rocprim17ROCPRIM_400000_NS6detail17trampoline_kernelINS0_14default_configENS1_38merge_sort_block_merge_config_selectorIlNS0_10empty_typeEEEZZNS1_27merge_sort_block_merge_implIS3_PlPS5_mZN2at6native12_GLOBAL__N_124unique_dim_cuda_templateIlEESt5tupleIJNSA_6TensorESF_SF_EERKSF_lbbbEUlllE_EE10hipError_tT0_T1_T2_jT3_P12ihipStream_tbPNSt15iterator_traitsISL_E10value_typeEPNSR_ISM_E10value_typeEPSN_NS1_7vsmem_tEENKUlT_SL_SM_SN_E_clIS8_S8_S9_S9_EESK_S10_SL_SM_SN_EUlS10_E0_NS1_11comp_targetILNS1_3genE10ELNS1_11target_archE1201ELNS1_3gpuE5ELNS1_3repE0EEENS1_38merge_mergepath_config_static_selectorELNS0_4arch9wavefront6targetE1EEEvSM_,comdat
	.globl	_ZN7rocprim17ROCPRIM_400000_NS6detail17trampoline_kernelINS0_14default_configENS1_38merge_sort_block_merge_config_selectorIlNS0_10empty_typeEEEZZNS1_27merge_sort_block_merge_implIS3_PlPS5_mZN2at6native12_GLOBAL__N_124unique_dim_cuda_templateIlEESt5tupleIJNSA_6TensorESF_SF_EERKSF_lbbbEUlllE_EE10hipError_tT0_T1_T2_jT3_P12ihipStream_tbPNSt15iterator_traitsISL_E10value_typeEPNSR_ISM_E10value_typeEPSN_NS1_7vsmem_tEENKUlT_SL_SM_SN_E_clIS8_S8_S9_S9_EESK_S10_SL_SM_SN_EUlS10_E0_NS1_11comp_targetILNS1_3genE10ELNS1_11target_archE1201ELNS1_3gpuE5ELNS1_3repE0EEENS1_38merge_mergepath_config_static_selectorELNS0_4arch9wavefront6targetE1EEEvSM_ ; -- Begin function _ZN7rocprim17ROCPRIM_400000_NS6detail17trampoline_kernelINS0_14default_configENS1_38merge_sort_block_merge_config_selectorIlNS0_10empty_typeEEEZZNS1_27merge_sort_block_merge_implIS3_PlPS5_mZN2at6native12_GLOBAL__N_124unique_dim_cuda_templateIlEESt5tupleIJNSA_6TensorESF_SF_EERKSF_lbbbEUlllE_EE10hipError_tT0_T1_T2_jT3_P12ihipStream_tbPNSt15iterator_traitsISL_E10value_typeEPNSR_ISM_E10value_typeEPSN_NS1_7vsmem_tEENKUlT_SL_SM_SN_E_clIS8_S8_S9_S9_EESK_S10_SL_SM_SN_EUlS10_E0_NS1_11comp_targetILNS1_3genE10ELNS1_11target_archE1201ELNS1_3gpuE5ELNS1_3repE0EEENS1_38merge_mergepath_config_static_selectorELNS0_4arch9wavefront6targetE1EEEvSM_
	.p2align	8
	.type	_ZN7rocprim17ROCPRIM_400000_NS6detail17trampoline_kernelINS0_14default_configENS1_38merge_sort_block_merge_config_selectorIlNS0_10empty_typeEEEZZNS1_27merge_sort_block_merge_implIS3_PlPS5_mZN2at6native12_GLOBAL__N_124unique_dim_cuda_templateIlEESt5tupleIJNSA_6TensorESF_SF_EERKSF_lbbbEUlllE_EE10hipError_tT0_T1_T2_jT3_P12ihipStream_tbPNSt15iterator_traitsISL_E10value_typeEPNSR_ISM_E10value_typeEPSN_NS1_7vsmem_tEENKUlT_SL_SM_SN_E_clIS8_S8_S9_S9_EESK_S10_SL_SM_SN_EUlS10_E0_NS1_11comp_targetILNS1_3genE10ELNS1_11target_archE1201ELNS1_3gpuE5ELNS1_3repE0EEENS1_38merge_mergepath_config_static_selectorELNS0_4arch9wavefront6targetE1EEEvSM_,@function
_ZN7rocprim17ROCPRIM_400000_NS6detail17trampoline_kernelINS0_14default_configENS1_38merge_sort_block_merge_config_selectorIlNS0_10empty_typeEEEZZNS1_27merge_sort_block_merge_implIS3_PlPS5_mZN2at6native12_GLOBAL__N_124unique_dim_cuda_templateIlEESt5tupleIJNSA_6TensorESF_SF_EERKSF_lbbbEUlllE_EE10hipError_tT0_T1_T2_jT3_P12ihipStream_tbPNSt15iterator_traitsISL_E10value_typeEPNSR_ISM_E10value_typeEPSN_NS1_7vsmem_tEENKUlT_SL_SM_SN_E_clIS8_S8_S9_S9_EESK_S10_SL_SM_SN_EUlS10_E0_NS1_11comp_targetILNS1_3genE10ELNS1_11target_archE1201ELNS1_3gpuE5ELNS1_3repE0EEENS1_38merge_mergepath_config_static_selectorELNS0_4arch9wavefront6targetE1EEEvSM_: ; @_ZN7rocprim17ROCPRIM_400000_NS6detail17trampoline_kernelINS0_14default_configENS1_38merge_sort_block_merge_config_selectorIlNS0_10empty_typeEEEZZNS1_27merge_sort_block_merge_implIS3_PlPS5_mZN2at6native12_GLOBAL__N_124unique_dim_cuda_templateIlEESt5tupleIJNSA_6TensorESF_SF_EERKSF_lbbbEUlllE_EE10hipError_tT0_T1_T2_jT3_P12ihipStream_tbPNSt15iterator_traitsISL_E10value_typeEPNSR_ISM_E10value_typeEPSN_NS1_7vsmem_tEENKUlT_SL_SM_SN_E_clIS8_S8_S9_S9_EESK_S10_SL_SM_SN_EUlS10_E0_NS1_11comp_targetILNS1_3genE10ELNS1_11target_archE1201ELNS1_3gpuE5ELNS1_3repE0EEENS1_38merge_mergepath_config_static_selectorELNS0_4arch9wavefront6targetE1EEEvSM_
; %bb.0:
	.section	.rodata,"a",@progbits
	.p2align	6, 0x0
	.amdhsa_kernel _ZN7rocprim17ROCPRIM_400000_NS6detail17trampoline_kernelINS0_14default_configENS1_38merge_sort_block_merge_config_selectorIlNS0_10empty_typeEEEZZNS1_27merge_sort_block_merge_implIS3_PlPS5_mZN2at6native12_GLOBAL__N_124unique_dim_cuda_templateIlEESt5tupleIJNSA_6TensorESF_SF_EERKSF_lbbbEUlllE_EE10hipError_tT0_T1_T2_jT3_P12ihipStream_tbPNSt15iterator_traitsISL_E10value_typeEPNSR_ISM_E10value_typeEPSN_NS1_7vsmem_tEENKUlT_SL_SM_SN_E_clIS8_S8_S9_S9_EESK_S10_SL_SM_SN_EUlS10_E0_NS1_11comp_targetILNS1_3genE10ELNS1_11target_archE1201ELNS1_3gpuE5ELNS1_3repE0EEENS1_38merge_mergepath_config_static_selectorELNS0_4arch9wavefront6targetE1EEEvSM_
		.amdhsa_group_segment_fixed_size 0
		.amdhsa_private_segment_fixed_size 0
		.amdhsa_kernarg_size 88
		.amdhsa_user_sgpr_count 6
		.amdhsa_user_sgpr_private_segment_buffer 1
		.amdhsa_user_sgpr_dispatch_ptr 0
		.amdhsa_user_sgpr_queue_ptr 0
		.amdhsa_user_sgpr_kernarg_segment_ptr 1
		.amdhsa_user_sgpr_dispatch_id 0
		.amdhsa_user_sgpr_flat_scratch_init 0
		.amdhsa_user_sgpr_kernarg_preload_length 0
		.amdhsa_user_sgpr_kernarg_preload_offset 0
		.amdhsa_user_sgpr_private_segment_size 0
		.amdhsa_uses_dynamic_stack 0
		.amdhsa_system_sgpr_private_segment_wavefront_offset 0
		.amdhsa_system_sgpr_workgroup_id_x 1
		.amdhsa_system_sgpr_workgroup_id_y 0
		.amdhsa_system_sgpr_workgroup_id_z 0
		.amdhsa_system_sgpr_workgroup_info 0
		.amdhsa_system_vgpr_workitem_id 0
		.amdhsa_next_free_vgpr 1
		.amdhsa_next_free_sgpr 0
		.amdhsa_accum_offset 4
		.amdhsa_reserve_vcc 0
		.amdhsa_reserve_flat_scratch 0
		.amdhsa_float_round_mode_32 0
		.amdhsa_float_round_mode_16_64 0
		.amdhsa_float_denorm_mode_32 3
		.amdhsa_float_denorm_mode_16_64 3
		.amdhsa_dx10_clamp 1
		.amdhsa_ieee_mode 1
		.amdhsa_fp16_overflow 0
		.amdhsa_tg_split 0
		.amdhsa_exception_fp_ieee_invalid_op 0
		.amdhsa_exception_fp_denorm_src 0
		.amdhsa_exception_fp_ieee_div_zero 0
		.amdhsa_exception_fp_ieee_overflow 0
		.amdhsa_exception_fp_ieee_underflow 0
		.amdhsa_exception_fp_ieee_inexact 0
		.amdhsa_exception_int_div_zero 0
	.end_amdhsa_kernel
	.section	.text._ZN7rocprim17ROCPRIM_400000_NS6detail17trampoline_kernelINS0_14default_configENS1_38merge_sort_block_merge_config_selectorIlNS0_10empty_typeEEEZZNS1_27merge_sort_block_merge_implIS3_PlPS5_mZN2at6native12_GLOBAL__N_124unique_dim_cuda_templateIlEESt5tupleIJNSA_6TensorESF_SF_EERKSF_lbbbEUlllE_EE10hipError_tT0_T1_T2_jT3_P12ihipStream_tbPNSt15iterator_traitsISL_E10value_typeEPNSR_ISM_E10value_typeEPSN_NS1_7vsmem_tEENKUlT_SL_SM_SN_E_clIS8_S8_S9_S9_EESK_S10_SL_SM_SN_EUlS10_E0_NS1_11comp_targetILNS1_3genE10ELNS1_11target_archE1201ELNS1_3gpuE5ELNS1_3repE0EEENS1_38merge_mergepath_config_static_selectorELNS0_4arch9wavefront6targetE1EEEvSM_,"axG",@progbits,_ZN7rocprim17ROCPRIM_400000_NS6detail17trampoline_kernelINS0_14default_configENS1_38merge_sort_block_merge_config_selectorIlNS0_10empty_typeEEEZZNS1_27merge_sort_block_merge_implIS3_PlPS5_mZN2at6native12_GLOBAL__N_124unique_dim_cuda_templateIlEESt5tupleIJNSA_6TensorESF_SF_EERKSF_lbbbEUlllE_EE10hipError_tT0_T1_T2_jT3_P12ihipStream_tbPNSt15iterator_traitsISL_E10value_typeEPNSR_ISM_E10value_typeEPSN_NS1_7vsmem_tEENKUlT_SL_SM_SN_E_clIS8_S8_S9_S9_EESK_S10_SL_SM_SN_EUlS10_E0_NS1_11comp_targetILNS1_3genE10ELNS1_11target_archE1201ELNS1_3gpuE5ELNS1_3repE0EEENS1_38merge_mergepath_config_static_selectorELNS0_4arch9wavefront6targetE1EEEvSM_,comdat
.Lfunc_end523:
	.size	_ZN7rocprim17ROCPRIM_400000_NS6detail17trampoline_kernelINS0_14default_configENS1_38merge_sort_block_merge_config_selectorIlNS0_10empty_typeEEEZZNS1_27merge_sort_block_merge_implIS3_PlPS5_mZN2at6native12_GLOBAL__N_124unique_dim_cuda_templateIlEESt5tupleIJNSA_6TensorESF_SF_EERKSF_lbbbEUlllE_EE10hipError_tT0_T1_T2_jT3_P12ihipStream_tbPNSt15iterator_traitsISL_E10value_typeEPNSR_ISM_E10value_typeEPSN_NS1_7vsmem_tEENKUlT_SL_SM_SN_E_clIS8_S8_S9_S9_EESK_S10_SL_SM_SN_EUlS10_E0_NS1_11comp_targetILNS1_3genE10ELNS1_11target_archE1201ELNS1_3gpuE5ELNS1_3repE0EEENS1_38merge_mergepath_config_static_selectorELNS0_4arch9wavefront6targetE1EEEvSM_, .Lfunc_end523-_ZN7rocprim17ROCPRIM_400000_NS6detail17trampoline_kernelINS0_14default_configENS1_38merge_sort_block_merge_config_selectorIlNS0_10empty_typeEEEZZNS1_27merge_sort_block_merge_implIS3_PlPS5_mZN2at6native12_GLOBAL__N_124unique_dim_cuda_templateIlEESt5tupleIJNSA_6TensorESF_SF_EERKSF_lbbbEUlllE_EE10hipError_tT0_T1_T2_jT3_P12ihipStream_tbPNSt15iterator_traitsISL_E10value_typeEPNSR_ISM_E10value_typeEPSN_NS1_7vsmem_tEENKUlT_SL_SM_SN_E_clIS8_S8_S9_S9_EESK_S10_SL_SM_SN_EUlS10_E0_NS1_11comp_targetILNS1_3genE10ELNS1_11target_archE1201ELNS1_3gpuE5ELNS1_3repE0EEENS1_38merge_mergepath_config_static_selectorELNS0_4arch9wavefront6targetE1EEEvSM_
                                        ; -- End function
	.section	.AMDGPU.csdata,"",@progbits
; Kernel info:
; codeLenInByte = 0
; NumSgprs: 4
; NumVgprs: 0
; NumAgprs: 0
; TotalNumVgprs: 0
; ScratchSize: 0
; MemoryBound: 0
; FloatMode: 240
; IeeeMode: 1
; LDSByteSize: 0 bytes/workgroup (compile time only)
; SGPRBlocks: 0
; VGPRBlocks: 0
; NumSGPRsForWavesPerEU: 4
; NumVGPRsForWavesPerEU: 1
; AccumOffset: 4
; Occupancy: 8
; WaveLimiterHint : 0
; COMPUTE_PGM_RSRC2:SCRATCH_EN: 0
; COMPUTE_PGM_RSRC2:USER_SGPR: 6
; COMPUTE_PGM_RSRC2:TRAP_HANDLER: 0
; COMPUTE_PGM_RSRC2:TGID_X_EN: 1
; COMPUTE_PGM_RSRC2:TGID_Y_EN: 0
; COMPUTE_PGM_RSRC2:TGID_Z_EN: 0
; COMPUTE_PGM_RSRC2:TIDIG_COMP_CNT: 0
; COMPUTE_PGM_RSRC3_GFX90A:ACCUM_OFFSET: 0
; COMPUTE_PGM_RSRC3_GFX90A:TG_SPLIT: 0
	.section	.text._ZN7rocprim17ROCPRIM_400000_NS6detail17trampoline_kernelINS0_14default_configENS1_38merge_sort_block_merge_config_selectorIlNS0_10empty_typeEEEZZNS1_27merge_sort_block_merge_implIS3_PlPS5_mZN2at6native12_GLOBAL__N_124unique_dim_cuda_templateIlEESt5tupleIJNSA_6TensorESF_SF_EERKSF_lbbbEUlllE_EE10hipError_tT0_T1_T2_jT3_P12ihipStream_tbPNSt15iterator_traitsISL_E10value_typeEPNSR_ISM_E10value_typeEPSN_NS1_7vsmem_tEENKUlT_SL_SM_SN_E_clIS8_S8_S9_S9_EESK_S10_SL_SM_SN_EUlS10_E0_NS1_11comp_targetILNS1_3genE5ELNS1_11target_archE942ELNS1_3gpuE9ELNS1_3repE0EEENS1_38merge_mergepath_config_static_selectorELNS0_4arch9wavefront6targetE1EEEvSM_,"axG",@progbits,_ZN7rocprim17ROCPRIM_400000_NS6detail17trampoline_kernelINS0_14default_configENS1_38merge_sort_block_merge_config_selectorIlNS0_10empty_typeEEEZZNS1_27merge_sort_block_merge_implIS3_PlPS5_mZN2at6native12_GLOBAL__N_124unique_dim_cuda_templateIlEESt5tupleIJNSA_6TensorESF_SF_EERKSF_lbbbEUlllE_EE10hipError_tT0_T1_T2_jT3_P12ihipStream_tbPNSt15iterator_traitsISL_E10value_typeEPNSR_ISM_E10value_typeEPSN_NS1_7vsmem_tEENKUlT_SL_SM_SN_E_clIS8_S8_S9_S9_EESK_S10_SL_SM_SN_EUlS10_E0_NS1_11comp_targetILNS1_3genE5ELNS1_11target_archE942ELNS1_3gpuE9ELNS1_3repE0EEENS1_38merge_mergepath_config_static_selectorELNS0_4arch9wavefront6targetE1EEEvSM_,comdat
	.globl	_ZN7rocprim17ROCPRIM_400000_NS6detail17trampoline_kernelINS0_14default_configENS1_38merge_sort_block_merge_config_selectorIlNS0_10empty_typeEEEZZNS1_27merge_sort_block_merge_implIS3_PlPS5_mZN2at6native12_GLOBAL__N_124unique_dim_cuda_templateIlEESt5tupleIJNSA_6TensorESF_SF_EERKSF_lbbbEUlllE_EE10hipError_tT0_T1_T2_jT3_P12ihipStream_tbPNSt15iterator_traitsISL_E10value_typeEPNSR_ISM_E10value_typeEPSN_NS1_7vsmem_tEENKUlT_SL_SM_SN_E_clIS8_S8_S9_S9_EESK_S10_SL_SM_SN_EUlS10_E0_NS1_11comp_targetILNS1_3genE5ELNS1_11target_archE942ELNS1_3gpuE9ELNS1_3repE0EEENS1_38merge_mergepath_config_static_selectorELNS0_4arch9wavefront6targetE1EEEvSM_ ; -- Begin function _ZN7rocprim17ROCPRIM_400000_NS6detail17trampoline_kernelINS0_14default_configENS1_38merge_sort_block_merge_config_selectorIlNS0_10empty_typeEEEZZNS1_27merge_sort_block_merge_implIS3_PlPS5_mZN2at6native12_GLOBAL__N_124unique_dim_cuda_templateIlEESt5tupleIJNSA_6TensorESF_SF_EERKSF_lbbbEUlllE_EE10hipError_tT0_T1_T2_jT3_P12ihipStream_tbPNSt15iterator_traitsISL_E10value_typeEPNSR_ISM_E10value_typeEPSN_NS1_7vsmem_tEENKUlT_SL_SM_SN_E_clIS8_S8_S9_S9_EESK_S10_SL_SM_SN_EUlS10_E0_NS1_11comp_targetILNS1_3genE5ELNS1_11target_archE942ELNS1_3gpuE9ELNS1_3repE0EEENS1_38merge_mergepath_config_static_selectorELNS0_4arch9wavefront6targetE1EEEvSM_
	.p2align	8
	.type	_ZN7rocprim17ROCPRIM_400000_NS6detail17trampoline_kernelINS0_14default_configENS1_38merge_sort_block_merge_config_selectorIlNS0_10empty_typeEEEZZNS1_27merge_sort_block_merge_implIS3_PlPS5_mZN2at6native12_GLOBAL__N_124unique_dim_cuda_templateIlEESt5tupleIJNSA_6TensorESF_SF_EERKSF_lbbbEUlllE_EE10hipError_tT0_T1_T2_jT3_P12ihipStream_tbPNSt15iterator_traitsISL_E10value_typeEPNSR_ISM_E10value_typeEPSN_NS1_7vsmem_tEENKUlT_SL_SM_SN_E_clIS8_S8_S9_S9_EESK_S10_SL_SM_SN_EUlS10_E0_NS1_11comp_targetILNS1_3genE5ELNS1_11target_archE942ELNS1_3gpuE9ELNS1_3repE0EEENS1_38merge_mergepath_config_static_selectorELNS0_4arch9wavefront6targetE1EEEvSM_,@function
_ZN7rocprim17ROCPRIM_400000_NS6detail17trampoline_kernelINS0_14default_configENS1_38merge_sort_block_merge_config_selectorIlNS0_10empty_typeEEEZZNS1_27merge_sort_block_merge_implIS3_PlPS5_mZN2at6native12_GLOBAL__N_124unique_dim_cuda_templateIlEESt5tupleIJNSA_6TensorESF_SF_EERKSF_lbbbEUlllE_EE10hipError_tT0_T1_T2_jT3_P12ihipStream_tbPNSt15iterator_traitsISL_E10value_typeEPNSR_ISM_E10value_typeEPSN_NS1_7vsmem_tEENKUlT_SL_SM_SN_E_clIS8_S8_S9_S9_EESK_S10_SL_SM_SN_EUlS10_E0_NS1_11comp_targetILNS1_3genE5ELNS1_11target_archE942ELNS1_3gpuE9ELNS1_3repE0EEENS1_38merge_mergepath_config_static_selectorELNS0_4arch9wavefront6targetE1EEEvSM_: ; @_ZN7rocprim17ROCPRIM_400000_NS6detail17trampoline_kernelINS0_14default_configENS1_38merge_sort_block_merge_config_selectorIlNS0_10empty_typeEEEZZNS1_27merge_sort_block_merge_implIS3_PlPS5_mZN2at6native12_GLOBAL__N_124unique_dim_cuda_templateIlEESt5tupleIJNSA_6TensorESF_SF_EERKSF_lbbbEUlllE_EE10hipError_tT0_T1_T2_jT3_P12ihipStream_tbPNSt15iterator_traitsISL_E10value_typeEPNSR_ISM_E10value_typeEPSN_NS1_7vsmem_tEENKUlT_SL_SM_SN_E_clIS8_S8_S9_S9_EESK_S10_SL_SM_SN_EUlS10_E0_NS1_11comp_targetILNS1_3genE5ELNS1_11target_archE942ELNS1_3gpuE9ELNS1_3repE0EEENS1_38merge_mergepath_config_static_selectorELNS0_4arch9wavefront6targetE1EEEvSM_
; %bb.0:
	.section	.rodata,"a",@progbits
	.p2align	6, 0x0
	.amdhsa_kernel _ZN7rocprim17ROCPRIM_400000_NS6detail17trampoline_kernelINS0_14default_configENS1_38merge_sort_block_merge_config_selectorIlNS0_10empty_typeEEEZZNS1_27merge_sort_block_merge_implIS3_PlPS5_mZN2at6native12_GLOBAL__N_124unique_dim_cuda_templateIlEESt5tupleIJNSA_6TensorESF_SF_EERKSF_lbbbEUlllE_EE10hipError_tT0_T1_T2_jT3_P12ihipStream_tbPNSt15iterator_traitsISL_E10value_typeEPNSR_ISM_E10value_typeEPSN_NS1_7vsmem_tEENKUlT_SL_SM_SN_E_clIS8_S8_S9_S9_EESK_S10_SL_SM_SN_EUlS10_E0_NS1_11comp_targetILNS1_3genE5ELNS1_11target_archE942ELNS1_3gpuE9ELNS1_3repE0EEENS1_38merge_mergepath_config_static_selectorELNS0_4arch9wavefront6targetE1EEEvSM_
		.amdhsa_group_segment_fixed_size 0
		.amdhsa_private_segment_fixed_size 0
		.amdhsa_kernarg_size 88
		.amdhsa_user_sgpr_count 6
		.amdhsa_user_sgpr_private_segment_buffer 1
		.amdhsa_user_sgpr_dispatch_ptr 0
		.amdhsa_user_sgpr_queue_ptr 0
		.amdhsa_user_sgpr_kernarg_segment_ptr 1
		.amdhsa_user_sgpr_dispatch_id 0
		.amdhsa_user_sgpr_flat_scratch_init 0
		.amdhsa_user_sgpr_kernarg_preload_length 0
		.amdhsa_user_sgpr_kernarg_preload_offset 0
		.amdhsa_user_sgpr_private_segment_size 0
		.amdhsa_uses_dynamic_stack 0
		.amdhsa_system_sgpr_private_segment_wavefront_offset 0
		.amdhsa_system_sgpr_workgroup_id_x 1
		.amdhsa_system_sgpr_workgroup_id_y 0
		.amdhsa_system_sgpr_workgroup_id_z 0
		.amdhsa_system_sgpr_workgroup_info 0
		.amdhsa_system_vgpr_workitem_id 0
		.amdhsa_next_free_vgpr 1
		.amdhsa_next_free_sgpr 0
		.amdhsa_accum_offset 4
		.amdhsa_reserve_vcc 0
		.amdhsa_reserve_flat_scratch 0
		.amdhsa_float_round_mode_32 0
		.amdhsa_float_round_mode_16_64 0
		.amdhsa_float_denorm_mode_32 3
		.amdhsa_float_denorm_mode_16_64 3
		.amdhsa_dx10_clamp 1
		.amdhsa_ieee_mode 1
		.amdhsa_fp16_overflow 0
		.amdhsa_tg_split 0
		.amdhsa_exception_fp_ieee_invalid_op 0
		.amdhsa_exception_fp_denorm_src 0
		.amdhsa_exception_fp_ieee_div_zero 0
		.amdhsa_exception_fp_ieee_overflow 0
		.amdhsa_exception_fp_ieee_underflow 0
		.amdhsa_exception_fp_ieee_inexact 0
		.amdhsa_exception_int_div_zero 0
	.end_amdhsa_kernel
	.section	.text._ZN7rocprim17ROCPRIM_400000_NS6detail17trampoline_kernelINS0_14default_configENS1_38merge_sort_block_merge_config_selectorIlNS0_10empty_typeEEEZZNS1_27merge_sort_block_merge_implIS3_PlPS5_mZN2at6native12_GLOBAL__N_124unique_dim_cuda_templateIlEESt5tupleIJNSA_6TensorESF_SF_EERKSF_lbbbEUlllE_EE10hipError_tT0_T1_T2_jT3_P12ihipStream_tbPNSt15iterator_traitsISL_E10value_typeEPNSR_ISM_E10value_typeEPSN_NS1_7vsmem_tEENKUlT_SL_SM_SN_E_clIS8_S8_S9_S9_EESK_S10_SL_SM_SN_EUlS10_E0_NS1_11comp_targetILNS1_3genE5ELNS1_11target_archE942ELNS1_3gpuE9ELNS1_3repE0EEENS1_38merge_mergepath_config_static_selectorELNS0_4arch9wavefront6targetE1EEEvSM_,"axG",@progbits,_ZN7rocprim17ROCPRIM_400000_NS6detail17trampoline_kernelINS0_14default_configENS1_38merge_sort_block_merge_config_selectorIlNS0_10empty_typeEEEZZNS1_27merge_sort_block_merge_implIS3_PlPS5_mZN2at6native12_GLOBAL__N_124unique_dim_cuda_templateIlEESt5tupleIJNSA_6TensorESF_SF_EERKSF_lbbbEUlllE_EE10hipError_tT0_T1_T2_jT3_P12ihipStream_tbPNSt15iterator_traitsISL_E10value_typeEPNSR_ISM_E10value_typeEPSN_NS1_7vsmem_tEENKUlT_SL_SM_SN_E_clIS8_S8_S9_S9_EESK_S10_SL_SM_SN_EUlS10_E0_NS1_11comp_targetILNS1_3genE5ELNS1_11target_archE942ELNS1_3gpuE9ELNS1_3repE0EEENS1_38merge_mergepath_config_static_selectorELNS0_4arch9wavefront6targetE1EEEvSM_,comdat
.Lfunc_end524:
	.size	_ZN7rocprim17ROCPRIM_400000_NS6detail17trampoline_kernelINS0_14default_configENS1_38merge_sort_block_merge_config_selectorIlNS0_10empty_typeEEEZZNS1_27merge_sort_block_merge_implIS3_PlPS5_mZN2at6native12_GLOBAL__N_124unique_dim_cuda_templateIlEESt5tupleIJNSA_6TensorESF_SF_EERKSF_lbbbEUlllE_EE10hipError_tT0_T1_T2_jT3_P12ihipStream_tbPNSt15iterator_traitsISL_E10value_typeEPNSR_ISM_E10value_typeEPSN_NS1_7vsmem_tEENKUlT_SL_SM_SN_E_clIS8_S8_S9_S9_EESK_S10_SL_SM_SN_EUlS10_E0_NS1_11comp_targetILNS1_3genE5ELNS1_11target_archE942ELNS1_3gpuE9ELNS1_3repE0EEENS1_38merge_mergepath_config_static_selectorELNS0_4arch9wavefront6targetE1EEEvSM_, .Lfunc_end524-_ZN7rocprim17ROCPRIM_400000_NS6detail17trampoline_kernelINS0_14default_configENS1_38merge_sort_block_merge_config_selectorIlNS0_10empty_typeEEEZZNS1_27merge_sort_block_merge_implIS3_PlPS5_mZN2at6native12_GLOBAL__N_124unique_dim_cuda_templateIlEESt5tupleIJNSA_6TensorESF_SF_EERKSF_lbbbEUlllE_EE10hipError_tT0_T1_T2_jT3_P12ihipStream_tbPNSt15iterator_traitsISL_E10value_typeEPNSR_ISM_E10value_typeEPSN_NS1_7vsmem_tEENKUlT_SL_SM_SN_E_clIS8_S8_S9_S9_EESK_S10_SL_SM_SN_EUlS10_E0_NS1_11comp_targetILNS1_3genE5ELNS1_11target_archE942ELNS1_3gpuE9ELNS1_3repE0EEENS1_38merge_mergepath_config_static_selectorELNS0_4arch9wavefront6targetE1EEEvSM_
                                        ; -- End function
	.section	.AMDGPU.csdata,"",@progbits
; Kernel info:
; codeLenInByte = 0
; NumSgprs: 4
; NumVgprs: 0
; NumAgprs: 0
; TotalNumVgprs: 0
; ScratchSize: 0
; MemoryBound: 0
; FloatMode: 240
; IeeeMode: 1
; LDSByteSize: 0 bytes/workgroup (compile time only)
; SGPRBlocks: 0
; VGPRBlocks: 0
; NumSGPRsForWavesPerEU: 4
; NumVGPRsForWavesPerEU: 1
; AccumOffset: 4
; Occupancy: 8
; WaveLimiterHint : 0
; COMPUTE_PGM_RSRC2:SCRATCH_EN: 0
; COMPUTE_PGM_RSRC2:USER_SGPR: 6
; COMPUTE_PGM_RSRC2:TRAP_HANDLER: 0
; COMPUTE_PGM_RSRC2:TGID_X_EN: 1
; COMPUTE_PGM_RSRC2:TGID_Y_EN: 0
; COMPUTE_PGM_RSRC2:TGID_Z_EN: 0
; COMPUTE_PGM_RSRC2:TIDIG_COMP_CNT: 0
; COMPUTE_PGM_RSRC3_GFX90A:ACCUM_OFFSET: 0
; COMPUTE_PGM_RSRC3_GFX90A:TG_SPLIT: 0
	.section	.text._ZN7rocprim17ROCPRIM_400000_NS6detail17trampoline_kernelINS0_14default_configENS1_38merge_sort_block_merge_config_selectorIlNS0_10empty_typeEEEZZNS1_27merge_sort_block_merge_implIS3_PlPS5_mZN2at6native12_GLOBAL__N_124unique_dim_cuda_templateIlEESt5tupleIJNSA_6TensorESF_SF_EERKSF_lbbbEUlllE_EE10hipError_tT0_T1_T2_jT3_P12ihipStream_tbPNSt15iterator_traitsISL_E10value_typeEPNSR_ISM_E10value_typeEPSN_NS1_7vsmem_tEENKUlT_SL_SM_SN_E_clIS8_S8_S9_S9_EESK_S10_SL_SM_SN_EUlS10_E0_NS1_11comp_targetILNS1_3genE4ELNS1_11target_archE910ELNS1_3gpuE8ELNS1_3repE0EEENS1_38merge_mergepath_config_static_selectorELNS0_4arch9wavefront6targetE1EEEvSM_,"axG",@progbits,_ZN7rocprim17ROCPRIM_400000_NS6detail17trampoline_kernelINS0_14default_configENS1_38merge_sort_block_merge_config_selectorIlNS0_10empty_typeEEEZZNS1_27merge_sort_block_merge_implIS3_PlPS5_mZN2at6native12_GLOBAL__N_124unique_dim_cuda_templateIlEESt5tupleIJNSA_6TensorESF_SF_EERKSF_lbbbEUlllE_EE10hipError_tT0_T1_T2_jT3_P12ihipStream_tbPNSt15iterator_traitsISL_E10value_typeEPNSR_ISM_E10value_typeEPSN_NS1_7vsmem_tEENKUlT_SL_SM_SN_E_clIS8_S8_S9_S9_EESK_S10_SL_SM_SN_EUlS10_E0_NS1_11comp_targetILNS1_3genE4ELNS1_11target_archE910ELNS1_3gpuE8ELNS1_3repE0EEENS1_38merge_mergepath_config_static_selectorELNS0_4arch9wavefront6targetE1EEEvSM_,comdat
	.globl	_ZN7rocprim17ROCPRIM_400000_NS6detail17trampoline_kernelINS0_14default_configENS1_38merge_sort_block_merge_config_selectorIlNS0_10empty_typeEEEZZNS1_27merge_sort_block_merge_implIS3_PlPS5_mZN2at6native12_GLOBAL__N_124unique_dim_cuda_templateIlEESt5tupleIJNSA_6TensorESF_SF_EERKSF_lbbbEUlllE_EE10hipError_tT0_T1_T2_jT3_P12ihipStream_tbPNSt15iterator_traitsISL_E10value_typeEPNSR_ISM_E10value_typeEPSN_NS1_7vsmem_tEENKUlT_SL_SM_SN_E_clIS8_S8_S9_S9_EESK_S10_SL_SM_SN_EUlS10_E0_NS1_11comp_targetILNS1_3genE4ELNS1_11target_archE910ELNS1_3gpuE8ELNS1_3repE0EEENS1_38merge_mergepath_config_static_selectorELNS0_4arch9wavefront6targetE1EEEvSM_ ; -- Begin function _ZN7rocprim17ROCPRIM_400000_NS6detail17trampoline_kernelINS0_14default_configENS1_38merge_sort_block_merge_config_selectorIlNS0_10empty_typeEEEZZNS1_27merge_sort_block_merge_implIS3_PlPS5_mZN2at6native12_GLOBAL__N_124unique_dim_cuda_templateIlEESt5tupleIJNSA_6TensorESF_SF_EERKSF_lbbbEUlllE_EE10hipError_tT0_T1_T2_jT3_P12ihipStream_tbPNSt15iterator_traitsISL_E10value_typeEPNSR_ISM_E10value_typeEPSN_NS1_7vsmem_tEENKUlT_SL_SM_SN_E_clIS8_S8_S9_S9_EESK_S10_SL_SM_SN_EUlS10_E0_NS1_11comp_targetILNS1_3genE4ELNS1_11target_archE910ELNS1_3gpuE8ELNS1_3repE0EEENS1_38merge_mergepath_config_static_selectorELNS0_4arch9wavefront6targetE1EEEvSM_
	.p2align	8
	.type	_ZN7rocprim17ROCPRIM_400000_NS6detail17trampoline_kernelINS0_14default_configENS1_38merge_sort_block_merge_config_selectorIlNS0_10empty_typeEEEZZNS1_27merge_sort_block_merge_implIS3_PlPS5_mZN2at6native12_GLOBAL__N_124unique_dim_cuda_templateIlEESt5tupleIJNSA_6TensorESF_SF_EERKSF_lbbbEUlllE_EE10hipError_tT0_T1_T2_jT3_P12ihipStream_tbPNSt15iterator_traitsISL_E10value_typeEPNSR_ISM_E10value_typeEPSN_NS1_7vsmem_tEENKUlT_SL_SM_SN_E_clIS8_S8_S9_S9_EESK_S10_SL_SM_SN_EUlS10_E0_NS1_11comp_targetILNS1_3genE4ELNS1_11target_archE910ELNS1_3gpuE8ELNS1_3repE0EEENS1_38merge_mergepath_config_static_selectorELNS0_4arch9wavefront6targetE1EEEvSM_,@function
_ZN7rocprim17ROCPRIM_400000_NS6detail17trampoline_kernelINS0_14default_configENS1_38merge_sort_block_merge_config_selectorIlNS0_10empty_typeEEEZZNS1_27merge_sort_block_merge_implIS3_PlPS5_mZN2at6native12_GLOBAL__N_124unique_dim_cuda_templateIlEESt5tupleIJNSA_6TensorESF_SF_EERKSF_lbbbEUlllE_EE10hipError_tT0_T1_T2_jT3_P12ihipStream_tbPNSt15iterator_traitsISL_E10value_typeEPNSR_ISM_E10value_typeEPSN_NS1_7vsmem_tEENKUlT_SL_SM_SN_E_clIS8_S8_S9_S9_EESK_S10_SL_SM_SN_EUlS10_E0_NS1_11comp_targetILNS1_3genE4ELNS1_11target_archE910ELNS1_3gpuE8ELNS1_3repE0EEENS1_38merge_mergepath_config_static_selectorELNS0_4arch9wavefront6targetE1EEEvSM_: ; @_ZN7rocprim17ROCPRIM_400000_NS6detail17trampoline_kernelINS0_14default_configENS1_38merge_sort_block_merge_config_selectorIlNS0_10empty_typeEEEZZNS1_27merge_sort_block_merge_implIS3_PlPS5_mZN2at6native12_GLOBAL__N_124unique_dim_cuda_templateIlEESt5tupleIJNSA_6TensorESF_SF_EERKSF_lbbbEUlllE_EE10hipError_tT0_T1_T2_jT3_P12ihipStream_tbPNSt15iterator_traitsISL_E10value_typeEPNSR_ISM_E10value_typeEPSN_NS1_7vsmem_tEENKUlT_SL_SM_SN_E_clIS8_S8_S9_S9_EESK_S10_SL_SM_SN_EUlS10_E0_NS1_11comp_targetILNS1_3genE4ELNS1_11target_archE910ELNS1_3gpuE8ELNS1_3repE0EEENS1_38merge_mergepath_config_static_selectorELNS0_4arch9wavefront6targetE1EEEvSM_
; %bb.0:
	s_load_dwordx2 s[22:23], s[4:5], 0x58
	s_load_dword s0, s[4:5], 0x38
	s_add_u32 s16, s4, 0x58
	s_addc_u32 s17, s5, 0
	s_waitcnt lgkmcnt(0)
	s_mul_i32 s1, s23, s8
	s_add_i32 s1, s1, s7
	s_mul_i32 s1, s1, s22
	s_add_i32 s18, s1, s6
	s_cmp_ge_u32 s18, s0
	s_cbranch_scc1 .LBB525_82
; %bb.1:
	s_load_dwordx2 s[0:1], s[4:5], 0x50
	s_load_dwordx4 s[12:15], s[4:5], 0x8
	s_load_dwordx4 s[8:11], s[4:5], 0x28
	s_mov_b32 s19, 0
	s_lshl_b64 s[2:3], s[18:19], 3
	s_waitcnt lgkmcnt(0)
	s_add_u32 s0, s0, s2
	s_addc_u32 s1, s1, s3
	v_mov_b32_e32 v1, s10
	v_alignbit_b32 v1, s11, v1, 9
	v_readfirstlane_b32 s7, v1
	s_and_b32 s7, s7, -2
	s_sub_i32 s33, 0, s7
	s_and_b32 s26, s18, s33
	s_mov_b32 s27, s19
	s_lshl_b64 s[24:25], s[26:27], 10
	s_lshl_b64 s[20:21], s[18:19], 10
	s_sub_u32 s7, s20, s24
	s_load_dwordx4 s[0:3], s[0:1], 0x0
	s_subb_u32 s23, s21, s25
	s_lshl_b64 s[26:27], s[26:27], 11
	s_add_u32 s26, s26, s10
	s_addc_u32 s27, s27, s11
	s_add_u32 s7, s26, s7
	s_addc_u32 s23, s27, s23
	s_waitcnt lgkmcnt(0)
	s_sub_u32 s28, s7, s2
	s_subb_u32 s3, s23, s3
	s_add_u32 s28, s28, 0x400
	s_addc_u32 s29, s3, 0
	v_pk_mov_b32 v[2:3], s[28:29], s[28:29] op_sel:[0,1]
	v_cmp_lt_u64_e32 vcc, s[8:9], v[2:3]
	s_and_b64 s[30:31], vcc, exec
	s_cselect_b32 s3, s8, s28
	s_or_b32 s28, s18, s33
	s_cmp_lg_u32 s28, -1
	s_cbranch_scc1 .LBB525_3
; %bb.2:
	s_sub_u32 s24, s26, s24
	s_subb_u32 s25, s27, s25
	v_pk_mov_b32 v[2:3], s[24:25], s[24:25] op_sel:[0,1]
	v_cmp_lt_u64_e32 vcc, s[8:9], v[2:3]
	s_and_b64 s[2:3], vcc, exec
	s_cselect_b32 s2, s8, s24
	s_add_u32 s10, s24, s10
	s_addc_u32 s11, s25, s11
	v_pk_mov_b32 v[2:3], s[10:11], s[10:11] op_sel:[0,1]
	v_cmp_lt_u64_e32 vcc, s[8:9], v[2:3]
	s_and_b64 s[24:25], vcc, exec
	s_cselect_b32 s3, s8, s10
.LBB525_3:
	s_lshr_b64 s[26:27], s[8:9], 10
	s_cmp_lg_u64 s[26:27], s[18:19]
	s_cselect_b64 s[10:11], -1, 0
	s_sub_u32 s24, s7, s0
	s_subb_u32 s25, s23, s1
	v_pk_mov_b32 v[2:3], s[24:25], s[24:25] op_sel:[0,1]
	v_cmp_lt_u64_e32 vcc, s[8:9], v[2:3]
	s_and_b64 s[28:29], vcc, exec
	s_cselect_b32 s28, s8, s24
	s_cselect_b32 s29, s9, s25
	s_sub_i32 s9, s2, s0
	s_sub_i32 s7, s3, s28
	s_lshl_b64 s[0:1], s[0:1], 3
	s_add_u32 s23, s12, s0
	s_addc_u32 s24, s13, s1
	s_lshl_b64 s[0:1], s[28:29], 3
	s_add_u32 s12, s12, s0
	s_addc_u32 s13, s13, s1
	s_cmp_lt_u32 s6, s22
	v_mov_b32_e32 v9, 0
	s_cselect_b32 s0, 12, 18
	global_load_dword v1, v9, s[16:17] offset:14
	s_add_u32 s0, s16, s0
	s_addc_u32 s1, s17, 0
	global_load_ushort v2, v9, s[0:1]
	s_cmp_eq_u64 s[26:27], s[18:19]
	s_waitcnt vmcnt(1)
	v_lshrrev_b32_e32 v3, 16, v1
	v_and_b32_e32 v1, 0xffff, v1
	v_mul_lo_u32 v1, v1, v3
	s_waitcnt vmcnt(0)
	v_mul_lo_u32 v12, v1, v2
	v_lshlrev_b32_e32 v1, 3, v0
	s_cbranch_scc1 .LBB525_5
; %bb.4:
	v_mov_b32_e32 v2, s24
	v_add_co_u32_e32 v4, vcc, s23, v1
	v_subrev_u32_e32 v8, s9, v0
	v_addc_co_u32_e32 v5, vcc, 0, v2, vcc
	v_lshlrev_b64 v[2:3], 3, v[8:9]
	v_mov_b32_e32 v6, s13
	v_add_co_u32_e32 v2, vcc, s12, v2
	v_addc_co_u32_e32 v3, vcc, v6, v3, vcc
	v_cmp_gt_u32_e32 vcc, s9, v0
	v_add_u32_e32 v8, v12, v0
	v_cndmask_b32_e32 v3, v3, v5, vcc
	v_cndmask_b32_e32 v2, v2, v4, vcc
	v_lshlrev_b64 v[4:5], 3, v[8:9]
	v_mov_b32_e32 v6, s24
	v_add_co_u32_e32 v7, vcc, s23, v4
	v_addc_co_u32_e32 v6, vcc, v6, v5, vcc
	v_subrev_u32_e32 v4, s9, v8
	v_mov_b32_e32 v5, v9
	v_lshlrev_b64 v[4:5], 3, v[4:5]
	v_mov_b32_e32 v10, s13
	v_add_co_u32_e32 v4, vcc, s12, v4
	v_addc_co_u32_e32 v5, vcc, v10, v5, vcc
	v_cmp_gt_u32_e32 vcc, s9, v8
	v_add_u32_e32 v8, v8, v12
	v_cndmask_b32_e32 v5, v5, v6, vcc
	v_cndmask_b32_e32 v4, v4, v7, vcc
	v_lshlrev_b64 v[6:7], 3, v[8:9]
	v_mov_b32_e32 v10, s24
	v_add_co_u32_e32 v11, vcc, s23, v6
	v_addc_co_u32_e32 v10, vcc, v10, v7, vcc
	v_subrev_u32_e32 v6, s9, v8
	v_mov_b32_e32 v7, v9
	v_lshlrev_b64 v[6:7], 3, v[6:7]
	v_mov_b32_e32 v13, s13
	v_add_co_u32_e32 v6, vcc, s12, v6
	v_addc_co_u32_e32 v7, vcc, v13, v7, vcc
	v_cmp_gt_u32_e32 vcc, s9, v8
	v_add_u32_e32 v8, v8, v12
	v_cndmask_b32_e32 v7, v7, v10, vcc
	v_cndmask_b32_e32 v6, v6, v11, vcc
	v_lshlrev_b64 v[10:11], 3, v[8:9]
	v_mov_b32_e32 v13, s24
	v_add_co_u32_e32 v10, vcc, s23, v10
	v_addc_co_u32_e32 v11, vcc, v13, v11, vcc
	v_cmp_gt_u32_e32 vcc, s9, v8
	v_subrev_u32_e32 v8, s9, v8
	v_lshlrev_b64 v[8:9], 3, v[8:9]
	v_mov_b32_e32 v13, s13
	v_add_co_u32_e64 v8, s[0:1], s12, v8
	v_addc_co_u32_e64 v9, s[0:1], v13, v9, s[0:1]
	v_cndmask_b32_e32 v9, v9, v11, vcc
	v_cndmask_b32_e32 v8, v8, v10, vcc
	global_load_dwordx2 v[2:3], v[2:3], off
	s_add_i32 s33, s9, s7
	global_load_dwordx2 v[4:5], v[4:5], off
	s_nop 0
	global_load_dwordx2 v[6:7], v[6:7], off
	s_nop 0
	global_load_dwordx2 v[8:9], v[8:9], off
	s_cbranch_execz .LBB525_6
	s_branch .LBB525_15
.LBB525_5:
                                        ; implicit-def: $vgpr2_vgpr3_vgpr4_vgpr5_vgpr6_vgpr7_vgpr8_vgpr9
                                        ; implicit-def: $sgpr33
.LBB525_6:
	s_add_i32 s33, s9, s7
	v_cmp_gt_u32_e32 vcc, s33, v0
                                        ; implicit-def: $vgpr2_vgpr3_vgpr4_vgpr5_vgpr6_vgpr7_vgpr8_vgpr9
	s_and_saveexec_b64 s[0:1], vcc
	s_cbranch_execz .LBB525_8
; %bb.7:
	s_waitcnt vmcnt(3)
	v_mov_b32_e32 v2, s24
	s_waitcnt vmcnt(2)
	v_add_co_u32_e32 v4, vcc, s23, v1
	v_mov_b32_e32 v3, 0
	v_addc_co_u32_e32 v5, vcc, 0, v2, vcc
	v_subrev_u32_e32 v2, s9, v0
	v_lshlrev_b64 v[2:3], 3, v[2:3]
	s_waitcnt vmcnt(1)
	v_mov_b32_e32 v6, s13
	v_add_co_u32_e32 v2, vcc, s12, v2
	v_addc_co_u32_e32 v3, vcc, v6, v3, vcc
	v_cmp_gt_u32_e32 vcc, s9, v0
	v_cndmask_b32_e32 v3, v3, v5, vcc
	v_cndmask_b32_e32 v2, v2, v4, vcc
	global_load_dwordx2 v[2:3], v[2:3], off
.LBB525_8:
	s_or_b64 exec, exec, s[0:1]
	v_add_u32_e32 v10, v12, v0
	v_cmp_gt_u32_e32 vcc, s33, v10
	s_and_saveexec_b64 s[0:1], vcc
	s_cbranch_execz .LBB525_10
; %bb.9:
	v_mov_b32_e32 v11, 0
	s_waitcnt vmcnt(2)
	v_lshlrev_b64 v[4:5], 3, v[10:11]
	v_mov_b32_e32 v13, s24
	v_add_co_u32_e32 v14, vcc, s23, v4
	v_addc_co_u32_e32 v13, vcc, v13, v5, vcc
	v_subrev_u32_e32 v4, s9, v10
	v_mov_b32_e32 v5, v11
	v_lshlrev_b64 v[4:5], 3, v[4:5]
	v_mov_b32_e32 v11, s13
	v_add_co_u32_e32 v4, vcc, s12, v4
	v_addc_co_u32_e32 v5, vcc, v11, v5, vcc
	v_cmp_gt_u32_e32 vcc, s9, v10
	v_cndmask_b32_e32 v5, v5, v13, vcc
	v_cndmask_b32_e32 v4, v4, v14, vcc
	global_load_dwordx2 v[4:5], v[4:5], off
.LBB525_10:
	s_or_b64 exec, exec, s[0:1]
	v_add_u32_e32 v10, v10, v12
	v_cmp_gt_u32_e32 vcc, s33, v10
	s_and_saveexec_b64 s[0:1], vcc
	s_cbranch_execz .LBB525_12
; %bb.11:
	v_mov_b32_e32 v11, 0
	s_waitcnt vmcnt(1)
	v_lshlrev_b64 v[6:7], 3, v[10:11]
	v_mov_b32_e32 v13, s24
	v_add_co_u32_e32 v14, vcc, s23, v6
	v_addc_co_u32_e32 v13, vcc, v13, v7, vcc
	v_subrev_u32_e32 v6, s9, v10
	v_mov_b32_e32 v7, v11
	v_lshlrev_b64 v[6:7], 3, v[6:7]
	v_mov_b32_e32 v11, s13
	v_add_co_u32_e32 v6, vcc, s12, v6
	v_addc_co_u32_e32 v7, vcc, v11, v7, vcc
	v_cmp_gt_u32_e32 vcc, s9, v10
	v_cndmask_b32_e32 v7, v7, v13, vcc
	v_cndmask_b32_e32 v6, v6, v14, vcc
	global_load_dwordx2 v[6:7], v[6:7], off
.LBB525_12:
	s_or_b64 exec, exec, s[0:1]
	v_add_u32_e32 v10, v10, v12
	v_cmp_gt_u32_e32 vcc, s33, v10
	s_and_saveexec_b64 s[2:3], vcc
	s_cbranch_execz .LBB525_14
; %bb.13:
	v_mov_b32_e32 v11, 0
	s_waitcnt vmcnt(0)
	v_lshlrev_b64 v[8:9], 3, v[10:11]
	v_mov_b32_e32 v12, s24
	v_add_co_u32_e32 v13, vcc, s23, v8
	v_addc_co_u32_e32 v12, vcc, v12, v9, vcc
	v_cmp_gt_u32_e32 vcc, s9, v10
	v_subrev_u32_e32 v10, s9, v10
	v_lshlrev_b64 v[8:9], 3, v[10:11]
	v_mov_b32_e32 v10, s13
	v_add_co_u32_e64 v8, s[0:1], s12, v8
	v_addc_co_u32_e64 v9, s[0:1], v10, v9, s[0:1]
	v_cndmask_b32_e32 v9, v9, v12, vcc
	v_cndmask_b32_e32 v8, v8, v13, vcc
	global_load_dwordx2 v[8:9], v[8:9], off
.LBB525_14:
	s_or_b64 exec, exec, s[2:3]
.LBB525_15:
	s_load_dwordx4 s[16:19], s[4:5], 0x40
	v_lshlrev_b32_e32 v16, 2, v0
	v_min_u32_e32 v15, s33, v16
	v_sub_u32_e64 v14, v15, s7 clamp
	v_min_u32_e32 v17, s9, v15
	v_cmp_lt_u32_e32 vcc, v14, v17
	s_waitcnt vmcnt(0)
	ds_write2st64_b64 v1, v[2:3], v[4:5] offset1:4
	ds_write2st64_b64 v1, v[6:7], v[8:9] offset0:8 offset1:12
	s_waitcnt lgkmcnt(0)
	s_barrier
	s_and_saveexec_b64 s[6:7], vcc
	s_cbranch_execz .LBB525_25
; %bb.16:
	v_lshlrev_b32_e32 v10, 3, v15
	v_cmp_gt_i64_e64 s[0:1], s[16:17], 0
	v_lshl_add_u32 v18, s9, 3, v10
	v_cndmask_b32_e64 v10, 0, 1, s[0:1]
	s_mov_b64 s[12:13], 0
	s_lshl_b64 s[22:23], s[16:17], 3
	v_cmp_ne_u32_e64 s[0:1], 1, v10
	s_branch .LBB525_19
.LBB525_17:                             ;   in Loop: Header=BB525_19 Depth=1
	s_or_b64 exec, exec, s[26:27]
.LBB525_18:                             ;   in Loop: Header=BB525_19 Depth=1
	v_add_u32_e32 v10, 1, v19
	v_cndmask_b32_e64 v17, v17, v19, s[24:25]
	v_cndmask_b32_e64 v14, v10, v14, s[24:25]
	v_cmp_ge_u32_e32 vcc, v14, v17
	s_or_b64 s[12:13], vcc, s[12:13]
	s_andn2_b64 exec, exec, s[12:13]
	s_cbranch_execz .LBB525_24
.LBB525_19:                             ; =>This Loop Header: Depth=1
                                        ;     Child Loop BB525_22 Depth 2
	v_add_u32_e32 v10, v17, v14
	v_lshrrev_b32_e32 v19, 1, v10
	s_and_b64 vcc, exec, s[0:1]
	s_mov_b64 s[24:25], 0
	s_cbranch_vccnz .LBB525_18
; %bb.20:                               ;   in Loop: Header=BB525_19 Depth=1
	v_not_b32_e32 v10, v19
	v_lshl_add_u32 v10, v10, 3, v18
	ds_read_b64 v[10:11], v10
	v_lshlrev_b32_e32 v20, 3, v19
	ds_read_b64 v[20:21], v20
	v_pk_mov_b32 v[12:13], s[18:19], s[18:19] op_sel:[0,1]
	s_mov_b64 s[26:27], 0
	s_waitcnt lgkmcnt(1)
	v_mul_lo_u32 v22, s22, v11
	v_mul_lo_u32 v23, s23, v10
	v_mad_u64_u32 v[10:11], s[2:3], s22, v10, v[12:13]
	v_add3_u32 v11, v23, v11, v22
	s_waitcnt lgkmcnt(0)
	v_mul_lo_u32 v21, s22, v21
	v_mul_lo_u32 v22, s23, v20
	v_mad_u64_u32 v[12:13], s[2:3], s22, v20, v[12:13]
	v_add3_u32 v13, v22, v13, v21
	s_mov_b64 s[34:35], s[16:17]
                                        ; implicit-def: $sgpr24_sgpr25
                                        ; implicit-def: $sgpr28_sgpr29
                                        ; implicit-def: $sgpr30_sgpr31
                                        ; implicit-def: $sgpr2_sgpr3
                                        ; implicit-def: $sgpr36_sgpr37
	s_branch .LBB525_22
.LBB525_21:                             ;   in Loop: Header=BB525_22 Depth=2
	s_or_b64 exec, exec, s[38:39]
	s_and_b64 s[4:5], exec, s[28:29]
	s_or_b64 s[26:27], s[4:5], s[26:27]
	s_andn2_b64 s[4:5], s[36:37], exec
	s_and_b64 s[36:37], s[30:31], exec
	s_or_b64 s[36:37], s[4:5], s[36:37]
	s_andn2_b64 s[4:5], s[24:25], exec
	s_and_b64 s[24:25], s[2:3], exec
	s_or_b64 s[24:25], s[4:5], s[24:25]
	s_andn2_b64 exec, exec, s[26:27]
	s_cbranch_execz .LBB525_17
.LBB525_22:                             ;   Parent Loop BB525_19 Depth=1
                                        ; =>  This Inner Loop Header: Depth=2
	global_load_dwordx2 v[20:21], v[10:11], off
	global_load_dwordx2 v[22:23], v[12:13], off
	s_andn2_b64 s[38:39], s[2:3], exec
	s_andn2_b64 s[30:31], s[30:31], exec
	s_or_b64 s[28:29], s[28:29], exec
	s_waitcnt vmcnt(0)
	v_cmp_le_i64_e64 s[2:3], v[20:21], v[22:23]
	v_cmp_lt_i64_e32 vcc, v[20:21], v[22:23]
	s_and_b64 s[2:3], s[2:3], s[36:37]
	s_or_b64 s[40:41], vcc, s[2:3]
	s_and_b64 s[2:3], s[40:41], exec
	v_cmp_eq_u64_e64 s[4:5], v[20:21], v[22:23]
	s_or_b64 s[2:3], s[38:39], s[2:3]
	s_and_saveexec_b64 s[38:39], s[4:5]
	s_cbranch_execz .LBB525_21
; %bb.23:                               ;   in Loop: Header=BB525_22 Depth=2
	s_add_u32 s34, s34, -1
	s_addc_u32 s35, s35, -1
	v_add_co_u32_e32 v10, vcc, 8, v10
	s_cmp_eq_u64 s[34:35], 0
	v_addc_co_u32_e32 v11, vcc, 0, v11, vcc
	s_cselect_b64 s[4:5], -1, 0
	v_add_co_u32_e32 v12, vcc, 8, v12
	s_andn2_b64 s[30:31], s[30:31], exec
	s_and_b64 s[36:37], s[40:41], exec
	s_andn2_b64 s[28:29], s[28:29], exec
	s_and_b64 s[4:5], s[4:5], exec
	v_addc_co_u32_e32 v13, vcc, 0, v13, vcc
	s_andn2_b64 s[2:3], s[2:3], exec
	s_or_b64 s[30:31], s[30:31], s[36:37]
	s_or_b64 s[28:29], s[28:29], s[4:5]
                                        ; implicit-def: $sgpr36_sgpr37
	s_branch .LBB525_21
.LBB525_24:
	s_or_b64 exec, exec, s[12:13]
.LBB525_25:
	s_or_b64 exec, exec, s[6:7]
	v_sub_u32_e32 v10, v15, v14
	v_add_u32_e32 v15, s9, v10
	v_cmp_ge_u32_e32 vcc, s9, v14
	v_cmp_ge_u32_e64 s[0:1], s33, v15
	s_or_b64 s[0:1], vcc, s[0:1]
	s_and_saveexec_b64 s[4:5], s[0:1]
	s_cbranch_execz .LBB525_72
; %bb.26:
	v_cmp_le_u32_e32 vcc, s9, v14
	v_cmp_gt_u32_e64 s[0:1], s9, v14
                                        ; implicit-def: $vgpr2_vgpr3
	s_and_saveexec_b64 s[2:3], s[0:1]
	s_cbranch_execz .LBB525_28
; %bb.27:
	v_lshlrev_b32_e32 v2, 3, v14
	ds_read_b64 v[2:3], v2
.LBB525_28:
	s_or_b64 exec, exec, s[2:3]
	v_cmp_le_u32_e64 s[12:13], s33, v15
	v_cmp_gt_u32_e64 s[0:1], s33, v15
                                        ; implicit-def: $vgpr6_vgpr7
	s_and_saveexec_b64 s[2:3], s[0:1]
	s_cbranch_execz .LBB525_30
; %bb.29:
	v_lshlrev_b32_e32 v4, 3, v15
	ds_read_b64 v[6:7], v4
.LBB525_30:
	s_or_b64 exec, exec, s[2:3]
	s_or_b64 s[0:1], vcc, s[12:13]
	v_cmp_gt_i64_e64 s[6:7], s[16:17], 0
	s_mov_b64 s[22:23], -1
	s_xor_b64 s[0:1], s[0:1], -1
	s_and_saveexec_b64 s[24:25], s[0:1]
	s_cbranch_execz .LBB525_39
; %bb.31:
	s_andn2_b64 vcc, exec, s[6:7]
	s_cbranch_vccnz .LBB525_37
; %bb.32:
	s_waitcnt lgkmcnt(0)
	v_mul_lo_u32 v8, v7, s16
	v_mul_lo_u32 v9, v6, s17
	v_mad_u64_u32 v[4:5], s[0:1], v6, s16, 0
	v_add3_u32 v5, v5, v9, v8
	v_lshlrev_b64 v[4:5], 3, v[4:5]
	v_mov_b32_e32 v8, s19
	v_add_co_u32_e32 v4, vcc, s18, v4
	v_addc_co_u32_e32 v5, vcc, v8, v5, vcc
	v_mul_lo_u32 v10, v3, s16
	v_mul_lo_u32 v11, v2, s17
	v_mad_u64_u32 v[8:9], s[0:1], v2, s16, 0
	v_add3_u32 v9, v9, v11, v10
	v_lshlrev_b64 v[8:9], 3, v[8:9]
	v_mov_b32_e32 v10, s19
	v_add_co_u32_e32 v8, vcc, s18, v8
	v_addc_co_u32_e32 v9, vcc, v10, v9, vcc
	s_mov_b64 s[26:27], 0
	s_mov_b64 s[36:37], s[16:17]
                                        ; implicit-def: $sgpr28_sgpr29
                                        ; implicit-def: $sgpr30_sgpr31
                                        ; implicit-def: $sgpr0_sgpr1
                                        ; implicit-def: $sgpr34_sgpr35
                                        ; implicit-def: $sgpr38_sgpr39
	s_branch .LBB525_34
.LBB525_33:                             ;   in Loop: Header=BB525_34 Depth=1
	s_or_b64 exec, exec, s[40:41]
	s_and_b64 s[2:3], exec, s[30:31]
	s_or_b64 s[26:27], s[2:3], s[26:27]
	s_andn2_b64 s[2:3], s[38:39], exec
	s_and_b64 s[38:39], s[34:35], exec
	s_or_b64 s[38:39], s[2:3], s[38:39]
	s_andn2_b64 s[2:3], s[28:29], exec
	s_and_b64 s[28:29], s[0:1], exec
	s_or_b64 s[28:29], s[2:3], s[28:29]
	s_andn2_b64 exec, exec, s[26:27]
	s_cbranch_execz .LBB525_36
.LBB525_34:                             ; =>This Inner Loop Header: Depth=1
	global_load_dwordx2 v[10:11], v[4:5], off
	global_load_dwordx2 v[12:13], v[8:9], off
	s_andn2_b64 s[40:41], s[0:1], exec
	s_andn2_b64 s[34:35], s[34:35], exec
	s_or_b64 s[30:31], s[30:31], exec
	s_waitcnt vmcnt(0)
	v_cmp_le_i64_e64 s[0:1], v[10:11], v[12:13]
	v_cmp_lt_i64_e32 vcc, v[10:11], v[12:13]
	s_and_b64 s[0:1], s[0:1], s[38:39]
	s_or_b64 s[42:43], vcc, s[0:1]
	s_and_b64 s[0:1], s[42:43], exec
	v_cmp_eq_u64_e64 s[2:3], v[10:11], v[12:13]
	s_or_b64 s[0:1], s[40:41], s[0:1]
	s_and_saveexec_b64 s[40:41], s[2:3]
	s_cbranch_execz .LBB525_33
; %bb.35:                               ;   in Loop: Header=BB525_34 Depth=1
	s_add_u32 s36, s36, -1
	s_addc_u32 s37, s37, -1
	v_add_co_u32_e32 v4, vcc, 8, v4
	s_cmp_eq_u64 s[36:37], 0
	v_addc_co_u32_e32 v5, vcc, 0, v5, vcc
	s_cselect_b64 s[2:3], -1, 0
	v_add_co_u32_e32 v8, vcc, 8, v8
	s_andn2_b64 s[34:35], s[34:35], exec
	s_and_b64 s[38:39], s[42:43], exec
	s_andn2_b64 s[30:31], s[30:31], exec
	s_and_b64 s[2:3], s[2:3], exec
	v_addc_co_u32_e32 v9, vcc, 0, v9, vcc
	s_or_b64 s[34:35], s[34:35], s[38:39]
	s_andn2_b64 s[0:1], s[0:1], exec
	s_or_b64 s[30:31], s[30:31], s[2:3]
                                        ; implicit-def: $sgpr38_sgpr39
	s_branch .LBB525_33
.LBB525_36:
	s_or_b64 exec, exec, s[26:27]
	s_xor_b64 s[0:1], s[28:29], -1
	s_branch .LBB525_38
.LBB525_37:
	s_mov_b64 s[0:1], -1
.LBB525_38:
	s_andn2_b64 s[2:3], s[12:13], exec
	s_and_b64 s[0:1], s[0:1], exec
	s_or_b64 s[12:13], s[2:3], s[0:1]
.LBB525_39:
	s_or_b64 exec, exec, s[24:25]
	v_mov_b32_e32 v5, s33
	v_mov_b32_e32 v8, s9
	v_cndmask_b32_e64 v4, v15, v14, s[12:13]
	v_cndmask_b32_e64 v5, v5, v8, s[12:13]
	v_add_u32_e32 v8, 1, v4
	v_add_u32_e32 v4, -1, v5
	v_min_u32_e32 v4, v8, v4
	v_lshlrev_b32_e32 v4, 3, v4
	ds_read_b64 v[4:5], v4
	v_cndmask_b32_e64 v17, v8, v15, s[12:13]
	v_cndmask_b32_e64 v21, v14, v8, s[12:13]
	v_cmp_gt_u32_e32 vcc, s33, v17
	s_waitcnt lgkmcnt(0)
	v_cndmask_b32_e64 v10, v5, v7, s[12:13]
	v_cndmask_b32_e64 v11, v4, v6, s[12:13]
	;; [unrolled: 1-line block ×4, first 2 shown]
	s_and_saveexec_b64 s[24:25], vcc
	s_cbranch_execz .LBB525_50
; %bb.40:
	v_cmp_gt_u32_e32 vcc, s9, v21
	s_mov_b64 s[0:1], 0
	s_and_saveexec_b64 s[22:23], vcc
	s_cbranch_execz .LBB525_49
; %bb.41:
	s_andn2_b64 vcc, exec, s[6:7]
	s_cbranch_vccnz .LBB525_47
; %bb.42:
	v_mul_lo_u32 v8, v10, s16
	v_mul_lo_u32 v9, v11, s17
	v_mad_u64_u32 v[4:5], s[0:1], v11, s16, 0
	v_add3_u32 v5, v5, v9, v8
	v_lshlrev_b64 v[4:5], 3, v[4:5]
	v_mov_b32_e32 v8, s19
	v_add_co_u32_e32 v4, vcc, s18, v4
	v_addc_co_u32_e32 v5, vcc, v8, v5, vcc
	v_mul_lo_u32 v14, v12, s16
	v_mul_lo_u32 v15, v13, s17
	v_mad_u64_u32 v[8:9], s[0:1], v13, s16, 0
	v_add3_u32 v9, v9, v15, v14
	v_lshlrev_b64 v[8:9], 3, v[8:9]
	v_mov_b32_e32 v14, s19
	v_add_co_u32_e32 v8, vcc, s18, v8
	v_addc_co_u32_e32 v9, vcc, v14, v9, vcc
	s_mov_b64 s[26:27], 0
	s_mov_b64 s[36:37], s[16:17]
                                        ; implicit-def: $sgpr28_sgpr29
                                        ; implicit-def: $sgpr30_sgpr31
                                        ; implicit-def: $sgpr0_sgpr1
                                        ; implicit-def: $sgpr34_sgpr35
                                        ; implicit-def: $sgpr38_sgpr39
	s_branch .LBB525_44
.LBB525_43:                             ;   in Loop: Header=BB525_44 Depth=1
	s_or_b64 exec, exec, s[40:41]
	s_and_b64 s[2:3], exec, s[30:31]
	s_or_b64 s[26:27], s[2:3], s[26:27]
	s_andn2_b64 s[2:3], s[38:39], exec
	s_and_b64 s[38:39], s[34:35], exec
	s_or_b64 s[38:39], s[2:3], s[38:39]
	s_andn2_b64 s[2:3], s[28:29], exec
	s_and_b64 s[28:29], s[0:1], exec
	s_or_b64 s[28:29], s[2:3], s[28:29]
	s_andn2_b64 exec, exec, s[26:27]
	s_cbranch_execz .LBB525_46
.LBB525_44:                             ; =>This Inner Loop Header: Depth=1
	global_load_dwordx2 v[14:15], v[4:5], off
	global_load_dwordx2 v[18:19], v[8:9], off
	s_andn2_b64 s[40:41], s[0:1], exec
	s_andn2_b64 s[34:35], s[34:35], exec
	s_or_b64 s[30:31], s[30:31], exec
	s_waitcnt vmcnt(0)
	v_cmp_le_i64_e64 s[0:1], v[14:15], v[18:19]
	v_cmp_lt_i64_e32 vcc, v[14:15], v[18:19]
	s_and_b64 s[0:1], s[0:1], s[38:39]
	s_or_b64 s[42:43], vcc, s[0:1]
	s_and_b64 s[0:1], s[42:43], exec
	v_cmp_eq_u64_e64 s[2:3], v[14:15], v[18:19]
	s_or_b64 s[0:1], s[40:41], s[0:1]
	s_and_saveexec_b64 s[40:41], s[2:3]
	s_cbranch_execz .LBB525_43
; %bb.45:                               ;   in Loop: Header=BB525_44 Depth=1
	s_add_u32 s36, s36, -1
	s_addc_u32 s37, s37, -1
	v_add_co_u32_e32 v4, vcc, 8, v4
	s_cmp_eq_u64 s[36:37], 0
	v_addc_co_u32_e32 v5, vcc, 0, v5, vcc
	s_cselect_b64 s[2:3], -1, 0
	v_add_co_u32_e32 v8, vcc, 8, v8
	s_andn2_b64 s[34:35], s[34:35], exec
	s_and_b64 s[38:39], s[42:43], exec
	s_andn2_b64 s[30:31], s[30:31], exec
	s_and_b64 s[2:3], s[2:3], exec
	v_addc_co_u32_e32 v9, vcc, 0, v9, vcc
	s_or_b64 s[34:35], s[34:35], s[38:39]
	s_andn2_b64 s[0:1], s[0:1], exec
	s_or_b64 s[30:31], s[30:31], s[2:3]
                                        ; implicit-def: $sgpr38_sgpr39
	s_branch .LBB525_43
.LBB525_46:
	s_or_b64 exec, exec, s[26:27]
	s_xor_b64 s[0:1], s[28:29], -1
	s_branch .LBB525_48
.LBB525_47:
	s_mov_b64 s[0:1], -1
.LBB525_48:
	s_and_b64 s[0:1], s[0:1], exec
.LBB525_49:
	s_or_b64 exec, exec, s[22:23]
	s_orn2_b64 s[22:23], s[0:1], exec
.LBB525_50:
	s_or_b64 exec, exec, s[24:25]
	v_mov_b32_e32 v5, s33
	v_mov_b32_e32 v8, s9
	v_cndmask_b32_e64 v4, v17, v21, s[22:23]
	v_cndmask_b32_e64 v5, v5, v8, s[22:23]
	v_add_u32_e32 v8, 1, v4
	v_add_u32_e32 v4, -1, v5
	v_min_u32_e32 v4, v8, v4
	v_lshlrev_b32_e32 v4, 3, v4
	ds_read_b64 v[4:5], v4
	v_cndmask_b32_e64 v18, v8, v17, s[22:23]
	v_cndmask_b32_e64 v17, v21, v8, s[22:23]
	v_cmp_gt_u32_e32 vcc, s33, v18
	s_mov_b64 s[0:1], -1
	s_waitcnt lgkmcnt(0)
	v_cndmask_b32_e64 v14, v5, v10, s[22:23]
	v_cndmask_b32_e64 v15, v4, v11, s[22:23]
	;; [unrolled: 1-line block ×4, first 2 shown]
	s_and_saveexec_b64 s[24:25], vcc
	s_cbranch_execz .LBB525_61
; %bb.51:
	v_cmp_gt_u32_e32 vcc, s9, v17
	s_mov_b64 s[0:1], 0
	s_and_saveexec_b64 s[26:27], vcc
	s_cbranch_execz .LBB525_60
; %bb.52:
	s_andn2_b64 vcc, exec, s[6:7]
	s_cbranch_vccnz .LBB525_58
; %bb.53:
	v_mul_lo_u32 v8, v14, s16
	v_mul_lo_u32 v9, v15, s17
	v_mad_u64_u32 v[4:5], s[0:1], v15, s16, 0
	v_add3_u32 v5, v5, v9, v8
	v_lshlrev_b64 v[4:5], 3, v[4:5]
	v_mov_b32_e32 v8, s19
	v_add_co_u32_e32 v4, vcc, s18, v4
	v_addc_co_u32_e32 v5, vcc, v8, v5, vcc
	v_mul_lo_u32 v21, v19, s16
	v_mul_lo_u32 v22, v20, s17
	v_mad_u64_u32 v[8:9], s[0:1], v20, s16, 0
	v_add3_u32 v9, v9, v22, v21
	v_lshlrev_b64 v[8:9], 3, v[8:9]
	v_mov_b32_e32 v21, s19
	v_add_co_u32_e32 v8, vcc, s18, v8
	v_addc_co_u32_e32 v9, vcc, v21, v9, vcc
	s_mov_b64 s[28:29], 0
	s_mov_b64 s[38:39], s[16:17]
                                        ; implicit-def: $sgpr30_sgpr31
                                        ; implicit-def: $sgpr34_sgpr35
                                        ; implicit-def: $sgpr0_sgpr1
                                        ; implicit-def: $sgpr36_sgpr37
                                        ; implicit-def: $sgpr40_sgpr41
	s_branch .LBB525_55
.LBB525_54:                             ;   in Loop: Header=BB525_55 Depth=1
	s_or_b64 exec, exec, s[42:43]
	s_and_b64 s[2:3], exec, s[34:35]
	s_or_b64 s[28:29], s[2:3], s[28:29]
	s_andn2_b64 s[2:3], s[40:41], exec
	s_and_b64 s[40:41], s[36:37], exec
	s_or_b64 s[40:41], s[2:3], s[40:41]
	s_andn2_b64 s[2:3], s[30:31], exec
	s_and_b64 s[30:31], s[0:1], exec
	s_or_b64 s[30:31], s[2:3], s[30:31]
	s_andn2_b64 exec, exec, s[28:29]
	s_cbranch_execz .LBB525_57
.LBB525_55:                             ; =>This Inner Loop Header: Depth=1
	global_load_dwordx2 v[22:23], v[4:5], off
	global_load_dwordx2 v[24:25], v[8:9], off
	s_andn2_b64 s[42:43], s[0:1], exec
	s_andn2_b64 s[36:37], s[36:37], exec
	s_or_b64 s[34:35], s[34:35], exec
	s_waitcnt vmcnt(0)
	v_cmp_le_i64_e64 s[0:1], v[22:23], v[24:25]
	v_cmp_lt_i64_e32 vcc, v[22:23], v[24:25]
	s_and_b64 s[0:1], s[0:1], s[40:41]
	s_or_b64 s[44:45], vcc, s[0:1]
	s_and_b64 s[0:1], s[44:45], exec
	v_cmp_eq_u64_e64 s[2:3], v[22:23], v[24:25]
	s_or_b64 s[0:1], s[42:43], s[0:1]
	s_and_saveexec_b64 s[42:43], s[2:3]
	s_cbranch_execz .LBB525_54
; %bb.56:                               ;   in Loop: Header=BB525_55 Depth=1
	s_add_u32 s38, s38, -1
	s_addc_u32 s39, s39, -1
	v_add_co_u32_e32 v4, vcc, 8, v4
	s_cmp_eq_u64 s[38:39], 0
	v_addc_co_u32_e32 v5, vcc, 0, v5, vcc
	s_cselect_b64 s[2:3], -1, 0
	v_add_co_u32_e32 v8, vcc, 8, v8
	s_andn2_b64 s[36:37], s[36:37], exec
	s_and_b64 s[40:41], s[44:45], exec
	s_andn2_b64 s[34:35], s[34:35], exec
	s_and_b64 s[2:3], s[2:3], exec
	v_addc_co_u32_e32 v9, vcc, 0, v9, vcc
	s_or_b64 s[36:37], s[36:37], s[40:41]
	s_andn2_b64 s[0:1], s[0:1], exec
	s_or_b64 s[34:35], s[34:35], s[2:3]
                                        ; implicit-def: $sgpr40_sgpr41
	s_branch .LBB525_54
.LBB525_57:
	s_or_b64 exec, exec, s[28:29]
	s_xor_b64 s[0:1], s[30:31], -1
	s_branch .LBB525_59
.LBB525_58:
	s_mov_b64 s[0:1], -1
.LBB525_59:
	s_and_b64 s[0:1], s[0:1], exec
.LBB525_60:
	s_or_b64 exec, exec, s[26:27]
	s_orn2_b64 s[0:1], s[0:1], exec
.LBB525_61:
	s_or_b64 exec, exec, s[24:25]
	v_cndmask_b32_e64 v5, v10, v12, s[22:23]
	v_mov_b32_e32 v9, s33
	v_mov_b32_e32 v10, s9
	v_cndmask_b32_e64 v8, v18, v17, s[0:1]
	v_cndmask_b32_e64 v9, v9, v10, s[0:1]
	v_add_u32_e32 v12, 1, v8
	v_add_u32_e32 v8, -1, v9
	v_min_u32_e32 v8, v12, v8
	v_lshlrev_b32_e32 v8, 3, v8
	v_cndmask_b32_e64 v4, v11, v13, s[22:23]
	ds_read_b64 v[10:11], v8
	v_cndmask_b32_e64 v13, v12, v18, s[0:1]
	v_cndmask_b32_e64 v3, v7, v3, s[12:13]
	;; [unrolled: 1-line block ×5, first 2 shown]
	s_waitcnt lgkmcnt(0)
	v_cndmask_b32_e64 v9, v19, v11, s[0:1]
	v_cndmask_b32_e64 v8, v20, v10, s[0:1]
	v_cmp_gt_u32_e32 vcc, s33, v13
	s_and_saveexec_b64 s[12:13], vcc
	s_cbranch_execz .LBB525_71
; %bb.62:
	v_cndmask_b32_e64 v12, v17, v12, s[0:1]
	v_cndmask_b32_e64 v11, v11, v14, s[0:1]
	;; [unrolled: 1-line block ×3, first 2 shown]
	v_cmp_gt_u32_e32 vcc, s9, v12
	s_and_saveexec_b64 s[22:23], vcc
	s_cbranch_execz .LBB525_70
; %bb.63:
	s_andn2_b64 vcc, exec, s[6:7]
	s_cbranch_vccnz .LBB525_69
; %bb.64:
	v_mul_lo_u32 v14, v11, s16
	v_mul_lo_u32 v15, v10, s17
	v_mad_u64_u32 v[12:13], s[0:1], v10, s16, 0
	v_add3_u32 v13, v13, v15, v14
	v_lshlrev_b64 v[12:13], 3, v[12:13]
	v_mov_b32_e32 v14, s19
	v_add_co_u32_e32 v12, vcc, s18, v12
	v_addc_co_u32_e32 v13, vcc, v14, v13, vcc
	v_mul_lo_u32 v17, v9, s16
	v_mul_lo_u32 v18, v8, s17
	v_mad_u64_u32 v[14:15], s[0:1], v8, s16, 0
	v_add3_u32 v15, v15, v18, v17
	v_lshlrev_b64 v[14:15], 3, v[14:15]
	v_mov_b32_e32 v17, s19
	v_add_co_u32_e32 v14, vcc, s18, v14
	v_addc_co_u32_e32 v15, vcc, v17, v15, vcc
	s_mov_b64 s[6:7], 0
                                        ; implicit-def: $sgpr18_sgpr19
                                        ; implicit-def: $sgpr24_sgpr25
                                        ; implicit-def: $sgpr0_sgpr1
                                        ; implicit-def: $sgpr26_sgpr27
                                        ; implicit-def: $sgpr28_sgpr29
	s_branch .LBB525_66
.LBB525_65:                             ;   in Loop: Header=BB525_66 Depth=1
	s_or_b64 exec, exec, s[30:31]
	s_and_b64 s[2:3], exec, s[24:25]
	s_or_b64 s[6:7], s[2:3], s[6:7]
	s_andn2_b64 s[2:3], s[28:29], exec
	s_and_b64 s[28:29], s[26:27], exec
	s_or_b64 s[28:29], s[2:3], s[28:29]
	s_andn2_b64 s[2:3], s[18:19], exec
	s_and_b64 s[18:19], s[0:1], exec
	s_or_b64 s[18:19], s[2:3], s[18:19]
	s_andn2_b64 exec, exec, s[6:7]
	s_cbranch_execz .LBB525_68
.LBB525_66:                             ; =>This Inner Loop Header: Depth=1
	global_load_dwordx2 v[18:19], v[12:13], off
	global_load_dwordx2 v[20:21], v[14:15], off
	s_andn2_b64 s[30:31], s[0:1], exec
	s_andn2_b64 s[26:27], s[26:27], exec
	s_or_b64 s[24:25], s[24:25], exec
	s_waitcnt vmcnt(0)
	v_cmp_le_i64_e64 s[0:1], v[18:19], v[20:21]
	v_cmp_lt_i64_e32 vcc, v[18:19], v[20:21]
	s_and_b64 s[0:1], s[0:1], s[28:29]
	s_or_b64 s[34:35], vcc, s[0:1]
	s_and_b64 s[0:1], s[34:35], exec
	v_cmp_eq_u64_e64 s[2:3], v[18:19], v[20:21]
	s_or_b64 s[0:1], s[30:31], s[0:1]
	s_and_saveexec_b64 s[30:31], s[2:3]
	s_cbranch_execz .LBB525_65
; %bb.67:                               ;   in Loop: Header=BB525_66 Depth=1
	s_add_u32 s16, s16, -1
	s_addc_u32 s17, s17, -1
	v_add_co_u32_e32 v12, vcc, 8, v12
	s_cmp_eq_u64 s[16:17], 0
	v_addc_co_u32_e32 v13, vcc, 0, v13, vcc
	s_cselect_b64 s[2:3], -1, 0
	v_add_co_u32_e32 v14, vcc, 8, v14
	s_andn2_b64 s[26:27], s[26:27], exec
	s_and_b64 s[28:29], s[34:35], exec
	s_andn2_b64 s[24:25], s[24:25], exec
	s_and_b64 s[2:3], s[2:3], exec
	v_addc_co_u32_e32 v15, vcc, 0, v15, vcc
	s_or_b64 s[26:27], s[26:27], s[28:29]
	s_andn2_b64 s[0:1], s[0:1], exec
	s_or_b64 s[24:25], s[24:25], s[2:3]
                                        ; implicit-def: $sgpr28_sgpr29
	s_branch .LBB525_65
.LBB525_68:
	s_or_b64 exec, exec, s[6:7]
	v_cndmask_b32_e64 v9, v9, v11, s[18:19]
	v_cndmask_b32_e64 v8, v8, v10, s[18:19]
.LBB525_69:
	v_pk_mov_b32 v[10:11], v[8:9], v[8:9] op_sel:[0,1]
.LBB525_70:
	s_or_b64 exec, exec, s[22:23]
	v_pk_mov_b32 v[8:9], v[10:11], v[10:11] op_sel:[0,1]
.LBB525_71:
	s_or_b64 exec, exec, s[12:13]
.LBB525_72:
	s_or_b64 exec, exec, s[4:5]
	v_and_b32_e32 v10, 0xf8, v0
	v_lshl_add_u32 v10, v16, 3, v10
	s_barrier
	s_barrier
	ds_write2_b64 v10, v[2:3], v[4:5] offset1:1
	ds_write2_b64 v10, v[6:7], v[8:9] offset0:2 offset1:3
	v_lshrrev_b32_e32 v2, 2, v0
	v_and_b32_e32 v2, 56, v2
	v_or_b32_e32 v12, 0x100, v0
	v_add_u32_e32 v13, v1, v2
	v_lshrrev_b32_e32 v2, 2, v12
	v_and_b32_e32 v2, 0x78, v2
	v_or_b32_e32 v11, 0x200, v0
	v_add_u32_e32 v6, v1, v2
	v_lshrrev_b32_e32 v2, 2, v11
	s_lshl_b64 s[0:1], s[20:21], 3
	v_and_b32_e32 v2, 0xb8, v2
	v_or_b32_e32 v10, 0x300, v0
	s_add_u32 s0, s14, s0
	v_add_u32_e32 v7, v1, v2
	v_lshrrev_b32_e32 v2, 2, v10
	s_addc_u32 s1, s15, s1
	v_and_b32_e32 v2, 0xf8, v2
	v_add_u32_e32 v14, v1, v2
	v_mov_b32_e32 v3, s1
	v_add_co_u32_e32 v2, vcc, s0, v1
	v_addc_co_u32_e32 v3, vcc, 0, v3, vcc
	s_and_b64 vcc, exec, s[10:11]
	s_waitcnt lgkmcnt(0)
	s_cbranch_vccz .LBB525_74
; %bb.73:
	s_barrier
	ds_read_b64 v[8:9], v13
	ds_read_b64 v[16:17], v6 offset:2048
	ds_read_b64 v[18:19], v7 offset:4096
	;; [unrolled: 1-line block ×3, first 2 shown]
	s_waitcnt lgkmcnt(3)
	global_store_dwordx2 v[2:3], v[8:9], off
	s_waitcnt lgkmcnt(2)
	global_store_dwordx2 v[2:3], v[16:17], off offset:2048
	v_add_co_u32_e32 v8, vcc, 0x1000, v2
	v_addc_co_u32_e32 v9, vcc, 0, v3, vcc
	s_waitcnt lgkmcnt(1)
	global_store_dwordx2 v[8:9], v[18:19], off
	s_mov_b64 s[0:1], -1
	s_cbranch_execz .LBB525_75
	s_branch .LBB525_80
.LBB525_74:
	s_mov_b64 s[0:1], 0
                                        ; implicit-def: $vgpr4_vgpr5
.LBB525_75:
	s_barrier
	s_waitcnt lgkmcnt(0)
	ds_read_b64 v[8:9], v6 offset:2048
	ds_read_b64 v[6:7], v7 offset:4096
	;; [unrolled: 1-line block ×3, first 2 shown]
	s_sub_i32 s2, s8, s20
	v_cmp_gt_u32_e32 vcc, s2, v0
	s_and_saveexec_b64 s[0:1], vcc
	s_cbranch_execnz .LBB525_83
; %bb.76:
	s_or_b64 exec, exec, s[0:1]
	v_cmp_gt_u32_e32 vcc, s2, v12
	s_and_saveexec_b64 s[0:1], vcc
	s_cbranch_execnz .LBB525_84
.LBB525_77:
	s_or_b64 exec, exec, s[0:1]
	v_cmp_gt_u32_e32 vcc, s2, v11
	s_and_saveexec_b64 s[0:1], vcc
	s_cbranch_execz .LBB525_79
.LBB525_78:
	v_add_co_u32_e32 v0, vcc, 0x1000, v2
	v_addc_co_u32_e32 v1, vcc, 0, v3, vcc
	s_waitcnt lgkmcnt(1)
	global_store_dwordx2 v[0:1], v[6:7], off
.LBB525_79:
	s_or_b64 exec, exec, s[0:1]
	v_cmp_gt_u32_e64 s[0:1], s2, v10
.LBB525_80:
	s_and_saveexec_b64 s[2:3], s[0:1]
	s_cbranch_execz .LBB525_82
; %bb.81:
	v_add_co_u32_e32 v0, vcc, 0x1000, v2
	v_addc_co_u32_e32 v1, vcc, 0, v3, vcc
	s_waitcnt lgkmcnt(0)
	global_store_dwordx2 v[0:1], v[4:5], off offset:2048
.LBB525_82:
	s_endpgm
.LBB525_83:
	ds_read_b64 v[0:1], v13
	s_waitcnt lgkmcnt(0)
	global_store_dwordx2 v[2:3], v[0:1], off
	s_or_b64 exec, exec, s[0:1]
	v_cmp_gt_u32_e32 vcc, s2, v12
	s_and_saveexec_b64 s[0:1], vcc
	s_cbranch_execz .LBB525_77
.LBB525_84:
	s_waitcnt lgkmcnt(2)
	global_store_dwordx2 v[2:3], v[8:9], off offset:2048
	s_or_b64 exec, exec, s[0:1]
	v_cmp_gt_u32_e32 vcc, s2, v11
	s_and_saveexec_b64 s[0:1], vcc
	s_cbranch_execnz .LBB525_78
	s_branch .LBB525_79
	.section	.rodata,"a",@progbits
	.p2align	6, 0x0
	.amdhsa_kernel _ZN7rocprim17ROCPRIM_400000_NS6detail17trampoline_kernelINS0_14default_configENS1_38merge_sort_block_merge_config_selectorIlNS0_10empty_typeEEEZZNS1_27merge_sort_block_merge_implIS3_PlPS5_mZN2at6native12_GLOBAL__N_124unique_dim_cuda_templateIlEESt5tupleIJNSA_6TensorESF_SF_EERKSF_lbbbEUlllE_EE10hipError_tT0_T1_T2_jT3_P12ihipStream_tbPNSt15iterator_traitsISL_E10value_typeEPNSR_ISM_E10value_typeEPSN_NS1_7vsmem_tEENKUlT_SL_SM_SN_E_clIS8_S8_S9_S9_EESK_S10_SL_SM_SN_EUlS10_E0_NS1_11comp_targetILNS1_3genE4ELNS1_11target_archE910ELNS1_3gpuE8ELNS1_3repE0EEENS1_38merge_mergepath_config_static_selectorELNS0_4arch9wavefront6targetE1EEEvSM_
		.amdhsa_group_segment_fixed_size 8448
		.amdhsa_private_segment_fixed_size 0
		.amdhsa_kernarg_size 344
		.amdhsa_user_sgpr_count 6
		.amdhsa_user_sgpr_private_segment_buffer 1
		.amdhsa_user_sgpr_dispatch_ptr 0
		.amdhsa_user_sgpr_queue_ptr 0
		.amdhsa_user_sgpr_kernarg_segment_ptr 1
		.amdhsa_user_sgpr_dispatch_id 0
		.amdhsa_user_sgpr_flat_scratch_init 0
		.amdhsa_user_sgpr_kernarg_preload_length 0
		.amdhsa_user_sgpr_kernarg_preload_offset 0
		.amdhsa_user_sgpr_private_segment_size 0
		.amdhsa_uses_dynamic_stack 0
		.amdhsa_system_sgpr_private_segment_wavefront_offset 0
		.amdhsa_system_sgpr_workgroup_id_x 1
		.amdhsa_system_sgpr_workgroup_id_y 1
		.amdhsa_system_sgpr_workgroup_id_z 1
		.amdhsa_system_sgpr_workgroup_info 0
		.amdhsa_system_vgpr_workitem_id 0
		.amdhsa_next_free_vgpr 26
		.amdhsa_next_free_sgpr 46
		.amdhsa_accum_offset 28
		.amdhsa_reserve_vcc 1
		.amdhsa_reserve_flat_scratch 0
		.amdhsa_float_round_mode_32 0
		.amdhsa_float_round_mode_16_64 0
		.amdhsa_float_denorm_mode_32 3
		.amdhsa_float_denorm_mode_16_64 3
		.amdhsa_dx10_clamp 1
		.amdhsa_ieee_mode 1
		.amdhsa_fp16_overflow 0
		.amdhsa_tg_split 0
		.amdhsa_exception_fp_ieee_invalid_op 0
		.amdhsa_exception_fp_denorm_src 0
		.amdhsa_exception_fp_ieee_div_zero 0
		.amdhsa_exception_fp_ieee_overflow 0
		.amdhsa_exception_fp_ieee_underflow 0
		.amdhsa_exception_fp_ieee_inexact 0
		.amdhsa_exception_int_div_zero 0
	.end_amdhsa_kernel
	.section	.text._ZN7rocprim17ROCPRIM_400000_NS6detail17trampoline_kernelINS0_14default_configENS1_38merge_sort_block_merge_config_selectorIlNS0_10empty_typeEEEZZNS1_27merge_sort_block_merge_implIS3_PlPS5_mZN2at6native12_GLOBAL__N_124unique_dim_cuda_templateIlEESt5tupleIJNSA_6TensorESF_SF_EERKSF_lbbbEUlllE_EE10hipError_tT0_T1_T2_jT3_P12ihipStream_tbPNSt15iterator_traitsISL_E10value_typeEPNSR_ISM_E10value_typeEPSN_NS1_7vsmem_tEENKUlT_SL_SM_SN_E_clIS8_S8_S9_S9_EESK_S10_SL_SM_SN_EUlS10_E0_NS1_11comp_targetILNS1_3genE4ELNS1_11target_archE910ELNS1_3gpuE8ELNS1_3repE0EEENS1_38merge_mergepath_config_static_selectorELNS0_4arch9wavefront6targetE1EEEvSM_,"axG",@progbits,_ZN7rocprim17ROCPRIM_400000_NS6detail17trampoline_kernelINS0_14default_configENS1_38merge_sort_block_merge_config_selectorIlNS0_10empty_typeEEEZZNS1_27merge_sort_block_merge_implIS3_PlPS5_mZN2at6native12_GLOBAL__N_124unique_dim_cuda_templateIlEESt5tupleIJNSA_6TensorESF_SF_EERKSF_lbbbEUlllE_EE10hipError_tT0_T1_T2_jT3_P12ihipStream_tbPNSt15iterator_traitsISL_E10value_typeEPNSR_ISM_E10value_typeEPSN_NS1_7vsmem_tEENKUlT_SL_SM_SN_E_clIS8_S8_S9_S9_EESK_S10_SL_SM_SN_EUlS10_E0_NS1_11comp_targetILNS1_3genE4ELNS1_11target_archE910ELNS1_3gpuE8ELNS1_3repE0EEENS1_38merge_mergepath_config_static_selectorELNS0_4arch9wavefront6targetE1EEEvSM_,comdat
.Lfunc_end525:
	.size	_ZN7rocprim17ROCPRIM_400000_NS6detail17trampoline_kernelINS0_14default_configENS1_38merge_sort_block_merge_config_selectorIlNS0_10empty_typeEEEZZNS1_27merge_sort_block_merge_implIS3_PlPS5_mZN2at6native12_GLOBAL__N_124unique_dim_cuda_templateIlEESt5tupleIJNSA_6TensorESF_SF_EERKSF_lbbbEUlllE_EE10hipError_tT0_T1_T2_jT3_P12ihipStream_tbPNSt15iterator_traitsISL_E10value_typeEPNSR_ISM_E10value_typeEPSN_NS1_7vsmem_tEENKUlT_SL_SM_SN_E_clIS8_S8_S9_S9_EESK_S10_SL_SM_SN_EUlS10_E0_NS1_11comp_targetILNS1_3genE4ELNS1_11target_archE910ELNS1_3gpuE8ELNS1_3repE0EEENS1_38merge_mergepath_config_static_selectorELNS0_4arch9wavefront6targetE1EEEvSM_, .Lfunc_end525-_ZN7rocprim17ROCPRIM_400000_NS6detail17trampoline_kernelINS0_14default_configENS1_38merge_sort_block_merge_config_selectorIlNS0_10empty_typeEEEZZNS1_27merge_sort_block_merge_implIS3_PlPS5_mZN2at6native12_GLOBAL__N_124unique_dim_cuda_templateIlEESt5tupleIJNSA_6TensorESF_SF_EERKSF_lbbbEUlllE_EE10hipError_tT0_T1_T2_jT3_P12ihipStream_tbPNSt15iterator_traitsISL_E10value_typeEPNSR_ISM_E10value_typeEPSN_NS1_7vsmem_tEENKUlT_SL_SM_SN_E_clIS8_S8_S9_S9_EESK_S10_SL_SM_SN_EUlS10_E0_NS1_11comp_targetILNS1_3genE4ELNS1_11target_archE910ELNS1_3gpuE8ELNS1_3repE0EEENS1_38merge_mergepath_config_static_selectorELNS0_4arch9wavefront6targetE1EEEvSM_
                                        ; -- End function
	.section	.AMDGPU.csdata,"",@progbits
; Kernel info:
; codeLenInByte = 4044
; NumSgprs: 50
; NumVgprs: 26
; NumAgprs: 0
; TotalNumVgprs: 26
; ScratchSize: 0
; MemoryBound: 0
; FloatMode: 240
; IeeeMode: 1
; LDSByteSize: 8448 bytes/workgroup (compile time only)
; SGPRBlocks: 6
; VGPRBlocks: 3
; NumSGPRsForWavesPerEU: 50
; NumVGPRsForWavesPerEU: 26
; AccumOffset: 28
; Occupancy: 7
; WaveLimiterHint : 1
; COMPUTE_PGM_RSRC2:SCRATCH_EN: 0
; COMPUTE_PGM_RSRC2:USER_SGPR: 6
; COMPUTE_PGM_RSRC2:TRAP_HANDLER: 0
; COMPUTE_PGM_RSRC2:TGID_X_EN: 1
; COMPUTE_PGM_RSRC2:TGID_Y_EN: 1
; COMPUTE_PGM_RSRC2:TGID_Z_EN: 1
; COMPUTE_PGM_RSRC2:TIDIG_COMP_CNT: 0
; COMPUTE_PGM_RSRC3_GFX90A:ACCUM_OFFSET: 6
; COMPUTE_PGM_RSRC3_GFX90A:TG_SPLIT: 0
	.section	.text._ZN7rocprim17ROCPRIM_400000_NS6detail17trampoline_kernelINS0_14default_configENS1_38merge_sort_block_merge_config_selectorIlNS0_10empty_typeEEEZZNS1_27merge_sort_block_merge_implIS3_PlPS5_mZN2at6native12_GLOBAL__N_124unique_dim_cuda_templateIlEESt5tupleIJNSA_6TensorESF_SF_EERKSF_lbbbEUlllE_EE10hipError_tT0_T1_T2_jT3_P12ihipStream_tbPNSt15iterator_traitsISL_E10value_typeEPNSR_ISM_E10value_typeEPSN_NS1_7vsmem_tEENKUlT_SL_SM_SN_E_clIS8_S8_S9_S9_EESK_S10_SL_SM_SN_EUlS10_E0_NS1_11comp_targetILNS1_3genE3ELNS1_11target_archE908ELNS1_3gpuE7ELNS1_3repE0EEENS1_38merge_mergepath_config_static_selectorELNS0_4arch9wavefront6targetE1EEEvSM_,"axG",@progbits,_ZN7rocprim17ROCPRIM_400000_NS6detail17trampoline_kernelINS0_14default_configENS1_38merge_sort_block_merge_config_selectorIlNS0_10empty_typeEEEZZNS1_27merge_sort_block_merge_implIS3_PlPS5_mZN2at6native12_GLOBAL__N_124unique_dim_cuda_templateIlEESt5tupleIJNSA_6TensorESF_SF_EERKSF_lbbbEUlllE_EE10hipError_tT0_T1_T2_jT3_P12ihipStream_tbPNSt15iterator_traitsISL_E10value_typeEPNSR_ISM_E10value_typeEPSN_NS1_7vsmem_tEENKUlT_SL_SM_SN_E_clIS8_S8_S9_S9_EESK_S10_SL_SM_SN_EUlS10_E0_NS1_11comp_targetILNS1_3genE3ELNS1_11target_archE908ELNS1_3gpuE7ELNS1_3repE0EEENS1_38merge_mergepath_config_static_selectorELNS0_4arch9wavefront6targetE1EEEvSM_,comdat
	.globl	_ZN7rocprim17ROCPRIM_400000_NS6detail17trampoline_kernelINS0_14default_configENS1_38merge_sort_block_merge_config_selectorIlNS0_10empty_typeEEEZZNS1_27merge_sort_block_merge_implIS3_PlPS5_mZN2at6native12_GLOBAL__N_124unique_dim_cuda_templateIlEESt5tupleIJNSA_6TensorESF_SF_EERKSF_lbbbEUlllE_EE10hipError_tT0_T1_T2_jT3_P12ihipStream_tbPNSt15iterator_traitsISL_E10value_typeEPNSR_ISM_E10value_typeEPSN_NS1_7vsmem_tEENKUlT_SL_SM_SN_E_clIS8_S8_S9_S9_EESK_S10_SL_SM_SN_EUlS10_E0_NS1_11comp_targetILNS1_3genE3ELNS1_11target_archE908ELNS1_3gpuE7ELNS1_3repE0EEENS1_38merge_mergepath_config_static_selectorELNS0_4arch9wavefront6targetE1EEEvSM_ ; -- Begin function _ZN7rocprim17ROCPRIM_400000_NS6detail17trampoline_kernelINS0_14default_configENS1_38merge_sort_block_merge_config_selectorIlNS0_10empty_typeEEEZZNS1_27merge_sort_block_merge_implIS3_PlPS5_mZN2at6native12_GLOBAL__N_124unique_dim_cuda_templateIlEESt5tupleIJNSA_6TensorESF_SF_EERKSF_lbbbEUlllE_EE10hipError_tT0_T1_T2_jT3_P12ihipStream_tbPNSt15iterator_traitsISL_E10value_typeEPNSR_ISM_E10value_typeEPSN_NS1_7vsmem_tEENKUlT_SL_SM_SN_E_clIS8_S8_S9_S9_EESK_S10_SL_SM_SN_EUlS10_E0_NS1_11comp_targetILNS1_3genE3ELNS1_11target_archE908ELNS1_3gpuE7ELNS1_3repE0EEENS1_38merge_mergepath_config_static_selectorELNS0_4arch9wavefront6targetE1EEEvSM_
	.p2align	8
	.type	_ZN7rocprim17ROCPRIM_400000_NS6detail17trampoline_kernelINS0_14default_configENS1_38merge_sort_block_merge_config_selectorIlNS0_10empty_typeEEEZZNS1_27merge_sort_block_merge_implIS3_PlPS5_mZN2at6native12_GLOBAL__N_124unique_dim_cuda_templateIlEESt5tupleIJNSA_6TensorESF_SF_EERKSF_lbbbEUlllE_EE10hipError_tT0_T1_T2_jT3_P12ihipStream_tbPNSt15iterator_traitsISL_E10value_typeEPNSR_ISM_E10value_typeEPSN_NS1_7vsmem_tEENKUlT_SL_SM_SN_E_clIS8_S8_S9_S9_EESK_S10_SL_SM_SN_EUlS10_E0_NS1_11comp_targetILNS1_3genE3ELNS1_11target_archE908ELNS1_3gpuE7ELNS1_3repE0EEENS1_38merge_mergepath_config_static_selectorELNS0_4arch9wavefront6targetE1EEEvSM_,@function
_ZN7rocprim17ROCPRIM_400000_NS6detail17trampoline_kernelINS0_14default_configENS1_38merge_sort_block_merge_config_selectorIlNS0_10empty_typeEEEZZNS1_27merge_sort_block_merge_implIS3_PlPS5_mZN2at6native12_GLOBAL__N_124unique_dim_cuda_templateIlEESt5tupleIJNSA_6TensorESF_SF_EERKSF_lbbbEUlllE_EE10hipError_tT0_T1_T2_jT3_P12ihipStream_tbPNSt15iterator_traitsISL_E10value_typeEPNSR_ISM_E10value_typeEPSN_NS1_7vsmem_tEENKUlT_SL_SM_SN_E_clIS8_S8_S9_S9_EESK_S10_SL_SM_SN_EUlS10_E0_NS1_11comp_targetILNS1_3genE3ELNS1_11target_archE908ELNS1_3gpuE7ELNS1_3repE0EEENS1_38merge_mergepath_config_static_selectorELNS0_4arch9wavefront6targetE1EEEvSM_: ; @_ZN7rocprim17ROCPRIM_400000_NS6detail17trampoline_kernelINS0_14default_configENS1_38merge_sort_block_merge_config_selectorIlNS0_10empty_typeEEEZZNS1_27merge_sort_block_merge_implIS3_PlPS5_mZN2at6native12_GLOBAL__N_124unique_dim_cuda_templateIlEESt5tupleIJNSA_6TensorESF_SF_EERKSF_lbbbEUlllE_EE10hipError_tT0_T1_T2_jT3_P12ihipStream_tbPNSt15iterator_traitsISL_E10value_typeEPNSR_ISM_E10value_typeEPSN_NS1_7vsmem_tEENKUlT_SL_SM_SN_E_clIS8_S8_S9_S9_EESK_S10_SL_SM_SN_EUlS10_E0_NS1_11comp_targetILNS1_3genE3ELNS1_11target_archE908ELNS1_3gpuE7ELNS1_3repE0EEENS1_38merge_mergepath_config_static_selectorELNS0_4arch9wavefront6targetE1EEEvSM_
; %bb.0:
	.section	.rodata,"a",@progbits
	.p2align	6, 0x0
	.amdhsa_kernel _ZN7rocprim17ROCPRIM_400000_NS6detail17trampoline_kernelINS0_14default_configENS1_38merge_sort_block_merge_config_selectorIlNS0_10empty_typeEEEZZNS1_27merge_sort_block_merge_implIS3_PlPS5_mZN2at6native12_GLOBAL__N_124unique_dim_cuda_templateIlEESt5tupleIJNSA_6TensorESF_SF_EERKSF_lbbbEUlllE_EE10hipError_tT0_T1_T2_jT3_P12ihipStream_tbPNSt15iterator_traitsISL_E10value_typeEPNSR_ISM_E10value_typeEPSN_NS1_7vsmem_tEENKUlT_SL_SM_SN_E_clIS8_S8_S9_S9_EESK_S10_SL_SM_SN_EUlS10_E0_NS1_11comp_targetILNS1_3genE3ELNS1_11target_archE908ELNS1_3gpuE7ELNS1_3repE0EEENS1_38merge_mergepath_config_static_selectorELNS0_4arch9wavefront6targetE1EEEvSM_
		.amdhsa_group_segment_fixed_size 0
		.amdhsa_private_segment_fixed_size 0
		.amdhsa_kernarg_size 88
		.amdhsa_user_sgpr_count 6
		.amdhsa_user_sgpr_private_segment_buffer 1
		.amdhsa_user_sgpr_dispatch_ptr 0
		.amdhsa_user_sgpr_queue_ptr 0
		.amdhsa_user_sgpr_kernarg_segment_ptr 1
		.amdhsa_user_sgpr_dispatch_id 0
		.amdhsa_user_sgpr_flat_scratch_init 0
		.amdhsa_user_sgpr_kernarg_preload_length 0
		.amdhsa_user_sgpr_kernarg_preload_offset 0
		.amdhsa_user_sgpr_private_segment_size 0
		.amdhsa_uses_dynamic_stack 0
		.amdhsa_system_sgpr_private_segment_wavefront_offset 0
		.amdhsa_system_sgpr_workgroup_id_x 1
		.amdhsa_system_sgpr_workgroup_id_y 0
		.amdhsa_system_sgpr_workgroup_id_z 0
		.amdhsa_system_sgpr_workgroup_info 0
		.amdhsa_system_vgpr_workitem_id 0
		.amdhsa_next_free_vgpr 1
		.amdhsa_next_free_sgpr 0
		.amdhsa_accum_offset 4
		.amdhsa_reserve_vcc 0
		.amdhsa_reserve_flat_scratch 0
		.amdhsa_float_round_mode_32 0
		.amdhsa_float_round_mode_16_64 0
		.amdhsa_float_denorm_mode_32 3
		.amdhsa_float_denorm_mode_16_64 3
		.amdhsa_dx10_clamp 1
		.amdhsa_ieee_mode 1
		.amdhsa_fp16_overflow 0
		.amdhsa_tg_split 0
		.amdhsa_exception_fp_ieee_invalid_op 0
		.amdhsa_exception_fp_denorm_src 0
		.amdhsa_exception_fp_ieee_div_zero 0
		.amdhsa_exception_fp_ieee_overflow 0
		.amdhsa_exception_fp_ieee_underflow 0
		.amdhsa_exception_fp_ieee_inexact 0
		.amdhsa_exception_int_div_zero 0
	.end_amdhsa_kernel
	.section	.text._ZN7rocprim17ROCPRIM_400000_NS6detail17trampoline_kernelINS0_14default_configENS1_38merge_sort_block_merge_config_selectorIlNS0_10empty_typeEEEZZNS1_27merge_sort_block_merge_implIS3_PlPS5_mZN2at6native12_GLOBAL__N_124unique_dim_cuda_templateIlEESt5tupleIJNSA_6TensorESF_SF_EERKSF_lbbbEUlllE_EE10hipError_tT0_T1_T2_jT3_P12ihipStream_tbPNSt15iterator_traitsISL_E10value_typeEPNSR_ISM_E10value_typeEPSN_NS1_7vsmem_tEENKUlT_SL_SM_SN_E_clIS8_S8_S9_S9_EESK_S10_SL_SM_SN_EUlS10_E0_NS1_11comp_targetILNS1_3genE3ELNS1_11target_archE908ELNS1_3gpuE7ELNS1_3repE0EEENS1_38merge_mergepath_config_static_selectorELNS0_4arch9wavefront6targetE1EEEvSM_,"axG",@progbits,_ZN7rocprim17ROCPRIM_400000_NS6detail17trampoline_kernelINS0_14default_configENS1_38merge_sort_block_merge_config_selectorIlNS0_10empty_typeEEEZZNS1_27merge_sort_block_merge_implIS3_PlPS5_mZN2at6native12_GLOBAL__N_124unique_dim_cuda_templateIlEESt5tupleIJNSA_6TensorESF_SF_EERKSF_lbbbEUlllE_EE10hipError_tT0_T1_T2_jT3_P12ihipStream_tbPNSt15iterator_traitsISL_E10value_typeEPNSR_ISM_E10value_typeEPSN_NS1_7vsmem_tEENKUlT_SL_SM_SN_E_clIS8_S8_S9_S9_EESK_S10_SL_SM_SN_EUlS10_E0_NS1_11comp_targetILNS1_3genE3ELNS1_11target_archE908ELNS1_3gpuE7ELNS1_3repE0EEENS1_38merge_mergepath_config_static_selectorELNS0_4arch9wavefront6targetE1EEEvSM_,comdat
.Lfunc_end526:
	.size	_ZN7rocprim17ROCPRIM_400000_NS6detail17trampoline_kernelINS0_14default_configENS1_38merge_sort_block_merge_config_selectorIlNS0_10empty_typeEEEZZNS1_27merge_sort_block_merge_implIS3_PlPS5_mZN2at6native12_GLOBAL__N_124unique_dim_cuda_templateIlEESt5tupleIJNSA_6TensorESF_SF_EERKSF_lbbbEUlllE_EE10hipError_tT0_T1_T2_jT3_P12ihipStream_tbPNSt15iterator_traitsISL_E10value_typeEPNSR_ISM_E10value_typeEPSN_NS1_7vsmem_tEENKUlT_SL_SM_SN_E_clIS8_S8_S9_S9_EESK_S10_SL_SM_SN_EUlS10_E0_NS1_11comp_targetILNS1_3genE3ELNS1_11target_archE908ELNS1_3gpuE7ELNS1_3repE0EEENS1_38merge_mergepath_config_static_selectorELNS0_4arch9wavefront6targetE1EEEvSM_, .Lfunc_end526-_ZN7rocprim17ROCPRIM_400000_NS6detail17trampoline_kernelINS0_14default_configENS1_38merge_sort_block_merge_config_selectorIlNS0_10empty_typeEEEZZNS1_27merge_sort_block_merge_implIS3_PlPS5_mZN2at6native12_GLOBAL__N_124unique_dim_cuda_templateIlEESt5tupleIJNSA_6TensorESF_SF_EERKSF_lbbbEUlllE_EE10hipError_tT0_T1_T2_jT3_P12ihipStream_tbPNSt15iterator_traitsISL_E10value_typeEPNSR_ISM_E10value_typeEPSN_NS1_7vsmem_tEENKUlT_SL_SM_SN_E_clIS8_S8_S9_S9_EESK_S10_SL_SM_SN_EUlS10_E0_NS1_11comp_targetILNS1_3genE3ELNS1_11target_archE908ELNS1_3gpuE7ELNS1_3repE0EEENS1_38merge_mergepath_config_static_selectorELNS0_4arch9wavefront6targetE1EEEvSM_
                                        ; -- End function
	.section	.AMDGPU.csdata,"",@progbits
; Kernel info:
; codeLenInByte = 0
; NumSgprs: 4
; NumVgprs: 0
; NumAgprs: 0
; TotalNumVgprs: 0
; ScratchSize: 0
; MemoryBound: 0
; FloatMode: 240
; IeeeMode: 1
; LDSByteSize: 0 bytes/workgroup (compile time only)
; SGPRBlocks: 0
; VGPRBlocks: 0
; NumSGPRsForWavesPerEU: 4
; NumVGPRsForWavesPerEU: 1
; AccumOffset: 4
; Occupancy: 8
; WaveLimiterHint : 0
; COMPUTE_PGM_RSRC2:SCRATCH_EN: 0
; COMPUTE_PGM_RSRC2:USER_SGPR: 6
; COMPUTE_PGM_RSRC2:TRAP_HANDLER: 0
; COMPUTE_PGM_RSRC2:TGID_X_EN: 1
; COMPUTE_PGM_RSRC2:TGID_Y_EN: 0
; COMPUTE_PGM_RSRC2:TGID_Z_EN: 0
; COMPUTE_PGM_RSRC2:TIDIG_COMP_CNT: 0
; COMPUTE_PGM_RSRC3_GFX90A:ACCUM_OFFSET: 0
; COMPUTE_PGM_RSRC3_GFX90A:TG_SPLIT: 0
	.section	.text._ZN7rocprim17ROCPRIM_400000_NS6detail17trampoline_kernelINS0_14default_configENS1_38merge_sort_block_merge_config_selectorIlNS0_10empty_typeEEEZZNS1_27merge_sort_block_merge_implIS3_PlPS5_mZN2at6native12_GLOBAL__N_124unique_dim_cuda_templateIlEESt5tupleIJNSA_6TensorESF_SF_EERKSF_lbbbEUlllE_EE10hipError_tT0_T1_T2_jT3_P12ihipStream_tbPNSt15iterator_traitsISL_E10value_typeEPNSR_ISM_E10value_typeEPSN_NS1_7vsmem_tEENKUlT_SL_SM_SN_E_clIS8_S8_S9_S9_EESK_S10_SL_SM_SN_EUlS10_E0_NS1_11comp_targetILNS1_3genE2ELNS1_11target_archE906ELNS1_3gpuE6ELNS1_3repE0EEENS1_38merge_mergepath_config_static_selectorELNS0_4arch9wavefront6targetE1EEEvSM_,"axG",@progbits,_ZN7rocprim17ROCPRIM_400000_NS6detail17trampoline_kernelINS0_14default_configENS1_38merge_sort_block_merge_config_selectorIlNS0_10empty_typeEEEZZNS1_27merge_sort_block_merge_implIS3_PlPS5_mZN2at6native12_GLOBAL__N_124unique_dim_cuda_templateIlEESt5tupleIJNSA_6TensorESF_SF_EERKSF_lbbbEUlllE_EE10hipError_tT0_T1_T2_jT3_P12ihipStream_tbPNSt15iterator_traitsISL_E10value_typeEPNSR_ISM_E10value_typeEPSN_NS1_7vsmem_tEENKUlT_SL_SM_SN_E_clIS8_S8_S9_S9_EESK_S10_SL_SM_SN_EUlS10_E0_NS1_11comp_targetILNS1_3genE2ELNS1_11target_archE906ELNS1_3gpuE6ELNS1_3repE0EEENS1_38merge_mergepath_config_static_selectorELNS0_4arch9wavefront6targetE1EEEvSM_,comdat
	.globl	_ZN7rocprim17ROCPRIM_400000_NS6detail17trampoline_kernelINS0_14default_configENS1_38merge_sort_block_merge_config_selectorIlNS0_10empty_typeEEEZZNS1_27merge_sort_block_merge_implIS3_PlPS5_mZN2at6native12_GLOBAL__N_124unique_dim_cuda_templateIlEESt5tupleIJNSA_6TensorESF_SF_EERKSF_lbbbEUlllE_EE10hipError_tT0_T1_T2_jT3_P12ihipStream_tbPNSt15iterator_traitsISL_E10value_typeEPNSR_ISM_E10value_typeEPSN_NS1_7vsmem_tEENKUlT_SL_SM_SN_E_clIS8_S8_S9_S9_EESK_S10_SL_SM_SN_EUlS10_E0_NS1_11comp_targetILNS1_3genE2ELNS1_11target_archE906ELNS1_3gpuE6ELNS1_3repE0EEENS1_38merge_mergepath_config_static_selectorELNS0_4arch9wavefront6targetE1EEEvSM_ ; -- Begin function _ZN7rocprim17ROCPRIM_400000_NS6detail17trampoline_kernelINS0_14default_configENS1_38merge_sort_block_merge_config_selectorIlNS0_10empty_typeEEEZZNS1_27merge_sort_block_merge_implIS3_PlPS5_mZN2at6native12_GLOBAL__N_124unique_dim_cuda_templateIlEESt5tupleIJNSA_6TensorESF_SF_EERKSF_lbbbEUlllE_EE10hipError_tT0_T1_T2_jT3_P12ihipStream_tbPNSt15iterator_traitsISL_E10value_typeEPNSR_ISM_E10value_typeEPSN_NS1_7vsmem_tEENKUlT_SL_SM_SN_E_clIS8_S8_S9_S9_EESK_S10_SL_SM_SN_EUlS10_E0_NS1_11comp_targetILNS1_3genE2ELNS1_11target_archE906ELNS1_3gpuE6ELNS1_3repE0EEENS1_38merge_mergepath_config_static_selectorELNS0_4arch9wavefront6targetE1EEEvSM_
	.p2align	8
	.type	_ZN7rocprim17ROCPRIM_400000_NS6detail17trampoline_kernelINS0_14default_configENS1_38merge_sort_block_merge_config_selectorIlNS0_10empty_typeEEEZZNS1_27merge_sort_block_merge_implIS3_PlPS5_mZN2at6native12_GLOBAL__N_124unique_dim_cuda_templateIlEESt5tupleIJNSA_6TensorESF_SF_EERKSF_lbbbEUlllE_EE10hipError_tT0_T1_T2_jT3_P12ihipStream_tbPNSt15iterator_traitsISL_E10value_typeEPNSR_ISM_E10value_typeEPSN_NS1_7vsmem_tEENKUlT_SL_SM_SN_E_clIS8_S8_S9_S9_EESK_S10_SL_SM_SN_EUlS10_E0_NS1_11comp_targetILNS1_3genE2ELNS1_11target_archE906ELNS1_3gpuE6ELNS1_3repE0EEENS1_38merge_mergepath_config_static_selectorELNS0_4arch9wavefront6targetE1EEEvSM_,@function
_ZN7rocprim17ROCPRIM_400000_NS6detail17trampoline_kernelINS0_14default_configENS1_38merge_sort_block_merge_config_selectorIlNS0_10empty_typeEEEZZNS1_27merge_sort_block_merge_implIS3_PlPS5_mZN2at6native12_GLOBAL__N_124unique_dim_cuda_templateIlEESt5tupleIJNSA_6TensorESF_SF_EERKSF_lbbbEUlllE_EE10hipError_tT0_T1_T2_jT3_P12ihipStream_tbPNSt15iterator_traitsISL_E10value_typeEPNSR_ISM_E10value_typeEPSN_NS1_7vsmem_tEENKUlT_SL_SM_SN_E_clIS8_S8_S9_S9_EESK_S10_SL_SM_SN_EUlS10_E0_NS1_11comp_targetILNS1_3genE2ELNS1_11target_archE906ELNS1_3gpuE6ELNS1_3repE0EEENS1_38merge_mergepath_config_static_selectorELNS0_4arch9wavefront6targetE1EEEvSM_: ; @_ZN7rocprim17ROCPRIM_400000_NS6detail17trampoline_kernelINS0_14default_configENS1_38merge_sort_block_merge_config_selectorIlNS0_10empty_typeEEEZZNS1_27merge_sort_block_merge_implIS3_PlPS5_mZN2at6native12_GLOBAL__N_124unique_dim_cuda_templateIlEESt5tupleIJNSA_6TensorESF_SF_EERKSF_lbbbEUlllE_EE10hipError_tT0_T1_T2_jT3_P12ihipStream_tbPNSt15iterator_traitsISL_E10value_typeEPNSR_ISM_E10value_typeEPSN_NS1_7vsmem_tEENKUlT_SL_SM_SN_E_clIS8_S8_S9_S9_EESK_S10_SL_SM_SN_EUlS10_E0_NS1_11comp_targetILNS1_3genE2ELNS1_11target_archE906ELNS1_3gpuE6ELNS1_3repE0EEENS1_38merge_mergepath_config_static_selectorELNS0_4arch9wavefront6targetE1EEEvSM_
; %bb.0:
	.section	.rodata,"a",@progbits
	.p2align	6, 0x0
	.amdhsa_kernel _ZN7rocprim17ROCPRIM_400000_NS6detail17trampoline_kernelINS0_14default_configENS1_38merge_sort_block_merge_config_selectorIlNS0_10empty_typeEEEZZNS1_27merge_sort_block_merge_implIS3_PlPS5_mZN2at6native12_GLOBAL__N_124unique_dim_cuda_templateIlEESt5tupleIJNSA_6TensorESF_SF_EERKSF_lbbbEUlllE_EE10hipError_tT0_T1_T2_jT3_P12ihipStream_tbPNSt15iterator_traitsISL_E10value_typeEPNSR_ISM_E10value_typeEPSN_NS1_7vsmem_tEENKUlT_SL_SM_SN_E_clIS8_S8_S9_S9_EESK_S10_SL_SM_SN_EUlS10_E0_NS1_11comp_targetILNS1_3genE2ELNS1_11target_archE906ELNS1_3gpuE6ELNS1_3repE0EEENS1_38merge_mergepath_config_static_selectorELNS0_4arch9wavefront6targetE1EEEvSM_
		.amdhsa_group_segment_fixed_size 0
		.amdhsa_private_segment_fixed_size 0
		.amdhsa_kernarg_size 88
		.amdhsa_user_sgpr_count 6
		.amdhsa_user_sgpr_private_segment_buffer 1
		.amdhsa_user_sgpr_dispatch_ptr 0
		.amdhsa_user_sgpr_queue_ptr 0
		.amdhsa_user_sgpr_kernarg_segment_ptr 1
		.amdhsa_user_sgpr_dispatch_id 0
		.amdhsa_user_sgpr_flat_scratch_init 0
		.amdhsa_user_sgpr_kernarg_preload_length 0
		.amdhsa_user_sgpr_kernarg_preload_offset 0
		.amdhsa_user_sgpr_private_segment_size 0
		.amdhsa_uses_dynamic_stack 0
		.amdhsa_system_sgpr_private_segment_wavefront_offset 0
		.amdhsa_system_sgpr_workgroup_id_x 1
		.amdhsa_system_sgpr_workgroup_id_y 0
		.amdhsa_system_sgpr_workgroup_id_z 0
		.amdhsa_system_sgpr_workgroup_info 0
		.amdhsa_system_vgpr_workitem_id 0
		.amdhsa_next_free_vgpr 1
		.amdhsa_next_free_sgpr 0
		.amdhsa_accum_offset 4
		.amdhsa_reserve_vcc 0
		.amdhsa_reserve_flat_scratch 0
		.amdhsa_float_round_mode_32 0
		.amdhsa_float_round_mode_16_64 0
		.amdhsa_float_denorm_mode_32 3
		.amdhsa_float_denorm_mode_16_64 3
		.amdhsa_dx10_clamp 1
		.amdhsa_ieee_mode 1
		.amdhsa_fp16_overflow 0
		.amdhsa_tg_split 0
		.amdhsa_exception_fp_ieee_invalid_op 0
		.amdhsa_exception_fp_denorm_src 0
		.amdhsa_exception_fp_ieee_div_zero 0
		.amdhsa_exception_fp_ieee_overflow 0
		.amdhsa_exception_fp_ieee_underflow 0
		.amdhsa_exception_fp_ieee_inexact 0
		.amdhsa_exception_int_div_zero 0
	.end_amdhsa_kernel
	.section	.text._ZN7rocprim17ROCPRIM_400000_NS6detail17trampoline_kernelINS0_14default_configENS1_38merge_sort_block_merge_config_selectorIlNS0_10empty_typeEEEZZNS1_27merge_sort_block_merge_implIS3_PlPS5_mZN2at6native12_GLOBAL__N_124unique_dim_cuda_templateIlEESt5tupleIJNSA_6TensorESF_SF_EERKSF_lbbbEUlllE_EE10hipError_tT0_T1_T2_jT3_P12ihipStream_tbPNSt15iterator_traitsISL_E10value_typeEPNSR_ISM_E10value_typeEPSN_NS1_7vsmem_tEENKUlT_SL_SM_SN_E_clIS8_S8_S9_S9_EESK_S10_SL_SM_SN_EUlS10_E0_NS1_11comp_targetILNS1_3genE2ELNS1_11target_archE906ELNS1_3gpuE6ELNS1_3repE0EEENS1_38merge_mergepath_config_static_selectorELNS0_4arch9wavefront6targetE1EEEvSM_,"axG",@progbits,_ZN7rocprim17ROCPRIM_400000_NS6detail17trampoline_kernelINS0_14default_configENS1_38merge_sort_block_merge_config_selectorIlNS0_10empty_typeEEEZZNS1_27merge_sort_block_merge_implIS3_PlPS5_mZN2at6native12_GLOBAL__N_124unique_dim_cuda_templateIlEESt5tupleIJNSA_6TensorESF_SF_EERKSF_lbbbEUlllE_EE10hipError_tT0_T1_T2_jT3_P12ihipStream_tbPNSt15iterator_traitsISL_E10value_typeEPNSR_ISM_E10value_typeEPSN_NS1_7vsmem_tEENKUlT_SL_SM_SN_E_clIS8_S8_S9_S9_EESK_S10_SL_SM_SN_EUlS10_E0_NS1_11comp_targetILNS1_3genE2ELNS1_11target_archE906ELNS1_3gpuE6ELNS1_3repE0EEENS1_38merge_mergepath_config_static_selectorELNS0_4arch9wavefront6targetE1EEEvSM_,comdat
.Lfunc_end527:
	.size	_ZN7rocprim17ROCPRIM_400000_NS6detail17trampoline_kernelINS0_14default_configENS1_38merge_sort_block_merge_config_selectorIlNS0_10empty_typeEEEZZNS1_27merge_sort_block_merge_implIS3_PlPS5_mZN2at6native12_GLOBAL__N_124unique_dim_cuda_templateIlEESt5tupleIJNSA_6TensorESF_SF_EERKSF_lbbbEUlllE_EE10hipError_tT0_T1_T2_jT3_P12ihipStream_tbPNSt15iterator_traitsISL_E10value_typeEPNSR_ISM_E10value_typeEPSN_NS1_7vsmem_tEENKUlT_SL_SM_SN_E_clIS8_S8_S9_S9_EESK_S10_SL_SM_SN_EUlS10_E0_NS1_11comp_targetILNS1_3genE2ELNS1_11target_archE906ELNS1_3gpuE6ELNS1_3repE0EEENS1_38merge_mergepath_config_static_selectorELNS0_4arch9wavefront6targetE1EEEvSM_, .Lfunc_end527-_ZN7rocprim17ROCPRIM_400000_NS6detail17trampoline_kernelINS0_14default_configENS1_38merge_sort_block_merge_config_selectorIlNS0_10empty_typeEEEZZNS1_27merge_sort_block_merge_implIS3_PlPS5_mZN2at6native12_GLOBAL__N_124unique_dim_cuda_templateIlEESt5tupleIJNSA_6TensorESF_SF_EERKSF_lbbbEUlllE_EE10hipError_tT0_T1_T2_jT3_P12ihipStream_tbPNSt15iterator_traitsISL_E10value_typeEPNSR_ISM_E10value_typeEPSN_NS1_7vsmem_tEENKUlT_SL_SM_SN_E_clIS8_S8_S9_S9_EESK_S10_SL_SM_SN_EUlS10_E0_NS1_11comp_targetILNS1_3genE2ELNS1_11target_archE906ELNS1_3gpuE6ELNS1_3repE0EEENS1_38merge_mergepath_config_static_selectorELNS0_4arch9wavefront6targetE1EEEvSM_
                                        ; -- End function
	.section	.AMDGPU.csdata,"",@progbits
; Kernel info:
; codeLenInByte = 0
; NumSgprs: 4
; NumVgprs: 0
; NumAgprs: 0
; TotalNumVgprs: 0
; ScratchSize: 0
; MemoryBound: 0
; FloatMode: 240
; IeeeMode: 1
; LDSByteSize: 0 bytes/workgroup (compile time only)
; SGPRBlocks: 0
; VGPRBlocks: 0
; NumSGPRsForWavesPerEU: 4
; NumVGPRsForWavesPerEU: 1
; AccumOffset: 4
; Occupancy: 8
; WaveLimiterHint : 0
; COMPUTE_PGM_RSRC2:SCRATCH_EN: 0
; COMPUTE_PGM_RSRC2:USER_SGPR: 6
; COMPUTE_PGM_RSRC2:TRAP_HANDLER: 0
; COMPUTE_PGM_RSRC2:TGID_X_EN: 1
; COMPUTE_PGM_RSRC2:TGID_Y_EN: 0
; COMPUTE_PGM_RSRC2:TGID_Z_EN: 0
; COMPUTE_PGM_RSRC2:TIDIG_COMP_CNT: 0
; COMPUTE_PGM_RSRC3_GFX90A:ACCUM_OFFSET: 0
; COMPUTE_PGM_RSRC3_GFX90A:TG_SPLIT: 0
	.section	.text._ZN7rocprim17ROCPRIM_400000_NS6detail17trampoline_kernelINS0_14default_configENS1_38merge_sort_block_merge_config_selectorIlNS0_10empty_typeEEEZZNS1_27merge_sort_block_merge_implIS3_PlPS5_mZN2at6native12_GLOBAL__N_124unique_dim_cuda_templateIlEESt5tupleIJNSA_6TensorESF_SF_EERKSF_lbbbEUlllE_EE10hipError_tT0_T1_T2_jT3_P12ihipStream_tbPNSt15iterator_traitsISL_E10value_typeEPNSR_ISM_E10value_typeEPSN_NS1_7vsmem_tEENKUlT_SL_SM_SN_E_clIS8_S8_S9_S9_EESK_S10_SL_SM_SN_EUlS10_E0_NS1_11comp_targetILNS1_3genE9ELNS1_11target_archE1100ELNS1_3gpuE3ELNS1_3repE0EEENS1_38merge_mergepath_config_static_selectorELNS0_4arch9wavefront6targetE1EEEvSM_,"axG",@progbits,_ZN7rocprim17ROCPRIM_400000_NS6detail17trampoline_kernelINS0_14default_configENS1_38merge_sort_block_merge_config_selectorIlNS0_10empty_typeEEEZZNS1_27merge_sort_block_merge_implIS3_PlPS5_mZN2at6native12_GLOBAL__N_124unique_dim_cuda_templateIlEESt5tupleIJNSA_6TensorESF_SF_EERKSF_lbbbEUlllE_EE10hipError_tT0_T1_T2_jT3_P12ihipStream_tbPNSt15iterator_traitsISL_E10value_typeEPNSR_ISM_E10value_typeEPSN_NS1_7vsmem_tEENKUlT_SL_SM_SN_E_clIS8_S8_S9_S9_EESK_S10_SL_SM_SN_EUlS10_E0_NS1_11comp_targetILNS1_3genE9ELNS1_11target_archE1100ELNS1_3gpuE3ELNS1_3repE0EEENS1_38merge_mergepath_config_static_selectorELNS0_4arch9wavefront6targetE1EEEvSM_,comdat
	.globl	_ZN7rocprim17ROCPRIM_400000_NS6detail17trampoline_kernelINS0_14default_configENS1_38merge_sort_block_merge_config_selectorIlNS0_10empty_typeEEEZZNS1_27merge_sort_block_merge_implIS3_PlPS5_mZN2at6native12_GLOBAL__N_124unique_dim_cuda_templateIlEESt5tupleIJNSA_6TensorESF_SF_EERKSF_lbbbEUlllE_EE10hipError_tT0_T1_T2_jT3_P12ihipStream_tbPNSt15iterator_traitsISL_E10value_typeEPNSR_ISM_E10value_typeEPSN_NS1_7vsmem_tEENKUlT_SL_SM_SN_E_clIS8_S8_S9_S9_EESK_S10_SL_SM_SN_EUlS10_E0_NS1_11comp_targetILNS1_3genE9ELNS1_11target_archE1100ELNS1_3gpuE3ELNS1_3repE0EEENS1_38merge_mergepath_config_static_selectorELNS0_4arch9wavefront6targetE1EEEvSM_ ; -- Begin function _ZN7rocprim17ROCPRIM_400000_NS6detail17trampoline_kernelINS0_14default_configENS1_38merge_sort_block_merge_config_selectorIlNS0_10empty_typeEEEZZNS1_27merge_sort_block_merge_implIS3_PlPS5_mZN2at6native12_GLOBAL__N_124unique_dim_cuda_templateIlEESt5tupleIJNSA_6TensorESF_SF_EERKSF_lbbbEUlllE_EE10hipError_tT0_T1_T2_jT3_P12ihipStream_tbPNSt15iterator_traitsISL_E10value_typeEPNSR_ISM_E10value_typeEPSN_NS1_7vsmem_tEENKUlT_SL_SM_SN_E_clIS8_S8_S9_S9_EESK_S10_SL_SM_SN_EUlS10_E0_NS1_11comp_targetILNS1_3genE9ELNS1_11target_archE1100ELNS1_3gpuE3ELNS1_3repE0EEENS1_38merge_mergepath_config_static_selectorELNS0_4arch9wavefront6targetE1EEEvSM_
	.p2align	8
	.type	_ZN7rocprim17ROCPRIM_400000_NS6detail17trampoline_kernelINS0_14default_configENS1_38merge_sort_block_merge_config_selectorIlNS0_10empty_typeEEEZZNS1_27merge_sort_block_merge_implIS3_PlPS5_mZN2at6native12_GLOBAL__N_124unique_dim_cuda_templateIlEESt5tupleIJNSA_6TensorESF_SF_EERKSF_lbbbEUlllE_EE10hipError_tT0_T1_T2_jT3_P12ihipStream_tbPNSt15iterator_traitsISL_E10value_typeEPNSR_ISM_E10value_typeEPSN_NS1_7vsmem_tEENKUlT_SL_SM_SN_E_clIS8_S8_S9_S9_EESK_S10_SL_SM_SN_EUlS10_E0_NS1_11comp_targetILNS1_3genE9ELNS1_11target_archE1100ELNS1_3gpuE3ELNS1_3repE0EEENS1_38merge_mergepath_config_static_selectorELNS0_4arch9wavefront6targetE1EEEvSM_,@function
_ZN7rocprim17ROCPRIM_400000_NS6detail17trampoline_kernelINS0_14default_configENS1_38merge_sort_block_merge_config_selectorIlNS0_10empty_typeEEEZZNS1_27merge_sort_block_merge_implIS3_PlPS5_mZN2at6native12_GLOBAL__N_124unique_dim_cuda_templateIlEESt5tupleIJNSA_6TensorESF_SF_EERKSF_lbbbEUlllE_EE10hipError_tT0_T1_T2_jT3_P12ihipStream_tbPNSt15iterator_traitsISL_E10value_typeEPNSR_ISM_E10value_typeEPSN_NS1_7vsmem_tEENKUlT_SL_SM_SN_E_clIS8_S8_S9_S9_EESK_S10_SL_SM_SN_EUlS10_E0_NS1_11comp_targetILNS1_3genE9ELNS1_11target_archE1100ELNS1_3gpuE3ELNS1_3repE0EEENS1_38merge_mergepath_config_static_selectorELNS0_4arch9wavefront6targetE1EEEvSM_: ; @_ZN7rocprim17ROCPRIM_400000_NS6detail17trampoline_kernelINS0_14default_configENS1_38merge_sort_block_merge_config_selectorIlNS0_10empty_typeEEEZZNS1_27merge_sort_block_merge_implIS3_PlPS5_mZN2at6native12_GLOBAL__N_124unique_dim_cuda_templateIlEESt5tupleIJNSA_6TensorESF_SF_EERKSF_lbbbEUlllE_EE10hipError_tT0_T1_T2_jT3_P12ihipStream_tbPNSt15iterator_traitsISL_E10value_typeEPNSR_ISM_E10value_typeEPSN_NS1_7vsmem_tEENKUlT_SL_SM_SN_E_clIS8_S8_S9_S9_EESK_S10_SL_SM_SN_EUlS10_E0_NS1_11comp_targetILNS1_3genE9ELNS1_11target_archE1100ELNS1_3gpuE3ELNS1_3repE0EEENS1_38merge_mergepath_config_static_selectorELNS0_4arch9wavefront6targetE1EEEvSM_
; %bb.0:
	.section	.rodata,"a",@progbits
	.p2align	6, 0x0
	.amdhsa_kernel _ZN7rocprim17ROCPRIM_400000_NS6detail17trampoline_kernelINS0_14default_configENS1_38merge_sort_block_merge_config_selectorIlNS0_10empty_typeEEEZZNS1_27merge_sort_block_merge_implIS3_PlPS5_mZN2at6native12_GLOBAL__N_124unique_dim_cuda_templateIlEESt5tupleIJNSA_6TensorESF_SF_EERKSF_lbbbEUlllE_EE10hipError_tT0_T1_T2_jT3_P12ihipStream_tbPNSt15iterator_traitsISL_E10value_typeEPNSR_ISM_E10value_typeEPSN_NS1_7vsmem_tEENKUlT_SL_SM_SN_E_clIS8_S8_S9_S9_EESK_S10_SL_SM_SN_EUlS10_E0_NS1_11comp_targetILNS1_3genE9ELNS1_11target_archE1100ELNS1_3gpuE3ELNS1_3repE0EEENS1_38merge_mergepath_config_static_selectorELNS0_4arch9wavefront6targetE1EEEvSM_
		.amdhsa_group_segment_fixed_size 0
		.amdhsa_private_segment_fixed_size 0
		.amdhsa_kernarg_size 88
		.amdhsa_user_sgpr_count 6
		.amdhsa_user_sgpr_private_segment_buffer 1
		.amdhsa_user_sgpr_dispatch_ptr 0
		.amdhsa_user_sgpr_queue_ptr 0
		.amdhsa_user_sgpr_kernarg_segment_ptr 1
		.amdhsa_user_sgpr_dispatch_id 0
		.amdhsa_user_sgpr_flat_scratch_init 0
		.amdhsa_user_sgpr_kernarg_preload_length 0
		.amdhsa_user_sgpr_kernarg_preload_offset 0
		.amdhsa_user_sgpr_private_segment_size 0
		.amdhsa_uses_dynamic_stack 0
		.amdhsa_system_sgpr_private_segment_wavefront_offset 0
		.amdhsa_system_sgpr_workgroup_id_x 1
		.amdhsa_system_sgpr_workgroup_id_y 0
		.amdhsa_system_sgpr_workgroup_id_z 0
		.amdhsa_system_sgpr_workgroup_info 0
		.amdhsa_system_vgpr_workitem_id 0
		.amdhsa_next_free_vgpr 1
		.amdhsa_next_free_sgpr 0
		.amdhsa_accum_offset 4
		.amdhsa_reserve_vcc 0
		.amdhsa_reserve_flat_scratch 0
		.amdhsa_float_round_mode_32 0
		.amdhsa_float_round_mode_16_64 0
		.amdhsa_float_denorm_mode_32 3
		.amdhsa_float_denorm_mode_16_64 3
		.amdhsa_dx10_clamp 1
		.amdhsa_ieee_mode 1
		.amdhsa_fp16_overflow 0
		.amdhsa_tg_split 0
		.amdhsa_exception_fp_ieee_invalid_op 0
		.amdhsa_exception_fp_denorm_src 0
		.amdhsa_exception_fp_ieee_div_zero 0
		.amdhsa_exception_fp_ieee_overflow 0
		.amdhsa_exception_fp_ieee_underflow 0
		.amdhsa_exception_fp_ieee_inexact 0
		.amdhsa_exception_int_div_zero 0
	.end_amdhsa_kernel
	.section	.text._ZN7rocprim17ROCPRIM_400000_NS6detail17trampoline_kernelINS0_14default_configENS1_38merge_sort_block_merge_config_selectorIlNS0_10empty_typeEEEZZNS1_27merge_sort_block_merge_implIS3_PlPS5_mZN2at6native12_GLOBAL__N_124unique_dim_cuda_templateIlEESt5tupleIJNSA_6TensorESF_SF_EERKSF_lbbbEUlllE_EE10hipError_tT0_T1_T2_jT3_P12ihipStream_tbPNSt15iterator_traitsISL_E10value_typeEPNSR_ISM_E10value_typeEPSN_NS1_7vsmem_tEENKUlT_SL_SM_SN_E_clIS8_S8_S9_S9_EESK_S10_SL_SM_SN_EUlS10_E0_NS1_11comp_targetILNS1_3genE9ELNS1_11target_archE1100ELNS1_3gpuE3ELNS1_3repE0EEENS1_38merge_mergepath_config_static_selectorELNS0_4arch9wavefront6targetE1EEEvSM_,"axG",@progbits,_ZN7rocprim17ROCPRIM_400000_NS6detail17trampoline_kernelINS0_14default_configENS1_38merge_sort_block_merge_config_selectorIlNS0_10empty_typeEEEZZNS1_27merge_sort_block_merge_implIS3_PlPS5_mZN2at6native12_GLOBAL__N_124unique_dim_cuda_templateIlEESt5tupleIJNSA_6TensorESF_SF_EERKSF_lbbbEUlllE_EE10hipError_tT0_T1_T2_jT3_P12ihipStream_tbPNSt15iterator_traitsISL_E10value_typeEPNSR_ISM_E10value_typeEPSN_NS1_7vsmem_tEENKUlT_SL_SM_SN_E_clIS8_S8_S9_S9_EESK_S10_SL_SM_SN_EUlS10_E0_NS1_11comp_targetILNS1_3genE9ELNS1_11target_archE1100ELNS1_3gpuE3ELNS1_3repE0EEENS1_38merge_mergepath_config_static_selectorELNS0_4arch9wavefront6targetE1EEEvSM_,comdat
.Lfunc_end528:
	.size	_ZN7rocprim17ROCPRIM_400000_NS6detail17trampoline_kernelINS0_14default_configENS1_38merge_sort_block_merge_config_selectorIlNS0_10empty_typeEEEZZNS1_27merge_sort_block_merge_implIS3_PlPS5_mZN2at6native12_GLOBAL__N_124unique_dim_cuda_templateIlEESt5tupleIJNSA_6TensorESF_SF_EERKSF_lbbbEUlllE_EE10hipError_tT0_T1_T2_jT3_P12ihipStream_tbPNSt15iterator_traitsISL_E10value_typeEPNSR_ISM_E10value_typeEPSN_NS1_7vsmem_tEENKUlT_SL_SM_SN_E_clIS8_S8_S9_S9_EESK_S10_SL_SM_SN_EUlS10_E0_NS1_11comp_targetILNS1_3genE9ELNS1_11target_archE1100ELNS1_3gpuE3ELNS1_3repE0EEENS1_38merge_mergepath_config_static_selectorELNS0_4arch9wavefront6targetE1EEEvSM_, .Lfunc_end528-_ZN7rocprim17ROCPRIM_400000_NS6detail17trampoline_kernelINS0_14default_configENS1_38merge_sort_block_merge_config_selectorIlNS0_10empty_typeEEEZZNS1_27merge_sort_block_merge_implIS3_PlPS5_mZN2at6native12_GLOBAL__N_124unique_dim_cuda_templateIlEESt5tupleIJNSA_6TensorESF_SF_EERKSF_lbbbEUlllE_EE10hipError_tT0_T1_T2_jT3_P12ihipStream_tbPNSt15iterator_traitsISL_E10value_typeEPNSR_ISM_E10value_typeEPSN_NS1_7vsmem_tEENKUlT_SL_SM_SN_E_clIS8_S8_S9_S9_EESK_S10_SL_SM_SN_EUlS10_E0_NS1_11comp_targetILNS1_3genE9ELNS1_11target_archE1100ELNS1_3gpuE3ELNS1_3repE0EEENS1_38merge_mergepath_config_static_selectorELNS0_4arch9wavefront6targetE1EEEvSM_
                                        ; -- End function
	.section	.AMDGPU.csdata,"",@progbits
; Kernel info:
; codeLenInByte = 0
; NumSgprs: 4
; NumVgprs: 0
; NumAgprs: 0
; TotalNumVgprs: 0
; ScratchSize: 0
; MemoryBound: 0
; FloatMode: 240
; IeeeMode: 1
; LDSByteSize: 0 bytes/workgroup (compile time only)
; SGPRBlocks: 0
; VGPRBlocks: 0
; NumSGPRsForWavesPerEU: 4
; NumVGPRsForWavesPerEU: 1
; AccumOffset: 4
; Occupancy: 8
; WaveLimiterHint : 0
; COMPUTE_PGM_RSRC2:SCRATCH_EN: 0
; COMPUTE_PGM_RSRC2:USER_SGPR: 6
; COMPUTE_PGM_RSRC2:TRAP_HANDLER: 0
; COMPUTE_PGM_RSRC2:TGID_X_EN: 1
; COMPUTE_PGM_RSRC2:TGID_Y_EN: 0
; COMPUTE_PGM_RSRC2:TGID_Z_EN: 0
; COMPUTE_PGM_RSRC2:TIDIG_COMP_CNT: 0
; COMPUTE_PGM_RSRC3_GFX90A:ACCUM_OFFSET: 0
; COMPUTE_PGM_RSRC3_GFX90A:TG_SPLIT: 0
	.section	.text._ZN7rocprim17ROCPRIM_400000_NS6detail17trampoline_kernelINS0_14default_configENS1_38merge_sort_block_merge_config_selectorIlNS0_10empty_typeEEEZZNS1_27merge_sort_block_merge_implIS3_PlPS5_mZN2at6native12_GLOBAL__N_124unique_dim_cuda_templateIlEESt5tupleIJNSA_6TensorESF_SF_EERKSF_lbbbEUlllE_EE10hipError_tT0_T1_T2_jT3_P12ihipStream_tbPNSt15iterator_traitsISL_E10value_typeEPNSR_ISM_E10value_typeEPSN_NS1_7vsmem_tEENKUlT_SL_SM_SN_E_clIS8_S8_S9_S9_EESK_S10_SL_SM_SN_EUlS10_E0_NS1_11comp_targetILNS1_3genE8ELNS1_11target_archE1030ELNS1_3gpuE2ELNS1_3repE0EEENS1_38merge_mergepath_config_static_selectorELNS0_4arch9wavefront6targetE1EEEvSM_,"axG",@progbits,_ZN7rocprim17ROCPRIM_400000_NS6detail17trampoline_kernelINS0_14default_configENS1_38merge_sort_block_merge_config_selectorIlNS0_10empty_typeEEEZZNS1_27merge_sort_block_merge_implIS3_PlPS5_mZN2at6native12_GLOBAL__N_124unique_dim_cuda_templateIlEESt5tupleIJNSA_6TensorESF_SF_EERKSF_lbbbEUlllE_EE10hipError_tT0_T1_T2_jT3_P12ihipStream_tbPNSt15iterator_traitsISL_E10value_typeEPNSR_ISM_E10value_typeEPSN_NS1_7vsmem_tEENKUlT_SL_SM_SN_E_clIS8_S8_S9_S9_EESK_S10_SL_SM_SN_EUlS10_E0_NS1_11comp_targetILNS1_3genE8ELNS1_11target_archE1030ELNS1_3gpuE2ELNS1_3repE0EEENS1_38merge_mergepath_config_static_selectorELNS0_4arch9wavefront6targetE1EEEvSM_,comdat
	.globl	_ZN7rocprim17ROCPRIM_400000_NS6detail17trampoline_kernelINS0_14default_configENS1_38merge_sort_block_merge_config_selectorIlNS0_10empty_typeEEEZZNS1_27merge_sort_block_merge_implIS3_PlPS5_mZN2at6native12_GLOBAL__N_124unique_dim_cuda_templateIlEESt5tupleIJNSA_6TensorESF_SF_EERKSF_lbbbEUlllE_EE10hipError_tT0_T1_T2_jT3_P12ihipStream_tbPNSt15iterator_traitsISL_E10value_typeEPNSR_ISM_E10value_typeEPSN_NS1_7vsmem_tEENKUlT_SL_SM_SN_E_clIS8_S8_S9_S9_EESK_S10_SL_SM_SN_EUlS10_E0_NS1_11comp_targetILNS1_3genE8ELNS1_11target_archE1030ELNS1_3gpuE2ELNS1_3repE0EEENS1_38merge_mergepath_config_static_selectorELNS0_4arch9wavefront6targetE1EEEvSM_ ; -- Begin function _ZN7rocprim17ROCPRIM_400000_NS6detail17trampoline_kernelINS0_14default_configENS1_38merge_sort_block_merge_config_selectorIlNS0_10empty_typeEEEZZNS1_27merge_sort_block_merge_implIS3_PlPS5_mZN2at6native12_GLOBAL__N_124unique_dim_cuda_templateIlEESt5tupleIJNSA_6TensorESF_SF_EERKSF_lbbbEUlllE_EE10hipError_tT0_T1_T2_jT3_P12ihipStream_tbPNSt15iterator_traitsISL_E10value_typeEPNSR_ISM_E10value_typeEPSN_NS1_7vsmem_tEENKUlT_SL_SM_SN_E_clIS8_S8_S9_S9_EESK_S10_SL_SM_SN_EUlS10_E0_NS1_11comp_targetILNS1_3genE8ELNS1_11target_archE1030ELNS1_3gpuE2ELNS1_3repE0EEENS1_38merge_mergepath_config_static_selectorELNS0_4arch9wavefront6targetE1EEEvSM_
	.p2align	8
	.type	_ZN7rocprim17ROCPRIM_400000_NS6detail17trampoline_kernelINS0_14default_configENS1_38merge_sort_block_merge_config_selectorIlNS0_10empty_typeEEEZZNS1_27merge_sort_block_merge_implIS3_PlPS5_mZN2at6native12_GLOBAL__N_124unique_dim_cuda_templateIlEESt5tupleIJNSA_6TensorESF_SF_EERKSF_lbbbEUlllE_EE10hipError_tT0_T1_T2_jT3_P12ihipStream_tbPNSt15iterator_traitsISL_E10value_typeEPNSR_ISM_E10value_typeEPSN_NS1_7vsmem_tEENKUlT_SL_SM_SN_E_clIS8_S8_S9_S9_EESK_S10_SL_SM_SN_EUlS10_E0_NS1_11comp_targetILNS1_3genE8ELNS1_11target_archE1030ELNS1_3gpuE2ELNS1_3repE0EEENS1_38merge_mergepath_config_static_selectorELNS0_4arch9wavefront6targetE1EEEvSM_,@function
_ZN7rocprim17ROCPRIM_400000_NS6detail17trampoline_kernelINS0_14default_configENS1_38merge_sort_block_merge_config_selectorIlNS0_10empty_typeEEEZZNS1_27merge_sort_block_merge_implIS3_PlPS5_mZN2at6native12_GLOBAL__N_124unique_dim_cuda_templateIlEESt5tupleIJNSA_6TensorESF_SF_EERKSF_lbbbEUlllE_EE10hipError_tT0_T1_T2_jT3_P12ihipStream_tbPNSt15iterator_traitsISL_E10value_typeEPNSR_ISM_E10value_typeEPSN_NS1_7vsmem_tEENKUlT_SL_SM_SN_E_clIS8_S8_S9_S9_EESK_S10_SL_SM_SN_EUlS10_E0_NS1_11comp_targetILNS1_3genE8ELNS1_11target_archE1030ELNS1_3gpuE2ELNS1_3repE0EEENS1_38merge_mergepath_config_static_selectorELNS0_4arch9wavefront6targetE1EEEvSM_: ; @_ZN7rocprim17ROCPRIM_400000_NS6detail17trampoline_kernelINS0_14default_configENS1_38merge_sort_block_merge_config_selectorIlNS0_10empty_typeEEEZZNS1_27merge_sort_block_merge_implIS3_PlPS5_mZN2at6native12_GLOBAL__N_124unique_dim_cuda_templateIlEESt5tupleIJNSA_6TensorESF_SF_EERKSF_lbbbEUlllE_EE10hipError_tT0_T1_T2_jT3_P12ihipStream_tbPNSt15iterator_traitsISL_E10value_typeEPNSR_ISM_E10value_typeEPSN_NS1_7vsmem_tEENKUlT_SL_SM_SN_E_clIS8_S8_S9_S9_EESK_S10_SL_SM_SN_EUlS10_E0_NS1_11comp_targetILNS1_3genE8ELNS1_11target_archE1030ELNS1_3gpuE2ELNS1_3repE0EEENS1_38merge_mergepath_config_static_selectorELNS0_4arch9wavefront6targetE1EEEvSM_
; %bb.0:
	.section	.rodata,"a",@progbits
	.p2align	6, 0x0
	.amdhsa_kernel _ZN7rocprim17ROCPRIM_400000_NS6detail17trampoline_kernelINS0_14default_configENS1_38merge_sort_block_merge_config_selectorIlNS0_10empty_typeEEEZZNS1_27merge_sort_block_merge_implIS3_PlPS5_mZN2at6native12_GLOBAL__N_124unique_dim_cuda_templateIlEESt5tupleIJNSA_6TensorESF_SF_EERKSF_lbbbEUlllE_EE10hipError_tT0_T1_T2_jT3_P12ihipStream_tbPNSt15iterator_traitsISL_E10value_typeEPNSR_ISM_E10value_typeEPSN_NS1_7vsmem_tEENKUlT_SL_SM_SN_E_clIS8_S8_S9_S9_EESK_S10_SL_SM_SN_EUlS10_E0_NS1_11comp_targetILNS1_3genE8ELNS1_11target_archE1030ELNS1_3gpuE2ELNS1_3repE0EEENS1_38merge_mergepath_config_static_selectorELNS0_4arch9wavefront6targetE1EEEvSM_
		.amdhsa_group_segment_fixed_size 0
		.amdhsa_private_segment_fixed_size 0
		.amdhsa_kernarg_size 88
		.amdhsa_user_sgpr_count 6
		.amdhsa_user_sgpr_private_segment_buffer 1
		.amdhsa_user_sgpr_dispatch_ptr 0
		.amdhsa_user_sgpr_queue_ptr 0
		.amdhsa_user_sgpr_kernarg_segment_ptr 1
		.amdhsa_user_sgpr_dispatch_id 0
		.amdhsa_user_sgpr_flat_scratch_init 0
		.amdhsa_user_sgpr_kernarg_preload_length 0
		.amdhsa_user_sgpr_kernarg_preload_offset 0
		.amdhsa_user_sgpr_private_segment_size 0
		.amdhsa_uses_dynamic_stack 0
		.amdhsa_system_sgpr_private_segment_wavefront_offset 0
		.amdhsa_system_sgpr_workgroup_id_x 1
		.amdhsa_system_sgpr_workgroup_id_y 0
		.amdhsa_system_sgpr_workgroup_id_z 0
		.amdhsa_system_sgpr_workgroup_info 0
		.amdhsa_system_vgpr_workitem_id 0
		.amdhsa_next_free_vgpr 1
		.amdhsa_next_free_sgpr 0
		.amdhsa_accum_offset 4
		.amdhsa_reserve_vcc 0
		.amdhsa_reserve_flat_scratch 0
		.amdhsa_float_round_mode_32 0
		.amdhsa_float_round_mode_16_64 0
		.amdhsa_float_denorm_mode_32 3
		.amdhsa_float_denorm_mode_16_64 3
		.amdhsa_dx10_clamp 1
		.amdhsa_ieee_mode 1
		.amdhsa_fp16_overflow 0
		.amdhsa_tg_split 0
		.amdhsa_exception_fp_ieee_invalid_op 0
		.amdhsa_exception_fp_denorm_src 0
		.amdhsa_exception_fp_ieee_div_zero 0
		.amdhsa_exception_fp_ieee_overflow 0
		.amdhsa_exception_fp_ieee_underflow 0
		.amdhsa_exception_fp_ieee_inexact 0
		.amdhsa_exception_int_div_zero 0
	.end_amdhsa_kernel
	.section	.text._ZN7rocprim17ROCPRIM_400000_NS6detail17trampoline_kernelINS0_14default_configENS1_38merge_sort_block_merge_config_selectorIlNS0_10empty_typeEEEZZNS1_27merge_sort_block_merge_implIS3_PlPS5_mZN2at6native12_GLOBAL__N_124unique_dim_cuda_templateIlEESt5tupleIJNSA_6TensorESF_SF_EERKSF_lbbbEUlllE_EE10hipError_tT0_T1_T2_jT3_P12ihipStream_tbPNSt15iterator_traitsISL_E10value_typeEPNSR_ISM_E10value_typeEPSN_NS1_7vsmem_tEENKUlT_SL_SM_SN_E_clIS8_S8_S9_S9_EESK_S10_SL_SM_SN_EUlS10_E0_NS1_11comp_targetILNS1_3genE8ELNS1_11target_archE1030ELNS1_3gpuE2ELNS1_3repE0EEENS1_38merge_mergepath_config_static_selectorELNS0_4arch9wavefront6targetE1EEEvSM_,"axG",@progbits,_ZN7rocprim17ROCPRIM_400000_NS6detail17trampoline_kernelINS0_14default_configENS1_38merge_sort_block_merge_config_selectorIlNS0_10empty_typeEEEZZNS1_27merge_sort_block_merge_implIS3_PlPS5_mZN2at6native12_GLOBAL__N_124unique_dim_cuda_templateIlEESt5tupleIJNSA_6TensorESF_SF_EERKSF_lbbbEUlllE_EE10hipError_tT0_T1_T2_jT3_P12ihipStream_tbPNSt15iterator_traitsISL_E10value_typeEPNSR_ISM_E10value_typeEPSN_NS1_7vsmem_tEENKUlT_SL_SM_SN_E_clIS8_S8_S9_S9_EESK_S10_SL_SM_SN_EUlS10_E0_NS1_11comp_targetILNS1_3genE8ELNS1_11target_archE1030ELNS1_3gpuE2ELNS1_3repE0EEENS1_38merge_mergepath_config_static_selectorELNS0_4arch9wavefront6targetE1EEEvSM_,comdat
.Lfunc_end529:
	.size	_ZN7rocprim17ROCPRIM_400000_NS6detail17trampoline_kernelINS0_14default_configENS1_38merge_sort_block_merge_config_selectorIlNS0_10empty_typeEEEZZNS1_27merge_sort_block_merge_implIS3_PlPS5_mZN2at6native12_GLOBAL__N_124unique_dim_cuda_templateIlEESt5tupleIJNSA_6TensorESF_SF_EERKSF_lbbbEUlllE_EE10hipError_tT0_T1_T2_jT3_P12ihipStream_tbPNSt15iterator_traitsISL_E10value_typeEPNSR_ISM_E10value_typeEPSN_NS1_7vsmem_tEENKUlT_SL_SM_SN_E_clIS8_S8_S9_S9_EESK_S10_SL_SM_SN_EUlS10_E0_NS1_11comp_targetILNS1_3genE8ELNS1_11target_archE1030ELNS1_3gpuE2ELNS1_3repE0EEENS1_38merge_mergepath_config_static_selectorELNS0_4arch9wavefront6targetE1EEEvSM_, .Lfunc_end529-_ZN7rocprim17ROCPRIM_400000_NS6detail17trampoline_kernelINS0_14default_configENS1_38merge_sort_block_merge_config_selectorIlNS0_10empty_typeEEEZZNS1_27merge_sort_block_merge_implIS3_PlPS5_mZN2at6native12_GLOBAL__N_124unique_dim_cuda_templateIlEESt5tupleIJNSA_6TensorESF_SF_EERKSF_lbbbEUlllE_EE10hipError_tT0_T1_T2_jT3_P12ihipStream_tbPNSt15iterator_traitsISL_E10value_typeEPNSR_ISM_E10value_typeEPSN_NS1_7vsmem_tEENKUlT_SL_SM_SN_E_clIS8_S8_S9_S9_EESK_S10_SL_SM_SN_EUlS10_E0_NS1_11comp_targetILNS1_3genE8ELNS1_11target_archE1030ELNS1_3gpuE2ELNS1_3repE0EEENS1_38merge_mergepath_config_static_selectorELNS0_4arch9wavefront6targetE1EEEvSM_
                                        ; -- End function
	.section	.AMDGPU.csdata,"",@progbits
; Kernel info:
; codeLenInByte = 0
; NumSgprs: 4
; NumVgprs: 0
; NumAgprs: 0
; TotalNumVgprs: 0
; ScratchSize: 0
; MemoryBound: 0
; FloatMode: 240
; IeeeMode: 1
; LDSByteSize: 0 bytes/workgroup (compile time only)
; SGPRBlocks: 0
; VGPRBlocks: 0
; NumSGPRsForWavesPerEU: 4
; NumVGPRsForWavesPerEU: 1
; AccumOffset: 4
; Occupancy: 8
; WaveLimiterHint : 0
; COMPUTE_PGM_RSRC2:SCRATCH_EN: 0
; COMPUTE_PGM_RSRC2:USER_SGPR: 6
; COMPUTE_PGM_RSRC2:TRAP_HANDLER: 0
; COMPUTE_PGM_RSRC2:TGID_X_EN: 1
; COMPUTE_PGM_RSRC2:TGID_Y_EN: 0
; COMPUTE_PGM_RSRC2:TGID_Z_EN: 0
; COMPUTE_PGM_RSRC2:TIDIG_COMP_CNT: 0
; COMPUTE_PGM_RSRC3_GFX90A:ACCUM_OFFSET: 0
; COMPUTE_PGM_RSRC3_GFX90A:TG_SPLIT: 0
	.section	.text._ZN7rocprim17ROCPRIM_400000_NS6detail17trampoline_kernelINS0_14default_configENS1_38merge_sort_block_merge_config_selectorIlNS0_10empty_typeEEEZZNS1_27merge_sort_block_merge_implIS3_PlPS5_mZN2at6native12_GLOBAL__N_124unique_dim_cuda_templateIlEESt5tupleIJNSA_6TensorESF_SF_EERKSF_lbbbEUlllE_EE10hipError_tT0_T1_T2_jT3_P12ihipStream_tbPNSt15iterator_traitsISL_E10value_typeEPNSR_ISM_E10value_typeEPSN_NS1_7vsmem_tEENKUlT_SL_SM_SN_E_clIS8_S8_S9_S9_EESK_S10_SL_SM_SN_EUlS10_E1_NS1_11comp_targetILNS1_3genE0ELNS1_11target_archE4294967295ELNS1_3gpuE0ELNS1_3repE0EEENS1_36merge_oddeven_config_static_selectorELNS0_4arch9wavefront6targetE1EEEvSM_,"axG",@progbits,_ZN7rocprim17ROCPRIM_400000_NS6detail17trampoline_kernelINS0_14default_configENS1_38merge_sort_block_merge_config_selectorIlNS0_10empty_typeEEEZZNS1_27merge_sort_block_merge_implIS3_PlPS5_mZN2at6native12_GLOBAL__N_124unique_dim_cuda_templateIlEESt5tupleIJNSA_6TensorESF_SF_EERKSF_lbbbEUlllE_EE10hipError_tT0_T1_T2_jT3_P12ihipStream_tbPNSt15iterator_traitsISL_E10value_typeEPNSR_ISM_E10value_typeEPSN_NS1_7vsmem_tEENKUlT_SL_SM_SN_E_clIS8_S8_S9_S9_EESK_S10_SL_SM_SN_EUlS10_E1_NS1_11comp_targetILNS1_3genE0ELNS1_11target_archE4294967295ELNS1_3gpuE0ELNS1_3repE0EEENS1_36merge_oddeven_config_static_selectorELNS0_4arch9wavefront6targetE1EEEvSM_,comdat
	.globl	_ZN7rocprim17ROCPRIM_400000_NS6detail17trampoline_kernelINS0_14default_configENS1_38merge_sort_block_merge_config_selectorIlNS0_10empty_typeEEEZZNS1_27merge_sort_block_merge_implIS3_PlPS5_mZN2at6native12_GLOBAL__N_124unique_dim_cuda_templateIlEESt5tupleIJNSA_6TensorESF_SF_EERKSF_lbbbEUlllE_EE10hipError_tT0_T1_T2_jT3_P12ihipStream_tbPNSt15iterator_traitsISL_E10value_typeEPNSR_ISM_E10value_typeEPSN_NS1_7vsmem_tEENKUlT_SL_SM_SN_E_clIS8_S8_S9_S9_EESK_S10_SL_SM_SN_EUlS10_E1_NS1_11comp_targetILNS1_3genE0ELNS1_11target_archE4294967295ELNS1_3gpuE0ELNS1_3repE0EEENS1_36merge_oddeven_config_static_selectorELNS0_4arch9wavefront6targetE1EEEvSM_ ; -- Begin function _ZN7rocprim17ROCPRIM_400000_NS6detail17trampoline_kernelINS0_14default_configENS1_38merge_sort_block_merge_config_selectorIlNS0_10empty_typeEEEZZNS1_27merge_sort_block_merge_implIS3_PlPS5_mZN2at6native12_GLOBAL__N_124unique_dim_cuda_templateIlEESt5tupleIJNSA_6TensorESF_SF_EERKSF_lbbbEUlllE_EE10hipError_tT0_T1_T2_jT3_P12ihipStream_tbPNSt15iterator_traitsISL_E10value_typeEPNSR_ISM_E10value_typeEPSN_NS1_7vsmem_tEENKUlT_SL_SM_SN_E_clIS8_S8_S9_S9_EESK_S10_SL_SM_SN_EUlS10_E1_NS1_11comp_targetILNS1_3genE0ELNS1_11target_archE4294967295ELNS1_3gpuE0ELNS1_3repE0EEENS1_36merge_oddeven_config_static_selectorELNS0_4arch9wavefront6targetE1EEEvSM_
	.p2align	8
	.type	_ZN7rocprim17ROCPRIM_400000_NS6detail17trampoline_kernelINS0_14default_configENS1_38merge_sort_block_merge_config_selectorIlNS0_10empty_typeEEEZZNS1_27merge_sort_block_merge_implIS3_PlPS5_mZN2at6native12_GLOBAL__N_124unique_dim_cuda_templateIlEESt5tupleIJNSA_6TensorESF_SF_EERKSF_lbbbEUlllE_EE10hipError_tT0_T1_T2_jT3_P12ihipStream_tbPNSt15iterator_traitsISL_E10value_typeEPNSR_ISM_E10value_typeEPSN_NS1_7vsmem_tEENKUlT_SL_SM_SN_E_clIS8_S8_S9_S9_EESK_S10_SL_SM_SN_EUlS10_E1_NS1_11comp_targetILNS1_3genE0ELNS1_11target_archE4294967295ELNS1_3gpuE0ELNS1_3repE0EEENS1_36merge_oddeven_config_static_selectorELNS0_4arch9wavefront6targetE1EEEvSM_,@function
_ZN7rocprim17ROCPRIM_400000_NS6detail17trampoline_kernelINS0_14default_configENS1_38merge_sort_block_merge_config_selectorIlNS0_10empty_typeEEEZZNS1_27merge_sort_block_merge_implIS3_PlPS5_mZN2at6native12_GLOBAL__N_124unique_dim_cuda_templateIlEESt5tupleIJNSA_6TensorESF_SF_EERKSF_lbbbEUlllE_EE10hipError_tT0_T1_T2_jT3_P12ihipStream_tbPNSt15iterator_traitsISL_E10value_typeEPNSR_ISM_E10value_typeEPSN_NS1_7vsmem_tEENKUlT_SL_SM_SN_E_clIS8_S8_S9_S9_EESK_S10_SL_SM_SN_EUlS10_E1_NS1_11comp_targetILNS1_3genE0ELNS1_11target_archE4294967295ELNS1_3gpuE0ELNS1_3repE0EEENS1_36merge_oddeven_config_static_selectorELNS0_4arch9wavefront6targetE1EEEvSM_: ; @_ZN7rocprim17ROCPRIM_400000_NS6detail17trampoline_kernelINS0_14default_configENS1_38merge_sort_block_merge_config_selectorIlNS0_10empty_typeEEEZZNS1_27merge_sort_block_merge_implIS3_PlPS5_mZN2at6native12_GLOBAL__N_124unique_dim_cuda_templateIlEESt5tupleIJNSA_6TensorESF_SF_EERKSF_lbbbEUlllE_EE10hipError_tT0_T1_T2_jT3_P12ihipStream_tbPNSt15iterator_traitsISL_E10value_typeEPNSR_ISM_E10value_typeEPSN_NS1_7vsmem_tEENKUlT_SL_SM_SN_E_clIS8_S8_S9_S9_EESK_S10_SL_SM_SN_EUlS10_E1_NS1_11comp_targetILNS1_3genE0ELNS1_11target_archE4294967295ELNS1_3gpuE0ELNS1_3repE0EEENS1_36merge_oddeven_config_static_selectorELNS0_4arch9wavefront6targetE1EEEvSM_
; %bb.0:
	.section	.rodata,"a",@progbits
	.p2align	6, 0x0
	.amdhsa_kernel _ZN7rocprim17ROCPRIM_400000_NS6detail17trampoline_kernelINS0_14default_configENS1_38merge_sort_block_merge_config_selectorIlNS0_10empty_typeEEEZZNS1_27merge_sort_block_merge_implIS3_PlPS5_mZN2at6native12_GLOBAL__N_124unique_dim_cuda_templateIlEESt5tupleIJNSA_6TensorESF_SF_EERKSF_lbbbEUlllE_EE10hipError_tT0_T1_T2_jT3_P12ihipStream_tbPNSt15iterator_traitsISL_E10value_typeEPNSR_ISM_E10value_typeEPSN_NS1_7vsmem_tEENKUlT_SL_SM_SN_E_clIS8_S8_S9_S9_EESK_S10_SL_SM_SN_EUlS10_E1_NS1_11comp_targetILNS1_3genE0ELNS1_11target_archE4294967295ELNS1_3gpuE0ELNS1_3repE0EEENS1_36merge_oddeven_config_static_selectorELNS0_4arch9wavefront6targetE1EEEvSM_
		.amdhsa_group_segment_fixed_size 0
		.amdhsa_private_segment_fixed_size 0
		.amdhsa_kernarg_size 64
		.amdhsa_user_sgpr_count 6
		.amdhsa_user_sgpr_private_segment_buffer 1
		.amdhsa_user_sgpr_dispatch_ptr 0
		.amdhsa_user_sgpr_queue_ptr 0
		.amdhsa_user_sgpr_kernarg_segment_ptr 1
		.amdhsa_user_sgpr_dispatch_id 0
		.amdhsa_user_sgpr_flat_scratch_init 0
		.amdhsa_user_sgpr_kernarg_preload_length 0
		.amdhsa_user_sgpr_kernarg_preload_offset 0
		.amdhsa_user_sgpr_private_segment_size 0
		.amdhsa_uses_dynamic_stack 0
		.amdhsa_system_sgpr_private_segment_wavefront_offset 0
		.amdhsa_system_sgpr_workgroup_id_x 1
		.amdhsa_system_sgpr_workgroup_id_y 0
		.amdhsa_system_sgpr_workgroup_id_z 0
		.amdhsa_system_sgpr_workgroup_info 0
		.amdhsa_system_vgpr_workitem_id 0
		.amdhsa_next_free_vgpr 1
		.amdhsa_next_free_sgpr 0
		.amdhsa_accum_offset 4
		.amdhsa_reserve_vcc 0
		.amdhsa_reserve_flat_scratch 0
		.amdhsa_float_round_mode_32 0
		.amdhsa_float_round_mode_16_64 0
		.amdhsa_float_denorm_mode_32 3
		.amdhsa_float_denorm_mode_16_64 3
		.amdhsa_dx10_clamp 1
		.amdhsa_ieee_mode 1
		.amdhsa_fp16_overflow 0
		.amdhsa_tg_split 0
		.amdhsa_exception_fp_ieee_invalid_op 0
		.amdhsa_exception_fp_denorm_src 0
		.amdhsa_exception_fp_ieee_div_zero 0
		.amdhsa_exception_fp_ieee_overflow 0
		.amdhsa_exception_fp_ieee_underflow 0
		.amdhsa_exception_fp_ieee_inexact 0
		.amdhsa_exception_int_div_zero 0
	.end_amdhsa_kernel
	.section	.text._ZN7rocprim17ROCPRIM_400000_NS6detail17trampoline_kernelINS0_14default_configENS1_38merge_sort_block_merge_config_selectorIlNS0_10empty_typeEEEZZNS1_27merge_sort_block_merge_implIS3_PlPS5_mZN2at6native12_GLOBAL__N_124unique_dim_cuda_templateIlEESt5tupleIJNSA_6TensorESF_SF_EERKSF_lbbbEUlllE_EE10hipError_tT0_T1_T2_jT3_P12ihipStream_tbPNSt15iterator_traitsISL_E10value_typeEPNSR_ISM_E10value_typeEPSN_NS1_7vsmem_tEENKUlT_SL_SM_SN_E_clIS8_S8_S9_S9_EESK_S10_SL_SM_SN_EUlS10_E1_NS1_11comp_targetILNS1_3genE0ELNS1_11target_archE4294967295ELNS1_3gpuE0ELNS1_3repE0EEENS1_36merge_oddeven_config_static_selectorELNS0_4arch9wavefront6targetE1EEEvSM_,"axG",@progbits,_ZN7rocprim17ROCPRIM_400000_NS6detail17trampoline_kernelINS0_14default_configENS1_38merge_sort_block_merge_config_selectorIlNS0_10empty_typeEEEZZNS1_27merge_sort_block_merge_implIS3_PlPS5_mZN2at6native12_GLOBAL__N_124unique_dim_cuda_templateIlEESt5tupleIJNSA_6TensorESF_SF_EERKSF_lbbbEUlllE_EE10hipError_tT0_T1_T2_jT3_P12ihipStream_tbPNSt15iterator_traitsISL_E10value_typeEPNSR_ISM_E10value_typeEPSN_NS1_7vsmem_tEENKUlT_SL_SM_SN_E_clIS8_S8_S9_S9_EESK_S10_SL_SM_SN_EUlS10_E1_NS1_11comp_targetILNS1_3genE0ELNS1_11target_archE4294967295ELNS1_3gpuE0ELNS1_3repE0EEENS1_36merge_oddeven_config_static_selectorELNS0_4arch9wavefront6targetE1EEEvSM_,comdat
.Lfunc_end530:
	.size	_ZN7rocprim17ROCPRIM_400000_NS6detail17trampoline_kernelINS0_14default_configENS1_38merge_sort_block_merge_config_selectorIlNS0_10empty_typeEEEZZNS1_27merge_sort_block_merge_implIS3_PlPS5_mZN2at6native12_GLOBAL__N_124unique_dim_cuda_templateIlEESt5tupleIJNSA_6TensorESF_SF_EERKSF_lbbbEUlllE_EE10hipError_tT0_T1_T2_jT3_P12ihipStream_tbPNSt15iterator_traitsISL_E10value_typeEPNSR_ISM_E10value_typeEPSN_NS1_7vsmem_tEENKUlT_SL_SM_SN_E_clIS8_S8_S9_S9_EESK_S10_SL_SM_SN_EUlS10_E1_NS1_11comp_targetILNS1_3genE0ELNS1_11target_archE4294967295ELNS1_3gpuE0ELNS1_3repE0EEENS1_36merge_oddeven_config_static_selectorELNS0_4arch9wavefront6targetE1EEEvSM_, .Lfunc_end530-_ZN7rocprim17ROCPRIM_400000_NS6detail17trampoline_kernelINS0_14default_configENS1_38merge_sort_block_merge_config_selectorIlNS0_10empty_typeEEEZZNS1_27merge_sort_block_merge_implIS3_PlPS5_mZN2at6native12_GLOBAL__N_124unique_dim_cuda_templateIlEESt5tupleIJNSA_6TensorESF_SF_EERKSF_lbbbEUlllE_EE10hipError_tT0_T1_T2_jT3_P12ihipStream_tbPNSt15iterator_traitsISL_E10value_typeEPNSR_ISM_E10value_typeEPSN_NS1_7vsmem_tEENKUlT_SL_SM_SN_E_clIS8_S8_S9_S9_EESK_S10_SL_SM_SN_EUlS10_E1_NS1_11comp_targetILNS1_3genE0ELNS1_11target_archE4294967295ELNS1_3gpuE0ELNS1_3repE0EEENS1_36merge_oddeven_config_static_selectorELNS0_4arch9wavefront6targetE1EEEvSM_
                                        ; -- End function
	.section	.AMDGPU.csdata,"",@progbits
; Kernel info:
; codeLenInByte = 0
; NumSgprs: 4
; NumVgprs: 0
; NumAgprs: 0
; TotalNumVgprs: 0
; ScratchSize: 0
; MemoryBound: 0
; FloatMode: 240
; IeeeMode: 1
; LDSByteSize: 0 bytes/workgroup (compile time only)
; SGPRBlocks: 0
; VGPRBlocks: 0
; NumSGPRsForWavesPerEU: 4
; NumVGPRsForWavesPerEU: 1
; AccumOffset: 4
; Occupancy: 8
; WaveLimiterHint : 0
; COMPUTE_PGM_RSRC2:SCRATCH_EN: 0
; COMPUTE_PGM_RSRC2:USER_SGPR: 6
; COMPUTE_PGM_RSRC2:TRAP_HANDLER: 0
; COMPUTE_PGM_RSRC2:TGID_X_EN: 1
; COMPUTE_PGM_RSRC2:TGID_Y_EN: 0
; COMPUTE_PGM_RSRC2:TGID_Z_EN: 0
; COMPUTE_PGM_RSRC2:TIDIG_COMP_CNT: 0
; COMPUTE_PGM_RSRC3_GFX90A:ACCUM_OFFSET: 0
; COMPUTE_PGM_RSRC3_GFX90A:TG_SPLIT: 0
	.section	.text._ZN7rocprim17ROCPRIM_400000_NS6detail17trampoline_kernelINS0_14default_configENS1_38merge_sort_block_merge_config_selectorIlNS0_10empty_typeEEEZZNS1_27merge_sort_block_merge_implIS3_PlPS5_mZN2at6native12_GLOBAL__N_124unique_dim_cuda_templateIlEESt5tupleIJNSA_6TensorESF_SF_EERKSF_lbbbEUlllE_EE10hipError_tT0_T1_T2_jT3_P12ihipStream_tbPNSt15iterator_traitsISL_E10value_typeEPNSR_ISM_E10value_typeEPSN_NS1_7vsmem_tEENKUlT_SL_SM_SN_E_clIS8_S8_S9_S9_EESK_S10_SL_SM_SN_EUlS10_E1_NS1_11comp_targetILNS1_3genE10ELNS1_11target_archE1201ELNS1_3gpuE5ELNS1_3repE0EEENS1_36merge_oddeven_config_static_selectorELNS0_4arch9wavefront6targetE1EEEvSM_,"axG",@progbits,_ZN7rocprim17ROCPRIM_400000_NS6detail17trampoline_kernelINS0_14default_configENS1_38merge_sort_block_merge_config_selectorIlNS0_10empty_typeEEEZZNS1_27merge_sort_block_merge_implIS3_PlPS5_mZN2at6native12_GLOBAL__N_124unique_dim_cuda_templateIlEESt5tupleIJNSA_6TensorESF_SF_EERKSF_lbbbEUlllE_EE10hipError_tT0_T1_T2_jT3_P12ihipStream_tbPNSt15iterator_traitsISL_E10value_typeEPNSR_ISM_E10value_typeEPSN_NS1_7vsmem_tEENKUlT_SL_SM_SN_E_clIS8_S8_S9_S9_EESK_S10_SL_SM_SN_EUlS10_E1_NS1_11comp_targetILNS1_3genE10ELNS1_11target_archE1201ELNS1_3gpuE5ELNS1_3repE0EEENS1_36merge_oddeven_config_static_selectorELNS0_4arch9wavefront6targetE1EEEvSM_,comdat
	.globl	_ZN7rocprim17ROCPRIM_400000_NS6detail17trampoline_kernelINS0_14default_configENS1_38merge_sort_block_merge_config_selectorIlNS0_10empty_typeEEEZZNS1_27merge_sort_block_merge_implIS3_PlPS5_mZN2at6native12_GLOBAL__N_124unique_dim_cuda_templateIlEESt5tupleIJNSA_6TensorESF_SF_EERKSF_lbbbEUlllE_EE10hipError_tT0_T1_T2_jT3_P12ihipStream_tbPNSt15iterator_traitsISL_E10value_typeEPNSR_ISM_E10value_typeEPSN_NS1_7vsmem_tEENKUlT_SL_SM_SN_E_clIS8_S8_S9_S9_EESK_S10_SL_SM_SN_EUlS10_E1_NS1_11comp_targetILNS1_3genE10ELNS1_11target_archE1201ELNS1_3gpuE5ELNS1_3repE0EEENS1_36merge_oddeven_config_static_selectorELNS0_4arch9wavefront6targetE1EEEvSM_ ; -- Begin function _ZN7rocprim17ROCPRIM_400000_NS6detail17trampoline_kernelINS0_14default_configENS1_38merge_sort_block_merge_config_selectorIlNS0_10empty_typeEEEZZNS1_27merge_sort_block_merge_implIS3_PlPS5_mZN2at6native12_GLOBAL__N_124unique_dim_cuda_templateIlEESt5tupleIJNSA_6TensorESF_SF_EERKSF_lbbbEUlllE_EE10hipError_tT0_T1_T2_jT3_P12ihipStream_tbPNSt15iterator_traitsISL_E10value_typeEPNSR_ISM_E10value_typeEPSN_NS1_7vsmem_tEENKUlT_SL_SM_SN_E_clIS8_S8_S9_S9_EESK_S10_SL_SM_SN_EUlS10_E1_NS1_11comp_targetILNS1_3genE10ELNS1_11target_archE1201ELNS1_3gpuE5ELNS1_3repE0EEENS1_36merge_oddeven_config_static_selectorELNS0_4arch9wavefront6targetE1EEEvSM_
	.p2align	8
	.type	_ZN7rocprim17ROCPRIM_400000_NS6detail17trampoline_kernelINS0_14default_configENS1_38merge_sort_block_merge_config_selectorIlNS0_10empty_typeEEEZZNS1_27merge_sort_block_merge_implIS3_PlPS5_mZN2at6native12_GLOBAL__N_124unique_dim_cuda_templateIlEESt5tupleIJNSA_6TensorESF_SF_EERKSF_lbbbEUlllE_EE10hipError_tT0_T1_T2_jT3_P12ihipStream_tbPNSt15iterator_traitsISL_E10value_typeEPNSR_ISM_E10value_typeEPSN_NS1_7vsmem_tEENKUlT_SL_SM_SN_E_clIS8_S8_S9_S9_EESK_S10_SL_SM_SN_EUlS10_E1_NS1_11comp_targetILNS1_3genE10ELNS1_11target_archE1201ELNS1_3gpuE5ELNS1_3repE0EEENS1_36merge_oddeven_config_static_selectorELNS0_4arch9wavefront6targetE1EEEvSM_,@function
_ZN7rocprim17ROCPRIM_400000_NS6detail17trampoline_kernelINS0_14default_configENS1_38merge_sort_block_merge_config_selectorIlNS0_10empty_typeEEEZZNS1_27merge_sort_block_merge_implIS3_PlPS5_mZN2at6native12_GLOBAL__N_124unique_dim_cuda_templateIlEESt5tupleIJNSA_6TensorESF_SF_EERKSF_lbbbEUlllE_EE10hipError_tT0_T1_T2_jT3_P12ihipStream_tbPNSt15iterator_traitsISL_E10value_typeEPNSR_ISM_E10value_typeEPSN_NS1_7vsmem_tEENKUlT_SL_SM_SN_E_clIS8_S8_S9_S9_EESK_S10_SL_SM_SN_EUlS10_E1_NS1_11comp_targetILNS1_3genE10ELNS1_11target_archE1201ELNS1_3gpuE5ELNS1_3repE0EEENS1_36merge_oddeven_config_static_selectorELNS0_4arch9wavefront6targetE1EEEvSM_: ; @_ZN7rocprim17ROCPRIM_400000_NS6detail17trampoline_kernelINS0_14default_configENS1_38merge_sort_block_merge_config_selectorIlNS0_10empty_typeEEEZZNS1_27merge_sort_block_merge_implIS3_PlPS5_mZN2at6native12_GLOBAL__N_124unique_dim_cuda_templateIlEESt5tupleIJNSA_6TensorESF_SF_EERKSF_lbbbEUlllE_EE10hipError_tT0_T1_T2_jT3_P12ihipStream_tbPNSt15iterator_traitsISL_E10value_typeEPNSR_ISM_E10value_typeEPSN_NS1_7vsmem_tEENKUlT_SL_SM_SN_E_clIS8_S8_S9_S9_EESK_S10_SL_SM_SN_EUlS10_E1_NS1_11comp_targetILNS1_3genE10ELNS1_11target_archE1201ELNS1_3gpuE5ELNS1_3repE0EEENS1_36merge_oddeven_config_static_selectorELNS0_4arch9wavefront6targetE1EEEvSM_
; %bb.0:
	.section	.rodata,"a",@progbits
	.p2align	6, 0x0
	.amdhsa_kernel _ZN7rocprim17ROCPRIM_400000_NS6detail17trampoline_kernelINS0_14default_configENS1_38merge_sort_block_merge_config_selectorIlNS0_10empty_typeEEEZZNS1_27merge_sort_block_merge_implIS3_PlPS5_mZN2at6native12_GLOBAL__N_124unique_dim_cuda_templateIlEESt5tupleIJNSA_6TensorESF_SF_EERKSF_lbbbEUlllE_EE10hipError_tT0_T1_T2_jT3_P12ihipStream_tbPNSt15iterator_traitsISL_E10value_typeEPNSR_ISM_E10value_typeEPSN_NS1_7vsmem_tEENKUlT_SL_SM_SN_E_clIS8_S8_S9_S9_EESK_S10_SL_SM_SN_EUlS10_E1_NS1_11comp_targetILNS1_3genE10ELNS1_11target_archE1201ELNS1_3gpuE5ELNS1_3repE0EEENS1_36merge_oddeven_config_static_selectorELNS0_4arch9wavefront6targetE1EEEvSM_
		.amdhsa_group_segment_fixed_size 0
		.amdhsa_private_segment_fixed_size 0
		.amdhsa_kernarg_size 64
		.amdhsa_user_sgpr_count 6
		.amdhsa_user_sgpr_private_segment_buffer 1
		.amdhsa_user_sgpr_dispatch_ptr 0
		.amdhsa_user_sgpr_queue_ptr 0
		.amdhsa_user_sgpr_kernarg_segment_ptr 1
		.amdhsa_user_sgpr_dispatch_id 0
		.amdhsa_user_sgpr_flat_scratch_init 0
		.amdhsa_user_sgpr_kernarg_preload_length 0
		.amdhsa_user_sgpr_kernarg_preload_offset 0
		.amdhsa_user_sgpr_private_segment_size 0
		.amdhsa_uses_dynamic_stack 0
		.amdhsa_system_sgpr_private_segment_wavefront_offset 0
		.amdhsa_system_sgpr_workgroup_id_x 1
		.amdhsa_system_sgpr_workgroup_id_y 0
		.amdhsa_system_sgpr_workgroup_id_z 0
		.amdhsa_system_sgpr_workgroup_info 0
		.amdhsa_system_vgpr_workitem_id 0
		.amdhsa_next_free_vgpr 1
		.amdhsa_next_free_sgpr 0
		.amdhsa_accum_offset 4
		.amdhsa_reserve_vcc 0
		.amdhsa_reserve_flat_scratch 0
		.amdhsa_float_round_mode_32 0
		.amdhsa_float_round_mode_16_64 0
		.amdhsa_float_denorm_mode_32 3
		.amdhsa_float_denorm_mode_16_64 3
		.amdhsa_dx10_clamp 1
		.amdhsa_ieee_mode 1
		.amdhsa_fp16_overflow 0
		.amdhsa_tg_split 0
		.amdhsa_exception_fp_ieee_invalid_op 0
		.amdhsa_exception_fp_denorm_src 0
		.amdhsa_exception_fp_ieee_div_zero 0
		.amdhsa_exception_fp_ieee_overflow 0
		.amdhsa_exception_fp_ieee_underflow 0
		.amdhsa_exception_fp_ieee_inexact 0
		.amdhsa_exception_int_div_zero 0
	.end_amdhsa_kernel
	.section	.text._ZN7rocprim17ROCPRIM_400000_NS6detail17trampoline_kernelINS0_14default_configENS1_38merge_sort_block_merge_config_selectorIlNS0_10empty_typeEEEZZNS1_27merge_sort_block_merge_implIS3_PlPS5_mZN2at6native12_GLOBAL__N_124unique_dim_cuda_templateIlEESt5tupleIJNSA_6TensorESF_SF_EERKSF_lbbbEUlllE_EE10hipError_tT0_T1_T2_jT3_P12ihipStream_tbPNSt15iterator_traitsISL_E10value_typeEPNSR_ISM_E10value_typeEPSN_NS1_7vsmem_tEENKUlT_SL_SM_SN_E_clIS8_S8_S9_S9_EESK_S10_SL_SM_SN_EUlS10_E1_NS1_11comp_targetILNS1_3genE10ELNS1_11target_archE1201ELNS1_3gpuE5ELNS1_3repE0EEENS1_36merge_oddeven_config_static_selectorELNS0_4arch9wavefront6targetE1EEEvSM_,"axG",@progbits,_ZN7rocprim17ROCPRIM_400000_NS6detail17trampoline_kernelINS0_14default_configENS1_38merge_sort_block_merge_config_selectorIlNS0_10empty_typeEEEZZNS1_27merge_sort_block_merge_implIS3_PlPS5_mZN2at6native12_GLOBAL__N_124unique_dim_cuda_templateIlEESt5tupleIJNSA_6TensorESF_SF_EERKSF_lbbbEUlllE_EE10hipError_tT0_T1_T2_jT3_P12ihipStream_tbPNSt15iterator_traitsISL_E10value_typeEPNSR_ISM_E10value_typeEPSN_NS1_7vsmem_tEENKUlT_SL_SM_SN_E_clIS8_S8_S9_S9_EESK_S10_SL_SM_SN_EUlS10_E1_NS1_11comp_targetILNS1_3genE10ELNS1_11target_archE1201ELNS1_3gpuE5ELNS1_3repE0EEENS1_36merge_oddeven_config_static_selectorELNS0_4arch9wavefront6targetE1EEEvSM_,comdat
.Lfunc_end531:
	.size	_ZN7rocprim17ROCPRIM_400000_NS6detail17trampoline_kernelINS0_14default_configENS1_38merge_sort_block_merge_config_selectorIlNS0_10empty_typeEEEZZNS1_27merge_sort_block_merge_implIS3_PlPS5_mZN2at6native12_GLOBAL__N_124unique_dim_cuda_templateIlEESt5tupleIJNSA_6TensorESF_SF_EERKSF_lbbbEUlllE_EE10hipError_tT0_T1_T2_jT3_P12ihipStream_tbPNSt15iterator_traitsISL_E10value_typeEPNSR_ISM_E10value_typeEPSN_NS1_7vsmem_tEENKUlT_SL_SM_SN_E_clIS8_S8_S9_S9_EESK_S10_SL_SM_SN_EUlS10_E1_NS1_11comp_targetILNS1_3genE10ELNS1_11target_archE1201ELNS1_3gpuE5ELNS1_3repE0EEENS1_36merge_oddeven_config_static_selectorELNS0_4arch9wavefront6targetE1EEEvSM_, .Lfunc_end531-_ZN7rocprim17ROCPRIM_400000_NS6detail17trampoline_kernelINS0_14default_configENS1_38merge_sort_block_merge_config_selectorIlNS0_10empty_typeEEEZZNS1_27merge_sort_block_merge_implIS3_PlPS5_mZN2at6native12_GLOBAL__N_124unique_dim_cuda_templateIlEESt5tupleIJNSA_6TensorESF_SF_EERKSF_lbbbEUlllE_EE10hipError_tT0_T1_T2_jT3_P12ihipStream_tbPNSt15iterator_traitsISL_E10value_typeEPNSR_ISM_E10value_typeEPSN_NS1_7vsmem_tEENKUlT_SL_SM_SN_E_clIS8_S8_S9_S9_EESK_S10_SL_SM_SN_EUlS10_E1_NS1_11comp_targetILNS1_3genE10ELNS1_11target_archE1201ELNS1_3gpuE5ELNS1_3repE0EEENS1_36merge_oddeven_config_static_selectorELNS0_4arch9wavefront6targetE1EEEvSM_
                                        ; -- End function
	.section	.AMDGPU.csdata,"",@progbits
; Kernel info:
; codeLenInByte = 0
; NumSgprs: 4
; NumVgprs: 0
; NumAgprs: 0
; TotalNumVgprs: 0
; ScratchSize: 0
; MemoryBound: 0
; FloatMode: 240
; IeeeMode: 1
; LDSByteSize: 0 bytes/workgroup (compile time only)
; SGPRBlocks: 0
; VGPRBlocks: 0
; NumSGPRsForWavesPerEU: 4
; NumVGPRsForWavesPerEU: 1
; AccumOffset: 4
; Occupancy: 8
; WaveLimiterHint : 0
; COMPUTE_PGM_RSRC2:SCRATCH_EN: 0
; COMPUTE_PGM_RSRC2:USER_SGPR: 6
; COMPUTE_PGM_RSRC2:TRAP_HANDLER: 0
; COMPUTE_PGM_RSRC2:TGID_X_EN: 1
; COMPUTE_PGM_RSRC2:TGID_Y_EN: 0
; COMPUTE_PGM_RSRC2:TGID_Z_EN: 0
; COMPUTE_PGM_RSRC2:TIDIG_COMP_CNT: 0
; COMPUTE_PGM_RSRC3_GFX90A:ACCUM_OFFSET: 0
; COMPUTE_PGM_RSRC3_GFX90A:TG_SPLIT: 0
	.section	.text._ZN7rocprim17ROCPRIM_400000_NS6detail17trampoline_kernelINS0_14default_configENS1_38merge_sort_block_merge_config_selectorIlNS0_10empty_typeEEEZZNS1_27merge_sort_block_merge_implIS3_PlPS5_mZN2at6native12_GLOBAL__N_124unique_dim_cuda_templateIlEESt5tupleIJNSA_6TensorESF_SF_EERKSF_lbbbEUlllE_EE10hipError_tT0_T1_T2_jT3_P12ihipStream_tbPNSt15iterator_traitsISL_E10value_typeEPNSR_ISM_E10value_typeEPSN_NS1_7vsmem_tEENKUlT_SL_SM_SN_E_clIS8_S8_S9_S9_EESK_S10_SL_SM_SN_EUlS10_E1_NS1_11comp_targetILNS1_3genE5ELNS1_11target_archE942ELNS1_3gpuE9ELNS1_3repE0EEENS1_36merge_oddeven_config_static_selectorELNS0_4arch9wavefront6targetE1EEEvSM_,"axG",@progbits,_ZN7rocprim17ROCPRIM_400000_NS6detail17trampoline_kernelINS0_14default_configENS1_38merge_sort_block_merge_config_selectorIlNS0_10empty_typeEEEZZNS1_27merge_sort_block_merge_implIS3_PlPS5_mZN2at6native12_GLOBAL__N_124unique_dim_cuda_templateIlEESt5tupleIJNSA_6TensorESF_SF_EERKSF_lbbbEUlllE_EE10hipError_tT0_T1_T2_jT3_P12ihipStream_tbPNSt15iterator_traitsISL_E10value_typeEPNSR_ISM_E10value_typeEPSN_NS1_7vsmem_tEENKUlT_SL_SM_SN_E_clIS8_S8_S9_S9_EESK_S10_SL_SM_SN_EUlS10_E1_NS1_11comp_targetILNS1_3genE5ELNS1_11target_archE942ELNS1_3gpuE9ELNS1_3repE0EEENS1_36merge_oddeven_config_static_selectorELNS0_4arch9wavefront6targetE1EEEvSM_,comdat
	.globl	_ZN7rocprim17ROCPRIM_400000_NS6detail17trampoline_kernelINS0_14default_configENS1_38merge_sort_block_merge_config_selectorIlNS0_10empty_typeEEEZZNS1_27merge_sort_block_merge_implIS3_PlPS5_mZN2at6native12_GLOBAL__N_124unique_dim_cuda_templateIlEESt5tupleIJNSA_6TensorESF_SF_EERKSF_lbbbEUlllE_EE10hipError_tT0_T1_T2_jT3_P12ihipStream_tbPNSt15iterator_traitsISL_E10value_typeEPNSR_ISM_E10value_typeEPSN_NS1_7vsmem_tEENKUlT_SL_SM_SN_E_clIS8_S8_S9_S9_EESK_S10_SL_SM_SN_EUlS10_E1_NS1_11comp_targetILNS1_3genE5ELNS1_11target_archE942ELNS1_3gpuE9ELNS1_3repE0EEENS1_36merge_oddeven_config_static_selectorELNS0_4arch9wavefront6targetE1EEEvSM_ ; -- Begin function _ZN7rocprim17ROCPRIM_400000_NS6detail17trampoline_kernelINS0_14default_configENS1_38merge_sort_block_merge_config_selectorIlNS0_10empty_typeEEEZZNS1_27merge_sort_block_merge_implIS3_PlPS5_mZN2at6native12_GLOBAL__N_124unique_dim_cuda_templateIlEESt5tupleIJNSA_6TensorESF_SF_EERKSF_lbbbEUlllE_EE10hipError_tT0_T1_T2_jT3_P12ihipStream_tbPNSt15iterator_traitsISL_E10value_typeEPNSR_ISM_E10value_typeEPSN_NS1_7vsmem_tEENKUlT_SL_SM_SN_E_clIS8_S8_S9_S9_EESK_S10_SL_SM_SN_EUlS10_E1_NS1_11comp_targetILNS1_3genE5ELNS1_11target_archE942ELNS1_3gpuE9ELNS1_3repE0EEENS1_36merge_oddeven_config_static_selectorELNS0_4arch9wavefront6targetE1EEEvSM_
	.p2align	8
	.type	_ZN7rocprim17ROCPRIM_400000_NS6detail17trampoline_kernelINS0_14default_configENS1_38merge_sort_block_merge_config_selectorIlNS0_10empty_typeEEEZZNS1_27merge_sort_block_merge_implIS3_PlPS5_mZN2at6native12_GLOBAL__N_124unique_dim_cuda_templateIlEESt5tupleIJNSA_6TensorESF_SF_EERKSF_lbbbEUlllE_EE10hipError_tT0_T1_T2_jT3_P12ihipStream_tbPNSt15iterator_traitsISL_E10value_typeEPNSR_ISM_E10value_typeEPSN_NS1_7vsmem_tEENKUlT_SL_SM_SN_E_clIS8_S8_S9_S9_EESK_S10_SL_SM_SN_EUlS10_E1_NS1_11comp_targetILNS1_3genE5ELNS1_11target_archE942ELNS1_3gpuE9ELNS1_3repE0EEENS1_36merge_oddeven_config_static_selectorELNS0_4arch9wavefront6targetE1EEEvSM_,@function
_ZN7rocprim17ROCPRIM_400000_NS6detail17trampoline_kernelINS0_14default_configENS1_38merge_sort_block_merge_config_selectorIlNS0_10empty_typeEEEZZNS1_27merge_sort_block_merge_implIS3_PlPS5_mZN2at6native12_GLOBAL__N_124unique_dim_cuda_templateIlEESt5tupleIJNSA_6TensorESF_SF_EERKSF_lbbbEUlllE_EE10hipError_tT0_T1_T2_jT3_P12ihipStream_tbPNSt15iterator_traitsISL_E10value_typeEPNSR_ISM_E10value_typeEPSN_NS1_7vsmem_tEENKUlT_SL_SM_SN_E_clIS8_S8_S9_S9_EESK_S10_SL_SM_SN_EUlS10_E1_NS1_11comp_targetILNS1_3genE5ELNS1_11target_archE942ELNS1_3gpuE9ELNS1_3repE0EEENS1_36merge_oddeven_config_static_selectorELNS0_4arch9wavefront6targetE1EEEvSM_: ; @_ZN7rocprim17ROCPRIM_400000_NS6detail17trampoline_kernelINS0_14default_configENS1_38merge_sort_block_merge_config_selectorIlNS0_10empty_typeEEEZZNS1_27merge_sort_block_merge_implIS3_PlPS5_mZN2at6native12_GLOBAL__N_124unique_dim_cuda_templateIlEESt5tupleIJNSA_6TensorESF_SF_EERKSF_lbbbEUlllE_EE10hipError_tT0_T1_T2_jT3_P12ihipStream_tbPNSt15iterator_traitsISL_E10value_typeEPNSR_ISM_E10value_typeEPSN_NS1_7vsmem_tEENKUlT_SL_SM_SN_E_clIS8_S8_S9_S9_EESK_S10_SL_SM_SN_EUlS10_E1_NS1_11comp_targetILNS1_3genE5ELNS1_11target_archE942ELNS1_3gpuE9ELNS1_3repE0EEENS1_36merge_oddeven_config_static_selectorELNS0_4arch9wavefront6targetE1EEEvSM_
; %bb.0:
	.section	.rodata,"a",@progbits
	.p2align	6, 0x0
	.amdhsa_kernel _ZN7rocprim17ROCPRIM_400000_NS6detail17trampoline_kernelINS0_14default_configENS1_38merge_sort_block_merge_config_selectorIlNS0_10empty_typeEEEZZNS1_27merge_sort_block_merge_implIS3_PlPS5_mZN2at6native12_GLOBAL__N_124unique_dim_cuda_templateIlEESt5tupleIJNSA_6TensorESF_SF_EERKSF_lbbbEUlllE_EE10hipError_tT0_T1_T2_jT3_P12ihipStream_tbPNSt15iterator_traitsISL_E10value_typeEPNSR_ISM_E10value_typeEPSN_NS1_7vsmem_tEENKUlT_SL_SM_SN_E_clIS8_S8_S9_S9_EESK_S10_SL_SM_SN_EUlS10_E1_NS1_11comp_targetILNS1_3genE5ELNS1_11target_archE942ELNS1_3gpuE9ELNS1_3repE0EEENS1_36merge_oddeven_config_static_selectorELNS0_4arch9wavefront6targetE1EEEvSM_
		.amdhsa_group_segment_fixed_size 0
		.amdhsa_private_segment_fixed_size 0
		.amdhsa_kernarg_size 64
		.amdhsa_user_sgpr_count 6
		.amdhsa_user_sgpr_private_segment_buffer 1
		.amdhsa_user_sgpr_dispatch_ptr 0
		.amdhsa_user_sgpr_queue_ptr 0
		.amdhsa_user_sgpr_kernarg_segment_ptr 1
		.amdhsa_user_sgpr_dispatch_id 0
		.amdhsa_user_sgpr_flat_scratch_init 0
		.amdhsa_user_sgpr_kernarg_preload_length 0
		.amdhsa_user_sgpr_kernarg_preload_offset 0
		.amdhsa_user_sgpr_private_segment_size 0
		.amdhsa_uses_dynamic_stack 0
		.amdhsa_system_sgpr_private_segment_wavefront_offset 0
		.amdhsa_system_sgpr_workgroup_id_x 1
		.amdhsa_system_sgpr_workgroup_id_y 0
		.amdhsa_system_sgpr_workgroup_id_z 0
		.amdhsa_system_sgpr_workgroup_info 0
		.amdhsa_system_vgpr_workitem_id 0
		.amdhsa_next_free_vgpr 1
		.amdhsa_next_free_sgpr 0
		.amdhsa_accum_offset 4
		.amdhsa_reserve_vcc 0
		.amdhsa_reserve_flat_scratch 0
		.amdhsa_float_round_mode_32 0
		.amdhsa_float_round_mode_16_64 0
		.amdhsa_float_denorm_mode_32 3
		.amdhsa_float_denorm_mode_16_64 3
		.amdhsa_dx10_clamp 1
		.amdhsa_ieee_mode 1
		.amdhsa_fp16_overflow 0
		.amdhsa_tg_split 0
		.amdhsa_exception_fp_ieee_invalid_op 0
		.amdhsa_exception_fp_denorm_src 0
		.amdhsa_exception_fp_ieee_div_zero 0
		.amdhsa_exception_fp_ieee_overflow 0
		.amdhsa_exception_fp_ieee_underflow 0
		.amdhsa_exception_fp_ieee_inexact 0
		.amdhsa_exception_int_div_zero 0
	.end_amdhsa_kernel
	.section	.text._ZN7rocprim17ROCPRIM_400000_NS6detail17trampoline_kernelINS0_14default_configENS1_38merge_sort_block_merge_config_selectorIlNS0_10empty_typeEEEZZNS1_27merge_sort_block_merge_implIS3_PlPS5_mZN2at6native12_GLOBAL__N_124unique_dim_cuda_templateIlEESt5tupleIJNSA_6TensorESF_SF_EERKSF_lbbbEUlllE_EE10hipError_tT0_T1_T2_jT3_P12ihipStream_tbPNSt15iterator_traitsISL_E10value_typeEPNSR_ISM_E10value_typeEPSN_NS1_7vsmem_tEENKUlT_SL_SM_SN_E_clIS8_S8_S9_S9_EESK_S10_SL_SM_SN_EUlS10_E1_NS1_11comp_targetILNS1_3genE5ELNS1_11target_archE942ELNS1_3gpuE9ELNS1_3repE0EEENS1_36merge_oddeven_config_static_selectorELNS0_4arch9wavefront6targetE1EEEvSM_,"axG",@progbits,_ZN7rocprim17ROCPRIM_400000_NS6detail17trampoline_kernelINS0_14default_configENS1_38merge_sort_block_merge_config_selectorIlNS0_10empty_typeEEEZZNS1_27merge_sort_block_merge_implIS3_PlPS5_mZN2at6native12_GLOBAL__N_124unique_dim_cuda_templateIlEESt5tupleIJNSA_6TensorESF_SF_EERKSF_lbbbEUlllE_EE10hipError_tT0_T1_T2_jT3_P12ihipStream_tbPNSt15iterator_traitsISL_E10value_typeEPNSR_ISM_E10value_typeEPSN_NS1_7vsmem_tEENKUlT_SL_SM_SN_E_clIS8_S8_S9_S9_EESK_S10_SL_SM_SN_EUlS10_E1_NS1_11comp_targetILNS1_3genE5ELNS1_11target_archE942ELNS1_3gpuE9ELNS1_3repE0EEENS1_36merge_oddeven_config_static_selectorELNS0_4arch9wavefront6targetE1EEEvSM_,comdat
.Lfunc_end532:
	.size	_ZN7rocprim17ROCPRIM_400000_NS6detail17trampoline_kernelINS0_14default_configENS1_38merge_sort_block_merge_config_selectorIlNS0_10empty_typeEEEZZNS1_27merge_sort_block_merge_implIS3_PlPS5_mZN2at6native12_GLOBAL__N_124unique_dim_cuda_templateIlEESt5tupleIJNSA_6TensorESF_SF_EERKSF_lbbbEUlllE_EE10hipError_tT0_T1_T2_jT3_P12ihipStream_tbPNSt15iterator_traitsISL_E10value_typeEPNSR_ISM_E10value_typeEPSN_NS1_7vsmem_tEENKUlT_SL_SM_SN_E_clIS8_S8_S9_S9_EESK_S10_SL_SM_SN_EUlS10_E1_NS1_11comp_targetILNS1_3genE5ELNS1_11target_archE942ELNS1_3gpuE9ELNS1_3repE0EEENS1_36merge_oddeven_config_static_selectorELNS0_4arch9wavefront6targetE1EEEvSM_, .Lfunc_end532-_ZN7rocprim17ROCPRIM_400000_NS6detail17trampoline_kernelINS0_14default_configENS1_38merge_sort_block_merge_config_selectorIlNS0_10empty_typeEEEZZNS1_27merge_sort_block_merge_implIS3_PlPS5_mZN2at6native12_GLOBAL__N_124unique_dim_cuda_templateIlEESt5tupleIJNSA_6TensorESF_SF_EERKSF_lbbbEUlllE_EE10hipError_tT0_T1_T2_jT3_P12ihipStream_tbPNSt15iterator_traitsISL_E10value_typeEPNSR_ISM_E10value_typeEPSN_NS1_7vsmem_tEENKUlT_SL_SM_SN_E_clIS8_S8_S9_S9_EESK_S10_SL_SM_SN_EUlS10_E1_NS1_11comp_targetILNS1_3genE5ELNS1_11target_archE942ELNS1_3gpuE9ELNS1_3repE0EEENS1_36merge_oddeven_config_static_selectorELNS0_4arch9wavefront6targetE1EEEvSM_
                                        ; -- End function
	.section	.AMDGPU.csdata,"",@progbits
; Kernel info:
; codeLenInByte = 0
; NumSgprs: 4
; NumVgprs: 0
; NumAgprs: 0
; TotalNumVgprs: 0
; ScratchSize: 0
; MemoryBound: 0
; FloatMode: 240
; IeeeMode: 1
; LDSByteSize: 0 bytes/workgroup (compile time only)
; SGPRBlocks: 0
; VGPRBlocks: 0
; NumSGPRsForWavesPerEU: 4
; NumVGPRsForWavesPerEU: 1
; AccumOffset: 4
; Occupancy: 8
; WaveLimiterHint : 0
; COMPUTE_PGM_RSRC2:SCRATCH_EN: 0
; COMPUTE_PGM_RSRC2:USER_SGPR: 6
; COMPUTE_PGM_RSRC2:TRAP_HANDLER: 0
; COMPUTE_PGM_RSRC2:TGID_X_EN: 1
; COMPUTE_PGM_RSRC2:TGID_Y_EN: 0
; COMPUTE_PGM_RSRC2:TGID_Z_EN: 0
; COMPUTE_PGM_RSRC2:TIDIG_COMP_CNT: 0
; COMPUTE_PGM_RSRC3_GFX90A:ACCUM_OFFSET: 0
; COMPUTE_PGM_RSRC3_GFX90A:TG_SPLIT: 0
	.section	.text._ZN7rocprim17ROCPRIM_400000_NS6detail17trampoline_kernelINS0_14default_configENS1_38merge_sort_block_merge_config_selectorIlNS0_10empty_typeEEEZZNS1_27merge_sort_block_merge_implIS3_PlPS5_mZN2at6native12_GLOBAL__N_124unique_dim_cuda_templateIlEESt5tupleIJNSA_6TensorESF_SF_EERKSF_lbbbEUlllE_EE10hipError_tT0_T1_T2_jT3_P12ihipStream_tbPNSt15iterator_traitsISL_E10value_typeEPNSR_ISM_E10value_typeEPSN_NS1_7vsmem_tEENKUlT_SL_SM_SN_E_clIS8_S8_S9_S9_EESK_S10_SL_SM_SN_EUlS10_E1_NS1_11comp_targetILNS1_3genE4ELNS1_11target_archE910ELNS1_3gpuE8ELNS1_3repE0EEENS1_36merge_oddeven_config_static_selectorELNS0_4arch9wavefront6targetE1EEEvSM_,"axG",@progbits,_ZN7rocprim17ROCPRIM_400000_NS6detail17trampoline_kernelINS0_14default_configENS1_38merge_sort_block_merge_config_selectorIlNS0_10empty_typeEEEZZNS1_27merge_sort_block_merge_implIS3_PlPS5_mZN2at6native12_GLOBAL__N_124unique_dim_cuda_templateIlEESt5tupleIJNSA_6TensorESF_SF_EERKSF_lbbbEUlllE_EE10hipError_tT0_T1_T2_jT3_P12ihipStream_tbPNSt15iterator_traitsISL_E10value_typeEPNSR_ISM_E10value_typeEPSN_NS1_7vsmem_tEENKUlT_SL_SM_SN_E_clIS8_S8_S9_S9_EESK_S10_SL_SM_SN_EUlS10_E1_NS1_11comp_targetILNS1_3genE4ELNS1_11target_archE910ELNS1_3gpuE8ELNS1_3repE0EEENS1_36merge_oddeven_config_static_selectorELNS0_4arch9wavefront6targetE1EEEvSM_,comdat
	.globl	_ZN7rocprim17ROCPRIM_400000_NS6detail17trampoline_kernelINS0_14default_configENS1_38merge_sort_block_merge_config_selectorIlNS0_10empty_typeEEEZZNS1_27merge_sort_block_merge_implIS3_PlPS5_mZN2at6native12_GLOBAL__N_124unique_dim_cuda_templateIlEESt5tupleIJNSA_6TensorESF_SF_EERKSF_lbbbEUlllE_EE10hipError_tT0_T1_T2_jT3_P12ihipStream_tbPNSt15iterator_traitsISL_E10value_typeEPNSR_ISM_E10value_typeEPSN_NS1_7vsmem_tEENKUlT_SL_SM_SN_E_clIS8_S8_S9_S9_EESK_S10_SL_SM_SN_EUlS10_E1_NS1_11comp_targetILNS1_3genE4ELNS1_11target_archE910ELNS1_3gpuE8ELNS1_3repE0EEENS1_36merge_oddeven_config_static_selectorELNS0_4arch9wavefront6targetE1EEEvSM_ ; -- Begin function _ZN7rocprim17ROCPRIM_400000_NS6detail17trampoline_kernelINS0_14default_configENS1_38merge_sort_block_merge_config_selectorIlNS0_10empty_typeEEEZZNS1_27merge_sort_block_merge_implIS3_PlPS5_mZN2at6native12_GLOBAL__N_124unique_dim_cuda_templateIlEESt5tupleIJNSA_6TensorESF_SF_EERKSF_lbbbEUlllE_EE10hipError_tT0_T1_T2_jT3_P12ihipStream_tbPNSt15iterator_traitsISL_E10value_typeEPNSR_ISM_E10value_typeEPSN_NS1_7vsmem_tEENKUlT_SL_SM_SN_E_clIS8_S8_S9_S9_EESK_S10_SL_SM_SN_EUlS10_E1_NS1_11comp_targetILNS1_3genE4ELNS1_11target_archE910ELNS1_3gpuE8ELNS1_3repE0EEENS1_36merge_oddeven_config_static_selectorELNS0_4arch9wavefront6targetE1EEEvSM_
	.p2align	8
	.type	_ZN7rocprim17ROCPRIM_400000_NS6detail17trampoline_kernelINS0_14default_configENS1_38merge_sort_block_merge_config_selectorIlNS0_10empty_typeEEEZZNS1_27merge_sort_block_merge_implIS3_PlPS5_mZN2at6native12_GLOBAL__N_124unique_dim_cuda_templateIlEESt5tupleIJNSA_6TensorESF_SF_EERKSF_lbbbEUlllE_EE10hipError_tT0_T1_T2_jT3_P12ihipStream_tbPNSt15iterator_traitsISL_E10value_typeEPNSR_ISM_E10value_typeEPSN_NS1_7vsmem_tEENKUlT_SL_SM_SN_E_clIS8_S8_S9_S9_EESK_S10_SL_SM_SN_EUlS10_E1_NS1_11comp_targetILNS1_3genE4ELNS1_11target_archE910ELNS1_3gpuE8ELNS1_3repE0EEENS1_36merge_oddeven_config_static_selectorELNS0_4arch9wavefront6targetE1EEEvSM_,@function
_ZN7rocprim17ROCPRIM_400000_NS6detail17trampoline_kernelINS0_14default_configENS1_38merge_sort_block_merge_config_selectorIlNS0_10empty_typeEEEZZNS1_27merge_sort_block_merge_implIS3_PlPS5_mZN2at6native12_GLOBAL__N_124unique_dim_cuda_templateIlEESt5tupleIJNSA_6TensorESF_SF_EERKSF_lbbbEUlllE_EE10hipError_tT0_T1_T2_jT3_P12ihipStream_tbPNSt15iterator_traitsISL_E10value_typeEPNSR_ISM_E10value_typeEPSN_NS1_7vsmem_tEENKUlT_SL_SM_SN_E_clIS8_S8_S9_S9_EESK_S10_SL_SM_SN_EUlS10_E1_NS1_11comp_targetILNS1_3genE4ELNS1_11target_archE910ELNS1_3gpuE8ELNS1_3repE0EEENS1_36merge_oddeven_config_static_selectorELNS0_4arch9wavefront6targetE1EEEvSM_: ; @_ZN7rocprim17ROCPRIM_400000_NS6detail17trampoline_kernelINS0_14default_configENS1_38merge_sort_block_merge_config_selectorIlNS0_10empty_typeEEEZZNS1_27merge_sort_block_merge_implIS3_PlPS5_mZN2at6native12_GLOBAL__N_124unique_dim_cuda_templateIlEESt5tupleIJNSA_6TensorESF_SF_EERKSF_lbbbEUlllE_EE10hipError_tT0_T1_T2_jT3_P12ihipStream_tbPNSt15iterator_traitsISL_E10value_typeEPNSR_ISM_E10value_typeEPSN_NS1_7vsmem_tEENKUlT_SL_SM_SN_E_clIS8_S8_S9_S9_EESK_S10_SL_SM_SN_EUlS10_E1_NS1_11comp_targetILNS1_3genE4ELNS1_11target_archE910ELNS1_3gpuE8ELNS1_3repE0EEENS1_36merge_oddeven_config_static_selectorELNS0_4arch9wavefront6targetE1EEEvSM_
; %bb.0:
	s_load_dword s22, s[4:5], 0x20
	s_waitcnt lgkmcnt(0)
	s_lshr_b32 s0, s22, 8
	s_cmp_lg_u32 s6, s0
	s_cselect_b64 s[12:13], -1, 0
	s_cmp_eq_u32 s6, s0
	s_cselect_b64 s[2:3], -1, 0
	s_lshl_b32 s20, s6, 8
	s_sub_i32 s0, s22, s20
	v_cmp_gt_u32_e64 s[0:1], s0, v0
	s_or_b64 s[8:9], s[12:13], s[0:1]
	s_and_saveexec_b64 s[10:11], s[8:9]
	s_cbranch_execz .LBB533_54
; %bb.1:
	s_load_dwordx4 s[8:11], s[4:5], 0x0
	s_load_dword s23, s[4:5], 0x28
	s_mov_b32 s21, 0
	s_lshl_b64 s[14:15], s[20:21], 3
	v_lshlrev_b32_e32 v1, 3, v0
	s_waitcnt lgkmcnt(0)
	s_add_u32 s14, s8, s14
	s_addc_u32 s15, s9, s15
	global_load_dwordx2 v[2:3], v1, s[14:15]
	s_lshr_b32 s7, s23, 8
	s_sub_i32 s14, 0, s7
	s_and_b32 s6, s6, s14
	s_and_b32 s7, s6, s7
	s_cmp_lg_u32 s7, 0
	s_cselect_b64 s[16:17], -1, 0
	s_lshl_b32 s21, s6, 8
	s_sub_i32 s6, 0, s23
	s_cmp_eq_u32 s7, 0
	s_cselect_b32 s33, s23, s6
	s_add_i32 s33, s33, s21
	s_cmp_lt_u32 s33, s22
	s_cbranch_scc1 .LBB533_3
; %bb.2:
	v_add_u32_e32 v4, s20, v0
	v_cmp_gt_u32_e32 vcc, s22, v4
	s_or_b64 s[12:13], vcc, s[12:13]
	s_and_b64 s[18:19], s[12:13], exec
	s_cbranch_execz .LBB533_4
	s_branch .LBB533_52
.LBB533_3:
	s_mov_b64 s[18:19], 0
                                        ; implicit-def: $vgpr4
.LBB533_4:
	s_load_dwordx4 s[12:15], s[4:5], 0x30
	s_min_u32 s44, s33, s22
	s_add_i32 s4, s44, s23
	s_min_u32 s45, s4, s22
	s_min_u32 s4, s21, s44
	v_add_u32_e32 v0, s20, v0
	s_add_i32 s21, s21, s44
	v_subrev_u32_e32 v0, s21, v0
	v_add_u32_e32 v12, s4, v0
	s_and_b64 vcc, exec, s[2:3]
	s_cbranch_vccz .LBB533_26
; %bb.5:
                                        ; implicit-def: $vgpr4
	s_and_saveexec_b64 s[20:21], s[0:1]
	s_cbranch_execz .LBB533_29
; %bb.6:
	s_cmp_ge_u32 s33, s45
	v_mov_b32_e32 v13, s44
	s_cbranch_scc1 .LBB533_28
; %bb.7:
	s_waitcnt vmcnt(0) lgkmcnt(0)
	v_mul_lo_u32 v4, v3, s12
	v_mul_lo_u32 v5, v2, s13
	v_mad_u64_u32 v[0:1], s[0:1], v2, s12, 0
	v_add3_u32 v1, v1, v5, v4
	v_lshlrev_b64 v[0:1], 3, v[0:1]
	v_mov_b32_e32 v4, s15
	v_add_co_u32_e32 v0, vcc, s14, v0
	v_addc_co_u32_e32 v1, vcc, v4, v1, vcc
	v_cndmask_b32_e64 v4, 0, 1, s[16:17]
	v_cmp_gt_i64_e64 s[2:3], s[12:13], 0
	v_cmp_ne_u32_e64 s[0:1], 1, v4
	v_cndmask_b32_e64 v4, 0, 1, s[2:3]
	s_mov_b64 s[22:23], 0
	s_lshl_b64 s[24:25], s[12:13], 3
	v_mov_b32_e32 v14, s45
	v_mov_b32_e32 v13, s44
	;; [unrolled: 1-line block ×4, first 2 shown]
	v_cmp_ne_u32_e64 s[2:3], 1, v4
	s_branch .LBB533_10
.LBB533_8:                              ;   in Loop: Header=BB533_10 Depth=1
	s_or_b64 exec, exec, s[28:29]
.LBB533_9:                              ;   in Loop: Header=BB533_10 Depth=1
	s_waitcnt vmcnt(0)
	v_add_u32_e32 v6, 1, v4
	v_cndmask_b32_e64 v14, v4, v14, s[26:27]
	v_cndmask_b32_e64 v13, v13, v6, s[26:27]
	v_cmp_ge_u32_e32 vcc, v13, v14
	s_or_b64 s[22:23], vcc, s[22:23]
	s_andn2_b64 exec, exec, s[22:23]
	s_cbranch_execz .LBB533_27
.LBB533_10:                             ; =>This Loop Header: Depth=1
                                        ;     Child Loop BB533_14 Depth 2
                                        ;     Child Loop BB533_23 Depth 2
	v_add_u32_e32 v4, v13, v14
	v_lshrrev_b32_e32 v4, 1, v4
	v_lshlrev_b64 v[6:7], 3, v[4:5]
	v_add_co_u32_e32 v6, vcc, s8, v6
	v_addc_co_u32_e32 v7, vcc, v15, v7, vcc
	global_load_dwordx2 v[6:7], v[6:7], off
	s_and_b64 vcc, exec, s[0:1]
	s_mov_b64 s[4:5], -1
                                        ; implicit-def: $sgpr26_sgpr27
	s_cbranch_vccnz .LBB533_19
; %bb.11:                               ;   in Loop: Header=BB533_10 Depth=1
	s_and_b64 vcc, exec, s[2:3]
	s_cbranch_vccnz .LBB533_17
; %bb.12:                               ;   in Loop: Header=BB533_10 Depth=1
	v_pk_mov_b32 v[8:9], s[14:15], s[14:15] op_sel:[0,1]
	s_waitcnt vmcnt(0)
	v_mad_u64_u32 v[8:9], s[4:5], s24, v6, v[8:9]
	v_mul_lo_u32 v10, s24, v7
	v_mul_lo_u32 v11, s25, v6
	v_add3_u32 v9, v11, v9, v10
	s_mov_b64 s[28:29], 0
	s_mov_b64 s[36:37], s[12:13]
	v_pk_mov_b32 v[10:11], v[0:1], v[0:1] op_sel:[0,1]
                                        ; implicit-def: $sgpr26_sgpr27
                                        ; implicit-def: $sgpr30_sgpr31
                                        ; implicit-def: $sgpr34_sgpr35
                                        ; implicit-def: $sgpr4_sgpr5
                                        ; implicit-def: $sgpr38_sgpr39
	s_branch .LBB533_14
.LBB533_13:                             ;   in Loop: Header=BB533_14 Depth=2
	s_or_b64 exec, exec, s[40:41]
	s_and_b64 s[6:7], exec, s[30:31]
	s_or_b64 s[28:29], s[6:7], s[28:29]
	s_andn2_b64 s[6:7], s[38:39], exec
	s_and_b64 s[38:39], s[34:35], exec
	s_or_b64 s[38:39], s[6:7], s[38:39]
	s_andn2_b64 s[6:7], s[26:27], exec
	s_and_b64 s[26:27], s[4:5], exec
	s_or_b64 s[26:27], s[6:7], s[26:27]
	s_andn2_b64 exec, exec, s[28:29]
	s_cbranch_execz .LBB533_16
.LBB533_14:                             ;   Parent Loop BB533_10 Depth=1
                                        ; =>  This Inner Loop Header: Depth=2
	global_load_dwordx2 v[16:17], v[10:11], off
	global_load_dwordx2 v[18:19], v[8:9], off
	s_andn2_b64 s[40:41], s[4:5], exec
	s_andn2_b64 s[34:35], s[34:35], exec
	s_or_b64 s[30:31], s[30:31], exec
	s_waitcnt vmcnt(0)
	v_cmp_le_i64_e64 s[4:5], v[16:17], v[18:19]
	v_cmp_lt_i64_e32 vcc, v[16:17], v[18:19]
	s_and_b64 s[4:5], s[4:5], s[38:39]
	s_or_b64 s[42:43], vcc, s[4:5]
	s_and_b64 s[4:5], s[42:43], exec
	v_cmp_eq_u64_e64 s[6:7], v[16:17], v[18:19]
	s_or_b64 s[4:5], s[40:41], s[4:5]
	s_and_saveexec_b64 s[40:41], s[6:7]
	s_cbranch_execz .LBB533_13
; %bb.15:                               ;   in Loop: Header=BB533_14 Depth=2
	s_add_u32 s36, s36, -1
	s_addc_u32 s37, s37, -1
	v_add_co_u32_e32 v10, vcc, 8, v10
	s_cmp_eq_u64 s[36:37], 0
	v_addc_co_u32_e32 v11, vcc, 0, v11, vcc
	s_cselect_b64 s[6:7], -1, 0
	v_add_co_u32_e32 v8, vcc, 8, v8
	s_andn2_b64 s[34:35], s[34:35], exec
	s_and_b64 s[38:39], s[42:43], exec
	s_andn2_b64 s[30:31], s[30:31], exec
	s_and_b64 s[6:7], s[6:7], exec
	v_addc_co_u32_e32 v9, vcc, 0, v9, vcc
	s_andn2_b64 s[4:5], s[4:5], exec
	s_or_b64 s[34:35], s[34:35], s[38:39]
	s_or_b64 s[30:31], s[30:31], s[6:7]
                                        ; implicit-def: $sgpr38_sgpr39
	s_branch .LBB533_13
.LBB533_16:                             ;   in Loop: Header=BB533_10 Depth=1
	s_or_b64 exec, exec, s[28:29]
	s_branch .LBB533_18
.LBB533_17:                             ;   in Loop: Header=BB533_10 Depth=1
	s_mov_b64 s[26:27], 0
.LBB533_18:                             ;   in Loop: Header=BB533_10 Depth=1
	s_xor_b64 s[26:27], s[26:27], -1
	s_mov_b64 s[4:5], 0
.LBB533_19:                             ;   in Loop: Header=BB533_10 Depth=1
	s_and_b64 vcc, exec, s[4:5]
	s_cbranch_vccz .LBB533_9
; %bb.20:                               ;   in Loop: Header=BB533_10 Depth=1
	s_and_b64 vcc, exec, s[2:3]
	s_cbranch_vccnz .LBB533_25
; %bb.21:                               ;   in Loop: Header=BB533_10 Depth=1
	v_pk_mov_b32 v[8:9], s[14:15], s[14:15] op_sel:[0,1]
	s_waitcnt vmcnt(0)
	v_mad_u64_u32 v[8:9], s[4:5], s24, v6, v[8:9]
	v_mul_lo_u32 v7, s24, v7
	v_mul_lo_u32 v6, s25, v6
	v_add3_u32 v9, v6, v9, v7
	s_mov_b64 s[28:29], 0
	s_mov_b64 s[36:37], s[12:13]
	v_pk_mov_b32 v[6:7], v[0:1], v[0:1] op_sel:[0,1]
                                        ; implicit-def: $sgpr26_sgpr27
                                        ; implicit-def: $sgpr30_sgpr31
                                        ; implicit-def: $sgpr34_sgpr35
                                        ; implicit-def: $sgpr4_sgpr5
                                        ; implicit-def: $sgpr38_sgpr39
	s_branch .LBB533_23
.LBB533_22:                             ;   in Loop: Header=BB533_23 Depth=2
	s_or_b64 exec, exec, s[40:41]
	s_and_b64 s[6:7], exec, s[30:31]
	s_or_b64 s[28:29], s[6:7], s[28:29]
	s_andn2_b64 s[6:7], s[38:39], exec
	s_and_b64 s[38:39], s[34:35], exec
	s_or_b64 s[38:39], s[6:7], s[38:39]
	s_andn2_b64 s[6:7], s[26:27], exec
	s_and_b64 s[26:27], s[4:5], exec
	s_or_b64 s[26:27], s[6:7], s[26:27]
	s_andn2_b64 exec, exec, s[28:29]
	s_cbranch_execz .LBB533_8
.LBB533_23:                             ;   Parent Loop BB533_10 Depth=1
                                        ; =>  This Inner Loop Header: Depth=2
	global_load_dwordx2 v[10:11], v[8:9], off
	global_load_dwordx2 v[16:17], v[6:7], off
	s_andn2_b64 s[40:41], s[4:5], exec
	s_andn2_b64 s[34:35], s[34:35], exec
	s_or_b64 s[30:31], s[30:31], exec
	s_waitcnt vmcnt(0)
	v_cmp_le_i64_e64 s[4:5], v[10:11], v[16:17]
	v_cmp_lt_i64_e32 vcc, v[10:11], v[16:17]
	s_and_b64 s[4:5], s[4:5], s[38:39]
	s_or_b64 s[42:43], vcc, s[4:5]
	s_and_b64 s[4:5], s[42:43], exec
	v_cmp_eq_u64_e64 s[6:7], v[10:11], v[16:17]
	s_or_b64 s[4:5], s[40:41], s[4:5]
	s_and_saveexec_b64 s[40:41], s[6:7]
	s_cbranch_execz .LBB533_22
; %bb.24:                               ;   in Loop: Header=BB533_23 Depth=2
	s_add_u32 s36, s36, -1
	s_addc_u32 s37, s37, -1
	v_add_co_u32_e32 v8, vcc, 8, v8
	s_cmp_eq_u64 s[36:37], 0
	v_addc_co_u32_e32 v9, vcc, 0, v9, vcc
	s_cselect_b64 s[6:7], -1, 0
	v_add_co_u32_e32 v6, vcc, 8, v6
	s_andn2_b64 s[34:35], s[34:35], exec
	s_and_b64 s[38:39], s[42:43], exec
	s_andn2_b64 s[30:31], s[30:31], exec
	s_and_b64 s[6:7], s[6:7], exec
	v_addc_co_u32_e32 v7, vcc, 0, v7, vcc
	s_andn2_b64 s[4:5], s[4:5], exec
	s_or_b64 s[34:35], s[34:35], s[38:39]
	s_or_b64 s[30:31], s[30:31], s[6:7]
                                        ; implicit-def: $sgpr38_sgpr39
	s_branch .LBB533_22
.LBB533_25:                             ;   in Loop: Header=BB533_10 Depth=1
	s_mov_b64 s[26:27], 0
	s_branch .LBB533_9
.LBB533_26:
                                        ; implicit-def: $vgpr4
	s_cbranch_execnz .LBB533_30
	s_branch .LBB533_52
.LBB533_27:
	s_or_b64 exec, exec, s[22:23]
.LBB533_28:
	v_add_u32_e32 v4, v13, v12
	s_or_b64 s[18:19], s[18:19], exec
.LBB533_29:
	s_or_b64 exec, exec, s[20:21]
	s_branch .LBB533_52
.LBB533_30:
	s_cmp_ge_u32 s33, s45
	v_mov_b32_e32 v13, s44
	s_cbranch_scc1 .LBB533_51
; %bb.31:
	s_waitcnt vmcnt(0) lgkmcnt(0)
	v_mul_lo_u32 v4, v3, s12
	v_mul_lo_u32 v5, v2, s13
	v_mad_u64_u32 v[0:1], s[0:1], v2, s12, 0
	v_add3_u32 v1, v1, v5, v4
	v_lshlrev_b64 v[0:1], 3, v[0:1]
	v_mov_b32_e32 v4, s15
	v_add_co_u32_e32 v0, vcc, s14, v0
	v_addc_co_u32_e32 v1, vcc, v4, v1, vcc
	v_cndmask_b32_e64 v4, 0, 1, s[16:17]
	v_cmp_gt_i64_e64 s[2:3], s[12:13], 0
	v_cmp_ne_u32_e64 s[0:1], 1, v4
	v_cndmask_b32_e64 v4, 0, 1, s[2:3]
	s_mov_b64 s[18:19], 0
	s_lshl_b64 s[20:21], s[12:13], 3
	v_mov_b32_e32 v14, s45
	v_mov_b32_e32 v13, s44
	;; [unrolled: 1-line block ×4, first 2 shown]
	v_cmp_ne_u32_e64 s[2:3], 1, v4
	s_branch .LBB533_34
.LBB533_32:                             ;   in Loop: Header=BB533_34 Depth=1
	s_or_b64 exec, exec, s[22:23]
.LBB533_33:                             ;   in Loop: Header=BB533_34 Depth=1
	s_waitcnt vmcnt(0)
	v_add_u32_e32 v6, 1, v4
	v_cndmask_b32_e64 v14, v4, v14, s[16:17]
	v_cndmask_b32_e64 v13, v13, v6, s[16:17]
	v_cmp_ge_u32_e32 vcc, v13, v14
	s_or_b64 s[18:19], vcc, s[18:19]
	s_andn2_b64 exec, exec, s[18:19]
	s_cbranch_execz .LBB533_50
.LBB533_34:                             ; =>This Loop Header: Depth=1
                                        ;     Child Loop BB533_38 Depth 2
                                        ;     Child Loop BB533_47 Depth 2
	v_add_u32_e32 v4, v13, v14
	v_lshrrev_b32_e32 v4, 1, v4
	v_lshlrev_b64 v[6:7], 3, v[4:5]
	v_add_co_u32_e32 v6, vcc, s8, v6
	v_addc_co_u32_e32 v7, vcc, v15, v7, vcc
	global_load_dwordx2 v[6:7], v[6:7], off
	s_and_b64 vcc, exec, s[0:1]
	s_mov_b64 s[4:5], -1
                                        ; implicit-def: $sgpr16_sgpr17
	s_cbranch_vccnz .LBB533_43
; %bb.35:                               ;   in Loop: Header=BB533_34 Depth=1
	s_and_b64 vcc, exec, s[2:3]
	s_cbranch_vccnz .LBB533_41
; %bb.36:                               ;   in Loop: Header=BB533_34 Depth=1
	v_pk_mov_b32 v[8:9], s[14:15], s[14:15] op_sel:[0,1]
	s_waitcnt vmcnt(0)
	v_mad_u64_u32 v[8:9], s[4:5], s20, v6, v[8:9]
	v_mul_lo_u32 v10, s20, v7
	v_mul_lo_u32 v11, s21, v6
	v_add3_u32 v9, v11, v9, v10
	s_mov_b64 s[22:23], 0
	s_mov_b64 s[28:29], s[12:13]
	v_pk_mov_b32 v[10:11], v[0:1], v[0:1] op_sel:[0,1]
                                        ; implicit-def: $sgpr16_sgpr17
                                        ; implicit-def: $sgpr24_sgpr25
                                        ; implicit-def: $sgpr26_sgpr27
                                        ; implicit-def: $sgpr4_sgpr5
                                        ; implicit-def: $sgpr30_sgpr31
	s_branch .LBB533_38
.LBB533_37:                             ;   in Loop: Header=BB533_38 Depth=2
	s_or_b64 exec, exec, s[34:35]
	s_and_b64 s[6:7], exec, s[24:25]
	s_or_b64 s[22:23], s[6:7], s[22:23]
	s_andn2_b64 s[6:7], s[30:31], exec
	s_and_b64 s[30:31], s[26:27], exec
	s_or_b64 s[30:31], s[6:7], s[30:31]
	s_andn2_b64 s[6:7], s[16:17], exec
	s_and_b64 s[16:17], s[4:5], exec
	s_or_b64 s[16:17], s[6:7], s[16:17]
	s_andn2_b64 exec, exec, s[22:23]
	s_cbranch_execz .LBB533_40
.LBB533_38:                             ;   Parent Loop BB533_34 Depth=1
                                        ; =>  This Inner Loop Header: Depth=2
	global_load_dwordx2 v[16:17], v[10:11], off
	global_load_dwordx2 v[18:19], v[8:9], off
	s_andn2_b64 s[34:35], s[4:5], exec
	s_andn2_b64 s[26:27], s[26:27], exec
	s_or_b64 s[24:25], s[24:25], exec
	s_waitcnt vmcnt(0)
	v_cmp_le_i64_e64 s[4:5], v[16:17], v[18:19]
	v_cmp_lt_i64_e32 vcc, v[16:17], v[18:19]
	s_and_b64 s[4:5], s[4:5], s[30:31]
	s_or_b64 s[36:37], vcc, s[4:5]
	s_and_b64 s[4:5], s[36:37], exec
	v_cmp_eq_u64_e64 s[6:7], v[16:17], v[18:19]
	s_or_b64 s[4:5], s[34:35], s[4:5]
	s_and_saveexec_b64 s[34:35], s[6:7]
	s_cbranch_execz .LBB533_37
; %bb.39:                               ;   in Loop: Header=BB533_38 Depth=2
	s_add_u32 s28, s28, -1
	s_addc_u32 s29, s29, -1
	v_add_co_u32_e32 v10, vcc, 8, v10
	s_cmp_eq_u64 s[28:29], 0
	v_addc_co_u32_e32 v11, vcc, 0, v11, vcc
	s_cselect_b64 s[6:7], -1, 0
	v_add_co_u32_e32 v8, vcc, 8, v8
	s_andn2_b64 s[26:27], s[26:27], exec
	s_and_b64 s[30:31], s[36:37], exec
	s_andn2_b64 s[24:25], s[24:25], exec
	s_and_b64 s[6:7], s[6:7], exec
	v_addc_co_u32_e32 v9, vcc, 0, v9, vcc
	s_andn2_b64 s[4:5], s[4:5], exec
	s_or_b64 s[26:27], s[26:27], s[30:31]
	s_or_b64 s[24:25], s[24:25], s[6:7]
                                        ; implicit-def: $sgpr30_sgpr31
	s_branch .LBB533_37
.LBB533_40:                             ;   in Loop: Header=BB533_34 Depth=1
	s_or_b64 exec, exec, s[22:23]
	s_branch .LBB533_42
.LBB533_41:                             ;   in Loop: Header=BB533_34 Depth=1
	s_mov_b64 s[16:17], 0
.LBB533_42:                             ;   in Loop: Header=BB533_34 Depth=1
	s_xor_b64 s[16:17], s[16:17], -1
	s_mov_b64 s[4:5], 0
.LBB533_43:                             ;   in Loop: Header=BB533_34 Depth=1
	s_and_b64 vcc, exec, s[4:5]
	s_cbranch_vccz .LBB533_33
; %bb.44:                               ;   in Loop: Header=BB533_34 Depth=1
	s_and_b64 vcc, exec, s[2:3]
	s_cbranch_vccnz .LBB533_49
; %bb.45:                               ;   in Loop: Header=BB533_34 Depth=1
	v_pk_mov_b32 v[8:9], s[14:15], s[14:15] op_sel:[0,1]
	s_waitcnt vmcnt(0)
	v_mad_u64_u32 v[8:9], s[4:5], s20, v6, v[8:9]
	v_mul_lo_u32 v7, s20, v7
	v_mul_lo_u32 v6, s21, v6
	v_add3_u32 v9, v6, v9, v7
	s_mov_b64 s[22:23], 0
	s_mov_b64 s[28:29], s[12:13]
	v_pk_mov_b32 v[6:7], v[0:1], v[0:1] op_sel:[0,1]
                                        ; implicit-def: $sgpr16_sgpr17
                                        ; implicit-def: $sgpr24_sgpr25
                                        ; implicit-def: $sgpr26_sgpr27
                                        ; implicit-def: $sgpr4_sgpr5
                                        ; implicit-def: $sgpr30_sgpr31
	s_branch .LBB533_47
.LBB533_46:                             ;   in Loop: Header=BB533_47 Depth=2
	s_or_b64 exec, exec, s[34:35]
	s_and_b64 s[6:7], exec, s[24:25]
	s_or_b64 s[22:23], s[6:7], s[22:23]
	s_andn2_b64 s[6:7], s[30:31], exec
	s_and_b64 s[30:31], s[26:27], exec
	s_or_b64 s[30:31], s[6:7], s[30:31]
	s_andn2_b64 s[6:7], s[16:17], exec
	s_and_b64 s[16:17], s[4:5], exec
	s_or_b64 s[16:17], s[6:7], s[16:17]
	s_andn2_b64 exec, exec, s[22:23]
	s_cbranch_execz .LBB533_32
.LBB533_47:                             ;   Parent Loop BB533_34 Depth=1
                                        ; =>  This Inner Loop Header: Depth=2
	global_load_dwordx2 v[10:11], v[8:9], off
	global_load_dwordx2 v[16:17], v[6:7], off
	s_andn2_b64 s[34:35], s[4:5], exec
	s_andn2_b64 s[26:27], s[26:27], exec
	s_or_b64 s[24:25], s[24:25], exec
	s_waitcnt vmcnt(0)
	v_cmp_le_i64_e64 s[4:5], v[10:11], v[16:17]
	v_cmp_lt_i64_e32 vcc, v[10:11], v[16:17]
	s_and_b64 s[4:5], s[4:5], s[30:31]
	s_or_b64 s[36:37], vcc, s[4:5]
	s_and_b64 s[4:5], s[36:37], exec
	v_cmp_eq_u64_e64 s[6:7], v[10:11], v[16:17]
	s_or_b64 s[4:5], s[34:35], s[4:5]
	s_and_saveexec_b64 s[34:35], s[6:7]
	s_cbranch_execz .LBB533_46
; %bb.48:                               ;   in Loop: Header=BB533_47 Depth=2
	s_add_u32 s28, s28, -1
	s_addc_u32 s29, s29, -1
	v_add_co_u32_e32 v8, vcc, 8, v8
	s_cmp_eq_u64 s[28:29], 0
	v_addc_co_u32_e32 v9, vcc, 0, v9, vcc
	s_cselect_b64 s[6:7], -1, 0
	v_add_co_u32_e32 v6, vcc, 8, v6
	s_andn2_b64 s[26:27], s[26:27], exec
	s_and_b64 s[30:31], s[36:37], exec
	s_andn2_b64 s[24:25], s[24:25], exec
	s_and_b64 s[6:7], s[6:7], exec
	v_addc_co_u32_e32 v7, vcc, 0, v7, vcc
	s_andn2_b64 s[4:5], s[4:5], exec
	s_or_b64 s[26:27], s[26:27], s[30:31]
	s_or_b64 s[24:25], s[24:25], s[6:7]
                                        ; implicit-def: $sgpr30_sgpr31
	s_branch .LBB533_46
.LBB533_49:                             ;   in Loop: Header=BB533_34 Depth=1
	s_mov_b64 s[16:17], 0
	s_branch .LBB533_33
.LBB533_50:
	s_or_b64 exec, exec, s[18:19]
.LBB533_51:
	v_add_u32_e32 v4, v13, v12
	s_mov_b64 s[18:19], -1
.LBB533_52:
	s_and_b64 exec, exec, s[18:19]
	s_cbranch_execz .LBB533_54
; %bb.53:
	v_mov_b32_e32 v5, 0
	v_lshlrev_b64 v[0:1], 3, v[4:5]
	v_mov_b32_e32 v4, s11
	v_add_co_u32_e32 v0, vcc, s10, v0
	v_addc_co_u32_e32 v1, vcc, v4, v1, vcc
	s_waitcnt vmcnt(0)
	global_store_dwordx2 v[0:1], v[2:3], off
.LBB533_54:
	s_endpgm
	.section	.rodata,"a",@progbits
	.p2align	6, 0x0
	.amdhsa_kernel _ZN7rocprim17ROCPRIM_400000_NS6detail17trampoline_kernelINS0_14default_configENS1_38merge_sort_block_merge_config_selectorIlNS0_10empty_typeEEEZZNS1_27merge_sort_block_merge_implIS3_PlPS5_mZN2at6native12_GLOBAL__N_124unique_dim_cuda_templateIlEESt5tupleIJNSA_6TensorESF_SF_EERKSF_lbbbEUlllE_EE10hipError_tT0_T1_T2_jT3_P12ihipStream_tbPNSt15iterator_traitsISL_E10value_typeEPNSR_ISM_E10value_typeEPSN_NS1_7vsmem_tEENKUlT_SL_SM_SN_E_clIS8_S8_S9_S9_EESK_S10_SL_SM_SN_EUlS10_E1_NS1_11comp_targetILNS1_3genE4ELNS1_11target_archE910ELNS1_3gpuE8ELNS1_3repE0EEENS1_36merge_oddeven_config_static_selectorELNS0_4arch9wavefront6targetE1EEEvSM_
		.amdhsa_group_segment_fixed_size 0
		.amdhsa_private_segment_fixed_size 0
		.amdhsa_kernarg_size 64
		.amdhsa_user_sgpr_count 6
		.amdhsa_user_sgpr_private_segment_buffer 1
		.amdhsa_user_sgpr_dispatch_ptr 0
		.amdhsa_user_sgpr_queue_ptr 0
		.amdhsa_user_sgpr_kernarg_segment_ptr 1
		.amdhsa_user_sgpr_dispatch_id 0
		.amdhsa_user_sgpr_flat_scratch_init 0
		.amdhsa_user_sgpr_kernarg_preload_length 0
		.amdhsa_user_sgpr_kernarg_preload_offset 0
		.amdhsa_user_sgpr_private_segment_size 0
		.amdhsa_uses_dynamic_stack 0
		.amdhsa_system_sgpr_private_segment_wavefront_offset 0
		.amdhsa_system_sgpr_workgroup_id_x 1
		.amdhsa_system_sgpr_workgroup_id_y 0
		.amdhsa_system_sgpr_workgroup_id_z 0
		.amdhsa_system_sgpr_workgroup_info 0
		.amdhsa_system_vgpr_workitem_id 0
		.amdhsa_next_free_vgpr 20
		.amdhsa_next_free_sgpr 46
		.amdhsa_accum_offset 20
		.amdhsa_reserve_vcc 1
		.amdhsa_reserve_flat_scratch 0
		.amdhsa_float_round_mode_32 0
		.amdhsa_float_round_mode_16_64 0
		.amdhsa_float_denorm_mode_32 3
		.amdhsa_float_denorm_mode_16_64 3
		.amdhsa_dx10_clamp 1
		.amdhsa_ieee_mode 1
		.amdhsa_fp16_overflow 0
		.amdhsa_tg_split 0
		.amdhsa_exception_fp_ieee_invalid_op 0
		.amdhsa_exception_fp_denorm_src 0
		.amdhsa_exception_fp_ieee_div_zero 0
		.amdhsa_exception_fp_ieee_overflow 0
		.amdhsa_exception_fp_ieee_underflow 0
		.amdhsa_exception_fp_ieee_inexact 0
		.amdhsa_exception_int_div_zero 0
	.end_amdhsa_kernel
	.section	.text._ZN7rocprim17ROCPRIM_400000_NS6detail17trampoline_kernelINS0_14default_configENS1_38merge_sort_block_merge_config_selectorIlNS0_10empty_typeEEEZZNS1_27merge_sort_block_merge_implIS3_PlPS5_mZN2at6native12_GLOBAL__N_124unique_dim_cuda_templateIlEESt5tupleIJNSA_6TensorESF_SF_EERKSF_lbbbEUlllE_EE10hipError_tT0_T1_T2_jT3_P12ihipStream_tbPNSt15iterator_traitsISL_E10value_typeEPNSR_ISM_E10value_typeEPSN_NS1_7vsmem_tEENKUlT_SL_SM_SN_E_clIS8_S8_S9_S9_EESK_S10_SL_SM_SN_EUlS10_E1_NS1_11comp_targetILNS1_3genE4ELNS1_11target_archE910ELNS1_3gpuE8ELNS1_3repE0EEENS1_36merge_oddeven_config_static_selectorELNS0_4arch9wavefront6targetE1EEEvSM_,"axG",@progbits,_ZN7rocprim17ROCPRIM_400000_NS6detail17trampoline_kernelINS0_14default_configENS1_38merge_sort_block_merge_config_selectorIlNS0_10empty_typeEEEZZNS1_27merge_sort_block_merge_implIS3_PlPS5_mZN2at6native12_GLOBAL__N_124unique_dim_cuda_templateIlEESt5tupleIJNSA_6TensorESF_SF_EERKSF_lbbbEUlllE_EE10hipError_tT0_T1_T2_jT3_P12ihipStream_tbPNSt15iterator_traitsISL_E10value_typeEPNSR_ISM_E10value_typeEPSN_NS1_7vsmem_tEENKUlT_SL_SM_SN_E_clIS8_S8_S9_S9_EESK_S10_SL_SM_SN_EUlS10_E1_NS1_11comp_targetILNS1_3genE4ELNS1_11target_archE910ELNS1_3gpuE8ELNS1_3repE0EEENS1_36merge_oddeven_config_static_selectorELNS0_4arch9wavefront6targetE1EEEvSM_,comdat
.Lfunc_end533:
	.size	_ZN7rocprim17ROCPRIM_400000_NS6detail17trampoline_kernelINS0_14default_configENS1_38merge_sort_block_merge_config_selectorIlNS0_10empty_typeEEEZZNS1_27merge_sort_block_merge_implIS3_PlPS5_mZN2at6native12_GLOBAL__N_124unique_dim_cuda_templateIlEESt5tupleIJNSA_6TensorESF_SF_EERKSF_lbbbEUlllE_EE10hipError_tT0_T1_T2_jT3_P12ihipStream_tbPNSt15iterator_traitsISL_E10value_typeEPNSR_ISM_E10value_typeEPSN_NS1_7vsmem_tEENKUlT_SL_SM_SN_E_clIS8_S8_S9_S9_EESK_S10_SL_SM_SN_EUlS10_E1_NS1_11comp_targetILNS1_3genE4ELNS1_11target_archE910ELNS1_3gpuE8ELNS1_3repE0EEENS1_36merge_oddeven_config_static_selectorELNS0_4arch9wavefront6targetE1EEEvSM_, .Lfunc_end533-_ZN7rocprim17ROCPRIM_400000_NS6detail17trampoline_kernelINS0_14default_configENS1_38merge_sort_block_merge_config_selectorIlNS0_10empty_typeEEEZZNS1_27merge_sort_block_merge_implIS3_PlPS5_mZN2at6native12_GLOBAL__N_124unique_dim_cuda_templateIlEESt5tupleIJNSA_6TensorESF_SF_EERKSF_lbbbEUlllE_EE10hipError_tT0_T1_T2_jT3_P12ihipStream_tbPNSt15iterator_traitsISL_E10value_typeEPNSR_ISM_E10value_typeEPSN_NS1_7vsmem_tEENKUlT_SL_SM_SN_E_clIS8_S8_S9_S9_EESK_S10_SL_SM_SN_EUlS10_E1_NS1_11comp_targetILNS1_3genE4ELNS1_11target_archE910ELNS1_3gpuE8ELNS1_3repE0EEENS1_36merge_oddeven_config_static_selectorELNS0_4arch9wavefront6targetE1EEEvSM_
                                        ; -- End function
	.section	.AMDGPU.csdata,"",@progbits
; Kernel info:
; codeLenInByte = 1876
; NumSgprs: 50
; NumVgprs: 20
; NumAgprs: 0
; TotalNumVgprs: 20
; ScratchSize: 0
; MemoryBound: 0
; FloatMode: 240
; IeeeMode: 1
; LDSByteSize: 0 bytes/workgroup (compile time only)
; SGPRBlocks: 6
; VGPRBlocks: 2
; NumSGPRsForWavesPerEU: 50
; NumVGPRsForWavesPerEU: 20
; AccumOffset: 20
; Occupancy: 8
; WaveLimiterHint : 0
; COMPUTE_PGM_RSRC2:SCRATCH_EN: 0
; COMPUTE_PGM_RSRC2:USER_SGPR: 6
; COMPUTE_PGM_RSRC2:TRAP_HANDLER: 0
; COMPUTE_PGM_RSRC2:TGID_X_EN: 1
; COMPUTE_PGM_RSRC2:TGID_Y_EN: 0
; COMPUTE_PGM_RSRC2:TGID_Z_EN: 0
; COMPUTE_PGM_RSRC2:TIDIG_COMP_CNT: 0
; COMPUTE_PGM_RSRC3_GFX90A:ACCUM_OFFSET: 4
; COMPUTE_PGM_RSRC3_GFX90A:TG_SPLIT: 0
	.section	.text._ZN7rocprim17ROCPRIM_400000_NS6detail17trampoline_kernelINS0_14default_configENS1_38merge_sort_block_merge_config_selectorIlNS0_10empty_typeEEEZZNS1_27merge_sort_block_merge_implIS3_PlPS5_mZN2at6native12_GLOBAL__N_124unique_dim_cuda_templateIlEESt5tupleIJNSA_6TensorESF_SF_EERKSF_lbbbEUlllE_EE10hipError_tT0_T1_T2_jT3_P12ihipStream_tbPNSt15iterator_traitsISL_E10value_typeEPNSR_ISM_E10value_typeEPSN_NS1_7vsmem_tEENKUlT_SL_SM_SN_E_clIS8_S8_S9_S9_EESK_S10_SL_SM_SN_EUlS10_E1_NS1_11comp_targetILNS1_3genE3ELNS1_11target_archE908ELNS1_3gpuE7ELNS1_3repE0EEENS1_36merge_oddeven_config_static_selectorELNS0_4arch9wavefront6targetE1EEEvSM_,"axG",@progbits,_ZN7rocprim17ROCPRIM_400000_NS6detail17trampoline_kernelINS0_14default_configENS1_38merge_sort_block_merge_config_selectorIlNS0_10empty_typeEEEZZNS1_27merge_sort_block_merge_implIS3_PlPS5_mZN2at6native12_GLOBAL__N_124unique_dim_cuda_templateIlEESt5tupleIJNSA_6TensorESF_SF_EERKSF_lbbbEUlllE_EE10hipError_tT0_T1_T2_jT3_P12ihipStream_tbPNSt15iterator_traitsISL_E10value_typeEPNSR_ISM_E10value_typeEPSN_NS1_7vsmem_tEENKUlT_SL_SM_SN_E_clIS8_S8_S9_S9_EESK_S10_SL_SM_SN_EUlS10_E1_NS1_11comp_targetILNS1_3genE3ELNS1_11target_archE908ELNS1_3gpuE7ELNS1_3repE0EEENS1_36merge_oddeven_config_static_selectorELNS0_4arch9wavefront6targetE1EEEvSM_,comdat
	.globl	_ZN7rocprim17ROCPRIM_400000_NS6detail17trampoline_kernelINS0_14default_configENS1_38merge_sort_block_merge_config_selectorIlNS0_10empty_typeEEEZZNS1_27merge_sort_block_merge_implIS3_PlPS5_mZN2at6native12_GLOBAL__N_124unique_dim_cuda_templateIlEESt5tupleIJNSA_6TensorESF_SF_EERKSF_lbbbEUlllE_EE10hipError_tT0_T1_T2_jT3_P12ihipStream_tbPNSt15iterator_traitsISL_E10value_typeEPNSR_ISM_E10value_typeEPSN_NS1_7vsmem_tEENKUlT_SL_SM_SN_E_clIS8_S8_S9_S9_EESK_S10_SL_SM_SN_EUlS10_E1_NS1_11comp_targetILNS1_3genE3ELNS1_11target_archE908ELNS1_3gpuE7ELNS1_3repE0EEENS1_36merge_oddeven_config_static_selectorELNS0_4arch9wavefront6targetE1EEEvSM_ ; -- Begin function _ZN7rocprim17ROCPRIM_400000_NS6detail17trampoline_kernelINS0_14default_configENS1_38merge_sort_block_merge_config_selectorIlNS0_10empty_typeEEEZZNS1_27merge_sort_block_merge_implIS3_PlPS5_mZN2at6native12_GLOBAL__N_124unique_dim_cuda_templateIlEESt5tupleIJNSA_6TensorESF_SF_EERKSF_lbbbEUlllE_EE10hipError_tT0_T1_T2_jT3_P12ihipStream_tbPNSt15iterator_traitsISL_E10value_typeEPNSR_ISM_E10value_typeEPSN_NS1_7vsmem_tEENKUlT_SL_SM_SN_E_clIS8_S8_S9_S9_EESK_S10_SL_SM_SN_EUlS10_E1_NS1_11comp_targetILNS1_3genE3ELNS1_11target_archE908ELNS1_3gpuE7ELNS1_3repE0EEENS1_36merge_oddeven_config_static_selectorELNS0_4arch9wavefront6targetE1EEEvSM_
	.p2align	8
	.type	_ZN7rocprim17ROCPRIM_400000_NS6detail17trampoline_kernelINS0_14default_configENS1_38merge_sort_block_merge_config_selectorIlNS0_10empty_typeEEEZZNS1_27merge_sort_block_merge_implIS3_PlPS5_mZN2at6native12_GLOBAL__N_124unique_dim_cuda_templateIlEESt5tupleIJNSA_6TensorESF_SF_EERKSF_lbbbEUlllE_EE10hipError_tT0_T1_T2_jT3_P12ihipStream_tbPNSt15iterator_traitsISL_E10value_typeEPNSR_ISM_E10value_typeEPSN_NS1_7vsmem_tEENKUlT_SL_SM_SN_E_clIS8_S8_S9_S9_EESK_S10_SL_SM_SN_EUlS10_E1_NS1_11comp_targetILNS1_3genE3ELNS1_11target_archE908ELNS1_3gpuE7ELNS1_3repE0EEENS1_36merge_oddeven_config_static_selectorELNS0_4arch9wavefront6targetE1EEEvSM_,@function
_ZN7rocprim17ROCPRIM_400000_NS6detail17trampoline_kernelINS0_14default_configENS1_38merge_sort_block_merge_config_selectorIlNS0_10empty_typeEEEZZNS1_27merge_sort_block_merge_implIS3_PlPS5_mZN2at6native12_GLOBAL__N_124unique_dim_cuda_templateIlEESt5tupleIJNSA_6TensorESF_SF_EERKSF_lbbbEUlllE_EE10hipError_tT0_T1_T2_jT3_P12ihipStream_tbPNSt15iterator_traitsISL_E10value_typeEPNSR_ISM_E10value_typeEPSN_NS1_7vsmem_tEENKUlT_SL_SM_SN_E_clIS8_S8_S9_S9_EESK_S10_SL_SM_SN_EUlS10_E1_NS1_11comp_targetILNS1_3genE3ELNS1_11target_archE908ELNS1_3gpuE7ELNS1_3repE0EEENS1_36merge_oddeven_config_static_selectorELNS0_4arch9wavefront6targetE1EEEvSM_: ; @_ZN7rocprim17ROCPRIM_400000_NS6detail17trampoline_kernelINS0_14default_configENS1_38merge_sort_block_merge_config_selectorIlNS0_10empty_typeEEEZZNS1_27merge_sort_block_merge_implIS3_PlPS5_mZN2at6native12_GLOBAL__N_124unique_dim_cuda_templateIlEESt5tupleIJNSA_6TensorESF_SF_EERKSF_lbbbEUlllE_EE10hipError_tT0_T1_T2_jT3_P12ihipStream_tbPNSt15iterator_traitsISL_E10value_typeEPNSR_ISM_E10value_typeEPSN_NS1_7vsmem_tEENKUlT_SL_SM_SN_E_clIS8_S8_S9_S9_EESK_S10_SL_SM_SN_EUlS10_E1_NS1_11comp_targetILNS1_3genE3ELNS1_11target_archE908ELNS1_3gpuE7ELNS1_3repE0EEENS1_36merge_oddeven_config_static_selectorELNS0_4arch9wavefront6targetE1EEEvSM_
; %bb.0:
	.section	.rodata,"a",@progbits
	.p2align	6, 0x0
	.amdhsa_kernel _ZN7rocprim17ROCPRIM_400000_NS6detail17trampoline_kernelINS0_14default_configENS1_38merge_sort_block_merge_config_selectorIlNS0_10empty_typeEEEZZNS1_27merge_sort_block_merge_implIS3_PlPS5_mZN2at6native12_GLOBAL__N_124unique_dim_cuda_templateIlEESt5tupleIJNSA_6TensorESF_SF_EERKSF_lbbbEUlllE_EE10hipError_tT0_T1_T2_jT3_P12ihipStream_tbPNSt15iterator_traitsISL_E10value_typeEPNSR_ISM_E10value_typeEPSN_NS1_7vsmem_tEENKUlT_SL_SM_SN_E_clIS8_S8_S9_S9_EESK_S10_SL_SM_SN_EUlS10_E1_NS1_11comp_targetILNS1_3genE3ELNS1_11target_archE908ELNS1_3gpuE7ELNS1_3repE0EEENS1_36merge_oddeven_config_static_selectorELNS0_4arch9wavefront6targetE1EEEvSM_
		.amdhsa_group_segment_fixed_size 0
		.amdhsa_private_segment_fixed_size 0
		.amdhsa_kernarg_size 64
		.amdhsa_user_sgpr_count 6
		.amdhsa_user_sgpr_private_segment_buffer 1
		.amdhsa_user_sgpr_dispatch_ptr 0
		.amdhsa_user_sgpr_queue_ptr 0
		.amdhsa_user_sgpr_kernarg_segment_ptr 1
		.amdhsa_user_sgpr_dispatch_id 0
		.amdhsa_user_sgpr_flat_scratch_init 0
		.amdhsa_user_sgpr_kernarg_preload_length 0
		.amdhsa_user_sgpr_kernarg_preload_offset 0
		.amdhsa_user_sgpr_private_segment_size 0
		.amdhsa_uses_dynamic_stack 0
		.amdhsa_system_sgpr_private_segment_wavefront_offset 0
		.amdhsa_system_sgpr_workgroup_id_x 1
		.amdhsa_system_sgpr_workgroup_id_y 0
		.amdhsa_system_sgpr_workgroup_id_z 0
		.amdhsa_system_sgpr_workgroup_info 0
		.amdhsa_system_vgpr_workitem_id 0
		.amdhsa_next_free_vgpr 1
		.amdhsa_next_free_sgpr 0
		.amdhsa_accum_offset 4
		.amdhsa_reserve_vcc 0
		.amdhsa_reserve_flat_scratch 0
		.amdhsa_float_round_mode_32 0
		.amdhsa_float_round_mode_16_64 0
		.amdhsa_float_denorm_mode_32 3
		.amdhsa_float_denorm_mode_16_64 3
		.amdhsa_dx10_clamp 1
		.amdhsa_ieee_mode 1
		.amdhsa_fp16_overflow 0
		.amdhsa_tg_split 0
		.amdhsa_exception_fp_ieee_invalid_op 0
		.amdhsa_exception_fp_denorm_src 0
		.amdhsa_exception_fp_ieee_div_zero 0
		.amdhsa_exception_fp_ieee_overflow 0
		.amdhsa_exception_fp_ieee_underflow 0
		.amdhsa_exception_fp_ieee_inexact 0
		.amdhsa_exception_int_div_zero 0
	.end_amdhsa_kernel
	.section	.text._ZN7rocprim17ROCPRIM_400000_NS6detail17trampoline_kernelINS0_14default_configENS1_38merge_sort_block_merge_config_selectorIlNS0_10empty_typeEEEZZNS1_27merge_sort_block_merge_implIS3_PlPS5_mZN2at6native12_GLOBAL__N_124unique_dim_cuda_templateIlEESt5tupleIJNSA_6TensorESF_SF_EERKSF_lbbbEUlllE_EE10hipError_tT0_T1_T2_jT3_P12ihipStream_tbPNSt15iterator_traitsISL_E10value_typeEPNSR_ISM_E10value_typeEPSN_NS1_7vsmem_tEENKUlT_SL_SM_SN_E_clIS8_S8_S9_S9_EESK_S10_SL_SM_SN_EUlS10_E1_NS1_11comp_targetILNS1_3genE3ELNS1_11target_archE908ELNS1_3gpuE7ELNS1_3repE0EEENS1_36merge_oddeven_config_static_selectorELNS0_4arch9wavefront6targetE1EEEvSM_,"axG",@progbits,_ZN7rocprim17ROCPRIM_400000_NS6detail17trampoline_kernelINS0_14default_configENS1_38merge_sort_block_merge_config_selectorIlNS0_10empty_typeEEEZZNS1_27merge_sort_block_merge_implIS3_PlPS5_mZN2at6native12_GLOBAL__N_124unique_dim_cuda_templateIlEESt5tupleIJNSA_6TensorESF_SF_EERKSF_lbbbEUlllE_EE10hipError_tT0_T1_T2_jT3_P12ihipStream_tbPNSt15iterator_traitsISL_E10value_typeEPNSR_ISM_E10value_typeEPSN_NS1_7vsmem_tEENKUlT_SL_SM_SN_E_clIS8_S8_S9_S9_EESK_S10_SL_SM_SN_EUlS10_E1_NS1_11comp_targetILNS1_3genE3ELNS1_11target_archE908ELNS1_3gpuE7ELNS1_3repE0EEENS1_36merge_oddeven_config_static_selectorELNS0_4arch9wavefront6targetE1EEEvSM_,comdat
.Lfunc_end534:
	.size	_ZN7rocprim17ROCPRIM_400000_NS6detail17trampoline_kernelINS0_14default_configENS1_38merge_sort_block_merge_config_selectorIlNS0_10empty_typeEEEZZNS1_27merge_sort_block_merge_implIS3_PlPS5_mZN2at6native12_GLOBAL__N_124unique_dim_cuda_templateIlEESt5tupleIJNSA_6TensorESF_SF_EERKSF_lbbbEUlllE_EE10hipError_tT0_T1_T2_jT3_P12ihipStream_tbPNSt15iterator_traitsISL_E10value_typeEPNSR_ISM_E10value_typeEPSN_NS1_7vsmem_tEENKUlT_SL_SM_SN_E_clIS8_S8_S9_S9_EESK_S10_SL_SM_SN_EUlS10_E1_NS1_11comp_targetILNS1_3genE3ELNS1_11target_archE908ELNS1_3gpuE7ELNS1_3repE0EEENS1_36merge_oddeven_config_static_selectorELNS0_4arch9wavefront6targetE1EEEvSM_, .Lfunc_end534-_ZN7rocprim17ROCPRIM_400000_NS6detail17trampoline_kernelINS0_14default_configENS1_38merge_sort_block_merge_config_selectorIlNS0_10empty_typeEEEZZNS1_27merge_sort_block_merge_implIS3_PlPS5_mZN2at6native12_GLOBAL__N_124unique_dim_cuda_templateIlEESt5tupleIJNSA_6TensorESF_SF_EERKSF_lbbbEUlllE_EE10hipError_tT0_T1_T2_jT3_P12ihipStream_tbPNSt15iterator_traitsISL_E10value_typeEPNSR_ISM_E10value_typeEPSN_NS1_7vsmem_tEENKUlT_SL_SM_SN_E_clIS8_S8_S9_S9_EESK_S10_SL_SM_SN_EUlS10_E1_NS1_11comp_targetILNS1_3genE3ELNS1_11target_archE908ELNS1_3gpuE7ELNS1_3repE0EEENS1_36merge_oddeven_config_static_selectorELNS0_4arch9wavefront6targetE1EEEvSM_
                                        ; -- End function
	.section	.AMDGPU.csdata,"",@progbits
; Kernel info:
; codeLenInByte = 0
; NumSgprs: 4
; NumVgprs: 0
; NumAgprs: 0
; TotalNumVgprs: 0
; ScratchSize: 0
; MemoryBound: 0
; FloatMode: 240
; IeeeMode: 1
; LDSByteSize: 0 bytes/workgroup (compile time only)
; SGPRBlocks: 0
; VGPRBlocks: 0
; NumSGPRsForWavesPerEU: 4
; NumVGPRsForWavesPerEU: 1
; AccumOffset: 4
; Occupancy: 8
; WaveLimiterHint : 0
; COMPUTE_PGM_RSRC2:SCRATCH_EN: 0
; COMPUTE_PGM_RSRC2:USER_SGPR: 6
; COMPUTE_PGM_RSRC2:TRAP_HANDLER: 0
; COMPUTE_PGM_RSRC2:TGID_X_EN: 1
; COMPUTE_PGM_RSRC2:TGID_Y_EN: 0
; COMPUTE_PGM_RSRC2:TGID_Z_EN: 0
; COMPUTE_PGM_RSRC2:TIDIG_COMP_CNT: 0
; COMPUTE_PGM_RSRC3_GFX90A:ACCUM_OFFSET: 0
; COMPUTE_PGM_RSRC3_GFX90A:TG_SPLIT: 0
	.section	.text._ZN7rocprim17ROCPRIM_400000_NS6detail17trampoline_kernelINS0_14default_configENS1_38merge_sort_block_merge_config_selectorIlNS0_10empty_typeEEEZZNS1_27merge_sort_block_merge_implIS3_PlPS5_mZN2at6native12_GLOBAL__N_124unique_dim_cuda_templateIlEESt5tupleIJNSA_6TensorESF_SF_EERKSF_lbbbEUlllE_EE10hipError_tT0_T1_T2_jT3_P12ihipStream_tbPNSt15iterator_traitsISL_E10value_typeEPNSR_ISM_E10value_typeEPSN_NS1_7vsmem_tEENKUlT_SL_SM_SN_E_clIS8_S8_S9_S9_EESK_S10_SL_SM_SN_EUlS10_E1_NS1_11comp_targetILNS1_3genE2ELNS1_11target_archE906ELNS1_3gpuE6ELNS1_3repE0EEENS1_36merge_oddeven_config_static_selectorELNS0_4arch9wavefront6targetE1EEEvSM_,"axG",@progbits,_ZN7rocprim17ROCPRIM_400000_NS6detail17trampoline_kernelINS0_14default_configENS1_38merge_sort_block_merge_config_selectorIlNS0_10empty_typeEEEZZNS1_27merge_sort_block_merge_implIS3_PlPS5_mZN2at6native12_GLOBAL__N_124unique_dim_cuda_templateIlEESt5tupleIJNSA_6TensorESF_SF_EERKSF_lbbbEUlllE_EE10hipError_tT0_T1_T2_jT3_P12ihipStream_tbPNSt15iterator_traitsISL_E10value_typeEPNSR_ISM_E10value_typeEPSN_NS1_7vsmem_tEENKUlT_SL_SM_SN_E_clIS8_S8_S9_S9_EESK_S10_SL_SM_SN_EUlS10_E1_NS1_11comp_targetILNS1_3genE2ELNS1_11target_archE906ELNS1_3gpuE6ELNS1_3repE0EEENS1_36merge_oddeven_config_static_selectorELNS0_4arch9wavefront6targetE1EEEvSM_,comdat
	.globl	_ZN7rocprim17ROCPRIM_400000_NS6detail17trampoline_kernelINS0_14default_configENS1_38merge_sort_block_merge_config_selectorIlNS0_10empty_typeEEEZZNS1_27merge_sort_block_merge_implIS3_PlPS5_mZN2at6native12_GLOBAL__N_124unique_dim_cuda_templateIlEESt5tupleIJNSA_6TensorESF_SF_EERKSF_lbbbEUlllE_EE10hipError_tT0_T1_T2_jT3_P12ihipStream_tbPNSt15iterator_traitsISL_E10value_typeEPNSR_ISM_E10value_typeEPSN_NS1_7vsmem_tEENKUlT_SL_SM_SN_E_clIS8_S8_S9_S9_EESK_S10_SL_SM_SN_EUlS10_E1_NS1_11comp_targetILNS1_3genE2ELNS1_11target_archE906ELNS1_3gpuE6ELNS1_3repE0EEENS1_36merge_oddeven_config_static_selectorELNS0_4arch9wavefront6targetE1EEEvSM_ ; -- Begin function _ZN7rocprim17ROCPRIM_400000_NS6detail17trampoline_kernelINS0_14default_configENS1_38merge_sort_block_merge_config_selectorIlNS0_10empty_typeEEEZZNS1_27merge_sort_block_merge_implIS3_PlPS5_mZN2at6native12_GLOBAL__N_124unique_dim_cuda_templateIlEESt5tupleIJNSA_6TensorESF_SF_EERKSF_lbbbEUlllE_EE10hipError_tT0_T1_T2_jT3_P12ihipStream_tbPNSt15iterator_traitsISL_E10value_typeEPNSR_ISM_E10value_typeEPSN_NS1_7vsmem_tEENKUlT_SL_SM_SN_E_clIS8_S8_S9_S9_EESK_S10_SL_SM_SN_EUlS10_E1_NS1_11comp_targetILNS1_3genE2ELNS1_11target_archE906ELNS1_3gpuE6ELNS1_3repE0EEENS1_36merge_oddeven_config_static_selectorELNS0_4arch9wavefront6targetE1EEEvSM_
	.p2align	8
	.type	_ZN7rocprim17ROCPRIM_400000_NS6detail17trampoline_kernelINS0_14default_configENS1_38merge_sort_block_merge_config_selectorIlNS0_10empty_typeEEEZZNS1_27merge_sort_block_merge_implIS3_PlPS5_mZN2at6native12_GLOBAL__N_124unique_dim_cuda_templateIlEESt5tupleIJNSA_6TensorESF_SF_EERKSF_lbbbEUlllE_EE10hipError_tT0_T1_T2_jT3_P12ihipStream_tbPNSt15iterator_traitsISL_E10value_typeEPNSR_ISM_E10value_typeEPSN_NS1_7vsmem_tEENKUlT_SL_SM_SN_E_clIS8_S8_S9_S9_EESK_S10_SL_SM_SN_EUlS10_E1_NS1_11comp_targetILNS1_3genE2ELNS1_11target_archE906ELNS1_3gpuE6ELNS1_3repE0EEENS1_36merge_oddeven_config_static_selectorELNS0_4arch9wavefront6targetE1EEEvSM_,@function
_ZN7rocprim17ROCPRIM_400000_NS6detail17trampoline_kernelINS0_14default_configENS1_38merge_sort_block_merge_config_selectorIlNS0_10empty_typeEEEZZNS1_27merge_sort_block_merge_implIS3_PlPS5_mZN2at6native12_GLOBAL__N_124unique_dim_cuda_templateIlEESt5tupleIJNSA_6TensorESF_SF_EERKSF_lbbbEUlllE_EE10hipError_tT0_T1_T2_jT3_P12ihipStream_tbPNSt15iterator_traitsISL_E10value_typeEPNSR_ISM_E10value_typeEPSN_NS1_7vsmem_tEENKUlT_SL_SM_SN_E_clIS8_S8_S9_S9_EESK_S10_SL_SM_SN_EUlS10_E1_NS1_11comp_targetILNS1_3genE2ELNS1_11target_archE906ELNS1_3gpuE6ELNS1_3repE0EEENS1_36merge_oddeven_config_static_selectorELNS0_4arch9wavefront6targetE1EEEvSM_: ; @_ZN7rocprim17ROCPRIM_400000_NS6detail17trampoline_kernelINS0_14default_configENS1_38merge_sort_block_merge_config_selectorIlNS0_10empty_typeEEEZZNS1_27merge_sort_block_merge_implIS3_PlPS5_mZN2at6native12_GLOBAL__N_124unique_dim_cuda_templateIlEESt5tupleIJNSA_6TensorESF_SF_EERKSF_lbbbEUlllE_EE10hipError_tT0_T1_T2_jT3_P12ihipStream_tbPNSt15iterator_traitsISL_E10value_typeEPNSR_ISM_E10value_typeEPSN_NS1_7vsmem_tEENKUlT_SL_SM_SN_E_clIS8_S8_S9_S9_EESK_S10_SL_SM_SN_EUlS10_E1_NS1_11comp_targetILNS1_3genE2ELNS1_11target_archE906ELNS1_3gpuE6ELNS1_3repE0EEENS1_36merge_oddeven_config_static_selectorELNS0_4arch9wavefront6targetE1EEEvSM_
; %bb.0:
	.section	.rodata,"a",@progbits
	.p2align	6, 0x0
	.amdhsa_kernel _ZN7rocprim17ROCPRIM_400000_NS6detail17trampoline_kernelINS0_14default_configENS1_38merge_sort_block_merge_config_selectorIlNS0_10empty_typeEEEZZNS1_27merge_sort_block_merge_implIS3_PlPS5_mZN2at6native12_GLOBAL__N_124unique_dim_cuda_templateIlEESt5tupleIJNSA_6TensorESF_SF_EERKSF_lbbbEUlllE_EE10hipError_tT0_T1_T2_jT3_P12ihipStream_tbPNSt15iterator_traitsISL_E10value_typeEPNSR_ISM_E10value_typeEPSN_NS1_7vsmem_tEENKUlT_SL_SM_SN_E_clIS8_S8_S9_S9_EESK_S10_SL_SM_SN_EUlS10_E1_NS1_11comp_targetILNS1_3genE2ELNS1_11target_archE906ELNS1_3gpuE6ELNS1_3repE0EEENS1_36merge_oddeven_config_static_selectorELNS0_4arch9wavefront6targetE1EEEvSM_
		.amdhsa_group_segment_fixed_size 0
		.amdhsa_private_segment_fixed_size 0
		.amdhsa_kernarg_size 64
		.amdhsa_user_sgpr_count 6
		.amdhsa_user_sgpr_private_segment_buffer 1
		.amdhsa_user_sgpr_dispatch_ptr 0
		.amdhsa_user_sgpr_queue_ptr 0
		.amdhsa_user_sgpr_kernarg_segment_ptr 1
		.amdhsa_user_sgpr_dispatch_id 0
		.amdhsa_user_sgpr_flat_scratch_init 0
		.amdhsa_user_sgpr_kernarg_preload_length 0
		.amdhsa_user_sgpr_kernarg_preload_offset 0
		.amdhsa_user_sgpr_private_segment_size 0
		.amdhsa_uses_dynamic_stack 0
		.amdhsa_system_sgpr_private_segment_wavefront_offset 0
		.amdhsa_system_sgpr_workgroup_id_x 1
		.amdhsa_system_sgpr_workgroup_id_y 0
		.amdhsa_system_sgpr_workgroup_id_z 0
		.amdhsa_system_sgpr_workgroup_info 0
		.amdhsa_system_vgpr_workitem_id 0
		.amdhsa_next_free_vgpr 1
		.amdhsa_next_free_sgpr 0
		.amdhsa_accum_offset 4
		.amdhsa_reserve_vcc 0
		.amdhsa_reserve_flat_scratch 0
		.amdhsa_float_round_mode_32 0
		.amdhsa_float_round_mode_16_64 0
		.amdhsa_float_denorm_mode_32 3
		.amdhsa_float_denorm_mode_16_64 3
		.amdhsa_dx10_clamp 1
		.amdhsa_ieee_mode 1
		.amdhsa_fp16_overflow 0
		.amdhsa_tg_split 0
		.amdhsa_exception_fp_ieee_invalid_op 0
		.amdhsa_exception_fp_denorm_src 0
		.amdhsa_exception_fp_ieee_div_zero 0
		.amdhsa_exception_fp_ieee_overflow 0
		.amdhsa_exception_fp_ieee_underflow 0
		.amdhsa_exception_fp_ieee_inexact 0
		.amdhsa_exception_int_div_zero 0
	.end_amdhsa_kernel
	.section	.text._ZN7rocprim17ROCPRIM_400000_NS6detail17trampoline_kernelINS0_14default_configENS1_38merge_sort_block_merge_config_selectorIlNS0_10empty_typeEEEZZNS1_27merge_sort_block_merge_implIS3_PlPS5_mZN2at6native12_GLOBAL__N_124unique_dim_cuda_templateIlEESt5tupleIJNSA_6TensorESF_SF_EERKSF_lbbbEUlllE_EE10hipError_tT0_T1_T2_jT3_P12ihipStream_tbPNSt15iterator_traitsISL_E10value_typeEPNSR_ISM_E10value_typeEPSN_NS1_7vsmem_tEENKUlT_SL_SM_SN_E_clIS8_S8_S9_S9_EESK_S10_SL_SM_SN_EUlS10_E1_NS1_11comp_targetILNS1_3genE2ELNS1_11target_archE906ELNS1_3gpuE6ELNS1_3repE0EEENS1_36merge_oddeven_config_static_selectorELNS0_4arch9wavefront6targetE1EEEvSM_,"axG",@progbits,_ZN7rocprim17ROCPRIM_400000_NS6detail17trampoline_kernelINS0_14default_configENS1_38merge_sort_block_merge_config_selectorIlNS0_10empty_typeEEEZZNS1_27merge_sort_block_merge_implIS3_PlPS5_mZN2at6native12_GLOBAL__N_124unique_dim_cuda_templateIlEESt5tupleIJNSA_6TensorESF_SF_EERKSF_lbbbEUlllE_EE10hipError_tT0_T1_T2_jT3_P12ihipStream_tbPNSt15iterator_traitsISL_E10value_typeEPNSR_ISM_E10value_typeEPSN_NS1_7vsmem_tEENKUlT_SL_SM_SN_E_clIS8_S8_S9_S9_EESK_S10_SL_SM_SN_EUlS10_E1_NS1_11comp_targetILNS1_3genE2ELNS1_11target_archE906ELNS1_3gpuE6ELNS1_3repE0EEENS1_36merge_oddeven_config_static_selectorELNS0_4arch9wavefront6targetE1EEEvSM_,comdat
.Lfunc_end535:
	.size	_ZN7rocprim17ROCPRIM_400000_NS6detail17trampoline_kernelINS0_14default_configENS1_38merge_sort_block_merge_config_selectorIlNS0_10empty_typeEEEZZNS1_27merge_sort_block_merge_implIS3_PlPS5_mZN2at6native12_GLOBAL__N_124unique_dim_cuda_templateIlEESt5tupleIJNSA_6TensorESF_SF_EERKSF_lbbbEUlllE_EE10hipError_tT0_T1_T2_jT3_P12ihipStream_tbPNSt15iterator_traitsISL_E10value_typeEPNSR_ISM_E10value_typeEPSN_NS1_7vsmem_tEENKUlT_SL_SM_SN_E_clIS8_S8_S9_S9_EESK_S10_SL_SM_SN_EUlS10_E1_NS1_11comp_targetILNS1_3genE2ELNS1_11target_archE906ELNS1_3gpuE6ELNS1_3repE0EEENS1_36merge_oddeven_config_static_selectorELNS0_4arch9wavefront6targetE1EEEvSM_, .Lfunc_end535-_ZN7rocprim17ROCPRIM_400000_NS6detail17trampoline_kernelINS0_14default_configENS1_38merge_sort_block_merge_config_selectorIlNS0_10empty_typeEEEZZNS1_27merge_sort_block_merge_implIS3_PlPS5_mZN2at6native12_GLOBAL__N_124unique_dim_cuda_templateIlEESt5tupleIJNSA_6TensorESF_SF_EERKSF_lbbbEUlllE_EE10hipError_tT0_T1_T2_jT3_P12ihipStream_tbPNSt15iterator_traitsISL_E10value_typeEPNSR_ISM_E10value_typeEPSN_NS1_7vsmem_tEENKUlT_SL_SM_SN_E_clIS8_S8_S9_S9_EESK_S10_SL_SM_SN_EUlS10_E1_NS1_11comp_targetILNS1_3genE2ELNS1_11target_archE906ELNS1_3gpuE6ELNS1_3repE0EEENS1_36merge_oddeven_config_static_selectorELNS0_4arch9wavefront6targetE1EEEvSM_
                                        ; -- End function
	.section	.AMDGPU.csdata,"",@progbits
; Kernel info:
; codeLenInByte = 0
; NumSgprs: 4
; NumVgprs: 0
; NumAgprs: 0
; TotalNumVgprs: 0
; ScratchSize: 0
; MemoryBound: 0
; FloatMode: 240
; IeeeMode: 1
; LDSByteSize: 0 bytes/workgroup (compile time only)
; SGPRBlocks: 0
; VGPRBlocks: 0
; NumSGPRsForWavesPerEU: 4
; NumVGPRsForWavesPerEU: 1
; AccumOffset: 4
; Occupancy: 8
; WaveLimiterHint : 0
; COMPUTE_PGM_RSRC2:SCRATCH_EN: 0
; COMPUTE_PGM_RSRC2:USER_SGPR: 6
; COMPUTE_PGM_RSRC2:TRAP_HANDLER: 0
; COMPUTE_PGM_RSRC2:TGID_X_EN: 1
; COMPUTE_PGM_RSRC2:TGID_Y_EN: 0
; COMPUTE_PGM_RSRC2:TGID_Z_EN: 0
; COMPUTE_PGM_RSRC2:TIDIG_COMP_CNT: 0
; COMPUTE_PGM_RSRC3_GFX90A:ACCUM_OFFSET: 0
; COMPUTE_PGM_RSRC3_GFX90A:TG_SPLIT: 0
	.section	.text._ZN7rocprim17ROCPRIM_400000_NS6detail17trampoline_kernelINS0_14default_configENS1_38merge_sort_block_merge_config_selectorIlNS0_10empty_typeEEEZZNS1_27merge_sort_block_merge_implIS3_PlPS5_mZN2at6native12_GLOBAL__N_124unique_dim_cuda_templateIlEESt5tupleIJNSA_6TensorESF_SF_EERKSF_lbbbEUlllE_EE10hipError_tT0_T1_T2_jT3_P12ihipStream_tbPNSt15iterator_traitsISL_E10value_typeEPNSR_ISM_E10value_typeEPSN_NS1_7vsmem_tEENKUlT_SL_SM_SN_E_clIS8_S8_S9_S9_EESK_S10_SL_SM_SN_EUlS10_E1_NS1_11comp_targetILNS1_3genE9ELNS1_11target_archE1100ELNS1_3gpuE3ELNS1_3repE0EEENS1_36merge_oddeven_config_static_selectorELNS0_4arch9wavefront6targetE1EEEvSM_,"axG",@progbits,_ZN7rocprim17ROCPRIM_400000_NS6detail17trampoline_kernelINS0_14default_configENS1_38merge_sort_block_merge_config_selectorIlNS0_10empty_typeEEEZZNS1_27merge_sort_block_merge_implIS3_PlPS5_mZN2at6native12_GLOBAL__N_124unique_dim_cuda_templateIlEESt5tupleIJNSA_6TensorESF_SF_EERKSF_lbbbEUlllE_EE10hipError_tT0_T1_T2_jT3_P12ihipStream_tbPNSt15iterator_traitsISL_E10value_typeEPNSR_ISM_E10value_typeEPSN_NS1_7vsmem_tEENKUlT_SL_SM_SN_E_clIS8_S8_S9_S9_EESK_S10_SL_SM_SN_EUlS10_E1_NS1_11comp_targetILNS1_3genE9ELNS1_11target_archE1100ELNS1_3gpuE3ELNS1_3repE0EEENS1_36merge_oddeven_config_static_selectorELNS0_4arch9wavefront6targetE1EEEvSM_,comdat
	.globl	_ZN7rocprim17ROCPRIM_400000_NS6detail17trampoline_kernelINS0_14default_configENS1_38merge_sort_block_merge_config_selectorIlNS0_10empty_typeEEEZZNS1_27merge_sort_block_merge_implIS3_PlPS5_mZN2at6native12_GLOBAL__N_124unique_dim_cuda_templateIlEESt5tupleIJNSA_6TensorESF_SF_EERKSF_lbbbEUlllE_EE10hipError_tT0_T1_T2_jT3_P12ihipStream_tbPNSt15iterator_traitsISL_E10value_typeEPNSR_ISM_E10value_typeEPSN_NS1_7vsmem_tEENKUlT_SL_SM_SN_E_clIS8_S8_S9_S9_EESK_S10_SL_SM_SN_EUlS10_E1_NS1_11comp_targetILNS1_3genE9ELNS1_11target_archE1100ELNS1_3gpuE3ELNS1_3repE0EEENS1_36merge_oddeven_config_static_selectorELNS0_4arch9wavefront6targetE1EEEvSM_ ; -- Begin function _ZN7rocprim17ROCPRIM_400000_NS6detail17trampoline_kernelINS0_14default_configENS1_38merge_sort_block_merge_config_selectorIlNS0_10empty_typeEEEZZNS1_27merge_sort_block_merge_implIS3_PlPS5_mZN2at6native12_GLOBAL__N_124unique_dim_cuda_templateIlEESt5tupleIJNSA_6TensorESF_SF_EERKSF_lbbbEUlllE_EE10hipError_tT0_T1_T2_jT3_P12ihipStream_tbPNSt15iterator_traitsISL_E10value_typeEPNSR_ISM_E10value_typeEPSN_NS1_7vsmem_tEENKUlT_SL_SM_SN_E_clIS8_S8_S9_S9_EESK_S10_SL_SM_SN_EUlS10_E1_NS1_11comp_targetILNS1_3genE9ELNS1_11target_archE1100ELNS1_3gpuE3ELNS1_3repE0EEENS1_36merge_oddeven_config_static_selectorELNS0_4arch9wavefront6targetE1EEEvSM_
	.p2align	8
	.type	_ZN7rocprim17ROCPRIM_400000_NS6detail17trampoline_kernelINS0_14default_configENS1_38merge_sort_block_merge_config_selectorIlNS0_10empty_typeEEEZZNS1_27merge_sort_block_merge_implIS3_PlPS5_mZN2at6native12_GLOBAL__N_124unique_dim_cuda_templateIlEESt5tupleIJNSA_6TensorESF_SF_EERKSF_lbbbEUlllE_EE10hipError_tT0_T1_T2_jT3_P12ihipStream_tbPNSt15iterator_traitsISL_E10value_typeEPNSR_ISM_E10value_typeEPSN_NS1_7vsmem_tEENKUlT_SL_SM_SN_E_clIS8_S8_S9_S9_EESK_S10_SL_SM_SN_EUlS10_E1_NS1_11comp_targetILNS1_3genE9ELNS1_11target_archE1100ELNS1_3gpuE3ELNS1_3repE0EEENS1_36merge_oddeven_config_static_selectorELNS0_4arch9wavefront6targetE1EEEvSM_,@function
_ZN7rocprim17ROCPRIM_400000_NS6detail17trampoline_kernelINS0_14default_configENS1_38merge_sort_block_merge_config_selectorIlNS0_10empty_typeEEEZZNS1_27merge_sort_block_merge_implIS3_PlPS5_mZN2at6native12_GLOBAL__N_124unique_dim_cuda_templateIlEESt5tupleIJNSA_6TensorESF_SF_EERKSF_lbbbEUlllE_EE10hipError_tT0_T1_T2_jT3_P12ihipStream_tbPNSt15iterator_traitsISL_E10value_typeEPNSR_ISM_E10value_typeEPSN_NS1_7vsmem_tEENKUlT_SL_SM_SN_E_clIS8_S8_S9_S9_EESK_S10_SL_SM_SN_EUlS10_E1_NS1_11comp_targetILNS1_3genE9ELNS1_11target_archE1100ELNS1_3gpuE3ELNS1_3repE0EEENS1_36merge_oddeven_config_static_selectorELNS0_4arch9wavefront6targetE1EEEvSM_: ; @_ZN7rocprim17ROCPRIM_400000_NS6detail17trampoline_kernelINS0_14default_configENS1_38merge_sort_block_merge_config_selectorIlNS0_10empty_typeEEEZZNS1_27merge_sort_block_merge_implIS3_PlPS5_mZN2at6native12_GLOBAL__N_124unique_dim_cuda_templateIlEESt5tupleIJNSA_6TensorESF_SF_EERKSF_lbbbEUlllE_EE10hipError_tT0_T1_T2_jT3_P12ihipStream_tbPNSt15iterator_traitsISL_E10value_typeEPNSR_ISM_E10value_typeEPSN_NS1_7vsmem_tEENKUlT_SL_SM_SN_E_clIS8_S8_S9_S9_EESK_S10_SL_SM_SN_EUlS10_E1_NS1_11comp_targetILNS1_3genE9ELNS1_11target_archE1100ELNS1_3gpuE3ELNS1_3repE0EEENS1_36merge_oddeven_config_static_selectorELNS0_4arch9wavefront6targetE1EEEvSM_
; %bb.0:
	.section	.rodata,"a",@progbits
	.p2align	6, 0x0
	.amdhsa_kernel _ZN7rocprim17ROCPRIM_400000_NS6detail17trampoline_kernelINS0_14default_configENS1_38merge_sort_block_merge_config_selectorIlNS0_10empty_typeEEEZZNS1_27merge_sort_block_merge_implIS3_PlPS5_mZN2at6native12_GLOBAL__N_124unique_dim_cuda_templateIlEESt5tupleIJNSA_6TensorESF_SF_EERKSF_lbbbEUlllE_EE10hipError_tT0_T1_T2_jT3_P12ihipStream_tbPNSt15iterator_traitsISL_E10value_typeEPNSR_ISM_E10value_typeEPSN_NS1_7vsmem_tEENKUlT_SL_SM_SN_E_clIS8_S8_S9_S9_EESK_S10_SL_SM_SN_EUlS10_E1_NS1_11comp_targetILNS1_3genE9ELNS1_11target_archE1100ELNS1_3gpuE3ELNS1_3repE0EEENS1_36merge_oddeven_config_static_selectorELNS0_4arch9wavefront6targetE1EEEvSM_
		.amdhsa_group_segment_fixed_size 0
		.amdhsa_private_segment_fixed_size 0
		.amdhsa_kernarg_size 64
		.amdhsa_user_sgpr_count 6
		.amdhsa_user_sgpr_private_segment_buffer 1
		.amdhsa_user_sgpr_dispatch_ptr 0
		.amdhsa_user_sgpr_queue_ptr 0
		.amdhsa_user_sgpr_kernarg_segment_ptr 1
		.amdhsa_user_sgpr_dispatch_id 0
		.amdhsa_user_sgpr_flat_scratch_init 0
		.amdhsa_user_sgpr_kernarg_preload_length 0
		.amdhsa_user_sgpr_kernarg_preload_offset 0
		.amdhsa_user_sgpr_private_segment_size 0
		.amdhsa_uses_dynamic_stack 0
		.amdhsa_system_sgpr_private_segment_wavefront_offset 0
		.amdhsa_system_sgpr_workgroup_id_x 1
		.amdhsa_system_sgpr_workgroup_id_y 0
		.amdhsa_system_sgpr_workgroup_id_z 0
		.amdhsa_system_sgpr_workgroup_info 0
		.amdhsa_system_vgpr_workitem_id 0
		.amdhsa_next_free_vgpr 1
		.amdhsa_next_free_sgpr 0
		.amdhsa_accum_offset 4
		.amdhsa_reserve_vcc 0
		.amdhsa_reserve_flat_scratch 0
		.amdhsa_float_round_mode_32 0
		.amdhsa_float_round_mode_16_64 0
		.amdhsa_float_denorm_mode_32 3
		.amdhsa_float_denorm_mode_16_64 3
		.amdhsa_dx10_clamp 1
		.amdhsa_ieee_mode 1
		.amdhsa_fp16_overflow 0
		.amdhsa_tg_split 0
		.amdhsa_exception_fp_ieee_invalid_op 0
		.amdhsa_exception_fp_denorm_src 0
		.amdhsa_exception_fp_ieee_div_zero 0
		.amdhsa_exception_fp_ieee_overflow 0
		.amdhsa_exception_fp_ieee_underflow 0
		.amdhsa_exception_fp_ieee_inexact 0
		.amdhsa_exception_int_div_zero 0
	.end_amdhsa_kernel
	.section	.text._ZN7rocprim17ROCPRIM_400000_NS6detail17trampoline_kernelINS0_14default_configENS1_38merge_sort_block_merge_config_selectorIlNS0_10empty_typeEEEZZNS1_27merge_sort_block_merge_implIS3_PlPS5_mZN2at6native12_GLOBAL__N_124unique_dim_cuda_templateIlEESt5tupleIJNSA_6TensorESF_SF_EERKSF_lbbbEUlllE_EE10hipError_tT0_T1_T2_jT3_P12ihipStream_tbPNSt15iterator_traitsISL_E10value_typeEPNSR_ISM_E10value_typeEPSN_NS1_7vsmem_tEENKUlT_SL_SM_SN_E_clIS8_S8_S9_S9_EESK_S10_SL_SM_SN_EUlS10_E1_NS1_11comp_targetILNS1_3genE9ELNS1_11target_archE1100ELNS1_3gpuE3ELNS1_3repE0EEENS1_36merge_oddeven_config_static_selectorELNS0_4arch9wavefront6targetE1EEEvSM_,"axG",@progbits,_ZN7rocprim17ROCPRIM_400000_NS6detail17trampoline_kernelINS0_14default_configENS1_38merge_sort_block_merge_config_selectorIlNS0_10empty_typeEEEZZNS1_27merge_sort_block_merge_implIS3_PlPS5_mZN2at6native12_GLOBAL__N_124unique_dim_cuda_templateIlEESt5tupleIJNSA_6TensorESF_SF_EERKSF_lbbbEUlllE_EE10hipError_tT0_T1_T2_jT3_P12ihipStream_tbPNSt15iterator_traitsISL_E10value_typeEPNSR_ISM_E10value_typeEPSN_NS1_7vsmem_tEENKUlT_SL_SM_SN_E_clIS8_S8_S9_S9_EESK_S10_SL_SM_SN_EUlS10_E1_NS1_11comp_targetILNS1_3genE9ELNS1_11target_archE1100ELNS1_3gpuE3ELNS1_3repE0EEENS1_36merge_oddeven_config_static_selectorELNS0_4arch9wavefront6targetE1EEEvSM_,comdat
.Lfunc_end536:
	.size	_ZN7rocprim17ROCPRIM_400000_NS6detail17trampoline_kernelINS0_14default_configENS1_38merge_sort_block_merge_config_selectorIlNS0_10empty_typeEEEZZNS1_27merge_sort_block_merge_implIS3_PlPS5_mZN2at6native12_GLOBAL__N_124unique_dim_cuda_templateIlEESt5tupleIJNSA_6TensorESF_SF_EERKSF_lbbbEUlllE_EE10hipError_tT0_T1_T2_jT3_P12ihipStream_tbPNSt15iterator_traitsISL_E10value_typeEPNSR_ISM_E10value_typeEPSN_NS1_7vsmem_tEENKUlT_SL_SM_SN_E_clIS8_S8_S9_S9_EESK_S10_SL_SM_SN_EUlS10_E1_NS1_11comp_targetILNS1_3genE9ELNS1_11target_archE1100ELNS1_3gpuE3ELNS1_3repE0EEENS1_36merge_oddeven_config_static_selectorELNS0_4arch9wavefront6targetE1EEEvSM_, .Lfunc_end536-_ZN7rocprim17ROCPRIM_400000_NS6detail17trampoline_kernelINS0_14default_configENS1_38merge_sort_block_merge_config_selectorIlNS0_10empty_typeEEEZZNS1_27merge_sort_block_merge_implIS3_PlPS5_mZN2at6native12_GLOBAL__N_124unique_dim_cuda_templateIlEESt5tupleIJNSA_6TensorESF_SF_EERKSF_lbbbEUlllE_EE10hipError_tT0_T1_T2_jT3_P12ihipStream_tbPNSt15iterator_traitsISL_E10value_typeEPNSR_ISM_E10value_typeEPSN_NS1_7vsmem_tEENKUlT_SL_SM_SN_E_clIS8_S8_S9_S9_EESK_S10_SL_SM_SN_EUlS10_E1_NS1_11comp_targetILNS1_3genE9ELNS1_11target_archE1100ELNS1_3gpuE3ELNS1_3repE0EEENS1_36merge_oddeven_config_static_selectorELNS0_4arch9wavefront6targetE1EEEvSM_
                                        ; -- End function
	.section	.AMDGPU.csdata,"",@progbits
; Kernel info:
; codeLenInByte = 0
; NumSgprs: 4
; NumVgprs: 0
; NumAgprs: 0
; TotalNumVgprs: 0
; ScratchSize: 0
; MemoryBound: 0
; FloatMode: 240
; IeeeMode: 1
; LDSByteSize: 0 bytes/workgroup (compile time only)
; SGPRBlocks: 0
; VGPRBlocks: 0
; NumSGPRsForWavesPerEU: 4
; NumVGPRsForWavesPerEU: 1
; AccumOffset: 4
; Occupancy: 8
; WaveLimiterHint : 0
; COMPUTE_PGM_RSRC2:SCRATCH_EN: 0
; COMPUTE_PGM_RSRC2:USER_SGPR: 6
; COMPUTE_PGM_RSRC2:TRAP_HANDLER: 0
; COMPUTE_PGM_RSRC2:TGID_X_EN: 1
; COMPUTE_PGM_RSRC2:TGID_Y_EN: 0
; COMPUTE_PGM_RSRC2:TGID_Z_EN: 0
; COMPUTE_PGM_RSRC2:TIDIG_COMP_CNT: 0
; COMPUTE_PGM_RSRC3_GFX90A:ACCUM_OFFSET: 0
; COMPUTE_PGM_RSRC3_GFX90A:TG_SPLIT: 0
	.section	.text._ZN7rocprim17ROCPRIM_400000_NS6detail17trampoline_kernelINS0_14default_configENS1_38merge_sort_block_merge_config_selectorIlNS0_10empty_typeEEEZZNS1_27merge_sort_block_merge_implIS3_PlPS5_mZN2at6native12_GLOBAL__N_124unique_dim_cuda_templateIlEESt5tupleIJNSA_6TensorESF_SF_EERKSF_lbbbEUlllE_EE10hipError_tT0_T1_T2_jT3_P12ihipStream_tbPNSt15iterator_traitsISL_E10value_typeEPNSR_ISM_E10value_typeEPSN_NS1_7vsmem_tEENKUlT_SL_SM_SN_E_clIS8_S8_S9_S9_EESK_S10_SL_SM_SN_EUlS10_E1_NS1_11comp_targetILNS1_3genE8ELNS1_11target_archE1030ELNS1_3gpuE2ELNS1_3repE0EEENS1_36merge_oddeven_config_static_selectorELNS0_4arch9wavefront6targetE1EEEvSM_,"axG",@progbits,_ZN7rocprim17ROCPRIM_400000_NS6detail17trampoline_kernelINS0_14default_configENS1_38merge_sort_block_merge_config_selectorIlNS0_10empty_typeEEEZZNS1_27merge_sort_block_merge_implIS3_PlPS5_mZN2at6native12_GLOBAL__N_124unique_dim_cuda_templateIlEESt5tupleIJNSA_6TensorESF_SF_EERKSF_lbbbEUlllE_EE10hipError_tT0_T1_T2_jT3_P12ihipStream_tbPNSt15iterator_traitsISL_E10value_typeEPNSR_ISM_E10value_typeEPSN_NS1_7vsmem_tEENKUlT_SL_SM_SN_E_clIS8_S8_S9_S9_EESK_S10_SL_SM_SN_EUlS10_E1_NS1_11comp_targetILNS1_3genE8ELNS1_11target_archE1030ELNS1_3gpuE2ELNS1_3repE0EEENS1_36merge_oddeven_config_static_selectorELNS0_4arch9wavefront6targetE1EEEvSM_,comdat
	.globl	_ZN7rocprim17ROCPRIM_400000_NS6detail17trampoline_kernelINS0_14default_configENS1_38merge_sort_block_merge_config_selectorIlNS0_10empty_typeEEEZZNS1_27merge_sort_block_merge_implIS3_PlPS5_mZN2at6native12_GLOBAL__N_124unique_dim_cuda_templateIlEESt5tupleIJNSA_6TensorESF_SF_EERKSF_lbbbEUlllE_EE10hipError_tT0_T1_T2_jT3_P12ihipStream_tbPNSt15iterator_traitsISL_E10value_typeEPNSR_ISM_E10value_typeEPSN_NS1_7vsmem_tEENKUlT_SL_SM_SN_E_clIS8_S8_S9_S9_EESK_S10_SL_SM_SN_EUlS10_E1_NS1_11comp_targetILNS1_3genE8ELNS1_11target_archE1030ELNS1_3gpuE2ELNS1_3repE0EEENS1_36merge_oddeven_config_static_selectorELNS0_4arch9wavefront6targetE1EEEvSM_ ; -- Begin function _ZN7rocprim17ROCPRIM_400000_NS6detail17trampoline_kernelINS0_14default_configENS1_38merge_sort_block_merge_config_selectorIlNS0_10empty_typeEEEZZNS1_27merge_sort_block_merge_implIS3_PlPS5_mZN2at6native12_GLOBAL__N_124unique_dim_cuda_templateIlEESt5tupleIJNSA_6TensorESF_SF_EERKSF_lbbbEUlllE_EE10hipError_tT0_T1_T2_jT3_P12ihipStream_tbPNSt15iterator_traitsISL_E10value_typeEPNSR_ISM_E10value_typeEPSN_NS1_7vsmem_tEENKUlT_SL_SM_SN_E_clIS8_S8_S9_S9_EESK_S10_SL_SM_SN_EUlS10_E1_NS1_11comp_targetILNS1_3genE8ELNS1_11target_archE1030ELNS1_3gpuE2ELNS1_3repE0EEENS1_36merge_oddeven_config_static_selectorELNS0_4arch9wavefront6targetE1EEEvSM_
	.p2align	8
	.type	_ZN7rocprim17ROCPRIM_400000_NS6detail17trampoline_kernelINS0_14default_configENS1_38merge_sort_block_merge_config_selectorIlNS0_10empty_typeEEEZZNS1_27merge_sort_block_merge_implIS3_PlPS5_mZN2at6native12_GLOBAL__N_124unique_dim_cuda_templateIlEESt5tupleIJNSA_6TensorESF_SF_EERKSF_lbbbEUlllE_EE10hipError_tT0_T1_T2_jT3_P12ihipStream_tbPNSt15iterator_traitsISL_E10value_typeEPNSR_ISM_E10value_typeEPSN_NS1_7vsmem_tEENKUlT_SL_SM_SN_E_clIS8_S8_S9_S9_EESK_S10_SL_SM_SN_EUlS10_E1_NS1_11comp_targetILNS1_3genE8ELNS1_11target_archE1030ELNS1_3gpuE2ELNS1_3repE0EEENS1_36merge_oddeven_config_static_selectorELNS0_4arch9wavefront6targetE1EEEvSM_,@function
_ZN7rocprim17ROCPRIM_400000_NS6detail17trampoline_kernelINS0_14default_configENS1_38merge_sort_block_merge_config_selectorIlNS0_10empty_typeEEEZZNS1_27merge_sort_block_merge_implIS3_PlPS5_mZN2at6native12_GLOBAL__N_124unique_dim_cuda_templateIlEESt5tupleIJNSA_6TensorESF_SF_EERKSF_lbbbEUlllE_EE10hipError_tT0_T1_T2_jT3_P12ihipStream_tbPNSt15iterator_traitsISL_E10value_typeEPNSR_ISM_E10value_typeEPSN_NS1_7vsmem_tEENKUlT_SL_SM_SN_E_clIS8_S8_S9_S9_EESK_S10_SL_SM_SN_EUlS10_E1_NS1_11comp_targetILNS1_3genE8ELNS1_11target_archE1030ELNS1_3gpuE2ELNS1_3repE0EEENS1_36merge_oddeven_config_static_selectorELNS0_4arch9wavefront6targetE1EEEvSM_: ; @_ZN7rocprim17ROCPRIM_400000_NS6detail17trampoline_kernelINS0_14default_configENS1_38merge_sort_block_merge_config_selectorIlNS0_10empty_typeEEEZZNS1_27merge_sort_block_merge_implIS3_PlPS5_mZN2at6native12_GLOBAL__N_124unique_dim_cuda_templateIlEESt5tupleIJNSA_6TensorESF_SF_EERKSF_lbbbEUlllE_EE10hipError_tT0_T1_T2_jT3_P12ihipStream_tbPNSt15iterator_traitsISL_E10value_typeEPNSR_ISM_E10value_typeEPSN_NS1_7vsmem_tEENKUlT_SL_SM_SN_E_clIS8_S8_S9_S9_EESK_S10_SL_SM_SN_EUlS10_E1_NS1_11comp_targetILNS1_3genE8ELNS1_11target_archE1030ELNS1_3gpuE2ELNS1_3repE0EEENS1_36merge_oddeven_config_static_selectorELNS0_4arch9wavefront6targetE1EEEvSM_
; %bb.0:
	.section	.rodata,"a",@progbits
	.p2align	6, 0x0
	.amdhsa_kernel _ZN7rocprim17ROCPRIM_400000_NS6detail17trampoline_kernelINS0_14default_configENS1_38merge_sort_block_merge_config_selectorIlNS0_10empty_typeEEEZZNS1_27merge_sort_block_merge_implIS3_PlPS5_mZN2at6native12_GLOBAL__N_124unique_dim_cuda_templateIlEESt5tupleIJNSA_6TensorESF_SF_EERKSF_lbbbEUlllE_EE10hipError_tT0_T1_T2_jT3_P12ihipStream_tbPNSt15iterator_traitsISL_E10value_typeEPNSR_ISM_E10value_typeEPSN_NS1_7vsmem_tEENKUlT_SL_SM_SN_E_clIS8_S8_S9_S9_EESK_S10_SL_SM_SN_EUlS10_E1_NS1_11comp_targetILNS1_3genE8ELNS1_11target_archE1030ELNS1_3gpuE2ELNS1_3repE0EEENS1_36merge_oddeven_config_static_selectorELNS0_4arch9wavefront6targetE1EEEvSM_
		.amdhsa_group_segment_fixed_size 0
		.amdhsa_private_segment_fixed_size 0
		.amdhsa_kernarg_size 64
		.amdhsa_user_sgpr_count 6
		.amdhsa_user_sgpr_private_segment_buffer 1
		.amdhsa_user_sgpr_dispatch_ptr 0
		.amdhsa_user_sgpr_queue_ptr 0
		.amdhsa_user_sgpr_kernarg_segment_ptr 1
		.amdhsa_user_sgpr_dispatch_id 0
		.amdhsa_user_sgpr_flat_scratch_init 0
		.amdhsa_user_sgpr_kernarg_preload_length 0
		.amdhsa_user_sgpr_kernarg_preload_offset 0
		.amdhsa_user_sgpr_private_segment_size 0
		.amdhsa_uses_dynamic_stack 0
		.amdhsa_system_sgpr_private_segment_wavefront_offset 0
		.amdhsa_system_sgpr_workgroup_id_x 1
		.amdhsa_system_sgpr_workgroup_id_y 0
		.amdhsa_system_sgpr_workgroup_id_z 0
		.amdhsa_system_sgpr_workgroup_info 0
		.amdhsa_system_vgpr_workitem_id 0
		.amdhsa_next_free_vgpr 1
		.amdhsa_next_free_sgpr 0
		.amdhsa_accum_offset 4
		.amdhsa_reserve_vcc 0
		.amdhsa_reserve_flat_scratch 0
		.amdhsa_float_round_mode_32 0
		.amdhsa_float_round_mode_16_64 0
		.amdhsa_float_denorm_mode_32 3
		.amdhsa_float_denorm_mode_16_64 3
		.amdhsa_dx10_clamp 1
		.amdhsa_ieee_mode 1
		.amdhsa_fp16_overflow 0
		.amdhsa_tg_split 0
		.amdhsa_exception_fp_ieee_invalid_op 0
		.amdhsa_exception_fp_denorm_src 0
		.amdhsa_exception_fp_ieee_div_zero 0
		.amdhsa_exception_fp_ieee_overflow 0
		.amdhsa_exception_fp_ieee_underflow 0
		.amdhsa_exception_fp_ieee_inexact 0
		.amdhsa_exception_int_div_zero 0
	.end_amdhsa_kernel
	.section	.text._ZN7rocprim17ROCPRIM_400000_NS6detail17trampoline_kernelINS0_14default_configENS1_38merge_sort_block_merge_config_selectorIlNS0_10empty_typeEEEZZNS1_27merge_sort_block_merge_implIS3_PlPS5_mZN2at6native12_GLOBAL__N_124unique_dim_cuda_templateIlEESt5tupleIJNSA_6TensorESF_SF_EERKSF_lbbbEUlllE_EE10hipError_tT0_T1_T2_jT3_P12ihipStream_tbPNSt15iterator_traitsISL_E10value_typeEPNSR_ISM_E10value_typeEPSN_NS1_7vsmem_tEENKUlT_SL_SM_SN_E_clIS8_S8_S9_S9_EESK_S10_SL_SM_SN_EUlS10_E1_NS1_11comp_targetILNS1_3genE8ELNS1_11target_archE1030ELNS1_3gpuE2ELNS1_3repE0EEENS1_36merge_oddeven_config_static_selectorELNS0_4arch9wavefront6targetE1EEEvSM_,"axG",@progbits,_ZN7rocprim17ROCPRIM_400000_NS6detail17trampoline_kernelINS0_14default_configENS1_38merge_sort_block_merge_config_selectorIlNS0_10empty_typeEEEZZNS1_27merge_sort_block_merge_implIS3_PlPS5_mZN2at6native12_GLOBAL__N_124unique_dim_cuda_templateIlEESt5tupleIJNSA_6TensorESF_SF_EERKSF_lbbbEUlllE_EE10hipError_tT0_T1_T2_jT3_P12ihipStream_tbPNSt15iterator_traitsISL_E10value_typeEPNSR_ISM_E10value_typeEPSN_NS1_7vsmem_tEENKUlT_SL_SM_SN_E_clIS8_S8_S9_S9_EESK_S10_SL_SM_SN_EUlS10_E1_NS1_11comp_targetILNS1_3genE8ELNS1_11target_archE1030ELNS1_3gpuE2ELNS1_3repE0EEENS1_36merge_oddeven_config_static_selectorELNS0_4arch9wavefront6targetE1EEEvSM_,comdat
.Lfunc_end537:
	.size	_ZN7rocprim17ROCPRIM_400000_NS6detail17trampoline_kernelINS0_14default_configENS1_38merge_sort_block_merge_config_selectorIlNS0_10empty_typeEEEZZNS1_27merge_sort_block_merge_implIS3_PlPS5_mZN2at6native12_GLOBAL__N_124unique_dim_cuda_templateIlEESt5tupleIJNSA_6TensorESF_SF_EERKSF_lbbbEUlllE_EE10hipError_tT0_T1_T2_jT3_P12ihipStream_tbPNSt15iterator_traitsISL_E10value_typeEPNSR_ISM_E10value_typeEPSN_NS1_7vsmem_tEENKUlT_SL_SM_SN_E_clIS8_S8_S9_S9_EESK_S10_SL_SM_SN_EUlS10_E1_NS1_11comp_targetILNS1_3genE8ELNS1_11target_archE1030ELNS1_3gpuE2ELNS1_3repE0EEENS1_36merge_oddeven_config_static_selectorELNS0_4arch9wavefront6targetE1EEEvSM_, .Lfunc_end537-_ZN7rocprim17ROCPRIM_400000_NS6detail17trampoline_kernelINS0_14default_configENS1_38merge_sort_block_merge_config_selectorIlNS0_10empty_typeEEEZZNS1_27merge_sort_block_merge_implIS3_PlPS5_mZN2at6native12_GLOBAL__N_124unique_dim_cuda_templateIlEESt5tupleIJNSA_6TensorESF_SF_EERKSF_lbbbEUlllE_EE10hipError_tT0_T1_T2_jT3_P12ihipStream_tbPNSt15iterator_traitsISL_E10value_typeEPNSR_ISM_E10value_typeEPSN_NS1_7vsmem_tEENKUlT_SL_SM_SN_E_clIS8_S8_S9_S9_EESK_S10_SL_SM_SN_EUlS10_E1_NS1_11comp_targetILNS1_3genE8ELNS1_11target_archE1030ELNS1_3gpuE2ELNS1_3repE0EEENS1_36merge_oddeven_config_static_selectorELNS0_4arch9wavefront6targetE1EEEvSM_
                                        ; -- End function
	.section	.AMDGPU.csdata,"",@progbits
; Kernel info:
; codeLenInByte = 0
; NumSgprs: 4
; NumVgprs: 0
; NumAgprs: 0
; TotalNumVgprs: 0
; ScratchSize: 0
; MemoryBound: 0
; FloatMode: 240
; IeeeMode: 1
; LDSByteSize: 0 bytes/workgroup (compile time only)
; SGPRBlocks: 0
; VGPRBlocks: 0
; NumSGPRsForWavesPerEU: 4
; NumVGPRsForWavesPerEU: 1
; AccumOffset: 4
; Occupancy: 8
; WaveLimiterHint : 0
; COMPUTE_PGM_RSRC2:SCRATCH_EN: 0
; COMPUTE_PGM_RSRC2:USER_SGPR: 6
; COMPUTE_PGM_RSRC2:TRAP_HANDLER: 0
; COMPUTE_PGM_RSRC2:TGID_X_EN: 1
; COMPUTE_PGM_RSRC2:TGID_Y_EN: 0
; COMPUTE_PGM_RSRC2:TGID_Z_EN: 0
; COMPUTE_PGM_RSRC2:TIDIG_COMP_CNT: 0
; COMPUTE_PGM_RSRC3_GFX90A:ACCUM_OFFSET: 0
; COMPUTE_PGM_RSRC3_GFX90A:TG_SPLIT: 0
	.section	.text._ZN7rocprim17ROCPRIM_400000_NS6detail17trampoline_kernelINS0_14default_configENS1_35adjacent_difference_config_selectorILb0ElEEZNS1_24adjacent_difference_implIS3_Lb0ELb0EPlS7_ZN2at6native12_GLOBAL__N_124unique_dim_cuda_templateIlEESt5tupleIJNS8_6TensorESD_SD_EERKSD_lbbbEUlllE1_EE10hipError_tPvRmT2_T3_mT4_P12ihipStream_tbEUlT_E_NS1_11comp_targetILNS1_3genE0ELNS1_11target_archE4294967295ELNS1_3gpuE0ELNS1_3repE0EEENS1_30default_config_static_selectorELNS0_4arch9wavefront6targetE1EEEvT1_,"axG",@progbits,_ZN7rocprim17ROCPRIM_400000_NS6detail17trampoline_kernelINS0_14default_configENS1_35adjacent_difference_config_selectorILb0ElEEZNS1_24adjacent_difference_implIS3_Lb0ELb0EPlS7_ZN2at6native12_GLOBAL__N_124unique_dim_cuda_templateIlEESt5tupleIJNS8_6TensorESD_SD_EERKSD_lbbbEUlllE1_EE10hipError_tPvRmT2_T3_mT4_P12ihipStream_tbEUlT_E_NS1_11comp_targetILNS1_3genE0ELNS1_11target_archE4294967295ELNS1_3gpuE0ELNS1_3repE0EEENS1_30default_config_static_selectorELNS0_4arch9wavefront6targetE1EEEvT1_,comdat
	.globl	_ZN7rocprim17ROCPRIM_400000_NS6detail17trampoline_kernelINS0_14default_configENS1_35adjacent_difference_config_selectorILb0ElEEZNS1_24adjacent_difference_implIS3_Lb0ELb0EPlS7_ZN2at6native12_GLOBAL__N_124unique_dim_cuda_templateIlEESt5tupleIJNS8_6TensorESD_SD_EERKSD_lbbbEUlllE1_EE10hipError_tPvRmT2_T3_mT4_P12ihipStream_tbEUlT_E_NS1_11comp_targetILNS1_3genE0ELNS1_11target_archE4294967295ELNS1_3gpuE0ELNS1_3repE0EEENS1_30default_config_static_selectorELNS0_4arch9wavefront6targetE1EEEvT1_ ; -- Begin function _ZN7rocprim17ROCPRIM_400000_NS6detail17trampoline_kernelINS0_14default_configENS1_35adjacent_difference_config_selectorILb0ElEEZNS1_24adjacent_difference_implIS3_Lb0ELb0EPlS7_ZN2at6native12_GLOBAL__N_124unique_dim_cuda_templateIlEESt5tupleIJNS8_6TensorESD_SD_EERKSD_lbbbEUlllE1_EE10hipError_tPvRmT2_T3_mT4_P12ihipStream_tbEUlT_E_NS1_11comp_targetILNS1_3genE0ELNS1_11target_archE4294967295ELNS1_3gpuE0ELNS1_3repE0EEENS1_30default_config_static_selectorELNS0_4arch9wavefront6targetE1EEEvT1_
	.p2align	8
	.type	_ZN7rocprim17ROCPRIM_400000_NS6detail17trampoline_kernelINS0_14default_configENS1_35adjacent_difference_config_selectorILb0ElEEZNS1_24adjacent_difference_implIS3_Lb0ELb0EPlS7_ZN2at6native12_GLOBAL__N_124unique_dim_cuda_templateIlEESt5tupleIJNS8_6TensorESD_SD_EERKSD_lbbbEUlllE1_EE10hipError_tPvRmT2_T3_mT4_P12ihipStream_tbEUlT_E_NS1_11comp_targetILNS1_3genE0ELNS1_11target_archE4294967295ELNS1_3gpuE0ELNS1_3repE0EEENS1_30default_config_static_selectorELNS0_4arch9wavefront6targetE1EEEvT1_,@function
_ZN7rocprim17ROCPRIM_400000_NS6detail17trampoline_kernelINS0_14default_configENS1_35adjacent_difference_config_selectorILb0ElEEZNS1_24adjacent_difference_implIS3_Lb0ELb0EPlS7_ZN2at6native12_GLOBAL__N_124unique_dim_cuda_templateIlEESt5tupleIJNS8_6TensorESD_SD_EERKSD_lbbbEUlllE1_EE10hipError_tPvRmT2_T3_mT4_P12ihipStream_tbEUlT_E_NS1_11comp_targetILNS1_3genE0ELNS1_11target_archE4294967295ELNS1_3gpuE0ELNS1_3repE0EEENS1_30default_config_static_selectorELNS0_4arch9wavefront6targetE1EEEvT1_: ; @_ZN7rocprim17ROCPRIM_400000_NS6detail17trampoline_kernelINS0_14default_configENS1_35adjacent_difference_config_selectorILb0ElEEZNS1_24adjacent_difference_implIS3_Lb0ELb0EPlS7_ZN2at6native12_GLOBAL__N_124unique_dim_cuda_templateIlEESt5tupleIJNS8_6TensorESD_SD_EERKSD_lbbbEUlllE1_EE10hipError_tPvRmT2_T3_mT4_P12ihipStream_tbEUlT_E_NS1_11comp_targetILNS1_3genE0ELNS1_11target_archE4294967295ELNS1_3gpuE0ELNS1_3repE0EEENS1_30default_config_static_selectorELNS0_4arch9wavefront6targetE1EEEvT1_
; %bb.0:
	.section	.rodata,"a",@progbits
	.p2align	6, 0x0
	.amdhsa_kernel _ZN7rocprim17ROCPRIM_400000_NS6detail17trampoline_kernelINS0_14default_configENS1_35adjacent_difference_config_selectorILb0ElEEZNS1_24adjacent_difference_implIS3_Lb0ELb0EPlS7_ZN2at6native12_GLOBAL__N_124unique_dim_cuda_templateIlEESt5tupleIJNS8_6TensorESD_SD_EERKSD_lbbbEUlllE1_EE10hipError_tPvRmT2_T3_mT4_P12ihipStream_tbEUlT_E_NS1_11comp_targetILNS1_3genE0ELNS1_11target_archE4294967295ELNS1_3gpuE0ELNS1_3repE0EEENS1_30default_config_static_selectorELNS0_4arch9wavefront6targetE1EEEvT1_
		.amdhsa_group_segment_fixed_size 0
		.amdhsa_private_segment_fixed_size 0
		.amdhsa_kernarg_size 64
		.amdhsa_user_sgpr_count 6
		.amdhsa_user_sgpr_private_segment_buffer 1
		.amdhsa_user_sgpr_dispatch_ptr 0
		.amdhsa_user_sgpr_queue_ptr 0
		.amdhsa_user_sgpr_kernarg_segment_ptr 1
		.amdhsa_user_sgpr_dispatch_id 0
		.amdhsa_user_sgpr_flat_scratch_init 0
		.amdhsa_user_sgpr_kernarg_preload_length 0
		.amdhsa_user_sgpr_kernarg_preload_offset 0
		.amdhsa_user_sgpr_private_segment_size 0
		.amdhsa_uses_dynamic_stack 0
		.amdhsa_system_sgpr_private_segment_wavefront_offset 0
		.amdhsa_system_sgpr_workgroup_id_x 1
		.amdhsa_system_sgpr_workgroup_id_y 0
		.amdhsa_system_sgpr_workgroup_id_z 0
		.amdhsa_system_sgpr_workgroup_info 0
		.amdhsa_system_vgpr_workitem_id 0
		.amdhsa_next_free_vgpr 1
		.amdhsa_next_free_sgpr 0
		.amdhsa_accum_offset 4
		.amdhsa_reserve_vcc 0
		.amdhsa_reserve_flat_scratch 0
		.amdhsa_float_round_mode_32 0
		.amdhsa_float_round_mode_16_64 0
		.amdhsa_float_denorm_mode_32 3
		.amdhsa_float_denorm_mode_16_64 3
		.amdhsa_dx10_clamp 1
		.amdhsa_ieee_mode 1
		.amdhsa_fp16_overflow 0
		.amdhsa_tg_split 0
		.amdhsa_exception_fp_ieee_invalid_op 0
		.amdhsa_exception_fp_denorm_src 0
		.amdhsa_exception_fp_ieee_div_zero 0
		.amdhsa_exception_fp_ieee_overflow 0
		.amdhsa_exception_fp_ieee_underflow 0
		.amdhsa_exception_fp_ieee_inexact 0
		.amdhsa_exception_int_div_zero 0
	.end_amdhsa_kernel
	.section	.text._ZN7rocprim17ROCPRIM_400000_NS6detail17trampoline_kernelINS0_14default_configENS1_35adjacent_difference_config_selectorILb0ElEEZNS1_24adjacent_difference_implIS3_Lb0ELb0EPlS7_ZN2at6native12_GLOBAL__N_124unique_dim_cuda_templateIlEESt5tupleIJNS8_6TensorESD_SD_EERKSD_lbbbEUlllE1_EE10hipError_tPvRmT2_T3_mT4_P12ihipStream_tbEUlT_E_NS1_11comp_targetILNS1_3genE0ELNS1_11target_archE4294967295ELNS1_3gpuE0ELNS1_3repE0EEENS1_30default_config_static_selectorELNS0_4arch9wavefront6targetE1EEEvT1_,"axG",@progbits,_ZN7rocprim17ROCPRIM_400000_NS6detail17trampoline_kernelINS0_14default_configENS1_35adjacent_difference_config_selectorILb0ElEEZNS1_24adjacent_difference_implIS3_Lb0ELb0EPlS7_ZN2at6native12_GLOBAL__N_124unique_dim_cuda_templateIlEESt5tupleIJNS8_6TensorESD_SD_EERKSD_lbbbEUlllE1_EE10hipError_tPvRmT2_T3_mT4_P12ihipStream_tbEUlT_E_NS1_11comp_targetILNS1_3genE0ELNS1_11target_archE4294967295ELNS1_3gpuE0ELNS1_3repE0EEENS1_30default_config_static_selectorELNS0_4arch9wavefront6targetE1EEEvT1_,comdat
.Lfunc_end538:
	.size	_ZN7rocprim17ROCPRIM_400000_NS6detail17trampoline_kernelINS0_14default_configENS1_35adjacent_difference_config_selectorILb0ElEEZNS1_24adjacent_difference_implIS3_Lb0ELb0EPlS7_ZN2at6native12_GLOBAL__N_124unique_dim_cuda_templateIlEESt5tupleIJNS8_6TensorESD_SD_EERKSD_lbbbEUlllE1_EE10hipError_tPvRmT2_T3_mT4_P12ihipStream_tbEUlT_E_NS1_11comp_targetILNS1_3genE0ELNS1_11target_archE4294967295ELNS1_3gpuE0ELNS1_3repE0EEENS1_30default_config_static_selectorELNS0_4arch9wavefront6targetE1EEEvT1_, .Lfunc_end538-_ZN7rocprim17ROCPRIM_400000_NS6detail17trampoline_kernelINS0_14default_configENS1_35adjacent_difference_config_selectorILb0ElEEZNS1_24adjacent_difference_implIS3_Lb0ELb0EPlS7_ZN2at6native12_GLOBAL__N_124unique_dim_cuda_templateIlEESt5tupleIJNS8_6TensorESD_SD_EERKSD_lbbbEUlllE1_EE10hipError_tPvRmT2_T3_mT4_P12ihipStream_tbEUlT_E_NS1_11comp_targetILNS1_3genE0ELNS1_11target_archE4294967295ELNS1_3gpuE0ELNS1_3repE0EEENS1_30default_config_static_selectorELNS0_4arch9wavefront6targetE1EEEvT1_
                                        ; -- End function
	.section	.AMDGPU.csdata,"",@progbits
; Kernel info:
; codeLenInByte = 0
; NumSgprs: 4
; NumVgprs: 0
; NumAgprs: 0
; TotalNumVgprs: 0
; ScratchSize: 0
; MemoryBound: 0
; FloatMode: 240
; IeeeMode: 1
; LDSByteSize: 0 bytes/workgroup (compile time only)
; SGPRBlocks: 0
; VGPRBlocks: 0
; NumSGPRsForWavesPerEU: 4
; NumVGPRsForWavesPerEU: 1
; AccumOffset: 4
; Occupancy: 8
; WaveLimiterHint : 0
; COMPUTE_PGM_RSRC2:SCRATCH_EN: 0
; COMPUTE_PGM_RSRC2:USER_SGPR: 6
; COMPUTE_PGM_RSRC2:TRAP_HANDLER: 0
; COMPUTE_PGM_RSRC2:TGID_X_EN: 1
; COMPUTE_PGM_RSRC2:TGID_Y_EN: 0
; COMPUTE_PGM_RSRC2:TGID_Z_EN: 0
; COMPUTE_PGM_RSRC2:TIDIG_COMP_CNT: 0
; COMPUTE_PGM_RSRC3_GFX90A:ACCUM_OFFSET: 0
; COMPUTE_PGM_RSRC3_GFX90A:TG_SPLIT: 0
	.section	.text._ZN7rocprim17ROCPRIM_400000_NS6detail17trampoline_kernelINS0_14default_configENS1_35adjacent_difference_config_selectorILb0ElEEZNS1_24adjacent_difference_implIS3_Lb0ELb0EPlS7_ZN2at6native12_GLOBAL__N_124unique_dim_cuda_templateIlEESt5tupleIJNS8_6TensorESD_SD_EERKSD_lbbbEUlllE1_EE10hipError_tPvRmT2_T3_mT4_P12ihipStream_tbEUlT_E_NS1_11comp_targetILNS1_3genE10ELNS1_11target_archE1201ELNS1_3gpuE5ELNS1_3repE0EEENS1_30default_config_static_selectorELNS0_4arch9wavefront6targetE1EEEvT1_,"axG",@progbits,_ZN7rocprim17ROCPRIM_400000_NS6detail17trampoline_kernelINS0_14default_configENS1_35adjacent_difference_config_selectorILb0ElEEZNS1_24adjacent_difference_implIS3_Lb0ELb0EPlS7_ZN2at6native12_GLOBAL__N_124unique_dim_cuda_templateIlEESt5tupleIJNS8_6TensorESD_SD_EERKSD_lbbbEUlllE1_EE10hipError_tPvRmT2_T3_mT4_P12ihipStream_tbEUlT_E_NS1_11comp_targetILNS1_3genE10ELNS1_11target_archE1201ELNS1_3gpuE5ELNS1_3repE0EEENS1_30default_config_static_selectorELNS0_4arch9wavefront6targetE1EEEvT1_,comdat
	.globl	_ZN7rocprim17ROCPRIM_400000_NS6detail17trampoline_kernelINS0_14default_configENS1_35adjacent_difference_config_selectorILb0ElEEZNS1_24adjacent_difference_implIS3_Lb0ELb0EPlS7_ZN2at6native12_GLOBAL__N_124unique_dim_cuda_templateIlEESt5tupleIJNS8_6TensorESD_SD_EERKSD_lbbbEUlllE1_EE10hipError_tPvRmT2_T3_mT4_P12ihipStream_tbEUlT_E_NS1_11comp_targetILNS1_3genE10ELNS1_11target_archE1201ELNS1_3gpuE5ELNS1_3repE0EEENS1_30default_config_static_selectorELNS0_4arch9wavefront6targetE1EEEvT1_ ; -- Begin function _ZN7rocprim17ROCPRIM_400000_NS6detail17trampoline_kernelINS0_14default_configENS1_35adjacent_difference_config_selectorILb0ElEEZNS1_24adjacent_difference_implIS3_Lb0ELb0EPlS7_ZN2at6native12_GLOBAL__N_124unique_dim_cuda_templateIlEESt5tupleIJNS8_6TensorESD_SD_EERKSD_lbbbEUlllE1_EE10hipError_tPvRmT2_T3_mT4_P12ihipStream_tbEUlT_E_NS1_11comp_targetILNS1_3genE10ELNS1_11target_archE1201ELNS1_3gpuE5ELNS1_3repE0EEENS1_30default_config_static_selectorELNS0_4arch9wavefront6targetE1EEEvT1_
	.p2align	8
	.type	_ZN7rocprim17ROCPRIM_400000_NS6detail17trampoline_kernelINS0_14default_configENS1_35adjacent_difference_config_selectorILb0ElEEZNS1_24adjacent_difference_implIS3_Lb0ELb0EPlS7_ZN2at6native12_GLOBAL__N_124unique_dim_cuda_templateIlEESt5tupleIJNS8_6TensorESD_SD_EERKSD_lbbbEUlllE1_EE10hipError_tPvRmT2_T3_mT4_P12ihipStream_tbEUlT_E_NS1_11comp_targetILNS1_3genE10ELNS1_11target_archE1201ELNS1_3gpuE5ELNS1_3repE0EEENS1_30default_config_static_selectorELNS0_4arch9wavefront6targetE1EEEvT1_,@function
_ZN7rocprim17ROCPRIM_400000_NS6detail17trampoline_kernelINS0_14default_configENS1_35adjacent_difference_config_selectorILb0ElEEZNS1_24adjacent_difference_implIS3_Lb0ELb0EPlS7_ZN2at6native12_GLOBAL__N_124unique_dim_cuda_templateIlEESt5tupleIJNS8_6TensorESD_SD_EERKSD_lbbbEUlllE1_EE10hipError_tPvRmT2_T3_mT4_P12ihipStream_tbEUlT_E_NS1_11comp_targetILNS1_3genE10ELNS1_11target_archE1201ELNS1_3gpuE5ELNS1_3repE0EEENS1_30default_config_static_selectorELNS0_4arch9wavefront6targetE1EEEvT1_: ; @_ZN7rocprim17ROCPRIM_400000_NS6detail17trampoline_kernelINS0_14default_configENS1_35adjacent_difference_config_selectorILb0ElEEZNS1_24adjacent_difference_implIS3_Lb0ELb0EPlS7_ZN2at6native12_GLOBAL__N_124unique_dim_cuda_templateIlEESt5tupleIJNS8_6TensorESD_SD_EERKSD_lbbbEUlllE1_EE10hipError_tPvRmT2_T3_mT4_P12ihipStream_tbEUlT_E_NS1_11comp_targetILNS1_3genE10ELNS1_11target_archE1201ELNS1_3gpuE5ELNS1_3repE0EEENS1_30default_config_static_selectorELNS0_4arch9wavefront6targetE1EEEvT1_
; %bb.0:
	.section	.rodata,"a",@progbits
	.p2align	6, 0x0
	.amdhsa_kernel _ZN7rocprim17ROCPRIM_400000_NS6detail17trampoline_kernelINS0_14default_configENS1_35adjacent_difference_config_selectorILb0ElEEZNS1_24adjacent_difference_implIS3_Lb0ELb0EPlS7_ZN2at6native12_GLOBAL__N_124unique_dim_cuda_templateIlEESt5tupleIJNS8_6TensorESD_SD_EERKSD_lbbbEUlllE1_EE10hipError_tPvRmT2_T3_mT4_P12ihipStream_tbEUlT_E_NS1_11comp_targetILNS1_3genE10ELNS1_11target_archE1201ELNS1_3gpuE5ELNS1_3repE0EEENS1_30default_config_static_selectorELNS0_4arch9wavefront6targetE1EEEvT1_
		.amdhsa_group_segment_fixed_size 0
		.amdhsa_private_segment_fixed_size 0
		.amdhsa_kernarg_size 64
		.amdhsa_user_sgpr_count 6
		.amdhsa_user_sgpr_private_segment_buffer 1
		.amdhsa_user_sgpr_dispatch_ptr 0
		.amdhsa_user_sgpr_queue_ptr 0
		.amdhsa_user_sgpr_kernarg_segment_ptr 1
		.amdhsa_user_sgpr_dispatch_id 0
		.amdhsa_user_sgpr_flat_scratch_init 0
		.amdhsa_user_sgpr_kernarg_preload_length 0
		.amdhsa_user_sgpr_kernarg_preload_offset 0
		.amdhsa_user_sgpr_private_segment_size 0
		.amdhsa_uses_dynamic_stack 0
		.amdhsa_system_sgpr_private_segment_wavefront_offset 0
		.amdhsa_system_sgpr_workgroup_id_x 1
		.amdhsa_system_sgpr_workgroup_id_y 0
		.amdhsa_system_sgpr_workgroup_id_z 0
		.amdhsa_system_sgpr_workgroup_info 0
		.amdhsa_system_vgpr_workitem_id 0
		.amdhsa_next_free_vgpr 1
		.amdhsa_next_free_sgpr 0
		.amdhsa_accum_offset 4
		.amdhsa_reserve_vcc 0
		.amdhsa_reserve_flat_scratch 0
		.amdhsa_float_round_mode_32 0
		.amdhsa_float_round_mode_16_64 0
		.amdhsa_float_denorm_mode_32 3
		.amdhsa_float_denorm_mode_16_64 3
		.amdhsa_dx10_clamp 1
		.amdhsa_ieee_mode 1
		.amdhsa_fp16_overflow 0
		.amdhsa_tg_split 0
		.amdhsa_exception_fp_ieee_invalid_op 0
		.amdhsa_exception_fp_denorm_src 0
		.amdhsa_exception_fp_ieee_div_zero 0
		.amdhsa_exception_fp_ieee_overflow 0
		.amdhsa_exception_fp_ieee_underflow 0
		.amdhsa_exception_fp_ieee_inexact 0
		.amdhsa_exception_int_div_zero 0
	.end_amdhsa_kernel
	.section	.text._ZN7rocprim17ROCPRIM_400000_NS6detail17trampoline_kernelINS0_14default_configENS1_35adjacent_difference_config_selectorILb0ElEEZNS1_24adjacent_difference_implIS3_Lb0ELb0EPlS7_ZN2at6native12_GLOBAL__N_124unique_dim_cuda_templateIlEESt5tupleIJNS8_6TensorESD_SD_EERKSD_lbbbEUlllE1_EE10hipError_tPvRmT2_T3_mT4_P12ihipStream_tbEUlT_E_NS1_11comp_targetILNS1_3genE10ELNS1_11target_archE1201ELNS1_3gpuE5ELNS1_3repE0EEENS1_30default_config_static_selectorELNS0_4arch9wavefront6targetE1EEEvT1_,"axG",@progbits,_ZN7rocprim17ROCPRIM_400000_NS6detail17trampoline_kernelINS0_14default_configENS1_35adjacent_difference_config_selectorILb0ElEEZNS1_24adjacent_difference_implIS3_Lb0ELb0EPlS7_ZN2at6native12_GLOBAL__N_124unique_dim_cuda_templateIlEESt5tupleIJNS8_6TensorESD_SD_EERKSD_lbbbEUlllE1_EE10hipError_tPvRmT2_T3_mT4_P12ihipStream_tbEUlT_E_NS1_11comp_targetILNS1_3genE10ELNS1_11target_archE1201ELNS1_3gpuE5ELNS1_3repE0EEENS1_30default_config_static_selectorELNS0_4arch9wavefront6targetE1EEEvT1_,comdat
.Lfunc_end539:
	.size	_ZN7rocprim17ROCPRIM_400000_NS6detail17trampoline_kernelINS0_14default_configENS1_35adjacent_difference_config_selectorILb0ElEEZNS1_24adjacent_difference_implIS3_Lb0ELb0EPlS7_ZN2at6native12_GLOBAL__N_124unique_dim_cuda_templateIlEESt5tupleIJNS8_6TensorESD_SD_EERKSD_lbbbEUlllE1_EE10hipError_tPvRmT2_T3_mT4_P12ihipStream_tbEUlT_E_NS1_11comp_targetILNS1_3genE10ELNS1_11target_archE1201ELNS1_3gpuE5ELNS1_3repE0EEENS1_30default_config_static_selectorELNS0_4arch9wavefront6targetE1EEEvT1_, .Lfunc_end539-_ZN7rocprim17ROCPRIM_400000_NS6detail17trampoline_kernelINS0_14default_configENS1_35adjacent_difference_config_selectorILb0ElEEZNS1_24adjacent_difference_implIS3_Lb0ELb0EPlS7_ZN2at6native12_GLOBAL__N_124unique_dim_cuda_templateIlEESt5tupleIJNS8_6TensorESD_SD_EERKSD_lbbbEUlllE1_EE10hipError_tPvRmT2_T3_mT4_P12ihipStream_tbEUlT_E_NS1_11comp_targetILNS1_3genE10ELNS1_11target_archE1201ELNS1_3gpuE5ELNS1_3repE0EEENS1_30default_config_static_selectorELNS0_4arch9wavefront6targetE1EEEvT1_
                                        ; -- End function
	.section	.AMDGPU.csdata,"",@progbits
; Kernel info:
; codeLenInByte = 0
; NumSgprs: 4
; NumVgprs: 0
; NumAgprs: 0
; TotalNumVgprs: 0
; ScratchSize: 0
; MemoryBound: 0
; FloatMode: 240
; IeeeMode: 1
; LDSByteSize: 0 bytes/workgroup (compile time only)
; SGPRBlocks: 0
; VGPRBlocks: 0
; NumSGPRsForWavesPerEU: 4
; NumVGPRsForWavesPerEU: 1
; AccumOffset: 4
; Occupancy: 8
; WaveLimiterHint : 0
; COMPUTE_PGM_RSRC2:SCRATCH_EN: 0
; COMPUTE_PGM_RSRC2:USER_SGPR: 6
; COMPUTE_PGM_RSRC2:TRAP_HANDLER: 0
; COMPUTE_PGM_RSRC2:TGID_X_EN: 1
; COMPUTE_PGM_RSRC2:TGID_Y_EN: 0
; COMPUTE_PGM_RSRC2:TGID_Z_EN: 0
; COMPUTE_PGM_RSRC2:TIDIG_COMP_CNT: 0
; COMPUTE_PGM_RSRC3_GFX90A:ACCUM_OFFSET: 0
; COMPUTE_PGM_RSRC3_GFX90A:TG_SPLIT: 0
	.section	.text._ZN7rocprim17ROCPRIM_400000_NS6detail17trampoline_kernelINS0_14default_configENS1_35adjacent_difference_config_selectorILb0ElEEZNS1_24adjacent_difference_implIS3_Lb0ELb0EPlS7_ZN2at6native12_GLOBAL__N_124unique_dim_cuda_templateIlEESt5tupleIJNS8_6TensorESD_SD_EERKSD_lbbbEUlllE1_EE10hipError_tPvRmT2_T3_mT4_P12ihipStream_tbEUlT_E_NS1_11comp_targetILNS1_3genE5ELNS1_11target_archE942ELNS1_3gpuE9ELNS1_3repE0EEENS1_30default_config_static_selectorELNS0_4arch9wavefront6targetE1EEEvT1_,"axG",@progbits,_ZN7rocprim17ROCPRIM_400000_NS6detail17trampoline_kernelINS0_14default_configENS1_35adjacent_difference_config_selectorILb0ElEEZNS1_24adjacent_difference_implIS3_Lb0ELb0EPlS7_ZN2at6native12_GLOBAL__N_124unique_dim_cuda_templateIlEESt5tupleIJNS8_6TensorESD_SD_EERKSD_lbbbEUlllE1_EE10hipError_tPvRmT2_T3_mT4_P12ihipStream_tbEUlT_E_NS1_11comp_targetILNS1_3genE5ELNS1_11target_archE942ELNS1_3gpuE9ELNS1_3repE0EEENS1_30default_config_static_selectorELNS0_4arch9wavefront6targetE1EEEvT1_,comdat
	.globl	_ZN7rocprim17ROCPRIM_400000_NS6detail17trampoline_kernelINS0_14default_configENS1_35adjacent_difference_config_selectorILb0ElEEZNS1_24adjacent_difference_implIS3_Lb0ELb0EPlS7_ZN2at6native12_GLOBAL__N_124unique_dim_cuda_templateIlEESt5tupleIJNS8_6TensorESD_SD_EERKSD_lbbbEUlllE1_EE10hipError_tPvRmT2_T3_mT4_P12ihipStream_tbEUlT_E_NS1_11comp_targetILNS1_3genE5ELNS1_11target_archE942ELNS1_3gpuE9ELNS1_3repE0EEENS1_30default_config_static_selectorELNS0_4arch9wavefront6targetE1EEEvT1_ ; -- Begin function _ZN7rocprim17ROCPRIM_400000_NS6detail17trampoline_kernelINS0_14default_configENS1_35adjacent_difference_config_selectorILb0ElEEZNS1_24adjacent_difference_implIS3_Lb0ELb0EPlS7_ZN2at6native12_GLOBAL__N_124unique_dim_cuda_templateIlEESt5tupleIJNS8_6TensorESD_SD_EERKSD_lbbbEUlllE1_EE10hipError_tPvRmT2_T3_mT4_P12ihipStream_tbEUlT_E_NS1_11comp_targetILNS1_3genE5ELNS1_11target_archE942ELNS1_3gpuE9ELNS1_3repE0EEENS1_30default_config_static_selectorELNS0_4arch9wavefront6targetE1EEEvT1_
	.p2align	8
	.type	_ZN7rocprim17ROCPRIM_400000_NS6detail17trampoline_kernelINS0_14default_configENS1_35adjacent_difference_config_selectorILb0ElEEZNS1_24adjacent_difference_implIS3_Lb0ELb0EPlS7_ZN2at6native12_GLOBAL__N_124unique_dim_cuda_templateIlEESt5tupleIJNS8_6TensorESD_SD_EERKSD_lbbbEUlllE1_EE10hipError_tPvRmT2_T3_mT4_P12ihipStream_tbEUlT_E_NS1_11comp_targetILNS1_3genE5ELNS1_11target_archE942ELNS1_3gpuE9ELNS1_3repE0EEENS1_30default_config_static_selectorELNS0_4arch9wavefront6targetE1EEEvT1_,@function
_ZN7rocprim17ROCPRIM_400000_NS6detail17trampoline_kernelINS0_14default_configENS1_35adjacent_difference_config_selectorILb0ElEEZNS1_24adjacent_difference_implIS3_Lb0ELb0EPlS7_ZN2at6native12_GLOBAL__N_124unique_dim_cuda_templateIlEESt5tupleIJNS8_6TensorESD_SD_EERKSD_lbbbEUlllE1_EE10hipError_tPvRmT2_T3_mT4_P12ihipStream_tbEUlT_E_NS1_11comp_targetILNS1_3genE5ELNS1_11target_archE942ELNS1_3gpuE9ELNS1_3repE0EEENS1_30default_config_static_selectorELNS0_4arch9wavefront6targetE1EEEvT1_: ; @_ZN7rocprim17ROCPRIM_400000_NS6detail17trampoline_kernelINS0_14default_configENS1_35adjacent_difference_config_selectorILb0ElEEZNS1_24adjacent_difference_implIS3_Lb0ELb0EPlS7_ZN2at6native12_GLOBAL__N_124unique_dim_cuda_templateIlEESt5tupleIJNS8_6TensorESD_SD_EERKSD_lbbbEUlllE1_EE10hipError_tPvRmT2_T3_mT4_P12ihipStream_tbEUlT_E_NS1_11comp_targetILNS1_3genE5ELNS1_11target_archE942ELNS1_3gpuE9ELNS1_3repE0EEENS1_30default_config_static_selectorELNS0_4arch9wavefront6targetE1EEEvT1_
; %bb.0:
	.section	.rodata,"a",@progbits
	.p2align	6, 0x0
	.amdhsa_kernel _ZN7rocprim17ROCPRIM_400000_NS6detail17trampoline_kernelINS0_14default_configENS1_35adjacent_difference_config_selectorILb0ElEEZNS1_24adjacent_difference_implIS3_Lb0ELb0EPlS7_ZN2at6native12_GLOBAL__N_124unique_dim_cuda_templateIlEESt5tupleIJNS8_6TensorESD_SD_EERKSD_lbbbEUlllE1_EE10hipError_tPvRmT2_T3_mT4_P12ihipStream_tbEUlT_E_NS1_11comp_targetILNS1_3genE5ELNS1_11target_archE942ELNS1_3gpuE9ELNS1_3repE0EEENS1_30default_config_static_selectorELNS0_4arch9wavefront6targetE1EEEvT1_
		.amdhsa_group_segment_fixed_size 0
		.amdhsa_private_segment_fixed_size 0
		.amdhsa_kernarg_size 64
		.amdhsa_user_sgpr_count 6
		.amdhsa_user_sgpr_private_segment_buffer 1
		.amdhsa_user_sgpr_dispatch_ptr 0
		.amdhsa_user_sgpr_queue_ptr 0
		.amdhsa_user_sgpr_kernarg_segment_ptr 1
		.amdhsa_user_sgpr_dispatch_id 0
		.amdhsa_user_sgpr_flat_scratch_init 0
		.amdhsa_user_sgpr_kernarg_preload_length 0
		.amdhsa_user_sgpr_kernarg_preload_offset 0
		.amdhsa_user_sgpr_private_segment_size 0
		.amdhsa_uses_dynamic_stack 0
		.amdhsa_system_sgpr_private_segment_wavefront_offset 0
		.amdhsa_system_sgpr_workgroup_id_x 1
		.amdhsa_system_sgpr_workgroup_id_y 0
		.amdhsa_system_sgpr_workgroup_id_z 0
		.amdhsa_system_sgpr_workgroup_info 0
		.amdhsa_system_vgpr_workitem_id 0
		.amdhsa_next_free_vgpr 1
		.amdhsa_next_free_sgpr 0
		.amdhsa_accum_offset 4
		.amdhsa_reserve_vcc 0
		.amdhsa_reserve_flat_scratch 0
		.amdhsa_float_round_mode_32 0
		.amdhsa_float_round_mode_16_64 0
		.amdhsa_float_denorm_mode_32 3
		.amdhsa_float_denorm_mode_16_64 3
		.amdhsa_dx10_clamp 1
		.amdhsa_ieee_mode 1
		.amdhsa_fp16_overflow 0
		.amdhsa_tg_split 0
		.amdhsa_exception_fp_ieee_invalid_op 0
		.amdhsa_exception_fp_denorm_src 0
		.amdhsa_exception_fp_ieee_div_zero 0
		.amdhsa_exception_fp_ieee_overflow 0
		.amdhsa_exception_fp_ieee_underflow 0
		.amdhsa_exception_fp_ieee_inexact 0
		.amdhsa_exception_int_div_zero 0
	.end_amdhsa_kernel
	.section	.text._ZN7rocprim17ROCPRIM_400000_NS6detail17trampoline_kernelINS0_14default_configENS1_35adjacent_difference_config_selectorILb0ElEEZNS1_24adjacent_difference_implIS3_Lb0ELb0EPlS7_ZN2at6native12_GLOBAL__N_124unique_dim_cuda_templateIlEESt5tupleIJNS8_6TensorESD_SD_EERKSD_lbbbEUlllE1_EE10hipError_tPvRmT2_T3_mT4_P12ihipStream_tbEUlT_E_NS1_11comp_targetILNS1_3genE5ELNS1_11target_archE942ELNS1_3gpuE9ELNS1_3repE0EEENS1_30default_config_static_selectorELNS0_4arch9wavefront6targetE1EEEvT1_,"axG",@progbits,_ZN7rocprim17ROCPRIM_400000_NS6detail17trampoline_kernelINS0_14default_configENS1_35adjacent_difference_config_selectorILb0ElEEZNS1_24adjacent_difference_implIS3_Lb0ELb0EPlS7_ZN2at6native12_GLOBAL__N_124unique_dim_cuda_templateIlEESt5tupleIJNS8_6TensorESD_SD_EERKSD_lbbbEUlllE1_EE10hipError_tPvRmT2_T3_mT4_P12ihipStream_tbEUlT_E_NS1_11comp_targetILNS1_3genE5ELNS1_11target_archE942ELNS1_3gpuE9ELNS1_3repE0EEENS1_30default_config_static_selectorELNS0_4arch9wavefront6targetE1EEEvT1_,comdat
.Lfunc_end540:
	.size	_ZN7rocprim17ROCPRIM_400000_NS6detail17trampoline_kernelINS0_14default_configENS1_35adjacent_difference_config_selectorILb0ElEEZNS1_24adjacent_difference_implIS3_Lb0ELb0EPlS7_ZN2at6native12_GLOBAL__N_124unique_dim_cuda_templateIlEESt5tupleIJNS8_6TensorESD_SD_EERKSD_lbbbEUlllE1_EE10hipError_tPvRmT2_T3_mT4_P12ihipStream_tbEUlT_E_NS1_11comp_targetILNS1_3genE5ELNS1_11target_archE942ELNS1_3gpuE9ELNS1_3repE0EEENS1_30default_config_static_selectorELNS0_4arch9wavefront6targetE1EEEvT1_, .Lfunc_end540-_ZN7rocprim17ROCPRIM_400000_NS6detail17trampoline_kernelINS0_14default_configENS1_35adjacent_difference_config_selectorILb0ElEEZNS1_24adjacent_difference_implIS3_Lb0ELb0EPlS7_ZN2at6native12_GLOBAL__N_124unique_dim_cuda_templateIlEESt5tupleIJNS8_6TensorESD_SD_EERKSD_lbbbEUlllE1_EE10hipError_tPvRmT2_T3_mT4_P12ihipStream_tbEUlT_E_NS1_11comp_targetILNS1_3genE5ELNS1_11target_archE942ELNS1_3gpuE9ELNS1_3repE0EEENS1_30default_config_static_selectorELNS0_4arch9wavefront6targetE1EEEvT1_
                                        ; -- End function
	.section	.AMDGPU.csdata,"",@progbits
; Kernel info:
; codeLenInByte = 0
; NumSgprs: 4
; NumVgprs: 0
; NumAgprs: 0
; TotalNumVgprs: 0
; ScratchSize: 0
; MemoryBound: 0
; FloatMode: 240
; IeeeMode: 1
; LDSByteSize: 0 bytes/workgroup (compile time only)
; SGPRBlocks: 0
; VGPRBlocks: 0
; NumSGPRsForWavesPerEU: 4
; NumVGPRsForWavesPerEU: 1
; AccumOffset: 4
; Occupancy: 8
; WaveLimiterHint : 0
; COMPUTE_PGM_RSRC2:SCRATCH_EN: 0
; COMPUTE_PGM_RSRC2:USER_SGPR: 6
; COMPUTE_PGM_RSRC2:TRAP_HANDLER: 0
; COMPUTE_PGM_RSRC2:TGID_X_EN: 1
; COMPUTE_PGM_RSRC2:TGID_Y_EN: 0
; COMPUTE_PGM_RSRC2:TGID_Z_EN: 0
; COMPUTE_PGM_RSRC2:TIDIG_COMP_CNT: 0
; COMPUTE_PGM_RSRC3_GFX90A:ACCUM_OFFSET: 0
; COMPUTE_PGM_RSRC3_GFX90A:TG_SPLIT: 0
	.section	.text._ZN7rocprim17ROCPRIM_400000_NS6detail17trampoline_kernelINS0_14default_configENS1_35adjacent_difference_config_selectorILb0ElEEZNS1_24adjacent_difference_implIS3_Lb0ELb0EPlS7_ZN2at6native12_GLOBAL__N_124unique_dim_cuda_templateIlEESt5tupleIJNS8_6TensorESD_SD_EERKSD_lbbbEUlllE1_EE10hipError_tPvRmT2_T3_mT4_P12ihipStream_tbEUlT_E_NS1_11comp_targetILNS1_3genE4ELNS1_11target_archE910ELNS1_3gpuE8ELNS1_3repE0EEENS1_30default_config_static_selectorELNS0_4arch9wavefront6targetE1EEEvT1_,"axG",@progbits,_ZN7rocprim17ROCPRIM_400000_NS6detail17trampoline_kernelINS0_14default_configENS1_35adjacent_difference_config_selectorILb0ElEEZNS1_24adjacent_difference_implIS3_Lb0ELb0EPlS7_ZN2at6native12_GLOBAL__N_124unique_dim_cuda_templateIlEESt5tupleIJNS8_6TensorESD_SD_EERKSD_lbbbEUlllE1_EE10hipError_tPvRmT2_T3_mT4_P12ihipStream_tbEUlT_E_NS1_11comp_targetILNS1_3genE4ELNS1_11target_archE910ELNS1_3gpuE8ELNS1_3repE0EEENS1_30default_config_static_selectorELNS0_4arch9wavefront6targetE1EEEvT1_,comdat
	.globl	_ZN7rocprim17ROCPRIM_400000_NS6detail17trampoline_kernelINS0_14default_configENS1_35adjacent_difference_config_selectorILb0ElEEZNS1_24adjacent_difference_implIS3_Lb0ELb0EPlS7_ZN2at6native12_GLOBAL__N_124unique_dim_cuda_templateIlEESt5tupleIJNS8_6TensorESD_SD_EERKSD_lbbbEUlllE1_EE10hipError_tPvRmT2_T3_mT4_P12ihipStream_tbEUlT_E_NS1_11comp_targetILNS1_3genE4ELNS1_11target_archE910ELNS1_3gpuE8ELNS1_3repE0EEENS1_30default_config_static_selectorELNS0_4arch9wavefront6targetE1EEEvT1_ ; -- Begin function _ZN7rocprim17ROCPRIM_400000_NS6detail17trampoline_kernelINS0_14default_configENS1_35adjacent_difference_config_selectorILb0ElEEZNS1_24adjacent_difference_implIS3_Lb0ELb0EPlS7_ZN2at6native12_GLOBAL__N_124unique_dim_cuda_templateIlEESt5tupleIJNS8_6TensorESD_SD_EERKSD_lbbbEUlllE1_EE10hipError_tPvRmT2_T3_mT4_P12ihipStream_tbEUlT_E_NS1_11comp_targetILNS1_3genE4ELNS1_11target_archE910ELNS1_3gpuE8ELNS1_3repE0EEENS1_30default_config_static_selectorELNS0_4arch9wavefront6targetE1EEEvT1_
	.p2align	8
	.type	_ZN7rocprim17ROCPRIM_400000_NS6detail17trampoline_kernelINS0_14default_configENS1_35adjacent_difference_config_selectorILb0ElEEZNS1_24adjacent_difference_implIS3_Lb0ELb0EPlS7_ZN2at6native12_GLOBAL__N_124unique_dim_cuda_templateIlEESt5tupleIJNS8_6TensorESD_SD_EERKSD_lbbbEUlllE1_EE10hipError_tPvRmT2_T3_mT4_P12ihipStream_tbEUlT_E_NS1_11comp_targetILNS1_3genE4ELNS1_11target_archE910ELNS1_3gpuE8ELNS1_3repE0EEENS1_30default_config_static_selectorELNS0_4arch9wavefront6targetE1EEEvT1_,@function
_ZN7rocprim17ROCPRIM_400000_NS6detail17trampoline_kernelINS0_14default_configENS1_35adjacent_difference_config_selectorILb0ElEEZNS1_24adjacent_difference_implIS3_Lb0ELb0EPlS7_ZN2at6native12_GLOBAL__N_124unique_dim_cuda_templateIlEESt5tupleIJNS8_6TensorESD_SD_EERKSD_lbbbEUlllE1_EE10hipError_tPvRmT2_T3_mT4_P12ihipStream_tbEUlT_E_NS1_11comp_targetILNS1_3genE4ELNS1_11target_archE910ELNS1_3gpuE8ELNS1_3repE0EEENS1_30default_config_static_selectorELNS0_4arch9wavefront6targetE1EEEvT1_: ; @_ZN7rocprim17ROCPRIM_400000_NS6detail17trampoline_kernelINS0_14default_configENS1_35adjacent_difference_config_selectorILb0ElEEZNS1_24adjacent_difference_implIS3_Lb0ELb0EPlS7_ZN2at6native12_GLOBAL__N_124unique_dim_cuda_templateIlEESt5tupleIJNS8_6TensorESD_SD_EERKSD_lbbbEUlllE1_EE10hipError_tPvRmT2_T3_mT4_P12ihipStream_tbEUlT_E_NS1_11comp_targetILNS1_3genE4ELNS1_11target_archE910ELNS1_3gpuE8ELNS1_3repE0EEENS1_30default_config_static_selectorELNS0_4arch9wavefront6targetE1EEEvT1_
; %bb.0:
	s_load_dwordx8 s[8:15], s[4:5], 0x0
	s_load_dwordx4 s[16:19], s[4:5], 0x20
	s_load_dwordx2 s[0:1], s[4:5], 0x38
	s_waitcnt lgkmcnt(0)
	s_lshl_b64 s[10:11], s[10:11], 3
	s_add_u32 s24, s8, s10
	s_addc_u32 s25, s9, s11
	s_mov_b32 s9, 0
	s_lshl_b32 s8, s6, 9
	s_lshr_b64 s[2:3], s[14:15], 9
	s_and_b32 s4, s14, 0x1ff
	s_mov_b32 s5, s9
	s_cmp_lg_u64 s[4:5], 0
	s_cselect_b64 s[4:5], -1, 0
	v_cndmask_b32_e64 v1, 0, 1, s[4:5]
	v_readfirstlane_b32 s4, v1
	s_add_u32 s22, s2, s4
	s_addc_u32 s23, s3, 0
	s_add_u32 s26, s0, s6
	s_addc_u32 s27, s1, 0
	s_add_u32 s6, s22, -1
	s_addc_u32 s7, s23, -1
	v_pk_mov_b32 v[2:3], s[6:7], s[6:7] op_sel:[0,1]
	v_cmp_ge_u64_e64 s[0:1], s[26:27], v[2:3]
	s_mov_b64 s[2:3], -1
	s_and_b64 vcc, exec, s[0:1]
	s_cbranch_vccz .LBB541_6
; %bb.1:
	s_lshl_b32 s2, s6, 9
	s_sub_i32 s15, s14, s2
	s_lshl_b64 s[2:3], s[8:9], 3
	s_add_u32 s2, s24, s2
	s_addc_u32 s3, s25, s3
	v_cmp_gt_u32_e32 vcc, s15, v0
                                        ; implicit-def: $vgpr2_vgpr3_vgpr4_vgpr5
	s_and_saveexec_b64 s[4:5], vcc
	s_cbranch_execz .LBB541_3
; %bb.2:
	v_lshlrev_b32_e32 v1, 3, v0
	global_load_dwordx2 v[2:3], v1, s[2:3]
.LBB541_3:
	s_or_b64 exec, exec, s[4:5]
	v_or_b32_e32 v1, 0x100, v0
	v_cmp_gt_u32_e32 vcc, s15, v1
	s_and_saveexec_b64 s[4:5], vcc
	s_cbranch_execz .LBB541_5
; %bb.4:
	v_lshlrev_b32_e32 v4, 3, v0
	global_load_dwordx2 v[4:5], v4, s[2:3] offset:2048
.LBB541_5:
	s_or_b64 exec, exec, s[4:5]
	v_lshrrev_b32_e32 v6, 2, v0
	v_lshrrev_b32_e32 v1, 2, v1
	v_and_b32_e32 v6, 56, v6
	v_lshlrev_b32_e32 v7, 3, v0
	v_and_b32_e32 v1, 0x78, v1
	v_add_u32_e32 v6, v6, v7
	v_add_u32_e32 v1, v1, v7
	s_mov_b64 s[2:3], 0
	s_waitcnt vmcnt(0)
	ds_write_b64 v6, v[2:3]
	ds_write_b64 v1, v[4:5] offset:2048
	s_waitcnt lgkmcnt(0)
	s_barrier
.LBB541_6:
	s_and_b64 vcc, exec, s[2:3]
	v_lshlrev_b32_e32 v1, 3, v0
	s_cbranch_vccz .LBB541_8
; %bb.7:
	s_lshl_b64 s[2:3], s[8:9], 3
	s_add_u32 s2, s24, s2
	s_addc_u32 s3, s25, s3
	global_load_dwordx2 v[2:3], v1, s[2:3]
	global_load_dwordx2 v[4:5], v1, s[2:3] offset:2048
	v_lshrrev_b32_e32 v6, 2, v0
	v_or_b32_e32 v7, 0x100, v0
	v_and_b32_e32 v6, 56, v6
	v_lshrrev_b32_e32 v7, 2, v7
	v_add_u32_e32 v6, v6, v1
	v_and_b32_e32 v7, 0x78, v7
	v_add_u32_e32 v7, v7, v1
	s_waitcnt vmcnt(1)
	ds_write_b64 v6, v[2:3]
	s_waitcnt vmcnt(0)
	ds_write_b64 v7, v[4:5] offset:2048
	s_waitcnt lgkmcnt(0)
	s_barrier
.LBB541_8:
	v_lshlrev_b32_e32 v2, 1, v0
	v_lshrrev_b32_e32 v3, 4, v0
	v_add_lshl_u32 v2, v3, v2, 3
	ds_read2_b64 v[2:5], v2 offset1:1
	s_cmp_eq_u64 s[26:27], 0
	s_mov_b64 s[20:21], 0
	s_waitcnt lgkmcnt(0)
	s_barrier
	s_cbranch_scc1 .LBB541_17
; %bb.9:
	s_lshl_b64 s[2:3], s[8:9], 3
	s_add_u32 s2, s24, s2
	s_addc_u32 s3, s25, s3
	s_add_u32 s2, s2, -8
	s_addc_u32 s3, s3, -1
	s_load_dwordx2 s[24:25], s[2:3], 0x0
	s_cmp_lg_u64 s[26:27], s[6:7]
	s_cbranch_scc0 .LBB541_18
; %bb.10:
	v_cmp_lt_i64_e64 s[2:3], s[16:17], 1
	v_pk_mov_b32 v[8:9], 0, 0
	v_cmp_gt_i64_e64 s[20:21], s[16:17], 0
	s_and_b64 vcc, exec, s[2:3]
	ds_write_b64 v1, v[4:5]
	s_cbranch_vccnz .LBB541_21
; %bb.11:
	v_mul_lo_u32 v8, v5, s16
	v_mul_lo_u32 v9, v4, s17
	v_mad_u64_u32 v[6:7], s[2:3], v4, s16, 0
	v_add3_u32 v7, v7, v9, v8
	v_mul_lo_u32 v10, v3, s16
	v_mul_lo_u32 v11, v2, s17
	v_mad_u64_u32 v[8:9], s[2:3], v2, s16, 0
	v_add3_u32 v9, v9, v11, v10
	v_lshlrev_b64 v[10:11], 3, v[6:7]
	v_mov_b32_e32 v6, s19
	v_add_co_u32_e32 v12, vcc, s18, v10
	v_addc_co_u32_e64 v13, s[2:3], v6, v11, vcc
	v_lshlrev_b64 v[6:7], 3, v[8:9]
	v_mov_b32_e32 v8, s19
	v_add_co_u32_e64 v14, s[2:3], s18, v6
	v_addc_co_u32_e64 v15, s[4:5], v8, v7, s[2:3]
	global_load_dwordx2 v[8:9], v[12:13], off
	global_load_dwordx2 v[16:17], v[14:15], off
	s_waitcnt vmcnt(0)
	v_cmp_eq_u64_e64 s[4:5], v[8:9], v[16:17]
	v_mov_b32_e32 v8, 1
	v_mov_b32_e32 v9, 0
	s_and_saveexec_b64 s[28:29], s[4:5]
	s_cbranch_execz .LBB541_20
; %bb.12:
	v_mov_b32_e32 v6, s19
	v_addc_co_u32_e64 v7, s[2:3], v7, v6, s[2:3]
	v_add_co_u32_e64 v6, s[2:3], 8, v14
	v_mov_b32_e32 v8, s19
	v_addc_co_u32_e64 v7, s[2:3], 0, v7, s[2:3]
	v_addc_co_u32_e32 v9, vcc, v11, v8, vcc
	v_add_co_u32_e32 v8, vcc, 8, v12
	s_add_u32 s2, s16, -1
	v_addc_co_u32_e32 v9, vcc, 0, v9, vcc
	s_addc_u32 s3, s17, -1
	s_mov_b64 s[4:5], 0
	s_mov_b64 s[34:35], 0
                                        ; implicit-def: $sgpr30_sgpr31
	s_branch .LBB541_15
.LBB541_13:                             ;   in Loop: Header=BB541_15 Depth=1
	global_load_dwordx2 v[10:11], v[8:9], off
	global_load_dwordx2 v[12:13], v[6:7], off
	v_add_co_u32_e32 v6, vcc, 8, v6
	v_addc_co_u32_e32 v7, vcc, 0, v7, vcc
	v_add_co_u32_e32 v8, vcc, 8, v8
	v_addc_co_u32_e32 v9, vcc, 0, v9, vcc
	s_add_u32 s34, s34, 1
	s_addc_u32 s35, s35, 0
	s_andn2_b64 s[30:31], s[30:31], exec
	s_waitcnt vmcnt(0)
	v_cmp_ne_u64_e32 vcc, v[10:11], v[12:13]
	s_and_b64 s[36:37], vcc, exec
	s_or_b64 s[30:31], s[30:31], s[36:37]
.LBB541_14:                             ;   in Loop: Header=BB541_15 Depth=1
	s_and_b64 s[36:37], exec, s[30:31]
	s_or_b64 s[4:5], s[36:37], s[4:5]
	v_pk_mov_b32 v[10:11], s[34:35], s[34:35] op_sel:[0,1]
	s_andn2_b64 exec, exec, s[4:5]
	s_cbranch_execz .LBB541_19
.LBB541_15:                             ; =>This Inner Loop Header: Depth=1
	s_or_b64 s[30:31], s[30:31], exec
	s_cmp_eq_u64 s[2:3], s[34:35]
	s_cbranch_scc0 .LBB541_13
; %bb.16:                               ;   in Loop: Header=BB541_15 Depth=1
                                        ; implicit-def: $vgpr6_vgpr7
                                        ; implicit-def: $vgpr8_vgpr9
	s_mov_b64 s[34:35], s[16:17]
	s_branch .LBB541_14
.LBB541_17:
                                        ; implicit-def: $sgpr28_sgpr29
                                        ; implicit-def: $vgpr8_vgpr9
	s_cbranch_execnz .LBB541_60
	s_branch .LBB541_108
.LBB541_18:
                                        ; implicit-def: $sgpr28_sgpr29
                                        ; implicit-def: $vgpr8_vgpr9
	s_cbranch_execnz .LBB541_33
	s_branch .LBB541_59
.LBB541_19:
	s_or_b64 exec, exec, s[4:5]
	v_cmp_gt_i64_e32 vcc, s[16:17], v[10:11]
	s_mov_b32 s2, 0
	v_cndmask_b32_e64 v8, 0, 1, vcc
	v_mov_b32_e32 v9, s2
.LBB541_20:
	s_or_b64 exec, exec, s[28:29]
.LBB541_21:
	v_cmp_ne_u32_e32 vcc, 0, v0
	s_waitcnt lgkmcnt(0)
	v_pk_mov_b32 v[6:7], s[24:25], s[24:25] op_sel:[0,1]
	s_barrier
	s_and_saveexec_b64 s[2:3], vcc
	s_cbranch_execz .LBB541_23
; %bb.22:
	v_add_u32_e32 v6, -8, v1
	ds_read_b64 v[6:7], v6
.LBB541_23:
	s_or_b64 exec, exec, s[2:3]
	s_mov_b64 s[30:31], 0
	s_andn2_b64 vcc, exec, s[20:21]
	s_mov_b64 s[28:29], 0
	s_cbranch_vccnz .LBB541_32
; %bb.24:
	v_mul_lo_u32 v12, v3, s16
	v_mul_lo_u32 v13, v2, s17
	v_mad_u64_u32 v[10:11], s[2:3], v2, s16, 0
	v_add3_u32 v11, v11, v13, v12
	s_waitcnt lgkmcnt(0)
	v_mul_lo_u32 v12, v7, s16
	v_mul_lo_u32 v13, v6, s17
	v_mad_u64_u32 v[6:7], s[2:3], v6, s16, 0
	v_lshlrev_b64 v[10:11], 3, v[10:11]
	v_add3_u32 v7, v7, v13, v12
	v_mov_b32_e32 v13, s19
	v_add_co_u32_e32 v12, vcc, s18, v10
	v_addc_co_u32_e64 v13, s[2:3], v13, v11, vcc
	v_lshlrev_b64 v[6:7], 3, v[6:7]
	v_mov_b32_e32 v10, s19
	v_add_co_u32_e64 v14, s[2:3], s18, v6
	v_addc_co_u32_e64 v15, s[4:5], v10, v7, s[2:3]
	global_load_dwordx2 v[16:17], v[12:13], off
	global_load_dwordx2 v[18:19], v[14:15], off
	s_mov_b64 s[28:29], -1
	s_waitcnt vmcnt(0)
	v_cmp_eq_u64_e64 s[4:5], v[16:17], v[18:19]
	s_and_saveexec_b64 s[20:21], s[4:5]
	s_cbranch_execz .LBB541_31
; %bb.25:
	v_mov_b32_e32 v6, s19
	v_addc_co_u32_e64 v7, s[2:3], v7, v6, s[2:3]
	v_add_co_u32_e64 v6, s[2:3], 8, v14
	v_mov_b32_e32 v10, s19
	v_addc_co_u32_e64 v7, s[2:3], 0, v7, s[2:3]
	v_addc_co_u32_e32 v11, vcc, v11, v10, vcc
	v_add_co_u32_e32 v10, vcc, 8, v12
	s_add_u32 s2, s16, -1
	v_addc_co_u32_e32 v11, vcc, 0, v11, vcc
	s_addc_u32 s3, s17, -1
	s_mov_b64 s[4:5], 0
	s_mov_b64 s[34:35], 0
                                        ; implicit-def: $sgpr28_sgpr29
	s_branch .LBB541_28
.LBB541_26:                             ;   in Loop: Header=BB541_28 Depth=1
	global_load_dwordx2 v[12:13], v[10:11], off
	global_load_dwordx2 v[14:15], v[6:7], off
	v_add_co_u32_e32 v6, vcc, 8, v6
	v_addc_co_u32_e32 v7, vcc, 0, v7, vcc
	v_add_co_u32_e32 v10, vcc, 8, v10
	v_addc_co_u32_e32 v11, vcc, 0, v11, vcc
	s_add_u32 s34, s34, 1
	s_addc_u32 s35, s35, 0
	s_andn2_b64 s[28:29], s[28:29], exec
	s_waitcnt vmcnt(0)
	v_cmp_ne_u64_e32 vcc, v[12:13], v[14:15]
	s_and_b64 s[36:37], vcc, exec
	s_or_b64 s[28:29], s[28:29], s[36:37]
.LBB541_27:                             ;   in Loop: Header=BB541_28 Depth=1
	s_and_b64 s[36:37], exec, s[28:29]
	s_or_b64 s[4:5], s[36:37], s[4:5]
	v_pk_mov_b32 v[12:13], s[34:35], s[34:35] op_sel:[0,1]
	s_andn2_b64 exec, exec, s[4:5]
	s_cbranch_execz .LBB541_30
.LBB541_28:                             ; =>This Inner Loop Header: Depth=1
	s_or_b64 s[28:29], s[28:29], exec
	s_cmp_eq_u64 s[2:3], s[34:35]
	s_cbranch_scc0 .LBB541_26
; %bb.29:                               ;   in Loop: Header=BB541_28 Depth=1
                                        ; implicit-def: $vgpr6_vgpr7
                                        ; implicit-def: $vgpr10_vgpr11
	s_mov_b64 s[34:35], s[16:17]
	s_branch .LBB541_27
.LBB541_30:
	s_or_b64 exec, exec, s[4:5]
	v_cmp_gt_i64_e32 vcc, s[16:17], v[12:13]
	s_orn2_b64 s[28:29], vcc, exec
.LBB541_31:
	s_or_b64 exec, exec, s[20:21]
.LBB541_32:
	s_mov_b64 s[20:21], -1
	s_and_b64 vcc, exec, s[30:31]
	s_cbranch_vccz .LBB541_59
.LBB541_33:
	s_lshl_b32 s2, s26, 9
	v_lshlrev_b32_e32 v16, 1, v0
	s_sub_i32 s7, s14, s2
	s_waitcnt lgkmcnt(0)
	v_or_b32_e32 v6, 1, v16
	v_cmp_gt_u32_e32 vcc, s7, v6
	v_pk_mov_b32 v[8:9], v[4:5], v[4:5] op_sel:[0,1]
	ds_write_b64 v1, v[4:5]
	v_pk_mov_b32 v[6:7], v[2:3], v[2:3] op_sel:[0,1]
	s_and_saveexec_b64 s[26:27], vcc
	s_cbranch_execz .LBB541_44
; %bb.34:
	v_cmp_lt_i64_e64 s[2:3], s[16:17], 1
	s_and_b64 vcc, exec, s[2:3]
	s_cbranch_vccnz .LBB541_41
; %bb.35:
	v_mul_lo_u32 v8, v5, s16
	v_mul_lo_u32 v9, v4, s17
	v_mad_u64_u32 v[6:7], s[2:3], v4, s16, 0
	v_add3_u32 v7, v7, v9, v8
	v_mul_lo_u32 v10, v3, s16
	v_mul_lo_u32 v11, v2, s17
	v_mad_u64_u32 v[8:9], s[2:3], v2, s16, 0
	v_add3_u32 v9, v9, v11, v10
	v_lshlrev_b64 v[10:11], 3, v[6:7]
	v_mov_b32_e32 v6, s19
	v_add_co_u32_e32 v12, vcc, s18, v10
	v_addc_co_u32_e64 v13, s[2:3], v6, v11, vcc
	v_lshlrev_b64 v[6:7], 3, v[8:9]
	v_mov_b32_e32 v8, s19
	v_add_co_u32_e64 v14, s[2:3], s18, v6
	v_addc_co_u32_e64 v15, s[4:5], v8, v7, s[2:3]
	global_load_dwordx2 v[8:9], v[12:13], off
	global_load_dwordx2 v[18:19], v[14:15], off
	s_waitcnt vmcnt(0)
	v_cmp_eq_u64_e64 s[4:5], v[8:9], v[18:19]
	v_mov_b32_e32 v8, 1
	v_mov_b32_e32 v9, 0
	s_and_saveexec_b64 s[28:29], s[4:5]
	s_cbranch_execz .LBB541_43
; %bb.36:
	v_mov_b32_e32 v6, s19
	v_addc_co_u32_e64 v7, s[2:3], v7, v6, s[2:3]
	v_add_co_u32_e64 v6, s[2:3], 8, v14
	v_mov_b32_e32 v8, s19
	v_addc_co_u32_e64 v7, s[2:3], 0, v7, s[2:3]
	v_addc_co_u32_e32 v9, vcc, v11, v8, vcc
	v_add_co_u32_e32 v8, vcc, 8, v12
	s_add_u32 s2, s16, -1
	v_addc_co_u32_e32 v9, vcc, 0, v9, vcc
	s_addc_u32 s3, s17, -1
	s_mov_b64 s[4:5], 0
	s_mov_b64 s[34:35], 0
                                        ; implicit-def: $sgpr30_sgpr31
	s_branch .LBB541_39
.LBB541_37:                             ;   in Loop: Header=BB541_39 Depth=1
	global_load_dwordx2 v[10:11], v[8:9], off
	global_load_dwordx2 v[12:13], v[6:7], off
	v_add_co_u32_e32 v6, vcc, 8, v6
	v_addc_co_u32_e32 v7, vcc, 0, v7, vcc
	v_add_co_u32_e32 v8, vcc, 8, v8
	v_addc_co_u32_e32 v9, vcc, 0, v9, vcc
	s_add_u32 s34, s34, 1
	s_addc_u32 s35, s35, 0
	s_andn2_b64 s[30:31], s[30:31], exec
	s_waitcnt vmcnt(0)
	v_cmp_ne_u64_e32 vcc, v[10:11], v[12:13]
	s_and_b64 s[36:37], vcc, exec
	s_or_b64 s[30:31], s[30:31], s[36:37]
.LBB541_38:                             ;   in Loop: Header=BB541_39 Depth=1
	s_and_b64 s[36:37], exec, s[30:31]
	s_or_b64 s[4:5], s[36:37], s[4:5]
	v_pk_mov_b32 v[10:11], s[34:35], s[34:35] op_sel:[0,1]
	s_andn2_b64 exec, exec, s[4:5]
	s_cbranch_execz .LBB541_42
.LBB541_39:                             ; =>This Inner Loop Header: Depth=1
	s_or_b64 s[30:31], s[30:31], exec
	s_cmp_eq_u64 s[2:3], s[34:35]
	s_cbranch_scc0 .LBB541_37
; %bb.40:                               ;   in Loop: Header=BB541_39 Depth=1
                                        ; implicit-def: $vgpr6_vgpr7
                                        ; implicit-def: $vgpr8_vgpr9
	s_mov_b64 s[34:35], s[16:17]
	s_branch .LBB541_38
.LBB541_41:
	v_pk_mov_b32 v[8:9], 0, 0
	s_branch .LBB541_44
.LBB541_42:
	s_or_b64 exec, exec, s[4:5]
	v_cmp_gt_i64_e32 vcc, s[16:17], v[10:11]
	s_mov_b32 s2, 0
	v_cndmask_b32_e64 v8, 0, 1, vcc
	v_mov_b32_e32 v9, s2
.LBB541_43:
	s_or_b64 exec, exec, s[28:29]
.LBB541_44:
	s_or_b64 exec, exec, s[26:27]
	v_cmp_ne_u32_e32 vcc, 0, v0
	v_pk_mov_b32 v[6:7], s[24:25], s[24:25] op_sel:[0,1]
	s_waitcnt lgkmcnt(0)
	s_barrier
	s_and_saveexec_b64 s[2:3], vcc
	s_cbranch_execz .LBB541_46
; %bb.45:
	v_add_u32_e32 v6, -8, v1
	ds_read_b64 v[6:7], v6
.LBB541_46:
	s_or_b64 exec, exec, s[2:3]
	v_cmp_gt_u32_e32 vcc, s7, v16
                                        ; implicit-def: $sgpr28_sgpr29
	s_and_saveexec_b64 s[24:25], vcc
	s_cbranch_execz .LBB541_58
; %bb.47:
	v_cmp_lt_i64_e64 s[2:3], s[16:17], 1
	s_and_b64 vcc, exec, s[2:3]
	s_cbranch_vccnz .LBB541_54
; %bb.48:
	v_mul_lo_u32 v12, v3, s16
	v_mul_lo_u32 v13, v2, s17
	v_mad_u64_u32 v[10:11], s[2:3], v2, s16, 0
	v_add3_u32 v11, v11, v13, v12
	s_waitcnt lgkmcnt(0)
	v_mul_lo_u32 v12, v7, s16
	v_mul_lo_u32 v13, v6, s17
	v_mad_u64_u32 v[6:7], s[2:3], v6, s16, 0
	v_lshlrev_b64 v[10:11], 3, v[10:11]
	v_add3_u32 v7, v7, v13, v12
	v_mov_b32_e32 v13, s19
	v_add_co_u32_e32 v12, vcc, s18, v10
	v_addc_co_u32_e64 v13, s[2:3], v13, v11, vcc
	v_lshlrev_b64 v[6:7], 3, v[6:7]
	v_mov_b32_e32 v10, s19
	v_add_co_u32_e64 v14, s[2:3], s18, v6
	v_addc_co_u32_e64 v15, s[4:5], v10, v7, s[2:3]
	global_load_dwordx2 v[16:17], v[12:13], off
	global_load_dwordx2 v[18:19], v[14:15], off
	s_mov_b64 s[28:29], -1
	s_waitcnt vmcnt(0)
	v_cmp_eq_u64_e64 s[4:5], v[16:17], v[18:19]
	s_and_saveexec_b64 s[26:27], s[4:5]
	s_cbranch_execz .LBB541_56
; %bb.49:
	v_mov_b32_e32 v6, s19
	v_addc_co_u32_e64 v7, s[2:3], v7, v6, s[2:3]
	v_add_co_u32_e64 v6, s[2:3], 8, v14
	v_mov_b32_e32 v10, s19
	v_addc_co_u32_e64 v7, s[2:3], 0, v7, s[2:3]
	v_addc_co_u32_e32 v11, vcc, v11, v10, vcc
	v_add_co_u32_e32 v10, vcc, 8, v12
	s_add_u32 s2, s16, -1
	v_addc_co_u32_e32 v11, vcc, 0, v11, vcc
	s_addc_u32 s3, s17, -1
	s_mov_b64 s[4:5], 0
	s_mov_b64 s[30:31], 0
                                        ; implicit-def: $sgpr28_sgpr29
	s_branch .LBB541_52
.LBB541_50:                             ;   in Loop: Header=BB541_52 Depth=1
	global_load_dwordx2 v[12:13], v[10:11], off
	global_load_dwordx2 v[14:15], v[6:7], off
	v_add_co_u32_e32 v6, vcc, 8, v6
	v_addc_co_u32_e32 v7, vcc, 0, v7, vcc
	v_add_co_u32_e32 v10, vcc, 8, v10
	v_addc_co_u32_e32 v11, vcc, 0, v11, vcc
	s_add_u32 s30, s30, 1
	s_addc_u32 s31, s31, 0
	s_andn2_b64 s[28:29], s[28:29], exec
	s_waitcnt vmcnt(0)
	v_cmp_ne_u64_e32 vcc, v[12:13], v[14:15]
	s_and_b64 s[34:35], vcc, exec
	s_or_b64 s[28:29], s[28:29], s[34:35]
.LBB541_51:                             ;   in Loop: Header=BB541_52 Depth=1
	s_and_b64 s[34:35], exec, s[28:29]
	s_or_b64 s[4:5], s[34:35], s[4:5]
	v_pk_mov_b32 v[12:13], s[30:31], s[30:31] op_sel:[0,1]
	s_andn2_b64 exec, exec, s[4:5]
	s_cbranch_execz .LBB541_55
.LBB541_52:                             ; =>This Inner Loop Header: Depth=1
	s_or_b64 s[28:29], s[28:29], exec
	s_cmp_eq_u64 s[2:3], s[30:31]
	s_cbranch_scc0 .LBB541_50
; %bb.53:                               ;   in Loop: Header=BB541_52 Depth=1
                                        ; implicit-def: $vgpr6_vgpr7
                                        ; implicit-def: $vgpr10_vgpr11
	s_mov_b64 s[30:31], s[16:17]
	s_branch .LBB541_51
.LBB541_54:
	s_mov_b64 s[28:29], 0
	s_branch .LBB541_57
.LBB541_55:
	s_or_b64 exec, exec, s[4:5]
	v_cmp_gt_i64_e32 vcc, s[16:17], v[12:13]
	s_orn2_b64 s[28:29], vcc, exec
.LBB541_56:
	s_or_b64 exec, exec, s[26:27]
.LBB541_57:
	s_and_b64 s[28:29], s[28:29], exec
	s_or_b64 s[20:21], s[20:21], exec
.LBB541_58:
	s_or_b64 exec, exec, s[24:25]
.LBB541_59:
	s_branch .LBB541_108
.LBB541_60:
	s_cmp_lg_u64 s[22:23], 1
	s_cbranch_scc0 .LBB541_68
; %bb.61:
	v_cmp_lt_i64_e64 s[2:3], s[16:17], 1
	v_pk_mov_b32 v[8:9], 0, 0
	s_waitcnt lgkmcnt(0)
	v_cmp_gt_i64_e64 s[24:25], s[16:17], 0
	s_and_b64 vcc, exec, s[2:3]
	ds_write_b64 v1, v[4:5]
	s_cbranch_vccnz .LBB541_71
; %bb.62:
	v_mul_lo_u32 v8, v5, s16
	v_mul_lo_u32 v9, v4, s17
	v_mad_u64_u32 v[6:7], s[2:3], v4, s16, 0
	v_add3_u32 v7, v7, v9, v8
	v_mul_lo_u32 v10, v3, s16
	v_mul_lo_u32 v11, v2, s17
	v_mad_u64_u32 v[8:9], s[2:3], v2, s16, 0
	v_add3_u32 v9, v9, v11, v10
	v_lshlrev_b64 v[10:11], 3, v[6:7]
	v_mov_b32_e32 v6, s19
	v_add_co_u32_e32 v12, vcc, s18, v10
	v_addc_co_u32_e64 v13, s[2:3], v6, v11, vcc
	v_lshlrev_b64 v[6:7], 3, v[8:9]
	v_mov_b32_e32 v8, s19
	v_add_co_u32_e64 v14, s[2:3], s18, v6
	v_addc_co_u32_e64 v15, s[4:5], v8, v7, s[2:3]
	global_load_dwordx2 v[8:9], v[12:13], off
	global_load_dwordx2 v[16:17], v[14:15], off
	s_waitcnt vmcnt(0)
	v_cmp_eq_u64_e64 s[4:5], v[8:9], v[16:17]
	v_mov_b32_e32 v8, 1
	v_mov_b32_e32 v9, 0
	s_and_saveexec_b64 s[22:23], s[4:5]
	s_cbranch_execz .LBB541_70
; %bb.63:
	v_mov_b32_e32 v6, s19
	v_addc_co_u32_e64 v7, s[2:3], v7, v6, s[2:3]
	v_add_co_u32_e64 v6, s[2:3], 8, v14
	v_mov_b32_e32 v8, s19
	v_addc_co_u32_e64 v7, s[2:3], 0, v7, s[2:3]
	v_addc_co_u32_e32 v9, vcc, v11, v8, vcc
	v_add_co_u32_e32 v8, vcc, 8, v12
	s_add_u32 s2, s16, -1
	v_addc_co_u32_e32 v9, vcc, 0, v9, vcc
	s_addc_u32 s3, s17, -1
	s_mov_b64 s[4:5], 0
	s_mov_b64 s[28:29], 0
                                        ; implicit-def: $sgpr26_sgpr27
	s_branch .LBB541_66
.LBB541_64:                             ;   in Loop: Header=BB541_66 Depth=1
	global_load_dwordx2 v[10:11], v[8:9], off
	global_load_dwordx2 v[12:13], v[6:7], off
	v_add_co_u32_e32 v6, vcc, 8, v6
	v_addc_co_u32_e32 v7, vcc, 0, v7, vcc
	v_add_co_u32_e32 v8, vcc, 8, v8
	v_addc_co_u32_e32 v9, vcc, 0, v9, vcc
	s_add_u32 s28, s28, 1
	s_addc_u32 s29, s29, 0
	s_andn2_b64 s[26:27], s[26:27], exec
	s_waitcnt vmcnt(0)
	v_cmp_ne_u64_e32 vcc, v[10:11], v[12:13]
	s_and_b64 s[30:31], vcc, exec
	s_or_b64 s[26:27], s[26:27], s[30:31]
.LBB541_65:                             ;   in Loop: Header=BB541_66 Depth=1
	s_and_b64 s[30:31], exec, s[26:27]
	s_or_b64 s[4:5], s[30:31], s[4:5]
	v_pk_mov_b32 v[10:11], s[28:29], s[28:29] op_sel:[0,1]
	s_andn2_b64 exec, exec, s[4:5]
	s_cbranch_execz .LBB541_69
.LBB541_66:                             ; =>This Inner Loop Header: Depth=1
	s_or_b64 s[26:27], s[26:27], exec
	s_cmp_eq_u64 s[2:3], s[28:29]
	s_cbranch_scc0 .LBB541_64
; %bb.67:                               ;   in Loop: Header=BB541_66 Depth=1
                                        ; implicit-def: $vgpr6_vgpr7
                                        ; implicit-def: $vgpr8_vgpr9
	s_mov_b64 s[28:29], s[16:17]
	s_branch .LBB541_65
.LBB541_68:
                                        ; implicit-def: $sgpr28_sgpr29
                                        ; implicit-def: $vgpr8_vgpr9
	s_cbranch_execnz .LBB541_84
	s_branch .LBB541_108
.LBB541_69:
	s_or_b64 exec, exec, s[4:5]
	v_cmp_gt_i64_e32 vcc, s[16:17], v[10:11]
	s_mov_b32 s2, 0
	v_cndmask_b32_e64 v8, 0, 1, vcc
	v_mov_b32_e32 v9, s2
.LBB541_70:
	s_or_b64 exec, exec, s[22:23]
.LBB541_71:
	v_cmp_ne_u32_e32 vcc, 0, v0
	s_waitcnt lgkmcnt(0)
	s_barrier
	s_waitcnt lgkmcnt(0)
                                        ; implicit-def: $sgpr28_sgpr29
	s_and_saveexec_b64 s[22:23], vcc
	s_cbranch_execz .LBB541_83
; %bb.72:
	s_andn2_b64 vcc, exec, s[24:25]
	s_cbranch_vccnz .LBB541_79
; %bb.73:
	v_add_u32_e32 v6, -8, v1
	ds_read_b64 v[6:7], v6
	v_mul_lo_u32 v12, v3, s16
	v_mul_lo_u32 v13, v2, s17
	v_mad_u64_u32 v[10:11], s[2:3], v2, s16, 0
	v_add3_u32 v11, v11, v13, v12
	s_waitcnt lgkmcnt(0)
	v_mul_lo_u32 v12, v7, s16
	v_mul_lo_u32 v13, v6, s17
	v_mad_u64_u32 v[6:7], s[2:3], v6, s16, 0
	v_lshlrev_b64 v[10:11], 3, v[10:11]
	v_add3_u32 v7, v7, v13, v12
	v_mov_b32_e32 v13, s19
	v_add_co_u32_e32 v12, vcc, s18, v10
	v_addc_co_u32_e64 v13, s[2:3], v13, v11, vcc
	v_lshlrev_b64 v[6:7], 3, v[6:7]
	v_mov_b32_e32 v10, s19
	v_add_co_u32_e64 v14, s[2:3], s18, v6
	v_addc_co_u32_e64 v15, s[4:5], v10, v7, s[2:3]
	global_load_dwordx2 v[16:17], v[12:13], off
	global_load_dwordx2 v[18:19], v[14:15], off
	s_mov_b64 s[26:27], -1
	s_waitcnt vmcnt(0)
	v_cmp_eq_u64_e64 s[4:5], v[16:17], v[18:19]
	s_and_saveexec_b64 s[24:25], s[4:5]
	s_cbranch_execz .LBB541_81
; %bb.74:
	v_mov_b32_e32 v6, s19
	v_addc_co_u32_e64 v7, s[2:3], v7, v6, s[2:3]
	v_add_co_u32_e64 v6, s[2:3], 8, v14
	v_mov_b32_e32 v10, s19
	v_addc_co_u32_e64 v7, s[2:3], 0, v7, s[2:3]
	v_addc_co_u32_e32 v11, vcc, v11, v10, vcc
	v_add_co_u32_e32 v10, vcc, 8, v12
	s_add_u32 s2, s16, -1
	v_addc_co_u32_e32 v11, vcc, 0, v11, vcc
	s_addc_u32 s3, s17, -1
	s_mov_b64 s[4:5], 0
	s_mov_b64 s[28:29], 0
                                        ; implicit-def: $sgpr26_sgpr27
	s_branch .LBB541_77
.LBB541_75:                             ;   in Loop: Header=BB541_77 Depth=1
	global_load_dwordx2 v[12:13], v[10:11], off
	global_load_dwordx2 v[14:15], v[6:7], off
	v_add_co_u32_e32 v6, vcc, 8, v6
	v_addc_co_u32_e32 v7, vcc, 0, v7, vcc
	v_add_co_u32_e32 v10, vcc, 8, v10
	v_addc_co_u32_e32 v11, vcc, 0, v11, vcc
	s_add_u32 s28, s28, 1
	s_addc_u32 s29, s29, 0
	s_andn2_b64 s[26:27], s[26:27], exec
	s_waitcnt vmcnt(0)
	v_cmp_ne_u64_e32 vcc, v[12:13], v[14:15]
	s_and_b64 s[30:31], vcc, exec
	s_or_b64 s[26:27], s[26:27], s[30:31]
.LBB541_76:                             ;   in Loop: Header=BB541_77 Depth=1
	s_and_b64 s[30:31], exec, s[26:27]
	s_or_b64 s[4:5], s[30:31], s[4:5]
	v_pk_mov_b32 v[12:13], s[28:29], s[28:29] op_sel:[0,1]
	s_andn2_b64 exec, exec, s[4:5]
	s_cbranch_execz .LBB541_80
.LBB541_77:                             ; =>This Inner Loop Header: Depth=1
	s_or_b64 s[26:27], s[26:27], exec
	s_cmp_eq_u64 s[2:3], s[28:29]
	s_cbranch_scc0 .LBB541_75
; %bb.78:                               ;   in Loop: Header=BB541_77 Depth=1
                                        ; implicit-def: $vgpr6_vgpr7
                                        ; implicit-def: $vgpr10_vgpr11
	s_mov_b64 s[28:29], s[16:17]
	s_branch .LBB541_76
.LBB541_79:
	s_mov_b64 s[26:27], 0
	s_branch .LBB541_82
.LBB541_80:
	s_or_b64 exec, exec, s[4:5]
	v_cmp_gt_i64_e32 vcc, s[16:17], v[12:13]
	s_orn2_b64 s[26:27], vcc, exec
.LBB541_81:
	s_or_b64 exec, exec, s[24:25]
.LBB541_82:
	s_and_b64 s[28:29], s[26:27], exec
	s_or_b64 s[20:21], s[20:21], exec
.LBB541_83:
	s_or_b64 exec, exec, s[22:23]
	s_branch .LBB541_108
.LBB541_84:
	v_lshlrev_b32_e32 v14, 1, v0
	s_waitcnt lgkmcnt(0)
	v_or_b32_e32 v6, 1, v14
	v_cmp_gt_u32_e32 vcc, s14, v6
	v_cmp_lt_i64_e64 s[22:23], s[16:17], 1
	v_pk_mov_b32 v[8:9], v[4:5], v[4:5] op_sel:[0,1]
	ds_write_b64 v1, v[4:5]
	v_pk_mov_b32 v[6:7], v[2:3], v[2:3] op_sel:[0,1]
	s_and_saveexec_b64 s[24:25], vcc
	s_cbranch_execz .LBB541_95
; %bb.85:
	s_and_b64 vcc, exec, s[22:23]
	s_cbranch_vccnz .LBB541_92
; %bb.86:
	v_mul_lo_u32 v6, v5, s16
	v_mul_lo_u32 v7, v4, s17
	v_mad_u64_u32 v[4:5], s[2:3], v4, s16, 0
	v_add3_u32 v5, v5, v7, v6
	v_mul_lo_u32 v6, v3, s16
	v_mul_lo_u32 v7, v2, s17
	v_mad_u64_u32 v[8:9], s[2:3], v2, s16, 0
	v_add3_u32 v9, v9, v7, v6
	v_lshlrev_b64 v[6:7], 3, v[4:5]
	v_mov_b32_e32 v4, s19
	v_add_co_u32_e32 v10, vcc, s18, v6
	v_addc_co_u32_e64 v11, s[2:3], v4, v7, vcc
	v_lshlrev_b64 v[4:5], 3, v[8:9]
	v_mov_b32_e32 v6, s19
	v_add_co_u32_e64 v12, s[2:3], s18, v4
	v_addc_co_u32_e64 v13, s[4:5], v6, v5, s[2:3]
	global_load_dwordx2 v[8:9], v[10:11], off
	global_load_dwordx2 v[16:17], v[12:13], off
	s_waitcnt vmcnt(0)
	v_cmp_eq_u64_e64 s[4:5], v[8:9], v[16:17]
	v_mov_b32_e32 v8, 1
	v_mov_b32_e32 v9, 0
	s_and_saveexec_b64 s[26:27], s[4:5]
	s_cbranch_execz .LBB541_94
; %bb.87:
	v_mov_b32_e32 v4, s19
	v_addc_co_u32_e64 v5, s[2:3], v5, v4, s[2:3]
	v_add_co_u32_e64 v4, s[2:3], 8, v12
	v_mov_b32_e32 v6, s19
	v_addc_co_u32_e64 v5, s[2:3], 0, v5, s[2:3]
	v_addc_co_u32_e32 v7, vcc, v7, v6, vcc
	v_add_co_u32_e32 v6, vcc, 8, v10
	s_add_u32 s2, s16, -1
	v_addc_co_u32_e32 v7, vcc, 0, v7, vcc
	s_addc_u32 s3, s17, -1
	s_mov_b64 s[4:5], 0
	s_mov_b64 s[30:31], 0
                                        ; implicit-def: $sgpr28_sgpr29
	s_branch .LBB541_90
.LBB541_88:                             ;   in Loop: Header=BB541_90 Depth=1
	global_load_dwordx2 v[8:9], v[6:7], off
	global_load_dwordx2 v[10:11], v[4:5], off
	v_add_co_u32_e32 v4, vcc, 8, v4
	v_addc_co_u32_e32 v5, vcc, 0, v5, vcc
	v_add_co_u32_e32 v6, vcc, 8, v6
	v_addc_co_u32_e32 v7, vcc, 0, v7, vcc
	s_add_u32 s30, s30, 1
	s_addc_u32 s31, s31, 0
	s_andn2_b64 s[28:29], s[28:29], exec
	s_waitcnt vmcnt(0)
	v_cmp_ne_u64_e32 vcc, v[8:9], v[10:11]
	s_and_b64 s[34:35], vcc, exec
	s_or_b64 s[28:29], s[28:29], s[34:35]
.LBB541_89:                             ;   in Loop: Header=BB541_90 Depth=1
	s_and_b64 s[34:35], exec, s[28:29]
	s_or_b64 s[4:5], s[34:35], s[4:5]
	v_pk_mov_b32 v[8:9], s[30:31], s[30:31] op_sel:[0,1]
	s_andn2_b64 exec, exec, s[4:5]
	s_cbranch_execz .LBB541_93
.LBB541_90:                             ; =>This Inner Loop Header: Depth=1
	s_or_b64 s[28:29], s[28:29], exec
	s_cmp_eq_u64 s[2:3], s[30:31]
	s_cbranch_scc0 .LBB541_88
; %bb.91:                               ;   in Loop: Header=BB541_90 Depth=1
                                        ; implicit-def: $vgpr4_vgpr5
                                        ; implicit-def: $vgpr6_vgpr7
	s_mov_b64 s[30:31], s[16:17]
	s_branch .LBB541_89
.LBB541_92:
	v_pk_mov_b32 v[8:9], 0, 0
	s_branch .LBB541_95
.LBB541_93:
	s_or_b64 exec, exec, s[4:5]
	v_cmp_gt_i64_e32 vcc, s[16:17], v[8:9]
	s_mov_b32 s2, 0
	v_cndmask_b32_e64 v8, 0, 1, vcc
	v_mov_b32_e32 v9, s2
.LBB541_94:
	s_or_b64 exec, exec, s[26:27]
.LBB541_95:
	s_or_b64 exec, exec, s[24:25]
	v_cmp_ne_u32_e32 vcc, 0, v0
	v_cmp_gt_u32_e64 s[2:3], s14, v14
	s_and_b64 s[2:3], vcc, s[2:3]
	s_waitcnt lgkmcnt(0)
	s_barrier
	s_waitcnt lgkmcnt(0)
                                        ; implicit-def: $sgpr28_sgpr29
	s_and_saveexec_b64 s[24:25], s[2:3]
	s_cbranch_execz .LBB541_107
; %bb.96:
	s_and_b64 vcc, exec, s[22:23]
	s_cbranch_vccnz .LBB541_103
; %bb.97:
	v_mul_lo_u32 v6, v3, s16
	v_add_u32_e32 v3, -8, v1
	ds_read_b64 v[4:5], v3
	v_mul_lo_u32 v7, v2, s17
	v_mad_u64_u32 v[2:3], s[2:3], v2, s16, 0
	v_add3_u32 v3, v3, v7, v6
	s_waitcnt lgkmcnt(0)
	v_mul_lo_u32 v5, v5, s16
	v_mul_lo_u32 v6, v4, s17
	v_mad_u64_u32 v[10:11], s[2:3], v4, s16, 0
	v_add3_u32 v11, v11, v6, v5
	v_lshlrev_b64 v[4:5], 3, v[2:3]
	v_mov_b32_e32 v2, s19
	v_add_co_u32_e32 v6, vcc, s18, v4
	v_addc_co_u32_e64 v7, s[2:3], v2, v5, vcc
	v_lshlrev_b64 v[2:3], 3, v[10:11]
	v_mov_b32_e32 v4, s19
	v_add_co_u32_e64 v10, s[2:3], s18, v2
	v_addc_co_u32_e64 v11, s[4:5], v4, v3, s[2:3]
	global_load_dwordx2 v[12:13], v[6:7], off
	global_load_dwordx2 v[14:15], v[10:11], off
	s_mov_b64 s[26:27], -1
	s_waitcnt vmcnt(0)
	v_cmp_eq_u64_e64 s[4:5], v[12:13], v[14:15]
	s_and_saveexec_b64 s[22:23], s[4:5]
	s_cbranch_execz .LBB541_105
; %bb.98:
	v_mov_b32_e32 v2, s19
	v_addc_co_u32_e64 v3, s[2:3], v3, v2, s[2:3]
	v_add_co_u32_e64 v2, s[2:3], 8, v10
	v_mov_b32_e32 v4, s19
	v_addc_co_u32_e64 v3, s[2:3], 0, v3, s[2:3]
	v_addc_co_u32_e32 v5, vcc, v5, v4, vcc
	v_add_co_u32_e32 v4, vcc, 8, v6
	s_add_u32 s2, s16, -1
	v_addc_co_u32_e32 v5, vcc, 0, v5, vcc
	s_addc_u32 s3, s17, -1
	s_mov_b64 s[4:5], 0
	s_mov_b64 s[26:27], 0
                                        ; implicit-def: $sgpr18_sgpr19
	s_branch .LBB541_101
.LBB541_99:                             ;   in Loop: Header=BB541_101 Depth=1
	global_load_dwordx2 v[6:7], v[4:5], off
	global_load_dwordx2 v[10:11], v[2:3], off
	v_add_co_u32_e32 v2, vcc, 8, v2
	v_addc_co_u32_e32 v3, vcc, 0, v3, vcc
	v_add_co_u32_e32 v4, vcc, 8, v4
	v_addc_co_u32_e32 v5, vcc, 0, v5, vcc
	s_add_u32 s26, s26, 1
	s_addc_u32 s27, s27, 0
	s_andn2_b64 s[18:19], s[18:19], exec
	s_waitcnt vmcnt(0)
	v_cmp_ne_u64_e32 vcc, v[6:7], v[10:11]
	s_and_b64 s[28:29], vcc, exec
	s_or_b64 s[18:19], s[18:19], s[28:29]
.LBB541_100:                            ;   in Loop: Header=BB541_101 Depth=1
	s_and_b64 s[28:29], exec, s[18:19]
	s_or_b64 s[4:5], s[28:29], s[4:5]
	v_pk_mov_b32 v[6:7], s[26:27], s[26:27] op_sel:[0,1]
	s_andn2_b64 exec, exec, s[4:5]
	s_cbranch_execz .LBB541_104
.LBB541_101:                            ; =>This Inner Loop Header: Depth=1
	s_or_b64 s[18:19], s[18:19], exec
	s_cmp_eq_u64 s[2:3], s[26:27]
	s_cbranch_scc0 .LBB541_99
; %bb.102:                              ;   in Loop: Header=BB541_101 Depth=1
                                        ; implicit-def: $vgpr2_vgpr3
                                        ; implicit-def: $vgpr4_vgpr5
	s_mov_b64 s[26:27], s[16:17]
	s_branch .LBB541_100
.LBB541_103:
	s_mov_b64 s[26:27], 0
	s_branch .LBB541_106
.LBB541_104:
	s_or_b64 exec, exec, s[4:5]
	v_cmp_gt_i64_e32 vcc, s[16:17], v[6:7]
	s_orn2_b64 s[26:27], vcc, exec
.LBB541_105:
	s_or_b64 exec, exec, s[22:23]
.LBB541_106:
	s_and_b64 s[28:29], s[26:27], exec
	s_or_b64 s[20:21], s[20:21], exec
                                        ; implicit-def: $vgpr2_vgpr3
.LBB541_107:
	s_or_b64 exec, exec, s[24:25]
.LBB541_108:
	s_and_saveexec_b64 s[2:3], s[20:21]
; %bb.109:
	s_mov_b32 s4, 0
	v_cndmask_b32_e64 v2, 0, 1, s[28:29]
	v_mov_b32_e32 v3, s4
; %bb.110:
	s_or_b64 exec, exec, s[2:3]
	s_add_u32 s4, s12, s10
	s_addc_u32 s5, s13, s11
	s_and_b64 vcc, exec, s[0:1]
	v_lshrrev_b32_e32 v10, 1, v0
	s_waitcnt lgkmcnt(0)
	s_barrier
	s_cbranch_vccz .LBB541_114
; %bb.111:
	v_and_b32_e32 v4, 0x78, v10
	v_lshl_add_u32 v6, v0, 4, v4
	v_mov_b32_e32 v4, v8
	v_mov_b32_e32 v5, v9
	v_or_b32_e32 v11, 0x100, v0
	s_lshl_b32 s0, s6, 9
	s_mov_b32 s9, 0
	ds_write2_b64 v6, v[2:3], v[4:5] offset1:1
	v_lshrrev_b32_e32 v4, 5, v11
	s_sub_i32 s2, s14, s0
	s_lshl_b64 s[0:1], s[8:9], 3
	v_add_lshl_u32 v4, v4, v0, 3
	s_add_u32 s0, s4, s0
	s_waitcnt lgkmcnt(0)
	s_barrier
	ds_read_b64 v[4:5], v4 offset:2048
	s_addc_u32 s1, s5, s1
	v_mov_b32_e32 v7, s1
	v_add_co_u32_e32 v6, vcc, s0, v1
	v_addc_co_u32_e32 v7, vcc, 0, v7, vcc
	v_cmp_gt_u32_e32 vcc, s2, v0
	s_and_saveexec_b64 s[0:1], vcc
	s_cbranch_execz .LBB541_113
; %bb.112:
	v_lshrrev_b32_e32 v12, 5, v0
	v_add_lshl_u32 v12, v12, v0, 3
	ds_read_b64 v[12:13], v12
	s_waitcnt lgkmcnt(0)
	global_store_dwordx2 v[6:7], v[12:13], off
.LBB541_113:
	s_or_b64 exec, exec, s[0:1]
	v_cmp_gt_u32_e64 s[0:1], s2, v11
	s_branch .LBB541_116
.LBB541_114:
	s_mov_b64 s[0:1], 0
                                        ; implicit-def: $vgpr4_vgpr5
                                        ; implicit-def: $vgpr6_vgpr7
	s_cbranch_execz .LBB541_116
; %bb.115:
	s_waitcnt lgkmcnt(0)
	v_and_b32_e32 v4, 0x78, v10
	v_lshl_add_u32 v6, v0, 4, v4
	v_mov_b32_e32 v4, v8
	v_mov_b32_e32 v5, v9
	s_mov_b32 s9, 0
	ds_write2_b64 v6, v[2:3], v[4:5] offset1:1
	v_lshrrev_b32_e32 v2, 5, v0
	v_or_b32_e32 v3, 0x100, v0
	s_lshl_b64 s[2:3], s[8:9], 3
	v_add_lshl_u32 v2, v2, v0, 3
	v_lshrrev_b32_e32 v3, 5, v3
	s_add_u32 s2, s4, s2
	s_waitcnt lgkmcnt(0)
	s_barrier
	v_add_lshl_u32 v0, v3, v0, 3
	ds_read_b64 v[2:3], v2
	ds_read_b64 v[4:5], v0 offset:2048
	s_addc_u32 s3, s5, s3
	v_mov_b32_e32 v0, s3
	v_add_co_u32_e32 v6, vcc, s2, v1
	v_addc_co_u32_e32 v7, vcc, 0, v0, vcc
	s_or_b64 s[0:1], s[0:1], exec
	s_waitcnt lgkmcnt(1)
	global_store_dwordx2 v1, v[2:3], s[2:3]
.LBB541_116:
	s_and_saveexec_b64 s[2:3], s[0:1]
	s_cbranch_execnz .LBB541_118
; %bb.117:
	s_endpgm
.LBB541_118:
	s_waitcnt lgkmcnt(0)
	global_store_dwordx2 v[6:7], v[4:5], off offset:2048
	s_endpgm
	.section	.rodata,"a",@progbits
	.p2align	6, 0x0
	.amdhsa_kernel _ZN7rocprim17ROCPRIM_400000_NS6detail17trampoline_kernelINS0_14default_configENS1_35adjacent_difference_config_selectorILb0ElEEZNS1_24adjacent_difference_implIS3_Lb0ELb0EPlS7_ZN2at6native12_GLOBAL__N_124unique_dim_cuda_templateIlEESt5tupleIJNS8_6TensorESD_SD_EERKSD_lbbbEUlllE1_EE10hipError_tPvRmT2_T3_mT4_P12ihipStream_tbEUlT_E_NS1_11comp_targetILNS1_3genE4ELNS1_11target_archE910ELNS1_3gpuE8ELNS1_3repE0EEENS1_30default_config_static_selectorELNS0_4arch9wavefront6targetE1EEEvT1_
		.amdhsa_group_segment_fixed_size 4224
		.amdhsa_private_segment_fixed_size 0
		.amdhsa_kernarg_size 64
		.amdhsa_user_sgpr_count 6
		.amdhsa_user_sgpr_private_segment_buffer 1
		.amdhsa_user_sgpr_dispatch_ptr 0
		.amdhsa_user_sgpr_queue_ptr 0
		.amdhsa_user_sgpr_kernarg_segment_ptr 1
		.amdhsa_user_sgpr_dispatch_id 0
		.amdhsa_user_sgpr_flat_scratch_init 0
		.amdhsa_user_sgpr_kernarg_preload_length 0
		.amdhsa_user_sgpr_kernarg_preload_offset 0
		.amdhsa_user_sgpr_private_segment_size 0
		.amdhsa_uses_dynamic_stack 0
		.amdhsa_system_sgpr_private_segment_wavefront_offset 0
		.amdhsa_system_sgpr_workgroup_id_x 1
		.amdhsa_system_sgpr_workgroup_id_y 0
		.amdhsa_system_sgpr_workgroup_id_z 0
		.amdhsa_system_sgpr_workgroup_info 0
		.amdhsa_system_vgpr_workitem_id 0
		.amdhsa_next_free_vgpr 20
		.amdhsa_next_free_sgpr 38
		.amdhsa_accum_offset 20
		.amdhsa_reserve_vcc 1
		.amdhsa_reserve_flat_scratch 0
		.amdhsa_float_round_mode_32 0
		.amdhsa_float_round_mode_16_64 0
		.amdhsa_float_denorm_mode_32 3
		.amdhsa_float_denorm_mode_16_64 3
		.amdhsa_dx10_clamp 1
		.amdhsa_ieee_mode 1
		.amdhsa_fp16_overflow 0
		.amdhsa_tg_split 0
		.amdhsa_exception_fp_ieee_invalid_op 0
		.amdhsa_exception_fp_denorm_src 0
		.amdhsa_exception_fp_ieee_div_zero 0
		.amdhsa_exception_fp_ieee_overflow 0
		.amdhsa_exception_fp_ieee_underflow 0
		.amdhsa_exception_fp_ieee_inexact 0
		.amdhsa_exception_int_div_zero 0
	.end_amdhsa_kernel
	.section	.text._ZN7rocprim17ROCPRIM_400000_NS6detail17trampoline_kernelINS0_14default_configENS1_35adjacent_difference_config_selectorILb0ElEEZNS1_24adjacent_difference_implIS3_Lb0ELb0EPlS7_ZN2at6native12_GLOBAL__N_124unique_dim_cuda_templateIlEESt5tupleIJNS8_6TensorESD_SD_EERKSD_lbbbEUlllE1_EE10hipError_tPvRmT2_T3_mT4_P12ihipStream_tbEUlT_E_NS1_11comp_targetILNS1_3genE4ELNS1_11target_archE910ELNS1_3gpuE8ELNS1_3repE0EEENS1_30default_config_static_selectorELNS0_4arch9wavefront6targetE1EEEvT1_,"axG",@progbits,_ZN7rocprim17ROCPRIM_400000_NS6detail17trampoline_kernelINS0_14default_configENS1_35adjacent_difference_config_selectorILb0ElEEZNS1_24adjacent_difference_implIS3_Lb0ELb0EPlS7_ZN2at6native12_GLOBAL__N_124unique_dim_cuda_templateIlEESt5tupleIJNS8_6TensorESD_SD_EERKSD_lbbbEUlllE1_EE10hipError_tPvRmT2_T3_mT4_P12ihipStream_tbEUlT_E_NS1_11comp_targetILNS1_3genE4ELNS1_11target_archE910ELNS1_3gpuE8ELNS1_3repE0EEENS1_30default_config_static_selectorELNS0_4arch9wavefront6targetE1EEEvT1_,comdat
.Lfunc_end541:
	.size	_ZN7rocprim17ROCPRIM_400000_NS6detail17trampoline_kernelINS0_14default_configENS1_35adjacent_difference_config_selectorILb0ElEEZNS1_24adjacent_difference_implIS3_Lb0ELb0EPlS7_ZN2at6native12_GLOBAL__N_124unique_dim_cuda_templateIlEESt5tupleIJNS8_6TensorESD_SD_EERKSD_lbbbEUlllE1_EE10hipError_tPvRmT2_T3_mT4_P12ihipStream_tbEUlT_E_NS1_11comp_targetILNS1_3genE4ELNS1_11target_archE910ELNS1_3gpuE8ELNS1_3repE0EEENS1_30default_config_static_selectorELNS0_4arch9wavefront6targetE1EEEvT1_, .Lfunc_end541-_ZN7rocprim17ROCPRIM_400000_NS6detail17trampoline_kernelINS0_14default_configENS1_35adjacent_difference_config_selectorILb0ElEEZNS1_24adjacent_difference_implIS3_Lb0ELb0EPlS7_ZN2at6native12_GLOBAL__N_124unique_dim_cuda_templateIlEESt5tupleIJNS8_6TensorESD_SD_EERKSD_lbbbEUlllE1_EE10hipError_tPvRmT2_T3_mT4_P12ihipStream_tbEUlT_E_NS1_11comp_targetILNS1_3genE4ELNS1_11target_archE910ELNS1_3gpuE8ELNS1_3repE0EEENS1_30default_config_static_selectorELNS0_4arch9wavefront6targetE1EEEvT1_
                                        ; -- End function
	.section	.AMDGPU.csdata,"",@progbits
; Kernel info:
; codeLenInByte = 4256
; NumSgprs: 42
; NumVgprs: 20
; NumAgprs: 0
; TotalNumVgprs: 20
; ScratchSize: 0
; MemoryBound: 1
; FloatMode: 240
; IeeeMode: 1
; LDSByteSize: 4224 bytes/workgroup (compile time only)
; SGPRBlocks: 5
; VGPRBlocks: 2
; NumSGPRsForWavesPerEU: 42
; NumVGPRsForWavesPerEU: 20
; AccumOffset: 20
; Occupancy: 8
; WaveLimiterHint : 1
; COMPUTE_PGM_RSRC2:SCRATCH_EN: 0
; COMPUTE_PGM_RSRC2:USER_SGPR: 6
; COMPUTE_PGM_RSRC2:TRAP_HANDLER: 0
; COMPUTE_PGM_RSRC2:TGID_X_EN: 1
; COMPUTE_PGM_RSRC2:TGID_Y_EN: 0
; COMPUTE_PGM_RSRC2:TGID_Z_EN: 0
; COMPUTE_PGM_RSRC2:TIDIG_COMP_CNT: 0
; COMPUTE_PGM_RSRC3_GFX90A:ACCUM_OFFSET: 4
; COMPUTE_PGM_RSRC3_GFX90A:TG_SPLIT: 0
	.section	.text._ZN7rocprim17ROCPRIM_400000_NS6detail17trampoline_kernelINS0_14default_configENS1_35adjacent_difference_config_selectorILb0ElEEZNS1_24adjacent_difference_implIS3_Lb0ELb0EPlS7_ZN2at6native12_GLOBAL__N_124unique_dim_cuda_templateIlEESt5tupleIJNS8_6TensorESD_SD_EERKSD_lbbbEUlllE1_EE10hipError_tPvRmT2_T3_mT4_P12ihipStream_tbEUlT_E_NS1_11comp_targetILNS1_3genE3ELNS1_11target_archE908ELNS1_3gpuE7ELNS1_3repE0EEENS1_30default_config_static_selectorELNS0_4arch9wavefront6targetE1EEEvT1_,"axG",@progbits,_ZN7rocprim17ROCPRIM_400000_NS6detail17trampoline_kernelINS0_14default_configENS1_35adjacent_difference_config_selectorILb0ElEEZNS1_24adjacent_difference_implIS3_Lb0ELb0EPlS7_ZN2at6native12_GLOBAL__N_124unique_dim_cuda_templateIlEESt5tupleIJNS8_6TensorESD_SD_EERKSD_lbbbEUlllE1_EE10hipError_tPvRmT2_T3_mT4_P12ihipStream_tbEUlT_E_NS1_11comp_targetILNS1_3genE3ELNS1_11target_archE908ELNS1_3gpuE7ELNS1_3repE0EEENS1_30default_config_static_selectorELNS0_4arch9wavefront6targetE1EEEvT1_,comdat
	.globl	_ZN7rocprim17ROCPRIM_400000_NS6detail17trampoline_kernelINS0_14default_configENS1_35adjacent_difference_config_selectorILb0ElEEZNS1_24adjacent_difference_implIS3_Lb0ELb0EPlS7_ZN2at6native12_GLOBAL__N_124unique_dim_cuda_templateIlEESt5tupleIJNS8_6TensorESD_SD_EERKSD_lbbbEUlllE1_EE10hipError_tPvRmT2_T3_mT4_P12ihipStream_tbEUlT_E_NS1_11comp_targetILNS1_3genE3ELNS1_11target_archE908ELNS1_3gpuE7ELNS1_3repE0EEENS1_30default_config_static_selectorELNS0_4arch9wavefront6targetE1EEEvT1_ ; -- Begin function _ZN7rocprim17ROCPRIM_400000_NS6detail17trampoline_kernelINS0_14default_configENS1_35adjacent_difference_config_selectorILb0ElEEZNS1_24adjacent_difference_implIS3_Lb0ELb0EPlS7_ZN2at6native12_GLOBAL__N_124unique_dim_cuda_templateIlEESt5tupleIJNS8_6TensorESD_SD_EERKSD_lbbbEUlllE1_EE10hipError_tPvRmT2_T3_mT4_P12ihipStream_tbEUlT_E_NS1_11comp_targetILNS1_3genE3ELNS1_11target_archE908ELNS1_3gpuE7ELNS1_3repE0EEENS1_30default_config_static_selectorELNS0_4arch9wavefront6targetE1EEEvT1_
	.p2align	8
	.type	_ZN7rocprim17ROCPRIM_400000_NS6detail17trampoline_kernelINS0_14default_configENS1_35adjacent_difference_config_selectorILb0ElEEZNS1_24adjacent_difference_implIS3_Lb0ELb0EPlS7_ZN2at6native12_GLOBAL__N_124unique_dim_cuda_templateIlEESt5tupleIJNS8_6TensorESD_SD_EERKSD_lbbbEUlllE1_EE10hipError_tPvRmT2_T3_mT4_P12ihipStream_tbEUlT_E_NS1_11comp_targetILNS1_3genE3ELNS1_11target_archE908ELNS1_3gpuE7ELNS1_3repE0EEENS1_30default_config_static_selectorELNS0_4arch9wavefront6targetE1EEEvT1_,@function
_ZN7rocprim17ROCPRIM_400000_NS6detail17trampoline_kernelINS0_14default_configENS1_35adjacent_difference_config_selectorILb0ElEEZNS1_24adjacent_difference_implIS3_Lb0ELb0EPlS7_ZN2at6native12_GLOBAL__N_124unique_dim_cuda_templateIlEESt5tupleIJNS8_6TensorESD_SD_EERKSD_lbbbEUlllE1_EE10hipError_tPvRmT2_T3_mT4_P12ihipStream_tbEUlT_E_NS1_11comp_targetILNS1_3genE3ELNS1_11target_archE908ELNS1_3gpuE7ELNS1_3repE0EEENS1_30default_config_static_selectorELNS0_4arch9wavefront6targetE1EEEvT1_: ; @_ZN7rocprim17ROCPRIM_400000_NS6detail17trampoline_kernelINS0_14default_configENS1_35adjacent_difference_config_selectorILb0ElEEZNS1_24adjacent_difference_implIS3_Lb0ELb0EPlS7_ZN2at6native12_GLOBAL__N_124unique_dim_cuda_templateIlEESt5tupleIJNS8_6TensorESD_SD_EERKSD_lbbbEUlllE1_EE10hipError_tPvRmT2_T3_mT4_P12ihipStream_tbEUlT_E_NS1_11comp_targetILNS1_3genE3ELNS1_11target_archE908ELNS1_3gpuE7ELNS1_3repE0EEENS1_30default_config_static_selectorELNS0_4arch9wavefront6targetE1EEEvT1_
; %bb.0:
	.section	.rodata,"a",@progbits
	.p2align	6, 0x0
	.amdhsa_kernel _ZN7rocprim17ROCPRIM_400000_NS6detail17trampoline_kernelINS0_14default_configENS1_35adjacent_difference_config_selectorILb0ElEEZNS1_24adjacent_difference_implIS3_Lb0ELb0EPlS7_ZN2at6native12_GLOBAL__N_124unique_dim_cuda_templateIlEESt5tupleIJNS8_6TensorESD_SD_EERKSD_lbbbEUlllE1_EE10hipError_tPvRmT2_T3_mT4_P12ihipStream_tbEUlT_E_NS1_11comp_targetILNS1_3genE3ELNS1_11target_archE908ELNS1_3gpuE7ELNS1_3repE0EEENS1_30default_config_static_selectorELNS0_4arch9wavefront6targetE1EEEvT1_
		.amdhsa_group_segment_fixed_size 0
		.amdhsa_private_segment_fixed_size 0
		.amdhsa_kernarg_size 64
		.amdhsa_user_sgpr_count 6
		.amdhsa_user_sgpr_private_segment_buffer 1
		.amdhsa_user_sgpr_dispatch_ptr 0
		.amdhsa_user_sgpr_queue_ptr 0
		.amdhsa_user_sgpr_kernarg_segment_ptr 1
		.amdhsa_user_sgpr_dispatch_id 0
		.amdhsa_user_sgpr_flat_scratch_init 0
		.amdhsa_user_sgpr_kernarg_preload_length 0
		.amdhsa_user_sgpr_kernarg_preload_offset 0
		.amdhsa_user_sgpr_private_segment_size 0
		.amdhsa_uses_dynamic_stack 0
		.amdhsa_system_sgpr_private_segment_wavefront_offset 0
		.amdhsa_system_sgpr_workgroup_id_x 1
		.amdhsa_system_sgpr_workgroup_id_y 0
		.amdhsa_system_sgpr_workgroup_id_z 0
		.amdhsa_system_sgpr_workgroup_info 0
		.amdhsa_system_vgpr_workitem_id 0
		.amdhsa_next_free_vgpr 1
		.amdhsa_next_free_sgpr 0
		.amdhsa_accum_offset 4
		.amdhsa_reserve_vcc 0
		.amdhsa_reserve_flat_scratch 0
		.amdhsa_float_round_mode_32 0
		.amdhsa_float_round_mode_16_64 0
		.amdhsa_float_denorm_mode_32 3
		.amdhsa_float_denorm_mode_16_64 3
		.amdhsa_dx10_clamp 1
		.amdhsa_ieee_mode 1
		.amdhsa_fp16_overflow 0
		.amdhsa_tg_split 0
		.amdhsa_exception_fp_ieee_invalid_op 0
		.amdhsa_exception_fp_denorm_src 0
		.amdhsa_exception_fp_ieee_div_zero 0
		.amdhsa_exception_fp_ieee_overflow 0
		.amdhsa_exception_fp_ieee_underflow 0
		.amdhsa_exception_fp_ieee_inexact 0
		.amdhsa_exception_int_div_zero 0
	.end_amdhsa_kernel
	.section	.text._ZN7rocprim17ROCPRIM_400000_NS6detail17trampoline_kernelINS0_14default_configENS1_35adjacent_difference_config_selectorILb0ElEEZNS1_24adjacent_difference_implIS3_Lb0ELb0EPlS7_ZN2at6native12_GLOBAL__N_124unique_dim_cuda_templateIlEESt5tupleIJNS8_6TensorESD_SD_EERKSD_lbbbEUlllE1_EE10hipError_tPvRmT2_T3_mT4_P12ihipStream_tbEUlT_E_NS1_11comp_targetILNS1_3genE3ELNS1_11target_archE908ELNS1_3gpuE7ELNS1_3repE0EEENS1_30default_config_static_selectorELNS0_4arch9wavefront6targetE1EEEvT1_,"axG",@progbits,_ZN7rocprim17ROCPRIM_400000_NS6detail17trampoline_kernelINS0_14default_configENS1_35adjacent_difference_config_selectorILb0ElEEZNS1_24adjacent_difference_implIS3_Lb0ELb0EPlS7_ZN2at6native12_GLOBAL__N_124unique_dim_cuda_templateIlEESt5tupleIJNS8_6TensorESD_SD_EERKSD_lbbbEUlllE1_EE10hipError_tPvRmT2_T3_mT4_P12ihipStream_tbEUlT_E_NS1_11comp_targetILNS1_3genE3ELNS1_11target_archE908ELNS1_3gpuE7ELNS1_3repE0EEENS1_30default_config_static_selectorELNS0_4arch9wavefront6targetE1EEEvT1_,comdat
.Lfunc_end542:
	.size	_ZN7rocprim17ROCPRIM_400000_NS6detail17trampoline_kernelINS0_14default_configENS1_35adjacent_difference_config_selectorILb0ElEEZNS1_24adjacent_difference_implIS3_Lb0ELb0EPlS7_ZN2at6native12_GLOBAL__N_124unique_dim_cuda_templateIlEESt5tupleIJNS8_6TensorESD_SD_EERKSD_lbbbEUlllE1_EE10hipError_tPvRmT2_T3_mT4_P12ihipStream_tbEUlT_E_NS1_11comp_targetILNS1_3genE3ELNS1_11target_archE908ELNS1_3gpuE7ELNS1_3repE0EEENS1_30default_config_static_selectorELNS0_4arch9wavefront6targetE1EEEvT1_, .Lfunc_end542-_ZN7rocprim17ROCPRIM_400000_NS6detail17trampoline_kernelINS0_14default_configENS1_35adjacent_difference_config_selectorILb0ElEEZNS1_24adjacent_difference_implIS3_Lb0ELb0EPlS7_ZN2at6native12_GLOBAL__N_124unique_dim_cuda_templateIlEESt5tupleIJNS8_6TensorESD_SD_EERKSD_lbbbEUlllE1_EE10hipError_tPvRmT2_T3_mT4_P12ihipStream_tbEUlT_E_NS1_11comp_targetILNS1_3genE3ELNS1_11target_archE908ELNS1_3gpuE7ELNS1_3repE0EEENS1_30default_config_static_selectorELNS0_4arch9wavefront6targetE1EEEvT1_
                                        ; -- End function
	.section	.AMDGPU.csdata,"",@progbits
; Kernel info:
; codeLenInByte = 0
; NumSgprs: 4
; NumVgprs: 0
; NumAgprs: 0
; TotalNumVgprs: 0
; ScratchSize: 0
; MemoryBound: 0
; FloatMode: 240
; IeeeMode: 1
; LDSByteSize: 0 bytes/workgroup (compile time only)
; SGPRBlocks: 0
; VGPRBlocks: 0
; NumSGPRsForWavesPerEU: 4
; NumVGPRsForWavesPerEU: 1
; AccumOffset: 4
; Occupancy: 8
; WaveLimiterHint : 0
; COMPUTE_PGM_RSRC2:SCRATCH_EN: 0
; COMPUTE_PGM_RSRC2:USER_SGPR: 6
; COMPUTE_PGM_RSRC2:TRAP_HANDLER: 0
; COMPUTE_PGM_RSRC2:TGID_X_EN: 1
; COMPUTE_PGM_RSRC2:TGID_Y_EN: 0
; COMPUTE_PGM_RSRC2:TGID_Z_EN: 0
; COMPUTE_PGM_RSRC2:TIDIG_COMP_CNT: 0
; COMPUTE_PGM_RSRC3_GFX90A:ACCUM_OFFSET: 0
; COMPUTE_PGM_RSRC3_GFX90A:TG_SPLIT: 0
	.section	.text._ZN7rocprim17ROCPRIM_400000_NS6detail17trampoline_kernelINS0_14default_configENS1_35adjacent_difference_config_selectorILb0ElEEZNS1_24adjacent_difference_implIS3_Lb0ELb0EPlS7_ZN2at6native12_GLOBAL__N_124unique_dim_cuda_templateIlEESt5tupleIJNS8_6TensorESD_SD_EERKSD_lbbbEUlllE1_EE10hipError_tPvRmT2_T3_mT4_P12ihipStream_tbEUlT_E_NS1_11comp_targetILNS1_3genE2ELNS1_11target_archE906ELNS1_3gpuE6ELNS1_3repE0EEENS1_30default_config_static_selectorELNS0_4arch9wavefront6targetE1EEEvT1_,"axG",@progbits,_ZN7rocprim17ROCPRIM_400000_NS6detail17trampoline_kernelINS0_14default_configENS1_35adjacent_difference_config_selectorILb0ElEEZNS1_24adjacent_difference_implIS3_Lb0ELb0EPlS7_ZN2at6native12_GLOBAL__N_124unique_dim_cuda_templateIlEESt5tupleIJNS8_6TensorESD_SD_EERKSD_lbbbEUlllE1_EE10hipError_tPvRmT2_T3_mT4_P12ihipStream_tbEUlT_E_NS1_11comp_targetILNS1_3genE2ELNS1_11target_archE906ELNS1_3gpuE6ELNS1_3repE0EEENS1_30default_config_static_selectorELNS0_4arch9wavefront6targetE1EEEvT1_,comdat
	.globl	_ZN7rocprim17ROCPRIM_400000_NS6detail17trampoline_kernelINS0_14default_configENS1_35adjacent_difference_config_selectorILb0ElEEZNS1_24adjacent_difference_implIS3_Lb0ELb0EPlS7_ZN2at6native12_GLOBAL__N_124unique_dim_cuda_templateIlEESt5tupleIJNS8_6TensorESD_SD_EERKSD_lbbbEUlllE1_EE10hipError_tPvRmT2_T3_mT4_P12ihipStream_tbEUlT_E_NS1_11comp_targetILNS1_3genE2ELNS1_11target_archE906ELNS1_3gpuE6ELNS1_3repE0EEENS1_30default_config_static_selectorELNS0_4arch9wavefront6targetE1EEEvT1_ ; -- Begin function _ZN7rocprim17ROCPRIM_400000_NS6detail17trampoline_kernelINS0_14default_configENS1_35adjacent_difference_config_selectorILb0ElEEZNS1_24adjacent_difference_implIS3_Lb0ELb0EPlS7_ZN2at6native12_GLOBAL__N_124unique_dim_cuda_templateIlEESt5tupleIJNS8_6TensorESD_SD_EERKSD_lbbbEUlllE1_EE10hipError_tPvRmT2_T3_mT4_P12ihipStream_tbEUlT_E_NS1_11comp_targetILNS1_3genE2ELNS1_11target_archE906ELNS1_3gpuE6ELNS1_3repE0EEENS1_30default_config_static_selectorELNS0_4arch9wavefront6targetE1EEEvT1_
	.p2align	8
	.type	_ZN7rocprim17ROCPRIM_400000_NS6detail17trampoline_kernelINS0_14default_configENS1_35adjacent_difference_config_selectorILb0ElEEZNS1_24adjacent_difference_implIS3_Lb0ELb0EPlS7_ZN2at6native12_GLOBAL__N_124unique_dim_cuda_templateIlEESt5tupleIJNS8_6TensorESD_SD_EERKSD_lbbbEUlllE1_EE10hipError_tPvRmT2_T3_mT4_P12ihipStream_tbEUlT_E_NS1_11comp_targetILNS1_3genE2ELNS1_11target_archE906ELNS1_3gpuE6ELNS1_3repE0EEENS1_30default_config_static_selectorELNS0_4arch9wavefront6targetE1EEEvT1_,@function
_ZN7rocprim17ROCPRIM_400000_NS6detail17trampoline_kernelINS0_14default_configENS1_35adjacent_difference_config_selectorILb0ElEEZNS1_24adjacent_difference_implIS3_Lb0ELb0EPlS7_ZN2at6native12_GLOBAL__N_124unique_dim_cuda_templateIlEESt5tupleIJNS8_6TensorESD_SD_EERKSD_lbbbEUlllE1_EE10hipError_tPvRmT2_T3_mT4_P12ihipStream_tbEUlT_E_NS1_11comp_targetILNS1_3genE2ELNS1_11target_archE906ELNS1_3gpuE6ELNS1_3repE0EEENS1_30default_config_static_selectorELNS0_4arch9wavefront6targetE1EEEvT1_: ; @_ZN7rocprim17ROCPRIM_400000_NS6detail17trampoline_kernelINS0_14default_configENS1_35adjacent_difference_config_selectorILb0ElEEZNS1_24adjacent_difference_implIS3_Lb0ELb0EPlS7_ZN2at6native12_GLOBAL__N_124unique_dim_cuda_templateIlEESt5tupleIJNS8_6TensorESD_SD_EERKSD_lbbbEUlllE1_EE10hipError_tPvRmT2_T3_mT4_P12ihipStream_tbEUlT_E_NS1_11comp_targetILNS1_3genE2ELNS1_11target_archE906ELNS1_3gpuE6ELNS1_3repE0EEENS1_30default_config_static_selectorELNS0_4arch9wavefront6targetE1EEEvT1_
; %bb.0:
	.section	.rodata,"a",@progbits
	.p2align	6, 0x0
	.amdhsa_kernel _ZN7rocprim17ROCPRIM_400000_NS6detail17trampoline_kernelINS0_14default_configENS1_35adjacent_difference_config_selectorILb0ElEEZNS1_24adjacent_difference_implIS3_Lb0ELb0EPlS7_ZN2at6native12_GLOBAL__N_124unique_dim_cuda_templateIlEESt5tupleIJNS8_6TensorESD_SD_EERKSD_lbbbEUlllE1_EE10hipError_tPvRmT2_T3_mT4_P12ihipStream_tbEUlT_E_NS1_11comp_targetILNS1_3genE2ELNS1_11target_archE906ELNS1_3gpuE6ELNS1_3repE0EEENS1_30default_config_static_selectorELNS0_4arch9wavefront6targetE1EEEvT1_
		.amdhsa_group_segment_fixed_size 0
		.amdhsa_private_segment_fixed_size 0
		.amdhsa_kernarg_size 64
		.amdhsa_user_sgpr_count 6
		.amdhsa_user_sgpr_private_segment_buffer 1
		.amdhsa_user_sgpr_dispatch_ptr 0
		.amdhsa_user_sgpr_queue_ptr 0
		.amdhsa_user_sgpr_kernarg_segment_ptr 1
		.amdhsa_user_sgpr_dispatch_id 0
		.amdhsa_user_sgpr_flat_scratch_init 0
		.amdhsa_user_sgpr_kernarg_preload_length 0
		.amdhsa_user_sgpr_kernarg_preload_offset 0
		.amdhsa_user_sgpr_private_segment_size 0
		.amdhsa_uses_dynamic_stack 0
		.amdhsa_system_sgpr_private_segment_wavefront_offset 0
		.amdhsa_system_sgpr_workgroup_id_x 1
		.amdhsa_system_sgpr_workgroup_id_y 0
		.amdhsa_system_sgpr_workgroup_id_z 0
		.amdhsa_system_sgpr_workgroup_info 0
		.amdhsa_system_vgpr_workitem_id 0
		.amdhsa_next_free_vgpr 1
		.amdhsa_next_free_sgpr 0
		.amdhsa_accum_offset 4
		.amdhsa_reserve_vcc 0
		.amdhsa_reserve_flat_scratch 0
		.amdhsa_float_round_mode_32 0
		.amdhsa_float_round_mode_16_64 0
		.amdhsa_float_denorm_mode_32 3
		.amdhsa_float_denorm_mode_16_64 3
		.amdhsa_dx10_clamp 1
		.amdhsa_ieee_mode 1
		.amdhsa_fp16_overflow 0
		.amdhsa_tg_split 0
		.amdhsa_exception_fp_ieee_invalid_op 0
		.amdhsa_exception_fp_denorm_src 0
		.amdhsa_exception_fp_ieee_div_zero 0
		.amdhsa_exception_fp_ieee_overflow 0
		.amdhsa_exception_fp_ieee_underflow 0
		.amdhsa_exception_fp_ieee_inexact 0
		.amdhsa_exception_int_div_zero 0
	.end_amdhsa_kernel
	.section	.text._ZN7rocprim17ROCPRIM_400000_NS6detail17trampoline_kernelINS0_14default_configENS1_35adjacent_difference_config_selectorILb0ElEEZNS1_24adjacent_difference_implIS3_Lb0ELb0EPlS7_ZN2at6native12_GLOBAL__N_124unique_dim_cuda_templateIlEESt5tupleIJNS8_6TensorESD_SD_EERKSD_lbbbEUlllE1_EE10hipError_tPvRmT2_T3_mT4_P12ihipStream_tbEUlT_E_NS1_11comp_targetILNS1_3genE2ELNS1_11target_archE906ELNS1_3gpuE6ELNS1_3repE0EEENS1_30default_config_static_selectorELNS0_4arch9wavefront6targetE1EEEvT1_,"axG",@progbits,_ZN7rocprim17ROCPRIM_400000_NS6detail17trampoline_kernelINS0_14default_configENS1_35adjacent_difference_config_selectorILb0ElEEZNS1_24adjacent_difference_implIS3_Lb0ELb0EPlS7_ZN2at6native12_GLOBAL__N_124unique_dim_cuda_templateIlEESt5tupleIJNS8_6TensorESD_SD_EERKSD_lbbbEUlllE1_EE10hipError_tPvRmT2_T3_mT4_P12ihipStream_tbEUlT_E_NS1_11comp_targetILNS1_3genE2ELNS1_11target_archE906ELNS1_3gpuE6ELNS1_3repE0EEENS1_30default_config_static_selectorELNS0_4arch9wavefront6targetE1EEEvT1_,comdat
.Lfunc_end543:
	.size	_ZN7rocprim17ROCPRIM_400000_NS6detail17trampoline_kernelINS0_14default_configENS1_35adjacent_difference_config_selectorILb0ElEEZNS1_24adjacent_difference_implIS3_Lb0ELb0EPlS7_ZN2at6native12_GLOBAL__N_124unique_dim_cuda_templateIlEESt5tupleIJNS8_6TensorESD_SD_EERKSD_lbbbEUlllE1_EE10hipError_tPvRmT2_T3_mT4_P12ihipStream_tbEUlT_E_NS1_11comp_targetILNS1_3genE2ELNS1_11target_archE906ELNS1_3gpuE6ELNS1_3repE0EEENS1_30default_config_static_selectorELNS0_4arch9wavefront6targetE1EEEvT1_, .Lfunc_end543-_ZN7rocprim17ROCPRIM_400000_NS6detail17trampoline_kernelINS0_14default_configENS1_35adjacent_difference_config_selectorILb0ElEEZNS1_24adjacent_difference_implIS3_Lb0ELb0EPlS7_ZN2at6native12_GLOBAL__N_124unique_dim_cuda_templateIlEESt5tupleIJNS8_6TensorESD_SD_EERKSD_lbbbEUlllE1_EE10hipError_tPvRmT2_T3_mT4_P12ihipStream_tbEUlT_E_NS1_11comp_targetILNS1_3genE2ELNS1_11target_archE906ELNS1_3gpuE6ELNS1_3repE0EEENS1_30default_config_static_selectorELNS0_4arch9wavefront6targetE1EEEvT1_
                                        ; -- End function
	.section	.AMDGPU.csdata,"",@progbits
; Kernel info:
; codeLenInByte = 0
; NumSgprs: 4
; NumVgprs: 0
; NumAgprs: 0
; TotalNumVgprs: 0
; ScratchSize: 0
; MemoryBound: 0
; FloatMode: 240
; IeeeMode: 1
; LDSByteSize: 0 bytes/workgroup (compile time only)
; SGPRBlocks: 0
; VGPRBlocks: 0
; NumSGPRsForWavesPerEU: 4
; NumVGPRsForWavesPerEU: 1
; AccumOffset: 4
; Occupancy: 8
; WaveLimiterHint : 0
; COMPUTE_PGM_RSRC2:SCRATCH_EN: 0
; COMPUTE_PGM_RSRC2:USER_SGPR: 6
; COMPUTE_PGM_RSRC2:TRAP_HANDLER: 0
; COMPUTE_PGM_RSRC2:TGID_X_EN: 1
; COMPUTE_PGM_RSRC2:TGID_Y_EN: 0
; COMPUTE_PGM_RSRC2:TGID_Z_EN: 0
; COMPUTE_PGM_RSRC2:TIDIG_COMP_CNT: 0
; COMPUTE_PGM_RSRC3_GFX90A:ACCUM_OFFSET: 0
; COMPUTE_PGM_RSRC3_GFX90A:TG_SPLIT: 0
	.section	.text._ZN7rocprim17ROCPRIM_400000_NS6detail17trampoline_kernelINS0_14default_configENS1_35adjacent_difference_config_selectorILb0ElEEZNS1_24adjacent_difference_implIS3_Lb0ELb0EPlS7_ZN2at6native12_GLOBAL__N_124unique_dim_cuda_templateIlEESt5tupleIJNS8_6TensorESD_SD_EERKSD_lbbbEUlllE1_EE10hipError_tPvRmT2_T3_mT4_P12ihipStream_tbEUlT_E_NS1_11comp_targetILNS1_3genE9ELNS1_11target_archE1100ELNS1_3gpuE3ELNS1_3repE0EEENS1_30default_config_static_selectorELNS0_4arch9wavefront6targetE1EEEvT1_,"axG",@progbits,_ZN7rocprim17ROCPRIM_400000_NS6detail17trampoline_kernelINS0_14default_configENS1_35adjacent_difference_config_selectorILb0ElEEZNS1_24adjacent_difference_implIS3_Lb0ELb0EPlS7_ZN2at6native12_GLOBAL__N_124unique_dim_cuda_templateIlEESt5tupleIJNS8_6TensorESD_SD_EERKSD_lbbbEUlllE1_EE10hipError_tPvRmT2_T3_mT4_P12ihipStream_tbEUlT_E_NS1_11comp_targetILNS1_3genE9ELNS1_11target_archE1100ELNS1_3gpuE3ELNS1_3repE0EEENS1_30default_config_static_selectorELNS0_4arch9wavefront6targetE1EEEvT1_,comdat
	.globl	_ZN7rocprim17ROCPRIM_400000_NS6detail17trampoline_kernelINS0_14default_configENS1_35adjacent_difference_config_selectorILb0ElEEZNS1_24adjacent_difference_implIS3_Lb0ELb0EPlS7_ZN2at6native12_GLOBAL__N_124unique_dim_cuda_templateIlEESt5tupleIJNS8_6TensorESD_SD_EERKSD_lbbbEUlllE1_EE10hipError_tPvRmT2_T3_mT4_P12ihipStream_tbEUlT_E_NS1_11comp_targetILNS1_3genE9ELNS1_11target_archE1100ELNS1_3gpuE3ELNS1_3repE0EEENS1_30default_config_static_selectorELNS0_4arch9wavefront6targetE1EEEvT1_ ; -- Begin function _ZN7rocprim17ROCPRIM_400000_NS6detail17trampoline_kernelINS0_14default_configENS1_35adjacent_difference_config_selectorILb0ElEEZNS1_24adjacent_difference_implIS3_Lb0ELb0EPlS7_ZN2at6native12_GLOBAL__N_124unique_dim_cuda_templateIlEESt5tupleIJNS8_6TensorESD_SD_EERKSD_lbbbEUlllE1_EE10hipError_tPvRmT2_T3_mT4_P12ihipStream_tbEUlT_E_NS1_11comp_targetILNS1_3genE9ELNS1_11target_archE1100ELNS1_3gpuE3ELNS1_3repE0EEENS1_30default_config_static_selectorELNS0_4arch9wavefront6targetE1EEEvT1_
	.p2align	8
	.type	_ZN7rocprim17ROCPRIM_400000_NS6detail17trampoline_kernelINS0_14default_configENS1_35adjacent_difference_config_selectorILb0ElEEZNS1_24adjacent_difference_implIS3_Lb0ELb0EPlS7_ZN2at6native12_GLOBAL__N_124unique_dim_cuda_templateIlEESt5tupleIJNS8_6TensorESD_SD_EERKSD_lbbbEUlllE1_EE10hipError_tPvRmT2_T3_mT4_P12ihipStream_tbEUlT_E_NS1_11comp_targetILNS1_3genE9ELNS1_11target_archE1100ELNS1_3gpuE3ELNS1_3repE0EEENS1_30default_config_static_selectorELNS0_4arch9wavefront6targetE1EEEvT1_,@function
_ZN7rocprim17ROCPRIM_400000_NS6detail17trampoline_kernelINS0_14default_configENS1_35adjacent_difference_config_selectorILb0ElEEZNS1_24adjacent_difference_implIS3_Lb0ELb0EPlS7_ZN2at6native12_GLOBAL__N_124unique_dim_cuda_templateIlEESt5tupleIJNS8_6TensorESD_SD_EERKSD_lbbbEUlllE1_EE10hipError_tPvRmT2_T3_mT4_P12ihipStream_tbEUlT_E_NS1_11comp_targetILNS1_3genE9ELNS1_11target_archE1100ELNS1_3gpuE3ELNS1_3repE0EEENS1_30default_config_static_selectorELNS0_4arch9wavefront6targetE1EEEvT1_: ; @_ZN7rocprim17ROCPRIM_400000_NS6detail17trampoline_kernelINS0_14default_configENS1_35adjacent_difference_config_selectorILb0ElEEZNS1_24adjacent_difference_implIS3_Lb0ELb0EPlS7_ZN2at6native12_GLOBAL__N_124unique_dim_cuda_templateIlEESt5tupleIJNS8_6TensorESD_SD_EERKSD_lbbbEUlllE1_EE10hipError_tPvRmT2_T3_mT4_P12ihipStream_tbEUlT_E_NS1_11comp_targetILNS1_3genE9ELNS1_11target_archE1100ELNS1_3gpuE3ELNS1_3repE0EEENS1_30default_config_static_selectorELNS0_4arch9wavefront6targetE1EEEvT1_
; %bb.0:
	.section	.rodata,"a",@progbits
	.p2align	6, 0x0
	.amdhsa_kernel _ZN7rocprim17ROCPRIM_400000_NS6detail17trampoline_kernelINS0_14default_configENS1_35adjacent_difference_config_selectorILb0ElEEZNS1_24adjacent_difference_implIS3_Lb0ELb0EPlS7_ZN2at6native12_GLOBAL__N_124unique_dim_cuda_templateIlEESt5tupleIJNS8_6TensorESD_SD_EERKSD_lbbbEUlllE1_EE10hipError_tPvRmT2_T3_mT4_P12ihipStream_tbEUlT_E_NS1_11comp_targetILNS1_3genE9ELNS1_11target_archE1100ELNS1_3gpuE3ELNS1_3repE0EEENS1_30default_config_static_selectorELNS0_4arch9wavefront6targetE1EEEvT1_
		.amdhsa_group_segment_fixed_size 0
		.amdhsa_private_segment_fixed_size 0
		.amdhsa_kernarg_size 64
		.amdhsa_user_sgpr_count 6
		.amdhsa_user_sgpr_private_segment_buffer 1
		.amdhsa_user_sgpr_dispatch_ptr 0
		.amdhsa_user_sgpr_queue_ptr 0
		.amdhsa_user_sgpr_kernarg_segment_ptr 1
		.amdhsa_user_sgpr_dispatch_id 0
		.amdhsa_user_sgpr_flat_scratch_init 0
		.amdhsa_user_sgpr_kernarg_preload_length 0
		.amdhsa_user_sgpr_kernarg_preload_offset 0
		.amdhsa_user_sgpr_private_segment_size 0
		.amdhsa_uses_dynamic_stack 0
		.amdhsa_system_sgpr_private_segment_wavefront_offset 0
		.amdhsa_system_sgpr_workgroup_id_x 1
		.amdhsa_system_sgpr_workgroup_id_y 0
		.amdhsa_system_sgpr_workgroup_id_z 0
		.amdhsa_system_sgpr_workgroup_info 0
		.amdhsa_system_vgpr_workitem_id 0
		.amdhsa_next_free_vgpr 1
		.amdhsa_next_free_sgpr 0
		.amdhsa_accum_offset 4
		.amdhsa_reserve_vcc 0
		.amdhsa_reserve_flat_scratch 0
		.amdhsa_float_round_mode_32 0
		.amdhsa_float_round_mode_16_64 0
		.amdhsa_float_denorm_mode_32 3
		.amdhsa_float_denorm_mode_16_64 3
		.amdhsa_dx10_clamp 1
		.amdhsa_ieee_mode 1
		.amdhsa_fp16_overflow 0
		.amdhsa_tg_split 0
		.amdhsa_exception_fp_ieee_invalid_op 0
		.amdhsa_exception_fp_denorm_src 0
		.amdhsa_exception_fp_ieee_div_zero 0
		.amdhsa_exception_fp_ieee_overflow 0
		.amdhsa_exception_fp_ieee_underflow 0
		.amdhsa_exception_fp_ieee_inexact 0
		.amdhsa_exception_int_div_zero 0
	.end_amdhsa_kernel
	.section	.text._ZN7rocprim17ROCPRIM_400000_NS6detail17trampoline_kernelINS0_14default_configENS1_35adjacent_difference_config_selectorILb0ElEEZNS1_24adjacent_difference_implIS3_Lb0ELb0EPlS7_ZN2at6native12_GLOBAL__N_124unique_dim_cuda_templateIlEESt5tupleIJNS8_6TensorESD_SD_EERKSD_lbbbEUlllE1_EE10hipError_tPvRmT2_T3_mT4_P12ihipStream_tbEUlT_E_NS1_11comp_targetILNS1_3genE9ELNS1_11target_archE1100ELNS1_3gpuE3ELNS1_3repE0EEENS1_30default_config_static_selectorELNS0_4arch9wavefront6targetE1EEEvT1_,"axG",@progbits,_ZN7rocprim17ROCPRIM_400000_NS6detail17trampoline_kernelINS0_14default_configENS1_35adjacent_difference_config_selectorILb0ElEEZNS1_24adjacent_difference_implIS3_Lb0ELb0EPlS7_ZN2at6native12_GLOBAL__N_124unique_dim_cuda_templateIlEESt5tupleIJNS8_6TensorESD_SD_EERKSD_lbbbEUlllE1_EE10hipError_tPvRmT2_T3_mT4_P12ihipStream_tbEUlT_E_NS1_11comp_targetILNS1_3genE9ELNS1_11target_archE1100ELNS1_3gpuE3ELNS1_3repE0EEENS1_30default_config_static_selectorELNS0_4arch9wavefront6targetE1EEEvT1_,comdat
.Lfunc_end544:
	.size	_ZN7rocprim17ROCPRIM_400000_NS6detail17trampoline_kernelINS0_14default_configENS1_35adjacent_difference_config_selectorILb0ElEEZNS1_24adjacent_difference_implIS3_Lb0ELb0EPlS7_ZN2at6native12_GLOBAL__N_124unique_dim_cuda_templateIlEESt5tupleIJNS8_6TensorESD_SD_EERKSD_lbbbEUlllE1_EE10hipError_tPvRmT2_T3_mT4_P12ihipStream_tbEUlT_E_NS1_11comp_targetILNS1_3genE9ELNS1_11target_archE1100ELNS1_3gpuE3ELNS1_3repE0EEENS1_30default_config_static_selectorELNS0_4arch9wavefront6targetE1EEEvT1_, .Lfunc_end544-_ZN7rocprim17ROCPRIM_400000_NS6detail17trampoline_kernelINS0_14default_configENS1_35adjacent_difference_config_selectorILb0ElEEZNS1_24adjacent_difference_implIS3_Lb0ELb0EPlS7_ZN2at6native12_GLOBAL__N_124unique_dim_cuda_templateIlEESt5tupleIJNS8_6TensorESD_SD_EERKSD_lbbbEUlllE1_EE10hipError_tPvRmT2_T3_mT4_P12ihipStream_tbEUlT_E_NS1_11comp_targetILNS1_3genE9ELNS1_11target_archE1100ELNS1_3gpuE3ELNS1_3repE0EEENS1_30default_config_static_selectorELNS0_4arch9wavefront6targetE1EEEvT1_
                                        ; -- End function
	.section	.AMDGPU.csdata,"",@progbits
; Kernel info:
; codeLenInByte = 0
; NumSgprs: 4
; NumVgprs: 0
; NumAgprs: 0
; TotalNumVgprs: 0
; ScratchSize: 0
; MemoryBound: 0
; FloatMode: 240
; IeeeMode: 1
; LDSByteSize: 0 bytes/workgroup (compile time only)
; SGPRBlocks: 0
; VGPRBlocks: 0
; NumSGPRsForWavesPerEU: 4
; NumVGPRsForWavesPerEU: 1
; AccumOffset: 4
; Occupancy: 8
; WaveLimiterHint : 0
; COMPUTE_PGM_RSRC2:SCRATCH_EN: 0
; COMPUTE_PGM_RSRC2:USER_SGPR: 6
; COMPUTE_PGM_RSRC2:TRAP_HANDLER: 0
; COMPUTE_PGM_RSRC2:TGID_X_EN: 1
; COMPUTE_PGM_RSRC2:TGID_Y_EN: 0
; COMPUTE_PGM_RSRC2:TGID_Z_EN: 0
; COMPUTE_PGM_RSRC2:TIDIG_COMP_CNT: 0
; COMPUTE_PGM_RSRC3_GFX90A:ACCUM_OFFSET: 0
; COMPUTE_PGM_RSRC3_GFX90A:TG_SPLIT: 0
	.section	.text._ZN7rocprim17ROCPRIM_400000_NS6detail17trampoline_kernelINS0_14default_configENS1_35adjacent_difference_config_selectorILb0ElEEZNS1_24adjacent_difference_implIS3_Lb0ELb0EPlS7_ZN2at6native12_GLOBAL__N_124unique_dim_cuda_templateIlEESt5tupleIJNS8_6TensorESD_SD_EERKSD_lbbbEUlllE1_EE10hipError_tPvRmT2_T3_mT4_P12ihipStream_tbEUlT_E_NS1_11comp_targetILNS1_3genE8ELNS1_11target_archE1030ELNS1_3gpuE2ELNS1_3repE0EEENS1_30default_config_static_selectorELNS0_4arch9wavefront6targetE1EEEvT1_,"axG",@progbits,_ZN7rocprim17ROCPRIM_400000_NS6detail17trampoline_kernelINS0_14default_configENS1_35adjacent_difference_config_selectorILb0ElEEZNS1_24adjacent_difference_implIS3_Lb0ELb0EPlS7_ZN2at6native12_GLOBAL__N_124unique_dim_cuda_templateIlEESt5tupleIJNS8_6TensorESD_SD_EERKSD_lbbbEUlllE1_EE10hipError_tPvRmT2_T3_mT4_P12ihipStream_tbEUlT_E_NS1_11comp_targetILNS1_3genE8ELNS1_11target_archE1030ELNS1_3gpuE2ELNS1_3repE0EEENS1_30default_config_static_selectorELNS0_4arch9wavefront6targetE1EEEvT1_,comdat
	.globl	_ZN7rocprim17ROCPRIM_400000_NS6detail17trampoline_kernelINS0_14default_configENS1_35adjacent_difference_config_selectorILb0ElEEZNS1_24adjacent_difference_implIS3_Lb0ELb0EPlS7_ZN2at6native12_GLOBAL__N_124unique_dim_cuda_templateIlEESt5tupleIJNS8_6TensorESD_SD_EERKSD_lbbbEUlllE1_EE10hipError_tPvRmT2_T3_mT4_P12ihipStream_tbEUlT_E_NS1_11comp_targetILNS1_3genE8ELNS1_11target_archE1030ELNS1_3gpuE2ELNS1_3repE0EEENS1_30default_config_static_selectorELNS0_4arch9wavefront6targetE1EEEvT1_ ; -- Begin function _ZN7rocprim17ROCPRIM_400000_NS6detail17trampoline_kernelINS0_14default_configENS1_35adjacent_difference_config_selectorILb0ElEEZNS1_24adjacent_difference_implIS3_Lb0ELb0EPlS7_ZN2at6native12_GLOBAL__N_124unique_dim_cuda_templateIlEESt5tupleIJNS8_6TensorESD_SD_EERKSD_lbbbEUlllE1_EE10hipError_tPvRmT2_T3_mT4_P12ihipStream_tbEUlT_E_NS1_11comp_targetILNS1_3genE8ELNS1_11target_archE1030ELNS1_3gpuE2ELNS1_3repE0EEENS1_30default_config_static_selectorELNS0_4arch9wavefront6targetE1EEEvT1_
	.p2align	8
	.type	_ZN7rocprim17ROCPRIM_400000_NS6detail17trampoline_kernelINS0_14default_configENS1_35adjacent_difference_config_selectorILb0ElEEZNS1_24adjacent_difference_implIS3_Lb0ELb0EPlS7_ZN2at6native12_GLOBAL__N_124unique_dim_cuda_templateIlEESt5tupleIJNS8_6TensorESD_SD_EERKSD_lbbbEUlllE1_EE10hipError_tPvRmT2_T3_mT4_P12ihipStream_tbEUlT_E_NS1_11comp_targetILNS1_3genE8ELNS1_11target_archE1030ELNS1_3gpuE2ELNS1_3repE0EEENS1_30default_config_static_selectorELNS0_4arch9wavefront6targetE1EEEvT1_,@function
_ZN7rocprim17ROCPRIM_400000_NS6detail17trampoline_kernelINS0_14default_configENS1_35adjacent_difference_config_selectorILb0ElEEZNS1_24adjacent_difference_implIS3_Lb0ELb0EPlS7_ZN2at6native12_GLOBAL__N_124unique_dim_cuda_templateIlEESt5tupleIJNS8_6TensorESD_SD_EERKSD_lbbbEUlllE1_EE10hipError_tPvRmT2_T3_mT4_P12ihipStream_tbEUlT_E_NS1_11comp_targetILNS1_3genE8ELNS1_11target_archE1030ELNS1_3gpuE2ELNS1_3repE0EEENS1_30default_config_static_selectorELNS0_4arch9wavefront6targetE1EEEvT1_: ; @_ZN7rocprim17ROCPRIM_400000_NS6detail17trampoline_kernelINS0_14default_configENS1_35adjacent_difference_config_selectorILb0ElEEZNS1_24adjacent_difference_implIS3_Lb0ELb0EPlS7_ZN2at6native12_GLOBAL__N_124unique_dim_cuda_templateIlEESt5tupleIJNS8_6TensorESD_SD_EERKSD_lbbbEUlllE1_EE10hipError_tPvRmT2_T3_mT4_P12ihipStream_tbEUlT_E_NS1_11comp_targetILNS1_3genE8ELNS1_11target_archE1030ELNS1_3gpuE2ELNS1_3repE0EEENS1_30default_config_static_selectorELNS0_4arch9wavefront6targetE1EEEvT1_
; %bb.0:
	.section	.rodata,"a",@progbits
	.p2align	6, 0x0
	.amdhsa_kernel _ZN7rocprim17ROCPRIM_400000_NS6detail17trampoline_kernelINS0_14default_configENS1_35adjacent_difference_config_selectorILb0ElEEZNS1_24adjacent_difference_implIS3_Lb0ELb0EPlS7_ZN2at6native12_GLOBAL__N_124unique_dim_cuda_templateIlEESt5tupleIJNS8_6TensorESD_SD_EERKSD_lbbbEUlllE1_EE10hipError_tPvRmT2_T3_mT4_P12ihipStream_tbEUlT_E_NS1_11comp_targetILNS1_3genE8ELNS1_11target_archE1030ELNS1_3gpuE2ELNS1_3repE0EEENS1_30default_config_static_selectorELNS0_4arch9wavefront6targetE1EEEvT1_
		.amdhsa_group_segment_fixed_size 0
		.amdhsa_private_segment_fixed_size 0
		.amdhsa_kernarg_size 64
		.amdhsa_user_sgpr_count 6
		.amdhsa_user_sgpr_private_segment_buffer 1
		.amdhsa_user_sgpr_dispatch_ptr 0
		.amdhsa_user_sgpr_queue_ptr 0
		.amdhsa_user_sgpr_kernarg_segment_ptr 1
		.amdhsa_user_sgpr_dispatch_id 0
		.amdhsa_user_sgpr_flat_scratch_init 0
		.amdhsa_user_sgpr_kernarg_preload_length 0
		.amdhsa_user_sgpr_kernarg_preload_offset 0
		.amdhsa_user_sgpr_private_segment_size 0
		.amdhsa_uses_dynamic_stack 0
		.amdhsa_system_sgpr_private_segment_wavefront_offset 0
		.amdhsa_system_sgpr_workgroup_id_x 1
		.amdhsa_system_sgpr_workgroup_id_y 0
		.amdhsa_system_sgpr_workgroup_id_z 0
		.amdhsa_system_sgpr_workgroup_info 0
		.amdhsa_system_vgpr_workitem_id 0
		.amdhsa_next_free_vgpr 1
		.amdhsa_next_free_sgpr 0
		.amdhsa_accum_offset 4
		.amdhsa_reserve_vcc 0
		.amdhsa_reserve_flat_scratch 0
		.amdhsa_float_round_mode_32 0
		.amdhsa_float_round_mode_16_64 0
		.amdhsa_float_denorm_mode_32 3
		.amdhsa_float_denorm_mode_16_64 3
		.amdhsa_dx10_clamp 1
		.amdhsa_ieee_mode 1
		.amdhsa_fp16_overflow 0
		.amdhsa_tg_split 0
		.amdhsa_exception_fp_ieee_invalid_op 0
		.amdhsa_exception_fp_denorm_src 0
		.amdhsa_exception_fp_ieee_div_zero 0
		.amdhsa_exception_fp_ieee_overflow 0
		.amdhsa_exception_fp_ieee_underflow 0
		.amdhsa_exception_fp_ieee_inexact 0
		.amdhsa_exception_int_div_zero 0
	.end_amdhsa_kernel
	.section	.text._ZN7rocprim17ROCPRIM_400000_NS6detail17trampoline_kernelINS0_14default_configENS1_35adjacent_difference_config_selectorILb0ElEEZNS1_24adjacent_difference_implIS3_Lb0ELb0EPlS7_ZN2at6native12_GLOBAL__N_124unique_dim_cuda_templateIlEESt5tupleIJNS8_6TensorESD_SD_EERKSD_lbbbEUlllE1_EE10hipError_tPvRmT2_T3_mT4_P12ihipStream_tbEUlT_E_NS1_11comp_targetILNS1_3genE8ELNS1_11target_archE1030ELNS1_3gpuE2ELNS1_3repE0EEENS1_30default_config_static_selectorELNS0_4arch9wavefront6targetE1EEEvT1_,"axG",@progbits,_ZN7rocprim17ROCPRIM_400000_NS6detail17trampoline_kernelINS0_14default_configENS1_35adjacent_difference_config_selectorILb0ElEEZNS1_24adjacent_difference_implIS3_Lb0ELb0EPlS7_ZN2at6native12_GLOBAL__N_124unique_dim_cuda_templateIlEESt5tupleIJNS8_6TensorESD_SD_EERKSD_lbbbEUlllE1_EE10hipError_tPvRmT2_T3_mT4_P12ihipStream_tbEUlT_E_NS1_11comp_targetILNS1_3genE8ELNS1_11target_archE1030ELNS1_3gpuE2ELNS1_3repE0EEENS1_30default_config_static_selectorELNS0_4arch9wavefront6targetE1EEEvT1_,comdat
.Lfunc_end545:
	.size	_ZN7rocprim17ROCPRIM_400000_NS6detail17trampoline_kernelINS0_14default_configENS1_35adjacent_difference_config_selectorILb0ElEEZNS1_24adjacent_difference_implIS3_Lb0ELb0EPlS7_ZN2at6native12_GLOBAL__N_124unique_dim_cuda_templateIlEESt5tupleIJNS8_6TensorESD_SD_EERKSD_lbbbEUlllE1_EE10hipError_tPvRmT2_T3_mT4_P12ihipStream_tbEUlT_E_NS1_11comp_targetILNS1_3genE8ELNS1_11target_archE1030ELNS1_3gpuE2ELNS1_3repE0EEENS1_30default_config_static_selectorELNS0_4arch9wavefront6targetE1EEEvT1_, .Lfunc_end545-_ZN7rocprim17ROCPRIM_400000_NS6detail17trampoline_kernelINS0_14default_configENS1_35adjacent_difference_config_selectorILb0ElEEZNS1_24adjacent_difference_implIS3_Lb0ELb0EPlS7_ZN2at6native12_GLOBAL__N_124unique_dim_cuda_templateIlEESt5tupleIJNS8_6TensorESD_SD_EERKSD_lbbbEUlllE1_EE10hipError_tPvRmT2_T3_mT4_P12ihipStream_tbEUlT_E_NS1_11comp_targetILNS1_3genE8ELNS1_11target_archE1030ELNS1_3gpuE2ELNS1_3repE0EEENS1_30default_config_static_selectorELNS0_4arch9wavefront6targetE1EEEvT1_
                                        ; -- End function
	.section	.AMDGPU.csdata,"",@progbits
; Kernel info:
; codeLenInByte = 0
; NumSgprs: 4
; NumVgprs: 0
; NumAgprs: 0
; TotalNumVgprs: 0
; ScratchSize: 0
; MemoryBound: 0
; FloatMode: 240
; IeeeMode: 1
; LDSByteSize: 0 bytes/workgroup (compile time only)
; SGPRBlocks: 0
; VGPRBlocks: 0
; NumSGPRsForWavesPerEU: 4
; NumVGPRsForWavesPerEU: 1
; AccumOffset: 4
; Occupancy: 8
; WaveLimiterHint : 0
; COMPUTE_PGM_RSRC2:SCRATCH_EN: 0
; COMPUTE_PGM_RSRC2:USER_SGPR: 6
; COMPUTE_PGM_RSRC2:TRAP_HANDLER: 0
; COMPUTE_PGM_RSRC2:TGID_X_EN: 1
; COMPUTE_PGM_RSRC2:TGID_Y_EN: 0
; COMPUTE_PGM_RSRC2:TGID_Z_EN: 0
; COMPUTE_PGM_RSRC2:TIDIG_COMP_CNT: 0
; COMPUTE_PGM_RSRC3_GFX90A:ACCUM_OFFSET: 0
; COMPUTE_PGM_RSRC3_GFX90A:TG_SPLIT: 0
	.section	.text._ZN7rocprim17ROCPRIM_400000_NS6detail17trampoline_kernelINS0_14default_configENS1_25transform_config_selectorIlLb0EEEZNS1_14transform_implILb0ES3_S5_NS0_18transform_iteratorINS0_17counting_iteratorImlEEZNS1_24adjacent_difference_implIS3_Lb1ELb0EPlSB_ZN2at6native12_GLOBAL__N_124unique_dim_cuda_templateIlEESt5tupleIJNSC_6TensorESH_SH_EERKSH_lbbbEUlllE1_EE10hipError_tPvRmT2_T3_mT4_P12ihipStream_tbEUlmE_lEESB_NS0_8identityIvEEEESM_SP_SQ_mSR_ST_bEUlT_E_NS1_11comp_targetILNS1_3genE0ELNS1_11target_archE4294967295ELNS1_3gpuE0ELNS1_3repE0EEENS1_30default_config_static_selectorELNS0_4arch9wavefront6targetE1EEEvT1_,"axG",@progbits,_ZN7rocprim17ROCPRIM_400000_NS6detail17trampoline_kernelINS0_14default_configENS1_25transform_config_selectorIlLb0EEEZNS1_14transform_implILb0ES3_S5_NS0_18transform_iteratorINS0_17counting_iteratorImlEEZNS1_24adjacent_difference_implIS3_Lb1ELb0EPlSB_ZN2at6native12_GLOBAL__N_124unique_dim_cuda_templateIlEESt5tupleIJNSC_6TensorESH_SH_EERKSH_lbbbEUlllE1_EE10hipError_tPvRmT2_T3_mT4_P12ihipStream_tbEUlmE_lEESB_NS0_8identityIvEEEESM_SP_SQ_mSR_ST_bEUlT_E_NS1_11comp_targetILNS1_3genE0ELNS1_11target_archE4294967295ELNS1_3gpuE0ELNS1_3repE0EEENS1_30default_config_static_selectorELNS0_4arch9wavefront6targetE1EEEvT1_,comdat
	.globl	_ZN7rocprim17ROCPRIM_400000_NS6detail17trampoline_kernelINS0_14default_configENS1_25transform_config_selectorIlLb0EEEZNS1_14transform_implILb0ES3_S5_NS0_18transform_iteratorINS0_17counting_iteratorImlEEZNS1_24adjacent_difference_implIS3_Lb1ELb0EPlSB_ZN2at6native12_GLOBAL__N_124unique_dim_cuda_templateIlEESt5tupleIJNSC_6TensorESH_SH_EERKSH_lbbbEUlllE1_EE10hipError_tPvRmT2_T3_mT4_P12ihipStream_tbEUlmE_lEESB_NS0_8identityIvEEEESM_SP_SQ_mSR_ST_bEUlT_E_NS1_11comp_targetILNS1_3genE0ELNS1_11target_archE4294967295ELNS1_3gpuE0ELNS1_3repE0EEENS1_30default_config_static_selectorELNS0_4arch9wavefront6targetE1EEEvT1_ ; -- Begin function _ZN7rocprim17ROCPRIM_400000_NS6detail17trampoline_kernelINS0_14default_configENS1_25transform_config_selectorIlLb0EEEZNS1_14transform_implILb0ES3_S5_NS0_18transform_iteratorINS0_17counting_iteratorImlEEZNS1_24adjacent_difference_implIS3_Lb1ELb0EPlSB_ZN2at6native12_GLOBAL__N_124unique_dim_cuda_templateIlEESt5tupleIJNSC_6TensorESH_SH_EERKSH_lbbbEUlllE1_EE10hipError_tPvRmT2_T3_mT4_P12ihipStream_tbEUlmE_lEESB_NS0_8identityIvEEEESM_SP_SQ_mSR_ST_bEUlT_E_NS1_11comp_targetILNS1_3genE0ELNS1_11target_archE4294967295ELNS1_3gpuE0ELNS1_3repE0EEENS1_30default_config_static_selectorELNS0_4arch9wavefront6targetE1EEEvT1_
	.p2align	8
	.type	_ZN7rocprim17ROCPRIM_400000_NS6detail17trampoline_kernelINS0_14default_configENS1_25transform_config_selectorIlLb0EEEZNS1_14transform_implILb0ES3_S5_NS0_18transform_iteratorINS0_17counting_iteratorImlEEZNS1_24adjacent_difference_implIS3_Lb1ELb0EPlSB_ZN2at6native12_GLOBAL__N_124unique_dim_cuda_templateIlEESt5tupleIJNSC_6TensorESH_SH_EERKSH_lbbbEUlllE1_EE10hipError_tPvRmT2_T3_mT4_P12ihipStream_tbEUlmE_lEESB_NS0_8identityIvEEEESM_SP_SQ_mSR_ST_bEUlT_E_NS1_11comp_targetILNS1_3genE0ELNS1_11target_archE4294967295ELNS1_3gpuE0ELNS1_3repE0EEENS1_30default_config_static_selectorELNS0_4arch9wavefront6targetE1EEEvT1_,@function
_ZN7rocprim17ROCPRIM_400000_NS6detail17trampoline_kernelINS0_14default_configENS1_25transform_config_selectorIlLb0EEEZNS1_14transform_implILb0ES3_S5_NS0_18transform_iteratorINS0_17counting_iteratorImlEEZNS1_24adjacent_difference_implIS3_Lb1ELb0EPlSB_ZN2at6native12_GLOBAL__N_124unique_dim_cuda_templateIlEESt5tupleIJNSC_6TensorESH_SH_EERKSH_lbbbEUlllE1_EE10hipError_tPvRmT2_T3_mT4_P12ihipStream_tbEUlmE_lEESB_NS0_8identityIvEEEESM_SP_SQ_mSR_ST_bEUlT_E_NS1_11comp_targetILNS1_3genE0ELNS1_11target_archE4294967295ELNS1_3gpuE0ELNS1_3repE0EEENS1_30default_config_static_selectorELNS0_4arch9wavefront6targetE1EEEvT1_: ; @_ZN7rocprim17ROCPRIM_400000_NS6detail17trampoline_kernelINS0_14default_configENS1_25transform_config_selectorIlLb0EEEZNS1_14transform_implILb0ES3_S5_NS0_18transform_iteratorINS0_17counting_iteratorImlEEZNS1_24adjacent_difference_implIS3_Lb1ELb0EPlSB_ZN2at6native12_GLOBAL__N_124unique_dim_cuda_templateIlEESt5tupleIJNSC_6TensorESH_SH_EERKSH_lbbbEUlllE1_EE10hipError_tPvRmT2_T3_mT4_P12ihipStream_tbEUlmE_lEESB_NS0_8identityIvEEEESM_SP_SQ_mSR_ST_bEUlT_E_NS1_11comp_targetILNS1_3genE0ELNS1_11target_archE4294967295ELNS1_3gpuE0ELNS1_3repE0EEENS1_30default_config_static_selectorELNS0_4arch9wavefront6targetE1EEEvT1_
; %bb.0:
	.section	.rodata,"a",@progbits
	.p2align	6, 0x0
	.amdhsa_kernel _ZN7rocprim17ROCPRIM_400000_NS6detail17trampoline_kernelINS0_14default_configENS1_25transform_config_selectorIlLb0EEEZNS1_14transform_implILb0ES3_S5_NS0_18transform_iteratorINS0_17counting_iteratorImlEEZNS1_24adjacent_difference_implIS3_Lb1ELb0EPlSB_ZN2at6native12_GLOBAL__N_124unique_dim_cuda_templateIlEESt5tupleIJNSC_6TensorESH_SH_EERKSH_lbbbEUlllE1_EE10hipError_tPvRmT2_T3_mT4_P12ihipStream_tbEUlmE_lEESB_NS0_8identityIvEEEESM_SP_SQ_mSR_ST_bEUlT_E_NS1_11comp_targetILNS1_3genE0ELNS1_11target_archE4294967295ELNS1_3gpuE0ELNS1_3repE0EEENS1_30default_config_static_selectorELNS0_4arch9wavefront6targetE1EEEvT1_
		.amdhsa_group_segment_fixed_size 0
		.amdhsa_private_segment_fixed_size 0
		.amdhsa_kernarg_size 56
		.amdhsa_user_sgpr_count 6
		.amdhsa_user_sgpr_private_segment_buffer 1
		.amdhsa_user_sgpr_dispatch_ptr 0
		.amdhsa_user_sgpr_queue_ptr 0
		.amdhsa_user_sgpr_kernarg_segment_ptr 1
		.amdhsa_user_sgpr_dispatch_id 0
		.amdhsa_user_sgpr_flat_scratch_init 0
		.amdhsa_user_sgpr_kernarg_preload_length 0
		.amdhsa_user_sgpr_kernarg_preload_offset 0
		.amdhsa_user_sgpr_private_segment_size 0
		.amdhsa_uses_dynamic_stack 0
		.amdhsa_system_sgpr_private_segment_wavefront_offset 0
		.amdhsa_system_sgpr_workgroup_id_x 1
		.amdhsa_system_sgpr_workgroup_id_y 0
		.amdhsa_system_sgpr_workgroup_id_z 0
		.amdhsa_system_sgpr_workgroup_info 0
		.amdhsa_system_vgpr_workitem_id 0
		.amdhsa_next_free_vgpr 1
		.amdhsa_next_free_sgpr 0
		.amdhsa_accum_offset 4
		.amdhsa_reserve_vcc 0
		.amdhsa_reserve_flat_scratch 0
		.amdhsa_float_round_mode_32 0
		.amdhsa_float_round_mode_16_64 0
		.amdhsa_float_denorm_mode_32 3
		.amdhsa_float_denorm_mode_16_64 3
		.amdhsa_dx10_clamp 1
		.amdhsa_ieee_mode 1
		.amdhsa_fp16_overflow 0
		.amdhsa_tg_split 0
		.amdhsa_exception_fp_ieee_invalid_op 0
		.amdhsa_exception_fp_denorm_src 0
		.amdhsa_exception_fp_ieee_div_zero 0
		.amdhsa_exception_fp_ieee_overflow 0
		.amdhsa_exception_fp_ieee_underflow 0
		.amdhsa_exception_fp_ieee_inexact 0
		.amdhsa_exception_int_div_zero 0
	.end_amdhsa_kernel
	.section	.text._ZN7rocprim17ROCPRIM_400000_NS6detail17trampoline_kernelINS0_14default_configENS1_25transform_config_selectorIlLb0EEEZNS1_14transform_implILb0ES3_S5_NS0_18transform_iteratorINS0_17counting_iteratorImlEEZNS1_24adjacent_difference_implIS3_Lb1ELb0EPlSB_ZN2at6native12_GLOBAL__N_124unique_dim_cuda_templateIlEESt5tupleIJNSC_6TensorESH_SH_EERKSH_lbbbEUlllE1_EE10hipError_tPvRmT2_T3_mT4_P12ihipStream_tbEUlmE_lEESB_NS0_8identityIvEEEESM_SP_SQ_mSR_ST_bEUlT_E_NS1_11comp_targetILNS1_3genE0ELNS1_11target_archE4294967295ELNS1_3gpuE0ELNS1_3repE0EEENS1_30default_config_static_selectorELNS0_4arch9wavefront6targetE1EEEvT1_,"axG",@progbits,_ZN7rocprim17ROCPRIM_400000_NS6detail17trampoline_kernelINS0_14default_configENS1_25transform_config_selectorIlLb0EEEZNS1_14transform_implILb0ES3_S5_NS0_18transform_iteratorINS0_17counting_iteratorImlEEZNS1_24adjacent_difference_implIS3_Lb1ELb0EPlSB_ZN2at6native12_GLOBAL__N_124unique_dim_cuda_templateIlEESt5tupleIJNSC_6TensorESH_SH_EERKSH_lbbbEUlllE1_EE10hipError_tPvRmT2_T3_mT4_P12ihipStream_tbEUlmE_lEESB_NS0_8identityIvEEEESM_SP_SQ_mSR_ST_bEUlT_E_NS1_11comp_targetILNS1_3genE0ELNS1_11target_archE4294967295ELNS1_3gpuE0ELNS1_3repE0EEENS1_30default_config_static_selectorELNS0_4arch9wavefront6targetE1EEEvT1_,comdat
.Lfunc_end546:
	.size	_ZN7rocprim17ROCPRIM_400000_NS6detail17trampoline_kernelINS0_14default_configENS1_25transform_config_selectorIlLb0EEEZNS1_14transform_implILb0ES3_S5_NS0_18transform_iteratorINS0_17counting_iteratorImlEEZNS1_24adjacent_difference_implIS3_Lb1ELb0EPlSB_ZN2at6native12_GLOBAL__N_124unique_dim_cuda_templateIlEESt5tupleIJNSC_6TensorESH_SH_EERKSH_lbbbEUlllE1_EE10hipError_tPvRmT2_T3_mT4_P12ihipStream_tbEUlmE_lEESB_NS0_8identityIvEEEESM_SP_SQ_mSR_ST_bEUlT_E_NS1_11comp_targetILNS1_3genE0ELNS1_11target_archE4294967295ELNS1_3gpuE0ELNS1_3repE0EEENS1_30default_config_static_selectorELNS0_4arch9wavefront6targetE1EEEvT1_, .Lfunc_end546-_ZN7rocprim17ROCPRIM_400000_NS6detail17trampoline_kernelINS0_14default_configENS1_25transform_config_selectorIlLb0EEEZNS1_14transform_implILb0ES3_S5_NS0_18transform_iteratorINS0_17counting_iteratorImlEEZNS1_24adjacent_difference_implIS3_Lb1ELb0EPlSB_ZN2at6native12_GLOBAL__N_124unique_dim_cuda_templateIlEESt5tupleIJNSC_6TensorESH_SH_EERKSH_lbbbEUlllE1_EE10hipError_tPvRmT2_T3_mT4_P12ihipStream_tbEUlmE_lEESB_NS0_8identityIvEEEESM_SP_SQ_mSR_ST_bEUlT_E_NS1_11comp_targetILNS1_3genE0ELNS1_11target_archE4294967295ELNS1_3gpuE0ELNS1_3repE0EEENS1_30default_config_static_selectorELNS0_4arch9wavefront6targetE1EEEvT1_
                                        ; -- End function
	.section	.AMDGPU.csdata,"",@progbits
; Kernel info:
; codeLenInByte = 0
; NumSgprs: 4
; NumVgprs: 0
; NumAgprs: 0
; TotalNumVgprs: 0
; ScratchSize: 0
; MemoryBound: 0
; FloatMode: 240
; IeeeMode: 1
; LDSByteSize: 0 bytes/workgroup (compile time only)
; SGPRBlocks: 0
; VGPRBlocks: 0
; NumSGPRsForWavesPerEU: 4
; NumVGPRsForWavesPerEU: 1
; AccumOffset: 4
; Occupancy: 8
; WaveLimiterHint : 0
; COMPUTE_PGM_RSRC2:SCRATCH_EN: 0
; COMPUTE_PGM_RSRC2:USER_SGPR: 6
; COMPUTE_PGM_RSRC2:TRAP_HANDLER: 0
; COMPUTE_PGM_RSRC2:TGID_X_EN: 1
; COMPUTE_PGM_RSRC2:TGID_Y_EN: 0
; COMPUTE_PGM_RSRC2:TGID_Z_EN: 0
; COMPUTE_PGM_RSRC2:TIDIG_COMP_CNT: 0
; COMPUTE_PGM_RSRC3_GFX90A:ACCUM_OFFSET: 0
; COMPUTE_PGM_RSRC3_GFX90A:TG_SPLIT: 0
	.section	.text._ZN7rocprim17ROCPRIM_400000_NS6detail17trampoline_kernelINS0_14default_configENS1_25transform_config_selectorIlLb0EEEZNS1_14transform_implILb0ES3_S5_NS0_18transform_iteratorINS0_17counting_iteratorImlEEZNS1_24adjacent_difference_implIS3_Lb1ELb0EPlSB_ZN2at6native12_GLOBAL__N_124unique_dim_cuda_templateIlEESt5tupleIJNSC_6TensorESH_SH_EERKSH_lbbbEUlllE1_EE10hipError_tPvRmT2_T3_mT4_P12ihipStream_tbEUlmE_lEESB_NS0_8identityIvEEEESM_SP_SQ_mSR_ST_bEUlT_E_NS1_11comp_targetILNS1_3genE5ELNS1_11target_archE942ELNS1_3gpuE9ELNS1_3repE0EEENS1_30default_config_static_selectorELNS0_4arch9wavefront6targetE1EEEvT1_,"axG",@progbits,_ZN7rocprim17ROCPRIM_400000_NS6detail17trampoline_kernelINS0_14default_configENS1_25transform_config_selectorIlLb0EEEZNS1_14transform_implILb0ES3_S5_NS0_18transform_iteratorINS0_17counting_iteratorImlEEZNS1_24adjacent_difference_implIS3_Lb1ELb0EPlSB_ZN2at6native12_GLOBAL__N_124unique_dim_cuda_templateIlEESt5tupleIJNSC_6TensorESH_SH_EERKSH_lbbbEUlllE1_EE10hipError_tPvRmT2_T3_mT4_P12ihipStream_tbEUlmE_lEESB_NS0_8identityIvEEEESM_SP_SQ_mSR_ST_bEUlT_E_NS1_11comp_targetILNS1_3genE5ELNS1_11target_archE942ELNS1_3gpuE9ELNS1_3repE0EEENS1_30default_config_static_selectorELNS0_4arch9wavefront6targetE1EEEvT1_,comdat
	.globl	_ZN7rocprim17ROCPRIM_400000_NS6detail17trampoline_kernelINS0_14default_configENS1_25transform_config_selectorIlLb0EEEZNS1_14transform_implILb0ES3_S5_NS0_18transform_iteratorINS0_17counting_iteratorImlEEZNS1_24adjacent_difference_implIS3_Lb1ELb0EPlSB_ZN2at6native12_GLOBAL__N_124unique_dim_cuda_templateIlEESt5tupleIJNSC_6TensorESH_SH_EERKSH_lbbbEUlllE1_EE10hipError_tPvRmT2_T3_mT4_P12ihipStream_tbEUlmE_lEESB_NS0_8identityIvEEEESM_SP_SQ_mSR_ST_bEUlT_E_NS1_11comp_targetILNS1_3genE5ELNS1_11target_archE942ELNS1_3gpuE9ELNS1_3repE0EEENS1_30default_config_static_selectorELNS0_4arch9wavefront6targetE1EEEvT1_ ; -- Begin function _ZN7rocprim17ROCPRIM_400000_NS6detail17trampoline_kernelINS0_14default_configENS1_25transform_config_selectorIlLb0EEEZNS1_14transform_implILb0ES3_S5_NS0_18transform_iteratorINS0_17counting_iteratorImlEEZNS1_24adjacent_difference_implIS3_Lb1ELb0EPlSB_ZN2at6native12_GLOBAL__N_124unique_dim_cuda_templateIlEESt5tupleIJNSC_6TensorESH_SH_EERKSH_lbbbEUlllE1_EE10hipError_tPvRmT2_T3_mT4_P12ihipStream_tbEUlmE_lEESB_NS0_8identityIvEEEESM_SP_SQ_mSR_ST_bEUlT_E_NS1_11comp_targetILNS1_3genE5ELNS1_11target_archE942ELNS1_3gpuE9ELNS1_3repE0EEENS1_30default_config_static_selectorELNS0_4arch9wavefront6targetE1EEEvT1_
	.p2align	8
	.type	_ZN7rocprim17ROCPRIM_400000_NS6detail17trampoline_kernelINS0_14default_configENS1_25transform_config_selectorIlLb0EEEZNS1_14transform_implILb0ES3_S5_NS0_18transform_iteratorINS0_17counting_iteratorImlEEZNS1_24adjacent_difference_implIS3_Lb1ELb0EPlSB_ZN2at6native12_GLOBAL__N_124unique_dim_cuda_templateIlEESt5tupleIJNSC_6TensorESH_SH_EERKSH_lbbbEUlllE1_EE10hipError_tPvRmT2_T3_mT4_P12ihipStream_tbEUlmE_lEESB_NS0_8identityIvEEEESM_SP_SQ_mSR_ST_bEUlT_E_NS1_11comp_targetILNS1_3genE5ELNS1_11target_archE942ELNS1_3gpuE9ELNS1_3repE0EEENS1_30default_config_static_selectorELNS0_4arch9wavefront6targetE1EEEvT1_,@function
_ZN7rocprim17ROCPRIM_400000_NS6detail17trampoline_kernelINS0_14default_configENS1_25transform_config_selectorIlLb0EEEZNS1_14transform_implILb0ES3_S5_NS0_18transform_iteratorINS0_17counting_iteratorImlEEZNS1_24adjacent_difference_implIS3_Lb1ELb0EPlSB_ZN2at6native12_GLOBAL__N_124unique_dim_cuda_templateIlEESt5tupleIJNSC_6TensorESH_SH_EERKSH_lbbbEUlllE1_EE10hipError_tPvRmT2_T3_mT4_P12ihipStream_tbEUlmE_lEESB_NS0_8identityIvEEEESM_SP_SQ_mSR_ST_bEUlT_E_NS1_11comp_targetILNS1_3genE5ELNS1_11target_archE942ELNS1_3gpuE9ELNS1_3repE0EEENS1_30default_config_static_selectorELNS0_4arch9wavefront6targetE1EEEvT1_: ; @_ZN7rocprim17ROCPRIM_400000_NS6detail17trampoline_kernelINS0_14default_configENS1_25transform_config_selectorIlLb0EEEZNS1_14transform_implILb0ES3_S5_NS0_18transform_iteratorINS0_17counting_iteratorImlEEZNS1_24adjacent_difference_implIS3_Lb1ELb0EPlSB_ZN2at6native12_GLOBAL__N_124unique_dim_cuda_templateIlEESt5tupleIJNSC_6TensorESH_SH_EERKSH_lbbbEUlllE1_EE10hipError_tPvRmT2_T3_mT4_P12ihipStream_tbEUlmE_lEESB_NS0_8identityIvEEEESM_SP_SQ_mSR_ST_bEUlT_E_NS1_11comp_targetILNS1_3genE5ELNS1_11target_archE942ELNS1_3gpuE9ELNS1_3repE0EEENS1_30default_config_static_selectorELNS0_4arch9wavefront6targetE1EEEvT1_
; %bb.0:
	.section	.rodata,"a",@progbits
	.p2align	6, 0x0
	.amdhsa_kernel _ZN7rocprim17ROCPRIM_400000_NS6detail17trampoline_kernelINS0_14default_configENS1_25transform_config_selectorIlLb0EEEZNS1_14transform_implILb0ES3_S5_NS0_18transform_iteratorINS0_17counting_iteratorImlEEZNS1_24adjacent_difference_implIS3_Lb1ELb0EPlSB_ZN2at6native12_GLOBAL__N_124unique_dim_cuda_templateIlEESt5tupleIJNSC_6TensorESH_SH_EERKSH_lbbbEUlllE1_EE10hipError_tPvRmT2_T3_mT4_P12ihipStream_tbEUlmE_lEESB_NS0_8identityIvEEEESM_SP_SQ_mSR_ST_bEUlT_E_NS1_11comp_targetILNS1_3genE5ELNS1_11target_archE942ELNS1_3gpuE9ELNS1_3repE0EEENS1_30default_config_static_selectorELNS0_4arch9wavefront6targetE1EEEvT1_
		.amdhsa_group_segment_fixed_size 0
		.amdhsa_private_segment_fixed_size 0
		.amdhsa_kernarg_size 56
		.amdhsa_user_sgpr_count 6
		.amdhsa_user_sgpr_private_segment_buffer 1
		.amdhsa_user_sgpr_dispatch_ptr 0
		.amdhsa_user_sgpr_queue_ptr 0
		.amdhsa_user_sgpr_kernarg_segment_ptr 1
		.amdhsa_user_sgpr_dispatch_id 0
		.amdhsa_user_sgpr_flat_scratch_init 0
		.amdhsa_user_sgpr_kernarg_preload_length 0
		.amdhsa_user_sgpr_kernarg_preload_offset 0
		.amdhsa_user_sgpr_private_segment_size 0
		.amdhsa_uses_dynamic_stack 0
		.amdhsa_system_sgpr_private_segment_wavefront_offset 0
		.amdhsa_system_sgpr_workgroup_id_x 1
		.amdhsa_system_sgpr_workgroup_id_y 0
		.amdhsa_system_sgpr_workgroup_id_z 0
		.amdhsa_system_sgpr_workgroup_info 0
		.amdhsa_system_vgpr_workitem_id 0
		.amdhsa_next_free_vgpr 1
		.amdhsa_next_free_sgpr 0
		.amdhsa_accum_offset 4
		.amdhsa_reserve_vcc 0
		.amdhsa_reserve_flat_scratch 0
		.amdhsa_float_round_mode_32 0
		.amdhsa_float_round_mode_16_64 0
		.amdhsa_float_denorm_mode_32 3
		.amdhsa_float_denorm_mode_16_64 3
		.amdhsa_dx10_clamp 1
		.amdhsa_ieee_mode 1
		.amdhsa_fp16_overflow 0
		.amdhsa_tg_split 0
		.amdhsa_exception_fp_ieee_invalid_op 0
		.amdhsa_exception_fp_denorm_src 0
		.amdhsa_exception_fp_ieee_div_zero 0
		.amdhsa_exception_fp_ieee_overflow 0
		.amdhsa_exception_fp_ieee_underflow 0
		.amdhsa_exception_fp_ieee_inexact 0
		.amdhsa_exception_int_div_zero 0
	.end_amdhsa_kernel
	.section	.text._ZN7rocprim17ROCPRIM_400000_NS6detail17trampoline_kernelINS0_14default_configENS1_25transform_config_selectorIlLb0EEEZNS1_14transform_implILb0ES3_S5_NS0_18transform_iteratorINS0_17counting_iteratorImlEEZNS1_24adjacent_difference_implIS3_Lb1ELb0EPlSB_ZN2at6native12_GLOBAL__N_124unique_dim_cuda_templateIlEESt5tupleIJNSC_6TensorESH_SH_EERKSH_lbbbEUlllE1_EE10hipError_tPvRmT2_T3_mT4_P12ihipStream_tbEUlmE_lEESB_NS0_8identityIvEEEESM_SP_SQ_mSR_ST_bEUlT_E_NS1_11comp_targetILNS1_3genE5ELNS1_11target_archE942ELNS1_3gpuE9ELNS1_3repE0EEENS1_30default_config_static_selectorELNS0_4arch9wavefront6targetE1EEEvT1_,"axG",@progbits,_ZN7rocprim17ROCPRIM_400000_NS6detail17trampoline_kernelINS0_14default_configENS1_25transform_config_selectorIlLb0EEEZNS1_14transform_implILb0ES3_S5_NS0_18transform_iteratorINS0_17counting_iteratorImlEEZNS1_24adjacent_difference_implIS3_Lb1ELb0EPlSB_ZN2at6native12_GLOBAL__N_124unique_dim_cuda_templateIlEESt5tupleIJNSC_6TensorESH_SH_EERKSH_lbbbEUlllE1_EE10hipError_tPvRmT2_T3_mT4_P12ihipStream_tbEUlmE_lEESB_NS0_8identityIvEEEESM_SP_SQ_mSR_ST_bEUlT_E_NS1_11comp_targetILNS1_3genE5ELNS1_11target_archE942ELNS1_3gpuE9ELNS1_3repE0EEENS1_30default_config_static_selectorELNS0_4arch9wavefront6targetE1EEEvT1_,comdat
.Lfunc_end547:
	.size	_ZN7rocprim17ROCPRIM_400000_NS6detail17trampoline_kernelINS0_14default_configENS1_25transform_config_selectorIlLb0EEEZNS1_14transform_implILb0ES3_S5_NS0_18transform_iteratorINS0_17counting_iteratorImlEEZNS1_24adjacent_difference_implIS3_Lb1ELb0EPlSB_ZN2at6native12_GLOBAL__N_124unique_dim_cuda_templateIlEESt5tupleIJNSC_6TensorESH_SH_EERKSH_lbbbEUlllE1_EE10hipError_tPvRmT2_T3_mT4_P12ihipStream_tbEUlmE_lEESB_NS0_8identityIvEEEESM_SP_SQ_mSR_ST_bEUlT_E_NS1_11comp_targetILNS1_3genE5ELNS1_11target_archE942ELNS1_3gpuE9ELNS1_3repE0EEENS1_30default_config_static_selectorELNS0_4arch9wavefront6targetE1EEEvT1_, .Lfunc_end547-_ZN7rocprim17ROCPRIM_400000_NS6detail17trampoline_kernelINS0_14default_configENS1_25transform_config_selectorIlLb0EEEZNS1_14transform_implILb0ES3_S5_NS0_18transform_iteratorINS0_17counting_iteratorImlEEZNS1_24adjacent_difference_implIS3_Lb1ELb0EPlSB_ZN2at6native12_GLOBAL__N_124unique_dim_cuda_templateIlEESt5tupleIJNSC_6TensorESH_SH_EERKSH_lbbbEUlllE1_EE10hipError_tPvRmT2_T3_mT4_P12ihipStream_tbEUlmE_lEESB_NS0_8identityIvEEEESM_SP_SQ_mSR_ST_bEUlT_E_NS1_11comp_targetILNS1_3genE5ELNS1_11target_archE942ELNS1_3gpuE9ELNS1_3repE0EEENS1_30default_config_static_selectorELNS0_4arch9wavefront6targetE1EEEvT1_
                                        ; -- End function
	.section	.AMDGPU.csdata,"",@progbits
; Kernel info:
; codeLenInByte = 0
; NumSgprs: 4
; NumVgprs: 0
; NumAgprs: 0
; TotalNumVgprs: 0
; ScratchSize: 0
; MemoryBound: 0
; FloatMode: 240
; IeeeMode: 1
; LDSByteSize: 0 bytes/workgroup (compile time only)
; SGPRBlocks: 0
; VGPRBlocks: 0
; NumSGPRsForWavesPerEU: 4
; NumVGPRsForWavesPerEU: 1
; AccumOffset: 4
; Occupancy: 8
; WaveLimiterHint : 0
; COMPUTE_PGM_RSRC2:SCRATCH_EN: 0
; COMPUTE_PGM_RSRC2:USER_SGPR: 6
; COMPUTE_PGM_RSRC2:TRAP_HANDLER: 0
; COMPUTE_PGM_RSRC2:TGID_X_EN: 1
; COMPUTE_PGM_RSRC2:TGID_Y_EN: 0
; COMPUTE_PGM_RSRC2:TGID_Z_EN: 0
; COMPUTE_PGM_RSRC2:TIDIG_COMP_CNT: 0
; COMPUTE_PGM_RSRC3_GFX90A:ACCUM_OFFSET: 0
; COMPUTE_PGM_RSRC3_GFX90A:TG_SPLIT: 0
	.section	.text._ZN7rocprim17ROCPRIM_400000_NS6detail17trampoline_kernelINS0_14default_configENS1_25transform_config_selectorIlLb0EEEZNS1_14transform_implILb0ES3_S5_NS0_18transform_iteratorINS0_17counting_iteratorImlEEZNS1_24adjacent_difference_implIS3_Lb1ELb0EPlSB_ZN2at6native12_GLOBAL__N_124unique_dim_cuda_templateIlEESt5tupleIJNSC_6TensorESH_SH_EERKSH_lbbbEUlllE1_EE10hipError_tPvRmT2_T3_mT4_P12ihipStream_tbEUlmE_lEESB_NS0_8identityIvEEEESM_SP_SQ_mSR_ST_bEUlT_E_NS1_11comp_targetILNS1_3genE4ELNS1_11target_archE910ELNS1_3gpuE8ELNS1_3repE0EEENS1_30default_config_static_selectorELNS0_4arch9wavefront6targetE1EEEvT1_,"axG",@progbits,_ZN7rocprim17ROCPRIM_400000_NS6detail17trampoline_kernelINS0_14default_configENS1_25transform_config_selectorIlLb0EEEZNS1_14transform_implILb0ES3_S5_NS0_18transform_iteratorINS0_17counting_iteratorImlEEZNS1_24adjacent_difference_implIS3_Lb1ELb0EPlSB_ZN2at6native12_GLOBAL__N_124unique_dim_cuda_templateIlEESt5tupleIJNSC_6TensorESH_SH_EERKSH_lbbbEUlllE1_EE10hipError_tPvRmT2_T3_mT4_P12ihipStream_tbEUlmE_lEESB_NS0_8identityIvEEEESM_SP_SQ_mSR_ST_bEUlT_E_NS1_11comp_targetILNS1_3genE4ELNS1_11target_archE910ELNS1_3gpuE8ELNS1_3repE0EEENS1_30default_config_static_selectorELNS0_4arch9wavefront6targetE1EEEvT1_,comdat
	.globl	_ZN7rocprim17ROCPRIM_400000_NS6detail17trampoline_kernelINS0_14default_configENS1_25transform_config_selectorIlLb0EEEZNS1_14transform_implILb0ES3_S5_NS0_18transform_iteratorINS0_17counting_iteratorImlEEZNS1_24adjacent_difference_implIS3_Lb1ELb0EPlSB_ZN2at6native12_GLOBAL__N_124unique_dim_cuda_templateIlEESt5tupleIJNSC_6TensorESH_SH_EERKSH_lbbbEUlllE1_EE10hipError_tPvRmT2_T3_mT4_P12ihipStream_tbEUlmE_lEESB_NS0_8identityIvEEEESM_SP_SQ_mSR_ST_bEUlT_E_NS1_11comp_targetILNS1_3genE4ELNS1_11target_archE910ELNS1_3gpuE8ELNS1_3repE0EEENS1_30default_config_static_selectorELNS0_4arch9wavefront6targetE1EEEvT1_ ; -- Begin function _ZN7rocprim17ROCPRIM_400000_NS6detail17trampoline_kernelINS0_14default_configENS1_25transform_config_selectorIlLb0EEEZNS1_14transform_implILb0ES3_S5_NS0_18transform_iteratorINS0_17counting_iteratorImlEEZNS1_24adjacent_difference_implIS3_Lb1ELb0EPlSB_ZN2at6native12_GLOBAL__N_124unique_dim_cuda_templateIlEESt5tupleIJNSC_6TensorESH_SH_EERKSH_lbbbEUlllE1_EE10hipError_tPvRmT2_T3_mT4_P12ihipStream_tbEUlmE_lEESB_NS0_8identityIvEEEESM_SP_SQ_mSR_ST_bEUlT_E_NS1_11comp_targetILNS1_3genE4ELNS1_11target_archE910ELNS1_3gpuE8ELNS1_3repE0EEENS1_30default_config_static_selectorELNS0_4arch9wavefront6targetE1EEEvT1_
	.p2align	8
	.type	_ZN7rocprim17ROCPRIM_400000_NS6detail17trampoline_kernelINS0_14default_configENS1_25transform_config_selectorIlLb0EEEZNS1_14transform_implILb0ES3_S5_NS0_18transform_iteratorINS0_17counting_iteratorImlEEZNS1_24adjacent_difference_implIS3_Lb1ELb0EPlSB_ZN2at6native12_GLOBAL__N_124unique_dim_cuda_templateIlEESt5tupleIJNSC_6TensorESH_SH_EERKSH_lbbbEUlllE1_EE10hipError_tPvRmT2_T3_mT4_P12ihipStream_tbEUlmE_lEESB_NS0_8identityIvEEEESM_SP_SQ_mSR_ST_bEUlT_E_NS1_11comp_targetILNS1_3genE4ELNS1_11target_archE910ELNS1_3gpuE8ELNS1_3repE0EEENS1_30default_config_static_selectorELNS0_4arch9wavefront6targetE1EEEvT1_,@function
_ZN7rocprim17ROCPRIM_400000_NS6detail17trampoline_kernelINS0_14default_configENS1_25transform_config_selectorIlLb0EEEZNS1_14transform_implILb0ES3_S5_NS0_18transform_iteratorINS0_17counting_iteratorImlEEZNS1_24adjacent_difference_implIS3_Lb1ELb0EPlSB_ZN2at6native12_GLOBAL__N_124unique_dim_cuda_templateIlEESt5tupleIJNSC_6TensorESH_SH_EERKSH_lbbbEUlllE1_EE10hipError_tPvRmT2_T3_mT4_P12ihipStream_tbEUlmE_lEESB_NS0_8identityIvEEEESM_SP_SQ_mSR_ST_bEUlT_E_NS1_11comp_targetILNS1_3genE4ELNS1_11target_archE910ELNS1_3gpuE8ELNS1_3repE0EEENS1_30default_config_static_selectorELNS0_4arch9wavefront6targetE1EEEvT1_: ; @_ZN7rocprim17ROCPRIM_400000_NS6detail17trampoline_kernelINS0_14default_configENS1_25transform_config_selectorIlLb0EEEZNS1_14transform_implILb0ES3_S5_NS0_18transform_iteratorINS0_17counting_iteratorImlEEZNS1_24adjacent_difference_implIS3_Lb1ELb0EPlSB_ZN2at6native12_GLOBAL__N_124unique_dim_cuda_templateIlEESt5tupleIJNSC_6TensorESH_SH_EERKSH_lbbbEUlllE1_EE10hipError_tPvRmT2_T3_mT4_P12ihipStream_tbEUlmE_lEESB_NS0_8identityIvEEEESM_SP_SQ_mSR_ST_bEUlT_E_NS1_11comp_targetILNS1_3genE4ELNS1_11target_archE910ELNS1_3gpuE8ELNS1_3repE0EEENS1_30default_config_static_selectorELNS0_4arch9wavefront6targetE1EEEvT1_
; %bb.0:
	s_load_dwordx4 s[0:3], s[4:5], 0x18
	s_load_dwordx2 s[14:15], s[4:5], 0x28
	s_load_dwordx4 s[8:11], s[4:5], 0x0
	s_load_dword s12, s[4:5], 0x10
	s_waitcnt lgkmcnt(0)
	s_load_dword s3, s[4:5], 0x38
                                        ; kill: killed $sgpr4_sgpr5
	s_lshl_b64 s[4:5], s[0:1], 3
	s_add_u32 s14, s14, s4
	s_addc_u32 s15, s15, s5
	s_lshl_b32 s4, s6, 9
	s_waitcnt lgkmcnt(0)
	s_add_i32 s3, s3, -1
	s_add_u32 s7, s8, s4
	s_addc_u32 s8, s9, 0
	s_add_u32 s16, s7, s0
	s_addc_u32 s17, s8, s1
	s_mov_b32 s5, 0
	s_cmp_lg_u32 s6, s3
	v_lshlrev_b32_e32 v1, 3, v0
	s_cbranch_scc0 .LBB548_2
; %bb.1:
	v_mov_b32_e32 v2, s17
	v_add_co_u32_e32 v3, vcc, s16, v0
	v_addc_co_u32_e32 v5, vcc, 0, v2, vcc
	v_mad_u64_u32 v[2:3], s[0:1], v3, s12, 0
	v_mov_b32_e32 v4, v3
	v_mad_u64_u32 v[4:5], s[0:1], v5, s12, v[4:5]
	v_mov_b32_e32 v3, v4
	v_lshlrev_b64 v[2:3], 3, v[2:3]
	s_mov_b32 s13, s5
	v_mov_b32_e32 v4, s11
	v_add_co_u32_e32 v2, vcc, s10, v2
	v_addc_co_u32_e32 v3, vcc, v4, v3, vcc
	s_lshl_b64 s[0:1], s[12:13], 11
	global_load_dwordx2 v[8:9], v[2:3], off
	v_mov_b32_e32 v4, s1
	v_add_co_u32_e32 v2, vcc, s0, v2
	v_addc_co_u32_e32 v3, vcc, v3, v4, vcc
	global_load_dwordx2 v[4:5], v[2:3], off
	s_lshl_b64 s[6:7], s[4:5], 3
	s_add_u32 s6, s14, s6
	s_addc_u32 s7, s15, s7
	v_mov_b32_e32 v2, s7
	v_add_co_u32_e32 v6, vcc, s6, v1
	v_addc_co_u32_e32 v7, vcc, 0, v2, vcc
	s_waitcnt vmcnt(1)
	global_store_dwordx2 v1, v[8:9], s[6:7]
	s_mov_b64 s[6:7], -1
	s_cbranch_execz .LBB548_3
	s_branch .LBB548_12
.LBB548_2:
	s_mov_b64 s[6:7], 0
                                        ; implicit-def: $vgpr4_vgpr5
                                        ; implicit-def: $vgpr6_vgpr7
.LBB548_3:
	s_sub_i32 s8, s2, s4
	v_cmp_gt_u32_e32 vcc, s8, v0
                                        ; implicit-def: $vgpr2_vgpr3_vgpr4_vgpr5
	s_and_saveexec_b64 s[2:3], vcc
	s_cbranch_execz .LBB548_5
; %bb.4:
	v_mov_b32_e32 v2, s17
	v_add_co_u32_e64 v3, s[0:1], s16, v0
	s_waitcnt vmcnt(1)
	v_addc_co_u32_e64 v5, s[0:1], 0, v2, s[0:1]
	v_mad_u64_u32 v[2:3], s[0:1], v3, s12, 0
	v_mov_b32_e32 v4, v3
	v_mad_u64_u32 v[4:5], s[0:1], v5, s12, v[4:5]
	v_mov_b32_e32 v3, v4
	v_lshlrev_b64 v[2:3], 3, v[2:3]
	v_mov_b32_e32 v4, s11
	v_add_co_u32_e64 v2, s[0:1], s10, v2
	v_addc_co_u32_e64 v3, s[0:1], v4, v3, s[0:1]
	global_load_dwordx2 v[2:3], v[2:3], off
.LBB548_5:
	s_or_b64 exec, exec, s[2:3]
	v_or_b32_e32 v0, 0x100, v0
	v_cmp_gt_u32_e64 s[0:1], s8, v0
	s_and_saveexec_b64 s[8:9], s[0:1]
	s_cbranch_execz .LBB548_7
; %bb.6:
	s_waitcnt vmcnt(1)
	v_mov_b32_e32 v4, s17
	v_add_co_u32_e64 v0, s[2:3], s16, v0
	v_addc_co_u32_e64 v6, s[2:3], 0, v4, s[2:3]
	v_mad_u64_u32 v[4:5], s[2:3], v0, s12, 0
	v_mov_b32_e32 v0, v5
	v_mad_u64_u32 v[6:7], s[2:3], v6, s12, v[0:1]
	v_mov_b32_e32 v5, v6
	v_lshlrev_b64 v[4:5], 3, v[4:5]
	v_mov_b32_e32 v0, s11
	v_add_co_u32_e64 v4, s[2:3], s10, v4
	v_addc_co_u32_e64 v5, s[2:3], v0, v5, s[2:3]
	global_load_dwordx2 v[4:5], v[4:5], off
.LBB548_7:
	s_or_b64 exec, exec, s[8:9]
	s_lshl_b64 s[2:3], s[4:5], 3
	s_add_u32 s2, s14, s2
	s_addc_u32 s3, s15, s3
	v_mov_b32_e32 v0, s3
	v_add_co_u32_e64 v6, s[2:3], s2, v1
	v_addc_co_u32_e64 v7, s[2:3], 0, v0, s[2:3]
	s_and_saveexec_b64 s[2:3], vcc
	s_cbranch_execz .LBB548_9
; %bb.8:
	s_waitcnt vmcnt(0)
	global_store_dwordx2 v[6:7], v[2:3], off
.LBB548_9:
	s_or_b64 exec, exec, s[2:3]
	s_and_saveexec_b64 s[2:3], s[0:1]
; %bb.10:
	s_or_b64 s[6:7], s[6:7], exec
; %bb.11:
	s_or_b64 exec, exec, s[2:3]
.LBB548_12:
	s_and_saveexec_b64 s[0:1], s[6:7]
	s_cbranch_execnz .LBB548_14
; %bb.13:
	s_endpgm
.LBB548_14:
	s_waitcnt vmcnt(0)
	global_store_dwordx2 v[6:7], v[4:5], off offset:2048
	s_endpgm
	.section	.rodata,"a",@progbits
	.p2align	6, 0x0
	.amdhsa_kernel _ZN7rocprim17ROCPRIM_400000_NS6detail17trampoline_kernelINS0_14default_configENS1_25transform_config_selectorIlLb0EEEZNS1_14transform_implILb0ES3_S5_NS0_18transform_iteratorINS0_17counting_iteratorImlEEZNS1_24adjacent_difference_implIS3_Lb1ELb0EPlSB_ZN2at6native12_GLOBAL__N_124unique_dim_cuda_templateIlEESt5tupleIJNSC_6TensorESH_SH_EERKSH_lbbbEUlllE1_EE10hipError_tPvRmT2_T3_mT4_P12ihipStream_tbEUlmE_lEESB_NS0_8identityIvEEEESM_SP_SQ_mSR_ST_bEUlT_E_NS1_11comp_targetILNS1_3genE4ELNS1_11target_archE910ELNS1_3gpuE8ELNS1_3repE0EEENS1_30default_config_static_selectorELNS0_4arch9wavefront6targetE1EEEvT1_
		.amdhsa_group_segment_fixed_size 0
		.amdhsa_private_segment_fixed_size 0
		.amdhsa_kernarg_size 312
		.amdhsa_user_sgpr_count 6
		.amdhsa_user_sgpr_private_segment_buffer 1
		.amdhsa_user_sgpr_dispatch_ptr 0
		.amdhsa_user_sgpr_queue_ptr 0
		.amdhsa_user_sgpr_kernarg_segment_ptr 1
		.amdhsa_user_sgpr_dispatch_id 0
		.amdhsa_user_sgpr_flat_scratch_init 0
		.amdhsa_user_sgpr_kernarg_preload_length 0
		.amdhsa_user_sgpr_kernarg_preload_offset 0
		.amdhsa_user_sgpr_private_segment_size 0
		.amdhsa_uses_dynamic_stack 0
		.amdhsa_system_sgpr_private_segment_wavefront_offset 0
		.amdhsa_system_sgpr_workgroup_id_x 1
		.amdhsa_system_sgpr_workgroup_id_y 0
		.amdhsa_system_sgpr_workgroup_id_z 0
		.amdhsa_system_sgpr_workgroup_info 0
		.amdhsa_system_vgpr_workitem_id 0
		.amdhsa_next_free_vgpr 10
		.amdhsa_next_free_sgpr 18
		.amdhsa_accum_offset 12
		.amdhsa_reserve_vcc 1
		.amdhsa_reserve_flat_scratch 0
		.amdhsa_float_round_mode_32 0
		.amdhsa_float_round_mode_16_64 0
		.amdhsa_float_denorm_mode_32 3
		.amdhsa_float_denorm_mode_16_64 3
		.amdhsa_dx10_clamp 1
		.amdhsa_ieee_mode 1
		.amdhsa_fp16_overflow 0
		.amdhsa_tg_split 0
		.amdhsa_exception_fp_ieee_invalid_op 0
		.amdhsa_exception_fp_denorm_src 0
		.amdhsa_exception_fp_ieee_div_zero 0
		.amdhsa_exception_fp_ieee_overflow 0
		.amdhsa_exception_fp_ieee_underflow 0
		.amdhsa_exception_fp_ieee_inexact 0
		.amdhsa_exception_int_div_zero 0
	.end_amdhsa_kernel
	.section	.text._ZN7rocprim17ROCPRIM_400000_NS6detail17trampoline_kernelINS0_14default_configENS1_25transform_config_selectorIlLb0EEEZNS1_14transform_implILb0ES3_S5_NS0_18transform_iteratorINS0_17counting_iteratorImlEEZNS1_24adjacent_difference_implIS3_Lb1ELb0EPlSB_ZN2at6native12_GLOBAL__N_124unique_dim_cuda_templateIlEESt5tupleIJNSC_6TensorESH_SH_EERKSH_lbbbEUlllE1_EE10hipError_tPvRmT2_T3_mT4_P12ihipStream_tbEUlmE_lEESB_NS0_8identityIvEEEESM_SP_SQ_mSR_ST_bEUlT_E_NS1_11comp_targetILNS1_3genE4ELNS1_11target_archE910ELNS1_3gpuE8ELNS1_3repE0EEENS1_30default_config_static_selectorELNS0_4arch9wavefront6targetE1EEEvT1_,"axG",@progbits,_ZN7rocprim17ROCPRIM_400000_NS6detail17trampoline_kernelINS0_14default_configENS1_25transform_config_selectorIlLb0EEEZNS1_14transform_implILb0ES3_S5_NS0_18transform_iteratorINS0_17counting_iteratorImlEEZNS1_24adjacent_difference_implIS3_Lb1ELb0EPlSB_ZN2at6native12_GLOBAL__N_124unique_dim_cuda_templateIlEESt5tupleIJNSC_6TensorESH_SH_EERKSH_lbbbEUlllE1_EE10hipError_tPvRmT2_T3_mT4_P12ihipStream_tbEUlmE_lEESB_NS0_8identityIvEEEESM_SP_SQ_mSR_ST_bEUlT_E_NS1_11comp_targetILNS1_3genE4ELNS1_11target_archE910ELNS1_3gpuE8ELNS1_3repE0EEENS1_30default_config_static_selectorELNS0_4arch9wavefront6targetE1EEEvT1_,comdat
.Lfunc_end548:
	.size	_ZN7rocprim17ROCPRIM_400000_NS6detail17trampoline_kernelINS0_14default_configENS1_25transform_config_selectorIlLb0EEEZNS1_14transform_implILb0ES3_S5_NS0_18transform_iteratorINS0_17counting_iteratorImlEEZNS1_24adjacent_difference_implIS3_Lb1ELb0EPlSB_ZN2at6native12_GLOBAL__N_124unique_dim_cuda_templateIlEESt5tupleIJNSC_6TensorESH_SH_EERKSH_lbbbEUlllE1_EE10hipError_tPvRmT2_T3_mT4_P12ihipStream_tbEUlmE_lEESB_NS0_8identityIvEEEESM_SP_SQ_mSR_ST_bEUlT_E_NS1_11comp_targetILNS1_3genE4ELNS1_11target_archE910ELNS1_3gpuE8ELNS1_3repE0EEENS1_30default_config_static_selectorELNS0_4arch9wavefront6targetE1EEEvT1_, .Lfunc_end548-_ZN7rocprim17ROCPRIM_400000_NS6detail17trampoline_kernelINS0_14default_configENS1_25transform_config_selectorIlLb0EEEZNS1_14transform_implILb0ES3_S5_NS0_18transform_iteratorINS0_17counting_iteratorImlEEZNS1_24adjacent_difference_implIS3_Lb1ELb0EPlSB_ZN2at6native12_GLOBAL__N_124unique_dim_cuda_templateIlEESt5tupleIJNSC_6TensorESH_SH_EERKSH_lbbbEUlllE1_EE10hipError_tPvRmT2_T3_mT4_P12ihipStream_tbEUlmE_lEESB_NS0_8identityIvEEEESM_SP_SQ_mSR_ST_bEUlT_E_NS1_11comp_targetILNS1_3genE4ELNS1_11target_archE910ELNS1_3gpuE8ELNS1_3repE0EEENS1_30default_config_static_selectorELNS0_4arch9wavefront6targetE1EEEvT1_
                                        ; -- End function
	.section	.AMDGPU.csdata,"",@progbits
; Kernel info:
; codeLenInByte = 556
; NumSgprs: 22
; NumVgprs: 10
; NumAgprs: 0
; TotalNumVgprs: 10
; ScratchSize: 0
; MemoryBound: 0
; FloatMode: 240
; IeeeMode: 1
; LDSByteSize: 0 bytes/workgroup (compile time only)
; SGPRBlocks: 2
; VGPRBlocks: 1
; NumSGPRsForWavesPerEU: 22
; NumVGPRsForWavesPerEU: 10
; AccumOffset: 12
; Occupancy: 8
; WaveLimiterHint : 0
; COMPUTE_PGM_RSRC2:SCRATCH_EN: 0
; COMPUTE_PGM_RSRC2:USER_SGPR: 6
; COMPUTE_PGM_RSRC2:TRAP_HANDLER: 0
; COMPUTE_PGM_RSRC2:TGID_X_EN: 1
; COMPUTE_PGM_RSRC2:TGID_Y_EN: 0
; COMPUTE_PGM_RSRC2:TGID_Z_EN: 0
; COMPUTE_PGM_RSRC2:TIDIG_COMP_CNT: 0
; COMPUTE_PGM_RSRC3_GFX90A:ACCUM_OFFSET: 2
; COMPUTE_PGM_RSRC3_GFX90A:TG_SPLIT: 0
	.section	.text._ZN7rocprim17ROCPRIM_400000_NS6detail17trampoline_kernelINS0_14default_configENS1_25transform_config_selectorIlLb0EEEZNS1_14transform_implILb0ES3_S5_NS0_18transform_iteratorINS0_17counting_iteratorImlEEZNS1_24adjacent_difference_implIS3_Lb1ELb0EPlSB_ZN2at6native12_GLOBAL__N_124unique_dim_cuda_templateIlEESt5tupleIJNSC_6TensorESH_SH_EERKSH_lbbbEUlllE1_EE10hipError_tPvRmT2_T3_mT4_P12ihipStream_tbEUlmE_lEESB_NS0_8identityIvEEEESM_SP_SQ_mSR_ST_bEUlT_E_NS1_11comp_targetILNS1_3genE3ELNS1_11target_archE908ELNS1_3gpuE7ELNS1_3repE0EEENS1_30default_config_static_selectorELNS0_4arch9wavefront6targetE1EEEvT1_,"axG",@progbits,_ZN7rocprim17ROCPRIM_400000_NS6detail17trampoline_kernelINS0_14default_configENS1_25transform_config_selectorIlLb0EEEZNS1_14transform_implILb0ES3_S5_NS0_18transform_iteratorINS0_17counting_iteratorImlEEZNS1_24adjacent_difference_implIS3_Lb1ELb0EPlSB_ZN2at6native12_GLOBAL__N_124unique_dim_cuda_templateIlEESt5tupleIJNSC_6TensorESH_SH_EERKSH_lbbbEUlllE1_EE10hipError_tPvRmT2_T3_mT4_P12ihipStream_tbEUlmE_lEESB_NS0_8identityIvEEEESM_SP_SQ_mSR_ST_bEUlT_E_NS1_11comp_targetILNS1_3genE3ELNS1_11target_archE908ELNS1_3gpuE7ELNS1_3repE0EEENS1_30default_config_static_selectorELNS0_4arch9wavefront6targetE1EEEvT1_,comdat
	.globl	_ZN7rocprim17ROCPRIM_400000_NS6detail17trampoline_kernelINS0_14default_configENS1_25transform_config_selectorIlLb0EEEZNS1_14transform_implILb0ES3_S5_NS0_18transform_iteratorINS0_17counting_iteratorImlEEZNS1_24adjacent_difference_implIS3_Lb1ELb0EPlSB_ZN2at6native12_GLOBAL__N_124unique_dim_cuda_templateIlEESt5tupleIJNSC_6TensorESH_SH_EERKSH_lbbbEUlllE1_EE10hipError_tPvRmT2_T3_mT4_P12ihipStream_tbEUlmE_lEESB_NS0_8identityIvEEEESM_SP_SQ_mSR_ST_bEUlT_E_NS1_11comp_targetILNS1_3genE3ELNS1_11target_archE908ELNS1_3gpuE7ELNS1_3repE0EEENS1_30default_config_static_selectorELNS0_4arch9wavefront6targetE1EEEvT1_ ; -- Begin function _ZN7rocprim17ROCPRIM_400000_NS6detail17trampoline_kernelINS0_14default_configENS1_25transform_config_selectorIlLb0EEEZNS1_14transform_implILb0ES3_S5_NS0_18transform_iteratorINS0_17counting_iteratorImlEEZNS1_24adjacent_difference_implIS3_Lb1ELb0EPlSB_ZN2at6native12_GLOBAL__N_124unique_dim_cuda_templateIlEESt5tupleIJNSC_6TensorESH_SH_EERKSH_lbbbEUlllE1_EE10hipError_tPvRmT2_T3_mT4_P12ihipStream_tbEUlmE_lEESB_NS0_8identityIvEEEESM_SP_SQ_mSR_ST_bEUlT_E_NS1_11comp_targetILNS1_3genE3ELNS1_11target_archE908ELNS1_3gpuE7ELNS1_3repE0EEENS1_30default_config_static_selectorELNS0_4arch9wavefront6targetE1EEEvT1_
	.p2align	8
	.type	_ZN7rocprim17ROCPRIM_400000_NS6detail17trampoline_kernelINS0_14default_configENS1_25transform_config_selectorIlLb0EEEZNS1_14transform_implILb0ES3_S5_NS0_18transform_iteratorINS0_17counting_iteratorImlEEZNS1_24adjacent_difference_implIS3_Lb1ELb0EPlSB_ZN2at6native12_GLOBAL__N_124unique_dim_cuda_templateIlEESt5tupleIJNSC_6TensorESH_SH_EERKSH_lbbbEUlllE1_EE10hipError_tPvRmT2_T3_mT4_P12ihipStream_tbEUlmE_lEESB_NS0_8identityIvEEEESM_SP_SQ_mSR_ST_bEUlT_E_NS1_11comp_targetILNS1_3genE3ELNS1_11target_archE908ELNS1_3gpuE7ELNS1_3repE0EEENS1_30default_config_static_selectorELNS0_4arch9wavefront6targetE1EEEvT1_,@function
_ZN7rocprim17ROCPRIM_400000_NS6detail17trampoline_kernelINS0_14default_configENS1_25transform_config_selectorIlLb0EEEZNS1_14transform_implILb0ES3_S5_NS0_18transform_iteratorINS0_17counting_iteratorImlEEZNS1_24adjacent_difference_implIS3_Lb1ELb0EPlSB_ZN2at6native12_GLOBAL__N_124unique_dim_cuda_templateIlEESt5tupleIJNSC_6TensorESH_SH_EERKSH_lbbbEUlllE1_EE10hipError_tPvRmT2_T3_mT4_P12ihipStream_tbEUlmE_lEESB_NS0_8identityIvEEEESM_SP_SQ_mSR_ST_bEUlT_E_NS1_11comp_targetILNS1_3genE3ELNS1_11target_archE908ELNS1_3gpuE7ELNS1_3repE0EEENS1_30default_config_static_selectorELNS0_4arch9wavefront6targetE1EEEvT1_: ; @_ZN7rocprim17ROCPRIM_400000_NS6detail17trampoline_kernelINS0_14default_configENS1_25transform_config_selectorIlLb0EEEZNS1_14transform_implILb0ES3_S5_NS0_18transform_iteratorINS0_17counting_iteratorImlEEZNS1_24adjacent_difference_implIS3_Lb1ELb0EPlSB_ZN2at6native12_GLOBAL__N_124unique_dim_cuda_templateIlEESt5tupleIJNSC_6TensorESH_SH_EERKSH_lbbbEUlllE1_EE10hipError_tPvRmT2_T3_mT4_P12ihipStream_tbEUlmE_lEESB_NS0_8identityIvEEEESM_SP_SQ_mSR_ST_bEUlT_E_NS1_11comp_targetILNS1_3genE3ELNS1_11target_archE908ELNS1_3gpuE7ELNS1_3repE0EEENS1_30default_config_static_selectorELNS0_4arch9wavefront6targetE1EEEvT1_
; %bb.0:
	.section	.rodata,"a",@progbits
	.p2align	6, 0x0
	.amdhsa_kernel _ZN7rocprim17ROCPRIM_400000_NS6detail17trampoline_kernelINS0_14default_configENS1_25transform_config_selectorIlLb0EEEZNS1_14transform_implILb0ES3_S5_NS0_18transform_iteratorINS0_17counting_iteratorImlEEZNS1_24adjacent_difference_implIS3_Lb1ELb0EPlSB_ZN2at6native12_GLOBAL__N_124unique_dim_cuda_templateIlEESt5tupleIJNSC_6TensorESH_SH_EERKSH_lbbbEUlllE1_EE10hipError_tPvRmT2_T3_mT4_P12ihipStream_tbEUlmE_lEESB_NS0_8identityIvEEEESM_SP_SQ_mSR_ST_bEUlT_E_NS1_11comp_targetILNS1_3genE3ELNS1_11target_archE908ELNS1_3gpuE7ELNS1_3repE0EEENS1_30default_config_static_selectorELNS0_4arch9wavefront6targetE1EEEvT1_
		.amdhsa_group_segment_fixed_size 0
		.amdhsa_private_segment_fixed_size 0
		.amdhsa_kernarg_size 56
		.amdhsa_user_sgpr_count 6
		.amdhsa_user_sgpr_private_segment_buffer 1
		.amdhsa_user_sgpr_dispatch_ptr 0
		.amdhsa_user_sgpr_queue_ptr 0
		.amdhsa_user_sgpr_kernarg_segment_ptr 1
		.amdhsa_user_sgpr_dispatch_id 0
		.amdhsa_user_sgpr_flat_scratch_init 0
		.amdhsa_user_sgpr_kernarg_preload_length 0
		.amdhsa_user_sgpr_kernarg_preload_offset 0
		.amdhsa_user_sgpr_private_segment_size 0
		.amdhsa_uses_dynamic_stack 0
		.amdhsa_system_sgpr_private_segment_wavefront_offset 0
		.amdhsa_system_sgpr_workgroup_id_x 1
		.amdhsa_system_sgpr_workgroup_id_y 0
		.amdhsa_system_sgpr_workgroup_id_z 0
		.amdhsa_system_sgpr_workgroup_info 0
		.amdhsa_system_vgpr_workitem_id 0
		.amdhsa_next_free_vgpr 1
		.amdhsa_next_free_sgpr 0
		.amdhsa_accum_offset 4
		.amdhsa_reserve_vcc 0
		.amdhsa_reserve_flat_scratch 0
		.amdhsa_float_round_mode_32 0
		.amdhsa_float_round_mode_16_64 0
		.amdhsa_float_denorm_mode_32 3
		.amdhsa_float_denorm_mode_16_64 3
		.amdhsa_dx10_clamp 1
		.amdhsa_ieee_mode 1
		.amdhsa_fp16_overflow 0
		.amdhsa_tg_split 0
		.amdhsa_exception_fp_ieee_invalid_op 0
		.amdhsa_exception_fp_denorm_src 0
		.amdhsa_exception_fp_ieee_div_zero 0
		.amdhsa_exception_fp_ieee_overflow 0
		.amdhsa_exception_fp_ieee_underflow 0
		.amdhsa_exception_fp_ieee_inexact 0
		.amdhsa_exception_int_div_zero 0
	.end_amdhsa_kernel
	.section	.text._ZN7rocprim17ROCPRIM_400000_NS6detail17trampoline_kernelINS0_14default_configENS1_25transform_config_selectorIlLb0EEEZNS1_14transform_implILb0ES3_S5_NS0_18transform_iteratorINS0_17counting_iteratorImlEEZNS1_24adjacent_difference_implIS3_Lb1ELb0EPlSB_ZN2at6native12_GLOBAL__N_124unique_dim_cuda_templateIlEESt5tupleIJNSC_6TensorESH_SH_EERKSH_lbbbEUlllE1_EE10hipError_tPvRmT2_T3_mT4_P12ihipStream_tbEUlmE_lEESB_NS0_8identityIvEEEESM_SP_SQ_mSR_ST_bEUlT_E_NS1_11comp_targetILNS1_3genE3ELNS1_11target_archE908ELNS1_3gpuE7ELNS1_3repE0EEENS1_30default_config_static_selectorELNS0_4arch9wavefront6targetE1EEEvT1_,"axG",@progbits,_ZN7rocprim17ROCPRIM_400000_NS6detail17trampoline_kernelINS0_14default_configENS1_25transform_config_selectorIlLb0EEEZNS1_14transform_implILb0ES3_S5_NS0_18transform_iteratorINS0_17counting_iteratorImlEEZNS1_24adjacent_difference_implIS3_Lb1ELb0EPlSB_ZN2at6native12_GLOBAL__N_124unique_dim_cuda_templateIlEESt5tupleIJNSC_6TensorESH_SH_EERKSH_lbbbEUlllE1_EE10hipError_tPvRmT2_T3_mT4_P12ihipStream_tbEUlmE_lEESB_NS0_8identityIvEEEESM_SP_SQ_mSR_ST_bEUlT_E_NS1_11comp_targetILNS1_3genE3ELNS1_11target_archE908ELNS1_3gpuE7ELNS1_3repE0EEENS1_30default_config_static_selectorELNS0_4arch9wavefront6targetE1EEEvT1_,comdat
.Lfunc_end549:
	.size	_ZN7rocprim17ROCPRIM_400000_NS6detail17trampoline_kernelINS0_14default_configENS1_25transform_config_selectorIlLb0EEEZNS1_14transform_implILb0ES3_S5_NS0_18transform_iteratorINS0_17counting_iteratorImlEEZNS1_24adjacent_difference_implIS3_Lb1ELb0EPlSB_ZN2at6native12_GLOBAL__N_124unique_dim_cuda_templateIlEESt5tupleIJNSC_6TensorESH_SH_EERKSH_lbbbEUlllE1_EE10hipError_tPvRmT2_T3_mT4_P12ihipStream_tbEUlmE_lEESB_NS0_8identityIvEEEESM_SP_SQ_mSR_ST_bEUlT_E_NS1_11comp_targetILNS1_3genE3ELNS1_11target_archE908ELNS1_3gpuE7ELNS1_3repE0EEENS1_30default_config_static_selectorELNS0_4arch9wavefront6targetE1EEEvT1_, .Lfunc_end549-_ZN7rocprim17ROCPRIM_400000_NS6detail17trampoline_kernelINS0_14default_configENS1_25transform_config_selectorIlLb0EEEZNS1_14transform_implILb0ES3_S5_NS0_18transform_iteratorINS0_17counting_iteratorImlEEZNS1_24adjacent_difference_implIS3_Lb1ELb0EPlSB_ZN2at6native12_GLOBAL__N_124unique_dim_cuda_templateIlEESt5tupleIJNSC_6TensorESH_SH_EERKSH_lbbbEUlllE1_EE10hipError_tPvRmT2_T3_mT4_P12ihipStream_tbEUlmE_lEESB_NS0_8identityIvEEEESM_SP_SQ_mSR_ST_bEUlT_E_NS1_11comp_targetILNS1_3genE3ELNS1_11target_archE908ELNS1_3gpuE7ELNS1_3repE0EEENS1_30default_config_static_selectorELNS0_4arch9wavefront6targetE1EEEvT1_
                                        ; -- End function
	.section	.AMDGPU.csdata,"",@progbits
; Kernel info:
; codeLenInByte = 0
; NumSgprs: 4
; NumVgprs: 0
; NumAgprs: 0
; TotalNumVgprs: 0
; ScratchSize: 0
; MemoryBound: 0
; FloatMode: 240
; IeeeMode: 1
; LDSByteSize: 0 bytes/workgroup (compile time only)
; SGPRBlocks: 0
; VGPRBlocks: 0
; NumSGPRsForWavesPerEU: 4
; NumVGPRsForWavesPerEU: 1
; AccumOffset: 4
; Occupancy: 8
; WaveLimiterHint : 0
; COMPUTE_PGM_RSRC2:SCRATCH_EN: 0
; COMPUTE_PGM_RSRC2:USER_SGPR: 6
; COMPUTE_PGM_RSRC2:TRAP_HANDLER: 0
; COMPUTE_PGM_RSRC2:TGID_X_EN: 1
; COMPUTE_PGM_RSRC2:TGID_Y_EN: 0
; COMPUTE_PGM_RSRC2:TGID_Z_EN: 0
; COMPUTE_PGM_RSRC2:TIDIG_COMP_CNT: 0
; COMPUTE_PGM_RSRC3_GFX90A:ACCUM_OFFSET: 0
; COMPUTE_PGM_RSRC3_GFX90A:TG_SPLIT: 0
	.section	.text._ZN7rocprim17ROCPRIM_400000_NS6detail17trampoline_kernelINS0_14default_configENS1_25transform_config_selectorIlLb0EEEZNS1_14transform_implILb0ES3_S5_NS0_18transform_iteratorINS0_17counting_iteratorImlEEZNS1_24adjacent_difference_implIS3_Lb1ELb0EPlSB_ZN2at6native12_GLOBAL__N_124unique_dim_cuda_templateIlEESt5tupleIJNSC_6TensorESH_SH_EERKSH_lbbbEUlllE1_EE10hipError_tPvRmT2_T3_mT4_P12ihipStream_tbEUlmE_lEESB_NS0_8identityIvEEEESM_SP_SQ_mSR_ST_bEUlT_E_NS1_11comp_targetILNS1_3genE2ELNS1_11target_archE906ELNS1_3gpuE6ELNS1_3repE0EEENS1_30default_config_static_selectorELNS0_4arch9wavefront6targetE1EEEvT1_,"axG",@progbits,_ZN7rocprim17ROCPRIM_400000_NS6detail17trampoline_kernelINS0_14default_configENS1_25transform_config_selectorIlLb0EEEZNS1_14transform_implILb0ES3_S5_NS0_18transform_iteratorINS0_17counting_iteratorImlEEZNS1_24adjacent_difference_implIS3_Lb1ELb0EPlSB_ZN2at6native12_GLOBAL__N_124unique_dim_cuda_templateIlEESt5tupleIJNSC_6TensorESH_SH_EERKSH_lbbbEUlllE1_EE10hipError_tPvRmT2_T3_mT4_P12ihipStream_tbEUlmE_lEESB_NS0_8identityIvEEEESM_SP_SQ_mSR_ST_bEUlT_E_NS1_11comp_targetILNS1_3genE2ELNS1_11target_archE906ELNS1_3gpuE6ELNS1_3repE0EEENS1_30default_config_static_selectorELNS0_4arch9wavefront6targetE1EEEvT1_,comdat
	.globl	_ZN7rocprim17ROCPRIM_400000_NS6detail17trampoline_kernelINS0_14default_configENS1_25transform_config_selectorIlLb0EEEZNS1_14transform_implILb0ES3_S5_NS0_18transform_iteratorINS0_17counting_iteratorImlEEZNS1_24adjacent_difference_implIS3_Lb1ELb0EPlSB_ZN2at6native12_GLOBAL__N_124unique_dim_cuda_templateIlEESt5tupleIJNSC_6TensorESH_SH_EERKSH_lbbbEUlllE1_EE10hipError_tPvRmT2_T3_mT4_P12ihipStream_tbEUlmE_lEESB_NS0_8identityIvEEEESM_SP_SQ_mSR_ST_bEUlT_E_NS1_11comp_targetILNS1_3genE2ELNS1_11target_archE906ELNS1_3gpuE6ELNS1_3repE0EEENS1_30default_config_static_selectorELNS0_4arch9wavefront6targetE1EEEvT1_ ; -- Begin function _ZN7rocprim17ROCPRIM_400000_NS6detail17trampoline_kernelINS0_14default_configENS1_25transform_config_selectorIlLb0EEEZNS1_14transform_implILb0ES3_S5_NS0_18transform_iteratorINS0_17counting_iteratorImlEEZNS1_24adjacent_difference_implIS3_Lb1ELb0EPlSB_ZN2at6native12_GLOBAL__N_124unique_dim_cuda_templateIlEESt5tupleIJNSC_6TensorESH_SH_EERKSH_lbbbEUlllE1_EE10hipError_tPvRmT2_T3_mT4_P12ihipStream_tbEUlmE_lEESB_NS0_8identityIvEEEESM_SP_SQ_mSR_ST_bEUlT_E_NS1_11comp_targetILNS1_3genE2ELNS1_11target_archE906ELNS1_3gpuE6ELNS1_3repE0EEENS1_30default_config_static_selectorELNS0_4arch9wavefront6targetE1EEEvT1_
	.p2align	8
	.type	_ZN7rocprim17ROCPRIM_400000_NS6detail17trampoline_kernelINS0_14default_configENS1_25transform_config_selectorIlLb0EEEZNS1_14transform_implILb0ES3_S5_NS0_18transform_iteratorINS0_17counting_iteratorImlEEZNS1_24adjacent_difference_implIS3_Lb1ELb0EPlSB_ZN2at6native12_GLOBAL__N_124unique_dim_cuda_templateIlEESt5tupleIJNSC_6TensorESH_SH_EERKSH_lbbbEUlllE1_EE10hipError_tPvRmT2_T3_mT4_P12ihipStream_tbEUlmE_lEESB_NS0_8identityIvEEEESM_SP_SQ_mSR_ST_bEUlT_E_NS1_11comp_targetILNS1_3genE2ELNS1_11target_archE906ELNS1_3gpuE6ELNS1_3repE0EEENS1_30default_config_static_selectorELNS0_4arch9wavefront6targetE1EEEvT1_,@function
_ZN7rocprim17ROCPRIM_400000_NS6detail17trampoline_kernelINS0_14default_configENS1_25transform_config_selectorIlLb0EEEZNS1_14transform_implILb0ES3_S5_NS0_18transform_iteratorINS0_17counting_iteratorImlEEZNS1_24adjacent_difference_implIS3_Lb1ELb0EPlSB_ZN2at6native12_GLOBAL__N_124unique_dim_cuda_templateIlEESt5tupleIJNSC_6TensorESH_SH_EERKSH_lbbbEUlllE1_EE10hipError_tPvRmT2_T3_mT4_P12ihipStream_tbEUlmE_lEESB_NS0_8identityIvEEEESM_SP_SQ_mSR_ST_bEUlT_E_NS1_11comp_targetILNS1_3genE2ELNS1_11target_archE906ELNS1_3gpuE6ELNS1_3repE0EEENS1_30default_config_static_selectorELNS0_4arch9wavefront6targetE1EEEvT1_: ; @_ZN7rocprim17ROCPRIM_400000_NS6detail17trampoline_kernelINS0_14default_configENS1_25transform_config_selectorIlLb0EEEZNS1_14transform_implILb0ES3_S5_NS0_18transform_iteratorINS0_17counting_iteratorImlEEZNS1_24adjacent_difference_implIS3_Lb1ELb0EPlSB_ZN2at6native12_GLOBAL__N_124unique_dim_cuda_templateIlEESt5tupleIJNSC_6TensorESH_SH_EERKSH_lbbbEUlllE1_EE10hipError_tPvRmT2_T3_mT4_P12ihipStream_tbEUlmE_lEESB_NS0_8identityIvEEEESM_SP_SQ_mSR_ST_bEUlT_E_NS1_11comp_targetILNS1_3genE2ELNS1_11target_archE906ELNS1_3gpuE6ELNS1_3repE0EEENS1_30default_config_static_selectorELNS0_4arch9wavefront6targetE1EEEvT1_
; %bb.0:
	.section	.rodata,"a",@progbits
	.p2align	6, 0x0
	.amdhsa_kernel _ZN7rocprim17ROCPRIM_400000_NS6detail17trampoline_kernelINS0_14default_configENS1_25transform_config_selectorIlLb0EEEZNS1_14transform_implILb0ES3_S5_NS0_18transform_iteratorINS0_17counting_iteratorImlEEZNS1_24adjacent_difference_implIS3_Lb1ELb0EPlSB_ZN2at6native12_GLOBAL__N_124unique_dim_cuda_templateIlEESt5tupleIJNSC_6TensorESH_SH_EERKSH_lbbbEUlllE1_EE10hipError_tPvRmT2_T3_mT4_P12ihipStream_tbEUlmE_lEESB_NS0_8identityIvEEEESM_SP_SQ_mSR_ST_bEUlT_E_NS1_11comp_targetILNS1_3genE2ELNS1_11target_archE906ELNS1_3gpuE6ELNS1_3repE0EEENS1_30default_config_static_selectorELNS0_4arch9wavefront6targetE1EEEvT1_
		.amdhsa_group_segment_fixed_size 0
		.amdhsa_private_segment_fixed_size 0
		.amdhsa_kernarg_size 56
		.amdhsa_user_sgpr_count 6
		.amdhsa_user_sgpr_private_segment_buffer 1
		.amdhsa_user_sgpr_dispatch_ptr 0
		.amdhsa_user_sgpr_queue_ptr 0
		.amdhsa_user_sgpr_kernarg_segment_ptr 1
		.amdhsa_user_sgpr_dispatch_id 0
		.amdhsa_user_sgpr_flat_scratch_init 0
		.amdhsa_user_sgpr_kernarg_preload_length 0
		.amdhsa_user_sgpr_kernarg_preload_offset 0
		.amdhsa_user_sgpr_private_segment_size 0
		.amdhsa_uses_dynamic_stack 0
		.amdhsa_system_sgpr_private_segment_wavefront_offset 0
		.amdhsa_system_sgpr_workgroup_id_x 1
		.amdhsa_system_sgpr_workgroup_id_y 0
		.amdhsa_system_sgpr_workgroup_id_z 0
		.amdhsa_system_sgpr_workgroup_info 0
		.amdhsa_system_vgpr_workitem_id 0
		.amdhsa_next_free_vgpr 1
		.amdhsa_next_free_sgpr 0
		.amdhsa_accum_offset 4
		.amdhsa_reserve_vcc 0
		.amdhsa_reserve_flat_scratch 0
		.amdhsa_float_round_mode_32 0
		.amdhsa_float_round_mode_16_64 0
		.amdhsa_float_denorm_mode_32 3
		.amdhsa_float_denorm_mode_16_64 3
		.amdhsa_dx10_clamp 1
		.amdhsa_ieee_mode 1
		.amdhsa_fp16_overflow 0
		.amdhsa_tg_split 0
		.amdhsa_exception_fp_ieee_invalid_op 0
		.amdhsa_exception_fp_denorm_src 0
		.amdhsa_exception_fp_ieee_div_zero 0
		.amdhsa_exception_fp_ieee_overflow 0
		.amdhsa_exception_fp_ieee_underflow 0
		.amdhsa_exception_fp_ieee_inexact 0
		.amdhsa_exception_int_div_zero 0
	.end_amdhsa_kernel
	.section	.text._ZN7rocprim17ROCPRIM_400000_NS6detail17trampoline_kernelINS0_14default_configENS1_25transform_config_selectorIlLb0EEEZNS1_14transform_implILb0ES3_S5_NS0_18transform_iteratorINS0_17counting_iteratorImlEEZNS1_24adjacent_difference_implIS3_Lb1ELb0EPlSB_ZN2at6native12_GLOBAL__N_124unique_dim_cuda_templateIlEESt5tupleIJNSC_6TensorESH_SH_EERKSH_lbbbEUlllE1_EE10hipError_tPvRmT2_T3_mT4_P12ihipStream_tbEUlmE_lEESB_NS0_8identityIvEEEESM_SP_SQ_mSR_ST_bEUlT_E_NS1_11comp_targetILNS1_3genE2ELNS1_11target_archE906ELNS1_3gpuE6ELNS1_3repE0EEENS1_30default_config_static_selectorELNS0_4arch9wavefront6targetE1EEEvT1_,"axG",@progbits,_ZN7rocprim17ROCPRIM_400000_NS6detail17trampoline_kernelINS0_14default_configENS1_25transform_config_selectorIlLb0EEEZNS1_14transform_implILb0ES3_S5_NS0_18transform_iteratorINS0_17counting_iteratorImlEEZNS1_24adjacent_difference_implIS3_Lb1ELb0EPlSB_ZN2at6native12_GLOBAL__N_124unique_dim_cuda_templateIlEESt5tupleIJNSC_6TensorESH_SH_EERKSH_lbbbEUlllE1_EE10hipError_tPvRmT2_T3_mT4_P12ihipStream_tbEUlmE_lEESB_NS0_8identityIvEEEESM_SP_SQ_mSR_ST_bEUlT_E_NS1_11comp_targetILNS1_3genE2ELNS1_11target_archE906ELNS1_3gpuE6ELNS1_3repE0EEENS1_30default_config_static_selectorELNS0_4arch9wavefront6targetE1EEEvT1_,comdat
.Lfunc_end550:
	.size	_ZN7rocprim17ROCPRIM_400000_NS6detail17trampoline_kernelINS0_14default_configENS1_25transform_config_selectorIlLb0EEEZNS1_14transform_implILb0ES3_S5_NS0_18transform_iteratorINS0_17counting_iteratorImlEEZNS1_24adjacent_difference_implIS3_Lb1ELb0EPlSB_ZN2at6native12_GLOBAL__N_124unique_dim_cuda_templateIlEESt5tupleIJNSC_6TensorESH_SH_EERKSH_lbbbEUlllE1_EE10hipError_tPvRmT2_T3_mT4_P12ihipStream_tbEUlmE_lEESB_NS0_8identityIvEEEESM_SP_SQ_mSR_ST_bEUlT_E_NS1_11comp_targetILNS1_3genE2ELNS1_11target_archE906ELNS1_3gpuE6ELNS1_3repE0EEENS1_30default_config_static_selectorELNS0_4arch9wavefront6targetE1EEEvT1_, .Lfunc_end550-_ZN7rocprim17ROCPRIM_400000_NS6detail17trampoline_kernelINS0_14default_configENS1_25transform_config_selectorIlLb0EEEZNS1_14transform_implILb0ES3_S5_NS0_18transform_iteratorINS0_17counting_iteratorImlEEZNS1_24adjacent_difference_implIS3_Lb1ELb0EPlSB_ZN2at6native12_GLOBAL__N_124unique_dim_cuda_templateIlEESt5tupleIJNSC_6TensorESH_SH_EERKSH_lbbbEUlllE1_EE10hipError_tPvRmT2_T3_mT4_P12ihipStream_tbEUlmE_lEESB_NS0_8identityIvEEEESM_SP_SQ_mSR_ST_bEUlT_E_NS1_11comp_targetILNS1_3genE2ELNS1_11target_archE906ELNS1_3gpuE6ELNS1_3repE0EEENS1_30default_config_static_selectorELNS0_4arch9wavefront6targetE1EEEvT1_
                                        ; -- End function
	.section	.AMDGPU.csdata,"",@progbits
; Kernel info:
; codeLenInByte = 0
; NumSgprs: 4
; NumVgprs: 0
; NumAgprs: 0
; TotalNumVgprs: 0
; ScratchSize: 0
; MemoryBound: 0
; FloatMode: 240
; IeeeMode: 1
; LDSByteSize: 0 bytes/workgroup (compile time only)
; SGPRBlocks: 0
; VGPRBlocks: 0
; NumSGPRsForWavesPerEU: 4
; NumVGPRsForWavesPerEU: 1
; AccumOffset: 4
; Occupancy: 8
; WaveLimiterHint : 0
; COMPUTE_PGM_RSRC2:SCRATCH_EN: 0
; COMPUTE_PGM_RSRC2:USER_SGPR: 6
; COMPUTE_PGM_RSRC2:TRAP_HANDLER: 0
; COMPUTE_PGM_RSRC2:TGID_X_EN: 1
; COMPUTE_PGM_RSRC2:TGID_Y_EN: 0
; COMPUTE_PGM_RSRC2:TGID_Z_EN: 0
; COMPUTE_PGM_RSRC2:TIDIG_COMP_CNT: 0
; COMPUTE_PGM_RSRC3_GFX90A:ACCUM_OFFSET: 0
; COMPUTE_PGM_RSRC3_GFX90A:TG_SPLIT: 0
	.section	.text._ZN7rocprim17ROCPRIM_400000_NS6detail17trampoline_kernelINS0_14default_configENS1_25transform_config_selectorIlLb0EEEZNS1_14transform_implILb0ES3_S5_NS0_18transform_iteratorINS0_17counting_iteratorImlEEZNS1_24adjacent_difference_implIS3_Lb1ELb0EPlSB_ZN2at6native12_GLOBAL__N_124unique_dim_cuda_templateIlEESt5tupleIJNSC_6TensorESH_SH_EERKSH_lbbbEUlllE1_EE10hipError_tPvRmT2_T3_mT4_P12ihipStream_tbEUlmE_lEESB_NS0_8identityIvEEEESM_SP_SQ_mSR_ST_bEUlT_E_NS1_11comp_targetILNS1_3genE10ELNS1_11target_archE1201ELNS1_3gpuE5ELNS1_3repE0EEENS1_30default_config_static_selectorELNS0_4arch9wavefront6targetE1EEEvT1_,"axG",@progbits,_ZN7rocprim17ROCPRIM_400000_NS6detail17trampoline_kernelINS0_14default_configENS1_25transform_config_selectorIlLb0EEEZNS1_14transform_implILb0ES3_S5_NS0_18transform_iteratorINS0_17counting_iteratorImlEEZNS1_24adjacent_difference_implIS3_Lb1ELb0EPlSB_ZN2at6native12_GLOBAL__N_124unique_dim_cuda_templateIlEESt5tupleIJNSC_6TensorESH_SH_EERKSH_lbbbEUlllE1_EE10hipError_tPvRmT2_T3_mT4_P12ihipStream_tbEUlmE_lEESB_NS0_8identityIvEEEESM_SP_SQ_mSR_ST_bEUlT_E_NS1_11comp_targetILNS1_3genE10ELNS1_11target_archE1201ELNS1_3gpuE5ELNS1_3repE0EEENS1_30default_config_static_selectorELNS0_4arch9wavefront6targetE1EEEvT1_,comdat
	.globl	_ZN7rocprim17ROCPRIM_400000_NS6detail17trampoline_kernelINS0_14default_configENS1_25transform_config_selectorIlLb0EEEZNS1_14transform_implILb0ES3_S5_NS0_18transform_iteratorINS0_17counting_iteratorImlEEZNS1_24adjacent_difference_implIS3_Lb1ELb0EPlSB_ZN2at6native12_GLOBAL__N_124unique_dim_cuda_templateIlEESt5tupleIJNSC_6TensorESH_SH_EERKSH_lbbbEUlllE1_EE10hipError_tPvRmT2_T3_mT4_P12ihipStream_tbEUlmE_lEESB_NS0_8identityIvEEEESM_SP_SQ_mSR_ST_bEUlT_E_NS1_11comp_targetILNS1_3genE10ELNS1_11target_archE1201ELNS1_3gpuE5ELNS1_3repE0EEENS1_30default_config_static_selectorELNS0_4arch9wavefront6targetE1EEEvT1_ ; -- Begin function _ZN7rocprim17ROCPRIM_400000_NS6detail17trampoline_kernelINS0_14default_configENS1_25transform_config_selectorIlLb0EEEZNS1_14transform_implILb0ES3_S5_NS0_18transform_iteratorINS0_17counting_iteratorImlEEZNS1_24adjacent_difference_implIS3_Lb1ELb0EPlSB_ZN2at6native12_GLOBAL__N_124unique_dim_cuda_templateIlEESt5tupleIJNSC_6TensorESH_SH_EERKSH_lbbbEUlllE1_EE10hipError_tPvRmT2_T3_mT4_P12ihipStream_tbEUlmE_lEESB_NS0_8identityIvEEEESM_SP_SQ_mSR_ST_bEUlT_E_NS1_11comp_targetILNS1_3genE10ELNS1_11target_archE1201ELNS1_3gpuE5ELNS1_3repE0EEENS1_30default_config_static_selectorELNS0_4arch9wavefront6targetE1EEEvT1_
	.p2align	8
	.type	_ZN7rocprim17ROCPRIM_400000_NS6detail17trampoline_kernelINS0_14default_configENS1_25transform_config_selectorIlLb0EEEZNS1_14transform_implILb0ES3_S5_NS0_18transform_iteratorINS0_17counting_iteratorImlEEZNS1_24adjacent_difference_implIS3_Lb1ELb0EPlSB_ZN2at6native12_GLOBAL__N_124unique_dim_cuda_templateIlEESt5tupleIJNSC_6TensorESH_SH_EERKSH_lbbbEUlllE1_EE10hipError_tPvRmT2_T3_mT4_P12ihipStream_tbEUlmE_lEESB_NS0_8identityIvEEEESM_SP_SQ_mSR_ST_bEUlT_E_NS1_11comp_targetILNS1_3genE10ELNS1_11target_archE1201ELNS1_3gpuE5ELNS1_3repE0EEENS1_30default_config_static_selectorELNS0_4arch9wavefront6targetE1EEEvT1_,@function
_ZN7rocprim17ROCPRIM_400000_NS6detail17trampoline_kernelINS0_14default_configENS1_25transform_config_selectorIlLb0EEEZNS1_14transform_implILb0ES3_S5_NS0_18transform_iteratorINS0_17counting_iteratorImlEEZNS1_24adjacent_difference_implIS3_Lb1ELb0EPlSB_ZN2at6native12_GLOBAL__N_124unique_dim_cuda_templateIlEESt5tupleIJNSC_6TensorESH_SH_EERKSH_lbbbEUlllE1_EE10hipError_tPvRmT2_T3_mT4_P12ihipStream_tbEUlmE_lEESB_NS0_8identityIvEEEESM_SP_SQ_mSR_ST_bEUlT_E_NS1_11comp_targetILNS1_3genE10ELNS1_11target_archE1201ELNS1_3gpuE5ELNS1_3repE0EEENS1_30default_config_static_selectorELNS0_4arch9wavefront6targetE1EEEvT1_: ; @_ZN7rocprim17ROCPRIM_400000_NS6detail17trampoline_kernelINS0_14default_configENS1_25transform_config_selectorIlLb0EEEZNS1_14transform_implILb0ES3_S5_NS0_18transform_iteratorINS0_17counting_iteratorImlEEZNS1_24adjacent_difference_implIS3_Lb1ELb0EPlSB_ZN2at6native12_GLOBAL__N_124unique_dim_cuda_templateIlEESt5tupleIJNSC_6TensorESH_SH_EERKSH_lbbbEUlllE1_EE10hipError_tPvRmT2_T3_mT4_P12ihipStream_tbEUlmE_lEESB_NS0_8identityIvEEEESM_SP_SQ_mSR_ST_bEUlT_E_NS1_11comp_targetILNS1_3genE10ELNS1_11target_archE1201ELNS1_3gpuE5ELNS1_3repE0EEENS1_30default_config_static_selectorELNS0_4arch9wavefront6targetE1EEEvT1_
; %bb.0:
	.section	.rodata,"a",@progbits
	.p2align	6, 0x0
	.amdhsa_kernel _ZN7rocprim17ROCPRIM_400000_NS6detail17trampoline_kernelINS0_14default_configENS1_25transform_config_selectorIlLb0EEEZNS1_14transform_implILb0ES3_S5_NS0_18transform_iteratorINS0_17counting_iteratorImlEEZNS1_24adjacent_difference_implIS3_Lb1ELb0EPlSB_ZN2at6native12_GLOBAL__N_124unique_dim_cuda_templateIlEESt5tupleIJNSC_6TensorESH_SH_EERKSH_lbbbEUlllE1_EE10hipError_tPvRmT2_T3_mT4_P12ihipStream_tbEUlmE_lEESB_NS0_8identityIvEEEESM_SP_SQ_mSR_ST_bEUlT_E_NS1_11comp_targetILNS1_3genE10ELNS1_11target_archE1201ELNS1_3gpuE5ELNS1_3repE0EEENS1_30default_config_static_selectorELNS0_4arch9wavefront6targetE1EEEvT1_
		.amdhsa_group_segment_fixed_size 0
		.amdhsa_private_segment_fixed_size 0
		.amdhsa_kernarg_size 56
		.amdhsa_user_sgpr_count 6
		.amdhsa_user_sgpr_private_segment_buffer 1
		.amdhsa_user_sgpr_dispatch_ptr 0
		.amdhsa_user_sgpr_queue_ptr 0
		.amdhsa_user_sgpr_kernarg_segment_ptr 1
		.amdhsa_user_sgpr_dispatch_id 0
		.amdhsa_user_sgpr_flat_scratch_init 0
		.amdhsa_user_sgpr_kernarg_preload_length 0
		.amdhsa_user_sgpr_kernarg_preload_offset 0
		.amdhsa_user_sgpr_private_segment_size 0
		.amdhsa_uses_dynamic_stack 0
		.amdhsa_system_sgpr_private_segment_wavefront_offset 0
		.amdhsa_system_sgpr_workgroup_id_x 1
		.amdhsa_system_sgpr_workgroup_id_y 0
		.amdhsa_system_sgpr_workgroup_id_z 0
		.amdhsa_system_sgpr_workgroup_info 0
		.amdhsa_system_vgpr_workitem_id 0
		.amdhsa_next_free_vgpr 1
		.amdhsa_next_free_sgpr 0
		.amdhsa_accum_offset 4
		.amdhsa_reserve_vcc 0
		.amdhsa_reserve_flat_scratch 0
		.amdhsa_float_round_mode_32 0
		.amdhsa_float_round_mode_16_64 0
		.amdhsa_float_denorm_mode_32 3
		.amdhsa_float_denorm_mode_16_64 3
		.amdhsa_dx10_clamp 1
		.amdhsa_ieee_mode 1
		.amdhsa_fp16_overflow 0
		.amdhsa_tg_split 0
		.amdhsa_exception_fp_ieee_invalid_op 0
		.amdhsa_exception_fp_denorm_src 0
		.amdhsa_exception_fp_ieee_div_zero 0
		.amdhsa_exception_fp_ieee_overflow 0
		.amdhsa_exception_fp_ieee_underflow 0
		.amdhsa_exception_fp_ieee_inexact 0
		.amdhsa_exception_int_div_zero 0
	.end_amdhsa_kernel
	.section	.text._ZN7rocprim17ROCPRIM_400000_NS6detail17trampoline_kernelINS0_14default_configENS1_25transform_config_selectorIlLb0EEEZNS1_14transform_implILb0ES3_S5_NS0_18transform_iteratorINS0_17counting_iteratorImlEEZNS1_24adjacent_difference_implIS3_Lb1ELb0EPlSB_ZN2at6native12_GLOBAL__N_124unique_dim_cuda_templateIlEESt5tupleIJNSC_6TensorESH_SH_EERKSH_lbbbEUlllE1_EE10hipError_tPvRmT2_T3_mT4_P12ihipStream_tbEUlmE_lEESB_NS0_8identityIvEEEESM_SP_SQ_mSR_ST_bEUlT_E_NS1_11comp_targetILNS1_3genE10ELNS1_11target_archE1201ELNS1_3gpuE5ELNS1_3repE0EEENS1_30default_config_static_selectorELNS0_4arch9wavefront6targetE1EEEvT1_,"axG",@progbits,_ZN7rocprim17ROCPRIM_400000_NS6detail17trampoline_kernelINS0_14default_configENS1_25transform_config_selectorIlLb0EEEZNS1_14transform_implILb0ES3_S5_NS0_18transform_iteratorINS0_17counting_iteratorImlEEZNS1_24adjacent_difference_implIS3_Lb1ELb0EPlSB_ZN2at6native12_GLOBAL__N_124unique_dim_cuda_templateIlEESt5tupleIJNSC_6TensorESH_SH_EERKSH_lbbbEUlllE1_EE10hipError_tPvRmT2_T3_mT4_P12ihipStream_tbEUlmE_lEESB_NS0_8identityIvEEEESM_SP_SQ_mSR_ST_bEUlT_E_NS1_11comp_targetILNS1_3genE10ELNS1_11target_archE1201ELNS1_3gpuE5ELNS1_3repE0EEENS1_30default_config_static_selectorELNS0_4arch9wavefront6targetE1EEEvT1_,comdat
.Lfunc_end551:
	.size	_ZN7rocprim17ROCPRIM_400000_NS6detail17trampoline_kernelINS0_14default_configENS1_25transform_config_selectorIlLb0EEEZNS1_14transform_implILb0ES3_S5_NS0_18transform_iteratorINS0_17counting_iteratorImlEEZNS1_24adjacent_difference_implIS3_Lb1ELb0EPlSB_ZN2at6native12_GLOBAL__N_124unique_dim_cuda_templateIlEESt5tupleIJNSC_6TensorESH_SH_EERKSH_lbbbEUlllE1_EE10hipError_tPvRmT2_T3_mT4_P12ihipStream_tbEUlmE_lEESB_NS0_8identityIvEEEESM_SP_SQ_mSR_ST_bEUlT_E_NS1_11comp_targetILNS1_3genE10ELNS1_11target_archE1201ELNS1_3gpuE5ELNS1_3repE0EEENS1_30default_config_static_selectorELNS0_4arch9wavefront6targetE1EEEvT1_, .Lfunc_end551-_ZN7rocprim17ROCPRIM_400000_NS6detail17trampoline_kernelINS0_14default_configENS1_25transform_config_selectorIlLb0EEEZNS1_14transform_implILb0ES3_S5_NS0_18transform_iteratorINS0_17counting_iteratorImlEEZNS1_24adjacent_difference_implIS3_Lb1ELb0EPlSB_ZN2at6native12_GLOBAL__N_124unique_dim_cuda_templateIlEESt5tupleIJNSC_6TensorESH_SH_EERKSH_lbbbEUlllE1_EE10hipError_tPvRmT2_T3_mT4_P12ihipStream_tbEUlmE_lEESB_NS0_8identityIvEEEESM_SP_SQ_mSR_ST_bEUlT_E_NS1_11comp_targetILNS1_3genE10ELNS1_11target_archE1201ELNS1_3gpuE5ELNS1_3repE0EEENS1_30default_config_static_selectorELNS0_4arch9wavefront6targetE1EEEvT1_
                                        ; -- End function
	.section	.AMDGPU.csdata,"",@progbits
; Kernel info:
; codeLenInByte = 0
; NumSgprs: 4
; NumVgprs: 0
; NumAgprs: 0
; TotalNumVgprs: 0
; ScratchSize: 0
; MemoryBound: 0
; FloatMode: 240
; IeeeMode: 1
; LDSByteSize: 0 bytes/workgroup (compile time only)
; SGPRBlocks: 0
; VGPRBlocks: 0
; NumSGPRsForWavesPerEU: 4
; NumVGPRsForWavesPerEU: 1
; AccumOffset: 4
; Occupancy: 8
; WaveLimiterHint : 0
; COMPUTE_PGM_RSRC2:SCRATCH_EN: 0
; COMPUTE_PGM_RSRC2:USER_SGPR: 6
; COMPUTE_PGM_RSRC2:TRAP_HANDLER: 0
; COMPUTE_PGM_RSRC2:TGID_X_EN: 1
; COMPUTE_PGM_RSRC2:TGID_Y_EN: 0
; COMPUTE_PGM_RSRC2:TGID_Z_EN: 0
; COMPUTE_PGM_RSRC2:TIDIG_COMP_CNT: 0
; COMPUTE_PGM_RSRC3_GFX90A:ACCUM_OFFSET: 0
; COMPUTE_PGM_RSRC3_GFX90A:TG_SPLIT: 0
	.section	.text._ZN7rocprim17ROCPRIM_400000_NS6detail17trampoline_kernelINS0_14default_configENS1_25transform_config_selectorIlLb0EEEZNS1_14transform_implILb0ES3_S5_NS0_18transform_iteratorINS0_17counting_iteratorImlEEZNS1_24adjacent_difference_implIS3_Lb1ELb0EPlSB_ZN2at6native12_GLOBAL__N_124unique_dim_cuda_templateIlEESt5tupleIJNSC_6TensorESH_SH_EERKSH_lbbbEUlllE1_EE10hipError_tPvRmT2_T3_mT4_P12ihipStream_tbEUlmE_lEESB_NS0_8identityIvEEEESM_SP_SQ_mSR_ST_bEUlT_E_NS1_11comp_targetILNS1_3genE10ELNS1_11target_archE1200ELNS1_3gpuE4ELNS1_3repE0EEENS1_30default_config_static_selectorELNS0_4arch9wavefront6targetE1EEEvT1_,"axG",@progbits,_ZN7rocprim17ROCPRIM_400000_NS6detail17trampoline_kernelINS0_14default_configENS1_25transform_config_selectorIlLb0EEEZNS1_14transform_implILb0ES3_S5_NS0_18transform_iteratorINS0_17counting_iteratorImlEEZNS1_24adjacent_difference_implIS3_Lb1ELb0EPlSB_ZN2at6native12_GLOBAL__N_124unique_dim_cuda_templateIlEESt5tupleIJNSC_6TensorESH_SH_EERKSH_lbbbEUlllE1_EE10hipError_tPvRmT2_T3_mT4_P12ihipStream_tbEUlmE_lEESB_NS0_8identityIvEEEESM_SP_SQ_mSR_ST_bEUlT_E_NS1_11comp_targetILNS1_3genE10ELNS1_11target_archE1200ELNS1_3gpuE4ELNS1_3repE0EEENS1_30default_config_static_selectorELNS0_4arch9wavefront6targetE1EEEvT1_,comdat
	.globl	_ZN7rocprim17ROCPRIM_400000_NS6detail17trampoline_kernelINS0_14default_configENS1_25transform_config_selectorIlLb0EEEZNS1_14transform_implILb0ES3_S5_NS0_18transform_iteratorINS0_17counting_iteratorImlEEZNS1_24adjacent_difference_implIS3_Lb1ELb0EPlSB_ZN2at6native12_GLOBAL__N_124unique_dim_cuda_templateIlEESt5tupleIJNSC_6TensorESH_SH_EERKSH_lbbbEUlllE1_EE10hipError_tPvRmT2_T3_mT4_P12ihipStream_tbEUlmE_lEESB_NS0_8identityIvEEEESM_SP_SQ_mSR_ST_bEUlT_E_NS1_11comp_targetILNS1_3genE10ELNS1_11target_archE1200ELNS1_3gpuE4ELNS1_3repE0EEENS1_30default_config_static_selectorELNS0_4arch9wavefront6targetE1EEEvT1_ ; -- Begin function _ZN7rocprim17ROCPRIM_400000_NS6detail17trampoline_kernelINS0_14default_configENS1_25transform_config_selectorIlLb0EEEZNS1_14transform_implILb0ES3_S5_NS0_18transform_iteratorINS0_17counting_iteratorImlEEZNS1_24adjacent_difference_implIS3_Lb1ELb0EPlSB_ZN2at6native12_GLOBAL__N_124unique_dim_cuda_templateIlEESt5tupleIJNSC_6TensorESH_SH_EERKSH_lbbbEUlllE1_EE10hipError_tPvRmT2_T3_mT4_P12ihipStream_tbEUlmE_lEESB_NS0_8identityIvEEEESM_SP_SQ_mSR_ST_bEUlT_E_NS1_11comp_targetILNS1_3genE10ELNS1_11target_archE1200ELNS1_3gpuE4ELNS1_3repE0EEENS1_30default_config_static_selectorELNS0_4arch9wavefront6targetE1EEEvT1_
	.p2align	8
	.type	_ZN7rocprim17ROCPRIM_400000_NS6detail17trampoline_kernelINS0_14default_configENS1_25transform_config_selectorIlLb0EEEZNS1_14transform_implILb0ES3_S5_NS0_18transform_iteratorINS0_17counting_iteratorImlEEZNS1_24adjacent_difference_implIS3_Lb1ELb0EPlSB_ZN2at6native12_GLOBAL__N_124unique_dim_cuda_templateIlEESt5tupleIJNSC_6TensorESH_SH_EERKSH_lbbbEUlllE1_EE10hipError_tPvRmT2_T3_mT4_P12ihipStream_tbEUlmE_lEESB_NS0_8identityIvEEEESM_SP_SQ_mSR_ST_bEUlT_E_NS1_11comp_targetILNS1_3genE10ELNS1_11target_archE1200ELNS1_3gpuE4ELNS1_3repE0EEENS1_30default_config_static_selectorELNS0_4arch9wavefront6targetE1EEEvT1_,@function
_ZN7rocprim17ROCPRIM_400000_NS6detail17trampoline_kernelINS0_14default_configENS1_25transform_config_selectorIlLb0EEEZNS1_14transform_implILb0ES3_S5_NS0_18transform_iteratorINS0_17counting_iteratorImlEEZNS1_24adjacent_difference_implIS3_Lb1ELb0EPlSB_ZN2at6native12_GLOBAL__N_124unique_dim_cuda_templateIlEESt5tupleIJNSC_6TensorESH_SH_EERKSH_lbbbEUlllE1_EE10hipError_tPvRmT2_T3_mT4_P12ihipStream_tbEUlmE_lEESB_NS0_8identityIvEEEESM_SP_SQ_mSR_ST_bEUlT_E_NS1_11comp_targetILNS1_3genE10ELNS1_11target_archE1200ELNS1_3gpuE4ELNS1_3repE0EEENS1_30default_config_static_selectorELNS0_4arch9wavefront6targetE1EEEvT1_: ; @_ZN7rocprim17ROCPRIM_400000_NS6detail17trampoline_kernelINS0_14default_configENS1_25transform_config_selectorIlLb0EEEZNS1_14transform_implILb0ES3_S5_NS0_18transform_iteratorINS0_17counting_iteratorImlEEZNS1_24adjacent_difference_implIS3_Lb1ELb0EPlSB_ZN2at6native12_GLOBAL__N_124unique_dim_cuda_templateIlEESt5tupleIJNSC_6TensorESH_SH_EERKSH_lbbbEUlllE1_EE10hipError_tPvRmT2_T3_mT4_P12ihipStream_tbEUlmE_lEESB_NS0_8identityIvEEEESM_SP_SQ_mSR_ST_bEUlT_E_NS1_11comp_targetILNS1_3genE10ELNS1_11target_archE1200ELNS1_3gpuE4ELNS1_3repE0EEENS1_30default_config_static_selectorELNS0_4arch9wavefront6targetE1EEEvT1_
; %bb.0:
	.section	.rodata,"a",@progbits
	.p2align	6, 0x0
	.amdhsa_kernel _ZN7rocprim17ROCPRIM_400000_NS6detail17trampoline_kernelINS0_14default_configENS1_25transform_config_selectorIlLb0EEEZNS1_14transform_implILb0ES3_S5_NS0_18transform_iteratorINS0_17counting_iteratorImlEEZNS1_24adjacent_difference_implIS3_Lb1ELb0EPlSB_ZN2at6native12_GLOBAL__N_124unique_dim_cuda_templateIlEESt5tupleIJNSC_6TensorESH_SH_EERKSH_lbbbEUlllE1_EE10hipError_tPvRmT2_T3_mT4_P12ihipStream_tbEUlmE_lEESB_NS0_8identityIvEEEESM_SP_SQ_mSR_ST_bEUlT_E_NS1_11comp_targetILNS1_3genE10ELNS1_11target_archE1200ELNS1_3gpuE4ELNS1_3repE0EEENS1_30default_config_static_selectorELNS0_4arch9wavefront6targetE1EEEvT1_
		.amdhsa_group_segment_fixed_size 0
		.amdhsa_private_segment_fixed_size 0
		.amdhsa_kernarg_size 56
		.amdhsa_user_sgpr_count 6
		.amdhsa_user_sgpr_private_segment_buffer 1
		.amdhsa_user_sgpr_dispatch_ptr 0
		.amdhsa_user_sgpr_queue_ptr 0
		.amdhsa_user_sgpr_kernarg_segment_ptr 1
		.amdhsa_user_sgpr_dispatch_id 0
		.amdhsa_user_sgpr_flat_scratch_init 0
		.amdhsa_user_sgpr_kernarg_preload_length 0
		.amdhsa_user_sgpr_kernarg_preload_offset 0
		.amdhsa_user_sgpr_private_segment_size 0
		.amdhsa_uses_dynamic_stack 0
		.amdhsa_system_sgpr_private_segment_wavefront_offset 0
		.amdhsa_system_sgpr_workgroup_id_x 1
		.amdhsa_system_sgpr_workgroup_id_y 0
		.amdhsa_system_sgpr_workgroup_id_z 0
		.amdhsa_system_sgpr_workgroup_info 0
		.amdhsa_system_vgpr_workitem_id 0
		.amdhsa_next_free_vgpr 1
		.amdhsa_next_free_sgpr 0
		.amdhsa_accum_offset 4
		.amdhsa_reserve_vcc 0
		.amdhsa_reserve_flat_scratch 0
		.amdhsa_float_round_mode_32 0
		.amdhsa_float_round_mode_16_64 0
		.amdhsa_float_denorm_mode_32 3
		.amdhsa_float_denorm_mode_16_64 3
		.amdhsa_dx10_clamp 1
		.amdhsa_ieee_mode 1
		.amdhsa_fp16_overflow 0
		.amdhsa_tg_split 0
		.amdhsa_exception_fp_ieee_invalid_op 0
		.amdhsa_exception_fp_denorm_src 0
		.amdhsa_exception_fp_ieee_div_zero 0
		.amdhsa_exception_fp_ieee_overflow 0
		.amdhsa_exception_fp_ieee_underflow 0
		.amdhsa_exception_fp_ieee_inexact 0
		.amdhsa_exception_int_div_zero 0
	.end_amdhsa_kernel
	.section	.text._ZN7rocprim17ROCPRIM_400000_NS6detail17trampoline_kernelINS0_14default_configENS1_25transform_config_selectorIlLb0EEEZNS1_14transform_implILb0ES3_S5_NS0_18transform_iteratorINS0_17counting_iteratorImlEEZNS1_24adjacent_difference_implIS3_Lb1ELb0EPlSB_ZN2at6native12_GLOBAL__N_124unique_dim_cuda_templateIlEESt5tupleIJNSC_6TensorESH_SH_EERKSH_lbbbEUlllE1_EE10hipError_tPvRmT2_T3_mT4_P12ihipStream_tbEUlmE_lEESB_NS0_8identityIvEEEESM_SP_SQ_mSR_ST_bEUlT_E_NS1_11comp_targetILNS1_3genE10ELNS1_11target_archE1200ELNS1_3gpuE4ELNS1_3repE0EEENS1_30default_config_static_selectorELNS0_4arch9wavefront6targetE1EEEvT1_,"axG",@progbits,_ZN7rocprim17ROCPRIM_400000_NS6detail17trampoline_kernelINS0_14default_configENS1_25transform_config_selectorIlLb0EEEZNS1_14transform_implILb0ES3_S5_NS0_18transform_iteratorINS0_17counting_iteratorImlEEZNS1_24adjacent_difference_implIS3_Lb1ELb0EPlSB_ZN2at6native12_GLOBAL__N_124unique_dim_cuda_templateIlEESt5tupleIJNSC_6TensorESH_SH_EERKSH_lbbbEUlllE1_EE10hipError_tPvRmT2_T3_mT4_P12ihipStream_tbEUlmE_lEESB_NS0_8identityIvEEEESM_SP_SQ_mSR_ST_bEUlT_E_NS1_11comp_targetILNS1_3genE10ELNS1_11target_archE1200ELNS1_3gpuE4ELNS1_3repE0EEENS1_30default_config_static_selectorELNS0_4arch9wavefront6targetE1EEEvT1_,comdat
.Lfunc_end552:
	.size	_ZN7rocprim17ROCPRIM_400000_NS6detail17trampoline_kernelINS0_14default_configENS1_25transform_config_selectorIlLb0EEEZNS1_14transform_implILb0ES3_S5_NS0_18transform_iteratorINS0_17counting_iteratorImlEEZNS1_24adjacent_difference_implIS3_Lb1ELb0EPlSB_ZN2at6native12_GLOBAL__N_124unique_dim_cuda_templateIlEESt5tupleIJNSC_6TensorESH_SH_EERKSH_lbbbEUlllE1_EE10hipError_tPvRmT2_T3_mT4_P12ihipStream_tbEUlmE_lEESB_NS0_8identityIvEEEESM_SP_SQ_mSR_ST_bEUlT_E_NS1_11comp_targetILNS1_3genE10ELNS1_11target_archE1200ELNS1_3gpuE4ELNS1_3repE0EEENS1_30default_config_static_selectorELNS0_4arch9wavefront6targetE1EEEvT1_, .Lfunc_end552-_ZN7rocprim17ROCPRIM_400000_NS6detail17trampoline_kernelINS0_14default_configENS1_25transform_config_selectorIlLb0EEEZNS1_14transform_implILb0ES3_S5_NS0_18transform_iteratorINS0_17counting_iteratorImlEEZNS1_24adjacent_difference_implIS3_Lb1ELb0EPlSB_ZN2at6native12_GLOBAL__N_124unique_dim_cuda_templateIlEESt5tupleIJNSC_6TensorESH_SH_EERKSH_lbbbEUlllE1_EE10hipError_tPvRmT2_T3_mT4_P12ihipStream_tbEUlmE_lEESB_NS0_8identityIvEEEESM_SP_SQ_mSR_ST_bEUlT_E_NS1_11comp_targetILNS1_3genE10ELNS1_11target_archE1200ELNS1_3gpuE4ELNS1_3repE0EEENS1_30default_config_static_selectorELNS0_4arch9wavefront6targetE1EEEvT1_
                                        ; -- End function
	.section	.AMDGPU.csdata,"",@progbits
; Kernel info:
; codeLenInByte = 0
; NumSgprs: 4
; NumVgprs: 0
; NumAgprs: 0
; TotalNumVgprs: 0
; ScratchSize: 0
; MemoryBound: 0
; FloatMode: 240
; IeeeMode: 1
; LDSByteSize: 0 bytes/workgroup (compile time only)
; SGPRBlocks: 0
; VGPRBlocks: 0
; NumSGPRsForWavesPerEU: 4
; NumVGPRsForWavesPerEU: 1
; AccumOffset: 4
; Occupancy: 8
; WaveLimiterHint : 0
; COMPUTE_PGM_RSRC2:SCRATCH_EN: 0
; COMPUTE_PGM_RSRC2:USER_SGPR: 6
; COMPUTE_PGM_RSRC2:TRAP_HANDLER: 0
; COMPUTE_PGM_RSRC2:TGID_X_EN: 1
; COMPUTE_PGM_RSRC2:TGID_Y_EN: 0
; COMPUTE_PGM_RSRC2:TGID_Z_EN: 0
; COMPUTE_PGM_RSRC2:TIDIG_COMP_CNT: 0
; COMPUTE_PGM_RSRC3_GFX90A:ACCUM_OFFSET: 0
; COMPUTE_PGM_RSRC3_GFX90A:TG_SPLIT: 0
	.section	.text._ZN7rocprim17ROCPRIM_400000_NS6detail17trampoline_kernelINS0_14default_configENS1_25transform_config_selectorIlLb0EEEZNS1_14transform_implILb0ES3_S5_NS0_18transform_iteratorINS0_17counting_iteratorImlEEZNS1_24adjacent_difference_implIS3_Lb1ELb0EPlSB_ZN2at6native12_GLOBAL__N_124unique_dim_cuda_templateIlEESt5tupleIJNSC_6TensorESH_SH_EERKSH_lbbbEUlllE1_EE10hipError_tPvRmT2_T3_mT4_P12ihipStream_tbEUlmE_lEESB_NS0_8identityIvEEEESM_SP_SQ_mSR_ST_bEUlT_E_NS1_11comp_targetILNS1_3genE9ELNS1_11target_archE1100ELNS1_3gpuE3ELNS1_3repE0EEENS1_30default_config_static_selectorELNS0_4arch9wavefront6targetE1EEEvT1_,"axG",@progbits,_ZN7rocprim17ROCPRIM_400000_NS6detail17trampoline_kernelINS0_14default_configENS1_25transform_config_selectorIlLb0EEEZNS1_14transform_implILb0ES3_S5_NS0_18transform_iteratorINS0_17counting_iteratorImlEEZNS1_24adjacent_difference_implIS3_Lb1ELb0EPlSB_ZN2at6native12_GLOBAL__N_124unique_dim_cuda_templateIlEESt5tupleIJNSC_6TensorESH_SH_EERKSH_lbbbEUlllE1_EE10hipError_tPvRmT2_T3_mT4_P12ihipStream_tbEUlmE_lEESB_NS0_8identityIvEEEESM_SP_SQ_mSR_ST_bEUlT_E_NS1_11comp_targetILNS1_3genE9ELNS1_11target_archE1100ELNS1_3gpuE3ELNS1_3repE0EEENS1_30default_config_static_selectorELNS0_4arch9wavefront6targetE1EEEvT1_,comdat
	.globl	_ZN7rocprim17ROCPRIM_400000_NS6detail17trampoline_kernelINS0_14default_configENS1_25transform_config_selectorIlLb0EEEZNS1_14transform_implILb0ES3_S5_NS0_18transform_iteratorINS0_17counting_iteratorImlEEZNS1_24adjacent_difference_implIS3_Lb1ELb0EPlSB_ZN2at6native12_GLOBAL__N_124unique_dim_cuda_templateIlEESt5tupleIJNSC_6TensorESH_SH_EERKSH_lbbbEUlllE1_EE10hipError_tPvRmT2_T3_mT4_P12ihipStream_tbEUlmE_lEESB_NS0_8identityIvEEEESM_SP_SQ_mSR_ST_bEUlT_E_NS1_11comp_targetILNS1_3genE9ELNS1_11target_archE1100ELNS1_3gpuE3ELNS1_3repE0EEENS1_30default_config_static_selectorELNS0_4arch9wavefront6targetE1EEEvT1_ ; -- Begin function _ZN7rocprim17ROCPRIM_400000_NS6detail17trampoline_kernelINS0_14default_configENS1_25transform_config_selectorIlLb0EEEZNS1_14transform_implILb0ES3_S5_NS0_18transform_iteratorINS0_17counting_iteratorImlEEZNS1_24adjacent_difference_implIS3_Lb1ELb0EPlSB_ZN2at6native12_GLOBAL__N_124unique_dim_cuda_templateIlEESt5tupleIJNSC_6TensorESH_SH_EERKSH_lbbbEUlllE1_EE10hipError_tPvRmT2_T3_mT4_P12ihipStream_tbEUlmE_lEESB_NS0_8identityIvEEEESM_SP_SQ_mSR_ST_bEUlT_E_NS1_11comp_targetILNS1_3genE9ELNS1_11target_archE1100ELNS1_3gpuE3ELNS1_3repE0EEENS1_30default_config_static_selectorELNS0_4arch9wavefront6targetE1EEEvT1_
	.p2align	8
	.type	_ZN7rocprim17ROCPRIM_400000_NS6detail17trampoline_kernelINS0_14default_configENS1_25transform_config_selectorIlLb0EEEZNS1_14transform_implILb0ES3_S5_NS0_18transform_iteratorINS0_17counting_iteratorImlEEZNS1_24adjacent_difference_implIS3_Lb1ELb0EPlSB_ZN2at6native12_GLOBAL__N_124unique_dim_cuda_templateIlEESt5tupleIJNSC_6TensorESH_SH_EERKSH_lbbbEUlllE1_EE10hipError_tPvRmT2_T3_mT4_P12ihipStream_tbEUlmE_lEESB_NS0_8identityIvEEEESM_SP_SQ_mSR_ST_bEUlT_E_NS1_11comp_targetILNS1_3genE9ELNS1_11target_archE1100ELNS1_3gpuE3ELNS1_3repE0EEENS1_30default_config_static_selectorELNS0_4arch9wavefront6targetE1EEEvT1_,@function
_ZN7rocprim17ROCPRIM_400000_NS6detail17trampoline_kernelINS0_14default_configENS1_25transform_config_selectorIlLb0EEEZNS1_14transform_implILb0ES3_S5_NS0_18transform_iteratorINS0_17counting_iteratorImlEEZNS1_24adjacent_difference_implIS3_Lb1ELb0EPlSB_ZN2at6native12_GLOBAL__N_124unique_dim_cuda_templateIlEESt5tupleIJNSC_6TensorESH_SH_EERKSH_lbbbEUlllE1_EE10hipError_tPvRmT2_T3_mT4_P12ihipStream_tbEUlmE_lEESB_NS0_8identityIvEEEESM_SP_SQ_mSR_ST_bEUlT_E_NS1_11comp_targetILNS1_3genE9ELNS1_11target_archE1100ELNS1_3gpuE3ELNS1_3repE0EEENS1_30default_config_static_selectorELNS0_4arch9wavefront6targetE1EEEvT1_: ; @_ZN7rocprim17ROCPRIM_400000_NS6detail17trampoline_kernelINS0_14default_configENS1_25transform_config_selectorIlLb0EEEZNS1_14transform_implILb0ES3_S5_NS0_18transform_iteratorINS0_17counting_iteratorImlEEZNS1_24adjacent_difference_implIS3_Lb1ELb0EPlSB_ZN2at6native12_GLOBAL__N_124unique_dim_cuda_templateIlEESt5tupleIJNSC_6TensorESH_SH_EERKSH_lbbbEUlllE1_EE10hipError_tPvRmT2_T3_mT4_P12ihipStream_tbEUlmE_lEESB_NS0_8identityIvEEEESM_SP_SQ_mSR_ST_bEUlT_E_NS1_11comp_targetILNS1_3genE9ELNS1_11target_archE1100ELNS1_3gpuE3ELNS1_3repE0EEENS1_30default_config_static_selectorELNS0_4arch9wavefront6targetE1EEEvT1_
; %bb.0:
	.section	.rodata,"a",@progbits
	.p2align	6, 0x0
	.amdhsa_kernel _ZN7rocprim17ROCPRIM_400000_NS6detail17trampoline_kernelINS0_14default_configENS1_25transform_config_selectorIlLb0EEEZNS1_14transform_implILb0ES3_S5_NS0_18transform_iteratorINS0_17counting_iteratorImlEEZNS1_24adjacent_difference_implIS3_Lb1ELb0EPlSB_ZN2at6native12_GLOBAL__N_124unique_dim_cuda_templateIlEESt5tupleIJNSC_6TensorESH_SH_EERKSH_lbbbEUlllE1_EE10hipError_tPvRmT2_T3_mT4_P12ihipStream_tbEUlmE_lEESB_NS0_8identityIvEEEESM_SP_SQ_mSR_ST_bEUlT_E_NS1_11comp_targetILNS1_3genE9ELNS1_11target_archE1100ELNS1_3gpuE3ELNS1_3repE0EEENS1_30default_config_static_selectorELNS0_4arch9wavefront6targetE1EEEvT1_
		.amdhsa_group_segment_fixed_size 0
		.amdhsa_private_segment_fixed_size 0
		.amdhsa_kernarg_size 56
		.amdhsa_user_sgpr_count 6
		.amdhsa_user_sgpr_private_segment_buffer 1
		.amdhsa_user_sgpr_dispatch_ptr 0
		.amdhsa_user_sgpr_queue_ptr 0
		.amdhsa_user_sgpr_kernarg_segment_ptr 1
		.amdhsa_user_sgpr_dispatch_id 0
		.amdhsa_user_sgpr_flat_scratch_init 0
		.amdhsa_user_sgpr_kernarg_preload_length 0
		.amdhsa_user_sgpr_kernarg_preload_offset 0
		.amdhsa_user_sgpr_private_segment_size 0
		.amdhsa_uses_dynamic_stack 0
		.amdhsa_system_sgpr_private_segment_wavefront_offset 0
		.amdhsa_system_sgpr_workgroup_id_x 1
		.amdhsa_system_sgpr_workgroup_id_y 0
		.amdhsa_system_sgpr_workgroup_id_z 0
		.amdhsa_system_sgpr_workgroup_info 0
		.amdhsa_system_vgpr_workitem_id 0
		.amdhsa_next_free_vgpr 1
		.amdhsa_next_free_sgpr 0
		.amdhsa_accum_offset 4
		.amdhsa_reserve_vcc 0
		.amdhsa_reserve_flat_scratch 0
		.amdhsa_float_round_mode_32 0
		.amdhsa_float_round_mode_16_64 0
		.amdhsa_float_denorm_mode_32 3
		.amdhsa_float_denorm_mode_16_64 3
		.amdhsa_dx10_clamp 1
		.amdhsa_ieee_mode 1
		.amdhsa_fp16_overflow 0
		.amdhsa_tg_split 0
		.amdhsa_exception_fp_ieee_invalid_op 0
		.amdhsa_exception_fp_denorm_src 0
		.amdhsa_exception_fp_ieee_div_zero 0
		.amdhsa_exception_fp_ieee_overflow 0
		.amdhsa_exception_fp_ieee_underflow 0
		.amdhsa_exception_fp_ieee_inexact 0
		.amdhsa_exception_int_div_zero 0
	.end_amdhsa_kernel
	.section	.text._ZN7rocprim17ROCPRIM_400000_NS6detail17trampoline_kernelINS0_14default_configENS1_25transform_config_selectorIlLb0EEEZNS1_14transform_implILb0ES3_S5_NS0_18transform_iteratorINS0_17counting_iteratorImlEEZNS1_24adjacent_difference_implIS3_Lb1ELb0EPlSB_ZN2at6native12_GLOBAL__N_124unique_dim_cuda_templateIlEESt5tupleIJNSC_6TensorESH_SH_EERKSH_lbbbEUlllE1_EE10hipError_tPvRmT2_T3_mT4_P12ihipStream_tbEUlmE_lEESB_NS0_8identityIvEEEESM_SP_SQ_mSR_ST_bEUlT_E_NS1_11comp_targetILNS1_3genE9ELNS1_11target_archE1100ELNS1_3gpuE3ELNS1_3repE0EEENS1_30default_config_static_selectorELNS0_4arch9wavefront6targetE1EEEvT1_,"axG",@progbits,_ZN7rocprim17ROCPRIM_400000_NS6detail17trampoline_kernelINS0_14default_configENS1_25transform_config_selectorIlLb0EEEZNS1_14transform_implILb0ES3_S5_NS0_18transform_iteratorINS0_17counting_iteratorImlEEZNS1_24adjacent_difference_implIS3_Lb1ELb0EPlSB_ZN2at6native12_GLOBAL__N_124unique_dim_cuda_templateIlEESt5tupleIJNSC_6TensorESH_SH_EERKSH_lbbbEUlllE1_EE10hipError_tPvRmT2_T3_mT4_P12ihipStream_tbEUlmE_lEESB_NS0_8identityIvEEEESM_SP_SQ_mSR_ST_bEUlT_E_NS1_11comp_targetILNS1_3genE9ELNS1_11target_archE1100ELNS1_3gpuE3ELNS1_3repE0EEENS1_30default_config_static_selectorELNS0_4arch9wavefront6targetE1EEEvT1_,comdat
.Lfunc_end553:
	.size	_ZN7rocprim17ROCPRIM_400000_NS6detail17trampoline_kernelINS0_14default_configENS1_25transform_config_selectorIlLb0EEEZNS1_14transform_implILb0ES3_S5_NS0_18transform_iteratorINS0_17counting_iteratorImlEEZNS1_24adjacent_difference_implIS3_Lb1ELb0EPlSB_ZN2at6native12_GLOBAL__N_124unique_dim_cuda_templateIlEESt5tupleIJNSC_6TensorESH_SH_EERKSH_lbbbEUlllE1_EE10hipError_tPvRmT2_T3_mT4_P12ihipStream_tbEUlmE_lEESB_NS0_8identityIvEEEESM_SP_SQ_mSR_ST_bEUlT_E_NS1_11comp_targetILNS1_3genE9ELNS1_11target_archE1100ELNS1_3gpuE3ELNS1_3repE0EEENS1_30default_config_static_selectorELNS0_4arch9wavefront6targetE1EEEvT1_, .Lfunc_end553-_ZN7rocprim17ROCPRIM_400000_NS6detail17trampoline_kernelINS0_14default_configENS1_25transform_config_selectorIlLb0EEEZNS1_14transform_implILb0ES3_S5_NS0_18transform_iteratorINS0_17counting_iteratorImlEEZNS1_24adjacent_difference_implIS3_Lb1ELb0EPlSB_ZN2at6native12_GLOBAL__N_124unique_dim_cuda_templateIlEESt5tupleIJNSC_6TensorESH_SH_EERKSH_lbbbEUlllE1_EE10hipError_tPvRmT2_T3_mT4_P12ihipStream_tbEUlmE_lEESB_NS0_8identityIvEEEESM_SP_SQ_mSR_ST_bEUlT_E_NS1_11comp_targetILNS1_3genE9ELNS1_11target_archE1100ELNS1_3gpuE3ELNS1_3repE0EEENS1_30default_config_static_selectorELNS0_4arch9wavefront6targetE1EEEvT1_
                                        ; -- End function
	.section	.AMDGPU.csdata,"",@progbits
; Kernel info:
; codeLenInByte = 0
; NumSgprs: 4
; NumVgprs: 0
; NumAgprs: 0
; TotalNumVgprs: 0
; ScratchSize: 0
; MemoryBound: 0
; FloatMode: 240
; IeeeMode: 1
; LDSByteSize: 0 bytes/workgroup (compile time only)
; SGPRBlocks: 0
; VGPRBlocks: 0
; NumSGPRsForWavesPerEU: 4
; NumVGPRsForWavesPerEU: 1
; AccumOffset: 4
; Occupancy: 8
; WaveLimiterHint : 0
; COMPUTE_PGM_RSRC2:SCRATCH_EN: 0
; COMPUTE_PGM_RSRC2:USER_SGPR: 6
; COMPUTE_PGM_RSRC2:TRAP_HANDLER: 0
; COMPUTE_PGM_RSRC2:TGID_X_EN: 1
; COMPUTE_PGM_RSRC2:TGID_Y_EN: 0
; COMPUTE_PGM_RSRC2:TGID_Z_EN: 0
; COMPUTE_PGM_RSRC2:TIDIG_COMP_CNT: 0
; COMPUTE_PGM_RSRC3_GFX90A:ACCUM_OFFSET: 0
; COMPUTE_PGM_RSRC3_GFX90A:TG_SPLIT: 0
	.section	.text._ZN7rocprim17ROCPRIM_400000_NS6detail17trampoline_kernelINS0_14default_configENS1_25transform_config_selectorIlLb0EEEZNS1_14transform_implILb0ES3_S5_NS0_18transform_iteratorINS0_17counting_iteratorImlEEZNS1_24adjacent_difference_implIS3_Lb1ELb0EPlSB_ZN2at6native12_GLOBAL__N_124unique_dim_cuda_templateIlEESt5tupleIJNSC_6TensorESH_SH_EERKSH_lbbbEUlllE1_EE10hipError_tPvRmT2_T3_mT4_P12ihipStream_tbEUlmE_lEESB_NS0_8identityIvEEEESM_SP_SQ_mSR_ST_bEUlT_E_NS1_11comp_targetILNS1_3genE8ELNS1_11target_archE1030ELNS1_3gpuE2ELNS1_3repE0EEENS1_30default_config_static_selectorELNS0_4arch9wavefront6targetE1EEEvT1_,"axG",@progbits,_ZN7rocprim17ROCPRIM_400000_NS6detail17trampoline_kernelINS0_14default_configENS1_25transform_config_selectorIlLb0EEEZNS1_14transform_implILb0ES3_S5_NS0_18transform_iteratorINS0_17counting_iteratorImlEEZNS1_24adjacent_difference_implIS3_Lb1ELb0EPlSB_ZN2at6native12_GLOBAL__N_124unique_dim_cuda_templateIlEESt5tupleIJNSC_6TensorESH_SH_EERKSH_lbbbEUlllE1_EE10hipError_tPvRmT2_T3_mT4_P12ihipStream_tbEUlmE_lEESB_NS0_8identityIvEEEESM_SP_SQ_mSR_ST_bEUlT_E_NS1_11comp_targetILNS1_3genE8ELNS1_11target_archE1030ELNS1_3gpuE2ELNS1_3repE0EEENS1_30default_config_static_selectorELNS0_4arch9wavefront6targetE1EEEvT1_,comdat
	.globl	_ZN7rocprim17ROCPRIM_400000_NS6detail17trampoline_kernelINS0_14default_configENS1_25transform_config_selectorIlLb0EEEZNS1_14transform_implILb0ES3_S5_NS0_18transform_iteratorINS0_17counting_iteratorImlEEZNS1_24adjacent_difference_implIS3_Lb1ELb0EPlSB_ZN2at6native12_GLOBAL__N_124unique_dim_cuda_templateIlEESt5tupleIJNSC_6TensorESH_SH_EERKSH_lbbbEUlllE1_EE10hipError_tPvRmT2_T3_mT4_P12ihipStream_tbEUlmE_lEESB_NS0_8identityIvEEEESM_SP_SQ_mSR_ST_bEUlT_E_NS1_11comp_targetILNS1_3genE8ELNS1_11target_archE1030ELNS1_3gpuE2ELNS1_3repE0EEENS1_30default_config_static_selectorELNS0_4arch9wavefront6targetE1EEEvT1_ ; -- Begin function _ZN7rocprim17ROCPRIM_400000_NS6detail17trampoline_kernelINS0_14default_configENS1_25transform_config_selectorIlLb0EEEZNS1_14transform_implILb0ES3_S5_NS0_18transform_iteratorINS0_17counting_iteratorImlEEZNS1_24adjacent_difference_implIS3_Lb1ELb0EPlSB_ZN2at6native12_GLOBAL__N_124unique_dim_cuda_templateIlEESt5tupleIJNSC_6TensorESH_SH_EERKSH_lbbbEUlllE1_EE10hipError_tPvRmT2_T3_mT4_P12ihipStream_tbEUlmE_lEESB_NS0_8identityIvEEEESM_SP_SQ_mSR_ST_bEUlT_E_NS1_11comp_targetILNS1_3genE8ELNS1_11target_archE1030ELNS1_3gpuE2ELNS1_3repE0EEENS1_30default_config_static_selectorELNS0_4arch9wavefront6targetE1EEEvT1_
	.p2align	8
	.type	_ZN7rocprim17ROCPRIM_400000_NS6detail17trampoline_kernelINS0_14default_configENS1_25transform_config_selectorIlLb0EEEZNS1_14transform_implILb0ES3_S5_NS0_18transform_iteratorINS0_17counting_iteratorImlEEZNS1_24adjacent_difference_implIS3_Lb1ELb0EPlSB_ZN2at6native12_GLOBAL__N_124unique_dim_cuda_templateIlEESt5tupleIJNSC_6TensorESH_SH_EERKSH_lbbbEUlllE1_EE10hipError_tPvRmT2_T3_mT4_P12ihipStream_tbEUlmE_lEESB_NS0_8identityIvEEEESM_SP_SQ_mSR_ST_bEUlT_E_NS1_11comp_targetILNS1_3genE8ELNS1_11target_archE1030ELNS1_3gpuE2ELNS1_3repE0EEENS1_30default_config_static_selectorELNS0_4arch9wavefront6targetE1EEEvT1_,@function
_ZN7rocprim17ROCPRIM_400000_NS6detail17trampoline_kernelINS0_14default_configENS1_25transform_config_selectorIlLb0EEEZNS1_14transform_implILb0ES3_S5_NS0_18transform_iteratorINS0_17counting_iteratorImlEEZNS1_24adjacent_difference_implIS3_Lb1ELb0EPlSB_ZN2at6native12_GLOBAL__N_124unique_dim_cuda_templateIlEESt5tupleIJNSC_6TensorESH_SH_EERKSH_lbbbEUlllE1_EE10hipError_tPvRmT2_T3_mT4_P12ihipStream_tbEUlmE_lEESB_NS0_8identityIvEEEESM_SP_SQ_mSR_ST_bEUlT_E_NS1_11comp_targetILNS1_3genE8ELNS1_11target_archE1030ELNS1_3gpuE2ELNS1_3repE0EEENS1_30default_config_static_selectorELNS0_4arch9wavefront6targetE1EEEvT1_: ; @_ZN7rocprim17ROCPRIM_400000_NS6detail17trampoline_kernelINS0_14default_configENS1_25transform_config_selectorIlLb0EEEZNS1_14transform_implILb0ES3_S5_NS0_18transform_iteratorINS0_17counting_iteratorImlEEZNS1_24adjacent_difference_implIS3_Lb1ELb0EPlSB_ZN2at6native12_GLOBAL__N_124unique_dim_cuda_templateIlEESt5tupleIJNSC_6TensorESH_SH_EERKSH_lbbbEUlllE1_EE10hipError_tPvRmT2_T3_mT4_P12ihipStream_tbEUlmE_lEESB_NS0_8identityIvEEEESM_SP_SQ_mSR_ST_bEUlT_E_NS1_11comp_targetILNS1_3genE8ELNS1_11target_archE1030ELNS1_3gpuE2ELNS1_3repE0EEENS1_30default_config_static_selectorELNS0_4arch9wavefront6targetE1EEEvT1_
; %bb.0:
	.section	.rodata,"a",@progbits
	.p2align	6, 0x0
	.amdhsa_kernel _ZN7rocprim17ROCPRIM_400000_NS6detail17trampoline_kernelINS0_14default_configENS1_25transform_config_selectorIlLb0EEEZNS1_14transform_implILb0ES3_S5_NS0_18transform_iteratorINS0_17counting_iteratorImlEEZNS1_24adjacent_difference_implIS3_Lb1ELb0EPlSB_ZN2at6native12_GLOBAL__N_124unique_dim_cuda_templateIlEESt5tupleIJNSC_6TensorESH_SH_EERKSH_lbbbEUlllE1_EE10hipError_tPvRmT2_T3_mT4_P12ihipStream_tbEUlmE_lEESB_NS0_8identityIvEEEESM_SP_SQ_mSR_ST_bEUlT_E_NS1_11comp_targetILNS1_3genE8ELNS1_11target_archE1030ELNS1_3gpuE2ELNS1_3repE0EEENS1_30default_config_static_selectorELNS0_4arch9wavefront6targetE1EEEvT1_
		.amdhsa_group_segment_fixed_size 0
		.amdhsa_private_segment_fixed_size 0
		.amdhsa_kernarg_size 56
		.amdhsa_user_sgpr_count 6
		.amdhsa_user_sgpr_private_segment_buffer 1
		.amdhsa_user_sgpr_dispatch_ptr 0
		.amdhsa_user_sgpr_queue_ptr 0
		.amdhsa_user_sgpr_kernarg_segment_ptr 1
		.amdhsa_user_sgpr_dispatch_id 0
		.amdhsa_user_sgpr_flat_scratch_init 0
		.amdhsa_user_sgpr_kernarg_preload_length 0
		.amdhsa_user_sgpr_kernarg_preload_offset 0
		.amdhsa_user_sgpr_private_segment_size 0
		.amdhsa_uses_dynamic_stack 0
		.amdhsa_system_sgpr_private_segment_wavefront_offset 0
		.amdhsa_system_sgpr_workgroup_id_x 1
		.amdhsa_system_sgpr_workgroup_id_y 0
		.amdhsa_system_sgpr_workgroup_id_z 0
		.amdhsa_system_sgpr_workgroup_info 0
		.amdhsa_system_vgpr_workitem_id 0
		.amdhsa_next_free_vgpr 1
		.amdhsa_next_free_sgpr 0
		.amdhsa_accum_offset 4
		.amdhsa_reserve_vcc 0
		.amdhsa_reserve_flat_scratch 0
		.amdhsa_float_round_mode_32 0
		.amdhsa_float_round_mode_16_64 0
		.amdhsa_float_denorm_mode_32 3
		.amdhsa_float_denorm_mode_16_64 3
		.amdhsa_dx10_clamp 1
		.amdhsa_ieee_mode 1
		.amdhsa_fp16_overflow 0
		.amdhsa_tg_split 0
		.amdhsa_exception_fp_ieee_invalid_op 0
		.amdhsa_exception_fp_denorm_src 0
		.amdhsa_exception_fp_ieee_div_zero 0
		.amdhsa_exception_fp_ieee_overflow 0
		.amdhsa_exception_fp_ieee_underflow 0
		.amdhsa_exception_fp_ieee_inexact 0
		.amdhsa_exception_int_div_zero 0
	.end_amdhsa_kernel
	.section	.text._ZN7rocprim17ROCPRIM_400000_NS6detail17trampoline_kernelINS0_14default_configENS1_25transform_config_selectorIlLb0EEEZNS1_14transform_implILb0ES3_S5_NS0_18transform_iteratorINS0_17counting_iteratorImlEEZNS1_24adjacent_difference_implIS3_Lb1ELb0EPlSB_ZN2at6native12_GLOBAL__N_124unique_dim_cuda_templateIlEESt5tupleIJNSC_6TensorESH_SH_EERKSH_lbbbEUlllE1_EE10hipError_tPvRmT2_T3_mT4_P12ihipStream_tbEUlmE_lEESB_NS0_8identityIvEEEESM_SP_SQ_mSR_ST_bEUlT_E_NS1_11comp_targetILNS1_3genE8ELNS1_11target_archE1030ELNS1_3gpuE2ELNS1_3repE0EEENS1_30default_config_static_selectorELNS0_4arch9wavefront6targetE1EEEvT1_,"axG",@progbits,_ZN7rocprim17ROCPRIM_400000_NS6detail17trampoline_kernelINS0_14default_configENS1_25transform_config_selectorIlLb0EEEZNS1_14transform_implILb0ES3_S5_NS0_18transform_iteratorINS0_17counting_iteratorImlEEZNS1_24adjacent_difference_implIS3_Lb1ELb0EPlSB_ZN2at6native12_GLOBAL__N_124unique_dim_cuda_templateIlEESt5tupleIJNSC_6TensorESH_SH_EERKSH_lbbbEUlllE1_EE10hipError_tPvRmT2_T3_mT4_P12ihipStream_tbEUlmE_lEESB_NS0_8identityIvEEEESM_SP_SQ_mSR_ST_bEUlT_E_NS1_11comp_targetILNS1_3genE8ELNS1_11target_archE1030ELNS1_3gpuE2ELNS1_3repE0EEENS1_30default_config_static_selectorELNS0_4arch9wavefront6targetE1EEEvT1_,comdat
.Lfunc_end554:
	.size	_ZN7rocprim17ROCPRIM_400000_NS6detail17trampoline_kernelINS0_14default_configENS1_25transform_config_selectorIlLb0EEEZNS1_14transform_implILb0ES3_S5_NS0_18transform_iteratorINS0_17counting_iteratorImlEEZNS1_24adjacent_difference_implIS3_Lb1ELb0EPlSB_ZN2at6native12_GLOBAL__N_124unique_dim_cuda_templateIlEESt5tupleIJNSC_6TensorESH_SH_EERKSH_lbbbEUlllE1_EE10hipError_tPvRmT2_T3_mT4_P12ihipStream_tbEUlmE_lEESB_NS0_8identityIvEEEESM_SP_SQ_mSR_ST_bEUlT_E_NS1_11comp_targetILNS1_3genE8ELNS1_11target_archE1030ELNS1_3gpuE2ELNS1_3repE0EEENS1_30default_config_static_selectorELNS0_4arch9wavefront6targetE1EEEvT1_, .Lfunc_end554-_ZN7rocprim17ROCPRIM_400000_NS6detail17trampoline_kernelINS0_14default_configENS1_25transform_config_selectorIlLb0EEEZNS1_14transform_implILb0ES3_S5_NS0_18transform_iteratorINS0_17counting_iteratorImlEEZNS1_24adjacent_difference_implIS3_Lb1ELb0EPlSB_ZN2at6native12_GLOBAL__N_124unique_dim_cuda_templateIlEESt5tupleIJNSC_6TensorESH_SH_EERKSH_lbbbEUlllE1_EE10hipError_tPvRmT2_T3_mT4_P12ihipStream_tbEUlmE_lEESB_NS0_8identityIvEEEESM_SP_SQ_mSR_ST_bEUlT_E_NS1_11comp_targetILNS1_3genE8ELNS1_11target_archE1030ELNS1_3gpuE2ELNS1_3repE0EEENS1_30default_config_static_selectorELNS0_4arch9wavefront6targetE1EEEvT1_
                                        ; -- End function
	.section	.AMDGPU.csdata,"",@progbits
; Kernel info:
; codeLenInByte = 0
; NumSgprs: 4
; NumVgprs: 0
; NumAgprs: 0
; TotalNumVgprs: 0
; ScratchSize: 0
; MemoryBound: 0
; FloatMode: 240
; IeeeMode: 1
; LDSByteSize: 0 bytes/workgroup (compile time only)
; SGPRBlocks: 0
; VGPRBlocks: 0
; NumSGPRsForWavesPerEU: 4
; NumVGPRsForWavesPerEU: 1
; AccumOffset: 4
; Occupancy: 8
; WaveLimiterHint : 0
; COMPUTE_PGM_RSRC2:SCRATCH_EN: 0
; COMPUTE_PGM_RSRC2:USER_SGPR: 6
; COMPUTE_PGM_RSRC2:TRAP_HANDLER: 0
; COMPUTE_PGM_RSRC2:TGID_X_EN: 1
; COMPUTE_PGM_RSRC2:TGID_Y_EN: 0
; COMPUTE_PGM_RSRC2:TGID_Z_EN: 0
; COMPUTE_PGM_RSRC2:TIDIG_COMP_CNT: 0
; COMPUTE_PGM_RSRC3_GFX90A:ACCUM_OFFSET: 0
; COMPUTE_PGM_RSRC3_GFX90A:TG_SPLIT: 0
	.section	.text._ZN7rocprim17ROCPRIM_400000_NS6detail17trampoline_kernelINS0_14default_configENS1_35adjacent_difference_config_selectorILb1ElEEZNS1_24adjacent_difference_implIS3_Lb1ELb0EPlS7_ZN2at6native12_GLOBAL__N_124unique_dim_cuda_templateIlEESt5tupleIJNS8_6TensorESD_SD_EERKSD_lbbbEUlllE1_EE10hipError_tPvRmT2_T3_mT4_P12ihipStream_tbEUlT_E_NS1_11comp_targetILNS1_3genE0ELNS1_11target_archE4294967295ELNS1_3gpuE0ELNS1_3repE0EEENS1_30default_config_static_selectorELNS0_4arch9wavefront6targetE1EEEvT1_,"axG",@progbits,_ZN7rocprim17ROCPRIM_400000_NS6detail17trampoline_kernelINS0_14default_configENS1_35adjacent_difference_config_selectorILb1ElEEZNS1_24adjacent_difference_implIS3_Lb1ELb0EPlS7_ZN2at6native12_GLOBAL__N_124unique_dim_cuda_templateIlEESt5tupleIJNS8_6TensorESD_SD_EERKSD_lbbbEUlllE1_EE10hipError_tPvRmT2_T3_mT4_P12ihipStream_tbEUlT_E_NS1_11comp_targetILNS1_3genE0ELNS1_11target_archE4294967295ELNS1_3gpuE0ELNS1_3repE0EEENS1_30default_config_static_selectorELNS0_4arch9wavefront6targetE1EEEvT1_,comdat
	.globl	_ZN7rocprim17ROCPRIM_400000_NS6detail17trampoline_kernelINS0_14default_configENS1_35adjacent_difference_config_selectorILb1ElEEZNS1_24adjacent_difference_implIS3_Lb1ELb0EPlS7_ZN2at6native12_GLOBAL__N_124unique_dim_cuda_templateIlEESt5tupleIJNS8_6TensorESD_SD_EERKSD_lbbbEUlllE1_EE10hipError_tPvRmT2_T3_mT4_P12ihipStream_tbEUlT_E_NS1_11comp_targetILNS1_3genE0ELNS1_11target_archE4294967295ELNS1_3gpuE0ELNS1_3repE0EEENS1_30default_config_static_selectorELNS0_4arch9wavefront6targetE1EEEvT1_ ; -- Begin function _ZN7rocprim17ROCPRIM_400000_NS6detail17trampoline_kernelINS0_14default_configENS1_35adjacent_difference_config_selectorILb1ElEEZNS1_24adjacent_difference_implIS3_Lb1ELb0EPlS7_ZN2at6native12_GLOBAL__N_124unique_dim_cuda_templateIlEESt5tupleIJNS8_6TensorESD_SD_EERKSD_lbbbEUlllE1_EE10hipError_tPvRmT2_T3_mT4_P12ihipStream_tbEUlT_E_NS1_11comp_targetILNS1_3genE0ELNS1_11target_archE4294967295ELNS1_3gpuE0ELNS1_3repE0EEENS1_30default_config_static_selectorELNS0_4arch9wavefront6targetE1EEEvT1_
	.p2align	8
	.type	_ZN7rocprim17ROCPRIM_400000_NS6detail17trampoline_kernelINS0_14default_configENS1_35adjacent_difference_config_selectorILb1ElEEZNS1_24adjacent_difference_implIS3_Lb1ELb0EPlS7_ZN2at6native12_GLOBAL__N_124unique_dim_cuda_templateIlEESt5tupleIJNS8_6TensorESD_SD_EERKSD_lbbbEUlllE1_EE10hipError_tPvRmT2_T3_mT4_P12ihipStream_tbEUlT_E_NS1_11comp_targetILNS1_3genE0ELNS1_11target_archE4294967295ELNS1_3gpuE0ELNS1_3repE0EEENS1_30default_config_static_selectorELNS0_4arch9wavefront6targetE1EEEvT1_,@function
_ZN7rocprim17ROCPRIM_400000_NS6detail17trampoline_kernelINS0_14default_configENS1_35adjacent_difference_config_selectorILb1ElEEZNS1_24adjacent_difference_implIS3_Lb1ELb0EPlS7_ZN2at6native12_GLOBAL__N_124unique_dim_cuda_templateIlEESt5tupleIJNS8_6TensorESD_SD_EERKSD_lbbbEUlllE1_EE10hipError_tPvRmT2_T3_mT4_P12ihipStream_tbEUlT_E_NS1_11comp_targetILNS1_3genE0ELNS1_11target_archE4294967295ELNS1_3gpuE0ELNS1_3repE0EEENS1_30default_config_static_selectorELNS0_4arch9wavefront6targetE1EEEvT1_: ; @_ZN7rocprim17ROCPRIM_400000_NS6detail17trampoline_kernelINS0_14default_configENS1_35adjacent_difference_config_selectorILb1ElEEZNS1_24adjacent_difference_implIS3_Lb1ELb0EPlS7_ZN2at6native12_GLOBAL__N_124unique_dim_cuda_templateIlEESt5tupleIJNS8_6TensorESD_SD_EERKSD_lbbbEUlllE1_EE10hipError_tPvRmT2_T3_mT4_P12ihipStream_tbEUlT_E_NS1_11comp_targetILNS1_3genE0ELNS1_11target_archE4294967295ELNS1_3gpuE0ELNS1_3repE0EEENS1_30default_config_static_selectorELNS0_4arch9wavefront6targetE1EEEvT1_
; %bb.0:
	.section	.rodata,"a",@progbits
	.p2align	6, 0x0
	.amdhsa_kernel _ZN7rocprim17ROCPRIM_400000_NS6detail17trampoline_kernelINS0_14default_configENS1_35adjacent_difference_config_selectorILb1ElEEZNS1_24adjacent_difference_implIS3_Lb1ELb0EPlS7_ZN2at6native12_GLOBAL__N_124unique_dim_cuda_templateIlEESt5tupleIJNS8_6TensorESD_SD_EERKSD_lbbbEUlllE1_EE10hipError_tPvRmT2_T3_mT4_P12ihipStream_tbEUlT_E_NS1_11comp_targetILNS1_3genE0ELNS1_11target_archE4294967295ELNS1_3gpuE0ELNS1_3repE0EEENS1_30default_config_static_selectorELNS0_4arch9wavefront6targetE1EEEvT1_
		.amdhsa_group_segment_fixed_size 0
		.amdhsa_private_segment_fixed_size 0
		.amdhsa_kernarg_size 64
		.amdhsa_user_sgpr_count 6
		.amdhsa_user_sgpr_private_segment_buffer 1
		.amdhsa_user_sgpr_dispatch_ptr 0
		.amdhsa_user_sgpr_queue_ptr 0
		.amdhsa_user_sgpr_kernarg_segment_ptr 1
		.amdhsa_user_sgpr_dispatch_id 0
		.amdhsa_user_sgpr_flat_scratch_init 0
		.amdhsa_user_sgpr_kernarg_preload_length 0
		.amdhsa_user_sgpr_kernarg_preload_offset 0
		.amdhsa_user_sgpr_private_segment_size 0
		.amdhsa_uses_dynamic_stack 0
		.amdhsa_system_sgpr_private_segment_wavefront_offset 0
		.amdhsa_system_sgpr_workgroup_id_x 1
		.amdhsa_system_sgpr_workgroup_id_y 0
		.amdhsa_system_sgpr_workgroup_id_z 0
		.amdhsa_system_sgpr_workgroup_info 0
		.amdhsa_system_vgpr_workitem_id 0
		.amdhsa_next_free_vgpr 1
		.amdhsa_next_free_sgpr 0
		.amdhsa_accum_offset 4
		.amdhsa_reserve_vcc 0
		.amdhsa_reserve_flat_scratch 0
		.amdhsa_float_round_mode_32 0
		.amdhsa_float_round_mode_16_64 0
		.amdhsa_float_denorm_mode_32 3
		.amdhsa_float_denorm_mode_16_64 3
		.amdhsa_dx10_clamp 1
		.amdhsa_ieee_mode 1
		.amdhsa_fp16_overflow 0
		.amdhsa_tg_split 0
		.amdhsa_exception_fp_ieee_invalid_op 0
		.amdhsa_exception_fp_denorm_src 0
		.amdhsa_exception_fp_ieee_div_zero 0
		.amdhsa_exception_fp_ieee_overflow 0
		.amdhsa_exception_fp_ieee_underflow 0
		.amdhsa_exception_fp_ieee_inexact 0
		.amdhsa_exception_int_div_zero 0
	.end_amdhsa_kernel
	.section	.text._ZN7rocprim17ROCPRIM_400000_NS6detail17trampoline_kernelINS0_14default_configENS1_35adjacent_difference_config_selectorILb1ElEEZNS1_24adjacent_difference_implIS3_Lb1ELb0EPlS7_ZN2at6native12_GLOBAL__N_124unique_dim_cuda_templateIlEESt5tupleIJNS8_6TensorESD_SD_EERKSD_lbbbEUlllE1_EE10hipError_tPvRmT2_T3_mT4_P12ihipStream_tbEUlT_E_NS1_11comp_targetILNS1_3genE0ELNS1_11target_archE4294967295ELNS1_3gpuE0ELNS1_3repE0EEENS1_30default_config_static_selectorELNS0_4arch9wavefront6targetE1EEEvT1_,"axG",@progbits,_ZN7rocprim17ROCPRIM_400000_NS6detail17trampoline_kernelINS0_14default_configENS1_35adjacent_difference_config_selectorILb1ElEEZNS1_24adjacent_difference_implIS3_Lb1ELb0EPlS7_ZN2at6native12_GLOBAL__N_124unique_dim_cuda_templateIlEESt5tupleIJNS8_6TensorESD_SD_EERKSD_lbbbEUlllE1_EE10hipError_tPvRmT2_T3_mT4_P12ihipStream_tbEUlT_E_NS1_11comp_targetILNS1_3genE0ELNS1_11target_archE4294967295ELNS1_3gpuE0ELNS1_3repE0EEENS1_30default_config_static_selectorELNS0_4arch9wavefront6targetE1EEEvT1_,comdat
.Lfunc_end555:
	.size	_ZN7rocprim17ROCPRIM_400000_NS6detail17trampoline_kernelINS0_14default_configENS1_35adjacent_difference_config_selectorILb1ElEEZNS1_24adjacent_difference_implIS3_Lb1ELb0EPlS7_ZN2at6native12_GLOBAL__N_124unique_dim_cuda_templateIlEESt5tupleIJNS8_6TensorESD_SD_EERKSD_lbbbEUlllE1_EE10hipError_tPvRmT2_T3_mT4_P12ihipStream_tbEUlT_E_NS1_11comp_targetILNS1_3genE0ELNS1_11target_archE4294967295ELNS1_3gpuE0ELNS1_3repE0EEENS1_30default_config_static_selectorELNS0_4arch9wavefront6targetE1EEEvT1_, .Lfunc_end555-_ZN7rocprim17ROCPRIM_400000_NS6detail17trampoline_kernelINS0_14default_configENS1_35adjacent_difference_config_selectorILb1ElEEZNS1_24adjacent_difference_implIS3_Lb1ELb0EPlS7_ZN2at6native12_GLOBAL__N_124unique_dim_cuda_templateIlEESt5tupleIJNS8_6TensorESD_SD_EERKSD_lbbbEUlllE1_EE10hipError_tPvRmT2_T3_mT4_P12ihipStream_tbEUlT_E_NS1_11comp_targetILNS1_3genE0ELNS1_11target_archE4294967295ELNS1_3gpuE0ELNS1_3repE0EEENS1_30default_config_static_selectorELNS0_4arch9wavefront6targetE1EEEvT1_
                                        ; -- End function
	.section	.AMDGPU.csdata,"",@progbits
; Kernel info:
; codeLenInByte = 0
; NumSgprs: 4
; NumVgprs: 0
; NumAgprs: 0
; TotalNumVgprs: 0
; ScratchSize: 0
; MemoryBound: 0
; FloatMode: 240
; IeeeMode: 1
; LDSByteSize: 0 bytes/workgroup (compile time only)
; SGPRBlocks: 0
; VGPRBlocks: 0
; NumSGPRsForWavesPerEU: 4
; NumVGPRsForWavesPerEU: 1
; AccumOffset: 4
; Occupancy: 8
; WaveLimiterHint : 0
; COMPUTE_PGM_RSRC2:SCRATCH_EN: 0
; COMPUTE_PGM_RSRC2:USER_SGPR: 6
; COMPUTE_PGM_RSRC2:TRAP_HANDLER: 0
; COMPUTE_PGM_RSRC2:TGID_X_EN: 1
; COMPUTE_PGM_RSRC2:TGID_Y_EN: 0
; COMPUTE_PGM_RSRC2:TGID_Z_EN: 0
; COMPUTE_PGM_RSRC2:TIDIG_COMP_CNT: 0
; COMPUTE_PGM_RSRC3_GFX90A:ACCUM_OFFSET: 0
; COMPUTE_PGM_RSRC3_GFX90A:TG_SPLIT: 0
	.section	.text._ZN7rocprim17ROCPRIM_400000_NS6detail17trampoline_kernelINS0_14default_configENS1_35adjacent_difference_config_selectorILb1ElEEZNS1_24adjacent_difference_implIS3_Lb1ELb0EPlS7_ZN2at6native12_GLOBAL__N_124unique_dim_cuda_templateIlEESt5tupleIJNS8_6TensorESD_SD_EERKSD_lbbbEUlllE1_EE10hipError_tPvRmT2_T3_mT4_P12ihipStream_tbEUlT_E_NS1_11comp_targetILNS1_3genE10ELNS1_11target_archE1201ELNS1_3gpuE5ELNS1_3repE0EEENS1_30default_config_static_selectorELNS0_4arch9wavefront6targetE1EEEvT1_,"axG",@progbits,_ZN7rocprim17ROCPRIM_400000_NS6detail17trampoline_kernelINS0_14default_configENS1_35adjacent_difference_config_selectorILb1ElEEZNS1_24adjacent_difference_implIS3_Lb1ELb0EPlS7_ZN2at6native12_GLOBAL__N_124unique_dim_cuda_templateIlEESt5tupleIJNS8_6TensorESD_SD_EERKSD_lbbbEUlllE1_EE10hipError_tPvRmT2_T3_mT4_P12ihipStream_tbEUlT_E_NS1_11comp_targetILNS1_3genE10ELNS1_11target_archE1201ELNS1_3gpuE5ELNS1_3repE0EEENS1_30default_config_static_selectorELNS0_4arch9wavefront6targetE1EEEvT1_,comdat
	.globl	_ZN7rocprim17ROCPRIM_400000_NS6detail17trampoline_kernelINS0_14default_configENS1_35adjacent_difference_config_selectorILb1ElEEZNS1_24adjacent_difference_implIS3_Lb1ELb0EPlS7_ZN2at6native12_GLOBAL__N_124unique_dim_cuda_templateIlEESt5tupleIJNS8_6TensorESD_SD_EERKSD_lbbbEUlllE1_EE10hipError_tPvRmT2_T3_mT4_P12ihipStream_tbEUlT_E_NS1_11comp_targetILNS1_3genE10ELNS1_11target_archE1201ELNS1_3gpuE5ELNS1_3repE0EEENS1_30default_config_static_selectorELNS0_4arch9wavefront6targetE1EEEvT1_ ; -- Begin function _ZN7rocprim17ROCPRIM_400000_NS6detail17trampoline_kernelINS0_14default_configENS1_35adjacent_difference_config_selectorILb1ElEEZNS1_24adjacent_difference_implIS3_Lb1ELb0EPlS7_ZN2at6native12_GLOBAL__N_124unique_dim_cuda_templateIlEESt5tupleIJNS8_6TensorESD_SD_EERKSD_lbbbEUlllE1_EE10hipError_tPvRmT2_T3_mT4_P12ihipStream_tbEUlT_E_NS1_11comp_targetILNS1_3genE10ELNS1_11target_archE1201ELNS1_3gpuE5ELNS1_3repE0EEENS1_30default_config_static_selectorELNS0_4arch9wavefront6targetE1EEEvT1_
	.p2align	8
	.type	_ZN7rocprim17ROCPRIM_400000_NS6detail17trampoline_kernelINS0_14default_configENS1_35adjacent_difference_config_selectorILb1ElEEZNS1_24adjacent_difference_implIS3_Lb1ELb0EPlS7_ZN2at6native12_GLOBAL__N_124unique_dim_cuda_templateIlEESt5tupleIJNS8_6TensorESD_SD_EERKSD_lbbbEUlllE1_EE10hipError_tPvRmT2_T3_mT4_P12ihipStream_tbEUlT_E_NS1_11comp_targetILNS1_3genE10ELNS1_11target_archE1201ELNS1_3gpuE5ELNS1_3repE0EEENS1_30default_config_static_selectorELNS0_4arch9wavefront6targetE1EEEvT1_,@function
_ZN7rocprim17ROCPRIM_400000_NS6detail17trampoline_kernelINS0_14default_configENS1_35adjacent_difference_config_selectorILb1ElEEZNS1_24adjacent_difference_implIS3_Lb1ELb0EPlS7_ZN2at6native12_GLOBAL__N_124unique_dim_cuda_templateIlEESt5tupleIJNS8_6TensorESD_SD_EERKSD_lbbbEUlllE1_EE10hipError_tPvRmT2_T3_mT4_P12ihipStream_tbEUlT_E_NS1_11comp_targetILNS1_3genE10ELNS1_11target_archE1201ELNS1_3gpuE5ELNS1_3repE0EEENS1_30default_config_static_selectorELNS0_4arch9wavefront6targetE1EEEvT1_: ; @_ZN7rocprim17ROCPRIM_400000_NS6detail17trampoline_kernelINS0_14default_configENS1_35adjacent_difference_config_selectorILb1ElEEZNS1_24adjacent_difference_implIS3_Lb1ELb0EPlS7_ZN2at6native12_GLOBAL__N_124unique_dim_cuda_templateIlEESt5tupleIJNS8_6TensorESD_SD_EERKSD_lbbbEUlllE1_EE10hipError_tPvRmT2_T3_mT4_P12ihipStream_tbEUlT_E_NS1_11comp_targetILNS1_3genE10ELNS1_11target_archE1201ELNS1_3gpuE5ELNS1_3repE0EEENS1_30default_config_static_selectorELNS0_4arch9wavefront6targetE1EEEvT1_
; %bb.0:
	.section	.rodata,"a",@progbits
	.p2align	6, 0x0
	.amdhsa_kernel _ZN7rocprim17ROCPRIM_400000_NS6detail17trampoline_kernelINS0_14default_configENS1_35adjacent_difference_config_selectorILb1ElEEZNS1_24adjacent_difference_implIS3_Lb1ELb0EPlS7_ZN2at6native12_GLOBAL__N_124unique_dim_cuda_templateIlEESt5tupleIJNS8_6TensorESD_SD_EERKSD_lbbbEUlllE1_EE10hipError_tPvRmT2_T3_mT4_P12ihipStream_tbEUlT_E_NS1_11comp_targetILNS1_3genE10ELNS1_11target_archE1201ELNS1_3gpuE5ELNS1_3repE0EEENS1_30default_config_static_selectorELNS0_4arch9wavefront6targetE1EEEvT1_
		.amdhsa_group_segment_fixed_size 0
		.amdhsa_private_segment_fixed_size 0
		.amdhsa_kernarg_size 64
		.amdhsa_user_sgpr_count 6
		.amdhsa_user_sgpr_private_segment_buffer 1
		.amdhsa_user_sgpr_dispatch_ptr 0
		.amdhsa_user_sgpr_queue_ptr 0
		.amdhsa_user_sgpr_kernarg_segment_ptr 1
		.amdhsa_user_sgpr_dispatch_id 0
		.amdhsa_user_sgpr_flat_scratch_init 0
		.amdhsa_user_sgpr_kernarg_preload_length 0
		.amdhsa_user_sgpr_kernarg_preload_offset 0
		.amdhsa_user_sgpr_private_segment_size 0
		.amdhsa_uses_dynamic_stack 0
		.amdhsa_system_sgpr_private_segment_wavefront_offset 0
		.amdhsa_system_sgpr_workgroup_id_x 1
		.amdhsa_system_sgpr_workgroup_id_y 0
		.amdhsa_system_sgpr_workgroup_id_z 0
		.amdhsa_system_sgpr_workgroup_info 0
		.amdhsa_system_vgpr_workitem_id 0
		.amdhsa_next_free_vgpr 1
		.amdhsa_next_free_sgpr 0
		.amdhsa_accum_offset 4
		.amdhsa_reserve_vcc 0
		.amdhsa_reserve_flat_scratch 0
		.amdhsa_float_round_mode_32 0
		.amdhsa_float_round_mode_16_64 0
		.amdhsa_float_denorm_mode_32 3
		.amdhsa_float_denorm_mode_16_64 3
		.amdhsa_dx10_clamp 1
		.amdhsa_ieee_mode 1
		.amdhsa_fp16_overflow 0
		.amdhsa_tg_split 0
		.amdhsa_exception_fp_ieee_invalid_op 0
		.amdhsa_exception_fp_denorm_src 0
		.amdhsa_exception_fp_ieee_div_zero 0
		.amdhsa_exception_fp_ieee_overflow 0
		.amdhsa_exception_fp_ieee_underflow 0
		.amdhsa_exception_fp_ieee_inexact 0
		.amdhsa_exception_int_div_zero 0
	.end_amdhsa_kernel
	.section	.text._ZN7rocprim17ROCPRIM_400000_NS6detail17trampoline_kernelINS0_14default_configENS1_35adjacent_difference_config_selectorILb1ElEEZNS1_24adjacent_difference_implIS3_Lb1ELb0EPlS7_ZN2at6native12_GLOBAL__N_124unique_dim_cuda_templateIlEESt5tupleIJNS8_6TensorESD_SD_EERKSD_lbbbEUlllE1_EE10hipError_tPvRmT2_T3_mT4_P12ihipStream_tbEUlT_E_NS1_11comp_targetILNS1_3genE10ELNS1_11target_archE1201ELNS1_3gpuE5ELNS1_3repE0EEENS1_30default_config_static_selectorELNS0_4arch9wavefront6targetE1EEEvT1_,"axG",@progbits,_ZN7rocprim17ROCPRIM_400000_NS6detail17trampoline_kernelINS0_14default_configENS1_35adjacent_difference_config_selectorILb1ElEEZNS1_24adjacent_difference_implIS3_Lb1ELb0EPlS7_ZN2at6native12_GLOBAL__N_124unique_dim_cuda_templateIlEESt5tupleIJNS8_6TensorESD_SD_EERKSD_lbbbEUlllE1_EE10hipError_tPvRmT2_T3_mT4_P12ihipStream_tbEUlT_E_NS1_11comp_targetILNS1_3genE10ELNS1_11target_archE1201ELNS1_3gpuE5ELNS1_3repE0EEENS1_30default_config_static_selectorELNS0_4arch9wavefront6targetE1EEEvT1_,comdat
.Lfunc_end556:
	.size	_ZN7rocprim17ROCPRIM_400000_NS6detail17trampoline_kernelINS0_14default_configENS1_35adjacent_difference_config_selectorILb1ElEEZNS1_24adjacent_difference_implIS3_Lb1ELb0EPlS7_ZN2at6native12_GLOBAL__N_124unique_dim_cuda_templateIlEESt5tupleIJNS8_6TensorESD_SD_EERKSD_lbbbEUlllE1_EE10hipError_tPvRmT2_T3_mT4_P12ihipStream_tbEUlT_E_NS1_11comp_targetILNS1_3genE10ELNS1_11target_archE1201ELNS1_3gpuE5ELNS1_3repE0EEENS1_30default_config_static_selectorELNS0_4arch9wavefront6targetE1EEEvT1_, .Lfunc_end556-_ZN7rocprim17ROCPRIM_400000_NS6detail17trampoline_kernelINS0_14default_configENS1_35adjacent_difference_config_selectorILb1ElEEZNS1_24adjacent_difference_implIS3_Lb1ELb0EPlS7_ZN2at6native12_GLOBAL__N_124unique_dim_cuda_templateIlEESt5tupleIJNS8_6TensorESD_SD_EERKSD_lbbbEUlllE1_EE10hipError_tPvRmT2_T3_mT4_P12ihipStream_tbEUlT_E_NS1_11comp_targetILNS1_3genE10ELNS1_11target_archE1201ELNS1_3gpuE5ELNS1_3repE0EEENS1_30default_config_static_selectorELNS0_4arch9wavefront6targetE1EEEvT1_
                                        ; -- End function
	.section	.AMDGPU.csdata,"",@progbits
; Kernel info:
; codeLenInByte = 0
; NumSgprs: 4
; NumVgprs: 0
; NumAgprs: 0
; TotalNumVgprs: 0
; ScratchSize: 0
; MemoryBound: 0
; FloatMode: 240
; IeeeMode: 1
; LDSByteSize: 0 bytes/workgroup (compile time only)
; SGPRBlocks: 0
; VGPRBlocks: 0
; NumSGPRsForWavesPerEU: 4
; NumVGPRsForWavesPerEU: 1
; AccumOffset: 4
; Occupancy: 8
; WaveLimiterHint : 0
; COMPUTE_PGM_RSRC2:SCRATCH_EN: 0
; COMPUTE_PGM_RSRC2:USER_SGPR: 6
; COMPUTE_PGM_RSRC2:TRAP_HANDLER: 0
; COMPUTE_PGM_RSRC2:TGID_X_EN: 1
; COMPUTE_PGM_RSRC2:TGID_Y_EN: 0
; COMPUTE_PGM_RSRC2:TGID_Z_EN: 0
; COMPUTE_PGM_RSRC2:TIDIG_COMP_CNT: 0
; COMPUTE_PGM_RSRC3_GFX90A:ACCUM_OFFSET: 0
; COMPUTE_PGM_RSRC3_GFX90A:TG_SPLIT: 0
	.section	.text._ZN7rocprim17ROCPRIM_400000_NS6detail17trampoline_kernelINS0_14default_configENS1_35adjacent_difference_config_selectorILb1ElEEZNS1_24adjacent_difference_implIS3_Lb1ELb0EPlS7_ZN2at6native12_GLOBAL__N_124unique_dim_cuda_templateIlEESt5tupleIJNS8_6TensorESD_SD_EERKSD_lbbbEUlllE1_EE10hipError_tPvRmT2_T3_mT4_P12ihipStream_tbEUlT_E_NS1_11comp_targetILNS1_3genE5ELNS1_11target_archE942ELNS1_3gpuE9ELNS1_3repE0EEENS1_30default_config_static_selectorELNS0_4arch9wavefront6targetE1EEEvT1_,"axG",@progbits,_ZN7rocprim17ROCPRIM_400000_NS6detail17trampoline_kernelINS0_14default_configENS1_35adjacent_difference_config_selectorILb1ElEEZNS1_24adjacent_difference_implIS3_Lb1ELb0EPlS7_ZN2at6native12_GLOBAL__N_124unique_dim_cuda_templateIlEESt5tupleIJNS8_6TensorESD_SD_EERKSD_lbbbEUlllE1_EE10hipError_tPvRmT2_T3_mT4_P12ihipStream_tbEUlT_E_NS1_11comp_targetILNS1_3genE5ELNS1_11target_archE942ELNS1_3gpuE9ELNS1_3repE0EEENS1_30default_config_static_selectorELNS0_4arch9wavefront6targetE1EEEvT1_,comdat
	.globl	_ZN7rocprim17ROCPRIM_400000_NS6detail17trampoline_kernelINS0_14default_configENS1_35adjacent_difference_config_selectorILb1ElEEZNS1_24adjacent_difference_implIS3_Lb1ELb0EPlS7_ZN2at6native12_GLOBAL__N_124unique_dim_cuda_templateIlEESt5tupleIJNS8_6TensorESD_SD_EERKSD_lbbbEUlllE1_EE10hipError_tPvRmT2_T3_mT4_P12ihipStream_tbEUlT_E_NS1_11comp_targetILNS1_3genE5ELNS1_11target_archE942ELNS1_3gpuE9ELNS1_3repE0EEENS1_30default_config_static_selectorELNS0_4arch9wavefront6targetE1EEEvT1_ ; -- Begin function _ZN7rocprim17ROCPRIM_400000_NS6detail17trampoline_kernelINS0_14default_configENS1_35adjacent_difference_config_selectorILb1ElEEZNS1_24adjacent_difference_implIS3_Lb1ELb0EPlS7_ZN2at6native12_GLOBAL__N_124unique_dim_cuda_templateIlEESt5tupleIJNS8_6TensorESD_SD_EERKSD_lbbbEUlllE1_EE10hipError_tPvRmT2_T3_mT4_P12ihipStream_tbEUlT_E_NS1_11comp_targetILNS1_3genE5ELNS1_11target_archE942ELNS1_3gpuE9ELNS1_3repE0EEENS1_30default_config_static_selectorELNS0_4arch9wavefront6targetE1EEEvT1_
	.p2align	8
	.type	_ZN7rocprim17ROCPRIM_400000_NS6detail17trampoline_kernelINS0_14default_configENS1_35adjacent_difference_config_selectorILb1ElEEZNS1_24adjacent_difference_implIS3_Lb1ELb0EPlS7_ZN2at6native12_GLOBAL__N_124unique_dim_cuda_templateIlEESt5tupleIJNS8_6TensorESD_SD_EERKSD_lbbbEUlllE1_EE10hipError_tPvRmT2_T3_mT4_P12ihipStream_tbEUlT_E_NS1_11comp_targetILNS1_3genE5ELNS1_11target_archE942ELNS1_3gpuE9ELNS1_3repE0EEENS1_30default_config_static_selectorELNS0_4arch9wavefront6targetE1EEEvT1_,@function
_ZN7rocprim17ROCPRIM_400000_NS6detail17trampoline_kernelINS0_14default_configENS1_35adjacent_difference_config_selectorILb1ElEEZNS1_24adjacent_difference_implIS3_Lb1ELb0EPlS7_ZN2at6native12_GLOBAL__N_124unique_dim_cuda_templateIlEESt5tupleIJNS8_6TensorESD_SD_EERKSD_lbbbEUlllE1_EE10hipError_tPvRmT2_T3_mT4_P12ihipStream_tbEUlT_E_NS1_11comp_targetILNS1_3genE5ELNS1_11target_archE942ELNS1_3gpuE9ELNS1_3repE0EEENS1_30default_config_static_selectorELNS0_4arch9wavefront6targetE1EEEvT1_: ; @_ZN7rocprim17ROCPRIM_400000_NS6detail17trampoline_kernelINS0_14default_configENS1_35adjacent_difference_config_selectorILb1ElEEZNS1_24adjacent_difference_implIS3_Lb1ELb0EPlS7_ZN2at6native12_GLOBAL__N_124unique_dim_cuda_templateIlEESt5tupleIJNS8_6TensorESD_SD_EERKSD_lbbbEUlllE1_EE10hipError_tPvRmT2_T3_mT4_P12ihipStream_tbEUlT_E_NS1_11comp_targetILNS1_3genE5ELNS1_11target_archE942ELNS1_3gpuE9ELNS1_3repE0EEENS1_30default_config_static_selectorELNS0_4arch9wavefront6targetE1EEEvT1_
; %bb.0:
	.section	.rodata,"a",@progbits
	.p2align	6, 0x0
	.amdhsa_kernel _ZN7rocprim17ROCPRIM_400000_NS6detail17trampoline_kernelINS0_14default_configENS1_35adjacent_difference_config_selectorILb1ElEEZNS1_24adjacent_difference_implIS3_Lb1ELb0EPlS7_ZN2at6native12_GLOBAL__N_124unique_dim_cuda_templateIlEESt5tupleIJNS8_6TensorESD_SD_EERKSD_lbbbEUlllE1_EE10hipError_tPvRmT2_T3_mT4_P12ihipStream_tbEUlT_E_NS1_11comp_targetILNS1_3genE5ELNS1_11target_archE942ELNS1_3gpuE9ELNS1_3repE0EEENS1_30default_config_static_selectorELNS0_4arch9wavefront6targetE1EEEvT1_
		.amdhsa_group_segment_fixed_size 0
		.amdhsa_private_segment_fixed_size 0
		.amdhsa_kernarg_size 64
		.amdhsa_user_sgpr_count 6
		.amdhsa_user_sgpr_private_segment_buffer 1
		.amdhsa_user_sgpr_dispatch_ptr 0
		.amdhsa_user_sgpr_queue_ptr 0
		.amdhsa_user_sgpr_kernarg_segment_ptr 1
		.amdhsa_user_sgpr_dispatch_id 0
		.amdhsa_user_sgpr_flat_scratch_init 0
		.amdhsa_user_sgpr_kernarg_preload_length 0
		.amdhsa_user_sgpr_kernarg_preload_offset 0
		.amdhsa_user_sgpr_private_segment_size 0
		.amdhsa_uses_dynamic_stack 0
		.amdhsa_system_sgpr_private_segment_wavefront_offset 0
		.amdhsa_system_sgpr_workgroup_id_x 1
		.amdhsa_system_sgpr_workgroup_id_y 0
		.amdhsa_system_sgpr_workgroup_id_z 0
		.amdhsa_system_sgpr_workgroup_info 0
		.amdhsa_system_vgpr_workitem_id 0
		.amdhsa_next_free_vgpr 1
		.amdhsa_next_free_sgpr 0
		.amdhsa_accum_offset 4
		.amdhsa_reserve_vcc 0
		.amdhsa_reserve_flat_scratch 0
		.amdhsa_float_round_mode_32 0
		.amdhsa_float_round_mode_16_64 0
		.amdhsa_float_denorm_mode_32 3
		.amdhsa_float_denorm_mode_16_64 3
		.amdhsa_dx10_clamp 1
		.amdhsa_ieee_mode 1
		.amdhsa_fp16_overflow 0
		.amdhsa_tg_split 0
		.amdhsa_exception_fp_ieee_invalid_op 0
		.amdhsa_exception_fp_denorm_src 0
		.amdhsa_exception_fp_ieee_div_zero 0
		.amdhsa_exception_fp_ieee_overflow 0
		.amdhsa_exception_fp_ieee_underflow 0
		.amdhsa_exception_fp_ieee_inexact 0
		.amdhsa_exception_int_div_zero 0
	.end_amdhsa_kernel
	.section	.text._ZN7rocprim17ROCPRIM_400000_NS6detail17trampoline_kernelINS0_14default_configENS1_35adjacent_difference_config_selectorILb1ElEEZNS1_24adjacent_difference_implIS3_Lb1ELb0EPlS7_ZN2at6native12_GLOBAL__N_124unique_dim_cuda_templateIlEESt5tupleIJNS8_6TensorESD_SD_EERKSD_lbbbEUlllE1_EE10hipError_tPvRmT2_T3_mT4_P12ihipStream_tbEUlT_E_NS1_11comp_targetILNS1_3genE5ELNS1_11target_archE942ELNS1_3gpuE9ELNS1_3repE0EEENS1_30default_config_static_selectorELNS0_4arch9wavefront6targetE1EEEvT1_,"axG",@progbits,_ZN7rocprim17ROCPRIM_400000_NS6detail17trampoline_kernelINS0_14default_configENS1_35adjacent_difference_config_selectorILb1ElEEZNS1_24adjacent_difference_implIS3_Lb1ELb0EPlS7_ZN2at6native12_GLOBAL__N_124unique_dim_cuda_templateIlEESt5tupleIJNS8_6TensorESD_SD_EERKSD_lbbbEUlllE1_EE10hipError_tPvRmT2_T3_mT4_P12ihipStream_tbEUlT_E_NS1_11comp_targetILNS1_3genE5ELNS1_11target_archE942ELNS1_3gpuE9ELNS1_3repE0EEENS1_30default_config_static_selectorELNS0_4arch9wavefront6targetE1EEEvT1_,comdat
.Lfunc_end557:
	.size	_ZN7rocprim17ROCPRIM_400000_NS6detail17trampoline_kernelINS0_14default_configENS1_35adjacent_difference_config_selectorILb1ElEEZNS1_24adjacent_difference_implIS3_Lb1ELb0EPlS7_ZN2at6native12_GLOBAL__N_124unique_dim_cuda_templateIlEESt5tupleIJNS8_6TensorESD_SD_EERKSD_lbbbEUlllE1_EE10hipError_tPvRmT2_T3_mT4_P12ihipStream_tbEUlT_E_NS1_11comp_targetILNS1_3genE5ELNS1_11target_archE942ELNS1_3gpuE9ELNS1_3repE0EEENS1_30default_config_static_selectorELNS0_4arch9wavefront6targetE1EEEvT1_, .Lfunc_end557-_ZN7rocprim17ROCPRIM_400000_NS6detail17trampoline_kernelINS0_14default_configENS1_35adjacent_difference_config_selectorILb1ElEEZNS1_24adjacent_difference_implIS3_Lb1ELb0EPlS7_ZN2at6native12_GLOBAL__N_124unique_dim_cuda_templateIlEESt5tupleIJNS8_6TensorESD_SD_EERKSD_lbbbEUlllE1_EE10hipError_tPvRmT2_T3_mT4_P12ihipStream_tbEUlT_E_NS1_11comp_targetILNS1_3genE5ELNS1_11target_archE942ELNS1_3gpuE9ELNS1_3repE0EEENS1_30default_config_static_selectorELNS0_4arch9wavefront6targetE1EEEvT1_
                                        ; -- End function
	.section	.AMDGPU.csdata,"",@progbits
; Kernel info:
; codeLenInByte = 0
; NumSgprs: 4
; NumVgprs: 0
; NumAgprs: 0
; TotalNumVgprs: 0
; ScratchSize: 0
; MemoryBound: 0
; FloatMode: 240
; IeeeMode: 1
; LDSByteSize: 0 bytes/workgroup (compile time only)
; SGPRBlocks: 0
; VGPRBlocks: 0
; NumSGPRsForWavesPerEU: 4
; NumVGPRsForWavesPerEU: 1
; AccumOffset: 4
; Occupancy: 8
; WaveLimiterHint : 0
; COMPUTE_PGM_RSRC2:SCRATCH_EN: 0
; COMPUTE_PGM_RSRC2:USER_SGPR: 6
; COMPUTE_PGM_RSRC2:TRAP_HANDLER: 0
; COMPUTE_PGM_RSRC2:TGID_X_EN: 1
; COMPUTE_PGM_RSRC2:TGID_Y_EN: 0
; COMPUTE_PGM_RSRC2:TGID_Z_EN: 0
; COMPUTE_PGM_RSRC2:TIDIG_COMP_CNT: 0
; COMPUTE_PGM_RSRC3_GFX90A:ACCUM_OFFSET: 0
; COMPUTE_PGM_RSRC3_GFX90A:TG_SPLIT: 0
	.section	.text._ZN7rocprim17ROCPRIM_400000_NS6detail17trampoline_kernelINS0_14default_configENS1_35adjacent_difference_config_selectorILb1ElEEZNS1_24adjacent_difference_implIS3_Lb1ELb0EPlS7_ZN2at6native12_GLOBAL__N_124unique_dim_cuda_templateIlEESt5tupleIJNS8_6TensorESD_SD_EERKSD_lbbbEUlllE1_EE10hipError_tPvRmT2_T3_mT4_P12ihipStream_tbEUlT_E_NS1_11comp_targetILNS1_3genE4ELNS1_11target_archE910ELNS1_3gpuE8ELNS1_3repE0EEENS1_30default_config_static_selectorELNS0_4arch9wavefront6targetE1EEEvT1_,"axG",@progbits,_ZN7rocprim17ROCPRIM_400000_NS6detail17trampoline_kernelINS0_14default_configENS1_35adjacent_difference_config_selectorILb1ElEEZNS1_24adjacent_difference_implIS3_Lb1ELb0EPlS7_ZN2at6native12_GLOBAL__N_124unique_dim_cuda_templateIlEESt5tupleIJNS8_6TensorESD_SD_EERKSD_lbbbEUlllE1_EE10hipError_tPvRmT2_T3_mT4_P12ihipStream_tbEUlT_E_NS1_11comp_targetILNS1_3genE4ELNS1_11target_archE910ELNS1_3gpuE8ELNS1_3repE0EEENS1_30default_config_static_selectorELNS0_4arch9wavefront6targetE1EEEvT1_,comdat
	.globl	_ZN7rocprim17ROCPRIM_400000_NS6detail17trampoline_kernelINS0_14default_configENS1_35adjacent_difference_config_selectorILb1ElEEZNS1_24adjacent_difference_implIS3_Lb1ELb0EPlS7_ZN2at6native12_GLOBAL__N_124unique_dim_cuda_templateIlEESt5tupleIJNS8_6TensorESD_SD_EERKSD_lbbbEUlllE1_EE10hipError_tPvRmT2_T3_mT4_P12ihipStream_tbEUlT_E_NS1_11comp_targetILNS1_3genE4ELNS1_11target_archE910ELNS1_3gpuE8ELNS1_3repE0EEENS1_30default_config_static_selectorELNS0_4arch9wavefront6targetE1EEEvT1_ ; -- Begin function _ZN7rocprim17ROCPRIM_400000_NS6detail17trampoline_kernelINS0_14default_configENS1_35adjacent_difference_config_selectorILb1ElEEZNS1_24adjacent_difference_implIS3_Lb1ELb0EPlS7_ZN2at6native12_GLOBAL__N_124unique_dim_cuda_templateIlEESt5tupleIJNS8_6TensorESD_SD_EERKSD_lbbbEUlllE1_EE10hipError_tPvRmT2_T3_mT4_P12ihipStream_tbEUlT_E_NS1_11comp_targetILNS1_3genE4ELNS1_11target_archE910ELNS1_3gpuE8ELNS1_3repE0EEENS1_30default_config_static_selectorELNS0_4arch9wavefront6targetE1EEEvT1_
	.p2align	8
	.type	_ZN7rocprim17ROCPRIM_400000_NS6detail17trampoline_kernelINS0_14default_configENS1_35adjacent_difference_config_selectorILb1ElEEZNS1_24adjacent_difference_implIS3_Lb1ELb0EPlS7_ZN2at6native12_GLOBAL__N_124unique_dim_cuda_templateIlEESt5tupleIJNS8_6TensorESD_SD_EERKSD_lbbbEUlllE1_EE10hipError_tPvRmT2_T3_mT4_P12ihipStream_tbEUlT_E_NS1_11comp_targetILNS1_3genE4ELNS1_11target_archE910ELNS1_3gpuE8ELNS1_3repE0EEENS1_30default_config_static_selectorELNS0_4arch9wavefront6targetE1EEEvT1_,@function
_ZN7rocprim17ROCPRIM_400000_NS6detail17trampoline_kernelINS0_14default_configENS1_35adjacent_difference_config_selectorILb1ElEEZNS1_24adjacent_difference_implIS3_Lb1ELb0EPlS7_ZN2at6native12_GLOBAL__N_124unique_dim_cuda_templateIlEESt5tupleIJNS8_6TensorESD_SD_EERKSD_lbbbEUlllE1_EE10hipError_tPvRmT2_T3_mT4_P12ihipStream_tbEUlT_E_NS1_11comp_targetILNS1_3genE4ELNS1_11target_archE910ELNS1_3gpuE8ELNS1_3repE0EEENS1_30default_config_static_selectorELNS0_4arch9wavefront6targetE1EEEvT1_: ; @_ZN7rocprim17ROCPRIM_400000_NS6detail17trampoline_kernelINS0_14default_configENS1_35adjacent_difference_config_selectorILb1ElEEZNS1_24adjacent_difference_implIS3_Lb1ELb0EPlS7_ZN2at6native12_GLOBAL__N_124unique_dim_cuda_templateIlEESt5tupleIJNS8_6TensorESD_SD_EERKSD_lbbbEUlllE1_EE10hipError_tPvRmT2_T3_mT4_P12ihipStream_tbEUlT_E_NS1_11comp_targetILNS1_3genE4ELNS1_11target_archE910ELNS1_3gpuE8ELNS1_3repE0EEENS1_30default_config_static_selectorELNS0_4arch9wavefront6targetE1EEEvT1_
; %bb.0:
	s_load_dwordx16 s[8:23], s[4:5], 0x0
	s_mov_b32 s3, 0
	s_waitcnt lgkmcnt(0)
	s_lshl_b64 s[10:11], s[10:11], 3
	s_add_u32 s30, s8, s10
	s_addc_u32 s31, s9, s11
	s_lshl_b32 s8, s6, 10
	s_lshr_b64 s[0:1], s[14:15], 10
	s_and_b32 s2, s14, 0x3ff
	s_cmp_lg_u64 s[2:3], 0
	s_cselect_b64 s[4:5], -1, 0
	v_cndmask_b32_e64 v1, 0, 1, s[4:5]
	v_readfirstlane_b32 s2, v1
	s_add_u32 s26, s0, s2
	s_addc_u32 s27, s1, 0
	s_add_u32 s28, s22, s6
	s_addc_u32 s29, s23, 0
	s_mov_b32 s2, s6
	s_add_u32 s6, s26, -1
	s_addc_u32 s7, s27, -1
	v_pk_mov_b32 v[2:3], s[6:7], s[6:7] op_sel:[0,1]
	v_cmp_ge_u64_e64 s[0:1], s[28:29], v[2:3]
	s_mov_b64 s[4:5], -1
	s_and_b64 vcc, exec, s[0:1]
	s_cbranch_vccz .LBB558_6
; %bb.1:
	s_lshl_b32 s4, s6, 10
	s_mov_b32 s9, s3
	s_sub_i32 s15, s14, s4
	s_lshl_b64 s[4:5], s[8:9], 3
	s_add_u32 s4, s30, s4
	s_addc_u32 s5, s31, s5
	v_cmp_gt_u32_e32 vcc, s15, v0
                                        ; implicit-def: $vgpr2_vgpr3_vgpr4_vgpr5
	s_and_saveexec_b64 s[24:25], vcc
	s_cbranch_execz .LBB558_3
; %bb.2:
	v_lshlrev_b32_e32 v1, 3, v0
	global_load_dwordx2 v[2:3], v1, s[4:5]
.LBB558_3:
	s_or_b64 exec, exec, s[24:25]
	v_or_b32_e32 v1, 0x200, v0
	v_cmp_gt_u32_e32 vcc, s15, v1
	s_and_saveexec_b64 s[24:25], vcc
	s_cbranch_execz .LBB558_5
; %bb.4:
	v_lshlrev_b32_e32 v4, 3, v1
	global_load_dwordx2 v[4:5], v4, s[4:5]
.LBB558_5:
	s_or_b64 exec, exec, s[24:25]
	v_lshrrev_b32_e32 v6, 2, v0
	v_lshrrev_b32_e32 v1, 2, v1
	v_and_b32_e32 v6, 0x78, v6
	v_lshlrev_b32_e32 v7, 3, v0
	v_and_b32_e32 v1, 0xf8, v1
	v_add_u32_e32 v6, v6, v7
	v_add_u32_e32 v1, v1, v7
	s_mov_b64 s[4:5], 0
	s_waitcnt vmcnt(0)
	ds_write_b64 v6, v[2:3]
	ds_write_b64 v1, v[4:5] offset:4096
	s_waitcnt lgkmcnt(0)
	s_barrier
.LBB558_6:
	s_and_b64 vcc, exec, s[4:5]
	v_lshlrev_b32_e32 v1, 3, v0
	s_cbranch_vccz .LBB558_8
; %bb.7:
	s_mov_b32 s9, 0
	s_lshl_b64 s[4:5], s[8:9], 3
	s_add_u32 s4, s30, s4
	s_addc_u32 s5, s31, s5
	v_mov_b32_e32 v2, s5
	v_add_co_u32_e32 v3, vcc, s4, v1
	v_addc_co_u32_e32 v4, vcc, 0, v2, vcc
	v_add_co_u32_e32 v2, vcc, 0x1000, v3
	v_addc_co_u32_e32 v3, vcc, 0, v4, vcc
	global_load_dwordx2 v[4:5], v1, s[4:5]
	global_load_dwordx2 v[6:7], v[2:3], off
	v_lshrrev_b32_e32 v2, 2, v0
	v_or_b32_e32 v3, 0x200, v0
	v_and_b32_e32 v2, 0x78, v2
	v_lshrrev_b32_e32 v3, 2, v3
	v_add_u32_e32 v2, v2, v1
	v_and_b32_e32 v3, 0xf8, v3
	v_add_u32_e32 v3, v3, v1
	s_waitcnt vmcnt(1)
	ds_write_b64 v2, v[4:5]
	s_waitcnt vmcnt(0)
	ds_write_b64 v3, v[6:7] offset:4096
	s_waitcnt lgkmcnt(0)
	s_barrier
.LBB558_8:
	v_lshlrev_b32_e32 v2, 1, v0
	v_lshrrev_b32_e32 v3, 4, v0
	v_add_lshl_u32 v2, v3, v2, 3
	ds_read2_b64 v[2:5], v2 offset1:1
	s_cmp_eq_u64 s[28:29], 0
	s_mov_b64 s[24:25], 0
	s_waitcnt lgkmcnt(0)
	s_barrier
	s_cbranch_scc1 .LBB558_17
; %bb.9:
	s_lshl_b64 s[4:5], s[22:23], 3
	s_add_u32 s4, s20, s4
	s_addc_u32 s5, s21, s5
	s_lshl_b64 s[2:3], s[2:3], 3
	s_add_u32 s2, s4, s2
	s_addc_u32 s3, s5, s3
	s_add_u32 s2, s2, -8
	s_addc_u32 s3, s3, -1
	s_load_dwordx2 s[20:21], s[2:3], 0x0
	s_cmp_lg_u64 s[28:29], s[6:7]
	s_cbranch_scc0 .LBB558_18
; %bb.10:
	v_cmp_lt_i64_e64 s[2:3], s[16:17], 1
	v_pk_mov_b32 v[8:9], 0, 0
	v_cmp_gt_i64_e64 s[22:23], s[16:17], 0
	s_and_b64 vcc, exec, s[2:3]
	ds_write_b64 v1, v[4:5]
	s_cbranch_vccnz .LBB558_21
; %bb.11:
	v_mul_lo_u32 v8, v5, s16
	v_mul_lo_u32 v9, v4, s17
	v_mad_u64_u32 v[6:7], s[2:3], v4, s16, 0
	v_add3_u32 v7, v7, v9, v8
	v_mul_lo_u32 v10, v3, s16
	v_mul_lo_u32 v11, v2, s17
	v_mad_u64_u32 v[8:9], s[2:3], v2, s16, 0
	v_add3_u32 v9, v9, v11, v10
	v_lshlrev_b64 v[10:11], 3, v[6:7]
	v_mov_b32_e32 v6, s19
	v_add_co_u32_e32 v12, vcc, s18, v10
	v_addc_co_u32_e64 v13, s[2:3], v6, v11, vcc
	v_lshlrev_b64 v[6:7], 3, v[8:9]
	v_mov_b32_e32 v8, s19
	v_add_co_u32_e64 v14, s[2:3], s18, v6
	v_addc_co_u32_e64 v15, s[4:5], v8, v7, s[2:3]
	global_load_dwordx2 v[8:9], v[12:13], off
	global_load_dwordx2 v[16:17], v[14:15], off
	s_waitcnt vmcnt(0)
	v_cmp_eq_u64_e64 s[4:5], v[8:9], v[16:17]
	v_mov_b32_e32 v8, 1
	v_mov_b32_e32 v9, 0
	s_and_saveexec_b64 s[24:25], s[4:5]
	s_cbranch_execz .LBB558_20
; %bb.12:
	v_mov_b32_e32 v6, s19
	v_addc_co_u32_e64 v7, s[2:3], v7, v6, s[2:3]
	v_add_co_u32_e64 v6, s[2:3], 8, v14
	v_mov_b32_e32 v8, s19
	v_addc_co_u32_e64 v7, s[2:3], 0, v7, s[2:3]
	v_addc_co_u32_e32 v9, vcc, v11, v8, vcc
	v_add_co_u32_e32 v8, vcc, 8, v12
	s_add_u32 s2, s16, -1
	v_addc_co_u32_e32 v9, vcc, 0, v9, vcc
	s_addc_u32 s3, s17, -1
	s_mov_b64 s[4:5], 0
	s_mov_b64 s[34:35], 0
                                        ; implicit-def: $sgpr30_sgpr31
	s_branch .LBB558_15
.LBB558_13:                             ;   in Loop: Header=BB558_15 Depth=1
	global_load_dwordx2 v[10:11], v[8:9], off
	global_load_dwordx2 v[12:13], v[6:7], off
	v_add_co_u32_e32 v6, vcc, 8, v6
	v_addc_co_u32_e32 v7, vcc, 0, v7, vcc
	v_add_co_u32_e32 v8, vcc, 8, v8
	v_addc_co_u32_e32 v9, vcc, 0, v9, vcc
	s_add_u32 s34, s34, 1
	s_addc_u32 s35, s35, 0
	s_andn2_b64 s[30:31], s[30:31], exec
	s_waitcnt vmcnt(0)
	v_cmp_ne_u64_e32 vcc, v[10:11], v[12:13]
	s_and_b64 s[36:37], vcc, exec
	s_or_b64 s[30:31], s[30:31], s[36:37]
.LBB558_14:                             ;   in Loop: Header=BB558_15 Depth=1
	s_and_b64 s[36:37], exec, s[30:31]
	s_or_b64 s[4:5], s[36:37], s[4:5]
	v_pk_mov_b32 v[10:11], s[34:35], s[34:35] op_sel:[0,1]
	s_andn2_b64 exec, exec, s[4:5]
	s_cbranch_execz .LBB558_19
.LBB558_15:                             ; =>This Inner Loop Header: Depth=1
	s_or_b64 s[30:31], s[30:31], exec
	s_cmp_eq_u64 s[2:3], s[34:35]
	s_cbranch_scc0 .LBB558_13
; %bb.16:                               ;   in Loop: Header=BB558_15 Depth=1
                                        ; implicit-def: $vgpr6_vgpr7
                                        ; implicit-def: $vgpr8_vgpr9
	s_mov_b64 s[34:35], s[16:17]
	s_branch .LBB558_14
.LBB558_17:
                                        ; implicit-def: $sgpr22_sgpr23
                                        ; implicit-def: $vgpr8_vgpr9
	s_cbranch_execnz .LBB558_60
	s_branch .LBB558_108
.LBB558_18:
                                        ; implicit-def: $sgpr22_sgpr23
                                        ; implicit-def: $vgpr8_vgpr9
	s_cbranch_execnz .LBB558_33
	s_branch .LBB558_59
.LBB558_19:
	s_or_b64 exec, exec, s[4:5]
	v_cmp_gt_i64_e32 vcc, s[16:17], v[10:11]
	s_mov_b32 s2, 0
	v_cndmask_b32_e64 v8, 0, 1, vcc
	v_mov_b32_e32 v9, s2
.LBB558_20:
	s_or_b64 exec, exec, s[24:25]
.LBB558_21:
	v_cmp_ne_u32_e32 vcc, 0, v0
	s_waitcnt lgkmcnt(0)
	v_pk_mov_b32 v[6:7], s[20:21], s[20:21] op_sel:[0,1]
	s_barrier
	s_and_saveexec_b64 s[2:3], vcc
	s_cbranch_execz .LBB558_23
; %bb.22:
	v_add_u32_e32 v6, -8, v1
	ds_read_b64 v[6:7], v6
.LBB558_23:
	s_or_b64 exec, exec, s[2:3]
	s_mov_b64 s[30:31], 0
	s_andn2_b64 vcc, exec, s[22:23]
	s_mov_b64 s[22:23], 0
	s_cbranch_vccnz .LBB558_32
; %bb.24:
	v_mul_lo_u32 v12, v3, s16
	v_mul_lo_u32 v13, v2, s17
	v_mad_u64_u32 v[10:11], s[2:3], v2, s16, 0
	v_add3_u32 v11, v11, v13, v12
	s_waitcnt lgkmcnt(0)
	v_mul_lo_u32 v12, v7, s16
	v_mul_lo_u32 v13, v6, s17
	v_mad_u64_u32 v[6:7], s[2:3], v6, s16, 0
	v_lshlrev_b64 v[10:11], 3, v[10:11]
	v_add3_u32 v7, v7, v13, v12
	v_mov_b32_e32 v13, s19
	v_add_co_u32_e32 v12, vcc, s18, v10
	v_addc_co_u32_e64 v13, s[2:3], v13, v11, vcc
	v_lshlrev_b64 v[6:7], 3, v[6:7]
	v_mov_b32_e32 v10, s19
	v_add_co_u32_e64 v14, s[2:3], s18, v6
	v_addc_co_u32_e64 v15, s[4:5], v10, v7, s[2:3]
	global_load_dwordx2 v[16:17], v[12:13], off
	global_load_dwordx2 v[18:19], v[14:15], off
	s_mov_b64 s[22:23], -1
	s_waitcnt vmcnt(0)
	v_cmp_eq_u64_e64 s[4:5], v[16:17], v[18:19]
	s_and_saveexec_b64 s[24:25], s[4:5]
	s_cbranch_execz .LBB558_31
; %bb.25:
	v_mov_b32_e32 v6, s19
	v_addc_co_u32_e64 v7, s[2:3], v7, v6, s[2:3]
	v_add_co_u32_e64 v6, s[2:3], 8, v14
	v_mov_b32_e32 v10, s19
	v_addc_co_u32_e64 v7, s[2:3], 0, v7, s[2:3]
	v_addc_co_u32_e32 v11, vcc, v11, v10, vcc
	v_add_co_u32_e32 v10, vcc, 8, v12
	s_add_u32 s2, s16, -1
	v_addc_co_u32_e32 v11, vcc, 0, v11, vcc
	s_addc_u32 s3, s17, -1
	s_mov_b64 s[4:5], 0
	s_mov_b64 s[34:35], 0
                                        ; implicit-def: $sgpr22_sgpr23
	s_branch .LBB558_28
.LBB558_26:                             ;   in Loop: Header=BB558_28 Depth=1
	global_load_dwordx2 v[12:13], v[10:11], off
	global_load_dwordx2 v[14:15], v[6:7], off
	v_add_co_u32_e32 v6, vcc, 8, v6
	v_addc_co_u32_e32 v7, vcc, 0, v7, vcc
	v_add_co_u32_e32 v10, vcc, 8, v10
	v_addc_co_u32_e32 v11, vcc, 0, v11, vcc
	s_add_u32 s34, s34, 1
	s_addc_u32 s35, s35, 0
	s_andn2_b64 s[22:23], s[22:23], exec
	s_waitcnt vmcnt(0)
	v_cmp_ne_u64_e32 vcc, v[12:13], v[14:15]
	s_and_b64 s[36:37], vcc, exec
	s_or_b64 s[22:23], s[22:23], s[36:37]
.LBB558_27:                             ;   in Loop: Header=BB558_28 Depth=1
	s_and_b64 s[36:37], exec, s[22:23]
	s_or_b64 s[4:5], s[36:37], s[4:5]
	v_pk_mov_b32 v[12:13], s[34:35], s[34:35] op_sel:[0,1]
	s_andn2_b64 exec, exec, s[4:5]
	s_cbranch_execz .LBB558_30
.LBB558_28:                             ; =>This Inner Loop Header: Depth=1
	s_or_b64 s[22:23], s[22:23], exec
	s_cmp_eq_u64 s[2:3], s[34:35]
	s_cbranch_scc0 .LBB558_26
; %bb.29:                               ;   in Loop: Header=BB558_28 Depth=1
                                        ; implicit-def: $vgpr6_vgpr7
                                        ; implicit-def: $vgpr10_vgpr11
	s_mov_b64 s[34:35], s[16:17]
	s_branch .LBB558_27
.LBB558_30:
	s_or_b64 exec, exec, s[4:5]
	v_cmp_gt_i64_e32 vcc, s[16:17], v[12:13]
	s_orn2_b64 s[22:23], vcc, exec
.LBB558_31:
	s_or_b64 exec, exec, s[24:25]
.LBB558_32:
	s_mov_b64 s[24:25], -1
	s_and_b64 vcc, exec, s[30:31]
	s_cbranch_vccz .LBB558_59
.LBB558_33:
	s_lshl_b32 s2, s28, 10
	v_lshlrev_b32_e32 v16, 1, v0
	s_sub_i32 s7, s14, s2
	s_waitcnt lgkmcnt(0)
	v_or_b32_e32 v6, 1, v16
	v_cmp_gt_u32_e32 vcc, s7, v6
	v_pk_mov_b32 v[8:9], v[4:5], v[4:5] op_sel:[0,1]
	ds_write_b64 v1, v[4:5]
	v_pk_mov_b32 v[6:7], v[2:3], v[2:3] op_sel:[0,1]
	s_and_saveexec_b64 s[22:23], vcc
	s_cbranch_execz .LBB558_44
; %bb.34:
	v_cmp_lt_i64_e64 s[2:3], s[16:17], 1
	s_and_b64 vcc, exec, s[2:3]
	s_cbranch_vccnz .LBB558_41
; %bb.35:
	v_mul_lo_u32 v8, v5, s16
	v_mul_lo_u32 v9, v4, s17
	v_mad_u64_u32 v[6:7], s[2:3], v4, s16, 0
	v_add3_u32 v7, v7, v9, v8
	v_mul_lo_u32 v10, v3, s16
	v_mul_lo_u32 v11, v2, s17
	v_mad_u64_u32 v[8:9], s[2:3], v2, s16, 0
	v_add3_u32 v9, v9, v11, v10
	v_lshlrev_b64 v[10:11], 3, v[6:7]
	v_mov_b32_e32 v6, s19
	v_add_co_u32_e32 v12, vcc, s18, v10
	v_addc_co_u32_e64 v13, s[2:3], v6, v11, vcc
	v_lshlrev_b64 v[6:7], 3, v[8:9]
	v_mov_b32_e32 v8, s19
	v_add_co_u32_e64 v14, s[2:3], s18, v6
	v_addc_co_u32_e64 v15, s[4:5], v8, v7, s[2:3]
	global_load_dwordx2 v[8:9], v[12:13], off
	global_load_dwordx2 v[18:19], v[14:15], off
	s_waitcnt vmcnt(0)
	v_cmp_eq_u64_e64 s[4:5], v[8:9], v[18:19]
	v_mov_b32_e32 v8, 1
	v_mov_b32_e32 v9, 0
	s_and_saveexec_b64 s[28:29], s[4:5]
	s_cbranch_execz .LBB558_43
; %bb.36:
	v_mov_b32_e32 v6, s19
	v_addc_co_u32_e64 v7, s[2:3], v7, v6, s[2:3]
	v_add_co_u32_e64 v6, s[2:3], 8, v14
	v_mov_b32_e32 v8, s19
	v_addc_co_u32_e64 v7, s[2:3], 0, v7, s[2:3]
	v_addc_co_u32_e32 v9, vcc, v11, v8, vcc
	v_add_co_u32_e32 v8, vcc, 8, v12
	s_add_u32 s2, s16, -1
	v_addc_co_u32_e32 v9, vcc, 0, v9, vcc
	s_addc_u32 s3, s17, -1
	s_mov_b64 s[4:5], 0
	s_mov_b64 s[34:35], 0
                                        ; implicit-def: $sgpr30_sgpr31
	s_branch .LBB558_39
.LBB558_37:                             ;   in Loop: Header=BB558_39 Depth=1
	global_load_dwordx2 v[10:11], v[8:9], off
	global_load_dwordx2 v[12:13], v[6:7], off
	v_add_co_u32_e32 v6, vcc, 8, v6
	v_addc_co_u32_e32 v7, vcc, 0, v7, vcc
	v_add_co_u32_e32 v8, vcc, 8, v8
	v_addc_co_u32_e32 v9, vcc, 0, v9, vcc
	s_add_u32 s34, s34, 1
	s_addc_u32 s35, s35, 0
	s_andn2_b64 s[30:31], s[30:31], exec
	s_waitcnt vmcnt(0)
	v_cmp_ne_u64_e32 vcc, v[10:11], v[12:13]
	s_and_b64 s[36:37], vcc, exec
	s_or_b64 s[30:31], s[30:31], s[36:37]
.LBB558_38:                             ;   in Loop: Header=BB558_39 Depth=1
	s_and_b64 s[36:37], exec, s[30:31]
	s_or_b64 s[4:5], s[36:37], s[4:5]
	v_pk_mov_b32 v[10:11], s[34:35], s[34:35] op_sel:[0,1]
	s_andn2_b64 exec, exec, s[4:5]
	s_cbranch_execz .LBB558_42
.LBB558_39:                             ; =>This Inner Loop Header: Depth=1
	s_or_b64 s[30:31], s[30:31], exec
	s_cmp_eq_u64 s[2:3], s[34:35]
	s_cbranch_scc0 .LBB558_37
; %bb.40:                               ;   in Loop: Header=BB558_39 Depth=1
                                        ; implicit-def: $vgpr6_vgpr7
                                        ; implicit-def: $vgpr8_vgpr9
	s_mov_b64 s[34:35], s[16:17]
	s_branch .LBB558_38
.LBB558_41:
	v_pk_mov_b32 v[8:9], 0, 0
	s_branch .LBB558_44
.LBB558_42:
	s_or_b64 exec, exec, s[4:5]
	v_cmp_gt_i64_e32 vcc, s[16:17], v[10:11]
	s_mov_b32 s2, 0
	v_cndmask_b32_e64 v8, 0, 1, vcc
	v_mov_b32_e32 v9, s2
.LBB558_43:
	s_or_b64 exec, exec, s[28:29]
.LBB558_44:
	s_or_b64 exec, exec, s[22:23]
	v_cmp_ne_u32_e32 vcc, 0, v0
	v_pk_mov_b32 v[6:7], s[20:21], s[20:21] op_sel:[0,1]
	s_waitcnt lgkmcnt(0)
	s_barrier
	s_and_saveexec_b64 s[2:3], vcc
	s_cbranch_execz .LBB558_46
; %bb.45:
	v_add_u32_e32 v6, -8, v1
	ds_read_b64 v[6:7], v6
.LBB558_46:
	s_or_b64 exec, exec, s[2:3]
	v_cmp_gt_u32_e32 vcc, s7, v16
                                        ; implicit-def: $sgpr22_sgpr23
	s_and_saveexec_b64 s[20:21], vcc
	s_cbranch_execz .LBB558_58
; %bb.47:
	v_cmp_lt_i64_e64 s[2:3], s[16:17], 1
	s_and_b64 vcc, exec, s[2:3]
	s_cbranch_vccnz .LBB558_54
; %bb.48:
	v_mul_lo_u32 v12, v3, s16
	v_mul_lo_u32 v13, v2, s17
	v_mad_u64_u32 v[10:11], s[2:3], v2, s16, 0
	v_add3_u32 v11, v11, v13, v12
	s_waitcnt lgkmcnt(0)
	v_mul_lo_u32 v12, v7, s16
	v_mul_lo_u32 v13, v6, s17
	v_mad_u64_u32 v[6:7], s[2:3], v6, s16, 0
	v_lshlrev_b64 v[10:11], 3, v[10:11]
	v_add3_u32 v7, v7, v13, v12
	v_mov_b32_e32 v13, s19
	v_add_co_u32_e32 v12, vcc, s18, v10
	v_addc_co_u32_e64 v13, s[2:3], v13, v11, vcc
	v_lshlrev_b64 v[6:7], 3, v[6:7]
	v_mov_b32_e32 v10, s19
	v_add_co_u32_e64 v14, s[2:3], s18, v6
	v_addc_co_u32_e64 v15, s[4:5], v10, v7, s[2:3]
	global_load_dwordx2 v[16:17], v[12:13], off
	global_load_dwordx2 v[18:19], v[14:15], off
	s_mov_b64 s[28:29], -1
	s_waitcnt vmcnt(0)
	v_cmp_eq_u64_e64 s[4:5], v[16:17], v[18:19]
	s_and_saveexec_b64 s[22:23], s[4:5]
	s_cbranch_execz .LBB558_56
; %bb.49:
	v_mov_b32_e32 v6, s19
	v_addc_co_u32_e64 v7, s[2:3], v7, v6, s[2:3]
	v_add_co_u32_e64 v6, s[2:3], 8, v14
	v_mov_b32_e32 v10, s19
	v_addc_co_u32_e64 v7, s[2:3], 0, v7, s[2:3]
	v_addc_co_u32_e32 v11, vcc, v11, v10, vcc
	v_add_co_u32_e32 v10, vcc, 8, v12
	s_add_u32 s2, s16, -1
	v_addc_co_u32_e32 v11, vcc, 0, v11, vcc
	s_addc_u32 s3, s17, -1
	s_mov_b64 s[4:5], 0
	s_mov_b64 s[30:31], 0
                                        ; implicit-def: $sgpr28_sgpr29
	s_branch .LBB558_52
.LBB558_50:                             ;   in Loop: Header=BB558_52 Depth=1
	global_load_dwordx2 v[12:13], v[10:11], off
	global_load_dwordx2 v[14:15], v[6:7], off
	v_add_co_u32_e32 v6, vcc, 8, v6
	v_addc_co_u32_e32 v7, vcc, 0, v7, vcc
	v_add_co_u32_e32 v10, vcc, 8, v10
	v_addc_co_u32_e32 v11, vcc, 0, v11, vcc
	s_add_u32 s30, s30, 1
	s_addc_u32 s31, s31, 0
	s_andn2_b64 s[28:29], s[28:29], exec
	s_waitcnt vmcnt(0)
	v_cmp_ne_u64_e32 vcc, v[12:13], v[14:15]
	s_and_b64 s[34:35], vcc, exec
	s_or_b64 s[28:29], s[28:29], s[34:35]
.LBB558_51:                             ;   in Loop: Header=BB558_52 Depth=1
	s_and_b64 s[34:35], exec, s[28:29]
	s_or_b64 s[4:5], s[34:35], s[4:5]
	v_pk_mov_b32 v[12:13], s[30:31], s[30:31] op_sel:[0,1]
	s_andn2_b64 exec, exec, s[4:5]
	s_cbranch_execz .LBB558_55
.LBB558_52:                             ; =>This Inner Loop Header: Depth=1
	s_or_b64 s[28:29], s[28:29], exec
	s_cmp_eq_u64 s[2:3], s[30:31]
	s_cbranch_scc0 .LBB558_50
; %bb.53:                               ;   in Loop: Header=BB558_52 Depth=1
                                        ; implicit-def: $vgpr6_vgpr7
                                        ; implicit-def: $vgpr10_vgpr11
	s_mov_b64 s[30:31], s[16:17]
	s_branch .LBB558_51
.LBB558_54:
	s_mov_b64 s[28:29], 0
	s_branch .LBB558_57
.LBB558_55:
	s_or_b64 exec, exec, s[4:5]
	v_cmp_gt_i64_e32 vcc, s[16:17], v[12:13]
	s_orn2_b64 s[28:29], vcc, exec
.LBB558_56:
	s_or_b64 exec, exec, s[22:23]
.LBB558_57:
	s_and_b64 s[22:23], s[28:29], exec
	s_or_b64 s[24:25], s[24:25], exec
.LBB558_58:
	s_or_b64 exec, exec, s[20:21]
.LBB558_59:
	s_branch .LBB558_108
.LBB558_60:
	s_cmp_lg_u64 s[26:27], 1
	s_cbranch_scc0 .LBB558_68
; %bb.61:
	v_cmp_lt_i64_e64 s[2:3], s[16:17], 1
	v_pk_mov_b32 v[8:9], 0, 0
	v_cmp_gt_i64_e64 s[26:27], s[16:17], 0
	s_and_b64 vcc, exec, s[2:3]
	ds_write_b64 v1, v[4:5]
	s_cbranch_vccnz .LBB558_71
; %bb.62:
	v_mul_lo_u32 v8, v5, s16
	v_mul_lo_u32 v9, v4, s17
	s_waitcnt lgkmcnt(0)
	v_mad_u64_u32 v[6:7], s[2:3], v4, s16, 0
	v_add3_u32 v7, v7, v9, v8
	v_mul_lo_u32 v10, v3, s16
	v_mul_lo_u32 v11, v2, s17
	v_mad_u64_u32 v[8:9], s[2:3], v2, s16, 0
	v_add3_u32 v9, v9, v11, v10
	v_lshlrev_b64 v[10:11], 3, v[6:7]
	v_mov_b32_e32 v6, s19
	v_add_co_u32_e32 v12, vcc, s18, v10
	v_addc_co_u32_e64 v13, s[2:3], v6, v11, vcc
	v_lshlrev_b64 v[6:7], 3, v[8:9]
	v_mov_b32_e32 v8, s19
	v_add_co_u32_e64 v14, s[2:3], s18, v6
	v_addc_co_u32_e64 v15, s[4:5], v8, v7, s[2:3]
	global_load_dwordx2 v[8:9], v[12:13], off
	global_load_dwordx2 v[16:17], v[14:15], off
	s_waitcnt vmcnt(0)
	v_cmp_eq_u64_e64 s[4:5], v[8:9], v[16:17]
	v_mov_b32_e32 v8, 1
	v_mov_b32_e32 v9, 0
	s_and_saveexec_b64 s[20:21], s[4:5]
	s_cbranch_execz .LBB558_70
; %bb.63:
	v_mov_b32_e32 v6, s19
	v_addc_co_u32_e64 v7, s[2:3], v7, v6, s[2:3]
	v_add_co_u32_e64 v6, s[2:3], 8, v14
	v_mov_b32_e32 v8, s19
	v_addc_co_u32_e64 v7, s[2:3], 0, v7, s[2:3]
	v_addc_co_u32_e32 v9, vcc, v11, v8, vcc
	v_add_co_u32_e32 v8, vcc, 8, v12
	s_add_u32 s2, s16, -1
	v_addc_co_u32_e32 v9, vcc, 0, v9, vcc
	s_addc_u32 s3, s17, -1
	s_mov_b64 s[4:5], 0
	s_mov_b64 s[28:29], 0
                                        ; implicit-def: $sgpr22_sgpr23
	s_branch .LBB558_66
.LBB558_64:                             ;   in Loop: Header=BB558_66 Depth=1
	global_load_dwordx2 v[10:11], v[8:9], off
	global_load_dwordx2 v[12:13], v[6:7], off
	v_add_co_u32_e32 v6, vcc, 8, v6
	v_addc_co_u32_e32 v7, vcc, 0, v7, vcc
	v_add_co_u32_e32 v8, vcc, 8, v8
	v_addc_co_u32_e32 v9, vcc, 0, v9, vcc
	s_add_u32 s28, s28, 1
	s_addc_u32 s29, s29, 0
	s_andn2_b64 s[22:23], s[22:23], exec
	s_waitcnt vmcnt(0)
	v_cmp_ne_u64_e32 vcc, v[10:11], v[12:13]
	s_and_b64 s[30:31], vcc, exec
	s_or_b64 s[22:23], s[22:23], s[30:31]
.LBB558_65:                             ;   in Loop: Header=BB558_66 Depth=1
	s_and_b64 s[30:31], exec, s[22:23]
	s_or_b64 s[4:5], s[30:31], s[4:5]
	v_pk_mov_b32 v[10:11], s[28:29], s[28:29] op_sel:[0,1]
	s_andn2_b64 exec, exec, s[4:5]
	s_cbranch_execz .LBB558_69
.LBB558_66:                             ; =>This Inner Loop Header: Depth=1
	s_or_b64 s[22:23], s[22:23], exec
	s_cmp_eq_u64 s[2:3], s[28:29]
	s_cbranch_scc0 .LBB558_64
; %bb.67:                               ;   in Loop: Header=BB558_66 Depth=1
                                        ; implicit-def: $vgpr6_vgpr7
                                        ; implicit-def: $vgpr8_vgpr9
	s_mov_b64 s[28:29], s[16:17]
	s_branch .LBB558_65
.LBB558_68:
                                        ; implicit-def: $sgpr22_sgpr23
                                        ; implicit-def: $vgpr8_vgpr9
	s_cbranch_execnz .LBB558_84
	s_branch .LBB558_108
.LBB558_69:
	s_or_b64 exec, exec, s[4:5]
	v_cmp_gt_i64_e32 vcc, s[16:17], v[10:11]
	s_mov_b32 s2, 0
	v_cndmask_b32_e64 v8, 0, 1, vcc
	v_mov_b32_e32 v9, s2
.LBB558_70:
	s_or_b64 exec, exec, s[20:21]
.LBB558_71:
	v_cmp_ne_u32_e32 vcc, 0, v0
	s_waitcnt lgkmcnt(0)
	s_barrier
	s_waitcnt lgkmcnt(0)
                                        ; implicit-def: $sgpr22_sgpr23
	s_and_saveexec_b64 s[20:21], vcc
	s_cbranch_execz .LBB558_83
; %bb.72:
	s_andn2_b64 vcc, exec, s[26:27]
	s_cbranch_vccnz .LBB558_79
; %bb.73:
	v_add_u32_e32 v6, -8, v1
	ds_read_b64 v[6:7], v6
	v_mul_lo_u32 v12, v3, s16
	v_mul_lo_u32 v13, v2, s17
	v_mad_u64_u32 v[10:11], s[2:3], v2, s16, 0
	v_add3_u32 v11, v11, v13, v12
	s_waitcnt lgkmcnt(0)
	v_mul_lo_u32 v12, v7, s16
	v_mul_lo_u32 v13, v6, s17
	v_mad_u64_u32 v[6:7], s[2:3], v6, s16, 0
	v_lshlrev_b64 v[10:11], 3, v[10:11]
	v_add3_u32 v7, v7, v13, v12
	v_mov_b32_e32 v13, s19
	v_add_co_u32_e32 v12, vcc, s18, v10
	v_addc_co_u32_e64 v13, s[2:3], v13, v11, vcc
	v_lshlrev_b64 v[6:7], 3, v[6:7]
	v_mov_b32_e32 v10, s19
	v_add_co_u32_e64 v14, s[2:3], s18, v6
	v_addc_co_u32_e64 v15, s[4:5], v10, v7, s[2:3]
	global_load_dwordx2 v[16:17], v[12:13], off
	global_load_dwordx2 v[18:19], v[14:15], off
	s_mov_b64 s[26:27], -1
	s_waitcnt vmcnt(0)
	v_cmp_eq_u64_e64 s[4:5], v[16:17], v[18:19]
	s_and_saveexec_b64 s[22:23], s[4:5]
	s_cbranch_execz .LBB558_81
; %bb.74:
	v_mov_b32_e32 v6, s19
	v_addc_co_u32_e64 v7, s[2:3], v7, v6, s[2:3]
	v_add_co_u32_e64 v6, s[2:3], 8, v14
	v_mov_b32_e32 v10, s19
	v_addc_co_u32_e64 v7, s[2:3], 0, v7, s[2:3]
	v_addc_co_u32_e32 v11, vcc, v11, v10, vcc
	v_add_co_u32_e32 v10, vcc, 8, v12
	s_add_u32 s2, s16, -1
	v_addc_co_u32_e32 v11, vcc, 0, v11, vcc
	s_addc_u32 s3, s17, -1
	s_mov_b64 s[4:5], 0
	s_mov_b64 s[28:29], 0
                                        ; implicit-def: $sgpr26_sgpr27
	s_branch .LBB558_77
.LBB558_75:                             ;   in Loop: Header=BB558_77 Depth=1
	global_load_dwordx2 v[12:13], v[10:11], off
	global_load_dwordx2 v[14:15], v[6:7], off
	v_add_co_u32_e32 v6, vcc, 8, v6
	v_addc_co_u32_e32 v7, vcc, 0, v7, vcc
	v_add_co_u32_e32 v10, vcc, 8, v10
	v_addc_co_u32_e32 v11, vcc, 0, v11, vcc
	s_add_u32 s28, s28, 1
	s_addc_u32 s29, s29, 0
	s_andn2_b64 s[26:27], s[26:27], exec
	s_waitcnt vmcnt(0)
	v_cmp_ne_u64_e32 vcc, v[12:13], v[14:15]
	s_and_b64 s[30:31], vcc, exec
	s_or_b64 s[26:27], s[26:27], s[30:31]
.LBB558_76:                             ;   in Loop: Header=BB558_77 Depth=1
	s_and_b64 s[30:31], exec, s[26:27]
	s_or_b64 s[4:5], s[30:31], s[4:5]
	v_pk_mov_b32 v[12:13], s[28:29], s[28:29] op_sel:[0,1]
	s_andn2_b64 exec, exec, s[4:5]
	s_cbranch_execz .LBB558_80
.LBB558_77:                             ; =>This Inner Loop Header: Depth=1
	s_or_b64 s[26:27], s[26:27], exec
	s_cmp_eq_u64 s[2:3], s[28:29]
	s_cbranch_scc0 .LBB558_75
; %bb.78:                               ;   in Loop: Header=BB558_77 Depth=1
                                        ; implicit-def: $vgpr6_vgpr7
                                        ; implicit-def: $vgpr10_vgpr11
	s_mov_b64 s[28:29], s[16:17]
	s_branch .LBB558_76
.LBB558_79:
	s_mov_b64 s[26:27], 0
	s_branch .LBB558_82
.LBB558_80:
	s_or_b64 exec, exec, s[4:5]
	v_cmp_gt_i64_e32 vcc, s[16:17], v[12:13]
	s_orn2_b64 s[26:27], vcc, exec
.LBB558_81:
	s_or_b64 exec, exec, s[22:23]
.LBB558_82:
	s_and_b64 s[22:23], s[26:27], exec
	s_or_b64 s[24:25], s[24:25], exec
.LBB558_83:
	s_or_b64 exec, exec, s[20:21]
	s_branch .LBB558_108
.LBB558_84:
	v_lshlrev_b32_e32 v14, 1, v0
	s_waitcnt lgkmcnt(0)
	v_or_b32_e32 v6, 1, v14
	v_cmp_gt_u32_e32 vcc, s14, v6
	v_cmp_lt_i64_e64 s[20:21], s[16:17], 1
	v_pk_mov_b32 v[8:9], v[4:5], v[4:5] op_sel:[0,1]
	ds_write_b64 v1, v[4:5]
	v_pk_mov_b32 v[6:7], v[2:3], v[2:3] op_sel:[0,1]
	s_and_saveexec_b64 s[22:23], vcc
	s_cbranch_execz .LBB558_95
; %bb.85:
	s_and_b64 vcc, exec, s[20:21]
	s_cbranch_vccnz .LBB558_92
; %bb.86:
	v_mul_lo_u32 v6, v5, s16
	v_mul_lo_u32 v7, v4, s17
	v_mad_u64_u32 v[4:5], s[2:3], v4, s16, 0
	v_add3_u32 v5, v5, v7, v6
	v_mul_lo_u32 v6, v3, s16
	v_mul_lo_u32 v7, v2, s17
	v_mad_u64_u32 v[8:9], s[2:3], v2, s16, 0
	v_add3_u32 v9, v9, v7, v6
	v_lshlrev_b64 v[6:7], 3, v[4:5]
	v_mov_b32_e32 v4, s19
	v_add_co_u32_e32 v10, vcc, s18, v6
	v_addc_co_u32_e64 v11, s[2:3], v4, v7, vcc
	v_lshlrev_b64 v[4:5], 3, v[8:9]
	v_mov_b32_e32 v6, s19
	v_add_co_u32_e64 v12, s[2:3], s18, v4
	v_addc_co_u32_e64 v13, s[4:5], v6, v5, s[2:3]
	global_load_dwordx2 v[8:9], v[10:11], off
	global_load_dwordx2 v[16:17], v[12:13], off
	s_waitcnt vmcnt(0)
	v_cmp_eq_u64_e64 s[4:5], v[8:9], v[16:17]
	v_mov_b32_e32 v8, 1
	v_mov_b32_e32 v9, 0
	s_and_saveexec_b64 s[26:27], s[4:5]
	s_cbranch_execz .LBB558_94
; %bb.87:
	v_mov_b32_e32 v4, s19
	v_addc_co_u32_e64 v5, s[2:3], v5, v4, s[2:3]
	v_add_co_u32_e64 v4, s[2:3], 8, v12
	v_mov_b32_e32 v6, s19
	v_addc_co_u32_e64 v5, s[2:3], 0, v5, s[2:3]
	v_addc_co_u32_e32 v7, vcc, v7, v6, vcc
	v_add_co_u32_e32 v6, vcc, 8, v10
	s_add_u32 s2, s16, -1
	v_addc_co_u32_e32 v7, vcc, 0, v7, vcc
	s_addc_u32 s3, s17, -1
	s_mov_b64 s[4:5], 0
	s_mov_b64 s[30:31], 0
                                        ; implicit-def: $sgpr28_sgpr29
	s_branch .LBB558_90
.LBB558_88:                             ;   in Loop: Header=BB558_90 Depth=1
	global_load_dwordx2 v[8:9], v[6:7], off
	global_load_dwordx2 v[10:11], v[4:5], off
	v_add_co_u32_e32 v4, vcc, 8, v4
	v_addc_co_u32_e32 v5, vcc, 0, v5, vcc
	v_add_co_u32_e32 v6, vcc, 8, v6
	v_addc_co_u32_e32 v7, vcc, 0, v7, vcc
	s_add_u32 s30, s30, 1
	s_addc_u32 s31, s31, 0
	s_andn2_b64 s[28:29], s[28:29], exec
	s_waitcnt vmcnt(0)
	v_cmp_ne_u64_e32 vcc, v[8:9], v[10:11]
	s_and_b64 s[34:35], vcc, exec
	s_or_b64 s[28:29], s[28:29], s[34:35]
.LBB558_89:                             ;   in Loop: Header=BB558_90 Depth=1
	s_and_b64 s[34:35], exec, s[28:29]
	s_or_b64 s[4:5], s[34:35], s[4:5]
	v_pk_mov_b32 v[8:9], s[30:31], s[30:31] op_sel:[0,1]
	s_andn2_b64 exec, exec, s[4:5]
	s_cbranch_execz .LBB558_93
.LBB558_90:                             ; =>This Inner Loop Header: Depth=1
	s_or_b64 s[28:29], s[28:29], exec
	s_cmp_eq_u64 s[2:3], s[30:31]
	s_cbranch_scc0 .LBB558_88
; %bb.91:                               ;   in Loop: Header=BB558_90 Depth=1
                                        ; implicit-def: $vgpr4_vgpr5
                                        ; implicit-def: $vgpr6_vgpr7
	s_mov_b64 s[30:31], s[16:17]
	s_branch .LBB558_89
.LBB558_92:
	v_pk_mov_b32 v[8:9], 0, 0
	s_branch .LBB558_95
.LBB558_93:
	s_or_b64 exec, exec, s[4:5]
	v_cmp_gt_i64_e32 vcc, s[16:17], v[8:9]
	s_mov_b32 s2, 0
	v_cndmask_b32_e64 v8, 0, 1, vcc
	v_mov_b32_e32 v9, s2
.LBB558_94:
	s_or_b64 exec, exec, s[26:27]
.LBB558_95:
	s_or_b64 exec, exec, s[22:23]
	v_cmp_ne_u32_e32 vcc, 0, v0
	v_cmp_gt_u32_e64 s[2:3], s14, v14
	s_and_b64 s[2:3], vcc, s[2:3]
	s_waitcnt lgkmcnt(0)
	s_barrier
	s_waitcnt lgkmcnt(0)
                                        ; implicit-def: $sgpr22_sgpr23
	s_and_saveexec_b64 s[26:27], s[2:3]
	s_cbranch_execz .LBB558_107
; %bb.96:
	s_and_b64 vcc, exec, s[20:21]
	s_cbranch_vccnz .LBB558_103
; %bb.97:
	v_mul_lo_u32 v6, v3, s16
	v_add_u32_e32 v3, -8, v1
	ds_read_b64 v[4:5], v3
	v_mul_lo_u32 v7, v2, s17
	v_mad_u64_u32 v[2:3], s[2:3], v2, s16, 0
	v_add3_u32 v3, v3, v7, v6
	s_waitcnt lgkmcnt(0)
	v_mul_lo_u32 v5, v5, s16
	v_mul_lo_u32 v6, v4, s17
	v_mad_u64_u32 v[10:11], s[2:3], v4, s16, 0
	v_add3_u32 v11, v11, v6, v5
	v_lshlrev_b64 v[4:5], 3, v[2:3]
	v_mov_b32_e32 v2, s19
	v_add_co_u32_e32 v6, vcc, s18, v4
	v_addc_co_u32_e64 v7, s[2:3], v2, v5, vcc
	v_lshlrev_b64 v[2:3], 3, v[10:11]
	v_mov_b32_e32 v4, s19
	v_add_co_u32_e64 v10, s[2:3], s18, v2
	v_addc_co_u32_e64 v11, s[4:5], v4, v3, s[2:3]
	global_load_dwordx2 v[12:13], v[6:7], off
	global_load_dwordx2 v[14:15], v[10:11], off
	s_mov_b64 s[22:23], -1
	s_waitcnt vmcnt(0)
	v_cmp_eq_u64_e64 s[4:5], v[12:13], v[14:15]
	s_and_saveexec_b64 s[20:21], s[4:5]
	s_cbranch_execz .LBB558_105
; %bb.98:
	v_mov_b32_e32 v2, s19
	v_addc_co_u32_e64 v3, s[2:3], v3, v2, s[2:3]
	v_add_co_u32_e64 v2, s[2:3], 8, v10
	v_mov_b32_e32 v4, s19
	v_addc_co_u32_e64 v3, s[2:3], 0, v3, s[2:3]
	v_addc_co_u32_e32 v5, vcc, v5, v4, vcc
	v_add_co_u32_e32 v4, vcc, 8, v6
	s_add_u32 s2, s16, -1
	v_addc_co_u32_e32 v5, vcc, 0, v5, vcc
	s_addc_u32 s3, s17, -1
	s_mov_b64 s[4:5], 0
	s_mov_b64 s[22:23], 0
                                        ; implicit-def: $sgpr18_sgpr19
	s_branch .LBB558_101
.LBB558_99:                             ;   in Loop: Header=BB558_101 Depth=1
	global_load_dwordx2 v[6:7], v[4:5], off
	global_load_dwordx2 v[10:11], v[2:3], off
	v_add_co_u32_e32 v2, vcc, 8, v2
	v_addc_co_u32_e32 v3, vcc, 0, v3, vcc
	v_add_co_u32_e32 v4, vcc, 8, v4
	v_addc_co_u32_e32 v5, vcc, 0, v5, vcc
	s_add_u32 s22, s22, 1
	s_addc_u32 s23, s23, 0
	s_andn2_b64 s[18:19], s[18:19], exec
	s_waitcnt vmcnt(0)
	v_cmp_ne_u64_e32 vcc, v[6:7], v[10:11]
	s_and_b64 s[28:29], vcc, exec
	s_or_b64 s[18:19], s[18:19], s[28:29]
.LBB558_100:                            ;   in Loop: Header=BB558_101 Depth=1
	s_and_b64 s[28:29], exec, s[18:19]
	s_or_b64 s[4:5], s[28:29], s[4:5]
	v_pk_mov_b32 v[6:7], s[22:23], s[22:23] op_sel:[0,1]
	s_andn2_b64 exec, exec, s[4:5]
	s_cbranch_execz .LBB558_104
.LBB558_101:                            ; =>This Inner Loop Header: Depth=1
	s_or_b64 s[18:19], s[18:19], exec
	s_cmp_eq_u64 s[2:3], s[22:23]
	s_cbranch_scc0 .LBB558_99
; %bb.102:                              ;   in Loop: Header=BB558_101 Depth=1
                                        ; implicit-def: $vgpr2_vgpr3
                                        ; implicit-def: $vgpr4_vgpr5
	s_mov_b64 s[22:23], s[16:17]
	s_branch .LBB558_100
.LBB558_103:
	s_mov_b64 s[22:23], 0
	s_branch .LBB558_106
.LBB558_104:
	s_or_b64 exec, exec, s[4:5]
	v_cmp_gt_i64_e32 vcc, s[16:17], v[6:7]
	s_orn2_b64 s[22:23], vcc, exec
.LBB558_105:
	s_or_b64 exec, exec, s[20:21]
.LBB558_106:
	s_and_b64 s[22:23], s[22:23], exec
	s_or_b64 s[24:25], s[24:25], exec
                                        ; implicit-def: $vgpr2_vgpr3
.LBB558_107:
	s_or_b64 exec, exec, s[26:27]
.LBB558_108:
	s_and_saveexec_b64 s[2:3], s[24:25]
; %bb.109:
	s_mov_b32 s4, 0
	v_cndmask_b32_e64 v2, 0, 1, s[22:23]
	v_mov_b32_e32 v3, s4
; %bb.110:
	s_or_b64 exec, exec, s[2:3]
	s_add_u32 s4, s12, s10
	s_addc_u32 s5, s13, s11
	s_and_b64 vcc, exec, s[0:1]
	v_lshrrev_b32_e32 v10, 1, v0
	s_waitcnt lgkmcnt(0)
	s_barrier
	s_cbranch_vccz .LBB558_114
; %bb.111:
	v_and_b32_e32 v4, 0xf8, v10
	v_lshl_add_u32 v6, v0, 4, v4
	v_mov_b32_e32 v4, v8
	v_mov_b32_e32 v5, v9
	v_or_b32_e32 v11, 0x200, v0
	s_lshl_b32 s0, s6, 10
	s_mov_b32 s9, 0
	ds_write2_b64 v6, v[2:3], v[4:5] offset1:1
	v_lshrrev_b32_e32 v4, 5, v11
	s_sub_i32 s2, s14, s0
	s_lshl_b64 s[0:1], s[8:9], 3
	v_add_lshl_u32 v4, v4, v0, 3
	s_add_u32 s0, s4, s0
	s_waitcnt lgkmcnt(0)
	s_barrier
	ds_read_b64 v[4:5], v4 offset:4096
	s_addc_u32 s1, s5, s1
	v_mov_b32_e32 v7, s1
	v_add_co_u32_e32 v6, vcc, s0, v1
	v_addc_co_u32_e32 v7, vcc, 0, v7, vcc
	v_cmp_gt_u32_e32 vcc, s2, v0
	s_and_saveexec_b64 s[0:1], vcc
	s_cbranch_execz .LBB558_113
; %bb.112:
	v_lshrrev_b32_e32 v12, 5, v0
	v_add_lshl_u32 v12, v12, v0, 3
	ds_read_b64 v[12:13], v12
	s_waitcnt lgkmcnt(0)
	global_store_dwordx2 v[6:7], v[12:13], off
.LBB558_113:
	s_or_b64 exec, exec, s[0:1]
	v_cmp_gt_u32_e64 s[0:1], s2, v11
	s_branch .LBB558_116
.LBB558_114:
	s_mov_b64 s[0:1], 0
                                        ; implicit-def: $vgpr4_vgpr5
                                        ; implicit-def: $vgpr6_vgpr7
	s_cbranch_execz .LBB558_116
; %bb.115:
	s_waitcnt lgkmcnt(0)
	v_and_b32_e32 v4, 0xf8, v10
	v_lshl_add_u32 v6, v0, 4, v4
	v_mov_b32_e32 v4, v8
	v_mov_b32_e32 v5, v9
	s_mov_b32 s9, 0
	ds_write2_b64 v6, v[2:3], v[4:5] offset1:1
	v_lshrrev_b32_e32 v2, 5, v0
	v_or_b32_e32 v3, 0x200, v0
	s_lshl_b64 s[2:3], s[8:9], 3
	v_add_lshl_u32 v2, v2, v0, 3
	v_lshrrev_b32_e32 v3, 5, v3
	s_add_u32 s2, s4, s2
	s_waitcnt lgkmcnt(0)
	s_barrier
	v_add_lshl_u32 v0, v3, v0, 3
	ds_read_b64 v[2:3], v2
	ds_read_b64 v[4:5], v0 offset:4096
	s_addc_u32 s3, s5, s3
	v_mov_b32_e32 v0, s3
	v_add_co_u32_e32 v6, vcc, s2, v1
	v_addc_co_u32_e32 v7, vcc, 0, v0, vcc
	s_or_b64 s[0:1], s[0:1], exec
	s_waitcnt lgkmcnt(1)
	global_store_dwordx2 v1, v[2:3], s[2:3]
.LBB558_116:
	s_and_saveexec_b64 s[2:3], s[0:1]
	s_cbranch_execnz .LBB558_118
; %bb.117:
	s_endpgm
.LBB558_118:
	v_add_co_u32_e32 v0, vcc, 0x1000, v6
	v_addc_co_u32_e32 v1, vcc, 0, v7, vcc
	s_waitcnt lgkmcnt(0)
	global_store_dwordx2 v[0:1], v[4:5], off
	s_endpgm
	.section	.rodata,"a",@progbits
	.p2align	6, 0x0
	.amdhsa_kernel _ZN7rocprim17ROCPRIM_400000_NS6detail17trampoline_kernelINS0_14default_configENS1_35adjacent_difference_config_selectorILb1ElEEZNS1_24adjacent_difference_implIS3_Lb1ELb0EPlS7_ZN2at6native12_GLOBAL__N_124unique_dim_cuda_templateIlEESt5tupleIJNS8_6TensorESD_SD_EERKSD_lbbbEUlllE1_EE10hipError_tPvRmT2_T3_mT4_P12ihipStream_tbEUlT_E_NS1_11comp_targetILNS1_3genE4ELNS1_11target_archE910ELNS1_3gpuE8ELNS1_3repE0EEENS1_30default_config_static_selectorELNS0_4arch9wavefront6targetE1EEEvT1_
		.amdhsa_group_segment_fixed_size 8448
		.amdhsa_private_segment_fixed_size 0
		.amdhsa_kernarg_size 64
		.amdhsa_user_sgpr_count 6
		.amdhsa_user_sgpr_private_segment_buffer 1
		.amdhsa_user_sgpr_dispatch_ptr 0
		.amdhsa_user_sgpr_queue_ptr 0
		.amdhsa_user_sgpr_kernarg_segment_ptr 1
		.amdhsa_user_sgpr_dispatch_id 0
		.amdhsa_user_sgpr_flat_scratch_init 0
		.amdhsa_user_sgpr_kernarg_preload_length 0
		.amdhsa_user_sgpr_kernarg_preload_offset 0
		.amdhsa_user_sgpr_private_segment_size 0
		.amdhsa_uses_dynamic_stack 0
		.amdhsa_system_sgpr_private_segment_wavefront_offset 0
		.amdhsa_system_sgpr_workgroup_id_x 1
		.amdhsa_system_sgpr_workgroup_id_y 0
		.amdhsa_system_sgpr_workgroup_id_z 0
		.amdhsa_system_sgpr_workgroup_info 0
		.amdhsa_system_vgpr_workitem_id 0
		.amdhsa_next_free_vgpr 20
		.amdhsa_next_free_sgpr 38
		.amdhsa_accum_offset 20
		.amdhsa_reserve_vcc 1
		.amdhsa_reserve_flat_scratch 0
		.amdhsa_float_round_mode_32 0
		.amdhsa_float_round_mode_16_64 0
		.amdhsa_float_denorm_mode_32 3
		.amdhsa_float_denorm_mode_16_64 3
		.amdhsa_dx10_clamp 1
		.amdhsa_ieee_mode 1
		.amdhsa_fp16_overflow 0
		.amdhsa_tg_split 0
		.amdhsa_exception_fp_ieee_invalid_op 0
		.amdhsa_exception_fp_denorm_src 0
		.amdhsa_exception_fp_ieee_div_zero 0
		.amdhsa_exception_fp_ieee_overflow 0
		.amdhsa_exception_fp_ieee_underflow 0
		.amdhsa_exception_fp_ieee_inexact 0
		.amdhsa_exception_int_div_zero 0
	.end_amdhsa_kernel
	.section	.text._ZN7rocprim17ROCPRIM_400000_NS6detail17trampoline_kernelINS0_14default_configENS1_35adjacent_difference_config_selectorILb1ElEEZNS1_24adjacent_difference_implIS3_Lb1ELb0EPlS7_ZN2at6native12_GLOBAL__N_124unique_dim_cuda_templateIlEESt5tupleIJNS8_6TensorESD_SD_EERKSD_lbbbEUlllE1_EE10hipError_tPvRmT2_T3_mT4_P12ihipStream_tbEUlT_E_NS1_11comp_targetILNS1_3genE4ELNS1_11target_archE910ELNS1_3gpuE8ELNS1_3repE0EEENS1_30default_config_static_selectorELNS0_4arch9wavefront6targetE1EEEvT1_,"axG",@progbits,_ZN7rocprim17ROCPRIM_400000_NS6detail17trampoline_kernelINS0_14default_configENS1_35adjacent_difference_config_selectorILb1ElEEZNS1_24adjacent_difference_implIS3_Lb1ELb0EPlS7_ZN2at6native12_GLOBAL__N_124unique_dim_cuda_templateIlEESt5tupleIJNS8_6TensorESD_SD_EERKSD_lbbbEUlllE1_EE10hipError_tPvRmT2_T3_mT4_P12ihipStream_tbEUlT_E_NS1_11comp_targetILNS1_3genE4ELNS1_11target_archE910ELNS1_3gpuE8ELNS1_3repE0EEENS1_30default_config_static_selectorELNS0_4arch9wavefront6targetE1EEEvT1_,comdat
.Lfunc_end558:
	.size	_ZN7rocprim17ROCPRIM_400000_NS6detail17trampoline_kernelINS0_14default_configENS1_35adjacent_difference_config_selectorILb1ElEEZNS1_24adjacent_difference_implIS3_Lb1ELb0EPlS7_ZN2at6native12_GLOBAL__N_124unique_dim_cuda_templateIlEESt5tupleIJNS8_6TensorESD_SD_EERKSD_lbbbEUlllE1_EE10hipError_tPvRmT2_T3_mT4_P12ihipStream_tbEUlT_E_NS1_11comp_targetILNS1_3genE4ELNS1_11target_archE910ELNS1_3gpuE8ELNS1_3repE0EEENS1_30default_config_static_selectorELNS0_4arch9wavefront6targetE1EEEvT1_, .Lfunc_end558-_ZN7rocprim17ROCPRIM_400000_NS6detail17trampoline_kernelINS0_14default_configENS1_35adjacent_difference_config_selectorILb1ElEEZNS1_24adjacent_difference_implIS3_Lb1ELb0EPlS7_ZN2at6native12_GLOBAL__N_124unique_dim_cuda_templateIlEESt5tupleIJNS8_6TensorESD_SD_EERKSD_lbbbEUlllE1_EE10hipError_tPvRmT2_T3_mT4_P12ihipStream_tbEUlT_E_NS1_11comp_targetILNS1_3genE4ELNS1_11target_archE910ELNS1_3gpuE8ELNS1_3repE0EEENS1_30default_config_static_selectorELNS0_4arch9wavefront6targetE1EEEvT1_
                                        ; -- End function
	.section	.AMDGPU.csdata,"",@progbits
; Kernel info:
; codeLenInByte = 4304
; NumSgprs: 42
; NumVgprs: 20
; NumAgprs: 0
; TotalNumVgprs: 20
; ScratchSize: 0
; MemoryBound: 1
; FloatMode: 240
; IeeeMode: 1
; LDSByteSize: 8448 bytes/workgroup (compile time only)
; SGPRBlocks: 5
; VGPRBlocks: 2
; NumSGPRsForWavesPerEU: 42
; NumVGPRsForWavesPerEU: 20
; AccumOffset: 20
; Occupancy: 8
; WaveLimiterHint : 1
; COMPUTE_PGM_RSRC2:SCRATCH_EN: 0
; COMPUTE_PGM_RSRC2:USER_SGPR: 6
; COMPUTE_PGM_RSRC2:TRAP_HANDLER: 0
; COMPUTE_PGM_RSRC2:TGID_X_EN: 1
; COMPUTE_PGM_RSRC2:TGID_Y_EN: 0
; COMPUTE_PGM_RSRC2:TGID_Z_EN: 0
; COMPUTE_PGM_RSRC2:TIDIG_COMP_CNT: 0
; COMPUTE_PGM_RSRC3_GFX90A:ACCUM_OFFSET: 4
; COMPUTE_PGM_RSRC3_GFX90A:TG_SPLIT: 0
	.section	.text._ZN7rocprim17ROCPRIM_400000_NS6detail17trampoline_kernelINS0_14default_configENS1_35adjacent_difference_config_selectorILb1ElEEZNS1_24adjacent_difference_implIS3_Lb1ELb0EPlS7_ZN2at6native12_GLOBAL__N_124unique_dim_cuda_templateIlEESt5tupleIJNS8_6TensorESD_SD_EERKSD_lbbbEUlllE1_EE10hipError_tPvRmT2_T3_mT4_P12ihipStream_tbEUlT_E_NS1_11comp_targetILNS1_3genE3ELNS1_11target_archE908ELNS1_3gpuE7ELNS1_3repE0EEENS1_30default_config_static_selectorELNS0_4arch9wavefront6targetE1EEEvT1_,"axG",@progbits,_ZN7rocprim17ROCPRIM_400000_NS6detail17trampoline_kernelINS0_14default_configENS1_35adjacent_difference_config_selectorILb1ElEEZNS1_24adjacent_difference_implIS3_Lb1ELb0EPlS7_ZN2at6native12_GLOBAL__N_124unique_dim_cuda_templateIlEESt5tupleIJNS8_6TensorESD_SD_EERKSD_lbbbEUlllE1_EE10hipError_tPvRmT2_T3_mT4_P12ihipStream_tbEUlT_E_NS1_11comp_targetILNS1_3genE3ELNS1_11target_archE908ELNS1_3gpuE7ELNS1_3repE0EEENS1_30default_config_static_selectorELNS0_4arch9wavefront6targetE1EEEvT1_,comdat
	.globl	_ZN7rocprim17ROCPRIM_400000_NS6detail17trampoline_kernelINS0_14default_configENS1_35adjacent_difference_config_selectorILb1ElEEZNS1_24adjacent_difference_implIS3_Lb1ELb0EPlS7_ZN2at6native12_GLOBAL__N_124unique_dim_cuda_templateIlEESt5tupleIJNS8_6TensorESD_SD_EERKSD_lbbbEUlllE1_EE10hipError_tPvRmT2_T3_mT4_P12ihipStream_tbEUlT_E_NS1_11comp_targetILNS1_3genE3ELNS1_11target_archE908ELNS1_3gpuE7ELNS1_3repE0EEENS1_30default_config_static_selectorELNS0_4arch9wavefront6targetE1EEEvT1_ ; -- Begin function _ZN7rocprim17ROCPRIM_400000_NS6detail17trampoline_kernelINS0_14default_configENS1_35adjacent_difference_config_selectorILb1ElEEZNS1_24adjacent_difference_implIS3_Lb1ELb0EPlS7_ZN2at6native12_GLOBAL__N_124unique_dim_cuda_templateIlEESt5tupleIJNS8_6TensorESD_SD_EERKSD_lbbbEUlllE1_EE10hipError_tPvRmT2_T3_mT4_P12ihipStream_tbEUlT_E_NS1_11comp_targetILNS1_3genE3ELNS1_11target_archE908ELNS1_3gpuE7ELNS1_3repE0EEENS1_30default_config_static_selectorELNS0_4arch9wavefront6targetE1EEEvT1_
	.p2align	8
	.type	_ZN7rocprim17ROCPRIM_400000_NS6detail17trampoline_kernelINS0_14default_configENS1_35adjacent_difference_config_selectorILb1ElEEZNS1_24adjacent_difference_implIS3_Lb1ELb0EPlS7_ZN2at6native12_GLOBAL__N_124unique_dim_cuda_templateIlEESt5tupleIJNS8_6TensorESD_SD_EERKSD_lbbbEUlllE1_EE10hipError_tPvRmT2_T3_mT4_P12ihipStream_tbEUlT_E_NS1_11comp_targetILNS1_3genE3ELNS1_11target_archE908ELNS1_3gpuE7ELNS1_3repE0EEENS1_30default_config_static_selectorELNS0_4arch9wavefront6targetE1EEEvT1_,@function
_ZN7rocprim17ROCPRIM_400000_NS6detail17trampoline_kernelINS0_14default_configENS1_35adjacent_difference_config_selectorILb1ElEEZNS1_24adjacent_difference_implIS3_Lb1ELb0EPlS7_ZN2at6native12_GLOBAL__N_124unique_dim_cuda_templateIlEESt5tupleIJNS8_6TensorESD_SD_EERKSD_lbbbEUlllE1_EE10hipError_tPvRmT2_T3_mT4_P12ihipStream_tbEUlT_E_NS1_11comp_targetILNS1_3genE3ELNS1_11target_archE908ELNS1_3gpuE7ELNS1_3repE0EEENS1_30default_config_static_selectorELNS0_4arch9wavefront6targetE1EEEvT1_: ; @_ZN7rocprim17ROCPRIM_400000_NS6detail17trampoline_kernelINS0_14default_configENS1_35adjacent_difference_config_selectorILb1ElEEZNS1_24adjacent_difference_implIS3_Lb1ELb0EPlS7_ZN2at6native12_GLOBAL__N_124unique_dim_cuda_templateIlEESt5tupleIJNS8_6TensorESD_SD_EERKSD_lbbbEUlllE1_EE10hipError_tPvRmT2_T3_mT4_P12ihipStream_tbEUlT_E_NS1_11comp_targetILNS1_3genE3ELNS1_11target_archE908ELNS1_3gpuE7ELNS1_3repE0EEENS1_30default_config_static_selectorELNS0_4arch9wavefront6targetE1EEEvT1_
; %bb.0:
	.section	.rodata,"a",@progbits
	.p2align	6, 0x0
	.amdhsa_kernel _ZN7rocprim17ROCPRIM_400000_NS6detail17trampoline_kernelINS0_14default_configENS1_35adjacent_difference_config_selectorILb1ElEEZNS1_24adjacent_difference_implIS3_Lb1ELb0EPlS7_ZN2at6native12_GLOBAL__N_124unique_dim_cuda_templateIlEESt5tupleIJNS8_6TensorESD_SD_EERKSD_lbbbEUlllE1_EE10hipError_tPvRmT2_T3_mT4_P12ihipStream_tbEUlT_E_NS1_11comp_targetILNS1_3genE3ELNS1_11target_archE908ELNS1_3gpuE7ELNS1_3repE0EEENS1_30default_config_static_selectorELNS0_4arch9wavefront6targetE1EEEvT1_
		.amdhsa_group_segment_fixed_size 0
		.amdhsa_private_segment_fixed_size 0
		.amdhsa_kernarg_size 64
		.amdhsa_user_sgpr_count 6
		.amdhsa_user_sgpr_private_segment_buffer 1
		.amdhsa_user_sgpr_dispatch_ptr 0
		.amdhsa_user_sgpr_queue_ptr 0
		.amdhsa_user_sgpr_kernarg_segment_ptr 1
		.amdhsa_user_sgpr_dispatch_id 0
		.amdhsa_user_sgpr_flat_scratch_init 0
		.amdhsa_user_sgpr_kernarg_preload_length 0
		.amdhsa_user_sgpr_kernarg_preload_offset 0
		.amdhsa_user_sgpr_private_segment_size 0
		.amdhsa_uses_dynamic_stack 0
		.amdhsa_system_sgpr_private_segment_wavefront_offset 0
		.amdhsa_system_sgpr_workgroup_id_x 1
		.amdhsa_system_sgpr_workgroup_id_y 0
		.amdhsa_system_sgpr_workgroup_id_z 0
		.amdhsa_system_sgpr_workgroup_info 0
		.amdhsa_system_vgpr_workitem_id 0
		.amdhsa_next_free_vgpr 1
		.amdhsa_next_free_sgpr 0
		.amdhsa_accum_offset 4
		.amdhsa_reserve_vcc 0
		.amdhsa_reserve_flat_scratch 0
		.amdhsa_float_round_mode_32 0
		.amdhsa_float_round_mode_16_64 0
		.amdhsa_float_denorm_mode_32 3
		.amdhsa_float_denorm_mode_16_64 3
		.amdhsa_dx10_clamp 1
		.amdhsa_ieee_mode 1
		.amdhsa_fp16_overflow 0
		.amdhsa_tg_split 0
		.amdhsa_exception_fp_ieee_invalid_op 0
		.amdhsa_exception_fp_denorm_src 0
		.amdhsa_exception_fp_ieee_div_zero 0
		.amdhsa_exception_fp_ieee_overflow 0
		.amdhsa_exception_fp_ieee_underflow 0
		.amdhsa_exception_fp_ieee_inexact 0
		.amdhsa_exception_int_div_zero 0
	.end_amdhsa_kernel
	.section	.text._ZN7rocprim17ROCPRIM_400000_NS6detail17trampoline_kernelINS0_14default_configENS1_35adjacent_difference_config_selectorILb1ElEEZNS1_24adjacent_difference_implIS3_Lb1ELb0EPlS7_ZN2at6native12_GLOBAL__N_124unique_dim_cuda_templateIlEESt5tupleIJNS8_6TensorESD_SD_EERKSD_lbbbEUlllE1_EE10hipError_tPvRmT2_T3_mT4_P12ihipStream_tbEUlT_E_NS1_11comp_targetILNS1_3genE3ELNS1_11target_archE908ELNS1_3gpuE7ELNS1_3repE0EEENS1_30default_config_static_selectorELNS0_4arch9wavefront6targetE1EEEvT1_,"axG",@progbits,_ZN7rocprim17ROCPRIM_400000_NS6detail17trampoline_kernelINS0_14default_configENS1_35adjacent_difference_config_selectorILb1ElEEZNS1_24adjacent_difference_implIS3_Lb1ELb0EPlS7_ZN2at6native12_GLOBAL__N_124unique_dim_cuda_templateIlEESt5tupleIJNS8_6TensorESD_SD_EERKSD_lbbbEUlllE1_EE10hipError_tPvRmT2_T3_mT4_P12ihipStream_tbEUlT_E_NS1_11comp_targetILNS1_3genE3ELNS1_11target_archE908ELNS1_3gpuE7ELNS1_3repE0EEENS1_30default_config_static_selectorELNS0_4arch9wavefront6targetE1EEEvT1_,comdat
.Lfunc_end559:
	.size	_ZN7rocprim17ROCPRIM_400000_NS6detail17trampoline_kernelINS0_14default_configENS1_35adjacent_difference_config_selectorILb1ElEEZNS1_24adjacent_difference_implIS3_Lb1ELb0EPlS7_ZN2at6native12_GLOBAL__N_124unique_dim_cuda_templateIlEESt5tupleIJNS8_6TensorESD_SD_EERKSD_lbbbEUlllE1_EE10hipError_tPvRmT2_T3_mT4_P12ihipStream_tbEUlT_E_NS1_11comp_targetILNS1_3genE3ELNS1_11target_archE908ELNS1_3gpuE7ELNS1_3repE0EEENS1_30default_config_static_selectorELNS0_4arch9wavefront6targetE1EEEvT1_, .Lfunc_end559-_ZN7rocprim17ROCPRIM_400000_NS6detail17trampoline_kernelINS0_14default_configENS1_35adjacent_difference_config_selectorILb1ElEEZNS1_24adjacent_difference_implIS3_Lb1ELb0EPlS7_ZN2at6native12_GLOBAL__N_124unique_dim_cuda_templateIlEESt5tupleIJNS8_6TensorESD_SD_EERKSD_lbbbEUlllE1_EE10hipError_tPvRmT2_T3_mT4_P12ihipStream_tbEUlT_E_NS1_11comp_targetILNS1_3genE3ELNS1_11target_archE908ELNS1_3gpuE7ELNS1_3repE0EEENS1_30default_config_static_selectorELNS0_4arch9wavefront6targetE1EEEvT1_
                                        ; -- End function
	.section	.AMDGPU.csdata,"",@progbits
; Kernel info:
; codeLenInByte = 0
; NumSgprs: 4
; NumVgprs: 0
; NumAgprs: 0
; TotalNumVgprs: 0
; ScratchSize: 0
; MemoryBound: 0
; FloatMode: 240
; IeeeMode: 1
; LDSByteSize: 0 bytes/workgroup (compile time only)
; SGPRBlocks: 0
; VGPRBlocks: 0
; NumSGPRsForWavesPerEU: 4
; NumVGPRsForWavesPerEU: 1
; AccumOffset: 4
; Occupancy: 8
; WaveLimiterHint : 0
; COMPUTE_PGM_RSRC2:SCRATCH_EN: 0
; COMPUTE_PGM_RSRC2:USER_SGPR: 6
; COMPUTE_PGM_RSRC2:TRAP_HANDLER: 0
; COMPUTE_PGM_RSRC2:TGID_X_EN: 1
; COMPUTE_PGM_RSRC2:TGID_Y_EN: 0
; COMPUTE_PGM_RSRC2:TGID_Z_EN: 0
; COMPUTE_PGM_RSRC2:TIDIG_COMP_CNT: 0
; COMPUTE_PGM_RSRC3_GFX90A:ACCUM_OFFSET: 0
; COMPUTE_PGM_RSRC3_GFX90A:TG_SPLIT: 0
	.section	.text._ZN7rocprim17ROCPRIM_400000_NS6detail17trampoline_kernelINS0_14default_configENS1_35adjacent_difference_config_selectorILb1ElEEZNS1_24adjacent_difference_implIS3_Lb1ELb0EPlS7_ZN2at6native12_GLOBAL__N_124unique_dim_cuda_templateIlEESt5tupleIJNS8_6TensorESD_SD_EERKSD_lbbbEUlllE1_EE10hipError_tPvRmT2_T3_mT4_P12ihipStream_tbEUlT_E_NS1_11comp_targetILNS1_3genE2ELNS1_11target_archE906ELNS1_3gpuE6ELNS1_3repE0EEENS1_30default_config_static_selectorELNS0_4arch9wavefront6targetE1EEEvT1_,"axG",@progbits,_ZN7rocprim17ROCPRIM_400000_NS6detail17trampoline_kernelINS0_14default_configENS1_35adjacent_difference_config_selectorILb1ElEEZNS1_24adjacent_difference_implIS3_Lb1ELb0EPlS7_ZN2at6native12_GLOBAL__N_124unique_dim_cuda_templateIlEESt5tupleIJNS8_6TensorESD_SD_EERKSD_lbbbEUlllE1_EE10hipError_tPvRmT2_T3_mT4_P12ihipStream_tbEUlT_E_NS1_11comp_targetILNS1_3genE2ELNS1_11target_archE906ELNS1_3gpuE6ELNS1_3repE0EEENS1_30default_config_static_selectorELNS0_4arch9wavefront6targetE1EEEvT1_,comdat
	.globl	_ZN7rocprim17ROCPRIM_400000_NS6detail17trampoline_kernelINS0_14default_configENS1_35adjacent_difference_config_selectorILb1ElEEZNS1_24adjacent_difference_implIS3_Lb1ELb0EPlS7_ZN2at6native12_GLOBAL__N_124unique_dim_cuda_templateIlEESt5tupleIJNS8_6TensorESD_SD_EERKSD_lbbbEUlllE1_EE10hipError_tPvRmT2_T3_mT4_P12ihipStream_tbEUlT_E_NS1_11comp_targetILNS1_3genE2ELNS1_11target_archE906ELNS1_3gpuE6ELNS1_3repE0EEENS1_30default_config_static_selectorELNS0_4arch9wavefront6targetE1EEEvT1_ ; -- Begin function _ZN7rocprim17ROCPRIM_400000_NS6detail17trampoline_kernelINS0_14default_configENS1_35adjacent_difference_config_selectorILb1ElEEZNS1_24adjacent_difference_implIS3_Lb1ELb0EPlS7_ZN2at6native12_GLOBAL__N_124unique_dim_cuda_templateIlEESt5tupleIJNS8_6TensorESD_SD_EERKSD_lbbbEUlllE1_EE10hipError_tPvRmT2_T3_mT4_P12ihipStream_tbEUlT_E_NS1_11comp_targetILNS1_3genE2ELNS1_11target_archE906ELNS1_3gpuE6ELNS1_3repE0EEENS1_30default_config_static_selectorELNS0_4arch9wavefront6targetE1EEEvT1_
	.p2align	8
	.type	_ZN7rocprim17ROCPRIM_400000_NS6detail17trampoline_kernelINS0_14default_configENS1_35adjacent_difference_config_selectorILb1ElEEZNS1_24adjacent_difference_implIS3_Lb1ELb0EPlS7_ZN2at6native12_GLOBAL__N_124unique_dim_cuda_templateIlEESt5tupleIJNS8_6TensorESD_SD_EERKSD_lbbbEUlllE1_EE10hipError_tPvRmT2_T3_mT4_P12ihipStream_tbEUlT_E_NS1_11comp_targetILNS1_3genE2ELNS1_11target_archE906ELNS1_3gpuE6ELNS1_3repE0EEENS1_30default_config_static_selectorELNS0_4arch9wavefront6targetE1EEEvT1_,@function
_ZN7rocprim17ROCPRIM_400000_NS6detail17trampoline_kernelINS0_14default_configENS1_35adjacent_difference_config_selectorILb1ElEEZNS1_24adjacent_difference_implIS3_Lb1ELb0EPlS7_ZN2at6native12_GLOBAL__N_124unique_dim_cuda_templateIlEESt5tupleIJNS8_6TensorESD_SD_EERKSD_lbbbEUlllE1_EE10hipError_tPvRmT2_T3_mT4_P12ihipStream_tbEUlT_E_NS1_11comp_targetILNS1_3genE2ELNS1_11target_archE906ELNS1_3gpuE6ELNS1_3repE0EEENS1_30default_config_static_selectorELNS0_4arch9wavefront6targetE1EEEvT1_: ; @_ZN7rocprim17ROCPRIM_400000_NS6detail17trampoline_kernelINS0_14default_configENS1_35adjacent_difference_config_selectorILb1ElEEZNS1_24adjacent_difference_implIS3_Lb1ELb0EPlS7_ZN2at6native12_GLOBAL__N_124unique_dim_cuda_templateIlEESt5tupleIJNS8_6TensorESD_SD_EERKSD_lbbbEUlllE1_EE10hipError_tPvRmT2_T3_mT4_P12ihipStream_tbEUlT_E_NS1_11comp_targetILNS1_3genE2ELNS1_11target_archE906ELNS1_3gpuE6ELNS1_3repE0EEENS1_30default_config_static_selectorELNS0_4arch9wavefront6targetE1EEEvT1_
; %bb.0:
	.section	.rodata,"a",@progbits
	.p2align	6, 0x0
	.amdhsa_kernel _ZN7rocprim17ROCPRIM_400000_NS6detail17trampoline_kernelINS0_14default_configENS1_35adjacent_difference_config_selectorILb1ElEEZNS1_24adjacent_difference_implIS3_Lb1ELb0EPlS7_ZN2at6native12_GLOBAL__N_124unique_dim_cuda_templateIlEESt5tupleIJNS8_6TensorESD_SD_EERKSD_lbbbEUlllE1_EE10hipError_tPvRmT2_T3_mT4_P12ihipStream_tbEUlT_E_NS1_11comp_targetILNS1_3genE2ELNS1_11target_archE906ELNS1_3gpuE6ELNS1_3repE0EEENS1_30default_config_static_selectorELNS0_4arch9wavefront6targetE1EEEvT1_
		.amdhsa_group_segment_fixed_size 0
		.amdhsa_private_segment_fixed_size 0
		.amdhsa_kernarg_size 64
		.amdhsa_user_sgpr_count 6
		.amdhsa_user_sgpr_private_segment_buffer 1
		.amdhsa_user_sgpr_dispatch_ptr 0
		.amdhsa_user_sgpr_queue_ptr 0
		.amdhsa_user_sgpr_kernarg_segment_ptr 1
		.amdhsa_user_sgpr_dispatch_id 0
		.amdhsa_user_sgpr_flat_scratch_init 0
		.amdhsa_user_sgpr_kernarg_preload_length 0
		.amdhsa_user_sgpr_kernarg_preload_offset 0
		.amdhsa_user_sgpr_private_segment_size 0
		.amdhsa_uses_dynamic_stack 0
		.amdhsa_system_sgpr_private_segment_wavefront_offset 0
		.amdhsa_system_sgpr_workgroup_id_x 1
		.amdhsa_system_sgpr_workgroup_id_y 0
		.amdhsa_system_sgpr_workgroup_id_z 0
		.amdhsa_system_sgpr_workgroup_info 0
		.amdhsa_system_vgpr_workitem_id 0
		.amdhsa_next_free_vgpr 1
		.amdhsa_next_free_sgpr 0
		.amdhsa_accum_offset 4
		.amdhsa_reserve_vcc 0
		.amdhsa_reserve_flat_scratch 0
		.amdhsa_float_round_mode_32 0
		.amdhsa_float_round_mode_16_64 0
		.amdhsa_float_denorm_mode_32 3
		.amdhsa_float_denorm_mode_16_64 3
		.amdhsa_dx10_clamp 1
		.amdhsa_ieee_mode 1
		.amdhsa_fp16_overflow 0
		.amdhsa_tg_split 0
		.amdhsa_exception_fp_ieee_invalid_op 0
		.amdhsa_exception_fp_denorm_src 0
		.amdhsa_exception_fp_ieee_div_zero 0
		.amdhsa_exception_fp_ieee_overflow 0
		.amdhsa_exception_fp_ieee_underflow 0
		.amdhsa_exception_fp_ieee_inexact 0
		.amdhsa_exception_int_div_zero 0
	.end_amdhsa_kernel
	.section	.text._ZN7rocprim17ROCPRIM_400000_NS6detail17trampoline_kernelINS0_14default_configENS1_35adjacent_difference_config_selectorILb1ElEEZNS1_24adjacent_difference_implIS3_Lb1ELb0EPlS7_ZN2at6native12_GLOBAL__N_124unique_dim_cuda_templateIlEESt5tupleIJNS8_6TensorESD_SD_EERKSD_lbbbEUlllE1_EE10hipError_tPvRmT2_T3_mT4_P12ihipStream_tbEUlT_E_NS1_11comp_targetILNS1_3genE2ELNS1_11target_archE906ELNS1_3gpuE6ELNS1_3repE0EEENS1_30default_config_static_selectorELNS0_4arch9wavefront6targetE1EEEvT1_,"axG",@progbits,_ZN7rocprim17ROCPRIM_400000_NS6detail17trampoline_kernelINS0_14default_configENS1_35adjacent_difference_config_selectorILb1ElEEZNS1_24adjacent_difference_implIS3_Lb1ELb0EPlS7_ZN2at6native12_GLOBAL__N_124unique_dim_cuda_templateIlEESt5tupleIJNS8_6TensorESD_SD_EERKSD_lbbbEUlllE1_EE10hipError_tPvRmT2_T3_mT4_P12ihipStream_tbEUlT_E_NS1_11comp_targetILNS1_3genE2ELNS1_11target_archE906ELNS1_3gpuE6ELNS1_3repE0EEENS1_30default_config_static_selectorELNS0_4arch9wavefront6targetE1EEEvT1_,comdat
.Lfunc_end560:
	.size	_ZN7rocprim17ROCPRIM_400000_NS6detail17trampoline_kernelINS0_14default_configENS1_35adjacent_difference_config_selectorILb1ElEEZNS1_24adjacent_difference_implIS3_Lb1ELb0EPlS7_ZN2at6native12_GLOBAL__N_124unique_dim_cuda_templateIlEESt5tupleIJNS8_6TensorESD_SD_EERKSD_lbbbEUlllE1_EE10hipError_tPvRmT2_T3_mT4_P12ihipStream_tbEUlT_E_NS1_11comp_targetILNS1_3genE2ELNS1_11target_archE906ELNS1_3gpuE6ELNS1_3repE0EEENS1_30default_config_static_selectorELNS0_4arch9wavefront6targetE1EEEvT1_, .Lfunc_end560-_ZN7rocprim17ROCPRIM_400000_NS6detail17trampoline_kernelINS0_14default_configENS1_35adjacent_difference_config_selectorILb1ElEEZNS1_24adjacent_difference_implIS3_Lb1ELb0EPlS7_ZN2at6native12_GLOBAL__N_124unique_dim_cuda_templateIlEESt5tupleIJNS8_6TensorESD_SD_EERKSD_lbbbEUlllE1_EE10hipError_tPvRmT2_T3_mT4_P12ihipStream_tbEUlT_E_NS1_11comp_targetILNS1_3genE2ELNS1_11target_archE906ELNS1_3gpuE6ELNS1_3repE0EEENS1_30default_config_static_selectorELNS0_4arch9wavefront6targetE1EEEvT1_
                                        ; -- End function
	.section	.AMDGPU.csdata,"",@progbits
; Kernel info:
; codeLenInByte = 0
; NumSgprs: 4
; NumVgprs: 0
; NumAgprs: 0
; TotalNumVgprs: 0
; ScratchSize: 0
; MemoryBound: 0
; FloatMode: 240
; IeeeMode: 1
; LDSByteSize: 0 bytes/workgroup (compile time only)
; SGPRBlocks: 0
; VGPRBlocks: 0
; NumSGPRsForWavesPerEU: 4
; NumVGPRsForWavesPerEU: 1
; AccumOffset: 4
; Occupancy: 8
; WaveLimiterHint : 0
; COMPUTE_PGM_RSRC2:SCRATCH_EN: 0
; COMPUTE_PGM_RSRC2:USER_SGPR: 6
; COMPUTE_PGM_RSRC2:TRAP_HANDLER: 0
; COMPUTE_PGM_RSRC2:TGID_X_EN: 1
; COMPUTE_PGM_RSRC2:TGID_Y_EN: 0
; COMPUTE_PGM_RSRC2:TGID_Z_EN: 0
; COMPUTE_PGM_RSRC2:TIDIG_COMP_CNT: 0
; COMPUTE_PGM_RSRC3_GFX90A:ACCUM_OFFSET: 0
; COMPUTE_PGM_RSRC3_GFX90A:TG_SPLIT: 0
	.section	.text._ZN7rocprim17ROCPRIM_400000_NS6detail17trampoline_kernelINS0_14default_configENS1_35adjacent_difference_config_selectorILb1ElEEZNS1_24adjacent_difference_implIS3_Lb1ELb0EPlS7_ZN2at6native12_GLOBAL__N_124unique_dim_cuda_templateIlEESt5tupleIJNS8_6TensorESD_SD_EERKSD_lbbbEUlllE1_EE10hipError_tPvRmT2_T3_mT4_P12ihipStream_tbEUlT_E_NS1_11comp_targetILNS1_3genE9ELNS1_11target_archE1100ELNS1_3gpuE3ELNS1_3repE0EEENS1_30default_config_static_selectorELNS0_4arch9wavefront6targetE1EEEvT1_,"axG",@progbits,_ZN7rocprim17ROCPRIM_400000_NS6detail17trampoline_kernelINS0_14default_configENS1_35adjacent_difference_config_selectorILb1ElEEZNS1_24adjacent_difference_implIS3_Lb1ELb0EPlS7_ZN2at6native12_GLOBAL__N_124unique_dim_cuda_templateIlEESt5tupleIJNS8_6TensorESD_SD_EERKSD_lbbbEUlllE1_EE10hipError_tPvRmT2_T3_mT4_P12ihipStream_tbEUlT_E_NS1_11comp_targetILNS1_3genE9ELNS1_11target_archE1100ELNS1_3gpuE3ELNS1_3repE0EEENS1_30default_config_static_selectorELNS0_4arch9wavefront6targetE1EEEvT1_,comdat
	.globl	_ZN7rocprim17ROCPRIM_400000_NS6detail17trampoline_kernelINS0_14default_configENS1_35adjacent_difference_config_selectorILb1ElEEZNS1_24adjacent_difference_implIS3_Lb1ELb0EPlS7_ZN2at6native12_GLOBAL__N_124unique_dim_cuda_templateIlEESt5tupleIJNS8_6TensorESD_SD_EERKSD_lbbbEUlllE1_EE10hipError_tPvRmT2_T3_mT4_P12ihipStream_tbEUlT_E_NS1_11comp_targetILNS1_3genE9ELNS1_11target_archE1100ELNS1_3gpuE3ELNS1_3repE0EEENS1_30default_config_static_selectorELNS0_4arch9wavefront6targetE1EEEvT1_ ; -- Begin function _ZN7rocprim17ROCPRIM_400000_NS6detail17trampoline_kernelINS0_14default_configENS1_35adjacent_difference_config_selectorILb1ElEEZNS1_24adjacent_difference_implIS3_Lb1ELb0EPlS7_ZN2at6native12_GLOBAL__N_124unique_dim_cuda_templateIlEESt5tupleIJNS8_6TensorESD_SD_EERKSD_lbbbEUlllE1_EE10hipError_tPvRmT2_T3_mT4_P12ihipStream_tbEUlT_E_NS1_11comp_targetILNS1_3genE9ELNS1_11target_archE1100ELNS1_3gpuE3ELNS1_3repE0EEENS1_30default_config_static_selectorELNS0_4arch9wavefront6targetE1EEEvT1_
	.p2align	8
	.type	_ZN7rocprim17ROCPRIM_400000_NS6detail17trampoline_kernelINS0_14default_configENS1_35adjacent_difference_config_selectorILb1ElEEZNS1_24adjacent_difference_implIS3_Lb1ELb0EPlS7_ZN2at6native12_GLOBAL__N_124unique_dim_cuda_templateIlEESt5tupleIJNS8_6TensorESD_SD_EERKSD_lbbbEUlllE1_EE10hipError_tPvRmT2_T3_mT4_P12ihipStream_tbEUlT_E_NS1_11comp_targetILNS1_3genE9ELNS1_11target_archE1100ELNS1_3gpuE3ELNS1_3repE0EEENS1_30default_config_static_selectorELNS0_4arch9wavefront6targetE1EEEvT1_,@function
_ZN7rocprim17ROCPRIM_400000_NS6detail17trampoline_kernelINS0_14default_configENS1_35adjacent_difference_config_selectorILb1ElEEZNS1_24adjacent_difference_implIS3_Lb1ELb0EPlS7_ZN2at6native12_GLOBAL__N_124unique_dim_cuda_templateIlEESt5tupleIJNS8_6TensorESD_SD_EERKSD_lbbbEUlllE1_EE10hipError_tPvRmT2_T3_mT4_P12ihipStream_tbEUlT_E_NS1_11comp_targetILNS1_3genE9ELNS1_11target_archE1100ELNS1_3gpuE3ELNS1_3repE0EEENS1_30default_config_static_selectorELNS0_4arch9wavefront6targetE1EEEvT1_: ; @_ZN7rocprim17ROCPRIM_400000_NS6detail17trampoline_kernelINS0_14default_configENS1_35adjacent_difference_config_selectorILb1ElEEZNS1_24adjacent_difference_implIS3_Lb1ELb0EPlS7_ZN2at6native12_GLOBAL__N_124unique_dim_cuda_templateIlEESt5tupleIJNS8_6TensorESD_SD_EERKSD_lbbbEUlllE1_EE10hipError_tPvRmT2_T3_mT4_P12ihipStream_tbEUlT_E_NS1_11comp_targetILNS1_3genE9ELNS1_11target_archE1100ELNS1_3gpuE3ELNS1_3repE0EEENS1_30default_config_static_selectorELNS0_4arch9wavefront6targetE1EEEvT1_
; %bb.0:
	.section	.rodata,"a",@progbits
	.p2align	6, 0x0
	.amdhsa_kernel _ZN7rocprim17ROCPRIM_400000_NS6detail17trampoline_kernelINS0_14default_configENS1_35adjacent_difference_config_selectorILb1ElEEZNS1_24adjacent_difference_implIS3_Lb1ELb0EPlS7_ZN2at6native12_GLOBAL__N_124unique_dim_cuda_templateIlEESt5tupleIJNS8_6TensorESD_SD_EERKSD_lbbbEUlllE1_EE10hipError_tPvRmT2_T3_mT4_P12ihipStream_tbEUlT_E_NS1_11comp_targetILNS1_3genE9ELNS1_11target_archE1100ELNS1_3gpuE3ELNS1_3repE0EEENS1_30default_config_static_selectorELNS0_4arch9wavefront6targetE1EEEvT1_
		.amdhsa_group_segment_fixed_size 0
		.amdhsa_private_segment_fixed_size 0
		.amdhsa_kernarg_size 64
		.amdhsa_user_sgpr_count 6
		.amdhsa_user_sgpr_private_segment_buffer 1
		.amdhsa_user_sgpr_dispatch_ptr 0
		.amdhsa_user_sgpr_queue_ptr 0
		.amdhsa_user_sgpr_kernarg_segment_ptr 1
		.amdhsa_user_sgpr_dispatch_id 0
		.amdhsa_user_sgpr_flat_scratch_init 0
		.amdhsa_user_sgpr_kernarg_preload_length 0
		.amdhsa_user_sgpr_kernarg_preload_offset 0
		.amdhsa_user_sgpr_private_segment_size 0
		.amdhsa_uses_dynamic_stack 0
		.amdhsa_system_sgpr_private_segment_wavefront_offset 0
		.amdhsa_system_sgpr_workgroup_id_x 1
		.amdhsa_system_sgpr_workgroup_id_y 0
		.amdhsa_system_sgpr_workgroup_id_z 0
		.amdhsa_system_sgpr_workgroup_info 0
		.amdhsa_system_vgpr_workitem_id 0
		.amdhsa_next_free_vgpr 1
		.amdhsa_next_free_sgpr 0
		.amdhsa_accum_offset 4
		.amdhsa_reserve_vcc 0
		.amdhsa_reserve_flat_scratch 0
		.amdhsa_float_round_mode_32 0
		.amdhsa_float_round_mode_16_64 0
		.amdhsa_float_denorm_mode_32 3
		.amdhsa_float_denorm_mode_16_64 3
		.amdhsa_dx10_clamp 1
		.amdhsa_ieee_mode 1
		.amdhsa_fp16_overflow 0
		.amdhsa_tg_split 0
		.amdhsa_exception_fp_ieee_invalid_op 0
		.amdhsa_exception_fp_denorm_src 0
		.amdhsa_exception_fp_ieee_div_zero 0
		.amdhsa_exception_fp_ieee_overflow 0
		.amdhsa_exception_fp_ieee_underflow 0
		.amdhsa_exception_fp_ieee_inexact 0
		.amdhsa_exception_int_div_zero 0
	.end_amdhsa_kernel
	.section	.text._ZN7rocprim17ROCPRIM_400000_NS6detail17trampoline_kernelINS0_14default_configENS1_35adjacent_difference_config_selectorILb1ElEEZNS1_24adjacent_difference_implIS3_Lb1ELb0EPlS7_ZN2at6native12_GLOBAL__N_124unique_dim_cuda_templateIlEESt5tupleIJNS8_6TensorESD_SD_EERKSD_lbbbEUlllE1_EE10hipError_tPvRmT2_T3_mT4_P12ihipStream_tbEUlT_E_NS1_11comp_targetILNS1_3genE9ELNS1_11target_archE1100ELNS1_3gpuE3ELNS1_3repE0EEENS1_30default_config_static_selectorELNS0_4arch9wavefront6targetE1EEEvT1_,"axG",@progbits,_ZN7rocprim17ROCPRIM_400000_NS6detail17trampoline_kernelINS0_14default_configENS1_35adjacent_difference_config_selectorILb1ElEEZNS1_24adjacent_difference_implIS3_Lb1ELb0EPlS7_ZN2at6native12_GLOBAL__N_124unique_dim_cuda_templateIlEESt5tupleIJNS8_6TensorESD_SD_EERKSD_lbbbEUlllE1_EE10hipError_tPvRmT2_T3_mT4_P12ihipStream_tbEUlT_E_NS1_11comp_targetILNS1_3genE9ELNS1_11target_archE1100ELNS1_3gpuE3ELNS1_3repE0EEENS1_30default_config_static_selectorELNS0_4arch9wavefront6targetE1EEEvT1_,comdat
.Lfunc_end561:
	.size	_ZN7rocprim17ROCPRIM_400000_NS6detail17trampoline_kernelINS0_14default_configENS1_35adjacent_difference_config_selectorILb1ElEEZNS1_24adjacent_difference_implIS3_Lb1ELb0EPlS7_ZN2at6native12_GLOBAL__N_124unique_dim_cuda_templateIlEESt5tupleIJNS8_6TensorESD_SD_EERKSD_lbbbEUlllE1_EE10hipError_tPvRmT2_T3_mT4_P12ihipStream_tbEUlT_E_NS1_11comp_targetILNS1_3genE9ELNS1_11target_archE1100ELNS1_3gpuE3ELNS1_3repE0EEENS1_30default_config_static_selectorELNS0_4arch9wavefront6targetE1EEEvT1_, .Lfunc_end561-_ZN7rocprim17ROCPRIM_400000_NS6detail17trampoline_kernelINS0_14default_configENS1_35adjacent_difference_config_selectorILb1ElEEZNS1_24adjacent_difference_implIS3_Lb1ELb0EPlS7_ZN2at6native12_GLOBAL__N_124unique_dim_cuda_templateIlEESt5tupleIJNS8_6TensorESD_SD_EERKSD_lbbbEUlllE1_EE10hipError_tPvRmT2_T3_mT4_P12ihipStream_tbEUlT_E_NS1_11comp_targetILNS1_3genE9ELNS1_11target_archE1100ELNS1_3gpuE3ELNS1_3repE0EEENS1_30default_config_static_selectorELNS0_4arch9wavefront6targetE1EEEvT1_
                                        ; -- End function
	.section	.AMDGPU.csdata,"",@progbits
; Kernel info:
; codeLenInByte = 0
; NumSgprs: 4
; NumVgprs: 0
; NumAgprs: 0
; TotalNumVgprs: 0
; ScratchSize: 0
; MemoryBound: 0
; FloatMode: 240
; IeeeMode: 1
; LDSByteSize: 0 bytes/workgroup (compile time only)
; SGPRBlocks: 0
; VGPRBlocks: 0
; NumSGPRsForWavesPerEU: 4
; NumVGPRsForWavesPerEU: 1
; AccumOffset: 4
; Occupancy: 8
; WaveLimiterHint : 0
; COMPUTE_PGM_RSRC2:SCRATCH_EN: 0
; COMPUTE_PGM_RSRC2:USER_SGPR: 6
; COMPUTE_PGM_RSRC2:TRAP_HANDLER: 0
; COMPUTE_PGM_RSRC2:TGID_X_EN: 1
; COMPUTE_PGM_RSRC2:TGID_Y_EN: 0
; COMPUTE_PGM_RSRC2:TGID_Z_EN: 0
; COMPUTE_PGM_RSRC2:TIDIG_COMP_CNT: 0
; COMPUTE_PGM_RSRC3_GFX90A:ACCUM_OFFSET: 0
; COMPUTE_PGM_RSRC3_GFX90A:TG_SPLIT: 0
	.section	.text._ZN7rocprim17ROCPRIM_400000_NS6detail17trampoline_kernelINS0_14default_configENS1_35adjacent_difference_config_selectorILb1ElEEZNS1_24adjacent_difference_implIS3_Lb1ELb0EPlS7_ZN2at6native12_GLOBAL__N_124unique_dim_cuda_templateIlEESt5tupleIJNS8_6TensorESD_SD_EERKSD_lbbbEUlllE1_EE10hipError_tPvRmT2_T3_mT4_P12ihipStream_tbEUlT_E_NS1_11comp_targetILNS1_3genE8ELNS1_11target_archE1030ELNS1_3gpuE2ELNS1_3repE0EEENS1_30default_config_static_selectorELNS0_4arch9wavefront6targetE1EEEvT1_,"axG",@progbits,_ZN7rocprim17ROCPRIM_400000_NS6detail17trampoline_kernelINS0_14default_configENS1_35adjacent_difference_config_selectorILb1ElEEZNS1_24adjacent_difference_implIS3_Lb1ELb0EPlS7_ZN2at6native12_GLOBAL__N_124unique_dim_cuda_templateIlEESt5tupleIJNS8_6TensorESD_SD_EERKSD_lbbbEUlllE1_EE10hipError_tPvRmT2_T3_mT4_P12ihipStream_tbEUlT_E_NS1_11comp_targetILNS1_3genE8ELNS1_11target_archE1030ELNS1_3gpuE2ELNS1_3repE0EEENS1_30default_config_static_selectorELNS0_4arch9wavefront6targetE1EEEvT1_,comdat
	.globl	_ZN7rocprim17ROCPRIM_400000_NS6detail17trampoline_kernelINS0_14default_configENS1_35adjacent_difference_config_selectorILb1ElEEZNS1_24adjacent_difference_implIS3_Lb1ELb0EPlS7_ZN2at6native12_GLOBAL__N_124unique_dim_cuda_templateIlEESt5tupleIJNS8_6TensorESD_SD_EERKSD_lbbbEUlllE1_EE10hipError_tPvRmT2_T3_mT4_P12ihipStream_tbEUlT_E_NS1_11comp_targetILNS1_3genE8ELNS1_11target_archE1030ELNS1_3gpuE2ELNS1_3repE0EEENS1_30default_config_static_selectorELNS0_4arch9wavefront6targetE1EEEvT1_ ; -- Begin function _ZN7rocprim17ROCPRIM_400000_NS6detail17trampoline_kernelINS0_14default_configENS1_35adjacent_difference_config_selectorILb1ElEEZNS1_24adjacent_difference_implIS3_Lb1ELb0EPlS7_ZN2at6native12_GLOBAL__N_124unique_dim_cuda_templateIlEESt5tupleIJNS8_6TensorESD_SD_EERKSD_lbbbEUlllE1_EE10hipError_tPvRmT2_T3_mT4_P12ihipStream_tbEUlT_E_NS1_11comp_targetILNS1_3genE8ELNS1_11target_archE1030ELNS1_3gpuE2ELNS1_3repE0EEENS1_30default_config_static_selectorELNS0_4arch9wavefront6targetE1EEEvT1_
	.p2align	8
	.type	_ZN7rocprim17ROCPRIM_400000_NS6detail17trampoline_kernelINS0_14default_configENS1_35adjacent_difference_config_selectorILb1ElEEZNS1_24adjacent_difference_implIS3_Lb1ELb0EPlS7_ZN2at6native12_GLOBAL__N_124unique_dim_cuda_templateIlEESt5tupleIJNS8_6TensorESD_SD_EERKSD_lbbbEUlllE1_EE10hipError_tPvRmT2_T3_mT4_P12ihipStream_tbEUlT_E_NS1_11comp_targetILNS1_3genE8ELNS1_11target_archE1030ELNS1_3gpuE2ELNS1_3repE0EEENS1_30default_config_static_selectorELNS0_4arch9wavefront6targetE1EEEvT1_,@function
_ZN7rocprim17ROCPRIM_400000_NS6detail17trampoline_kernelINS0_14default_configENS1_35adjacent_difference_config_selectorILb1ElEEZNS1_24adjacent_difference_implIS3_Lb1ELb0EPlS7_ZN2at6native12_GLOBAL__N_124unique_dim_cuda_templateIlEESt5tupleIJNS8_6TensorESD_SD_EERKSD_lbbbEUlllE1_EE10hipError_tPvRmT2_T3_mT4_P12ihipStream_tbEUlT_E_NS1_11comp_targetILNS1_3genE8ELNS1_11target_archE1030ELNS1_3gpuE2ELNS1_3repE0EEENS1_30default_config_static_selectorELNS0_4arch9wavefront6targetE1EEEvT1_: ; @_ZN7rocprim17ROCPRIM_400000_NS6detail17trampoline_kernelINS0_14default_configENS1_35adjacent_difference_config_selectorILb1ElEEZNS1_24adjacent_difference_implIS3_Lb1ELb0EPlS7_ZN2at6native12_GLOBAL__N_124unique_dim_cuda_templateIlEESt5tupleIJNS8_6TensorESD_SD_EERKSD_lbbbEUlllE1_EE10hipError_tPvRmT2_T3_mT4_P12ihipStream_tbEUlT_E_NS1_11comp_targetILNS1_3genE8ELNS1_11target_archE1030ELNS1_3gpuE2ELNS1_3repE0EEENS1_30default_config_static_selectorELNS0_4arch9wavefront6targetE1EEEvT1_
; %bb.0:
	.section	.rodata,"a",@progbits
	.p2align	6, 0x0
	.amdhsa_kernel _ZN7rocprim17ROCPRIM_400000_NS6detail17trampoline_kernelINS0_14default_configENS1_35adjacent_difference_config_selectorILb1ElEEZNS1_24adjacent_difference_implIS3_Lb1ELb0EPlS7_ZN2at6native12_GLOBAL__N_124unique_dim_cuda_templateIlEESt5tupleIJNS8_6TensorESD_SD_EERKSD_lbbbEUlllE1_EE10hipError_tPvRmT2_T3_mT4_P12ihipStream_tbEUlT_E_NS1_11comp_targetILNS1_3genE8ELNS1_11target_archE1030ELNS1_3gpuE2ELNS1_3repE0EEENS1_30default_config_static_selectorELNS0_4arch9wavefront6targetE1EEEvT1_
		.amdhsa_group_segment_fixed_size 0
		.amdhsa_private_segment_fixed_size 0
		.amdhsa_kernarg_size 64
		.amdhsa_user_sgpr_count 6
		.amdhsa_user_sgpr_private_segment_buffer 1
		.amdhsa_user_sgpr_dispatch_ptr 0
		.amdhsa_user_sgpr_queue_ptr 0
		.amdhsa_user_sgpr_kernarg_segment_ptr 1
		.amdhsa_user_sgpr_dispatch_id 0
		.amdhsa_user_sgpr_flat_scratch_init 0
		.amdhsa_user_sgpr_kernarg_preload_length 0
		.amdhsa_user_sgpr_kernarg_preload_offset 0
		.amdhsa_user_sgpr_private_segment_size 0
		.amdhsa_uses_dynamic_stack 0
		.amdhsa_system_sgpr_private_segment_wavefront_offset 0
		.amdhsa_system_sgpr_workgroup_id_x 1
		.amdhsa_system_sgpr_workgroup_id_y 0
		.amdhsa_system_sgpr_workgroup_id_z 0
		.amdhsa_system_sgpr_workgroup_info 0
		.amdhsa_system_vgpr_workitem_id 0
		.amdhsa_next_free_vgpr 1
		.amdhsa_next_free_sgpr 0
		.amdhsa_accum_offset 4
		.amdhsa_reserve_vcc 0
		.amdhsa_reserve_flat_scratch 0
		.amdhsa_float_round_mode_32 0
		.amdhsa_float_round_mode_16_64 0
		.amdhsa_float_denorm_mode_32 3
		.amdhsa_float_denorm_mode_16_64 3
		.amdhsa_dx10_clamp 1
		.amdhsa_ieee_mode 1
		.amdhsa_fp16_overflow 0
		.amdhsa_tg_split 0
		.amdhsa_exception_fp_ieee_invalid_op 0
		.amdhsa_exception_fp_denorm_src 0
		.amdhsa_exception_fp_ieee_div_zero 0
		.amdhsa_exception_fp_ieee_overflow 0
		.amdhsa_exception_fp_ieee_underflow 0
		.amdhsa_exception_fp_ieee_inexact 0
		.amdhsa_exception_int_div_zero 0
	.end_amdhsa_kernel
	.section	.text._ZN7rocprim17ROCPRIM_400000_NS6detail17trampoline_kernelINS0_14default_configENS1_35adjacent_difference_config_selectorILb1ElEEZNS1_24adjacent_difference_implIS3_Lb1ELb0EPlS7_ZN2at6native12_GLOBAL__N_124unique_dim_cuda_templateIlEESt5tupleIJNS8_6TensorESD_SD_EERKSD_lbbbEUlllE1_EE10hipError_tPvRmT2_T3_mT4_P12ihipStream_tbEUlT_E_NS1_11comp_targetILNS1_3genE8ELNS1_11target_archE1030ELNS1_3gpuE2ELNS1_3repE0EEENS1_30default_config_static_selectorELNS0_4arch9wavefront6targetE1EEEvT1_,"axG",@progbits,_ZN7rocprim17ROCPRIM_400000_NS6detail17trampoline_kernelINS0_14default_configENS1_35adjacent_difference_config_selectorILb1ElEEZNS1_24adjacent_difference_implIS3_Lb1ELb0EPlS7_ZN2at6native12_GLOBAL__N_124unique_dim_cuda_templateIlEESt5tupleIJNS8_6TensorESD_SD_EERKSD_lbbbEUlllE1_EE10hipError_tPvRmT2_T3_mT4_P12ihipStream_tbEUlT_E_NS1_11comp_targetILNS1_3genE8ELNS1_11target_archE1030ELNS1_3gpuE2ELNS1_3repE0EEENS1_30default_config_static_selectorELNS0_4arch9wavefront6targetE1EEEvT1_,comdat
.Lfunc_end562:
	.size	_ZN7rocprim17ROCPRIM_400000_NS6detail17trampoline_kernelINS0_14default_configENS1_35adjacent_difference_config_selectorILb1ElEEZNS1_24adjacent_difference_implIS3_Lb1ELb0EPlS7_ZN2at6native12_GLOBAL__N_124unique_dim_cuda_templateIlEESt5tupleIJNS8_6TensorESD_SD_EERKSD_lbbbEUlllE1_EE10hipError_tPvRmT2_T3_mT4_P12ihipStream_tbEUlT_E_NS1_11comp_targetILNS1_3genE8ELNS1_11target_archE1030ELNS1_3gpuE2ELNS1_3repE0EEENS1_30default_config_static_selectorELNS0_4arch9wavefront6targetE1EEEvT1_, .Lfunc_end562-_ZN7rocprim17ROCPRIM_400000_NS6detail17trampoline_kernelINS0_14default_configENS1_35adjacent_difference_config_selectorILb1ElEEZNS1_24adjacent_difference_implIS3_Lb1ELb0EPlS7_ZN2at6native12_GLOBAL__N_124unique_dim_cuda_templateIlEESt5tupleIJNS8_6TensorESD_SD_EERKSD_lbbbEUlllE1_EE10hipError_tPvRmT2_T3_mT4_P12ihipStream_tbEUlT_E_NS1_11comp_targetILNS1_3genE8ELNS1_11target_archE1030ELNS1_3gpuE2ELNS1_3repE0EEENS1_30default_config_static_selectorELNS0_4arch9wavefront6targetE1EEEvT1_
                                        ; -- End function
	.section	.AMDGPU.csdata,"",@progbits
; Kernel info:
; codeLenInByte = 0
; NumSgprs: 4
; NumVgprs: 0
; NumAgprs: 0
; TotalNumVgprs: 0
; ScratchSize: 0
; MemoryBound: 0
; FloatMode: 240
; IeeeMode: 1
; LDSByteSize: 0 bytes/workgroup (compile time only)
; SGPRBlocks: 0
; VGPRBlocks: 0
; NumSGPRsForWavesPerEU: 4
; NumVGPRsForWavesPerEU: 1
; AccumOffset: 4
; Occupancy: 8
; WaveLimiterHint : 0
; COMPUTE_PGM_RSRC2:SCRATCH_EN: 0
; COMPUTE_PGM_RSRC2:USER_SGPR: 6
; COMPUTE_PGM_RSRC2:TRAP_HANDLER: 0
; COMPUTE_PGM_RSRC2:TGID_X_EN: 1
; COMPUTE_PGM_RSRC2:TGID_Y_EN: 0
; COMPUTE_PGM_RSRC2:TGID_Z_EN: 0
; COMPUTE_PGM_RSRC2:TIDIG_COMP_CNT: 0
; COMPUTE_PGM_RSRC3_GFX90A:ACCUM_OFFSET: 0
; COMPUTE_PGM_RSRC3_GFX90A:TG_SPLIT: 0
	.section	.text._ZN7rocprim17ROCPRIM_400000_NS6detail17trampoline_kernelINS0_14default_configENS1_25partition_config_selectorILNS1_17partition_subalgoE8ElNS0_10empty_typeEbEEZZNS1_14partition_implILS5_8ELb0ES3_jPlPS6_PKS6_NS0_5tupleIJS9_S6_EEENSD_IJSA_SA_EEENS0_18inequality_wrapperIZN2at6native12_GLOBAL__N_124unique_dim_cuda_templateIlEESt5tupleIJNSH_6TensorESM_SM_EERKSM_lbbbEUlllE0_EEPmJS6_EEE10hipError_tPvRmT3_T4_T5_T6_T7_T9_mT8_P12ihipStream_tbDpT10_ENKUlT_T0_E_clISt17integral_constantIbLb0EES1C_EEDaS17_S18_EUlS17_E_NS1_11comp_targetILNS1_3genE0ELNS1_11target_archE4294967295ELNS1_3gpuE0ELNS1_3repE0EEENS1_30default_config_static_selectorELNS0_4arch9wavefront6targetE1EEEvT1_,"axG",@progbits,_ZN7rocprim17ROCPRIM_400000_NS6detail17trampoline_kernelINS0_14default_configENS1_25partition_config_selectorILNS1_17partition_subalgoE8ElNS0_10empty_typeEbEEZZNS1_14partition_implILS5_8ELb0ES3_jPlPS6_PKS6_NS0_5tupleIJS9_S6_EEENSD_IJSA_SA_EEENS0_18inequality_wrapperIZN2at6native12_GLOBAL__N_124unique_dim_cuda_templateIlEESt5tupleIJNSH_6TensorESM_SM_EERKSM_lbbbEUlllE0_EEPmJS6_EEE10hipError_tPvRmT3_T4_T5_T6_T7_T9_mT8_P12ihipStream_tbDpT10_ENKUlT_T0_E_clISt17integral_constantIbLb0EES1C_EEDaS17_S18_EUlS17_E_NS1_11comp_targetILNS1_3genE0ELNS1_11target_archE4294967295ELNS1_3gpuE0ELNS1_3repE0EEENS1_30default_config_static_selectorELNS0_4arch9wavefront6targetE1EEEvT1_,comdat
	.globl	_ZN7rocprim17ROCPRIM_400000_NS6detail17trampoline_kernelINS0_14default_configENS1_25partition_config_selectorILNS1_17partition_subalgoE8ElNS0_10empty_typeEbEEZZNS1_14partition_implILS5_8ELb0ES3_jPlPS6_PKS6_NS0_5tupleIJS9_S6_EEENSD_IJSA_SA_EEENS0_18inequality_wrapperIZN2at6native12_GLOBAL__N_124unique_dim_cuda_templateIlEESt5tupleIJNSH_6TensorESM_SM_EERKSM_lbbbEUlllE0_EEPmJS6_EEE10hipError_tPvRmT3_T4_T5_T6_T7_T9_mT8_P12ihipStream_tbDpT10_ENKUlT_T0_E_clISt17integral_constantIbLb0EES1C_EEDaS17_S18_EUlS17_E_NS1_11comp_targetILNS1_3genE0ELNS1_11target_archE4294967295ELNS1_3gpuE0ELNS1_3repE0EEENS1_30default_config_static_selectorELNS0_4arch9wavefront6targetE1EEEvT1_ ; -- Begin function _ZN7rocprim17ROCPRIM_400000_NS6detail17trampoline_kernelINS0_14default_configENS1_25partition_config_selectorILNS1_17partition_subalgoE8ElNS0_10empty_typeEbEEZZNS1_14partition_implILS5_8ELb0ES3_jPlPS6_PKS6_NS0_5tupleIJS9_S6_EEENSD_IJSA_SA_EEENS0_18inequality_wrapperIZN2at6native12_GLOBAL__N_124unique_dim_cuda_templateIlEESt5tupleIJNSH_6TensorESM_SM_EERKSM_lbbbEUlllE0_EEPmJS6_EEE10hipError_tPvRmT3_T4_T5_T6_T7_T9_mT8_P12ihipStream_tbDpT10_ENKUlT_T0_E_clISt17integral_constantIbLb0EES1C_EEDaS17_S18_EUlS17_E_NS1_11comp_targetILNS1_3genE0ELNS1_11target_archE4294967295ELNS1_3gpuE0ELNS1_3repE0EEENS1_30default_config_static_selectorELNS0_4arch9wavefront6targetE1EEEvT1_
	.p2align	8
	.type	_ZN7rocprim17ROCPRIM_400000_NS6detail17trampoline_kernelINS0_14default_configENS1_25partition_config_selectorILNS1_17partition_subalgoE8ElNS0_10empty_typeEbEEZZNS1_14partition_implILS5_8ELb0ES3_jPlPS6_PKS6_NS0_5tupleIJS9_S6_EEENSD_IJSA_SA_EEENS0_18inequality_wrapperIZN2at6native12_GLOBAL__N_124unique_dim_cuda_templateIlEESt5tupleIJNSH_6TensorESM_SM_EERKSM_lbbbEUlllE0_EEPmJS6_EEE10hipError_tPvRmT3_T4_T5_T6_T7_T9_mT8_P12ihipStream_tbDpT10_ENKUlT_T0_E_clISt17integral_constantIbLb0EES1C_EEDaS17_S18_EUlS17_E_NS1_11comp_targetILNS1_3genE0ELNS1_11target_archE4294967295ELNS1_3gpuE0ELNS1_3repE0EEENS1_30default_config_static_selectorELNS0_4arch9wavefront6targetE1EEEvT1_,@function
_ZN7rocprim17ROCPRIM_400000_NS6detail17trampoline_kernelINS0_14default_configENS1_25partition_config_selectorILNS1_17partition_subalgoE8ElNS0_10empty_typeEbEEZZNS1_14partition_implILS5_8ELb0ES3_jPlPS6_PKS6_NS0_5tupleIJS9_S6_EEENSD_IJSA_SA_EEENS0_18inequality_wrapperIZN2at6native12_GLOBAL__N_124unique_dim_cuda_templateIlEESt5tupleIJNSH_6TensorESM_SM_EERKSM_lbbbEUlllE0_EEPmJS6_EEE10hipError_tPvRmT3_T4_T5_T6_T7_T9_mT8_P12ihipStream_tbDpT10_ENKUlT_T0_E_clISt17integral_constantIbLb0EES1C_EEDaS17_S18_EUlS17_E_NS1_11comp_targetILNS1_3genE0ELNS1_11target_archE4294967295ELNS1_3gpuE0ELNS1_3repE0EEENS1_30default_config_static_selectorELNS0_4arch9wavefront6targetE1EEEvT1_: ; @_ZN7rocprim17ROCPRIM_400000_NS6detail17trampoline_kernelINS0_14default_configENS1_25partition_config_selectorILNS1_17partition_subalgoE8ElNS0_10empty_typeEbEEZZNS1_14partition_implILS5_8ELb0ES3_jPlPS6_PKS6_NS0_5tupleIJS9_S6_EEENSD_IJSA_SA_EEENS0_18inequality_wrapperIZN2at6native12_GLOBAL__N_124unique_dim_cuda_templateIlEESt5tupleIJNSH_6TensorESM_SM_EERKSM_lbbbEUlllE0_EEPmJS6_EEE10hipError_tPvRmT3_T4_T5_T6_T7_T9_mT8_P12ihipStream_tbDpT10_ENKUlT_T0_E_clISt17integral_constantIbLb0EES1C_EEDaS17_S18_EUlS17_E_NS1_11comp_targetILNS1_3genE0ELNS1_11target_archE4294967295ELNS1_3gpuE0ELNS1_3repE0EEENS1_30default_config_static_selectorELNS0_4arch9wavefront6targetE1EEEvT1_
; %bb.0:
	.section	.rodata,"a",@progbits
	.p2align	6, 0x0
	.amdhsa_kernel _ZN7rocprim17ROCPRIM_400000_NS6detail17trampoline_kernelINS0_14default_configENS1_25partition_config_selectorILNS1_17partition_subalgoE8ElNS0_10empty_typeEbEEZZNS1_14partition_implILS5_8ELb0ES3_jPlPS6_PKS6_NS0_5tupleIJS9_S6_EEENSD_IJSA_SA_EEENS0_18inequality_wrapperIZN2at6native12_GLOBAL__N_124unique_dim_cuda_templateIlEESt5tupleIJNSH_6TensorESM_SM_EERKSM_lbbbEUlllE0_EEPmJS6_EEE10hipError_tPvRmT3_T4_T5_T6_T7_T9_mT8_P12ihipStream_tbDpT10_ENKUlT_T0_E_clISt17integral_constantIbLb0EES1C_EEDaS17_S18_EUlS17_E_NS1_11comp_targetILNS1_3genE0ELNS1_11target_archE4294967295ELNS1_3gpuE0ELNS1_3repE0EEENS1_30default_config_static_selectorELNS0_4arch9wavefront6targetE1EEEvT1_
		.amdhsa_group_segment_fixed_size 0
		.amdhsa_private_segment_fixed_size 0
		.amdhsa_kernarg_size 120
		.amdhsa_user_sgpr_count 6
		.amdhsa_user_sgpr_private_segment_buffer 1
		.amdhsa_user_sgpr_dispatch_ptr 0
		.amdhsa_user_sgpr_queue_ptr 0
		.amdhsa_user_sgpr_kernarg_segment_ptr 1
		.amdhsa_user_sgpr_dispatch_id 0
		.amdhsa_user_sgpr_flat_scratch_init 0
		.amdhsa_user_sgpr_kernarg_preload_length 0
		.amdhsa_user_sgpr_kernarg_preload_offset 0
		.amdhsa_user_sgpr_private_segment_size 0
		.amdhsa_uses_dynamic_stack 0
		.amdhsa_system_sgpr_private_segment_wavefront_offset 0
		.amdhsa_system_sgpr_workgroup_id_x 1
		.amdhsa_system_sgpr_workgroup_id_y 0
		.amdhsa_system_sgpr_workgroup_id_z 0
		.amdhsa_system_sgpr_workgroup_info 0
		.amdhsa_system_vgpr_workitem_id 0
		.amdhsa_next_free_vgpr 1
		.amdhsa_next_free_sgpr 0
		.amdhsa_accum_offset 4
		.amdhsa_reserve_vcc 0
		.amdhsa_reserve_flat_scratch 0
		.amdhsa_float_round_mode_32 0
		.amdhsa_float_round_mode_16_64 0
		.amdhsa_float_denorm_mode_32 3
		.amdhsa_float_denorm_mode_16_64 3
		.amdhsa_dx10_clamp 1
		.amdhsa_ieee_mode 1
		.amdhsa_fp16_overflow 0
		.amdhsa_tg_split 0
		.amdhsa_exception_fp_ieee_invalid_op 0
		.amdhsa_exception_fp_denorm_src 0
		.amdhsa_exception_fp_ieee_div_zero 0
		.amdhsa_exception_fp_ieee_overflow 0
		.amdhsa_exception_fp_ieee_underflow 0
		.amdhsa_exception_fp_ieee_inexact 0
		.amdhsa_exception_int_div_zero 0
	.end_amdhsa_kernel
	.section	.text._ZN7rocprim17ROCPRIM_400000_NS6detail17trampoline_kernelINS0_14default_configENS1_25partition_config_selectorILNS1_17partition_subalgoE8ElNS0_10empty_typeEbEEZZNS1_14partition_implILS5_8ELb0ES3_jPlPS6_PKS6_NS0_5tupleIJS9_S6_EEENSD_IJSA_SA_EEENS0_18inequality_wrapperIZN2at6native12_GLOBAL__N_124unique_dim_cuda_templateIlEESt5tupleIJNSH_6TensorESM_SM_EERKSM_lbbbEUlllE0_EEPmJS6_EEE10hipError_tPvRmT3_T4_T5_T6_T7_T9_mT8_P12ihipStream_tbDpT10_ENKUlT_T0_E_clISt17integral_constantIbLb0EES1C_EEDaS17_S18_EUlS17_E_NS1_11comp_targetILNS1_3genE0ELNS1_11target_archE4294967295ELNS1_3gpuE0ELNS1_3repE0EEENS1_30default_config_static_selectorELNS0_4arch9wavefront6targetE1EEEvT1_,"axG",@progbits,_ZN7rocprim17ROCPRIM_400000_NS6detail17trampoline_kernelINS0_14default_configENS1_25partition_config_selectorILNS1_17partition_subalgoE8ElNS0_10empty_typeEbEEZZNS1_14partition_implILS5_8ELb0ES3_jPlPS6_PKS6_NS0_5tupleIJS9_S6_EEENSD_IJSA_SA_EEENS0_18inequality_wrapperIZN2at6native12_GLOBAL__N_124unique_dim_cuda_templateIlEESt5tupleIJNSH_6TensorESM_SM_EERKSM_lbbbEUlllE0_EEPmJS6_EEE10hipError_tPvRmT3_T4_T5_T6_T7_T9_mT8_P12ihipStream_tbDpT10_ENKUlT_T0_E_clISt17integral_constantIbLb0EES1C_EEDaS17_S18_EUlS17_E_NS1_11comp_targetILNS1_3genE0ELNS1_11target_archE4294967295ELNS1_3gpuE0ELNS1_3repE0EEENS1_30default_config_static_selectorELNS0_4arch9wavefront6targetE1EEEvT1_,comdat
.Lfunc_end563:
	.size	_ZN7rocprim17ROCPRIM_400000_NS6detail17trampoline_kernelINS0_14default_configENS1_25partition_config_selectorILNS1_17partition_subalgoE8ElNS0_10empty_typeEbEEZZNS1_14partition_implILS5_8ELb0ES3_jPlPS6_PKS6_NS0_5tupleIJS9_S6_EEENSD_IJSA_SA_EEENS0_18inequality_wrapperIZN2at6native12_GLOBAL__N_124unique_dim_cuda_templateIlEESt5tupleIJNSH_6TensorESM_SM_EERKSM_lbbbEUlllE0_EEPmJS6_EEE10hipError_tPvRmT3_T4_T5_T6_T7_T9_mT8_P12ihipStream_tbDpT10_ENKUlT_T0_E_clISt17integral_constantIbLb0EES1C_EEDaS17_S18_EUlS17_E_NS1_11comp_targetILNS1_3genE0ELNS1_11target_archE4294967295ELNS1_3gpuE0ELNS1_3repE0EEENS1_30default_config_static_selectorELNS0_4arch9wavefront6targetE1EEEvT1_, .Lfunc_end563-_ZN7rocprim17ROCPRIM_400000_NS6detail17trampoline_kernelINS0_14default_configENS1_25partition_config_selectorILNS1_17partition_subalgoE8ElNS0_10empty_typeEbEEZZNS1_14partition_implILS5_8ELb0ES3_jPlPS6_PKS6_NS0_5tupleIJS9_S6_EEENSD_IJSA_SA_EEENS0_18inequality_wrapperIZN2at6native12_GLOBAL__N_124unique_dim_cuda_templateIlEESt5tupleIJNSH_6TensorESM_SM_EERKSM_lbbbEUlllE0_EEPmJS6_EEE10hipError_tPvRmT3_T4_T5_T6_T7_T9_mT8_P12ihipStream_tbDpT10_ENKUlT_T0_E_clISt17integral_constantIbLb0EES1C_EEDaS17_S18_EUlS17_E_NS1_11comp_targetILNS1_3genE0ELNS1_11target_archE4294967295ELNS1_3gpuE0ELNS1_3repE0EEENS1_30default_config_static_selectorELNS0_4arch9wavefront6targetE1EEEvT1_
                                        ; -- End function
	.section	.AMDGPU.csdata,"",@progbits
; Kernel info:
; codeLenInByte = 0
; NumSgprs: 4
; NumVgprs: 0
; NumAgprs: 0
; TotalNumVgprs: 0
; ScratchSize: 0
; MemoryBound: 0
; FloatMode: 240
; IeeeMode: 1
; LDSByteSize: 0 bytes/workgroup (compile time only)
; SGPRBlocks: 0
; VGPRBlocks: 0
; NumSGPRsForWavesPerEU: 4
; NumVGPRsForWavesPerEU: 1
; AccumOffset: 4
; Occupancy: 8
; WaveLimiterHint : 0
; COMPUTE_PGM_RSRC2:SCRATCH_EN: 0
; COMPUTE_PGM_RSRC2:USER_SGPR: 6
; COMPUTE_PGM_RSRC2:TRAP_HANDLER: 0
; COMPUTE_PGM_RSRC2:TGID_X_EN: 1
; COMPUTE_PGM_RSRC2:TGID_Y_EN: 0
; COMPUTE_PGM_RSRC2:TGID_Z_EN: 0
; COMPUTE_PGM_RSRC2:TIDIG_COMP_CNT: 0
; COMPUTE_PGM_RSRC3_GFX90A:ACCUM_OFFSET: 0
; COMPUTE_PGM_RSRC3_GFX90A:TG_SPLIT: 0
	.section	.text._ZN7rocprim17ROCPRIM_400000_NS6detail17trampoline_kernelINS0_14default_configENS1_25partition_config_selectorILNS1_17partition_subalgoE8ElNS0_10empty_typeEbEEZZNS1_14partition_implILS5_8ELb0ES3_jPlPS6_PKS6_NS0_5tupleIJS9_S6_EEENSD_IJSA_SA_EEENS0_18inequality_wrapperIZN2at6native12_GLOBAL__N_124unique_dim_cuda_templateIlEESt5tupleIJNSH_6TensorESM_SM_EERKSM_lbbbEUlllE0_EEPmJS6_EEE10hipError_tPvRmT3_T4_T5_T6_T7_T9_mT8_P12ihipStream_tbDpT10_ENKUlT_T0_E_clISt17integral_constantIbLb0EES1C_EEDaS17_S18_EUlS17_E_NS1_11comp_targetILNS1_3genE5ELNS1_11target_archE942ELNS1_3gpuE9ELNS1_3repE0EEENS1_30default_config_static_selectorELNS0_4arch9wavefront6targetE1EEEvT1_,"axG",@progbits,_ZN7rocprim17ROCPRIM_400000_NS6detail17trampoline_kernelINS0_14default_configENS1_25partition_config_selectorILNS1_17partition_subalgoE8ElNS0_10empty_typeEbEEZZNS1_14partition_implILS5_8ELb0ES3_jPlPS6_PKS6_NS0_5tupleIJS9_S6_EEENSD_IJSA_SA_EEENS0_18inequality_wrapperIZN2at6native12_GLOBAL__N_124unique_dim_cuda_templateIlEESt5tupleIJNSH_6TensorESM_SM_EERKSM_lbbbEUlllE0_EEPmJS6_EEE10hipError_tPvRmT3_T4_T5_T6_T7_T9_mT8_P12ihipStream_tbDpT10_ENKUlT_T0_E_clISt17integral_constantIbLb0EES1C_EEDaS17_S18_EUlS17_E_NS1_11comp_targetILNS1_3genE5ELNS1_11target_archE942ELNS1_3gpuE9ELNS1_3repE0EEENS1_30default_config_static_selectorELNS0_4arch9wavefront6targetE1EEEvT1_,comdat
	.globl	_ZN7rocprim17ROCPRIM_400000_NS6detail17trampoline_kernelINS0_14default_configENS1_25partition_config_selectorILNS1_17partition_subalgoE8ElNS0_10empty_typeEbEEZZNS1_14partition_implILS5_8ELb0ES3_jPlPS6_PKS6_NS0_5tupleIJS9_S6_EEENSD_IJSA_SA_EEENS0_18inequality_wrapperIZN2at6native12_GLOBAL__N_124unique_dim_cuda_templateIlEESt5tupleIJNSH_6TensorESM_SM_EERKSM_lbbbEUlllE0_EEPmJS6_EEE10hipError_tPvRmT3_T4_T5_T6_T7_T9_mT8_P12ihipStream_tbDpT10_ENKUlT_T0_E_clISt17integral_constantIbLb0EES1C_EEDaS17_S18_EUlS17_E_NS1_11comp_targetILNS1_3genE5ELNS1_11target_archE942ELNS1_3gpuE9ELNS1_3repE0EEENS1_30default_config_static_selectorELNS0_4arch9wavefront6targetE1EEEvT1_ ; -- Begin function _ZN7rocprim17ROCPRIM_400000_NS6detail17trampoline_kernelINS0_14default_configENS1_25partition_config_selectorILNS1_17partition_subalgoE8ElNS0_10empty_typeEbEEZZNS1_14partition_implILS5_8ELb0ES3_jPlPS6_PKS6_NS0_5tupleIJS9_S6_EEENSD_IJSA_SA_EEENS0_18inequality_wrapperIZN2at6native12_GLOBAL__N_124unique_dim_cuda_templateIlEESt5tupleIJNSH_6TensorESM_SM_EERKSM_lbbbEUlllE0_EEPmJS6_EEE10hipError_tPvRmT3_T4_T5_T6_T7_T9_mT8_P12ihipStream_tbDpT10_ENKUlT_T0_E_clISt17integral_constantIbLb0EES1C_EEDaS17_S18_EUlS17_E_NS1_11comp_targetILNS1_3genE5ELNS1_11target_archE942ELNS1_3gpuE9ELNS1_3repE0EEENS1_30default_config_static_selectorELNS0_4arch9wavefront6targetE1EEEvT1_
	.p2align	8
	.type	_ZN7rocprim17ROCPRIM_400000_NS6detail17trampoline_kernelINS0_14default_configENS1_25partition_config_selectorILNS1_17partition_subalgoE8ElNS0_10empty_typeEbEEZZNS1_14partition_implILS5_8ELb0ES3_jPlPS6_PKS6_NS0_5tupleIJS9_S6_EEENSD_IJSA_SA_EEENS0_18inequality_wrapperIZN2at6native12_GLOBAL__N_124unique_dim_cuda_templateIlEESt5tupleIJNSH_6TensorESM_SM_EERKSM_lbbbEUlllE0_EEPmJS6_EEE10hipError_tPvRmT3_T4_T5_T6_T7_T9_mT8_P12ihipStream_tbDpT10_ENKUlT_T0_E_clISt17integral_constantIbLb0EES1C_EEDaS17_S18_EUlS17_E_NS1_11comp_targetILNS1_3genE5ELNS1_11target_archE942ELNS1_3gpuE9ELNS1_3repE0EEENS1_30default_config_static_selectorELNS0_4arch9wavefront6targetE1EEEvT1_,@function
_ZN7rocprim17ROCPRIM_400000_NS6detail17trampoline_kernelINS0_14default_configENS1_25partition_config_selectorILNS1_17partition_subalgoE8ElNS0_10empty_typeEbEEZZNS1_14partition_implILS5_8ELb0ES3_jPlPS6_PKS6_NS0_5tupleIJS9_S6_EEENSD_IJSA_SA_EEENS0_18inequality_wrapperIZN2at6native12_GLOBAL__N_124unique_dim_cuda_templateIlEESt5tupleIJNSH_6TensorESM_SM_EERKSM_lbbbEUlllE0_EEPmJS6_EEE10hipError_tPvRmT3_T4_T5_T6_T7_T9_mT8_P12ihipStream_tbDpT10_ENKUlT_T0_E_clISt17integral_constantIbLb0EES1C_EEDaS17_S18_EUlS17_E_NS1_11comp_targetILNS1_3genE5ELNS1_11target_archE942ELNS1_3gpuE9ELNS1_3repE0EEENS1_30default_config_static_selectorELNS0_4arch9wavefront6targetE1EEEvT1_: ; @_ZN7rocprim17ROCPRIM_400000_NS6detail17trampoline_kernelINS0_14default_configENS1_25partition_config_selectorILNS1_17partition_subalgoE8ElNS0_10empty_typeEbEEZZNS1_14partition_implILS5_8ELb0ES3_jPlPS6_PKS6_NS0_5tupleIJS9_S6_EEENSD_IJSA_SA_EEENS0_18inequality_wrapperIZN2at6native12_GLOBAL__N_124unique_dim_cuda_templateIlEESt5tupleIJNSH_6TensorESM_SM_EERKSM_lbbbEUlllE0_EEPmJS6_EEE10hipError_tPvRmT3_T4_T5_T6_T7_T9_mT8_P12ihipStream_tbDpT10_ENKUlT_T0_E_clISt17integral_constantIbLb0EES1C_EEDaS17_S18_EUlS17_E_NS1_11comp_targetILNS1_3genE5ELNS1_11target_archE942ELNS1_3gpuE9ELNS1_3repE0EEENS1_30default_config_static_selectorELNS0_4arch9wavefront6targetE1EEEvT1_
; %bb.0:
	.section	.rodata,"a",@progbits
	.p2align	6, 0x0
	.amdhsa_kernel _ZN7rocprim17ROCPRIM_400000_NS6detail17trampoline_kernelINS0_14default_configENS1_25partition_config_selectorILNS1_17partition_subalgoE8ElNS0_10empty_typeEbEEZZNS1_14partition_implILS5_8ELb0ES3_jPlPS6_PKS6_NS0_5tupleIJS9_S6_EEENSD_IJSA_SA_EEENS0_18inequality_wrapperIZN2at6native12_GLOBAL__N_124unique_dim_cuda_templateIlEESt5tupleIJNSH_6TensorESM_SM_EERKSM_lbbbEUlllE0_EEPmJS6_EEE10hipError_tPvRmT3_T4_T5_T6_T7_T9_mT8_P12ihipStream_tbDpT10_ENKUlT_T0_E_clISt17integral_constantIbLb0EES1C_EEDaS17_S18_EUlS17_E_NS1_11comp_targetILNS1_3genE5ELNS1_11target_archE942ELNS1_3gpuE9ELNS1_3repE0EEENS1_30default_config_static_selectorELNS0_4arch9wavefront6targetE1EEEvT1_
		.amdhsa_group_segment_fixed_size 0
		.amdhsa_private_segment_fixed_size 0
		.amdhsa_kernarg_size 120
		.amdhsa_user_sgpr_count 6
		.amdhsa_user_sgpr_private_segment_buffer 1
		.amdhsa_user_sgpr_dispatch_ptr 0
		.amdhsa_user_sgpr_queue_ptr 0
		.amdhsa_user_sgpr_kernarg_segment_ptr 1
		.amdhsa_user_sgpr_dispatch_id 0
		.amdhsa_user_sgpr_flat_scratch_init 0
		.amdhsa_user_sgpr_kernarg_preload_length 0
		.amdhsa_user_sgpr_kernarg_preload_offset 0
		.amdhsa_user_sgpr_private_segment_size 0
		.amdhsa_uses_dynamic_stack 0
		.amdhsa_system_sgpr_private_segment_wavefront_offset 0
		.amdhsa_system_sgpr_workgroup_id_x 1
		.amdhsa_system_sgpr_workgroup_id_y 0
		.amdhsa_system_sgpr_workgroup_id_z 0
		.amdhsa_system_sgpr_workgroup_info 0
		.amdhsa_system_vgpr_workitem_id 0
		.amdhsa_next_free_vgpr 1
		.amdhsa_next_free_sgpr 0
		.amdhsa_accum_offset 4
		.amdhsa_reserve_vcc 0
		.amdhsa_reserve_flat_scratch 0
		.amdhsa_float_round_mode_32 0
		.amdhsa_float_round_mode_16_64 0
		.amdhsa_float_denorm_mode_32 3
		.amdhsa_float_denorm_mode_16_64 3
		.amdhsa_dx10_clamp 1
		.amdhsa_ieee_mode 1
		.amdhsa_fp16_overflow 0
		.amdhsa_tg_split 0
		.amdhsa_exception_fp_ieee_invalid_op 0
		.amdhsa_exception_fp_denorm_src 0
		.amdhsa_exception_fp_ieee_div_zero 0
		.amdhsa_exception_fp_ieee_overflow 0
		.amdhsa_exception_fp_ieee_underflow 0
		.amdhsa_exception_fp_ieee_inexact 0
		.amdhsa_exception_int_div_zero 0
	.end_amdhsa_kernel
	.section	.text._ZN7rocprim17ROCPRIM_400000_NS6detail17trampoline_kernelINS0_14default_configENS1_25partition_config_selectorILNS1_17partition_subalgoE8ElNS0_10empty_typeEbEEZZNS1_14partition_implILS5_8ELb0ES3_jPlPS6_PKS6_NS0_5tupleIJS9_S6_EEENSD_IJSA_SA_EEENS0_18inequality_wrapperIZN2at6native12_GLOBAL__N_124unique_dim_cuda_templateIlEESt5tupleIJNSH_6TensorESM_SM_EERKSM_lbbbEUlllE0_EEPmJS6_EEE10hipError_tPvRmT3_T4_T5_T6_T7_T9_mT8_P12ihipStream_tbDpT10_ENKUlT_T0_E_clISt17integral_constantIbLb0EES1C_EEDaS17_S18_EUlS17_E_NS1_11comp_targetILNS1_3genE5ELNS1_11target_archE942ELNS1_3gpuE9ELNS1_3repE0EEENS1_30default_config_static_selectorELNS0_4arch9wavefront6targetE1EEEvT1_,"axG",@progbits,_ZN7rocprim17ROCPRIM_400000_NS6detail17trampoline_kernelINS0_14default_configENS1_25partition_config_selectorILNS1_17partition_subalgoE8ElNS0_10empty_typeEbEEZZNS1_14partition_implILS5_8ELb0ES3_jPlPS6_PKS6_NS0_5tupleIJS9_S6_EEENSD_IJSA_SA_EEENS0_18inequality_wrapperIZN2at6native12_GLOBAL__N_124unique_dim_cuda_templateIlEESt5tupleIJNSH_6TensorESM_SM_EERKSM_lbbbEUlllE0_EEPmJS6_EEE10hipError_tPvRmT3_T4_T5_T6_T7_T9_mT8_P12ihipStream_tbDpT10_ENKUlT_T0_E_clISt17integral_constantIbLb0EES1C_EEDaS17_S18_EUlS17_E_NS1_11comp_targetILNS1_3genE5ELNS1_11target_archE942ELNS1_3gpuE9ELNS1_3repE0EEENS1_30default_config_static_selectorELNS0_4arch9wavefront6targetE1EEEvT1_,comdat
.Lfunc_end564:
	.size	_ZN7rocprim17ROCPRIM_400000_NS6detail17trampoline_kernelINS0_14default_configENS1_25partition_config_selectorILNS1_17partition_subalgoE8ElNS0_10empty_typeEbEEZZNS1_14partition_implILS5_8ELb0ES3_jPlPS6_PKS6_NS0_5tupleIJS9_S6_EEENSD_IJSA_SA_EEENS0_18inequality_wrapperIZN2at6native12_GLOBAL__N_124unique_dim_cuda_templateIlEESt5tupleIJNSH_6TensorESM_SM_EERKSM_lbbbEUlllE0_EEPmJS6_EEE10hipError_tPvRmT3_T4_T5_T6_T7_T9_mT8_P12ihipStream_tbDpT10_ENKUlT_T0_E_clISt17integral_constantIbLb0EES1C_EEDaS17_S18_EUlS17_E_NS1_11comp_targetILNS1_3genE5ELNS1_11target_archE942ELNS1_3gpuE9ELNS1_3repE0EEENS1_30default_config_static_selectorELNS0_4arch9wavefront6targetE1EEEvT1_, .Lfunc_end564-_ZN7rocprim17ROCPRIM_400000_NS6detail17trampoline_kernelINS0_14default_configENS1_25partition_config_selectorILNS1_17partition_subalgoE8ElNS0_10empty_typeEbEEZZNS1_14partition_implILS5_8ELb0ES3_jPlPS6_PKS6_NS0_5tupleIJS9_S6_EEENSD_IJSA_SA_EEENS0_18inequality_wrapperIZN2at6native12_GLOBAL__N_124unique_dim_cuda_templateIlEESt5tupleIJNSH_6TensorESM_SM_EERKSM_lbbbEUlllE0_EEPmJS6_EEE10hipError_tPvRmT3_T4_T5_T6_T7_T9_mT8_P12ihipStream_tbDpT10_ENKUlT_T0_E_clISt17integral_constantIbLb0EES1C_EEDaS17_S18_EUlS17_E_NS1_11comp_targetILNS1_3genE5ELNS1_11target_archE942ELNS1_3gpuE9ELNS1_3repE0EEENS1_30default_config_static_selectorELNS0_4arch9wavefront6targetE1EEEvT1_
                                        ; -- End function
	.section	.AMDGPU.csdata,"",@progbits
; Kernel info:
; codeLenInByte = 0
; NumSgprs: 4
; NumVgprs: 0
; NumAgprs: 0
; TotalNumVgprs: 0
; ScratchSize: 0
; MemoryBound: 0
; FloatMode: 240
; IeeeMode: 1
; LDSByteSize: 0 bytes/workgroup (compile time only)
; SGPRBlocks: 0
; VGPRBlocks: 0
; NumSGPRsForWavesPerEU: 4
; NumVGPRsForWavesPerEU: 1
; AccumOffset: 4
; Occupancy: 8
; WaveLimiterHint : 0
; COMPUTE_PGM_RSRC2:SCRATCH_EN: 0
; COMPUTE_PGM_RSRC2:USER_SGPR: 6
; COMPUTE_PGM_RSRC2:TRAP_HANDLER: 0
; COMPUTE_PGM_RSRC2:TGID_X_EN: 1
; COMPUTE_PGM_RSRC2:TGID_Y_EN: 0
; COMPUTE_PGM_RSRC2:TGID_Z_EN: 0
; COMPUTE_PGM_RSRC2:TIDIG_COMP_CNT: 0
; COMPUTE_PGM_RSRC3_GFX90A:ACCUM_OFFSET: 0
; COMPUTE_PGM_RSRC3_GFX90A:TG_SPLIT: 0
	.section	.text._ZN7rocprim17ROCPRIM_400000_NS6detail17trampoline_kernelINS0_14default_configENS1_25partition_config_selectorILNS1_17partition_subalgoE8ElNS0_10empty_typeEbEEZZNS1_14partition_implILS5_8ELb0ES3_jPlPS6_PKS6_NS0_5tupleIJS9_S6_EEENSD_IJSA_SA_EEENS0_18inequality_wrapperIZN2at6native12_GLOBAL__N_124unique_dim_cuda_templateIlEESt5tupleIJNSH_6TensorESM_SM_EERKSM_lbbbEUlllE0_EEPmJS6_EEE10hipError_tPvRmT3_T4_T5_T6_T7_T9_mT8_P12ihipStream_tbDpT10_ENKUlT_T0_E_clISt17integral_constantIbLb0EES1C_EEDaS17_S18_EUlS17_E_NS1_11comp_targetILNS1_3genE4ELNS1_11target_archE910ELNS1_3gpuE8ELNS1_3repE0EEENS1_30default_config_static_selectorELNS0_4arch9wavefront6targetE1EEEvT1_,"axG",@progbits,_ZN7rocprim17ROCPRIM_400000_NS6detail17trampoline_kernelINS0_14default_configENS1_25partition_config_selectorILNS1_17partition_subalgoE8ElNS0_10empty_typeEbEEZZNS1_14partition_implILS5_8ELb0ES3_jPlPS6_PKS6_NS0_5tupleIJS9_S6_EEENSD_IJSA_SA_EEENS0_18inequality_wrapperIZN2at6native12_GLOBAL__N_124unique_dim_cuda_templateIlEESt5tupleIJNSH_6TensorESM_SM_EERKSM_lbbbEUlllE0_EEPmJS6_EEE10hipError_tPvRmT3_T4_T5_T6_T7_T9_mT8_P12ihipStream_tbDpT10_ENKUlT_T0_E_clISt17integral_constantIbLb0EES1C_EEDaS17_S18_EUlS17_E_NS1_11comp_targetILNS1_3genE4ELNS1_11target_archE910ELNS1_3gpuE8ELNS1_3repE0EEENS1_30default_config_static_selectorELNS0_4arch9wavefront6targetE1EEEvT1_,comdat
	.globl	_ZN7rocprim17ROCPRIM_400000_NS6detail17trampoline_kernelINS0_14default_configENS1_25partition_config_selectorILNS1_17partition_subalgoE8ElNS0_10empty_typeEbEEZZNS1_14partition_implILS5_8ELb0ES3_jPlPS6_PKS6_NS0_5tupleIJS9_S6_EEENSD_IJSA_SA_EEENS0_18inequality_wrapperIZN2at6native12_GLOBAL__N_124unique_dim_cuda_templateIlEESt5tupleIJNSH_6TensorESM_SM_EERKSM_lbbbEUlllE0_EEPmJS6_EEE10hipError_tPvRmT3_T4_T5_T6_T7_T9_mT8_P12ihipStream_tbDpT10_ENKUlT_T0_E_clISt17integral_constantIbLb0EES1C_EEDaS17_S18_EUlS17_E_NS1_11comp_targetILNS1_3genE4ELNS1_11target_archE910ELNS1_3gpuE8ELNS1_3repE0EEENS1_30default_config_static_selectorELNS0_4arch9wavefront6targetE1EEEvT1_ ; -- Begin function _ZN7rocprim17ROCPRIM_400000_NS6detail17trampoline_kernelINS0_14default_configENS1_25partition_config_selectorILNS1_17partition_subalgoE8ElNS0_10empty_typeEbEEZZNS1_14partition_implILS5_8ELb0ES3_jPlPS6_PKS6_NS0_5tupleIJS9_S6_EEENSD_IJSA_SA_EEENS0_18inequality_wrapperIZN2at6native12_GLOBAL__N_124unique_dim_cuda_templateIlEESt5tupleIJNSH_6TensorESM_SM_EERKSM_lbbbEUlllE0_EEPmJS6_EEE10hipError_tPvRmT3_T4_T5_T6_T7_T9_mT8_P12ihipStream_tbDpT10_ENKUlT_T0_E_clISt17integral_constantIbLb0EES1C_EEDaS17_S18_EUlS17_E_NS1_11comp_targetILNS1_3genE4ELNS1_11target_archE910ELNS1_3gpuE8ELNS1_3repE0EEENS1_30default_config_static_selectorELNS0_4arch9wavefront6targetE1EEEvT1_
	.p2align	8
	.type	_ZN7rocprim17ROCPRIM_400000_NS6detail17trampoline_kernelINS0_14default_configENS1_25partition_config_selectorILNS1_17partition_subalgoE8ElNS0_10empty_typeEbEEZZNS1_14partition_implILS5_8ELb0ES3_jPlPS6_PKS6_NS0_5tupleIJS9_S6_EEENSD_IJSA_SA_EEENS0_18inequality_wrapperIZN2at6native12_GLOBAL__N_124unique_dim_cuda_templateIlEESt5tupleIJNSH_6TensorESM_SM_EERKSM_lbbbEUlllE0_EEPmJS6_EEE10hipError_tPvRmT3_T4_T5_T6_T7_T9_mT8_P12ihipStream_tbDpT10_ENKUlT_T0_E_clISt17integral_constantIbLb0EES1C_EEDaS17_S18_EUlS17_E_NS1_11comp_targetILNS1_3genE4ELNS1_11target_archE910ELNS1_3gpuE8ELNS1_3repE0EEENS1_30default_config_static_selectorELNS0_4arch9wavefront6targetE1EEEvT1_,@function
_ZN7rocprim17ROCPRIM_400000_NS6detail17trampoline_kernelINS0_14default_configENS1_25partition_config_selectorILNS1_17partition_subalgoE8ElNS0_10empty_typeEbEEZZNS1_14partition_implILS5_8ELb0ES3_jPlPS6_PKS6_NS0_5tupleIJS9_S6_EEENSD_IJSA_SA_EEENS0_18inequality_wrapperIZN2at6native12_GLOBAL__N_124unique_dim_cuda_templateIlEESt5tupleIJNSH_6TensorESM_SM_EERKSM_lbbbEUlllE0_EEPmJS6_EEE10hipError_tPvRmT3_T4_T5_T6_T7_T9_mT8_P12ihipStream_tbDpT10_ENKUlT_T0_E_clISt17integral_constantIbLb0EES1C_EEDaS17_S18_EUlS17_E_NS1_11comp_targetILNS1_3genE4ELNS1_11target_archE910ELNS1_3gpuE8ELNS1_3repE0EEENS1_30default_config_static_selectorELNS0_4arch9wavefront6targetE1EEEvT1_: ; @_ZN7rocprim17ROCPRIM_400000_NS6detail17trampoline_kernelINS0_14default_configENS1_25partition_config_selectorILNS1_17partition_subalgoE8ElNS0_10empty_typeEbEEZZNS1_14partition_implILS5_8ELb0ES3_jPlPS6_PKS6_NS0_5tupleIJS9_S6_EEENSD_IJSA_SA_EEENS0_18inequality_wrapperIZN2at6native12_GLOBAL__N_124unique_dim_cuda_templateIlEESt5tupleIJNSH_6TensorESM_SM_EERKSM_lbbbEUlllE0_EEPmJS6_EEE10hipError_tPvRmT3_T4_T5_T6_T7_T9_mT8_P12ihipStream_tbDpT10_ENKUlT_T0_E_clISt17integral_constantIbLb0EES1C_EEDaS17_S18_EUlS17_E_NS1_11comp_targetILNS1_3genE4ELNS1_11target_archE910ELNS1_3gpuE8ELNS1_3repE0EEENS1_30default_config_static_selectorELNS0_4arch9wavefront6targetE1EEEvT1_
; %bb.0:
	s_load_dwordx8 s[20:27], s[4:5], 0x40
	s_load_dwordx4 s[0:3], s[4:5], 0x8
	s_load_dwordx4 s[28:31], s[4:5], 0x60
	s_load_dword s7, s[4:5], 0x70
	s_waitcnt lgkmcnt(0)
	v_mov_b32_e32 v2, s24
	s_lshl_b64 s[8:9], s[2:3], 3
	s_add_u32 s12, s0, s8
	s_mul_i32 s8, s7, 0x500
	s_addc_u32 s13, s1, s9
	s_add_i32 s1, s8, s2
	s_add_i32 s10, s7, -1
	s_sub_i32 s7, s24, s1
	s_add_u32 s8, s2, s8
	s_addc_u32 s9, s3, 0
	v_mov_b32_e32 v3, s25
	s_cmp_eq_u32 s6, s10
	s_load_dwordx2 s[22:23], s[22:23], 0x0
	v_cmp_ge_u64_e32 vcc, s[8:9], v[2:3]
	s_cselect_b64 s[24:25], -1, 0
	s_mul_i32 s0, s6, 0x500
	s_mov_b32 s1, 0
	s_and_b64 s[10:11], s[24:25], vcc
	s_xor_b64 s[34:35], s[10:11], -1
	s_lshl_b64 s[0:1], s[0:1], 3
	s_add_u32 s0, s12, s0
	s_mov_b64 s[8:9], -1
	s_addc_u32 s1, s13, s1
	s_and_b64 vcc, exec, s[34:35]
	s_cbranch_vccz .LBB565_2
; %bb.1:
	v_lshlrev_b32_e32 v1, 3, v0
	v_mov_b32_e32 v2, s1
	v_add_co_u32_e32 v12, vcc, s0, v1
	v_addc_co_u32_e32 v13, vcc, 0, v2, vcc
	v_add_co_u32_e32 v2, vcc, 0x1000, v12
	v_addc_co_u32_e32 v3, vcc, 0, v13, vcc
	global_load_dwordx2 v[4:5], v1, s[0:1]
	global_load_dwordx2 v[6:7], v1, s[0:1] offset:2048
	global_load_dwordx2 v[8:9], v[2:3], off
	global_load_dwordx2 v[10:11], v[2:3], off offset:2048
	v_add_co_u32_e32 v2, vcc, 0x2000, v12
	v_addc_co_u32_e32 v3, vcc, 0, v13, vcc
	global_load_dwordx2 v[2:3], v[2:3], off
	s_mov_b64 s[8:9], 0
	s_waitcnt vmcnt(3)
	ds_write2st64_b64 v1, v[4:5], v[6:7] offset1:4
	s_waitcnt vmcnt(1)
	ds_write2st64_b64 v1, v[8:9], v[10:11] offset0:8 offset1:12
	s_waitcnt vmcnt(0)
	ds_write_b64 v1, v[2:3] offset:8192
	s_waitcnt lgkmcnt(0)
	s_barrier
.LBB565_2:
	s_andn2_b64 vcc, exec, s[8:9]
	s_addk_i32 s7, 0x500
	s_cbranch_vccnz .LBB565_14
; %bb.3:
	v_cmp_gt_u32_e32 vcc, s7, v0
                                        ; implicit-def: $vgpr2_vgpr3_vgpr4_vgpr5_vgpr6_vgpr7_vgpr8_vgpr9_vgpr10_vgpr11_vgpr12_vgpr13_vgpr14_vgpr15_vgpr16_vgpr17
	s_and_saveexec_b64 s[8:9], vcc
	s_cbranch_execz .LBB565_5
; %bb.4:
	v_lshlrev_b32_e32 v1, 3, v0
	global_load_dwordx2 v[2:3], v1, s[0:1]
.LBB565_5:
	s_or_b64 exec, exec, s[8:9]
	v_or_b32_e32 v1, 0x100, v0
	v_cmp_gt_u32_e32 vcc, s7, v1
	s_and_saveexec_b64 s[8:9], vcc
	s_cbranch_execz .LBB565_7
; %bb.6:
	v_lshlrev_b32_e32 v1, 3, v0
	global_load_dwordx2 v[4:5], v1, s[0:1] offset:2048
.LBB565_7:
	s_or_b64 exec, exec, s[8:9]
	v_or_b32_e32 v1, 0x200, v0
	v_cmp_gt_u32_e32 vcc, s7, v1
	s_and_saveexec_b64 s[8:9], vcc
	s_cbranch_execz .LBB565_9
; %bb.8:
	v_lshlrev_b32_e32 v1, 3, v1
	global_load_dwordx2 v[6:7], v1, s[0:1]
.LBB565_9:
	s_or_b64 exec, exec, s[8:9]
	v_or_b32_e32 v1, 0x300, v0
	v_cmp_gt_u32_e32 vcc, s7, v1
	s_and_saveexec_b64 s[8:9], vcc
	s_cbranch_execz .LBB565_11
; %bb.10:
	v_lshlrev_b32_e32 v1, 3, v1
	global_load_dwordx2 v[8:9], v1, s[0:1]
.LBB565_11:
	;; [unrolled: 9-line block ×3, first 2 shown]
	s_or_b64 exec, exec, s[8:9]
	v_lshlrev_b32_e32 v1, 3, v0
	s_waitcnt vmcnt(0)
	ds_write2st64_b64 v1, v[2:3], v[4:5] offset1:4
	ds_write2st64_b64 v1, v[6:7], v[8:9] offset0:8 offset1:12
	ds_write_b64 v1, v[10:11] offset:8192
	s_waitcnt lgkmcnt(0)
	s_barrier
.LBB565_14:
	v_mul_u32_u24_e32 v1, 5, v0
	v_lshlrev_b32_e32 v20, 3, v1
	s_waitcnt lgkmcnt(0)
	ds_read2_b64 v[6:9], v20 offset1:1
	ds_read2_b64 v[2:5], v20 offset0:2 offset1:3
	ds_read_b64 v[10:11], v20 offset:32
	s_cmp_lg_u32 s6, 0
	s_cselect_b64 s[16:17], -1, 0
	s_cmp_lg_u64 s[2:3], 0
	s_cselect_b64 s[2:3], -1, 0
	s_or_b64 s[2:3], s[16:17], s[2:3]
	v_mad_u32_u24 v24, v0, 5, 1
	v_mad_u32_u24 v22, v0, 5, 2
	;; [unrolled: 1-line block ×4, first 2 shown]
	s_mov_b64 s[12:13], 0
	s_and_b64 vcc, exec, s[2:3]
	v_cmp_gt_i64_e64 s[2:3], s[26:27], 0
	s_waitcnt lgkmcnt(0)
	s_barrier
	s_cbranch_vccz .LBB565_23
; %bb.15:
	s_add_u32 s0, s0, -8
	s_addc_u32 s1, s1, -1
	s_load_dwordx2 s[12:13], s[0:1], 0x0
	v_cndmask_b32_e64 v12, 0, 1, s[2:3]
	v_lshlrev_b32_e32 v21, 3, v0
	s_mov_b64 s[14:15], 0
	s_and_b64 vcc, exec, s[34:35]
	v_cmp_ne_u32_e64 s[0:1], 1, v12
	ds_write_b64 v21, v[10:11]
	s_cbranch_vccz .LBB565_24
; %bb.16:
	v_mul_lo_u32 v14, v5, s26
	v_mul_lo_u32 v15, v4, s27
	v_mad_u64_u32 v[12:13], s[2:3], v4, s26, 0
	v_add3_u32 v13, v13, v15, v14
	s_and_b64 vcc, exec, s[0:1]
	v_lshlrev_b64 v[12:13], 3, v[12:13]
	s_cbranch_vccnz .LBB565_27
; %bb.17:
	v_mul_lo_u32 v16, v11, s26
	v_mul_lo_u32 v17, v10, s27
	v_mad_u64_u32 v[14:15], s[2:3], v10, s26, 0
	v_add3_u32 v15, v15, v17, v16
	v_mov_b32_e32 v17, s29
	v_add_co_u32_e32 v16, vcc, s28, v12
	v_addc_co_u32_e64 v17, s[2:3], v17, v13, vcc
	v_lshlrev_b64 v[14:15], 3, v[14:15]
	v_mov_b32_e32 v19, s29
	v_add_co_u32_e64 v18, s[2:3], s28, v14
	v_addc_co_u32_e64 v19, s[8:9], v19, v15, s[2:3]
	global_load_dwordx2 v[26:27], v[16:17], off
	global_load_dwordx2 v[28:29], v[18:19], off
	s_mov_b64 s[14:15], -1
	s_waitcnt vmcnt(0)
	v_cmp_eq_u64_e64 s[8:9], v[26:27], v[28:29]
	s_and_saveexec_b64 s[18:19], s[8:9]
	s_cbranch_execz .LBB565_26
; %bb.18:
	v_mov_b32_e32 v14, s29
	v_addc_co_u32_e64 v15, s[2:3], v15, v14, s[2:3]
	v_add_co_u32_e64 v14, s[2:3], 8, v18
	v_mov_b32_e32 v17, s29
	v_addc_co_u32_e64 v15, s[2:3], 0, v15, s[2:3]
	v_addc_co_u32_e32 v17, vcc, v13, v17, vcc
	v_add_co_u32_e32 v16, vcc, 8, v16
	s_add_u32 s2, s26, -1
	v_addc_co_u32_e32 v17, vcc, 0, v17, vcc
	s_addc_u32 s3, s27, -1
	s_mov_b64 s[8:9], 0
	s_mov_b64 s[36:37], 0
                                        ; implicit-def: $sgpr14_sgpr15
	s_branch .LBB565_21
.LBB565_19:                             ;   in Loop: Header=BB565_21 Depth=1
	global_load_dwordx2 v[18:19], v[16:17], off
	global_load_dwordx2 v[26:27], v[14:15], off
	v_add_co_u32_e32 v14, vcc, 8, v14
	v_addc_co_u32_e32 v15, vcc, 0, v15, vcc
	v_add_co_u32_e32 v16, vcc, 8, v16
	v_addc_co_u32_e32 v17, vcc, 0, v17, vcc
	s_add_u32 s36, s36, 1
	s_addc_u32 s37, s37, 0
	s_andn2_b64 s[14:15], s[14:15], exec
	s_waitcnt vmcnt(0)
	v_cmp_ne_u64_e32 vcc, v[18:19], v[26:27]
	s_and_b64 s[38:39], vcc, exec
	s_or_b64 s[14:15], s[14:15], s[38:39]
.LBB565_20:                             ;   in Loop: Header=BB565_21 Depth=1
	s_and_b64 s[38:39], exec, s[14:15]
	s_or_b64 s[8:9], s[38:39], s[8:9]
	v_pk_mov_b32 v[18:19], s[36:37], s[36:37] op_sel:[0,1]
	s_andn2_b64 exec, exec, s[8:9]
	s_cbranch_execz .LBB565_25
.LBB565_21:                             ; =>This Inner Loop Header: Depth=1
	s_or_b64 s[14:15], s[14:15], exec
	s_cmp_eq_u64 s[2:3], s[36:37]
	s_cbranch_scc0 .LBB565_19
; %bb.22:                               ;   in Loop: Header=BB565_21 Depth=1
                                        ; implicit-def: $vgpr14_vgpr15
                                        ; implicit-def: $vgpr16_vgpr17
	s_mov_b64 s[36:37], s[26:27]
	s_branch .LBB565_20
.LBB565_23:
                                        ; implicit-def: $sgpr18_sgpr19
                                        ; implicit-def: $vgpr13
                                        ; implicit-def: $vgpr16
	s_branch .LBB565_125
.LBB565_24:
                                        ; implicit-def: $sgpr18_sgpr19
                                        ; implicit-def: $vgpr13
                                        ; implicit-def: $vgpr16
	s_cbranch_execnz .LBB565_66
	s_branch .LBB565_124
.LBB565_25:
	s_or_b64 exec, exec, s[8:9]
	v_cmp_gt_i64_e32 vcc, s[26:27], v[18:19]
	s_orn2_b64 s[14:15], vcc, exec
.LBB565_26:
	s_or_b64 exec, exec, s[18:19]
.LBB565_27:
	v_mul_lo_u32 v16, v3, s26
	v_mul_lo_u32 v17, v2, s27
	v_mad_u64_u32 v[14:15], s[2:3], v2, s26, 0
	v_add3_u32 v15, v15, v17, v16
	s_mov_b64 s[18:19], 0
	s_and_b64 vcc, exec, s[0:1]
	v_lshlrev_b64 v[16:17], 3, v[14:15]
	s_mov_b64 s[36:37], 0
	s_cbranch_vccnz .LBB565_36
; %bb.28:
	v_mov_b32_e32 v15, s29
	v_add_co_u32_e32 v14, vcc, s28, v16
	v_addc_co_u32_e64 v15, s[2:3], v15, v17, vcc
	v_mov_b32_e32 v19, s29
	v_add_co_u32_e64 v18, s[2:3], s28, v12
	v_addc_co_u32_e64 v19, s[8:9], v19, v13, s[2:3]
	global_load_dwordx2 v[26:27], v[14:15], off
	global_load_dwordx2 v[28:29], v[18:19], off
	s_mov_b64 s[36:37], -1
	s_waitcnt vmcnt(0)
	v_cmp_eq_u64_e64 s[8:9], v[26:27], v[28:29]
	s_and_saveexec_b64 s[38:39], s[8:9]
	s_cbranch_execz .LBB565_35
; %bb.29:
	v_mov_b32_e32 v12, s29
	v_addc_co_u32_e64 v13, s[2:3], v13, v12, s[2:3]
	v_add_co_u32_e64 v12, s[2:3], 8, v18
	v_mov_b32_e32 v15, s29
	v_addc_co_u32_e64 v13, s[2:3], 0, v13, s[2:3]
	v_addc_co_u32_e32 v15, vcc, v17, v15, vcc
	v_add_co_u32_e32 v14, vcc, 8, v14
	s_add_u32 s2, s26, -1
	v_addc_co_u32_e32 v15, vcc, 0, v15, vcc
	s_addc_u32 s3, s27, -1
	s_mov_b64 s[8:9], 0
	s_mov_b64 s[40:41], 0
                                        ; implicit-def: $sgpr36_sgpr37
	s_branch .LBB565_32
.LBB565_30:                             ;   in Loop: Header=BB565_32 Depth=1
	global_load_dwordx2 v[18:19], v[14:15], off
	global_load_dwordx2 v[26:27], v[12:13], off
	v_add_co_u32_e32 v12, vcc, 8, v12
	v_addc_co_u32_e32 v13, vcc, 0, v13, vcc
	v_add_co_u32_e32 v14, vcc, 8, v14
	v_addc_co_u32_e32 v15, vcc, 0, v15, vcc
	s_add_u32 s40, s40, 1
	s_addc_u32 s41, s41, 0
	s_andn2_b64 s[36:37], s[36:37], exec
	s_waitcnt vmcnt(0)
	v_cmp_ne_u64_e32 vcc, v[18:19], v[26:27]
	s_and_b64 s[42:43], vcc, exec
	s_or_b64 s[36:37], s[36:37], s[42:43]
.LBB565_31:                             ;   in Loop: Header=BB565_32 Depth=1
	s_and_b64 s[42:43], exec, s[36:37]
	s_or_b64 s[8:9], s[42:43], s[8:9]
	v_pk_mov_b32 v[18:19], s[40:41], s[40:41] op_sel:[0,1]
	s_andn2_b64 exec, exec, s[8:9]
	s_cbranch_execz .LBB565_34
.LBB565_32:                             ; =>This Inner Loop Header: Depth=1
	s_or_b64 s[36:37], s[36:37], exec
	s_cmp_eq_u64 s[2:3], s[40:41]
	s_cbranch_scc0 .LBB565_30
; %bb.33:                               ;   in Loop: Header=BB565_32 Depth=1
                                        ; implicit-def: $vgpr12_vgpr13
                                        ; implicit-def: $vgpr14_vgpr15
	s_mov_b64 s[40:41], s[26:27]
	s_branch .LBB565_31
.LBB565_34:
	s_or_b64 exec, exec, s[8:9]
	v_cmp_gt_i64_e32 vcc, s[26:27], v[18:19]
	s_orn2_b64 s[36:37], vcc, exec
.LBB565_35:
	s_or_b64 exec, exec, s[38:39]
.LBB565_36:
	v_mul_lo_u32 v14, v9, s26
	v_mul_lo_u32 v15, v8, s27
	v_mad_u64_u32 v[12:13], s[2:3], v8, s26, 0
	v_add3_u32 v13, v13, v15, v14
	s_and_b64 vcc, exec, s[0:1]
	v_lshlrev_b64 v[14:15], 3, v[12:13]
	s_cbranch_vccnz .LBB565_45
; %bb.37:
	v_mov_b32_e32 v12, s29
	v_add_co_u32_e32 v18, vcc, s28, v14
	v_addc_co_u32_e64 v19, s[2:3], v12, v15, vcc
	v_mov_b32_e32 v13, s29
	v_add_co_u32_e64 v12, s[2:3], s28, v16
	v_addc_co_u32_e64 v13, s[8:9], v13, v17, s[2:3]
	global_load_dwordx2 v[26:27], v[18:19], off
	global_load_dwordx2 v[28:29], v[12:13], off
	s_mov_b64 s[18:19], -1
	s_waitcnt vmcnt(0)
	v_cmp_eq_u64_e64 s[8:9], v[26:27], v[28:29]
	s_and_saveexec_b64 s[38:39], s[8:9]
	s_cbranch_execz .LBB565_44
; %bb.38:
	v_mov_b32_e32 v13, s29
	v_addc_co_u32_e64 v13, s[2:3], v17, v13, s[2:3]
	v_add_co_u32_e64 v12, s[2:3], 8, v12
	v_mov_b32_e32 v16, s29
	v_addc_co_u32_e64 v13, s[2:3], 0, v13, s[2:3]
	v_addc_co_u32_e32 v17, vcc, v15, v16, vcc
	v_add_co_u32_e32 v16, vcc, 8, v18
	s_add_u32 s2, s26, -1
	v_addc_co_u32_e32 v17, vcc, 0, v17, vcc
	s_addc_u32 s3, s27, -1
	s_mov_b64 s[8:9], 0
	s_mov_b64 s[40:41], 0
                                        ; implicit-def: $sgpr18_sgpr19
	s_branch .LBB565_41
.LBB565_39:                             ;   in Loop: Header=BB565_41 Depth=1
	global_load_dwordx2 v[18:19], v[16:17], off
	global_load_dwordx2 v[26:27], v[12:13], off
	v_add_co_u32_e32 v12, vcc, 8, v12
	v_addc_co_u32_e32 v13, vcc, 0, v13, vcc
	v_add_co_u32_e32 v16, vcc, 8, v16
	v_addc_co_u32_e32 v17, vcc, 0, v17, vcc
	s_add_u32 s40, s40, 1
	s_addc_u32 s41, s41, 0
	s_andn2_b64 s[18:19], s[18:19], exec
	s_waitcnt vmcnt(0)
	v_cmp_ne_u64_e32 vcc, v[18:19], v[26:27]
	s_and_b64 s[42:43], vcc, exec
	s_or_b64 s[18:19], s[18:19], s[42:43]
.LBB565_40:                             ;   in Loop: Header=BB565_41 Depth=1
	s_and_b64 s[42:43], exec, s[18:19]
	s_or_b64 s[8:9], s[42:43], s[8:9]
	v_pk_mov_b32 v[18:19], s[40:41], s[40:41] op_sel:[0,1]
	s_andn2_b64 exec, exec, s[8:9]
	s_cbranch_execz .LBB565_43
.LBB565_41:                             ; =>This Inner Loop Header: Depth=1
	s_or_b64 s[18:19], s[18:19], exec
	s_cmp_eq_u64 s[2:3], s[40:41]
	s_cbranch_scc0 .LBB565_39
; %bb.42:                               ;   in Loop: Header=BB565_41 Depth=1
                                        ; implicit-def: $vgpr12_vgpr13
                                        ; implicit-def: $vgpr16_vgpr17
	s_mov_b64 s[40:41], s[26:27]
	s_branch .LBB565_40
.LBB565_43:
	s_or_b64 exec, exec, s[8:9]
	v_cmp_gt_i64_e32 vcc, s[26:27], v[18:19]
	s_orn2_b64 s[18:19], vcc, exec
.LBB565_44:
	s_or_b64 exec, exec, s[38:39]
.LBB565_45:
	v_mul_lo_u32 v16, v7, s26
	v_mul_lo_u32 v17, v6, s27
	v_mad_u64_u32 v[12:13], s[2:3], v6, s26, 0
	v_add3_u32 v13, v13, v17, v16
	s_mov_b64 s[40:41], 0
	s_and_b64 vcc, exec, s[0:1]
	v_lshlrev_b64 v[12:13], 3, v[12:13]
	s_cbranch_vccnz .LBB565_54
; %bb.46:
	v_mov_b32_e32 v17, s29
	v_add_co_u32_e32 v16, vcc, s28, v12
	v_addc_co_u32_e64 v17, s[2:3], v17, v13, vcc
	v_mov_b32_e32 v19, s29
	v_add_co_u32_e64 v18, s[2:3], s28, v14
	v_addc_co_u32_e64 v19, s[8:9], v19, v15, s[2:3]
	global_load_dwordx2 v[26:27], v[16:17], off
	global_load_dwordx2 v[28:29], v[18:19], off
	s_mov_b64 s[40:41], -1
	s_waitcnt vmcnt(0)
	v_cmp_eq_u64_e64 s[8:9], v[26:27], v[28:29]
	s_and_saveexec_b64 s[38:39], s[8:9]
	s_cbranch_execz .LBB565_53
; %bb.47:
	v_mov_b32_e32 v14, s29
	v_addc_co_u32_e64 v15, s[2:3], v15, v14, s[2:3]
	v_add_co_u32_e64 v14, s[2:3], 8, v18
	v_mov_b32_e32 v17, s29
	v_addc_co_u32_e64 v15, s[2:3], 0, v15, s[2:3]
	v_addc_co_u32_e32 v17, vcc, v13, v17, vcc
	v_add_co_u32_e32 v16, vcc, 8, v16
	s_add_u32 s2, s26, -1
	v_addc_co_u32_e32 v17, vcc, 0, v17, vcc
	s_addc_u32 s3, s27, -1
	s_mov_b64 s[8:9], 0
	s_mov_b64 s[42:43], 0
                                        ; implicit-def: $sgpr40_sgpr41
	s_branch .LBB565_50
.LBB565_48:                             ;   in Loop: Header=BB565_50 Depth=1
	global_load_dwordx2 v[18:19], v[16:17], off
	global_load_dwordx2 v[26:27], v[14:15], off
	v_add_co_u32_e32 v14, vcc, 8, v14
	v_addc_co_u32_e32 v15, vcc, 0, v15, vcc
	v_add_co_u32_e32 v16, vcc, 8, v16
	v_addc_co_u32_e32 v17, vcc, 0, v17, vcc
	s_add_u32 s42, s42, 1
	s_addc_u32 s43, s43, 0
	s_andn2_b64 s[40:41], s[40:41], exec
	s_waitcnt vmcnt(0)
	v_cmp_ne_u64_e32 vcc, v[18:19], v[26:27]
	s_and_b64 s[44:45], vcc, exec
	s_or_b64 s[40:41], s[40:41], s[44:45]
.LBB565_49:                             ;   in Loop: Header=BB565_50 Depth=1
	s_and_b64 s[44:45], exec, s[40:41]
	s_or_b64 s[8:9], s[44:45], s[8:9]
	v_pk_mov_b32 v[18:19], s[42:43], s[42:43] op_sel:[0,1]
	s_andn2_b64 exec, exec, s[8:9]
	s_cbranch_execz .LBB565_52
.LBB565_50:                             ; =>This Inner Loop Header: Depth=1
	s_or_b64 s[40:41], s[40:41], exec
	s_cmp_eq_u64 s[2:3], s[42:43]
	s_cbranch_scc0 .LBB565_48
; %bb.51:                               ;   in Loop: Header=BB565_50 Depth=1
                                        ; implicit-def: $vgpr14_vgpr15
                                        ; implicit-def: $vgpr16_vgpr17
	s_mov_b64 s[42:43], s[26:27]
	s_branch .LBB565_49
.LBB565_52:
	s_or_b64 exec, exec, s[8:9]
	v_cmp_gt_i64_e32 vcc, s[26:27], v[18:19]
	s_orn2_b64 s[40:41], vcc, exec
.LBB565_53:
	s_or_b64 exec, exec, s[38:39]
.LBB565_54:
	v_cmp_ne_u32_e32 vcc, 0, v0
	s_waitcnt lgkmcnt(0)
	v_pk_mov_b32 v[14:15], s[12:13], s[12:13] op_sel:[0,1]
	s_barrier
	s_and_saveexec_b64 s[2:3], vcc
	s_cbranch_execz .LBB565_56
; %bb.55:
	v_add_u32_e32 v14, -8, v21
	ds_read_b64 v[14:15], v14
.LBB565_56:
	s_or_b64 exec, exec, s[2:3]
	v_cndmask_b32_e64 v17, 0, 1, s[36:37]
	v_cndmask_b32_e64 v16, 0, 1, s[18:19]
	v_cndmask_b32_e64 v18, 0, 1, s[40:41]
	v_lshlrev_b16_e32 v17, 8, v17
	v_lshlrev_b16_e32 v26, 8, v18
	v_or_b32_sdwa v27, v16, v17 dst_sel:WORD_1 dst_unused:UNUSED_PAD src0_sel:DWORD src1_sel:DWORD
	s_mov_b64 s[36:37], 0
	s_and_b64 vcc, exec, s[0:1]
	s_mov_b64 s[18:19], 0
	s_cbranch_vccnz .LBB565_65
; %bb.57:
	s_waitcnt lgkmcnt(0)
	v_mul_lo_u32 v16, v15, s26
	v_mul_lo_u32 v17, v14, s27
	v_mad_u64_u32 v[14:15], s[2:3], v14, s26, 0
	v_add3_u32 v15, v15, v17, v16
	v_lshlrev_b64 v[14:15], 3, v[14:15]
	v_mov_b32_e32 v17, s29
	v_add_co_u32_e32 v16, vcc, s28, v14
	v_addc_co_u32_e64 v17, s[2:3], v17, v15, vcc
	v_mov_b32_e32 v14, s29
	v_add_co_u32_e64 v18, s[2:3], s28, v12
	v_addc_co_u32_e64 v19, s[8:9], v14, v13, s[2:3]
	global_load_dwordx2 v[28:29], v[16:17], off
	global_load_dwordx2 v[30:31], v[18:19], off
	s_mov_b64 s[18:19], -1
	s_waitcnt vmcnt(0)
	v_cmp_eq_u64_e64 s[8:9], v[28:29], v[30:31]
	s_and_saveexec_b64 s[38:39], s[8:9]
	s_cbranch_execz .LBB565_64
; %bb.58:
	v_mov_b32_e32 v12, s29
	v_addc_co_u32_e64 v13, s[2:3], v13, v12, s[2:3]
	v_add_co_u32_e64 v12, s[2:3], 8, v18
	v_mov_b32_e32 v14, s29
	v_addc_co_u32_e64 v13, s[2:3], 0, v13, s[2:3]
	v_addc_co_u32_e32 v15, vcc, v15, v14, vcc
	v_add_co_u32_e32 v14, vcc, 8, v16
	s_add_u32 s2, s26, -1
	v_addc_co_u32_e32 v15, vcc, 0, v15, vcc
	s_addc_u32 s3, s27, -1
	s_mov_b64 s[8:9], 0
	s_mov_b64 s[40:41], 0
                                        ; implicit-def: $sgpr18_sgpr19
	s_branch .LBB565_61
.LBB565_59:                             ;   in Loop: Header=BB565_61 Depth=1
	global_load_dwordx2 v[16:17], v[14:15], off
	global_load_dwordx2 v[18:19], v[12:13], off
	v_add_co_u32_e32 v12, vcc, 8, v12
	v_addc_co_u32_e32 v13, vcc, 0, v13, vcc
	v_add_co_u32_e32 v14, vcc, 8, v14
	v_addc_co_u32_e32 v15, vcc, 0, v15, vcc
	s_add_u32 s40, s40, 1
	s_addc_u32 s41, s41, 0
	s_andn2_b64 s[18:19], s[18:19], exec
	s_waitcnt vmcnt(0)
	v_cmp_ne_u64_e32 vcc, v[16:17], v[18:19]
	s_and_b64 s[42:43], vcc, exec
	s_or_b64 s[18:19], s[18:19], s[42:43]
.LBB565_60:                             ;   in Loop: Header=BB565_61 Depth=1
	s_and_b64 s[42:43], exec, s[18:19]
	s_or_b64 s[8:9], s[42:43], s[8:9]
	v_pk_mov_b32 v[16:17], s[40:41], s[40:41] op_sel:[0,1]
	s_andn2_b64 exec, exec, s[8:9]
	s_cbranch_execz .LBB565_63
.LBB565_61:                             ; =>This Inner Loop Header: Depth=1
	s_or_b64 s[18:19], s[18:19], exec
	s_cmp_eq_u64 s[2:3], s[40:41]
	s_cbranch_scc0 .LBB565_59
; %bb.62:                               ;   in Loop: Header=BB565_61 Depth=1
                                        ; implicit-def: $vgpr12_vgpr13
                                        ; implicit-def: $vgpr14_vgpr15
	s_mov_b64 s[40:41], s[26:27]
	s_branch .LBB565_60
.LBB565_63:
	s_or_b64 exec, exec, s[8:9]
	v_cmp_gt_i64_e32 vcc, s[26:27], v[16:17]
	s_orn2_b64 s[18:19], vcc, exec
.LBB565_64:
	s_or_b64 exec, exec, s[38:39]
.LBB565_65:
	v_cndmask_b32_e64 v13, 0, 1, s[14:15]
	v_or_b32_e32 v16, v26, v27
	s_and_b64 vcc, exec, s[36:37]
	s_cbranch_vccz .LBB565_124
.LBB565_66:
	v_cmp_gt_u32_e32 vcc, s7, v23
	s_mov_b64 s[18:19], 0
	s_mov_b64 s[14:15], 0
	s_and_saveexec_b64 s[36:37], vcc
	s_cbranch_execz .LBB565_77
; %bb.67:
	s_and_b64 vcc, exec, s[0:1]
	s_mov_b64 s[38:39], 0
	s_cbranch_vccnz .LBB565_76
; %bb.68:
	s_waitcnt lgkmcnt(0)
	v_mul_lo_u32 v14, v5, s26
	v_mul_lo_u32 v15, v4, s27
	v_mad_u64_u32 v[12:13], s[2:3], v4, s26, 0
	v_add3_u32 v13, v13, v15, v14
	v_mul_lo_u32 v14, v11, s26
	v_mul_lo_u32 v15, v10, s27
	v_mad_u64_u32 v[18:19], s[2:3], v10, s26, 0
	v_add3_u32 v19, v19, v15, v14
	v_lshlrev_b64 v[14:15], 3, v[12:13]
	v_mov_b32_e32 v12, s29
	v_add_co_u32_e32 v16, vcc, s28, v14
	v_addc_co_u32_e64 v17, s[2:3], v12, v15, vcc
	v_lshlrev_b64 v[12:13], 3, v[18:19]
	v_mov_b32_e32 v14, s29
	v_add_co_u32_e64 v18, s[2:3], s28, v12
	v_addc_co_u32_e64 v19, s[8:9], v14, v13, s[2:3]
	global_load_dwordx2 v[26:27], v[16:17], off
	global_load_dwordx2 v[28:29], v[18:19], off
	s_mov_b64 s[38:39], -1
	s_waitcnt vmcnt(0)
	v_cmp_eq_u64_e64 s[8:9], v[26:27], v[28:29]
	s_and_saveexec_b64 s[14:15], s[8:9]
	s_cbranch_execz .LBB565_75
; %bb.69:
	v_mov_b32_e32 v12, s29
	v_addc_co_u32_e64 v13, s[2:3], v13, v12, s[2:3]
	v_add_co_u32_e64 v12, s[2:3], 8, v18
	v_mov_b32_e32 v14, s29
	v_addc_co_u32_e64 v13, s[2:3], 0, v13, s[2:3]
	v_addc_co_u32_e32 v15, vcc, v15, v14, vcc
	v_add_co_u32_e32 v14, vcc, 8, v16
	s_add_u32 s2, s26, -1
	v_addc_co_u32_e32 v15, vcc, 0, v15, vcc
	s_addc_u32 s3, s27, -1
	s_mov_b64 s[8:9], 0
	s_mov_b64 s[40:41], 0
                                        ; implicit-def: $sgpr38_sgpr39
	s_branch .LBB565_72
.LBB565_70:                             ;   in Loop: Header=BB565_72 Depth=1
	global_load_dwordx2 v[16:17], v[14:15], off
	global_load_dwordx2 v[18:19], v[12:13], off
	v_add_co_u32_e32 v12, vcc, 8, v12
	v_addc_co_u32_e32 v13, vcc, 0, v13, vcc
	v_add_co_u32_e32 v14, vcc, 8, v14
	v_addc_co_u32_e32 v15, vcc, 0, v15, vcc
	s_add_u32 s40, s40, 1
	s_addc_u32 s41, s41, 0
	s_andn2_b64 s[38:39], s[38:39], exec
	s_waitcnt vmcnt(0)
	v_cmp_ne_u64_e32 vcc, v[16:17], v[18:19]
	s_and_b64 s[42:43], vcc, exec
	s_or_b64 s[38:39], s[38:39], s[42:43]
.LBB565_71:                             ;   in Loop: Header=BB565_72 Depth=1
	s_and_b64 s[42:43], exec, s[38:39]
	s_or_b64 s[8:9], s[42:43], s[8:9]
	v_pk_mov_b32 v[16:17], s[40:41], s[40:41] op_sel:[0,1]
	s_andn2_b64 exec, exec, s[8:9]
	s_cbranch_execz .LBB565_74
.LBB565_72:                             ; =>This Inner Loop Header: Depth=1
	s_or_b64 s[38:39], s[38:39], exec
	s_cmp_eq_u64 s[2:3], s[40:41]
	s_cbranch_scc0 .LBB565_70
; %bb.73:                               ;   in Loop: Header=BB565_72 Depth=1
                                        ; implicit-def: $vgpr12_vgpr13
                                        ; implicit-def: $vgpr14_vgpr15
	s_mov_b64 s[40:41], s[26:27]
	s_branch .LBB565_71
.LBB565_74:
	s_or_b64 exec, exec, s[8:9]
	v_cmp_gt_i64_e32 vcc, s[26:27], v[16:17]
	s_orn2_b64 s[38:39], vcc, exec
.LBB565_75:
	s_or_b64 exec, exec, s[14:15]
.LBB565_76:
	s_and_b64 s[14:15], s[38:39], exec
.LBB565_77:
	s_or_b64 exec, exec, s[36:37]
	v_cmp_gt_u32_e32 vcc, s7, v25
	s_and_saveexec_b64 s[36:37], vcc
	s_cbranch_execz .LBB565_88
; %bb.78:
	s_and_b64 vcc, exec, s[0:1]
	s_mov_b64 s[38:39], 0
	s_cbranch_vccnz .LBB565_87
; %bb.79:
	s_waitcnt lgkmcnt(0)
	v_mul_lo_u32 v14, v3, s26
	v_mul_lo_u32 v15, v2, s27
	v_mad_u64_u32 v[12:13], s[2:3], v2, s26, 0
	v_add3_u32 v13, v13, v15, v14
	v_mul_lo_u32 v14, v5, s26
	v_mul_lo_u32 v15, v4, s27
	v_mad_u64_u32 v[18:19], s[2:3], v4, s26, 0
	v_add3_u32 v19, v19, v15, v14
	v_lshlrev_b64 v[14:15], 3, v[12:13]
	v_mov_b32_e32 v12, s29
	v_add_co_u32_e32 v16, vcc, s28, v14
	v_addc_co_u32_e64 v17, s[2:3], v12, v15, vcc
	v_lshlrev_b64 v[12:13], 3, v[18:19]
	v_mov_b32_e32 v14, s29
	v_add_co_u32_e64 v18, s[2:3], s28, v12
	v_addc_co_u32_e64 v19, s[8:9], v14, v13, s[2:3]
	global_load_dwordx2 v[26:27], v[16:17], off
	global_load_dwordx2 v[28:29], v[18:19], off
	s_mov_b64 s[38:39], -1
	s_waitcnt vmcnt(0)
	v_cmp_eq_u64_e64 s[8:9], v[26:27], v[28:29]
	s_and_saveexec_b64 s[18:19], s[8:9]
	s_cbranch_execz .LBB565_86
; %bb.80:
	v_mov_b32_e32 v12, s29
	v_addc_co_u32_e64 v13, s[2:3], v13, v12, s[2:3]
	v_add_co_u32_e64 v12, s[2:3], 8, v18
	v_mov_b32_e32 v14, s29
	v_addc_co_u32_e64 v13, s[2:3], 0, v13, s[2:3]
	v_addc_co_u32_e32 v15, vcc, v15, v14, vcc
	v_add_co_u32_e32 v14, vcc, 8, v16
	s_add_u32 s2, s26, -1
	v_addc_co_u32_e32 v15, vcc, 0, v15, vcc
	s_addc_u32 s3, s27, -1
	s_mov_b64 s[8:9], 0
	s_mov_b64 s[40:41], 0
                                        ; implicit-def: $sgpr38_sgpr39
	s_branch .LBB565_83
.LBB565_81:                             ;   in Loop: Header=BB565_83 Depth=1
	global_load_dwordx2 v[16:17], v[14:15], off
	global_load_dwordx2 v[18:19], v[12:13], off
	v_add_co_u32_e32 v12, vcc, 8, v12
	v_addc_co_u32_e32 v13, vcc, 0, v13, vcc
	v_add_co_u32_e32 v14, vcc, 8, v14
	v_addc_co_u32_e32 v15, vcc, 0, v15, vcc
	s_add_u32 s40, s40, 1
	s_addc_u32 s41, s41, 0
	s_andn2_b64 s[38:39], s[38:39], exec
	s_waitcnt vmcnt(0)
	v_cmp_ne_u64_e32 vcc, v[16:17], v[18:19]
	s_and_b64 s[42:43], vcc, exec
	s_or_b64 s[38:39], s[38:39], s[42:43]
.LBB565_82:                             ;   in Loop: Header=BB565_83 Depth=1
	s_and_b64 s[42:43], exec, s[38:39]
	s_or_b64 s[8:9], s[42:43], s[8:9]
	v_pk_mov_b32 v[16:17], s[40:41], s[40:41] op_sel:[0,1]
	s_andn2_b64 exec, exec, s[8:9]
	s_cbranch_execz .LBB565_85
.LBB565_83:                             ; =>This Inner Loop Header: Depth=1
	s_or_b64 s[38:39], s[38:39], exec
	s_cmp_eq_u64 s[2:3], s[40:41]
	s_cbranch_scc0 .LBB565_81
; %bb.84:                               ;   in Loop: Header=BB565_83 Depth=1
                                        ; implicit-def: $vgpr12_vgpr13
                                        ; implicit-def: $vgpr14_vgpr15
	s_mov_b64 s[40:41], s[26:27]
	s_branch .LBB565_82
.LBB565_85:
	s_or_b64 exec, exec, s[8:9]
	v_cmp_gt_i64_e32 vcc, s[26:27], v[16:17]
	s_orn2_b64 s[38:39], vcc, exec
.LBB565_86:
	s_or_b64 exec, exec, s[18:19]
.LBB565_87:
	s_and_b64 s[18:19], s[38:39], exec
.LBB565_88:
	s_or_b64 exec, exec, s[36:37]
	v_cmp_gt_u32_e32 vcc, s7, v22
	s_mov_b64 s[36:37], 0
	s_mov_b64 s[38:39], 0
	s_and_saveexec_b64 s[40:41], vcc
	s_cbranch_execz .LBB565_99
; %bb.89:
	s_and_b64 vcc, exec, s[0:1]
	s_mov_b64 s[42:43], 0
	s_cbranch_vccnz .LBB565_98
; %bb.90:
	s_waitcnt lgkmcnt(0)
	v_mul_lo_u32 v14, v9, s26
	v_mul_lo_u32 v15, v8, s27
	v_mad_u64_u32 v[12:13], s[2:3], v8, s26, 0
	v_add3_u32 v13, v13, v15, v14
	v_mul_lo_u32 v14, v3, s26
	v_mul_lo_u32 v15, v2, s27
	v_mad_u64_u32 v[18:19], s[2:3], v2, s26, 0
	v_add3_u32 v19, v19, v15, v14
	v_lshlrev_b64 v[14:15], 3, v[12:13]
	v_mov_b32_e32 v12, s29
	v_add_co_u32_e32 v16, vcc, s28, v14
	v_addc_co_u32_e64 v17, s[2:3], v12, v15, vcc
	v_lshlrev_b64 v[12:13], 3, v[18:19]
	v_mov_b32_e32 v14, s29
	v_add_co_u32_e64 v18, s[2:3], s28, v12
	v_addc_co_u32_e64 v19, s[8:9], v14, v13, s[2:3]
	global_load_dwordx2 v[26:27], v[16:17], off
	global_load_dwordx2 v[28:29], v[18:19], off
	s_mov_b64 s[42:43], -1
	s_waitcnt vmcnt(0)
	v_cmp_eq_u64_e64 s[8:9], v[26:27], v[28:29]
	s_and_saveexec_b64 s[38:39], s[8:9]
	s_cbranch_execz .LBB565_97
; %bb.91:
	v_mov_b32_e32 v12, s29
	v_addc_co_u32_e64 v13, s[2:3], v13, v12, s[2:3]
	v_add_co_u32_e64 v12, s[2:3], 8, v18
	v_mov_b32_e32 v14, s29
	v_addc_co_u32_e64 v13, s[2:3], 0, v13, s[2:3]
	v_addc_co_u32_e32 v15, vcc, v15, v14, vcc
	v_add_co_u32_e32 v14, vcc, 8, v16
	s_add_u32 s2, s26, -1
	v_addc_co_u32_e32 v15, vcc, 0, v15, vcc
	s_addc_u32 s3, s27, -1
	s_mov_b64 s[8:9], 0
	s_mov_b64 s[44:45], 0
                                        ; implicit-def: $sgpr42_sgpr43
	s_branch .LBB565_94
.LBB565_92:                             ;   in Loop: Header=BB565_94 Depth=1
	global_load_dwordx2 v[16:17], v[14:15], off
	global_load_dwordx2 v[18:19], v[12:13], off
	v_add_co_u32_e32 v12, vcc, 8, v12
	v_addc_co_u32_e32 v13, vcc, 0, v13, vcc
	v_add_co_u32_e32 v14, vcc, 8, v14
	v_addc_co_u32_e32 v15, vcc, 0, v15, vcc
	s_add_u32 s44, s44, 1
	s_addc_u32 s45, s45, 0
	s_andn2_b64 s[42:43], s[42:43], exec
	s_waitcnt vmcnt(0)
	v_cmp_ne_u64_e32 vcc, v[16:17], v[18:19]
	s_and_b64 s[46:47], vcc, exec
	s_or_b64 s[42:43], s[42:43], s[46:47]
.LBB565_93:                             ;   in Loop: Header=BB565_94 Depth=1
	s_and_b64 s[46:47], exec, s[42:43]
	s_or_b64 s[8:9], s[46:47], s[8:9]
	v_pk_mov_b32 v[16:17], s[44:45], s[44:45] op_sel:[0,1]
	s_andn2_b64 exec, exec, s[8:9]
	s_cbranch_execz .LBB565_96
.LBB565_94:                             ; =>This Inner Loop Header: Depth=1
	s_or_b64 s[42:43], s[42:43], exec
	s_cmp_eq_u64 s[2:3], s[44:45]
	s_cbranch_scc0 .LBB565_92
; %bb.95:                               ;   in Loop: Header=BB565_94 Depth=1
                                        ; implicit-def: $vgpr12_vgpr13
                                        ; implicit-def: $vgpr14_vgpr15
	s_mov_b64 s[44:45], s[26:27]
	s_branch .LBB565_93
.LBB565_96:
	s_or_b64 exec, exec, s[8:9]
	v_cmp_gt_i64_e32 vcc, s[26:27], v[16:17]
	s_orn2_b64 s[42:43], vcc, exec
.LBB565_97:
	s_or_b64 exec, exec, s[38:39]
.LBB565_98:
	s_and_b64 s[38:39], s[42:43], exec
.LBB565_99:
	s_or_b64 exec, exec, s[40:41]
	v_cmp_gt_u32_e32 vcc, s7, v24
	s_and_saveexec_b64 s[40:41], vcc
	s_cbranch_execz .LBB565_110
; %bb.100:
	s_and_b64 vcc, exec, s[0:1]
	s_mov_b64 s[42:43], 0
	s_cbranch_vccnz .LBB565_109
; %bb.101:
	s_waitcnt lgkmcnt(0)
	v_mul_lo_u32 v14, v7, s26
	v_mul_lo_u32 v15, v6, s27
	v_mad_u64_u32 v[12:13], s[2:3], v6, s26, 0
	v_add3_u32 v13, v13, v15, v14
	v_mul_lo_u32 v14, v9, s26
	v_mul_lo_u32 v15, v8, s27
	v_mad_u64_u32 v[18:19], s[2:3], v8, s26, 0
	v_add3_u32 v19, v19, v15, v14
	v_lshlrev_b64 v[14:15], 3, v[12:13]
	v_mov_b32_e32 v12, s29
	v_add_co_u32_e32 v16, vcc, s28, v14
	v_addc_co_u32_e64 v17, s[2:3], v12, v15, vcc
	v_lshlrev_b64 v[12:13], 3, v[18:19]
	v_mov_b32_e32 v14, s29
	v_add_co_u32_e64 v18, s[2:3], s28, v12
	v_addc_co_u32_e64 v19, s[8:9], v14, v13, s[2:3]
	global_load_dwordx2 v[26:27], v[16:17], off
	global_load_dwordx2 v[28:29], v[18:19], off
	s_mov_b64 s[42:43], -1
	s_waitcnt vmcnt(0)
	v_cmp_eq_u64_e64 s[8:9], v[26:27], v[28:29]
	s_and_saveexec_b64 s[36:37], s[8:9]
	s_cbranch_execz .LBB565_108
; %bb.102:
	v_mov_b32_e32 v12, s29
	v_addc_co_u32_e64 v13, s[2:3], v13, v12, s[2:3]
	v_add_co_u32_e64 v12, s[2:3], 8, v18
	v_mov_b32_e32 v14, s29
	v_addc_co_u32_e64 v13, s[2:3], 0, v13, s[2:3]
	v_addc_co_u32_e32 v15, vcc, v15, v14, vcc
	v_add_co_u32_e32 v14, vcc, 8, v16
	s_add_u32 s2, s26, -1
	v_addc_co_u32_e32 v15, vcc, 0, v15, vcc
	s_addc_u32 s3, s27, -1
	s_mov_b64 s[8:9], 0
	s_mov_b64 s[44:45], 0
                                        ; implicit-def: $sgpr42_sgpr43
	s_branch .LBB565_105
.LBB565_103:                            ;   in Loop: Header=BB565_105 Depth=1
	global_load_dwordx2 v[16:17], v[14:15], off
	global_load_dwordx2 v[18:19], v[12:13], off
	v_add_co_u32_e32 v12, vcc, 8, v12
	v_addc_co_u32_e32 v13, vcc, 0, v13, vcc
	v_add_co_u32_e32 v14, vcc, 8, v14
	v_addc_co_u32_e32 v15, vcc, 0, v15, vcc
	s_add_u32 s44, s44, 1
	s_addc_u32 s45, s45, 0
	s_andn2_b64 s[42:43], s[42:43], exec
	s_waitcnt vmcnt(0)
	v_cmp_ne_u64_e32 vcc, v[16:17], v[18:19]
	s_and_b64 s[46:47], vcc, exec
	s_or_b64 s[42:43], s[42:43], s[46:47]
.LBB565_104:                            ;   in Loop: Header=BB565_105 Depth=1
	s_and_b64 s[46:47], exec, s[42:43]
	s_or_b64 s[8:9], s[46:47], s[8:9]
	v_pk_mov_b32 v[16:17], s[44:45], s[44:45] op_sel:[0,1]
	s_andn2_b64 exec, exec, s[8:9]
	s_cbranch_execz .LBB565_107
.LBB565_105:                            ; =>This Inner Loop Header: Depth=1
	s_or_b64 s[42:43], s[42:43], exec
	s_cmp_eq_u64 s[2:3], s[44:45]
	s_cbranch_scc0 .LBB565_103
; %bb.106:                              ;   in Loop: Header=BB565_105 Depth=1
                                        ; implicit-def: $vgpr12_vgpr13
                                        ; implicit-def: $vgpr14_vgpr15
	s_mov_b64 s[44:45], s[26:27]
	s_branch .LBB565_104
.LBB565_107:
	s_or_b64 exec, exec, s[8:9]
	v_cmp_gt_i64_e32 vcc, s[26:27], v[16:17]
	s_orn2_b64 s[42:43], vcc, exec
.LBB565_108:
	s_or_b64 exec, exec, s[36:37]
.LBB565_109:
	s_and_b64 s[36:37], s[42:43], exec
.LBB565_110:
	s_or_b64 exec, exec, s[40:41]
	v_cmp_ne_u32_e32 vcc, 0, v0
	s_waitcnt lgkmcnt(0)
	v_pk_mov_b32 v[12:13], s[12:13], s[12:13] op_sel:[0,1]
	s_barrier
	s_and_saveexec_b64 s[2:3], vcc
	s_cbranch_execz .LBB565_112
; %bb.111:
	v_add_u32_e32 v12, -8, v21
	ds_read_b64 v[12:13], v12
.LBB565_112:
	s_or_b64 exec, exec, s[2:3]
	v_cndmask_b32_e64 v15, 0, 1, s[18:19]
	v_cndmask_b32_e64 v14, 0, 1, s[38:39]
	;; [unrolled: 1-line block ×3, first 2 shown]
	v_lshlrev_b16_e32 v15, 8, v15
	v_cmp_gt_u32_e32 vcc, s7, v1
	v_lshlrev_b16_e32 v21, 8, v16
	v_or_b32_sdwa v26, v14, v15 dst_sel:WORD_1 dst_unused:UNUSED_PAD src0_sel:DWORD src1_sel:DWORD
	s_mov_b64 s[18:19], 0
	s_and_saveexec_b64 s[8:9], vcc
	s_cbranch_execz .LBB565_123
; %bb.113:
	s_and_b64 vcc, exec, s[0:1]
	s_cbranch_vccnz .LBB565_122
; %bb.114:
	s_waitcnt lgkmcnt(0)
	v_mul_lo_u32 v14, v13, s26
	v_mul_lo_u32 v15, v12, s27
	v_mad_u64_u32 v[12:13], s[0:1], v12, s26, 0
	v_add3_u32 v13, v13, v15, v14
	v_mul_lo_u32 v14, v7, s26
	v_mul_lo_u32 v15, v6, s27
	v_mad_u64_u32 v[18:19], s[0:1], v6, s26, 0
	v_add3_u32 v19, v19, v15, v14
	v_lshlrev_b64 v[14:15], 3, v[12:13]
	v_mov_b32_e32 v12, s29
	v_add_co_u32_e32 v16, vcc, s28, v14
	v_addc_co_u32_e64 v17, s[0:1], v12, v15, vcc
	v_lshlrev_b64 v[12:13], 3, v[18:19]
	v_mov_b32_e32 v14, s29
	v_add_co_u32_e64 v18, s[0:1], s28, v12
	v_addc_co_u32_e64 v19, s[2:3], v14, v13, s[0:1]
	global_load_dwordx2 v[28:29], v[16:17], off
	global_load_dwordx2 v[30:31], v[18:19], off
	s_mov_b64 s[18:19], -1
	s_waitcnt vmcnt(0)
	v_cmp_eq_u64_e64 s[2:3], v[28:29], v[30:31]
	s_and_saveexec_b64 s[12:13], s[2:3]
	s_cbranch_execz .LBB565_121
; %bb.115:
	v_mov_b32_e32 v12, s29
	v_addc_co_u32_e64 v13, s[0:1], v13, v12, s[0:1]
	v_add_co_u32_e64 v12, s[0:1], 8, v18
	v_mov_b32_e32 v14, s29
	v_addc_co_u32_e64 v13, s[0:1], 0, v13, s[0:1]
	v_addc_co_u32_e32 v15, vcc, v15, v14, vcc
	v_add_co_u32_e32 v14, vcc, 8, v16
	s_add_u32 s0, s26, -1
	v_addc_co_u32_e32 v15, vcc, 0, v15, vcc
	s_addc_u32 s1, s27, -1
	s_mov_b64 s[2:3], 0
	s_mov_b64 s[36:37], 0
                                        ; implicit-def: $sgpr18_sgpr19
	s_branch .LBB565_118
.LBB565_116:                            ;   in Loop: Header=BB565_118 Depth=1
	global_load_dwordx2 v[16:17], v[14:15], off
	global_load_dwordx2 v[18:19], v[12:13], off
	v_add_co_u32_e32 v12, vcc, 8, v12
	v_addc_co_u32_e32 v13, vcc, 0, v13, vcc
	v_add_co_u32_e32 v14, vcc, 8, v14
	v_addc_co_u32_e32 v15, vcc, 0, v15, vcc
	s_add_u32 s36, s36, 1
	s_addc_u32 s37, s37, 0
	s_andn2_b64 s[18:19], s[18:19], exec
	s_waitcnt vmcnt(0)
	v_cmp_ne_u64_e32 vcc, v[16:17], v[18:19]
	s_and_b64 s[38:39], vcc, exec
	s_or_b64 s[18:19], s[18:19], s[38:39]
.LBB565_117:                            ;   in Loop: Header=BB565_118 Depth=1
	s_and_b64 s[38:39], exec, s[18:19]
	s_or_b64 s[2:3], s[38:39], s[2:3]
	v_pk_mov_b32 v[16:17], s[36:37], s[36:37] op_sel:[0,1]
	s_andn2_b64 exec, exec, s[2:3]
	s_cbranch_execz .LBB565_120
.LBB565_118:                            ; =>This Inner Loop Header: Depth=1
	s_or_b64 s[18:19], s[18:19], exec
	s_cmp_eq_u64 s[0:1], s[36:37]
	s_cbranch_scc0 .LBB565_116
; %bb.119:                              ;   in Loop: Header=BB565_118 Depth=1
                                        ; implicit-def: $vgpr12_vgpr13
                                        ; implicit-def: $vgpr14_vgpr15
	s_mov_b64 s[36:37], s[26:27]
	s_branch .LBB565_117
.LBB565_120:
	s_or_b64 exec, exec, s[2:3]
	v_cmp_gt_i64_e32 vcc, s[26:27], v[16:17]
	s_orn2_b64 s[18:19], vcc, exec
.LBB565_121:
	s_or_b64 exec, exec, s[12:13]
.LBB565_122:
	s_and_b64 s[18:19], s[18:19], exec
.LBB565_123:
	s_or_b64 exec, exec, s[8:9]
	s_waitcnt lgkmcnt(0)
	v_cndmask_b32_e64 v13, 0, 1, s[14:15]
	v_or_b32_e32 v16, v21, v26
.LBB565_124:
	s_waitcnt lgkmcnt(0)
	s_mov_b64 s[12:13], -1
	s_cbranch_execnz .LBB565_233
.LBB565_125:
	v_lshlrev_b32_e32 v12, 5, v0
	v_sub_u32_e32 v26, v20, v12
	s_mov_b64 s[18:19], 0
	v_cmp_gt_i64_e64 s[14:15], s[26:27], 0
	s_and_b64 vcc, exec, s[34:35]
	ds_write_b64 v26, v[10:11]
	s_cbranch_vccz .LBB565_133
; %bb.126:
	v_mul_lo_u32 v14, v5, s26
	v_mul_lo_u32 v15, v4, s27
	v_mad_u64_u32 v[12:13], s[0:1], v4, s26, 0
	v_add3_u32 v13, v13, v15, v14
	v_cndmask_b32_e64 v14, 0, 1, s[14:15]
	v_cmp_ne_u32_e64 s[0:1], 1, v14
	s_andn2_b64 vcc, exec, s[14:15]
	v_lshlrev_b64 v[12:13], 3, v[12:13]
	s_cbranch_vccnz .LBB565_136
; %bb.127:
	v_mul_lo_u32 v16, v11, s26
	v_mul_lo_u32 v17, v10, s27
	v_mad_u64_u32 v[14:15], s[2:3], v10, s26, 0
	v_add3_u32 v15, v15, v17, v16
	v_mov_b32_e32 v17, s29
	v_add_co_u32_e32 v16, vcc, s28, v12
	v_addc_co_u32_e64 v17, s[2:3], v17, v13, vcc
	v_lshlrev_b64 v[14:15], 3, v[14:15]
	v_mov_b32_e32 v19, s29
	v_add_co_u32_e64 v18, s[2:3], s28, v14
	v_addc_co_u32_e64 v19, s[8:9], v19, v15, s[2:3]
	global_load_dwordx2 v[20:21], v[16:17], off
	global_load_dwordx2 v[28:29], v[18:19], off
	s_mov_b64 s[18:19], -1
	s_waitcnt vmcnt(0)
	v_cmp_eq_u64_e64 s[8:9], v[20:21], v[28:29]
	s_and_saveexec_b64 s[36:37], s[8:9]
	s_cbranch_execz .LBB565_135
; %bb.128:
	v_mov_b32_e32 v14, s29
	v_addc_co_u32_e64 v15, s[2:3], v15, v14, s[2:3]
	v_add_co_u32_e64 v14, s[2:3], 8, v18
	v_mov_b32_e32 v17, s29
	v_addc_co_u32_e64 v15, s[2:3], 0, v15, s[2:3]
	v_addc_co_u32_e32 v17, vcc, v13, v17, vcc
	v_add_co_u32_e32 v16, vcc, 8, v16
	s_add_u32 s2, s26, -1
	v_addc_co_u32_e32 v17, vcc, 0, v17, vcc
	s_addc_u32 s3, s27, -1
	s_mov_b64 s[8:9], 0
	s_mov_b64 s[38:39], 0
                                        ; implicit-def: $sgpr18_sgpr19
	s_branch .LBB565_131
.LBB565_129:                            ;   in Loop: Header=BB565_131 Depth=1
	global_load_dwordx2 v[18:19], v[16:17], off
	global_load_dwordx2 v[20:21], v[14:15], off
	v_add_co_u32_e32 v14, vcc, 8, v14
	v_addc_co_u32_e32 v15, vcc, 0, v15, vcc
	v_add_co_u32_e32 v16, vcc, 8, v16
	v_addc_co_u32_e32 v17, vcc, 0, v17, vcc
	s_add_u32 s38, s38, 1
	s_addc_u32 s39, s39, 0
	s_andn2_b64 s[18:19], s[18:19], exec
	s_waitcnt vmcnt(0)
	v_cmp_ne_u64_e32 vcc, v[18:19], v[20:21]
	s_and_b64 s[40:41], vcc, exec
	s_or_b64 s[18:19], s[18:19], s[40:41]
.LBB565_130:                            ;   in Loop: Header=BB565_131 Depth=1
	s_and_b64 s[40:41], exec, s[18:19]
	s_or_b64 s[8:9], s[40:41], s[8:9]
	v_pk_mov_b32 v[18:19], s[38:39], s[38:39] op_sel:[0,1]
	s_andn2_b64 exec, exec, s[8:9]
	s_cbranch_execz .LBB565_134
.LBB565_131:                            ; =>This Inner Loop Header: Depth=1
	s_or_b64 s[18:19], s[18:19], exec
	s_cmp_eq_u64 s[2:3], s[38:39]
	s_cbranch_scc0 .LBB565_129
; %bb.132:                              ;   in Loop: Header=BB565_131 Depth=1
                                        ; implicit-def: $vgpr14_vgpr15
                                        ; implicit-def: $vgpr16_vgpr17
	s_mov_b64 s[38:39], s[26:27]
	s_branch .LBB565_130
.LBB565_133:
                                        ; implicit-def: $sgpr18_sgpr19
                                        ; implicit-def: $vgpr13
                                        ; implicit-def: $vgpr16
	s_cbranch_execnz .LBB565_175
	s_branch .LBB565_233
.LBB565_134:
	s_or_b64 exec, exec, s[8:9]
	v_cmp_gt_i64_e32 vcc, s[26:27], v[18:19]
	s_orn2_b64 s[18:19], vcc, exec
.LBB565_135:
	s_or_b64 exec, exec, s[36:37]
.LBB565_136:
	v_mul_lo_u32 v16, v3, s26
	v_mul_lo_u32 v17, v2, s27
	v_mad_u64_u32 v[14:15], s[2:3], v2, s26, 0
	v_add3_u32 v15, v15, v17, v16
	s_mov_b64 s[36:37], 0
	s_and_b64 vcc, exec, s[0:1]
	v_lshlrev_b64 v[14:15], 3, v[14:15]
	s_mov_b64 s[38:39], 0
	s_cbranch_vccnz .LBB565_145
; %bb.137:
	v_mov_b32_e32 v17, s29
	v_add_co_u32_e32 v16, vcc, s28, v14
	v_addc_co_u32_e64 v17, s[2:3], v17, v15, vcc
	v_mov_b32_e32 v19, s29
	v_add_co_u32_e64 v18, s[2:3], s28, v12
	v_addc_co_u32_e64 v19, s[8:9], v19, v13, s[2:3]
	global_load_dwordx2 v[20:21], v[16:17], off
	global_load_dwordx2 v[28:29], v[18:19], off
	s_mov_b64 s[38:39], -1
	s_waitcnt vmcnt(0)
	v_cmp_eq_u64_e64 s[8:9], v[20:21], v[28:29]
	s_and_saveexec_b64 s[40:41], s[8:9]
	s_cbranch_execz .LBB565_144
; %bb.138:
	v_mov_b32_e32 v12, s29
	v_addc_co_u32_e64 v13, s[2:3], v13, v12, s[2:3]
	v_add_co_u32_e64 v12, s[2:3], 8, v18
	v_mov_b32_e32 v17, s29
	v_addc_co_u32_e64 v13, s[2:3], 0, v13, s[2:3]
	v_addc_co_u32_e32 v17, vcc, v15, v17, vcc
	v_add_co_u32_e32 v16, vcc, 8, v16
	s_add_u32 s2, s26, -1
	v_addc_co_u32_e32 v17, vcc, 0, v17, vcc
	s_addc_u32 s3, s27, -1
	s_mov_b64 s[8:9], 0
	s_mov_b64 s[42:43], 0
                                        ; implicit-def: $sgpr38_sgpr39
	s_branch .LBB565_141
.LBB565_139:                            ;   in Loop: Header=BB565_141 Depth=1
	global_load_dwordx2 v[18:19], v[16:17], off
	global_load_dwordx2 v[20:21], v[12:13], off
	v_add_co_u32_e32 v12, vcc, 8, v12
	v_addc_co_u32_e32 v13, vcc, 0, v13, vcc
	v_add_co_u32_e32 v16, vcc, 8, v16
	v_addc_co_u32_e32 v17, vcc, 0, v17, vcc
	s_add_u32 s42, s42, 1
	s_addc_u32 s43, s43, 0
	s_andn2_b64 s[38:39], s[38:39], exec
	s_waitcnt vmcnt(0)
	v_cmp_ne_u64_e32 vcc, v[18:19], v[20:21]
	s_and_b64 s[44:45], vcc, exec
	s_or_b64 s[38:39], s[38:39], s[44:45]
.LBB565_140:                            ;   in Loop: Header=BB565_141 Depth=1
	s_and_b64 s[44:45], exec, s[38:39]
	s_or_b64 s[8:9], s[44:45], s[8:9]
	v_pk_mov_b32 v[18:19], s[42:43], s[42:43] op_sel:[0,1]
	s_andn2_b64 exec, exec, s[8:9]
	s_cbranch_execz .LBB565_143
.LBB565_141:                            ; =>This Inner Loop Header: Depth=1
	s_or_b64 s[38:39], s[38:39], exec
	s_cmp_eq_u64 s[2:3], s[42:43]
	s_cbranch_scc0 .LBB565_139
; %bb.142:                              ;   in Loop: Header=BB565_141 Depth=1
                                        ; implicit-def: $vgpr12_vgpr13
                                        ; implicit-def: $vgpr16_vgpr17
	s_mov_b64 s[42:43], s[26:27]
	s_branch .LBB565_140
.LBB565_143:
	s_or_b64 exec, exec, s[8:9]
	v_cmp_gt_i64_e32 vcc, s[26:27], v[18:19]
	s_orn2_b64 s[38:39], vcc, exec
.LBB565_144:
	s_or_b64 exec, exec, s[40:41]
.LBB565_145:
	v_mul_lo_u32 v16, v9, s26
	v_mul_lo_u32 v17, v8, s27
	v_mad_u64_u32 v[12:13], s[2:3], v8, s26, 0
	v_add3_u32 v13, v13, v17, v16
	s_and_b64 vcc, exec, s[0:1]
	v_lshlrev_b64 v[12:13], 3, v[12:13]
	s_cbranch_vccnz .LBB565_154
; %bb.146:
	v_mov_b32_e32 v17, s29
	v_add_co_u32_e32 v16, vcc, s28, v12
	v_addc_co_u32_e64 v17, s[2:3], v17, v13, vcc
	v_mov_b32_e32 v19, s29
	v_add_co_u32_e64 v18, s[2:3], s28, v14
	v_addc_co_u32_e64 v19, s[8:9], v19, v15, s[2:3]
	global_load_dwordx2 v[20:21], v[16:17], off
	global_load_dwordx2 v[28:29], v[18:19], off
	s_mov_b64 s[36:37], -1
	s_waitcnt vmcnt(0)
	v_cmp_eq_u64_e64 s[8:9], v[20:21], v[28:29]
	s_and_saveexec_b64 s[40:41], s[8:9]
	s_cbranch_execz .LBB565_153
; %bb.147:
	v_mov_b32_e32 v14, s29
	v_addc_co_u32_e64 v15, s[2:3], v15, v14, s[2:3]
	v_add_co_u32_e64 v14, s[2:3], 8, v18
	v_mov_b32_e32 v17, s29
	v_addc_co_u32_e64 v15, s[2:3], 0, v15, s[2:3]
	v_addc_co_u32_e32 v17, vcc, v13, v17, vcc
	v_add_co_u32_e32 v16, vcc, 8, v16
	s_add_u32 s2, s26, -1
	v_addc_co_u32_e32 v17, vcc, 0, v17, vcc
	s_addc_u32 s3, s27, -1
	s_mov_b64 s[8:9], 0
	s_mov_b64 s[42:43], 0
                                        ; implicit-def: $sgpr36_sgpr37
	s_branch .LBB565_150
.LBB565_148:                            ;   in Loop: Header=BB565_150 Depth=1
	global_load_dwordx2 v[18:19], v[16:17], off
	global_load_dwordx2 v[20:21], v[14:15], off
	v_add_co_u32_e32 v14, vcc, 8, v14
	v_addc_co_u32_e32 v15, vcc, 0, v15, vcc
	v_add_co_u32_e32 v16, vcc, 8, v16
	v_addc_co_u32_e32 v17, vcc, 0, v17, vcc
	s_add_u32 s42, s42, 1
	s_addc_u32 s43, s43, 0
	s_andn2_b64 s[36:37], s[36:37], exec
	s_waitcnt vmcnt(0)
	v_cmp_ne_u64_e32 vcc, v[18:19], v[20:21]
	s_and_b64 s[44:45], vcc, exec
	s_or_b64 s[36:37], s[36:37], s[44:45]
.LBB565_149:                            ;   in Loop: Header=BB565_150 Depth=1
	s_and_b64 s[44:45], exec, s[36:37]
	s_or_b64 s[8:9], s[44:45], s[8:9]
	v_pk_mov_b32 v[18:19], s[42:43], s[42:43] op_sel:[0,1]
	s_andn2_b64 exec, exec, s[8:9]
	s_cbranch_execz .LBB565_152
.LBB565_150:                            ; =>This Inner Loop Header: Depth=1
	s_or_b64 s[36:37], s[36:37], exec
	s_cmp_eq_u64 s[2:3], s[42:43]
	s_cbranch_scc0 .LBB565_148
; %bb.151:                              ;   in Loop: Header=BB565_150 Depth=1
                                        ; implicit-def: $vgpr14_vgpr15
                                        ; implicit-def: $vgpr16_vgpr17
	s_mov_b64 s[42:43], s[26:27]
	s_branch .LBB565_149
.LBB565_152:
	s_or_b64 exec, exec, s[8:9]
	v_cmp_gt_i64_e32 vcc, s[26:27], v[18:19]
	s_orn2_b64 s[36:37], vcc, exec
.LBB565_153:
	s_or_b64 exec, exec, s[40:41]
.LBB565_154:
	v_mul_lo_u32 v16, v7, s26
	v_mul_lo_u32 v17, v6, s27
	v_mad_u64_u32 v[14:15], s[2:3], v6, s26, 0
	v_add3_u32 v15, v15, v17, v16
	s_and_b64 vcc, exec, s[0:1]
	s_mov_b64 s[42:43], 0
	s_cbranch_vccnz .LBB565_163
; %bb.155:
	v_lshlrev_b64 v[16:17], 3, v[14:15]
	v_mov_b32_e32 v19, s29
	v_add_co_u32_e32 v18, vcc, s28, v16
	v_addc_co_u32_e64 v19, s[2:3], v19, v17, vcc
	v_mov_b32_e32 v16, s29
	v_add_co_u32_e64 v20, s[2:3], s28, v12
	v_addc_co_u32_e64 v21, s[8:9], v16, v13, s[2:3]
	global_load_dwordx2 v[28:29], v[18:19], off
	global_load_dwordx2 v[30:31], v[20:21], off
	s_mov_b64 s[42:43], -1
	s_waitcnt vmcnt(0)
	v_cmp_eq_u64_e64 s[8:9], v[28:29], v[30:31]
	s_and_saveexec_b64 s[40:41], s[8:9]
	s_cbranch_execz .LBB565_162
; %bb.156:
	v_mov_b32_e32 v12, s29
	v_addc_co_u32_e64 v13, s[2:3], v13, v12, s[2:3]
	v_add_co_u32_e64 v12, s[2:3], 8, v20
	v_mov_b32_e32 v16, s29
	v_addc_co_u32_e64 v13, s[2:3], 0, v13, s[2:3]
	v_addc_co_u32_e32 v17, vcc, v17, v16, vcc
	v_add_co_u32_e32 v16, vcc, 8, v18
	s_add_u32 s2, s26, -1
	v_addc_co_u32_e32 v17, vcc, 0, v17, vcc
	s_addc_u32 s3, s27, -1
	s_mov_b64 s[8:9], 0
	s_mov_b64 s[44:45], 0
                                        ; implicit-def: $sgpr42_sgpr43
	s_branch .LBB565_159
.LBB565_157:                            ;   in Loop: Header=BB565_159 Depth=1
	global_load_dwordx2 v[18:19], v[16:17], off
	global_load_dwordx2 v[20:21], v[12:13], off
	v_add_co_u32_e32 v12, vcc, 8, v12
	v_addc_co_u32_e32 v13, vcc, 0, v13, vcc
	v_add_co_u32_e32 v16, vcc, 8, v16
	v_addc_co_u32_e32 v17, vcc, 0, v17, vcc
	s_add_u32 s44, s44, 1
	s_addc_u32 s45, s45, 0
	s_andn2_b64 s[42:43], s[42:43], exec
	s_waitcnt vmcnt(0)
	v_cmp_ne_u64_e32 vcc, v[18:19], v[20:21]
	s_and_b64 s[46:47], vcc, exec
	s_or_b64 s[42:43], s[42:43], s[46:47]
.LBB565_158:                            ;   in Loop: Header=BB565_159 Depth=1
	s_and_b64 s[46:47], exec, s[42:43]
	s_or_b64 s[8:9], s[46:47], s[8:9]
	v_pk_mov_b32 v[18:19], s[44:45], s[44:45] op_sel:[0,1]
	s_andn2_b64 exec, exec, s[8:9]
	s_cbranch_execz .LBB565_161
.LBB565_159:                            ; =>This Inner Loop Header: Depth=1
	s_or_b64 s[42:43], s[42:43], exec
	s_cmp_eq_u64 s[2:3], s[44:45]
	s_cbranch_scc0 .LBB565_157
; %bb.160:                              ;   in Loop: Header=BB565_159 Depth=1
                                        ; implicit-def: $vgpr12_vgpr13
                                        ; implicit-def: $vgpr16_vgpr17
	s_mov_b64 s[44:45], s[26:27]
	s_branch .LBB565_158
.LBB565_161:
	s_or_b64 exec, exec, s[8:9]
	v_cmp_gt_i64_e32 vcc, s[26:27], v[18:19]
	s_orn2_b64 s[42:43], vcc, exec
.LBB565_162:
	s_or_b64 exec, exec, s[40:41]
.LBB565_163:
	v_cndmask_b32_e64 v13, 0, 1, s[38:39]
	v_cndmask_b32_e64 v16, 0, 1, s[42:43]
	;; [unrolled: 1-line block ×3, first 2 shown]
	v_lshlrev_b16_e32 v16, 8, v16
	v_lshlrev_b16_e32 v13, 8, v13
	v_or_b32_e32 v16, 1, v16
	v_or_b32_sdwa v12, v12, v13 dst_sel:WORD_1 dst_unused:UNUSED_PAD src0_sel:DWORD src1_sel:DWORD
	v_or_b32_sdwa v12, v16, v12 dst_sel:DWORD dst_unused:UNUSED_PAD src0_sel:WORD_0 src1_sel:DWORD
	v_cndmask_b32_e64 v13, 0, 1, s[18:19]
	v_cmp_ne_u32_e32 vcc, 0, v0
	s_waitcnt lgkmcnt(0)
	s_barrier
	s_waitcnt lgkmcnt(0)
                                        ; implicit-def: $sgpr18_sgpr19
                                        ; implicit-def: $vgpr16
	s_and_saveexec_b64 s[2:3], vcc
	s_xor_b64 s[8:9], exec, s[2:3]
	s_cbranch_execz .LBB565_174
; %bb.164:
	s_mov_b32 s33, 0x3020104
	s_and_b64 vcc, exec, s[0:1]
	s_mov_b64 s[36:37], 0
	s_cbranch_vccnz .LBB565_173
; %bb.165:
	v_add_u32_e32 v16, -8, v26
	ds_read_b64 v[16:17], v16
	v_mov_b32_e32 v19, s29
	v_lshlrev_b64 v[14:15], 3, v[14:15]
	s_mov_b64 s[36:37], -1
	s_waitcnt lgkmcnt(0)
	v_mul_lo_u32 v18, v17, s26
	v_mul_lo_u32 v20, v16, s27
	v_mad_u64_u32 v[16:17], s[0:1], v16, s26, 0
	v_add3_u32 v17, v17, v20, v18
	v_lshlrev_b64 v[16:17], 3, v[16:17]
	v_add_co_u32_e32 v18, vcc, s28, v16
	v_addc_co_u32_e64 v19, s[0:1], v19, v17, vcc
	v_mov_b32_e32 v16, s29
	v_add_co_u32_e64 v20, s[0:1], s28, v14
	v_addc_co_u32_e64 v21, s[2:3], v16, v15, s[0:1]
	global_load_dwordx2 v[28:29], v[18:19], off
	global_load_dwordx2 v[30:31], v[20:21], off
	s_waitcnt vmcnt(0)
	v_cmp_eq_u64_e64 s[2:3], v[28:29], v[30:31]
	s_and_saveexec_b64 s[18:19], s[2:3]
	s_cbranch_execz .LBB565_172
; %bb.166:
	v_mov_b32_e32 v14, s29
	v_addc_co_u32_e64 v15, s[0:1], v15, v14, s[0:1]
	v_add_co_u32_e64 v14, s[0:1], 8, v20
	v_mov_b32_e32 v16, s29
	v_addc_co_u32_e64 v15, s[0:1], 0, v15, s[0:1]
	v_addc_co_u32_e32 v17, vcc, v17, v16, vcc
	v_add_co_u32_e32 v16, vcc, 8, v18
	s_add_u32 s0, s26, -1
	v_addc_co_u32_e32 v17, vcc, 0, v17, vcc
	s_addc_u32 s1, s27, -1
	s_mov_b64 s[2:3], 0
	s_mov_b64 s[38:39], 0
                                        ; implicit-def: $sgpr36_sgpr37
	s_branch .LBB565_169
.LBB565_167:                            ;   in Loop: Header=BB565_169 Depth=1
	global_load_dwordx2 v[18:19], v[16:17], off
	global_load_dwordx2 v[20:21], v[14:15], off
	v_add_co_u32_e32 v14, vcc, 8, v14
	v_addc_co_u32_e32 v15, vcc, 0, v15, vcc
	v_add_co_u32_e32 v16, vcc, 8, v16
	v_addc_co_u32_e32 v17, vcc, 0, v17, vcc
	s_add_u32 s38, s38, 1
	s_addc_u32 s39, s39, 0
	s_andn2_b64 s[36:37], s[36:37], exec
	s_waitcnt vmcnt(0)
	v_cmp_ne_u64_e32 vcc, v[18:19], v[20:21]
	s_and_b64 s[40:41], vcc, exec
	s_or_b64 s[36:37], s[36:37], s[40:41]
.LBB565_168:                            ;   in Loop: Header=BB565_169 Depth=1
	s_and_b64 s[40:41], exec, s[36:37]
	s_or_b64 s[2:3], s[40:41], s[2:3]
	v_pk_mov_b32 v[18:19], s[38:39], s[38:39] op_sel:[0,1]
	s_andn2_b64 exec, exec, s[2:3]
	s_cbranch_execz .LBB565_171
.LBB565_169:                            ; =>This Inner Loop Header: Depth=1
	s_or_b64 s[36:37], s[36:37], exec
	s_cmp_eq_u64 s[0:1], s[38:39]
	s_cbranch_scc0 .LBB565_167
; %bb.170:                              ;   in Loop: Header=BB565_169 Depth=1
                                        ; implicit-def: $vgpr14_vgpr15
                                        ; implicit-def: $vgpr16_vgpr17
	s_mov_b64 s[38:39], s[26:27]
	s_branch .LBB565_168
.LBB565_171:
	s_or_b64 exec, exec, s[2:3]
	v_cmp_gt_i64_e32 vcc, s[26:27], v[18:19]
	s_orn2_b64 s[36:37], vcc, exec
.LBB565_172:
	s_or_b64 exec, exec, s[18:19]
.LBB565_173:
	v_perm_b32 v16, v12, v12, s33
	s_and_b64 s[18:19], s[36:37], exec
	s_or_b64 s[12:13], s[12:13], exec
.LBB565_174:
	s_or_b64 exec, exec, s[8:9]
	s_branch .LBB565_233
.LBB565_175:
	v_cmp_gt_u32_e32 vcc, s7, v23
	s_mov_b64 s[18:19], 0
	s_mov_b64 s[8:9], 0
	s_and_saveexec_b64 s[36:37], vcc
	s_cbranch_execz .LBB565_186
; %bb.176:
	s_andn2_b64 vcc, exec, s[14:15]
	s_mov_b64 s[38:39], 0
	s_cbranch_vccnz .LBB565_185
; %bb.177:
	v_mul_lo_u32 v14, v5, s26
	v_mul_lo_u32 v15, v4, s27
	v_mad_u64_u32 v[12:13], s[0:1], v4, s26, 0
	v_add3_u32 v13, v13, v15, v14
	v_mul_lo_u32 v14, v11, s26
	v_mul_lo_u32 v15, v10, s27
	v_mad_u64_u32 v[18:19], s[0:1], v10, s26, 0
	v_add3_u32 v19, v19, v15, v14
	v_lshlrev_b64 v[14:15], 3, v[12:13]
	v_mov_b32_e32 v12, s29
	v_add_co_u32_e32 v16, vcc, s28, v14
	v_addc_co_u32_e64 v17, s[0:1], v12, v15, vcc
	v_lshlrev_b64 v[12:13], 3, v[18:19]
	v_mov_b32_e32 v14, s29
	v_add_co_u32_e64 v18, s[0:1], s28, v12
	v_addc_co_u32_e64 v19, s[2:3], v14, v13, s[0:1]
	global_load_dwordx2 v[20:21], v[16:17], off
	global_load_dwordx2 v[28:29], v[18:19], off
	s_mov_b64 s[38:39], -1
	s_waitcnt vmcnt(0)
	v_cmp_eq_u64_e64 s[2:3], v[20:21], v[28:29]
	s_and_saveexec_b64 s[8:9], s[2:3]
	s_cbranch_execz .LBB565_184
; %bb.178:
	v_mov_b32_e32 v12, s29
	v_addc_co_u32_e64 v13, s[0:1], v13, v12, s[0:1]
	v_add_co_u32_e64 v12, s[0:1], 8, v18
	v_mov_b32_e32 v14, s29
	v_addc_co_u32_e64 v13, s[0:1], 0, v13, s[0:1]
	v_addc_co_u32_e32 v15, vcc, v15, v14, vcc
	v_add_co_u32_e32 v14, vcc, 8, v16
	s_add_u32 s0, s26, -1
	v_addc_co_u32_e32 v15, vcc, 0, v15, vcc
	s_addc_u32 s1, s27, -1
	s_mov_b64 s[2:3], 0
	s_mov_b64 s[40:41], 0
                                        ; implicit-def: $sgpr38_sgpr39
	s_branch .LBB565_181
.LBB565_179:                            ;   in Loop: Header=BB565_181 Depth=1
	global_load_dwordx2 v[16:17], v[14:15], off
	global_load_dwordx2 v[18:19], v[12:13], off
	v_add_co_u32_e32 v12, vcc, 8, v12
	v_addc_co_u32_e32 v13, vcc, 0, v13, vcc
	v_add_co_u32_e32 v14, vcc, 8, v14
	v_addc_co_u32_e32 v15, vcc, 0, v15, vcc
	s_add_u32 s40, s40, 1
	s_addc_u32 s41, s41, 0
	s_andn2_b64 s[38:39], s[38:39], exec
	s_waitcnt vmcnt(0)
	v_cmp_ne_u64_e32 vcc, v[16:17], v[18:19]
	s_and_b64 s[42:43], vcc, exec
	s_or_b64 s[38:39], s[38:39], s[42:43]
.LBB565_180:                            ;   in Loop: Header=BB565_181 Depth=1
	s_and_b64 s[42:43], exec, s[38:39]
	s_or_b64 s[2:3], s[42:43], s[2:3]
	v_pk_mov_b32 v[16:17], s[40:41], s[40:41] op_sel:[0,1]
	s_andn2_b64 exec, exec, s[2:3]
	s_cbranch_execz .LBB565_183
.LBB565_181:                            ; =>This Inner Loop Header: Depth=1
	s_or_b64 s[38:39], s[38:39], exec
	s_cmp_eq_u64 s[0:1], s[40:41]
	s_cbranch_scc0 .LBB565_179
; %bb.182:                              ;   in Loop: Header=BB565_181 Depth=1
                                        ; implicit-def: $vgpr12_vgpr13
                                        ; implicit-def: $vgpr14_vgpr15
	s_mov_b64 s[40:41], s[26:27]
	s_branch .LBB565_180
.LBB565_183:
	s_or_b64 exec, exec, s[2:3]
	v_cmp_gt_i64_e32 vcc, s[26:27], v[16:17]
	s_orn2_b64 s[38:39], vcc, exec
.LBB565_184:
	s_or_b64 exec, exec, s[8:9]
.LBB565_185:
	s_and_b64 s[8:9], s[38:39], exec
.LBB565_186:
	s_or_b64 exec, exec, s[36:37]
	v_cmp_gt_u32_e32 vcc, s7, v25
	s_and_saveexec_b64 s[36:37], vcc
	s_cbranch_execz .LBB565_197
; %bb.187:
	s_andn2_b64 vcc, exec, s[14:15]
	s_mov_b64 s[38:39], 0
	s_cbranch_vccnz .LBB565_196
; %bb.188:
	v_mul_lo_u32 v14, v3, s26
	v_mul_lo_u32 v15, v2, s27
	v_mad_u64_u32 v[12:13], s[0:1], v2, s26, 0
	v_add3_u32 v13, v13, v15, v14
	v_mul_lo_u32 v14, v5, s26
	v_mul_lo_u32 v15, v4, s27
	v_mad_u64_u32 v[18:19], s[0:1], v4, s26, 0
	v_add3_u32 v19, v19, v15, v14
	v_lshlrev_b64 v[14:15], 3, v[12:13]
	v_mov_b32_e32 v12, s29
	v_add_co_u32_e32 v16, vcc, s28, v14
	v_addc_co_u32_e64 v17, s[0:1], v12, v15, vcc
	v_lshlrev_b64 v[12:13], 3, v[18:19]
	v_mov_b32_e32 v14, s29
	v_add_co_u32_e64 v18, s[0:1], s28, v12
	v_addc_co_u32_e64 v19, s[2:3], v14, v13, s[0:1]
	global_load_dwordx2 v[20:21], v[16:17], off
	global_load_dwordx2 v[28:29], v[18:19], off
	s_mov_b64 s[38:39], -1
	s_waitcnt vmcnt(0)
	v_cmp_eq_u64_e64 s[2:3], v[20:21], v[28:29]
	s_and_saveexec_b64 s[18:19], s[2:3]
	s_cbranch_execz .LBB565_195
; %bb.189:
	v_mov_b32_e32 v12, s29
	v_addc_co_u32_e64 v13, s[0:1], v13, v12, s[0:1]
	v_add_co_u32_e64 v12, s[0:1], 8, v18
	v_mov_b32_e32 v14, s29
	v_addc_co_u32_e64 v13, s[0:1], 0, v13, s[0:1]
	v_addc_co_u32_e32 v15, vcc, v15, v14, vcc
	v_add_co_u32_e32 v14, vcc, 8, v16
	s_add_u32 s0, s26, -1
	v_addc_co_u32_e32 v15, vcc, 0, v15, vcc
	s_addc_u32 s1, s27, -1
	s_mov_b64 s[2:3], 0
	s_mov_b64 s[40:41], 0
                                        ; implicit-def: $sgpr38_sgpr39
	s_branch .LBB565_192
.LBB565_190:                            ;   in Loop: Header=BB565_192 Depth=1
	global_load_dwordx2 v[16:17], v[14:15], off
	global_load_dwordx2 v[18:19], v[12:13], off
	v_add_co_u32_e32 v12, vcc, 8, v12
	v_addc_co_u32_e32 v13, vcc, 0, v13, vcc
	v_add_co_u32_e32 v14, vcc, 8, v14
	v_addc_co_u32_e32 v15, vcc, 0, v15, vcc
	s_add_u32 s40, s40, 1
	s_addc_u32 s41, s41, 0
	s_andn2_b64 s[38:39], s[38:39], exec
	s_waitcnt vmcnt(0)
	v_cmp_ne_u64_e32 vcc, v[16:17], v[18:19]
	s_and_b64 s[42:43], vcc, exec
	s_or_b64 s[38:39], s[38:39], s[42:43]
.LBB565_191:                            ;   in Loop: Header=BB565_192 Depth=1
	s_and_b64 s[42:43], exec, s[38:39]
	s_or_b64 s[2:3], s[42:43], s[2:3]
	v_pk_mov_b32 v[16:17], s[40:41], s[40:41] op_sel:[0,1]
	s_andn2_b64 exec, exec, s[2:3]
	s_cbranch_execz .LBB565_194
.LBB565_192:                            ; =>This Inner Loop Header: Depth=1
	s_or_b64 s[38:39], s[38:39], exec
	s_cmp_eq_u64 s[0:1], s[40:41]
	s_cbranch_scc0 .LBB565_190
; %bb.193:                              ;   in Loop: Header=BB565_192 Depth=1
                                        ; implicit-def: $vgpr12_vgpr13
                                        ; implicit-def: $vgpr14_vgpr15
	s_mov_b64 s[40:41], s[26:27]
	s_branch .LBB565_191
.LBB565_194:
	s_or_b64 exec, exec, s[2:3]
	v_cmp_gt_i64_e32 vcc, s[26:27], v[16:17]
	s_orn2_b64 s[38:39], vcc, exec
.LBB565_195:
	s_or_b64 exec, exec, s[18:19]
.LBB565_196:
	s_and_b64 s[18:19], s[38:39], exec
.LBB565_197:
	s_or_b64 exec, exec, s[36:37]
	v_cmp_gt_u32_e32 vcc, s7, v22
	s_mov_b64 s[36:37], 0
	s_mov_b64 s[38:39], 0
	s_and_saveexec_b64 s[40:41], vcc
	s_cbranch_execz .LBB565_208
; %bb.198:
	s_andn2_b64 vcc, exec, s[14:15]
	s_mov_b64 s[42:43], 0
	s_cbranch_vccnz .LBB565_207
; %bb.199:
	v_mul_lo_u32 v14, v9, s26
	v_mul_lo_u32 v15, v8, s27
	v_mad_u64_u32 v[12:13], s[0:1], v8, s26, 0
	v_add3_u32 v13, v13, v15, v14
	v_mul_lo_u32 v14, v3, s26
	v_mul_lo_u32 v15, v2, s27
	v_mad_u64_u32 v[18:19], s[0:1], v2, s26, 0
	v_add3_u32 v19, v19, v15, v14
	v_lshlrev_b64 v[14:15], 3, v[12:13]
	v_mov_b32_e32 v12, s29
	v_add_co_u32_e32 v16, vcc, s28, v14
	v_addc_co_u32_e64 v17, s[0:1], v12, v15, vcc
	v_lshlrev_b64 v[12:13], 3, v[18:19]
	v_mov_b32_e32 v14, s29
	v_add_co_u32_e64 v18, s[0:1], s28, v12
	v_addc_co_u32_e64 v19, s[2:3], v14, v13, s[0:1]
	global_load_dwordx2 v[20:21], v[16:17], off
	global_load_dwordx2 v[28:29], v[18:19], off
	s_mov_b64 s[42:43], -1
	s_waitcnt vmcnt(0)
	v_cmp_eq_u64_e64 s[2:3], v[20:21], v[28:29]
	s_and_saveexec_b64 s[38:39], s[2:3]
	s_cbranch_execz .LBB565_206
; %bb.200:
	v_mov_b32_e32 v12, s29
	v_addc_co_u32_e64 v13, s[0:1], v13, v12, s[0:1]
	v_add_co_u32_e64 v12, s[0:1], 8, v18
	v_mov_b32_e32 v14, s29
	v_addc_co_u32_e64 v13, s[0:1], 0, v13, s[0:1]
	v_addc_co_u32_e32 v15, vcc, v15, v14, vcc
	v_add_co_u32_e32 v14, vcc, 8, v16
	s_add_u32 s0, s26, -1
	v_addc_co_u32_e32 v15, vcc, 0, v15, vcc
	s_addc_u32 s1, s27, -1
	s_mov_b64 s[2:3], 0
	s_mov_b64 s[44:45], 0
                                        ; implicit-def: $sgpr42_sgpr43
	s_branch .LBB565_203
.LBB565_201:                            ;   in Loop: Header=BB565_203 Depth=1
	global_load_dwordx2 v[16:17], v[14:15], off
	global_load_dwordx2 v[18:19], v[12:13], off
	v_add_co_u32_e32 v12, vcc, 8, v12
	v_addc_co_u32_e32 v13, vcc, 0, v13, vcc
	v_add_co_u32_e32 v14, vcc, 8, v14
	v_addc_co_u32_e32 v15, vcc, 0, v15, vcc
	s_add_u32 s44, s44, 1
	s_addc_u32 s45, s45, 0
	s_andn2_b64 s[42:43], s[42:43], exec
	s_waitcnt vmcnt(0)
	v_cmp_ne_u64_e32 vcc, v[16:17], v[18:19]
	s_and_b64 s[46:47], vcc, exec
	s_or_b64 s[42:43], s[42:43], s[46:47]
.LBB565_202:                            ;   in Loop: Header=BB565_203 Depth=1
	s_and_b64 s[46:47], exec, s[42:43]
	s_or_b64 s[2:3], s[46:47], s[2:3]
	v_pk_mov_b32 v[16:17], s[44:45], s[44:45] op_sel:[0,1]
	s_andn2_b64 exec, exec, s[2:3]
	s_cbranch_execz .LBB565_205
.LBB565_203:                            ; =>This Inner Loop Header: Depth=1
	s_or_b64 s[42:43], s[42:43], exec
	s_cmp_eq_u64 s[0:1], s[44:45]
	s_cbranch_scc0 .LBB565_201
; %bb.204:                              ;   in Loop: Header=BB565_203 Depth=1
                                        ; implicit-def: $vgpr12_vgpr13
                                        ; implicit-def: $vgpr14_vgpr15
	s_mov_b64 s[44:45], s[26:27]
	s_branch .LBB565_202
.LBB565_205:
	s_or_b64 exec, exec, s[2:3]
	v_cmp_gt_i64_e32 vcc, s[26:27], v[16:17]
	s_orn2_b64 s[42:43], vcc, exec
.LBB565_206:
	s_or_b64 exec, exec, s[38:39]
.LBB565_207:
	s_and_b64 s[38:39], s[42:43], exec
.LBB565_208:
	s_or_b64 exec, exec, s[40:41]
	v_cmp_gt_u32_e32 vcc, s7, v24
	s_and_saveexec_b64 s[40:41], vcc
	s_cbranch_execz .LBB565_219
; %bb.209:
	s_andn2_b64 vcc, exec, s[14:15]
	s_mov_b64 s[42:43], 0
	s_cbranch_vccnz .LBB565_218
; %bb.210:
	v_mul_lo_u32 v14, v7, s26
	v_mul_lo_u32 v15, v6, s27
	v_mad_u64_u32 v[12:13], s[0:1], v6, s26, 0
	v_add3_u32 v13, v13, v15, v14
	v_mul_lo_u32 v14, v9, s26
	v_mul_lo_u32 v15, v8, s27
	v_mad_u64_u32 v[18:19], s[0:1], v8, s26, 0
	v_add3_u32 v19, v19, v15, v14
	v_lshlrev_b64 v[14:15], 3, v[12:13]
	v_mov_b32_e32 v12, s29
	v_add_co_u32_e32 v16, vcc, s28, v14
	v_addc_co_u32_e64 v17, s[0:1], v12, v15, vcc
	v_lshlrev_b64 v[12:13], 3, v[18:19]
	v_mov_b32_e32 v14, s29
	v_add_co_u32_e64 v18, s[0:1], s28, v12
	v_addc_co_u32_e64 v19, s[2:3], v14, v13, s[0:1]
	global_load_dwordx2 v[20:21], v[16:17], off
	global_load_dwordx2 v[28:29], v[18:19], off
	s_mov_b64 s[42:43], -1
	s_waitcnt vmcnt(0)
	v_cmp_eq_u64_e64 s[2:3], v[20:21], v[28:29]
	s_and_saveexec_b64 s[36:37], s[2:3]
	s_cbranch_execz .LBB565_217
; %bb.211:
	v_mov_b32_e32 v12, s29
	v_addc_co_u32_e64 v13, s[0:1], v13, v12, s[0:1]
	v_add_co_u32_e64 v12, s[0:1], 8, v18
	v_mov_b32_e32 v14, s29
	v_addc_co_u32_e64 v13, s[0:1], 0, v13, s[0:1]
	v_addc_co_u32_e32 v15, vcc, v15, v14, vcc
	v_add_co_u32_e32 v14, vcc, 8, v16
	s_add_u32 s0, s26, -1
	v_addc_co_u32_e32 v15, vcc, 0, v15, vcc
	s_addc_u32 s1, s27, -1
	s_mov_b64 s[2:3], 0
	s_mov_b64 s[44:45], 0
                                        ; implicit-def: $sgpr42_sgpr43
	s_branch .LBB565_214
.LBB565_212:                            ;   in Loop: Header=BB565_214 Depth=1
	global_load_dwordx2 v[16:17], v[14:15], off
	global_load_dwordx2 v[18:19], v[12:13], off
	v_add_co_u32_e32 v12, vcc, 8, v12
	v_addc_co_u32_e32 v13, vcc, 0, v13, vcc
	v_add_co_u32_e32 v14, vcc, 8, v14
	v_addc_co_u32_e32 v15, vcc, 0, v15, vcc
	s_add_u32 s44, s44, 1
	s_addc_u32 s45, s45, 0
	s_andn2_b64 s[42:43], s[42:43], exec
	s_waitcnt vmcnt(0)
	v_cmp_ne_u64_e32 vcc, v[16:17], v[18:19]
	s_and_b64 s[46:47], vcc, exec
	s_or_b64 s[42:43], s[42:43], s[46:47]
.LBB565_213:                            ;   in Loop: Header=BB565_214 Depth=1
	s_and_b64 s[46:47], exec, s[42:43]
	s_or_b64 s[2:3], s[46:47], s[2:3]
	v_pk_mov_b32 v[16:17], s[44:45], s[44:45] op_sel:[0,1]
	s_andn2_b64 exec, exec, s[2:3]
	s_cbranch_execz .LBB565_216
.LBB565_214:                            ; =>This Inner Loop Header: Depth=1
	s_or_b64 s[42:43], s[42:43], exec
	s_cmp_eq_u64 s[0:1], s[44:45]
	s_cbranch_scc0 .LBB565_212
; %bb.215:                              ;   in Loop: Header=BB565_214 Depth=1
                                        ; implicit-def: $vgpr12_vgpr13
                                        ; implicit-def: $vgpr14_vgpr15
	s_mov_b64 s[44:45], s[26:27]
	s_branch .LBB565_213
.LBB565_216:
	s_or_b64 exec, exec, s[2:3]
	v_cmp_gt_i64_e32 vcc, s[26:27], v[16:17]
	s_orn2_b64 s[42:43], vcc, exec
.LBB565_217:
	s_or_b64 exec, exec, s[36:37]
.LBB565_218:
	s_and_b64 s[36:37], s[42:43], exec
.LBB565_219:
	s_or_b64 exec, exec, s[40:41]
	v_cndmask_b32_e64 v13, 0, 1, s[18:19]
	v_cndmask_b32_e64 v14, 0, 1, s[36:37]
	;; [unrolled: 1-line block ×3, first 2 shown]
	v_lshlrev_b16_e32 v14, 8, v14
	v_lshlrev_b16_e32 v13, 8, v13
	v_or_b32_e32 v14, 1, v14
	v_or_b32_sdwa v12, v12, v13 dst_sel:WORD_1 dst_unused:UNUSED_PAD src0_sel:DWORD src1_sel:DWORD
	v_or_b32_sdwa v12, v14, v12 dst_sel:DWORD dst_unused:UNUSED_PAD src0_sel:WORD_0 src1_sel:DWORD
	v_cndmask_b32_e64 v13, 0, 1, s[8:9]
	v_cmp_ne_u32_e32 vcc, 0, v0
	s_waitcnt lgkmcnt(0)
	s_barrier
	s_waitcnt lgkmcnt(0)
                                        ; implicit-def: $sgpr18_sgpr19
                                        ; implicit-def: $vgpr16
	s_and_saveexec_b64 s[8:9], vcc
	s_cbranch_execz .LBB565_232
; %bb.220:
	v_cmp_gt_u32_e32 vcc, s7, v1
	s_mov_b32 s33, 0x3020104
	s_mov_b64 s[0:1], 0
	s_and_saveexec_b64 s[18:19], vcc
	s_cbranch_execz .LBB565_231
; %bb.221:
	s_andn2_b64 vcc, exec, s[14:15]
	s_mov_b64 s[36:37], 0
	s_cbranch_vccnz .LBB565_230
; %bb.222:
	v_add_u32_e32 v14, -8, v26
	ds_read_b64 v[14:15], v14
	v_mul_lo_u32 v16, v7, s26
	v_mad_u64_u32 v[20:21], s[0:1], v6, s26, 0
	s_mov_b64 s[36:37], -1
	s_waitcnt lgkmcnt(0)
	v_mul_lo_u32 v17, v15, s26
	v_mul_lo_u32 v18, v14, s27
	v_mad_u64_u32 v[14:15], s[0:1], v14, s26, 0
	v_add3_u32 v15, v15, v18, v17
	v_mul_lo_u32 v17, v6, s27
	v_add3_u32 v21, v21, v17, v16
	v_lshlrev_b64 v[16:17], 3, v[14:15]
	v_mov_b32_e32 v14, s29
	v_add_co_u32_e32 v18, vcc, s28, v16
	v_addc_co_u32_e64 v19, s[0:1], v14, v17, vcc
	v_lshlrev_b64 v[14:15], 3, v[20:21]
	v_mov_b32_e32 v16, s29
	v_add_co_u32_e64 v20, s[0:1], s28, v14
	v_addc_co_u32_e64 v21, s[2:3], v16, v15, s[0:1]
	global_load_dwordx2 v[26:27], v[18:19], off
	global_load_dwordx2 v[28:29], v[20:21], off
	s_waitcnt vmcnt(0)
	v_cmp_eq_u64_e64 s[2:3], v[26:27], v[28:29]
	s_and_saveexec_b64 s[14:15], s[2:3]
	s_cbranch_execz .LBB565_229
; %bb.223:
	v_mov_b32_e32 v14, s29
	v_addc_co_u32_e64 v15, s[0:1], v15, v14, s[0:1]
	v_add_co_u32_e64 v14, s[0:1], 8, v20
	v_mov_b32_e32 v16, s29
	v_addc_co_u32_e64 v15, s[0:1], 0, v15, s[0:1]
	v_addc_co_u32_e32 v17, vcc, v17, v16, vcc
	v_add_co_u32_e32 v16, vcc, 8, v18
	s_add_u32 s0, s26, -1
	v_addc_co_u32_e32 v17, vcc, 0, v17, vcc
	s_addc_u32 s1, s27, -1
	s_mov_b64 s[2:3], 0
	s_mov_b64 s[36:37], 0
                                        ; implicit-def: $sgpr28_sgpr29
	s_branch .LBB565_226
.LBB565_224:                            ;   in Loop: Header=BB565_226 Depth=1
	global_load_dwordx2 v[18:19], v[16:17], off
	global_load_dwordx2 v[20:21], v[14:15], off
	v_add_co_u32_e32 v14, vcc, 8, v14
	v_addc_co_u32_e32 v15, vcc, 0, v15, vcc
	v_add_co_u32_e32 v16, vcc, 8, v16
	v_addc_co_u32_e32 v17, vcc, 0, v17, vcc
	s_add_u32 s36, s36, 1
	s_addc_u32 s37, s37, 0
	s_andn2_b64 s[28:29], s[28:29], exec
	s_waitcnt vmcnt(0)
	v_cmp_ne_u64_e32 vcc, v[18:19], v[20:21]
	s_and_b64 s[38:39], vcc, exec
	s_or_b64 s[28:29], s[28:29], s[38:39]
.LBB565_225:                            ;   in Loop: Header=BB565_226 Depth=1
	s_and_b64 s[38:39], exec, s[28:29]
	s_or_b64 s[2:3], s[38:39], s[2:3]
	v_pk_mov_b32 v[18:19], s[36:37], s[36:37] op_sel:[0,1]
	s_andn2_b64 exec, exec, s[2:3]
	s_cbranch_execz .LBB565_228
.LBB565_226:                            ; =>This Inner Loop Header: Depth=1
	s_or_b64 s[28:29], s[28:29], exec
	s_cmp_eq_u64 s[0:1], s[36:37]
	s_cbranch_scc0 .LBB565_224
; %bb.227:                              ;   in Loop: Header=BB565_226 Depth=1
                                        ; implicit-def: $vgpr14_vgpr15
                                        ; implicit-def: $vgpr16_vgpr17
	s_mov_b64 s[36:37], s[26:27]
	s_branch .LBB565_225
.LBB565_228:
	s_or_b64 exec, exec, s[2:3]
	v_cmp_gt_i64_e32 vcc, s[26:27], v[18:19]
	s_orn2_b64 s[36:37], vcc, exec
.LBB565_229:
	s_or_b64 exec, exec, s[14:15]
.LBB565_230:
	s_and_b64 s[0:1], s[36:37], exec
.LBB565_231:
	s_or_b64 exec, exec, s[18:19]
	v_perm_b32 v16, v12, v12, s33
	s_and_b64 s[18:19], s[0:1], exec
	s_or_b64 s[12:13], s[12:13], exec
.LBB565_232:
	s_or_b64 exec, exec, s[8:9]
.LBB565_233:
	s_and_saveexec_b64 s[0:1], s[12:13]
	s_cbranch_execz .LBB565_235
; %bb.234:
	v_lshrrev_b32_e32 v14, 24, v16
	s_movk_i32 s2, 0xff
	v_lshlrev_b16_e32 v14, 8, v14
	v_and_b32_sdwa v15, v16, s2 dst_sel:DWORD dst_unused:UNUSED_PAD src0_sel:WORD_1 src1_sel:DWORD
	v_or_b32_sdwa v14, v15, v14 dst_sel:WORD_1 dst_unused:UNUSED_PAD src0_sel:DWORD src1_sel:DWORD
	v_mov_b32_e32 v15, 8
	v_cndmask_b32_e64 v12, 0, 1, s[18:19]
	v_lshrrev_b32_sdwa v15, v15, v16 dst_sel:BYTE_1 dst_unused:UNUSED_PAD src0_sel:DWORD src1_sel:DWORD
	v_or_b32_e32 v12, v12, v15
	s_mov_b32 s2, 0xffff
	v_or_b32_sdwa v12, v12, v14 dst_sel:DWORD dst_unused:UNUSED_PAD src0_sel:WORD_0 src1_sel:DWORD
	v_and_b32_sdwa v13, s2, v13 dst_sel:DWORD dst_unused:UNUSED_PAD src0_sel:DWORD src1_sel:BYTE_0
.LBB565_235:
	s_or_b64 exec, exec, s[0:1]
	s_andn2_b64 vcc, exec, s[10:11]
	s_cbranch_vccnz .LBB565_237
; %bb.236:
	v_cmp_gt_u32_e32 vcc, s7, v1
	v_cndmask_b32_e32 v1, 0, v12, vcc
	v_and_b32_e32 v1, 0xffff00ff, v1
	v_cmp_gt_u32_e64 s[0:1], s7, v24
	v_cndmask_b32_e64 v1, v1, v12, s[0:1]
	v_lshrrev_b32_e32 v14, 24, v1
	s_mov_b32 s2, 0x40c0100
	v_perm_b32 v1, v14, v1, s2
	v_cmp_gt_u32_e64 s[2:3], s7, v22
	v_cmp_gt_u32_e64 s[8:9], s7, v25
	v_cndmask_b32_e64 v1, v1, v12, s[2:3]
	s_or_b64 s[2:3], s[8:9], s[2:3]
	s_or_b64 s[0:1], s[2:3], s[0:1]
	s_or_b64 vcc, s[0:1], vcc
	v_and_b32_e32 v1, 0xffffff, v1
	v_cndmask_b32_e32 v14, 0, v13, vcc
	v_cndmask_b32_e64 v1, v1, v12, s[8:9]
	v_and_b32_e32 v14, 0xffffff00, v14
	v_cmp_gt_u32_e32 vcc, s7, v23
	v_cndmask_b32_e32 v1, v1, v12, vcc
	v_cndmask_b32_e32 v12, v14, v13, vcc
	s_mov_b32 s0, 0x3020104
	v_and_b32_e32 v13, 0xff, v12
	v_perm_b32 v12, v1, v1, s0
.LBB565_237:
	v_and_b32_e32 v1, 0xff, v12
	v_bfe_u32 v25, v12, 8, 8
	v_bfe_u32 v27, v12, 16, 8
	v_alignbit_b32 v14, v13, v12, 24
	v_and_b32_e32 v28, 0xff, v14
	v_and_b32_e32 v14, 0xff, v13
	v_add3_u32 v15, v25, v1, v27
	v_add3_u32 v31, v15, v28, v14
	v_mbcnt_lo_u32_b32 v14, -1, 0
	v_mbcnt_hi_u32_b32 v29, -1, v14
	v_and_b32_e32 v14, 15, v29
	v_cmp_eq_u32_e64 s[14:15], 0, v14
	v_cmp_lt_u32_e64 s[12:13], 1, v14
	v_cmp_lt_u32_e64 s[10:11], 3, v14
	;; [unrolled: 1-line block ×3, first 2 shown]
	v_and_b32_e32 v14, 16, v29
	v_cmp_eq_u32_e64 s[18:19], 0, v14
	v_or_b32_e32 v14, 63, v0
	v_cmp_lt_u32_e64 s[0:1], 31, v29
	v_lshrrev_b32_e32 v30, 6, v0
	v_cmp_eq_u32_e64 s[2:3], v14, v0
	s_and_b64 vcc, exec, s[16:17]
	s_waitcnt lgkmcnt(0)
	s_barrier
	s_cbranch_vccz .LBB565_264
; %bb.238:
	v_mov_b32_dpp v14, v31 row_shr:1 row_mask:0xf bank_mask:0xf
	v_cndmask_b32_e64 v14, v14, 0, s[14:15]
	v_add_u32_e32 v14, v14, v31
	s_nop 1
	v_mov_b32_dpp v15, v14 row_shr:2 row_mask:0xf bank_mask:0xf
	v_cndmask_b32_e64 v15, 0, v15, s[12:13]
	v_add_u32_e32 v14, v14, v15
	s_nop 1
	;; [unrolled: 4-line block ×4, first 2 shown]
	v_mov_b32_dpp v15, v14 row_bcast:15 row_mask:0xf bank_mask:0xf
	v_cndmask_b32_e64 v15, v15, 0, s[18:19]
	v_add_u32_e32 v14, v14, v15
	s_nop 1
	v_mov_b32_dpp v15, v14 row_bcast:31 row_mask:0xf bank_mask:0xf
	v_cndmask_b32_e64 v15, 0, v15, s[0:1]
	v_add_u32_e32 v14, v14, v15
	s_and_saveexec_b64 s[16:17], s[2:3]
	s_cbranch_execz .LBB565_240
; %bb.239:
	v_lshlrev_b32_e32 v15, 2, v30
	ds_write_b32 v15, v14
.LBB565_240:
	s_or_b64 exec, exec, s[16:17]
	v_cmp_gt_u32_e32 vcc, 4, v0
	s_waitcnt lgkmcnt(0)
	s_barrier
	s_and_saveexec_b64 s[16:17], vcc
	s_cbranch_execz .LBB565_242
; %bb.241:
	v_lshlrev_b32_e32 v15, 2, v0
	ds_read_b32 v16, v15
	v_and_b32_e32 v17, 3, v29
	v_cmp_ne_u32_e32 vcc, 0, v17
	s_waitcnt lgkmcnt(0)
	v_mov_b32_dpp v18, v16 row_shr:1 row_mask:0xf bank_mask:0xf
	v_cndmask_b32_e32 v18, 0, v18, vcc
	v_add_u32_e32 v16, v18, v16
	v_cmp_lt_u32_e32 vcc, 1, v17
	s_nop 0
	v_mov_b32_dpp v18, v16 row_shr:2 row_mask:0xf bank_mask:0xf
	v_cndmask_b32_e32 v17, 0, v18, vcc
	v_add_u32_e32 v16, v16, v17
	ds_write_b32 v15, v16
.LBB565_242:
	s_or_b64 exec, exec, s[16:17]
	v_cmp_gt_u32_e32 vcc, 64, v0
	v_cmp_lt_u32_e64 s[16:17], 63, v0
	s_waitcnt lgkmcnt(0)
	s_barrier
	s_waitcnt lgkmcnt(0)
                                        ; implicit-def: $vgpr24
	s_and_saveexec_b64 s[26:27], s[16:17]
	s_cbranch_execz .LBB565_244
; %bb.243:
	v_lshl_add_u32 v15, v30, 2, -4
	ds_read_b32 v24, v15
	s_waitcnt lgkmcnt(0)
	v_add_u32_e32 v14, v24, v14
.LBB565_244:
	s_or_b64 exec, exec, s[26:27]
	v_add_u32_e32 v15, -1, v29
	v_and_b32_e32 v16, 64, v29
	v_cmp_lt_i32_e64 s[16:17], v15, v16
	v_cndmask_b32_e64 v15, v15, v29, s[16:17]
	v_lshlrev_b32_e32 v15, 2, v15
	ds_bpermute_b32 v26, v15, v14
	v_cmp_eq_u32_e64 s[16:17], 0, v29
	s_and_saveexec_b64 s[26:27], vcc
	s_cbranch_execz .LBB565_263
; %bb.245:
	v_mov_b32_e32 v21, 0
	ds_read_b32 v14, v21 offset:12
	s_and_saveexec_b64 s[28:29], s[16:17]
	s_cbranch_execz .LBB565_247
; %bb.246:
	s_add_i32 s36, s6, 64
	s_mov_b32 s37, 0
	s_lshl_b64 s[36:37], s[36:37], 3
	s_add_u32 s36, s30, s36
	v_mov_b32_e32 v15, 1
	s_addc_u32 s37, s31, s37
	s_waitcnt lgkmcnt(0)
	global_store_dwordx2 v21, v[14:15], s[36:37]
.LBB565_247:
	s_or_b64 exec, exec, s[28:29]
	v_xad_u32 v16, v29, -1, s6
	v_add_u32_e32 v20, 64, v16
	v_lshlrev_b64 v[18:19], 3, v[20:21]
	v_mov_b32_e32 v15, s31
	v_add_co_u32_e32 v22, vcc, s30, v18
	v_addc_co_u32_e32 v23, vcc, v15, v19, vcc
	global_load_dwordx2 v[18:19], v[22:23], off glc
	s_waitcnt vmcnt(0)
	v_cmp_eq_u16_sdwa s[36:37], v19, v21 src0_sel:BYTE_0 src1_sel:DWORD
	s_and_saveexec_b64 s[28:29], s[36:37]
	s_cbranch_execz .LBB565_251
; %bb.248:
	s_mov_b64 s[36:37], 0
	v_mov_b32_e32 v15, 0
.LBB565_249:                            ; =>This Inner Loop Header: Depth=1
	global_load_dwordx2 v[18:19], v[22:23], off glc
	s_waitcnt vmcnt(0)
	v_cmp_ne_u16_sdwa s[38:39], v19, v15 src0_sel:BYTE_0 src1_sel:DWORD
	s_or_b64 s[36:37], s[38:39], s[36:37]
	s_andn2_b64 exec, exec, s[36:37]
	s_cbranch_execnz .LBB565_249
; %bb.250:
	s_or_b64 exec, exec, s[36:37]
.LBB565_251:
	s_or_b64 exec, exec, s[28:29]
	v_and_b32_e32 v32, 63, v29
	v_mov_b32_e32 v15, 2
	v_cmp_ne_u32_e32 vcc, 63, v32
	v_cmp_eq_u16_sdwa s[28:29], v19, v15 src0_sel:BYTE_0 src1_sel:DWORD
	v_lshlrev_b64 v[20:21], v29, -1
	v_addc_co_u32_e32 v23, vcc, 0, v29, vcc
	v_and_b32_e32 v17, s29, v21
	v_lshlrev_b32_e32 v33, 2, v23
	v_or_b32_e32 v17, 0x80000000, v17
	ds_bpermute_b32 v23, v33, v18
	v_and_b32_e32 v22, s28, v20
	v_ffbl_b32_e32 v17, v17
	v_add_u32_e32 v17, 32, v17
	v_ffbl_b32_e32 v22, v22
	v_min_u32_e32 v17, v22, v17
	v_cmp_lt_u32_e32 vcc, v32, v17
	s_waitcnt lgkmcnt(0)
	v_cndmask_b32_e32 v22, 0, v23, vcc
	v_cmp_gt_u32_e32 vcc, 62, v32
	v_add_u32_e32 v18, v22, v18
	v_cndmask_b32_e64 v22, 0, 1, vcc
	v_lshlrev_b32_e32 v22, 1, v22
	v_add_lshl_u32 v34, v22, v29, 2
	ds_bpermute_b32 v22, v34, v18
	v_add_u32_e32 v35, 2, v32
	v_cmp_le_u32_e32 vcc, v35, v17
	v_add_u32_e32 v37, 4, v32
	v_add_u32_e32 v39, 8, v32
	s_waitcnt lgkmcnt(0)
	v_cndmask_b32_e32 v22, 0, v22, vcc
	v_cmp_gt_u32_e32 vcc, 60, v32
	v_add_u32_e32 v18, v18, v22
	v_cndmask_b32_e64 v22, 0, 1, vcc
	v_lshlrev_b32_e32 v22, 2, v22
	v_add_lshl_u32 v36, v22, v29, 2
	ds_bpermute_b32 v22, v36, v18
	v_cmp_le_u32_e32 vcc, v37, v17
	v_add_u32_e32 v42, 16, v32
	v_add_u32_e32 v44, 32, v32
	s_waitcnt lgkmcnt(0)
	v_cndmask_b32_e32 v22, 0, v22, vcc
	v_cmp_gt_u32_e32 vcc, 56, v32
	v_add_u32_e32 v18, v18, v22
	v_cndmask_b32_e64 v22, 0, 1, vcc
	v_lshlrev_b32_e32 v22, 3, v22
	v_add_lshl_u32 v38, v22, v29, 2
	ds_bpermute_b32 v22, v38, v18
	v_cmp_le_u32_e32 vcc, v39, v17
	s_waitcnt lgkmcnt(0)
	v_cndmask_b32_e32 v22, 0, v22, vcc
	v_cmp_gt_u32_e32 vcc, 48, v32
	v_add_u32_e32 v18, v18, v22
	v_cndmask_b32_e64 v22, 0, 1, vcc
	v_lshlrev_b32_e32 v22, 4, v22
	v_add_lshl_u32 v41, v22, v29, 2
	ds_bpermute_b32 v22, v41, v18
	v_cmp_le_u32_e32 vcc, v42, v17
	;; [unrolled: 9-line block ×3, first 2 shown]
	s_waitcnt lgkmcnt(0)
	v_cndmask_b32_e32 v17, 0, v22, vcc
	v_add_u32_e32 v18, v18, v17
	v_mov_b32_e32 v17, 0
	s_branch .LBB565_253
.LBB565_252:                            ;   in Loop: Header=BB565_253 Depth=1
	s_or_b64 exec, exec, s[28:29]
	v_cmp_eq_u16_sdwa s[28:29], v19, v15 src0_sel:BYTE_0 src1_sel:DWORD
	v_and_b32_e32 v22, s29, v21
	v_or_b32_e32 v22, 0x80000000, v22
	ds_bpermute_b32 v45, v33, v18
	v_and_b32_e32 v23, s28, v20
	v_ffbl_b32_e32 v22, v22
	v_add_u32_e32 v22, 32, v22
	v_ffbl_b32_e32 v23, v23
	v_min_u32_e32 v22, v23, v22
	v_cmp_lt_u32_e32 vcc, v32, v22
	s_waitcnt lgkmcnt(0)
	v_cndmask_b32_e32 v23, 0, v45, vcc
	v_add_u32_e32 v18, v23, v18
	ds_bpermute_b32 v23, v34, v18
	v_cmp_le_u32_e32 vcc, v35, v22
	v_subrev_u32_e32 v16, 64, v16
	s_waitcnt lgkmcnt(0)
	v_cndmask_b32_e32 v23, 0, v23, vcc
	v_add_u32_e32 v18, v18, v23
	ds_bpermute_b32 v23, v36, v18
	v_cmp_le_u32_e32 vcc, v37, v22
	s_waitcnt lgkmcnt(0)
	v_cndmask_b32_e32 v23, 0, v23, vcc
	v_add_u32_e32 v18, v18, v23
	ds_bpermute_b32 v23, v38, v18
	v_cmp_le_u32_e32 vcc, v39, v22
	;; [unrolled: 5-line block ×4, first 2 shown]
	s_waitcnt lgkmcnt(0)
	v_cndmask_b32_e32 v22, 0, v23, vcc
	v_add3_u32 v18, v22, v40, v18
.LBB565_253:                            ; =>This Loop Header: Depth=1
                                        ;     Child Loop BB565_256 Depth 2
	v_cmp_ne_u16_sdwa s[28:29], v19, v15 src0_sel:BYTE_0 src1_sel:DWORD
	v_cndmask_b32_e64 v19, 0, 1, s[28:29]
	;;#ASMSTART
	;;#ASMEND
	v_cmp_ne_u32_e32 vcc, 0, v19
	s_cmp_lg_u64 vcc, exec
	v_mov_b32_e32 v40, v18
	s_cbranch_scc1 .LBB565_258
; %bb.254:                              ;   in Loop: Header=BB565_253 Depth=1
	v_lshlrev_b64 v[18:19], 3, v[16:17]
	v_mov_b32_e32 v23, s31
	v_add_co_u32_e32 v22, vcc, s30, v18
	v_addc_co_u32_e32 v23, vcc, v23, v19, vcc
	global_load_dwordx2 v[18:19], v[22:23], off glc
	s_waitcnt vmcnt(0)
	v_cmp_eq_u16_sdwa s[36:37], v19, v17 src0_sel:BYTE_0 src1_sel:DWORD
	s_and_saveexec_b64 s[28:29], s[36:37]
	s_cbranch_execz .LBB565_252
; %bb.255:                              ;   in Loop: Header=BB565_253 Depth=1
	s_mov_b64 s[36:37], 0
.LBB565_256:                            ;   Parent Loop BB565_253 Depth=1
                                        ; =>  This Inner Loop Header: Depth=2
	global_load_dwordx2 v[18:19], v[22:23], off glc
	s_waitcnt vmcnt(0)
	v_cmp_ne_u16_sdwa s[38:39], v19, v17 src0_sel:BYTE_0 src1_sel:DWORD
	s_or_b64 s[36:37], s[38:39], s[36:37]
	s_andn2_b64 exec, exec, s[36:37]
	s_cbranch_execnz .LBB565_256
; %bb.257:                              ;   in Loop: Header=BB565_253 Depth=1
	s_or_b64 exec, exec, s[36:37]
	s_branch .LBB565_252
.LBB565_258:                            ;   in Loop: Header=BB565_253 Depth=1
                                        ; implicit-def: $vgpr18
                                        ; implicit-def: $vgpr19
	s_cbranch_execz .LBB565_253
; %bb.259:
	s_and_saveexec_b64 s[28:29], s[16:17]
	s_cbranch_execz .LBB565_261
; %bb.260:
	s_add_i32 s6, s6, 64
	s_mov_b32 s7, 0
	s_lshl_b64 s[6:7], s[6:7], 3
	s_add_u32 s6, s30, s6
	v_add_u32_e32 v16, v40, v14
	v_mov_b32_e32 v17, 2
	s_addc_u32 s7, s31, s7
	v_mov_b32_e32 v15, 0
	global_store_dwordx2 v15, v[16:17], s[6:7]
	s_movk_i32 s6, 0x2800
	v_add_u32_e64 v15, s6, 0
	ds_write2_b32 v15, v14, v40 offset1:2
.LBB565_261:
	s_or_b64 exec, exec, s[28:29]
	v_cmp_eq_u32_e32 vcc, 0, v0
	s_and_b64 exec, exec, vcc
	s_cbranch_execz .LBB565_263
; %bb.262:
	v_mov_b32_e32 v14, 0
	ds_write_b32 v14, v40 offset:12
.LBB565_263:
	s_or_b64 exec, exec, s[26:27]
	v_mov_b32_e32 v14, 0
	s_waitcnt lgkmcnt(0)
	s_barrier
	ds_read_b32 v14, v14 offset:12
	v_cndmask_b32_e64 v15, v26, v24, s[16:17]
	v_cmp_ne_u32_e32 vcc, 0, v0
	v_cndmask_b32_e32 v15, 0, v15, vcc
	s_movk_i32 s6, 0x2800
	s_waitcnt lgkmcnt(0)
	v_add_u32_e32 v26, v14, v15
	v_add_u32_e64 v14, s6, 0
	s_barrier
	ds_read2_b32 v[14:15], v14 offset1:2
	v_add_u32_e32 v24, v26, v1
	v_add_u32_e32 v22, v24, v25
	;; [unrolled: 1-line block ×4, first 2 shown]
	s_load_dwordx2 s[4:5], s[4:5], 0x28
	v_lshrrev_b64 v[16:17], 24, v[12:13]
	s_branch .LBB565_274
.LBB565_264:
                                        ; implicit-def: $vgpr18
                                        ; implicit-def: $vgpr20
                                        ; implicit-def: $vgpr22
                                        ; implicit-def: $vgpr24
                                        ; implicit-def: $vgpr26
                                        ; implicit-def: $vgpr15
	s_load_dwordx2 s[4:5], s[4:5], 0x28
	v_lshrrev_b64 v[16:17], 24, v[12:13]
	s_cbranch_execz .LBB565_274
; %bb.265:
	s_waitcnt lgkmcnt(0)
	v_mov_b32_dpp v14, v31 row_shr:1 row_mask:0xf bank_mask:0xf
	v_cndmask_b32_e64 v14, v14, 0, s[14:15]
	v_add_u32_e32 v14, v14, v31
	s_nop 1
	v_mov_b32_dpp v15, v14 row_shr:2 row_mask:0xf bank_mask:0xf
	v_cndmask_b32_e64 v15, 0, v15, s[12:13]
	v_add_u32_e32 v14, v14, v15
	s_nop 1
	;; [unrolled: 4-line block ×4, first 2 shown]
	v_mov_b32_dpp v15, v14 row_bcast:15 row_mask:0xf bank_mask:0xf
	v_cndmask_b32_e64 v15, v15, 0, s[18:19]
	v_add_u32_e32 v14, v14, v15
	s_nop 1
	v_mov_b32_dpp v15, v14 row_bcast:31 row_mask:0xf bank_mask:0xf
	v_cndmask_b32_e64 v15, 0, v15, s[0:1]
	v_add_u32_e32 v14, v14, v15
	s_and_saveexec_b64 s[0:1], s[2:3]
	s_cbranch_execz .LBB565_267
; %bb.266:
	v_lshlrev_b32_e32 v15, 2, v30
	ds_write_b32 v15, v14
.LBB565_267:
	s_or_b64 exec, exec, s[0:1]
	v_cmp_gt_u32_e32 vcc, 4, v0
	s_waitcnt lgkmcnt(0)
	s_barrier
	s_and_saveexec_b64 s[0:1], vcc
	s_cbranch_execz .LBB565_269
; %bb.268:
	v_lshlrev_b32_e32 v15, 2, v0
	ds_read_b32 v17, v15
	v_and_b32_e32 v18, 3, v29
	v_cmp_ne_u32_e32 vcc, 0, v18
	s_waitcnt lgkmcnt(0)
	v_mov_b32_dpp v19, v17 row_shr:1 row_mask:0xf bank_mask:0xf
	v_cndmask_b32_e32 v19, 0, v19, vcc
	v_add_u32_e32 v17, v19, v17
	v_cmp_lt_u32_e32 vcc, 1, v18
	s_nop 0
	v_mov_b32_dpp v19, v17 row_shr:2 row_mask:0xf bank_mask:0xf
	v_cndmask_b32_e32 v18, 0, v19, vcc
	v_add_u32_e32 v17, v17, v18
	ds_write_b32 v15, v17
.LBB565_269:
	s_or_b64 exec, exec, s[0:1]
	v_cmp_lt_u32_e32 vcc, 63, v0
	v_mov_b32_e32 v15, 0
	v_mov_b32_e32 v17, 0
	s_waitcnt lgkmcnt(0)
	s_barrier
	s_and_saveexec_b64 s[0:1], vcc
	s_cbranch_execz .LBB565_271
; %bb.270:
	v_lshl_add_u32 v17, v30, 2, -4
	ds_read_b32 v17, v17
.LBB565_271:
	s_or_b64 exec, exec, s[0:1]
	v_add_u32_e32 v18, -1, v29
	v_and_b32_e32 v19, 64, v29
	v_cmp_lt_i32_e32 vcc, v18, v19
	v_cndmask_b32_e32 v18, v18, v29, vcc
	s_waitcnt lgkmcnt(0)
	v_add_u32_e32 v14, v17, v14
	v_lshlrev_b32_e32 v18, 2, v18
	ds_bpermute_b32 v18, v18, v14
	ds_read_b32 v14, v15 offset:12
	v_cmp_eq_u32_e32 vcc, 0, v0
	s_and_saveexec_b64 s[0:1], vcc
	s_cbranch_execz .LBB565_273
; %bb.272:
	v_mov_b32_e32 v19, 0
	v_mov_b32_e32 v15, 2
	s_waitcnt lgkmcnt(0)
	global_store_dwordx2 v19, v[14:15], s[30:31] offset:512
.LBB565_273:
	s_or_b64 exec, exec, s[0:1]
	v_cmp_eq_u32_e64 s[0:1], 0, v29
	s_waitcnt lgkmcnt(1)
	v_cndmask_b32_e64 v17, v18, v17, s[0:1]
	v_cndmask_b32_e64 v26, v17, 0, vcc
	v_add_u32_e32 v24, v26, v1
	v_add_u32_e32 v22, v24, v25
	;; [unrolled: 1-line block ×3, first 2 shown]
	v_mov_b32_e32 v15, 0
	v_add_u32_e32 v18, v20, v28
	s_waitcnt lgkmcnt(0)
	s_barrier
.LBB565_274:
	s_movk_i32 s0, 0x101
	s_waitcnt lgkmcnt(0)
	v_cmp_gt_u32_e32 vcc, s0, v14
	v_lshrrev_b32_e32 v1, 8, v12
	s_mov_b64 s[0:1], -1
	s_cbranch_vccnz .LBB565_278
; %bb.275:
	s_and_b64 vcc, exec, s[0:1]
	s_cbranch_vccnz .LBB565_294
.LBB565_276:
	v_cmp_eq_u32_e32 vcc, 0, v0
	s_and_b64 s[0:1], vcc, s[24:25]
	s_and_saveexec_b64 s[2:3], s[0:1]
	s_cbranch_execnz .LBB565_308
.LBB565_277:
	s_endpgm
.LBB565_278:
	v_add_u32_e32 v17, v15, v14
	v_cmp_lt_u32_e32 vcc, v26, v17
	s_or_b64 s[2:3], s[34:35], vcc
	s_and_saveexec_b64 s[0:1], s[2:3]
	s_cbranch_execz .LBB565_281
; %bb.279:
	v_and_b32_e32 v19, 1, v12
	v_cmp_eq_u32_e32 vcc, 1, v19
	s_and_b64 exec, exec, vcc
	s_cbranch_execz .LBB565_281
; %bb.280:
	s_lshl_b64 s[2:3], s[22:23], 3
	s_add_u32 s2, s4, s2
	v_mov_b32_e32 v27, 0
	s_addc_u32 s3, s5, s3
	v_lshlrev_b64 v[28:29], 3, v[26:27]
	v_mov_b32_e32 v19, s3
	v_add_co_u32_e32 v28, vcc, s2, v28
	v_addc_co_u32_e32 v29, vcc, v19, v29, vcc
	global_store_dwordx2 v[28:29], v[6:7], off
.LBB565_281:
	s_or_b64 exec, exec, s[0:1]
	v_cmp_lt_u32_e32 vcc, v24, v17
	s_or_b64 s[2:3], s[34:35], vcc
	s_and_saveexec_b64 s[0:1], s[2:3]
	s_cbranch_execz .LBB565_284
; %bb.282:
	v_and_b32_e32 v19, 1, v1
	v_cmp_eq_u32_e32 vcc, 1, v19
	s_and_b64 exec, exec, vcc
	s_cbranch_execz .LBB565_284
; %bb.283:
	s_lshl_b64 s[2:3], s[22:23], 3
	s_add_u32 s2, s4, s2
	v_mov_b32_e32 v25, 0
	s_addc_u32 s3, s5, s3
	v_lshlrev_b64 v[28:29], 3, v[24:25]
	v_mov_b32_e32 v19, s3
	v_add_co_u32_e32 v28, vcc, s2, v28
	v_addc_co_u32_e32 v29, vcc, v19, v29, vcc
	global_store_dwordx2 v[28:29], v[8:9], off
.LBB565_284:
	s_or_b64 exec, exec, s[0:1]
	v_cmp_lt_u32_e32 vcc, v22, v17
	s_or_b64 s[2:3], s[34:35], vcc
	s_and_saveexec_b64 s[0:1], s[2:3]
	s_cbranch_execz .LBB565_287
; %bb.285:
	v_mov_b32_e32 v19, 1
	v_and_b32_sdwa v19, v19, v12 dst_sel:DWORD dst_unused:UNUSED_PAD src0_sel:DWORD src1_sel:WORD_1
	v_cmp_eq_u32_e32 vcc, 1, v19
	s_and_b64 exec, exec, vcc
	s_cbranch_execz .LBB565_287
; %bb.286:
	s_lshl_b64 s[2:3], s[22:23], 3
	s_add_u32 s2, s4, s2
	v_mov_b32_e32 v23, 0
	s_addc_u32 s3, s5, s3
	v_lshlrev_b64 v[28:29], 3, v[22:23]
	v_mov_b32_e32 v19, s3
	v_add_co_u32_e32 v28, vcc, s2, v28
	v_addc_co_u32_e32 v29, vcc, v19, v29, vcc
	global_store_dwordx2 v[28:29], v[2:3], off
.LBB565_287:
	s_or_b64 exec, exec, s[0:1]
	v_cmp_lt_u32_e32 vcc, v20, v17
	s_or_b64 s[2:3], s[34:35], vcc
	s_and_saveexec_b64 s[0:1], s[2:3]
	s_cbranch_execz .LBB565_290
; %bb.288:
	v_and_b32_e32 v19, 1, v16
	v_cmp_eq_u32_e32 vcc, 1, v19
	s_and_b64 exec, exec, vcc
	s_cbranch_execz .LBB565_290
; %bb.289:
	s_lshl_b64 s[2:3], s[22:23], 3
	s_add_u32 s2, s4, s2
	v_mov_b32_e32 v21, 0
	s_addc_u32 s3, s5, s3
	v_lshlrev_b64 v[28:29], 3, v[20:21]
	v_mov_b32_e32 v19, s3
	v_add_co_u32_e32 v28, vcc, s2, v28
	v_addc_co_u32_e32 v29, vcc, v19, v29, vcc
	global_store_dwordx2 v[28:29], v[4:5], off
.LBB565_290:
	s_or_b64 exec, exec, s[0:1]
	v_cmp_lt_u32_e32 vcc, v18, v17
	s_or_b64 s[2:3], s[34:35], vcc
	s_and_saveexec_b64 s[0:1], s[2:3]
	s_cbranch_execz .LBB565_293
; %bb.291:
	v_and_b32_e32 v17, 1, v13
	v_cmp_eq_u32_e32 vcc, 1, v17
	s_and_b64 exec, exec, vcc
	s_cbranch_execz .LBB565_293
; %bb.292:
	s_lshl_b64 s[2:3], s[22:23], 3
	s_add_u32 s2, s4, s2
	v_mov_b32_e32 v19, 0
	s_addc_u32 s3, s5, s3
	v_lshlrev_b64 v[28:29], 3, v[18:19]
	v_mov_b32_e32 v17, s3
	v_add_co_u32_e32 v28, vcc, s2, v28
	v_addc_co_u32_e32 v29, vcc, v17, v29, vcc
	global_store_dwordx2 v[28:29], v[10:11], off
.LBB565_293:
	s_or_b64 exec, exec, s[0:1]
	s_branch .LBB565_276
.LBB565_294:
	v_and_b32_e32 v17, 1, v12
	v_cmp_eq_u32_e32 vcc, 1, v17
	s_and_saveexec_b64 s[0:1], vcc
	s_cbranch_execz .LBB565_296
; %bb.295:
	v_sub_u32_e32 v17, v26, v15
	v_lshlrev_b32_e32 v17, 3, v17
	ds_write_b64 v17, v[6:7]
.LBB565_296:
	s_or_b64 exec, exec, s[0:1]
	v_and_b32_e32 v1, 1, v1
	v_cmp_eq_u32_e32 vcc, 1, v1
	s_and_saveexec_b64 s[0:1], vcc
	s_cbranch_execz .LBB565_298
; %bb.297:
	v_sub_u32_e32 v1, v24, v15
	v_lshlrev_b32_e32 v1, 3, v1
	ds_write_b64 v1, v[8:9]
.LBB565_298:
	s_or_b64 exec, exec, s[0:1]
	v_mov_b32_e32 v1, 1
	v_and_b32_sdwa v1, v1, v12 dst_sel:DWORD dst_unused:UNUSED_PAD src0_sel:DWORD src1_sel:WORD_1
	v_cmp_eq_u32_e32 vcc, 1, v1
	s_and_saveexec_b64 s[0:1], vcc
	s_cbranch_execz .LBB565_300
; %bb.299:
	v_sub_u32_e32 v1, v22, v15
	v_lshlrev_b32_e32 v1, 3, v1
	ds_write_b64 v1, v[2:3]
.LBB565_300:
	s_or_b64 exec, exec, s[0:1]
	v_and_b32_e32 v1, 1, v16
	v_cmp_eq_u32_e32 vcc, 1, v1
	s_and_saveexec_b64 s[0:1], vcc
	s_cbranch_execz .LBB565_302
; %bb.301:
	v_sub_u32_e32 v1, v20, v15
	v_lshlrev_b32_e32 v1, 3, v1
	ds_write_b64 v1, v[4:5]
.LBB565_302:
	s_or_b64 exec, exec, s[0:1]
	v_and_b32_e32 v1, 1, v13
	v_cmp_eq_u32_e32 vcc, 1, v1
	s_and_saveexec_b64 s[0:1], vcc
	s_cbranch_execz .LBB565_304
; %bb.303:
	v_sub_u32_e32 v1, v18, v15
	v_lshlrev_b32_e32 v1, 3, v1
	ds_write_b64 v1, v[10:11]
.LBB565_304:
	s_or_b64 exec, exec, s[0:1]
	v_cmp_lt_u32_e32 vcc, v0, v14
	s_waitcnt lgkmcnt(0)
	s_barrier
	s_and_saveexec_b64 s[0:1], vcc
	s_cbranch_execz .LBB565_307
; %bb.305:
	v_mov_b32_e32 v3, 0
	v_mov_b32_e32 v2, v15
	v_lshlrev_b64 v[4:5], 3, v[2:3]
	v_mov_b32_e32 v1, s5
	v_add_co_u32_e32 v2, vcc, s4, v4
	v_addc_co_u32_e32 v4, vcc, v1, v5, vcc
	s_lshl_b64 s[2:3], s[22:23], 3
	v_mov_b32_e32 v5, s3
	v_add_co_u32_e32 v1, vcc, s2, v2
	v_addc_co_u32_e32 v4, vcc, v4, v5, vcc
	v_lshlrev_b32_e32 v5, 3, v0
	s_mov_b64 s[2:3], 0
	v_mov_b32_e32 v2, v0
.LBB565_306:                            ; =>This Inner Loop Header: Depth=1
	ds_read_b64 v[6:7], v5
	v_lshlrev_b64 v[8:9], 3, v[2:3]
	v_add_co_u32_e32 v8, vcc, v1, v8
	v_add_u32_e32 v2, 0x100, v2
	v_addc_co_u32_e32 v9, vcc, v4, v9, vcc
	v_cmp_ge_u32_e32 vcc, v2, v14
	v_add_u32_e32 v5, 0x800, v5
	s_or_b64 s[2:3], vcc, s[2:3]
	s_waitcnt lgkmcnt(0)
	global_store_dwordx2 v[8:9], v[6:7], off
	s_andn2_b64 exec, exec, s[2:3]
	s_cbranch_execnz .LBB565_306
.LBB565_307:
	s_or_b64 exec, exec, s[0:1]
	v_cmp_eq_u32_e32 vcc, 0, v0
	s_and_b64 s[0:1], vcc, s[24:25]
	s_and_saveexec_b64 s[2:3], s[0:1]
	s_cbranch_execz .LBB565_277
.LBB565_308:
	v_mov_b32_e32 v0, s23
	v_add_co_u32_e32 v1, vcc, s22, v14
	v_addc_co_u32_e32 v3, vcc, 0, v0, vcc
	v_add_co_u32_e32 v0, vcc, v1, v15
	v_mov_b32_e32 v2, 0
	v_addc_co_u32_e32 v1, vcc, 0, v3, vcc
	global_store_dwordx2 v2, v[0:1], s[20:21]
	s_endpgm
	.section	.rodata,"a",@progbits
	.p2align	6, 0x0
	.amdhsa_kernel _ZN7rocprim17ROCPRIM_400000_NS6detail17trampoline_kernelINS0_14default_configENS1_25partition_config_selectorILNS1_17partition_subalgoE8ElNS0_10empty_typeEbEEZZNS1_14partition_implILS5_8ELb0ES3_jPlPS6_PKS6_NS0_5tupleIJS9_S6_EEENSD_IJSA_SA_EEENS0_18inequality_wrapperIZN2at6native12_GLOBAL__N_124unique_dim_cuda_templateIlEESt5tupleIJNSH_6TensorESM_SM_EERKSM_lbbbEUlllE0_EEPmJS6_EEE10hipError_tPvRmT3_T4_T5_T6_T7_T9_mT8_P12ihipStream_tbDpT10_ENKUlT_T0_E_clISt17integral_constantIbLb0EES1C_EEDaS17_S18_EUlS17_E_NS1_11comp_targetILNS1_3genE4ELNS1_11target_archE910ELNS1_3gpuE8ELNS1_3repE0EEENS1_30default_config_static_selectorELNS0_4arch9wavefront6targetE1EEEvT1_
		.amdhsa_group_segment_fixed_size 10252
		.amdhsa_private_segment_fixed_size 0
		.amdhsa_kernarg_size 120
		.amdhsa_user_sgpr_count 6
		.amdhsa_user_sgpr_private_segment_buffer 1
		.amdhsa_user_sgpr_dispatch_ptr 0
		.amdhsa_user_sgpr_queue_ptr 0
		.amdhsa_user_sgpr_kernarg_segment_ptr 1
		.amdhsa_user_sgpr_dispatch_id 0
		.amdhsa_user_sgpr_flat_scratch_init 0
		.amdhsa_user_sgpr_kernarg_preload_length 0
		.amdhsa_user_sgpr_kernarg_preload_offset 0
		.amdhsa_user_sgpr_private_segment_size 0
		.amdhsa_uses_dynamic_stack 0
		.amdhsa_system_sgpr_private_segment_wavefront_offset 0
		.amdhsa_system_sgpr_workgroup_id_x 1
		.amdhsa_system_sgpr_workgroup_id_y 0
		.amdhsa_system_sgpr_workgroup_id_z 0
		.amdhsa_system_sgpr_workgroup_info 0
		.amdhsa_system_vgpr_workitem_id 0
		.amdhsa_next_free_vgpr 46
		.amdhsa_next_free_sgpr 48
		.amdhsa_accum_offset 48
		.amdhsa_reserve_vcc 1
		.amdhsa_reserve_flat_scratch 0
		.amdhsa_float_round_mode_32 0
		.amdhsa_float_round_mode_16_64 0
		.amdhsa_float_denorm_mode_32 3
		.amdhsa_float_denorm_mode_16_64 3
		.amdhsa_dx10_clamp 1
		.amdhsa_ieee_mode 1
		.amdhsa_fp16_overflow 0
		.amdhsa_tg_split 0
		.amdhsa_exception_fp_ieee_invalid_op 0
		.amdhsa_exception_fp_denorm_src 0
		.amdhsa_exception_fp_ieee_div_zero 0
		.amdhsa_exception_fp_ieee_overflow 0
		.amdhsa_exception_fp_ieee_underflow 0
		.amdhsa_exception_fp_ieee_inexact 0
		.amdhsa_exception_int_div_zero 0
	.end_amdhsa_kernel
	.section	.text._ZN7rocprim17ROCPRIM_400000_NS6detail17trampoline_kernelINS0_14default_configENS1_25partition_config_selectorILNS1_17partition_subalgoE8ElNS0_10empty_typeEbEEZZNS1_14partition_implILS5_8ELb0ES3_jPlPS6_PKS6_NS0_5tupleIJS9_S6_EEENSD_IJSA_SA_EEENS0_18inequality_wrapperIZN2at6native12_GLOBAL__N_124unique_dim_cuda_templateIlEESt5tupleIJNSH_6TensorESM_SM_EERKSM_lbbbEUlllE0_EEPmJS6_EEE10hipError_tPvRmT3_T4_T5_T6_T7_T9_mT8_P12ihipStream_tbDpT10_ENKUlT_T0_E_clISt17integral_constantIbLb0EES1C_EEDaS17_S18_EUlS17_E_NS1_11comp_targetILNS1_3genE4ELNS1_11target_archE910ELNS1_3gpuE8ELNS1_3repE0EEENS1_30default_config_static_selectorELNS0_4arch9wavefront6targetE1EEEvT1_,"axG",@progbits,_ZN7rocprim17ROCPRIM_400000_NS6detail17trampoline_kernelINS0_14default_configENS1_25partition_config_selectorILNS1_17partition_subalgoE8ElNS0_10empty_typeEbEEZZNS1_14partition_implILS5_8ELb0ES3_jPlPS6_PKS6_NS0_5tupleIJS9_S6_EEENSD_IJSA_SA_EEENS0_18inequality_wrapperIZN2at6native12_GLOBAL__N_124unique_dim_cuda_templateIlEESt5tupleIJNSH_6TensorESM_SM_EERKSM_lbbbEUlllE0_EEPmJS6_EEE10hipError_tPvRmT3_T4_T5_T6_T7_T9_mT8_P12ihipStream_tbDpT10_ENKUlT_T0_E_clISt17integral_constantIbLb0EES1C_EEDaS17_S18_EUlS17_E_NS1_11comp_targetILNS1_3genE4ELNS1_11target_archE910ELNS1_3gpuE8ELNS1_3repE0EEENS1_30default_config_static_selectorELNS0_4arch9wavefront6targetE1EEEvT1_,comdat
.Lfunc_end565:
	.size	_ZN7rocprim17ROCPRIM_400000_NS6detail17trampoline_kernelINS0_14default_configENS1_25partition_config_selectorILNS1_17partition_subalgoE8ElNS0_10empty_typeEbEEZZNS1_14partition_implILS5_8ELb0ES3_jPlPS6_PKS6_NS0_5tupleIJS9_S6_EEENSD_IJSA_SA_EEENS0_18inequality_wrapperIZN2at6native12_GLOBAL__N_124unique_dim_cuda_templateIlEESt5tupleIJNSH_6TensorESM_SM_EERKSM_lbbbEUlllE0_EEPmJS6_EEE10hipError_tPvRmT3_T4_T5_T6_T7_T9_mT8_P12ihipStream_tbDpT10_ENKUlT_T0_E_clISt17integral_constantIbLb0EES1C_EEDaS17_S18_EUlS17_E_NS1_11comp_targetILNS1_3genE4ELNS1_11target_archE910ELNS1_3gpuE8ELNS1_3repE0EEENS1_30default_config_static_selectorELNS0_4arch9wavefront6targetE1EEEvT1_, .Lfunc_end565-_ZN7rocprim17ROCPRIM_400000_NS6detail17trampoline_kernelINS0_14default_configENS1_25partition_config_selectorILNS1_17partition_subalgoE8ElNS0_10empty_typeEbEEZZNS1_14partition_implILS5_8ELb0ES3_jPlPS6_PKS6_NS0_5tupleIJS9_S6_EEENSD_IJSA_SA_EEENS0_18inequality_wrapperIZN2at6native12_GLOBAL__N_124unique_dim_cuda_templateIlEESt5tupleIJNSH_6TensorESM_SM_EERKSM_lbbbEUlllE0_EEPmJS6_EEE10hipError_tPvRmT3_T4_T5_T6_T7_T9_mT8_P12ihipStream_tbDpT10_ENKUlT_T0_E_clISt17integral_constantIbLb0EES1C_EEDaS17_S18_EUlS17_E_NS1_11comp_targetILNS1_3genE4ELNS1_11target_archE910ELNS1_3gpuE8ELNS1_3repE0EEENS1_30default_config_static_selectorELNS0_4arch9wavefront6targetE1EEEvT1_
                                        ; -- End function
	.section	.AMDGPU.csdata,"",@progbits
; Kernel info:
; codeLenInByte = 11376
; NumSgprs: 52
; NumVgprs: 46
; NumAgprs: 0
; TotalNumVgprs: 46
; ScratchSize: 0
; MemoryBound: 1
; FloatMode: 240
; IeeeMode: 1
; LDSByteSize: 10252 bytes/workgroup (compile time only)
; SGPRBlocks: 6
; VGPRBlocks: 5
; NumSGPRsForWavesPerEU: 52
; NumVGPRsForWavesPerEU: 46
; AccumOffset: 48
; Occupancy: 6
; WaveLimiterHint : 1
; COMPUTE_PGM_RSRC2:SCRATCH_EN: 0
; COMPUTE_PGM_RSRC2:USER_SGPR: 6
; COMPUTE_PGM_RSRC2:TRAP_HANDLER: 0
; COMPUTE_PGM_RSRC2:TGID_X_EN: 1
; COMPUTE_PGM_RSRC2:TGID_Y_EN: 0
; COMPUTE_PGM_RSRC2:TGID_Z_EN: 0
; COMPUTE_PGM_RSRC2:TIDIG_COMP_CNT: 0
; COMPUTE_PGM_RSRC3_GFX90A:ACCUM_OFFSET: 11
; COMPUTE_PGM_RSRC3_GFX90A:TG_SPLIT: 0
	.section	.text._ZN7rocprim17ROCPRIM_400000_NS6detail17trampoline_kernelINS0_14default_configENS1_25partition_config_selectorILNS1_17partition_subalgoE8ElNS0_10empty_typeEbEEZZNS1_14partition_implILS5_8ELb0ES3_jPlPS6_PKS6_NS0_5tupleIJS9_S6_EEENSD_IJSA_SA_EEENS0_18inequality_wrapperIZN2at6native12_GLOBAL__N_124unique_dim_cuda_templateIlEESt5tupleIJNSH_6TensorESM_SM_EERKSM_lbbbEUlllE0_EEPmJS6_EEE10hipError_tPvRmT3_T4_T5_T6_T7_T9_mT8_P12ihipStream_tbDpT10_ENKUlT_T0_E_clISt17integral_constantIbLb0EES1C_EEDaS17_S18_EUlS17_E_NS1_11comp_targetILNS1_3genE3ELNS1_11target_archE908ELNS1_3gpuE7ELNS1_3repE0EEENS1_30default_config_static_selectorELNS0_4arch9wavefront6targetE1EEEvT1_,"axG",@progbits,_ZN7rocprim17ROCPRIM_400000_NS6detail17trampoline_kernelINS0_14default_configENS1_25partition_config_selectorILNS1_17partition_subalgoE8ElNS0_10empty_typeEbEEZZNS1_14partition_implILS5_8ELb0ES3_jPlPS6_PKS6_NS0_5tupleIJS9_S6_EEENSD_IJSA_SA_EEENS0_18inequality_wrapperIZN2at6native12_GLOBAL__N_124unique_dim_cuda_templateIlEESt5tupleIJNSH_6TensorESM_SM_EERKSM_lbbbEUlllE0_EEPmJS6_EEE10hipError_tPvRmT3_T4_T5_T6_T7_T9_mT8_P12ihipStream_tbDpT10_ENKUlT_T0_E_clISt17integral_constantIbLb0EES1C_EEDaS17_S18_EUlS17_E_NS1_11comp_targetILNS1_3genE3ELNS1_11target_archE908ELNS1_3gpuE7ELNS1_3repE0EEENS1_30default_config_static_selectorELNS0_4arch9wavefront6targetE1EEEvT1_,comdat
	.globl	_ZN7rocprim17ROCPRIM_400000_NS6detail17trampoline_kernelINS0_14default_configENS1_25partition_config_selectorILNS1_17partition_subalgoE8ElNS0_10empty_typeEbEEZZNS1_14partition_implILS5_8ELb0ES3_jPlPS6_PKS6_NS0_5tupleIJS9_S6_EEENSD_IJSA_SA_EEENS0_18inequality_wrapperIZN2at6native12_GLOBAL__N_124unique_dim_cuda_templateIlEESt5tupleIJNSH_6TensorESM_SM_EERKSM_lbbbEUlllE0_EEPmJS6_EEE10hipError_tPvRmT3_T4_T5_T6_T7_T9_mT8_P12ihipStream_tbDpT10_ENKUlT_T0_E_clISt17integral_constantIbLb0EES1C_EEDaS17_S18_EUlS17_E_NS1_11comp_targetILNS1_3genE3ELNS1_11target_archE908ELNS1_3gpuE7ELNS1_3repE0EEENS1_30default_config_static_selectorELNS0_4arch9wavefront6targetE1EEEvT1_ ; -- Begin function _ZN7rocprim17ROCPRIM_400000_NS6detail17trampoline_kernelINS0_14default_configENS1_25partition_config_selectorILNS1_17partition_subalgoE8ElNS0_10empty_typeEbEEZZNS1_14partition_implILS5_8ELb0ES3_jPlPS6_PKS6_NS0_5tupleIJS9_S6_EEENSD_IJSA_SA_EEENS0_18inequality_wrapperIZN2at6native12_GLOBAL__N_124unique_dim_cuda_templateIlEESt5tupleIJNSH_6TensorESM_SM_EERKSM_lbbbEUlllE0_EEPmJS6_EEE10hipError_tPvRmT3_T4_T5_T6_T7_T9_mT8_P12ihipStream_tbDpT10_ENKUlT_T0_E_clISt17integral_constantIbLb0EES1C_EEDaS17_S18_EUlS17_E_NS1_11comp_targetILNS1_3genE3ELNS1_11target_archE908ELNS1_3gpuE7ELNS1_3repE0EEENS1_30default_config_static_selectorELNS0_4arch9wavefront6targetE1EEEvT1_
	.p2align	8
	.type	_ZN7rocprim17ROCPRIM_400000_NS6detail17trampoline_kernelINS0_14default_configENS1_25partition_config_selectorILNS1_17partition_subalgoE8ElNS0_10empty_typeEbEEZZNS1_14partition_implILS5_8ELb0ES3_jPlPS6_PKS6_NS0_5tupleIJS9_S6_EEENSD_IJSA_SA_EEENS0_18inequality_wrapperIZN2at6native12_GLOBAL__N_124unique_dim_cuda_templateIlEESt5tupleIJNSH_6TensorESM_SM_EERKSM_lbbbEUlllE0_EEPmJS6_EEE10hipError_tPvRmT3_T4_T5_T6_T7_T9_mT8_P12ihipStream_tbDpT10_ENKUlT_T0_E_clISt17integral_constantIbLb0EES1C_EEDaS17_S18_EUlS17_E_NS1_11comp_targetILNS1_3genE3ELNS1_11target_archE908ELNS1_3gpuE7ELNS1_3repE0EEENS1_30default_config_static_selectorELNS0_4arch9wavefront6targetE1EEEvT1_,@function
_ZN7rocprim17ROCPRIM_400000_NS6detail17trampoline_kernelINS0_14default_configENS1_25partition_config_selectorILNS1_17partition_subalgoE8ElNS0_10empty_typeEbEEZZNS1_14partition_implILS5_8ELb0ES3_jPlPS6_PKS6_NS0_5tupleIJS9_S6_EEENSD_IJSA_SA_EEENS0_18inequality_wrapperIZN2at6native12_GLOBAL__N_124unique_dim_cuda_templateIlEESt5tupleIJNSH_6TensorESM_SM_EERKSM_lbbbEUlllE0_EEPmJS6_EEE10hipError_tPvRmT3_T4_T5_T6_T7_T9_mT8_P12ihipStream_tbDpT10_ENKUlT_T0_E_clISt17integral_constantIbLb0EES1C_EEDaS17_S18_EUlS17_E_NS1_11comp_targetILNS1_3genE3ELNS1_11target_archE908ELNS1_3gpuE7ELNS1_3repE0EEENS1_30default_config_static_selectorELNS0_4arch9wavefront6targetE1EEEvT1_: ; @_ZN7rocprim17ROCPRIM_400000_NS6detail17trampoline_kernelINS0_14default_configENS1_25partition_config_selectorILNS1_17partition_subalgoE8ElNS0_10empty_typeEbEEZZNS1_14partition_implILS5_8ELb0ES3_jPlPS6_PKS6_NS0_5tupleIJS9_S6_EEENSD_IJSA_SA_EEENS0_18inequality_wrapperIZN2at6native12_GLOBAL__N_124unique_dim_cuda_templateIlEESt5tupleIJNSH_6TensorESM_SM_EERKSM_lbbbEUlllE0_EEPmJS6_EEE10hipError_tPvRmT3_T4_T5_T6_T7_T9_mT8_P12ihipStream_tbDpT10_ENKUlT_T0_E_clISt17integral_constantIbLb0EES1C_EEDaS17_S18_EUlS17_E_NS1_11comp_targetILNS1_3genE3ELNS1_11target_archE908ELNS1_3gpuE7ELNS1_3repE0EEENS1_30default_config_static_selectorELNS0_4arch9wavefront6targetE1EEEvT1_
; %bb.0:
	.section	.rodata,"a",@progbits
	.p2align	6, 0x0
	.amdhsa_kernel _ZN7rocprim17ROCPRIM_400000_NS6detail17trampoline_kernelINS0_14default_configENS1_25partition_config_selectorILNS1_17partition_subalgoE8ElNS0_10empty_typeEbEEZZNS1_14partition_implILS5_8ELb0ES3_jPlPS6_PKS6_NS0_5tupleIJS9_S6_EEENSD_IJSA_SA_EEENS0_18inequality_wrapperIZN2at6native12_GLOBAL__N_124unique_dim_cuda_templateIlEESt5tupleIJNSH_6TensorESM_SM_EERKSM_lbbbEUlllE0_EEPmJS6_EEE10hipError_tPvRmT3_T4_T5_T6_T7_T9_mT8_P12ihipStream_tbDpT10_ENKUlT_T0_E_clISt17integral_constantIbLb0EES1C_EEDaS17_S18_EUlS17_E_NS1_11comp_targetILNS1_3genE3ELNS1_11target_archE908ELNS1_3gpuE7ELNS1_3repE0EEENS1_30default_config_static_selectorELNS0_4arch9wavefront6targetE1EEEvT1_
		.amdhsa_group_segment_fixed_size 0
		.amdhsa_private_segment_fixed_size 0
		.amdhsa_kernarg_size 120
		.amdhsa_user_sgpr_count 6
		.amdhsa_user_sgpr_private_segment_buffer 1
		.amdhsa_user_sgpr_dispatch_ptr 0
		.amdhsa_user_sgpr_queue_ptr 0
		.amdhsa_user_sgpr_kernarg_segment_ptr 1
		.amdhsa_user_sgpr_dispatch_id 0
		.amdhsa_user_sgpr_flat_scratch_init 0
		.amdhsa_user_sgpr_kernarg_preload_length 0
		.amdhsa_user_sgpr_kernarg_preload_offset 0
		.amdhsa_user_sgpr_private_segment_size 0
		.amdhsa_uses_dynamic_stack 0
		.amdhsa_system_sgpr_private_segment_wavefront_offset 0
		.amdhsa_system_sgpr_workgroup_id_x 1
		.amdhsa_system_sgpr_workgroup_id_y 0
		.amdhsa_system_sgpr_workgroup_id_z 0
		.amdhsa_system_sgpr_workgroup_info 0
		.amdhsa_system_vgpr_workitem_id 0
		.amdhsa_next_free_vgpr 1
		.amdhsa_next_free_sgpr 0
		.amdhsa_accum_offset 4
		.amdhsa_reserve_vcc 0
		.amdhsa_reserve_flat_scratch 0
		.amdhsa_float_round_mode_32 0
		.amdhsa_float_round_mode_16_64 0
		.amdhsa_float_denorm_mode_32 3
		.amdhsa_float_denorm_mode_16_64 3
		.amdhsa_dx10_clamp 1
		.amdhsa_ieee_mode 1
		.amdhsa_fp16_overflow 0
		.amdhsa_tg_split 0
		.amdhsa_exception_fp_ieee_invalid_op 0
		.amdhsa_exception_fp_denorm_src 0
		.amdhsa_exception_fp_ieee_div_zero 0
		.amdhsa_exception_fp_ieee_overflow 0
		.amdhsa_exception_fp_ieee_underflow 0
		.amdhsa_exception_fp_ieee_inexact 0
		.amdhsa_exception_int_div_zero 0
	.end_amdhsa_kernel
	.section	.text._ZN7rocprim17ROCPRIM_400000_NS6detail17trampoline_kernelINS0_14default_configENS1_25partition_config_selectorILNS1_17partition_subalgoE8ElNS0_10empty_typeEbEEZZNS1_14partition_implILS5_8ELb0ES3_jPlPS6_PKS6_NS0_5tupleIJS9_S6_EEENSD_IJSA_SA_EEENS0_18inequality_wrapperIZN2at6native12_GLOBAL__N_124unique_dim_cuda_templateIlEESt5tupleIJNSH_6TensorESM_SM_EERKSM_lbbbEUlllE0_EEPmJS6_EEE10hipError_tPvRmT3_T4_T5_T6_T7_T9_mT8_P12ihipStream_tbDpT10_ENKUlT_T0_E_clISt17integral_constantIbLb0EES1C_EEDaS17_S18_EUlS17_E_NS1_11comp_targetILNS1_3genE3ELNS1_11target_archE908ELNS1_3gpuE7ELNS1_3repE0EEENS1_30default_config_static_selectorELNS0_4arch9wavefront6targetE1EEEvT1_,"axG",@progbits,_ZN7rocprim17ROCPRIM_400000_NS6detail17trampoline_kernelINS0_14default_configENS1_25partition_config_selectorILNS1_17partition_subalgoE8ElNS0_10empty_typeEbEEZZNS1_14partition_implILS5_8ELb0ES3_jPlPS6_PKS6_NS0_5tupleIJS9_S6_EEENSD_IJSA_SA_EEENS0_18inequality_wrapperIZN2at6native12_GLOBAL__N_124unique_dim_cuda_templateIlEESt5tupleIJNSH_6TensorESM_SM_EERKSM_lbbbEUlllE0_EEPmJS6_EEE10hipError_tPvRmT3_T4_T5_T6_T7_T9_mT8_P12ihipStream_tbDpT10_ENKUlT_T0_E_clISt17integral_constantIbLb0EES1C_EEDaS17_S18_EUlS17_E_NS1_11comp_targetILNS1_3genE3ELNS1_11target_archE908ELNS1_3gpuE7ELNS1_3repE0EEENS1_30default_config_static_selectorELNS0_4arch9wavefront6targetE1EEEvT1_,comdat
.Lfunc_end566:
	.size	_ZN7rocprim17ROCPRIM_400000_NS6detail17trampoline_kernelINS0_14default_configENS1_25partition_config_selectorILNS1_17partition_subalgoE8ElNS0_10empty_typeEbEEZZNS1_14partition_implILS5_8ELb0ES3_jPlPS6_PKS6_NS0_5tupleIJS9_S6_EEENSD_IJSA_SA_EEENS0_18inequality_wrapperIZN2at6native12_GLOBAL__N_124unique_dim_cuda_templateIlEESt5tupleIJNSH_6TensorESM_SM_EERKSM_lbbbEUlllE0_EEPmJS6_EEE10hipError_tPvRmT3_T4_T5_T6_T7_T9_mT8_P12ihipStream_tbDpT10_ENKUlT_T0_E_clISt17integral_constantIbLb0EES1C_EEDaS17_S18_EUlS17_E_NS1_11comp_targetILNS1_3genE3ELNS1_11target_archE908ELNS1_3gpuE7ELNS1_3repE0EEENS1_30default_config_static_selectorELNS0_4arch9wavefront6targetE1EEEvT1_, .Lfunc_end566-_ZN7rocprim17ROCPRIM_400000_NS6detail17trampoline_kernelINS0_14default_configENS1_25partition_config_selectorILNS1_17partition_subalgoE8ElNS0_10empty_typeEbEEZZNS1_14partition_implILS5_8ELb0ES3_jPlPS6_PKS6_NS0_5tupleIJS9_S6_EEENSD_IJSA_SA_EEENS0_18inequality_wrapperIZN2at6native12_GLOBAL__N_124unique_dim_cuda_templateIlEESt5tupleIJNSH_6TensorESM_SM_EERKSM_lbbbEUlllE0_EEPmJS6_EEE10hipError_tPvRmT3_T4_T5_T6_T7_T9_mT8_P12ihipStream_tbDpT10_ENKUlT_T0_E_clISt17integral_constantIbLb0EES1C_EEDaS17_S18_EUlS17_E_NS1_11comp_targetILNS1_3genE3ELNS1_11target_archE908ELNS1_3gpuE7ELNS1_3repE0EEENS1_30default_config_static_selectorELNS0_4arch9wavefront6targetE1EEEvT1_
                                        ; -- End function
	.section	.AMDGPU.csdata,"",@progbits
; Kernel info:
; codeLenInByte = 0
; NumSgprs: 4
; NumVgprs: 0
; NumAgprs: 0
; TotalNumVgprs: 0
; ScratchSize: 0
; MemoryBound: 0
; FloatMode: 240
; IeeeMode: 1
; LDSByteSize: 0 bytes/workgroup (compile time only)
; SGPRBlocks: 0
; VGPRBlocks: 0
; NumSGPRsForWavesPerEU: 4
; NumVGPRsForWavesPerEU: 1
; AccumOffset: 4
; Occupancy: 8
; WaveLimiterHint : 0
; COMPUTE_PGM_RSRC2:SCRATCH_EN: 0
; COMPUTE_PGM_RSRC2:USER_SGPR: 6
; COMPUTE_PGM_RSRC2:TRAP_HANDLER: 0
; COMPUTE_PGM_RSRC2:TGID_X_EN: 1
; COMPUTE_PGM_RSRC2:TGID_Y_EN: 0
; COMPUTE_PGM_RSRC2:TGID_Z_EN: 0
; COMPUTE_PGM_RSRC2:TIDIG_COMP_CNT: 0
; COMPUTE_PGM_RSRC3_GFX90A:ACCUM_OFFSET: 0
; COMPUTE_PGM_RSRC3_GFX90A:TG_SPLIT: 0
	.section	.text._ZN7rocprim17ROCPRIM_400000_NS6detail17trampoline_kernelINS0_14default_configENS1_25partition_config_selectorILNS1_17partition_subalgoE8ElNS0_10empty_typeEbEEZZNS1_14partition_implILS5_8ELb0ES3_jPlPS6_PKS6_NS0_5tupleIJS9_S6_EEENSD_IJSA_SA_EEENS0_18inequality_wrapperIZN2at6native12_GLOBAL__N_124unique_dim_cuda_templateIlEESt5tupleIJNSH_6TensorESM_SM_EERKSM_lbbbEUlllE0_EEPmJS6_EEE10hipError_tPvRmT3_T4_T5_T6_T7_T9_mT8_P12ihipStream_tbDpT10_ENKUlT_T0_E_clISt17integral_constantIbLb0EES1C_EEDaS17_S18_EUlS17_E_NS1_11comp_targetILNS1_3genE2ELNS1_11target_archE906ELNS1_3gpuE6ELNS1_3repE0EEENS1_30default_config_static_selectorELNS0_4arch9wavefront6targetE1EEEvT1_,"axG",@progbits,_ZN7rocprim17ROCPRIM_400000_NS6detail17trampoline_kernelINS0_14default_configENS1_25partition_config_selectorILNS1_17partition_subalgoE8ElNS0_10empty_typeEbEEZZNS1_14partition_implILS5_8ELb0ES3_jPlPS6_PKS6_NS0_5tupleIJS9_S6_EEENSD_IJSA_SA_EEENS0_18inequality_wrapperIZN2at6native12_GLOBAL__N_124unique_dim_cuda_templateIlEESt5tupleIJNSH_6TensorESM_SM_EERKSM_lbbbEUlllE0_EEPmJS6_EEE10hipError_tPvRmT3_T4_T5_T6_T7_T9_mT8_P12ihipStream_tbDpT10_ENKUlT_T0_E_clISt17integral_constantIbLb0EES1C_EEDaS17_S18_EUlS17_E_NS1_11comp_targetILNS1_3genE2ELNS1_11target_archE906ELNS1_3gpuE6ELNS1_3repE0EEENS1_30default_config_static_selectorELNS0_4arch9wavefront6targetE1EEEvT1_,comdat
	.globl	_ZN7rocprim17ROCPRIM_400000_NS6detail17trampoline_kernelINS0_14default_configENS1_25partition_config_selectorILNS1_17partition_subalgoE8ElNS0_10empty_typeEbEEZZNS1_14partition_implILS5_8ELb0ES3_jPlPS6_PKS6_NS0_5tupleIJS9_S6_EEENSD_IJSA_SA_EEENS0_18inequality_wrapperIZN2at6native12_GLOBAL__N_124unique_dim_cuda_templateIlEESt5tupleIJNSH_6TensorESM_SM_EERKSM_lbbbEUlllE0_EEPmJS6_EEE10hipError_tPvRmT3_T4_T5_T6_T7_T9_mT8_P12ihipStream_tbDpT10_ENKUlT_T0_E_clISt17integral_constantIbLb0EES1C_EEDaS17_S18_EUlS17_E_NS1_11comp_targetILNS1_3genE2ELNS1_11target_archE906ELNS1_3gpuE6ELNS1_3repE0EEENS1_30default_config_static_selectorELNS0_4arch9wavefront6targetE1EEEvT1_ ; -- Begin function _ZN7rocprim17ROCPRIM_400000_NS6detail17trampoline_kernelINS0_14default_configENS1_25partition_config_selectorILNS1_17partition_subalgoE8ElNS0_10empty_typeEbEEZZNS1_14partition_implILS5_8ELb0ES3_jPlPS6_PKS6_NS0_5tupleIJS9_S6_EEENSD_IJSA_SA_EEENS0_18inequality_wrapperIZN2at6native12_GLOBAL__N_124unique_dim_cuda_templateIlEESt5tupleIJNSH_6TensorESM_SM_EERKSM_lbbbEUlllE0_EEPmJS6_EEE10hipError_tPvRmT3_T4_T5_T6_T7_T9_mT8_P12ihipStream_tbDpT10_ENKUlT_T0_E_clISt17integral_constantIbLb0EES1C_EEDaS17_S18_EUlS17_E_NS1_11comp_targetILNS1_3genE2ELNS1_11target_archE906ELNS1_3gpuE6ELNS1_3repE0EEENS1_30default_config_static_selectorELNS0_4arch9wavefront6targetE1EEEvT1_
	.p2align	8
	.type	_ZN7rocprim17ROCPRIM_400000_NS6detail17trampoline_kernelINS0_14default_configENS1_25partition_config_selectorILNS1_17partition_subalgoE8ElNS0_10empty_typeEbEEZZNS1_14partition_implILS5_8ELb0ES3_jPlPS6_PKS6_NS0_5tupleIJS9_S6_EEENSD_IJSA_SA_EEENS0_18inequality_wrapperIZN2at6native12_GLOBAL__N_124unique_dim_cuda_templateIlEESt5tupleIJNSH_6TensorESM_SM_EERKSM_lbbbEUlllE0_EEPmJS6_EEE10hipError_tPvRmT3_T4_T5_T6_T7_T9_mT8_P12ihipStream_tbDpT10_ENKUlT_T0_E_clISt17integral_constantIbLb0EES1C_EEDaS17_S18_EUlS17_E_NS1_11comp_targetILNS1_3genE2ELNS1_11target_archE906ELNS1_3gpuE6ELNS1_3repE0EEENS1_30default_config_static_selectorELNS0_4arch9wavefront6targetE1EEEvT1_,@function
_ZN7rocprim17ROCPRIM_400000_NS6detail17trampoline_kernelINS0_14default_configENS1_25partition_config_selectorILNS1_17partition_subalgoE8ElNS0_10empty_typeEbEEZZNS1_14partition_implILS5_8ELb0ES3_jPlPS6_PKS6_NS0_5tupleIJS9_S6_EEENSD_IJSA_SA_EEENS0_18inequality_wrapperIZN2at6native12_GLOBAL__N_124unique_dim_cuda_templateIlEESt5tupleIJNSH_6TensorESM_SM_EERKSM_lbbbEUlllE0_EEPmJS6_EEE10hipError_tPvRmT3_T4_T5_T6_T7_T9_mT8_P12ihipStream_tbDpT10_ENKUlT_T0_E_clISt17integral_constantIbLb0EES1C_EEDaS17_S18_EUlS17_E_NS1_11comp_targetILNS1_3genE2ELNS1_11target_archE906ELNS1_3gpuE6ELNS1_3repE0EEENS1_30default_config_static_selectorELNS0_4arch9wavefront6targetE1EEEvT1_: ; @_ZN7rocprim17ROCPRIM_400000_NS6detail17trampoline_kernelINS0_14default_configENS1_25partition_config_selectorILNS1_17partition_subalgoE8ElNS0_10empty_typeEbEEZZNS1_14partition_implILS5_8ELb0ES3_jPlPS6_PKS6_NS0_5tupleIJS9_S6_EEENSD_IJSA_SA_EEENS0_18inequality_wrapperIZN2at6native12_GLOBAL__N_124unique_dim_cuda_templateIlEESt5tupleIJNSH_6TensorESM_SM_EERKSM_lbbbEUlllE0_EEPmJS6_EEE10hipError_tPvRmT3_T4_T5_T6_T7_T9_mT8_P12ihipStream_tbDpT10_ENKUlT_T0_E_clISt17integral_constantIbLb0EES1C_EEDaS17_S18_EUlS17_E_NS1_11comp_targetILNS1_3genE2ELNS1_11target_archE906ELNS1_3gpuE6ELNS1_3repE0EEENS1_30default_config_static_selectorELNS0_4arch9wavefront6targetE1EEEvT1_
; %bb.0:
	.section	.rodata,"a",@progbits
	.p2align	6, 0x0
	.amdhsa_kernel _ZN7rocprim17ROCPRIM_400000_NS6detail17trampoline_kernelINS0_14default_configENS1_25partition_config_selectorILNS1_17partition_subalgoE8ElNS0_10empty_typeEbEEZZNS1_14partition_implILS5_8ELb0ES3_jPlPS6_PKS6_NS0_5tupleIJS9_S6_EEENSD_IJSA_SA_EEENS0_18inequality_wrapperIZN2at6native12_GLOBAL__N_124unique_dim_cuda_templateIlEESt5tupleIJNSH_6TensorESM_SM_EERKSM_lbbbEUlllE0_EEPmJS6_EEE10hipError_tPvRmT3_T4_T5_T6_T7_T9_mT8_P12ihipStream_tbDpT10_ENKUlT_T0_E_clISt17integral_constantIbLb0EES1C_EEDaS17_S18_EUlS17_E_NS1_11comp_targetILNS1_3genE2ELNS1_11target_archE906ELNS1_3gpuE6ELNS1_3repE0EEENS1_30default_config_static_selectorELNS0_4arch9wavefront6targetE1EEEvT1_
		.amdhsa_group_segment_fixed_size 0
		.amdhsa_private_segment_fixed_size 0
		.amdhsa_kernarg_size 120
		.amdhsa_user_sgpr_count 6
		.amdhsa_user_sgpr_private_segment_buffer 1
		.amdhsa_user_sgpr_dispatch_ptr 0
		.amdhsa_user_sgpr_queue_ptr 0
		.amdhsa_user_sgpr_kernarg_segment_ptr 1
		.amdhsa_user_sgpr_dispatch_id 0
		.amdhsa_user_sgpr_flat_scratch_init 0
		.amdhsa_user_sgpr_kernarg_preload_length 0
		.amdhsa_user_sgpr_kernarg_preload_offset 0
		.amdhsa_user_sgpr_private_segment_size 0
		.amdhsa_uses_dynamic_stack 0
		.amdhsa_system_sgpr_private_segment_wavefront_offset 0
		.amdhsa_system_sgpr_workgroup_id_x 1
		.amdhsa_system_sgpr_workgroup_id_y 0
		.amdhsa_system_sgpr_workgroup_id_z 0
		.amdhsa_system_sgpr_workgroup_info 0
		.amdhsa_system_vgpr_workitem_id 0
		.amdhsa_next_free_vgpr 1
		.amdhsa_next_free_sgpr 0
		.amdhsa_accum_offset 4
		.amdhsa_reserve_vcc 0
		.amdhsa_reserve_flat_scratch 0
		.amdhsa_float_round_mode_32 0
		.amdhsa_float_round_mode_16_64 0
		.amdhsa_float_denorm_mode_32 3
		.amdhsa_float_denorm_mode_16_64 3
		.amdhsa_dx10_clamp 1
		.amdhsa_ieee_mode 1
		.amdhsa_fp16_overflow 0
		.amdhsa_tg_split 0
		.amdhsa_exception_fp_ieee_invalid_op 0
		.amdhsa_exception_fp_denorm_src 0
		.amdhsa_exception_fp_ieee_div_zero 0
		.amdhsa_exception_fp_ieee_overflow 0
		.amdhsa_exception_fp_ieee_underflow 0
		.amdhsa_exception_fp_ieee_inexact 0
		.amdhsa_exception_int_div_zero 0
	.end_amdhsa_kernel
	.section	.text._ZN7rocprim17ROCPRIM_400000_NS6detail17trampoline_kernelINS0_14default_configENS1_25partition_config_selectorILNS1_17partition_subalgoE8ElNS0_10empty_typeEbEEZZNS1_14partition_implILS5_8ELb0ES3_jPlPS6_PKS6_NS0_5tupleIJS9_S6_EEENSD_IJSA_SA_EEENS0_18inequality_wrapperIZN2at6native12_GLOBAL__N_124unique_dim_cuda_templateIlEESt5tupleIJNSH_6TensorESM_SM_EERKSM_lbbbEUlllE0_EEPmJS6_EEE10hipError_tPvRmT3_T4_T5_T6_T7_T9_mT8_P12ihipStream_tbDpT10_ENKUlT_T0_E_clISt17integral_constantIbLb0EES1C_EEDaS17_S18_EUlS17_E_NS1_11comp_targetILNS1_3genE2ELNS1_11target_archE906ELNS1_3gpuE6ELNS1_3repE0EEENS1_30default_config_static_selectorELNS0_4arch9wavefront6targetE1EEEvT1_,"axG",@progbits,_ZN7rocprim17ROCPRIM_400000_NS6detail17trampoline_kernelINS0_14default_configENS1_25partition_config_selectorILNS1_17partition_subalgoE8ElNS0_10empty_typeEbEEZZNS1_14partition_implILS5_8ELb0ES3_jPlPS6_PKS6_NS0_5tupleIJS9_S6_EEENSD_IJSA_SA_EEENS0_18inequality_wrapperIZN2at6native12_GLOBAL__N_124unique_dim_cuda_templateIlEESt5tupleIJNSH_6TensorESM_SM_EERKSM_lbbbEUlllE0_EEPmJS6_EEE10hipError_tPvRmT3_T4_T5_T6_T7_T9_mT8_P12ihipStream_tbDpT10_ENKUlT_T0_E_clISt17integral_constantIbLb0EES1C_EEDaS17_S18_EUlS17_E_NS1_11comp_targetILNS1_3genE2ELNS1_11target_archE906ELNS1_3gpuE6ELNS1_3repE0EEENS1_30default_config_static_selectorELNS0_4arch9wavefront6targetE1EEEvT1_,comdat
.Lfunc_end567:
	.size	_ZN7rocprim17ROCPRIM_400000_NS6detail17trampoline_kernelINS0_14default_configENS1_25partition_config_selectorILNS1_17partition_subalgoE8ElNS0_10empty_typeEbEEZZNS1_14partition_implILS5_8ELb0ES3_jPlPS6_PKS6_NS0_5tupleIJS9_S6_EEENSD_IJSA_SA_EEENS0_18inequality_wrapperIZN2at6native12_GLOBAL__N_124unique_dim_cuda_templateIlEESt5tupleIJNSH_6TensorESM_SM_EERKSM_lbbbEUlllE0_EEPmJS6_EEE10hipError_tPvRmT3_T4_T5_T6_T7_T9_mT8_P12ihipStream_tbDpT10_ENKUlT_T0_E_clISt17integral_constantIbLb0EES1C_EEDaS17_S18_EUlS17_E_NS1_11comp_targetILNS1_3genE2ELNS1_11target_archE906ELNS1_3gpuE6ELNS1_3repE0EEENS1_30default_config_static_selectorELNS0_4arch9wavefront6targetE1EEEvT1_, .Lfunc_end567-_ZN7rocprim17ROCPRIM_400000_NS6detail17trampoline_kernelINS0_14default_configENS1_25partition_config_selectorILNS1_17partition_subalgoE8ElNS0_10empty_typeEbEEZZNS1_14partition_implILS5_8ELb0ES3_jPlPS6_PKS6_NS0_5tupleIJS9_S6_EEENSD_IJSA_SA_EEENS0_18inequality_wrapperIZN2at6native12_GLOBAL__N_124unique_dim_cuda_templateIlEESt5tupleIJNSH_6TensorESM_SM_EERKSM_lbbbEUlllE0_EEPmJS6_EEE10hipError_tPvRmT3_T4_T5_T6_T7_T9_mT8_P12ihipStream_tbDpT10_ENKUlT_T0_E_clISt17integral_constantIbLb0EES1C_EEDaS17_S18_EUlS17_E_NS1_11comp_targetILNS1_3genE2ELNS1_11target_archE906ELNS1_3gpuE6ELNS1_3repE0EEENS1_30default_config_static_selectorELNS0_4arch9wavefront6targetE1EEEvT1_
                                        ; -- End function
	.section	.AMDGPU.csdata,"",@progbits
; Kernel info:
; codeLenInByte = 0
; NumSgprs: 4
; NumVgprs: 0
; NumAgprs: 0
; TotalNumVgprs: 0
; ScratchSize: 0
; MemoryBound: 0
; FloatMode: 240
; IeeeMode: 1
; LDSByteSize: 0 bytes/workgroup (compile time only)
; SGPRBlocks: 0
; VGPRBlocks: 0
; NumSGPRsForWavesPerEU: 4
; NumVGPRsForWavesPerEU: 1
; AccumOffset: 4
; Occupancy: 8
; WaveLimiterHint : 0
; COMPUTE_PGM_RSRC2:SCRATCH_EN: 0
; COMPUTE_PGM_RSRC2:USER_SGPR: 6
; COMPUTE_PGM_RSRC2:TRAP_HANDLER: 0
; COMPUTE_PGM_RSRC2:TGID_X_EN: 1
; COMPUTE_PGM_RSRC2:TGID_Y_EN: 0
; COMPUTE_PGM_RSRC2:TGID_Z_EN: 0
; COMPUTE_PGM_RSRC2:TIDIG_COMP_CNT: 0
; COMPUTE_PGM_RSRC3_GFX90A:ACCUM_OFFSET: 0
; COMPUTE_PGM_RSRC3_GFX90A:TG_SPLIT: 0
	.section	.text._ZN7rocprim17ROCPRIM_400000_NS6detail17trampoline_kernelINS0_14default_configENS1_25partition_config_selectorILNS1_17partition_subalgoE8ElNS0_10empty_typeEbEEZZNS1_14partition_implILS5_8ELb0ES3_jPlPS6_PKS6_NS0_5tupleIJS9_S6_EEENSD_IJSA_SA_EEENS0_18inequality_wrapperIZN2at6native12_GLOBAL__N_124unique_dim_cuda_templateIlEESt5tupleIJNSH_6TensorESM_SM_EERKSM_lbbbEUlllE0_EEPmJS6_EEE10hipError_tPvRmT3_T4_T5_T6_T7_T9_mT8_P12ihipStream_tbDpT10_ENKUlT_T0_E_clISt17integral_constantIbLb0EES1C_EEDaS17_S18_EUlS17_E_NS1_11comp_targetILNS1_3genE10ELNS1_11target_archE1200ELNS1_3gpuE4ELNS1_3repE0EEENS1_30default_config_static_selectorELNS0_4arch9wavefront6targetE1EEEvT1_,"axG",@progbits,_ZN7rocprim17ROCPRIM_400000_NS6detail17trampoline_kernelINS0_14default_configENS1_25partition_config_selectorILNS1_17partition_subalgoE8ElNS0_10empty_typeEbEEZZNS1_14partition_implILS5_8ELb0ES3_jPlPS6_PKS6_NS0_5tupleIJS9_S6_EEENSD_IJSA_SA_EEENS0_18inequality_wrapperIZN2at6native12_GLOBAL__N_124unique_dim_cuda_templateIlEESt5tupleIJNSH_6TensorESM_SM_EERKSM_lbbbEUlllE0_EEPmJS6_EEE10hipError_tPvRmT3_T4_T5_T6_T7_T9_mT8_P12ihipStream_tbDpT10_ENKUlT_T0_E_clISt17integral_constantIbLb0EES1C_EEDaS17_S18_EUlS17_E_NS1_11comp_targetILNS1_3genE10ELNS1_11target_archE1200ELNS1_3gpuE4ELNS1_3repE0EEENS1_30default_config_static_selectorELNS0_4arch9wavefront6targetE1EEEvT1_,comdat
	.globl	_ZN7rocprim17ROCPRIM_400000_NS6detail17trampoline_kernelINS0_14default_configENS1_25partition_config_selectorILNS1_17partition_subalgoE8ElNS0_10empty_typeEbEEZZNS1_14partition_implILS5_8ELb0ES3_jPlPS6_PKS6_NS0_5tupleIJS9_S6_EEENSD_IJSA_SA_EEENS0_18inequality_wrapperIZN2at6native12_GLOBAL__N_124unique_dim_cuda_templateIlEESt5tupleIJNSH_6TensorESM_SM_EERKSM_lbbbEUlllE0_EEPmJS6_EEE10hipError_tPvRmT3_T4_T5_T6_T7_T9_mT8_P12ihipStream_tbDpT10_ENKUlT_T0_E_clISt17integral_constantIbLb0EES1C_EEDaS17_S18_EUlS17_E_NS1_11comp_targetILNS1_3genE10ELNS1_11target_archE1200ELNS1_3gpuE4ELNS1_3repE0EEENS1_30default_config_static_selectorELNS0_4arch9wavefront6targetE1EEEvT1_ ; -- Begin function _ZN7rocprim17ROCPRIM_400000_NS6detail17trampoline_kernelINS0_14default_configENS1_25partition_config_selectorILNS1_17partition_subalgoE8ElNS0_10empty_typeEbEEZZNS1_14partition_implILS5_8ELb0ES3_jPlPS6_PKS6_NS0_5tupleIJS9_S6_EEENSD_IJSA_SA_EEENS0_18inequality_wrapperIZN2at6native12_GLOBAL__N_124unique_dim_cuda_templateIlEESt5tupleIJNSH_6TensorESM_SM_EERKSM_lbbbEUlllE0_EEPmJS6_EEE10hipError_tPvRmT3_T4_T5_T6_T7_T9_mT8_P12ihipStream_tbDpT10_ENKUlT_T0_E_clISt17integral_constantIbLb0EES1C_EEDaS17_S18_EUlS17_E_NS1_11comp_targetILNS1_3genE10ELNS1_11target_archE1200ELNS1_3gpuE4ELNS1_3repE0EEENS1_30default_config_static_selectorELNS0_4arch9wavefront6targetE1EEEvT1_
	.p2align	8
	.type	_ZN7rocprim17ROCPRIM_400000_NS6detail17trampoline_kernelINS0_14default_configENS1_25partition_config_selectorILNS1_17partition_subalgoE8ElNS0_10empty_typeEbEEZZNS1_14partition_implILS5_8ELb0ES3_jPlPS6_PKS6_NS0_5tupleIJS9_S6_EEENSD_IJSA_SA_EEENS0_18inequality_wrapperIZN2at6native12_GLOBAL__N_124unique_dim_cuda_templateIlEESt5tupleIJNSH_6TensorESM_SM_EERKSM_lbbbEUlllE0_EEPmJS6_EEE10hipError_tPvRmT3_T4_T5_T6_T7_T9_mT8_P12ihipStream_tbDpT10_ENKUlT_T0_E_clISt17integral_constantIbLb0EES1C_EEDaS17_S18_EUlS17_E_NS1_11comp_targetILNS1_3genE10ELNS1_11target_archE1200ELNS1_3gpuE4ELNS1_3repE0EEENS1_30default_config_static_selectorELNS0_4arch9wavefront6targetE1EEEvT1_,@function
_ZN7rocprim17ROCPRIM_400000_NS6detail17trampoline_kernelINS0_14default_configENS1_25partition_config_selectorILNS1_17partition_subalgoE8ElNS0_10empty_typeEbEEZZNS1_14partition_implILS5_8ELb0ES3_jPlPS6_PKS6_NS0_5tupleIJS9_S6_EEENSD_IJSA_SA_EEENS0_18inequality_wrapperIZN2at6native12_GLOBAL__N_124unique_dim_cuda_templateIlEESt5tupleIJNSH_6TensorESM_SM_EERKSM_lbbbEUlllE0_EEPmJS6_EEE10hipError_tPvRmT3_T4_T5_T6_T7_T9_mT8_P12ihipStream_tbDpT10_ENKUlT_T0_E_clISt17integral_constantIbLb0EES1C_EEDaS17_S18_EUlS17_E_NS1_11comp_targetILNS1_3genE10ELNS1_11target_archE1200ELNS1_3gpuE4ELNS1_3repE0EEENS1_30default_config_static_selectorELNS0_4arch9wavefront6targetE1EEEvT1_: ; @_ZN7rocprim17ROCPRIM_400000_NS6detail17trampoline_kernelINS0_14default_configENS1_25partition_config_selectorILNS1_17partition_subalgoE8ElNS0_10empty_typeEbEEZZNS1_14partition_implILS5_8ELb0ES3_jPlPS6_PKS6_NS0_5tupleIJS9_S6_EEENSD_IJSA_SA_EEENS0_18inequality_wrapperIZN2at6native12_GLOBAL__N_124unique_dim_cuda_templateIlEESt5tupleIJNSH_6TensorESM_SM_EERKSM_lbbbEUlllE0_EEPmJS6_EEE10hipError_tPvRmT3_T4_T5_T6_T7_T9_mT8_P12ihipStream_tbDpT10_ENKUlT_T0_E_clISt17integral_constantIbLb0EES1C_EEDaS17_S18_EUlS17_E_NS1_11comp_targetILNS1_3genE10ELNS1_11target_archE1200ELNS1_3gpuE4ELNS1_3repE0EEENS1_30default_config_static_selectorELNS0_4arch9wavefront6targetE1EEEvT1_
; %bb.0:
	.section	.rodata,"a",@progbits
	.p2align	6, 0x0
	.amdhsa_kernel _ZN7rocprim17ROCPRIM_400000_NS6detail17trampoline_kernelINS0_14default_configENS1_25partition_config_selectorILNS1_17partition_subalgoE8ElNS0_10empty_typeEbEEZZNS1_14partition_implILS5_8ELb0ES3_jPlPS6_PKS6_NS0_5tupleIJS9_S6_EEENSD_IJSA_SA_EEENS0_18inequality_wrapperIZN2at6native12_GLOBAL__N_124unique_dim_cuda_templateIlEESt5tupleIJNSH_6TensorESM_SM_EERKSM_lbbbEUlllE0_EEPmJS6_EEE10hipError_tPvRmT3_T4_T5_T6_T7_T9_mT8_P12ihipStream_tbDpT10_ENKUlT_T0_E_clISt17integral_constantIbLb0EES1C_EEDaS17_S18_EUlS17_E_NS1_11comp_targetILNS1_3genE10ELNS1_11target_archE1200ELNS1_3gpuE4ELNS1_3repE0EEENS1_30default_config_static_selectorELNS0_4arch9wavefront6targetE1EEEvT1_
		.amdhsa_group_segment_fixed_size 0
		.amdhsa_private_segment_fixed_size 0
		.amdhsa_kernarg_size 120
		.amdhsa_user_sgpr_count 6
		.amdhsa_user_sgpr_private_segment_buffer 1
		.amdhsa_user_sgpr_dispatch_ptr 0
		.amdhsa_user_sgpr_queue_ptr 0
		.amdhsa_user_sgpr_kernarg_segment_ptr 1
		.amdhsa_user_sgpr_dispatch_id 0
		.amdhsa_user_sgpr_flat_scratch_init 0
		.amdhsa_user_sgpr_kernarg_preload_length 0
		.amdhsa_user_sgpr_kernarg_preload_offset 0
		.amdhsa_user_sgpr_private_segment_size 0
		.amdhsa_uses_dynamic_stack 0
		.amdhsa_system_sgpr_private_segment_wavefront_offset 0
		.amdhsa_system_sgpr_workgroup_id_x 1
		.amdhsa_system_sgpr_workgroup_id_y 0
		.amdhsa_system_sgpr_workgroup_id_z 0
		.amdhsa_system_sgpr_workgroup_info 0
		.amdhsa_system_vgpr_workitem_id 0
		.amdhsa_next_free_vgpr 1
		.amdhsa_next_free_sgpr 0
		.amdhsa_accum_offset 4
		.amdhsa_reserve_vcc 0
		.amdhsa_reserve_flat_scratch 0
		.amdhsa_float_round_mode_32 0
		.amdhsa_float_round_mode_16_64 0
		.amdhsa_float_denorm_mode_32 3
		.amdhsa_float_denorm_mode_16_64 3
		.amdhsa_dx10_clamp 1
		.amdhsa_ieee_mode 1
		.amdhsa_fp16_overflow 0
		.amdhsa_tg_split 0
		.amdhsa_exception_fp_ieee_invalid_op 0
		.amdhsa_exception_fp_denorm_src 0
		.amdhsa_exception_fp_ieee_div_zero 0
		.amdhsa_exception_fp_ieee_overflow 0
		.amdhsa_exception_fp_ieee_underflow 0
		.amdhsa_exception_fp_ieee_inexact 0
		.amdhsa_exception_int_div_zero 0
	.end_amdhsa_kernel
	.section	.text._ZN7rocprim17ROCPRIM_400000_NS6detail17trampoline_kernelINS0_14default_configENS1_25partition_config_selectorILNS1_17partition_subalgoE8ElNS0_10empty_typeEbEEZZNS1_14partition_implILS5_8ELb0ES3_jPlPS6_PKS6_NS0_5tupleIJS9_S6_EEENSD_IJSA_SA_EEENS0_18inequality_wrapperIZN2at6native12_GLOBAL__N_124unique_dim_cuda_templateIlEESt5tupleIJNSH_6TensorESM_SM_EERKSM_lbbbEUlllE0_EEPmJS6_EEE10hipError_tPvRmT3_T4_T5_T6_T7_T9_mT8_P12ihipStream_tbDpT10_ENKUlT_T0_E_clISt17integral_constantIbLb0EES1C_EEDaS17_S18_EUlS17_E_NS1_11comp_targetILNS1_3genE10ELNS1_11target_archE1200ELNS1_3gpuE4ELNS1_3repE0EEENS1_30default_config_static_selectorELNS0_4arch9wavefront6targetE1EEEvT1_,"axG",@progbits,_ZN7rocprim17ROCPRIM_400000_NS6detail17trampoline_kernelINS0_14default_configENS1_25partition_config_selectorILNS1_17partition_subalgoE8ElNS0_10empty_typeEbEEZZNS1_14partition_implILS5_8ELb0ES3_jPlPS6_PKS6_NS0_5tupleIJS9_S6_EEENSD_IJSA_SA_EEENS0_18inequality_wrapperIZN2at6native12_GLOBAL__N_124unique_dim_cuda_templateIlEESt5tupleIJNSH_6TensorESM_SM_EERKSM_lbbbEUlllE0_EEPmJS6_EEE10hipError_tPvRmT3_T4_T5_T6_T7_T9_mT8_P12ihipStream_tbDpT10_ENKUlT_T0_E_clISt17integral_constantIbLb0EES1C_EEDaS17_S18_EUlS17_E_NS1_11comp_targetILNS1_3genE10ELNS1_11target_archE1200ELNS1_3gpuE4ELNS1_3repE0EEENS1_30default_config_static_selectorELNS0_4arch9wavefront6targetE1EEEvT1_,comdat
.Lfunc_end568:
	.size	_ZN7rocprim17ROCPRIM_400000_NS6detail17trampoline_kernelINS0_14default_configENS1_25partition_config_selectorILNS1_17partition_subalgoE8ElNS0_10empty_typeEbEEZZNS1_14partition_implILS5_8ELb0ES3_jPlPS6_PKS6_NS0_5tupleIJS9_S6_EEENSD_IJSA_SA_EEENS0_18inequality_wrapperIZN2at6native12_GLOBAL__N_124unique_dim_cuda_templateIlEESt5tupleIJNSH_6TensorESM_SM_EERKSM_lbbbEUlllE0_EEPmJS6_EEE10hipError_tPvRmT3_T4_T5_T6_T7_T9_mT8_P12ihipStream_tbDpT10_ENKUlT_T0_E_clISt17integral_constantIbLb0EES1C_EEDaS17_S18_EUlS17_E_NS1_11comp_targetILNS1_3genE10ELNS1_11target_archE1200ELNS1_3gpuE4ELNS1_3repE0EEENS1_30default_config_static_selectorELNS0_4arch9wavefront6targetE1EEEvT1_, .Lfunc_end568-_ZN7rocprim17ROCPRIM_400000_NS6detail17trampoline_kernelINS0_14default_configENS1_25partition_config_selectorILNS1_17partition_subalgoE8ElNS0_10empty_typeEbEEZZNS1_14partition_implILS5_8ELb0ES3_jPlPS6_PKS6_NS0_5tupleIJS9_S6_EEENSD_IJSA_SA_EEENS0_18inequality_wrapperIZN2at6native12_GLOBAL__N_124unique_dim_cuda_templateIlEESt5tupleIJNSH_6TensorESM_SM_EERKSM_lbbbEUlllE0_EEPmJS6_EEE10hipError_tPvRmT3_T4_T5_T6_T7_T9_mT8_P12ihipStream_tbDpT10_ENKUlT_T0_E_clISt17integral_constantIbLb0EES1C_EEDaS17_S18_EUlS17_E_NS1_11comp_targetILNS1_3genE10ELNS1_11target_archE1200ELNS1_3gpuE4ELNS1_3repE0EEENS1_30default_config_static_selectorELNS0_4arch9wavefront6targetE1EEEvT1_
                                        ; -- End function
	.section	.AMDGPU.csdata,"",@progbits
; Kernel info:
; codeLenInByte = 0
; NumSgprs: 4
; NumVgprs: 0
; NumAgprs: 0
; TotalNumVgprs: 0
; ScratchSize: 0
; MemoryBound: 0
; FloatMode: 240
; IeeeMode: 1
; LDSByteSize: 0 bytes/workgroup (compile time only)
; SGPRBlocks: 0
; VGPRBlocks: 0
; NumSGPRsForWavesPerEU: 4
; NumVGPRsForWavesPerEU: 1
; AccumOffset: 4
; Occupancy: 8
; WaveLimiterHint : 0
; COMPUTE_PGM_RSRC2:SCRATCH_EN: 0
; COMPUTE_PGM_RSRC2:USER_SGPR: 6
; COMPUTE_PGM_RSRC2:TRAP_HANDLER: 0
; COMPUTE_PGM_RSRC2:TGID_X_EN: 1
; COMPUTE_PGM_RSRC2:TGID_Y_EN: 0
; COMPUTE_PGM_RSRC2:TGID_Z_EN: 0
; COMPUTE_PGM_RSRC2:TIDIG_COMP_CNT: 0
; COMPUTE_PGM_RSRC3_GFX90A:ACCUM_OFFSET: 0
; COMPUTE_PGM_RSRC3_GFX90A:TG_SPLIT: 0
	.section	.text._ZN7rocprim17ROCPRIM_400000_NS6detail17trampoline_kernelINS0_14default_configENS1_25partition_config_selectorILNS1_17partition_subalgoE8ElNS0_10empty_typeEbEEZZNS1_14partition_implILS5_8ELb0ES3_jPlPS6_PKS6_NS0_5tupleIJS9_S6_EEENSD_IJSA_SA_EEENS0_18inequality_wrapperIZN2at6native12_GLOBAL__N_124unique_dim_cuda_templateIlEESt5tupleIJNSH_6TensorESM_SM_EERKSM_lbbbEUlllE0_EEPmJS6_EEE10hipError_tPvRmT3_T4_T5_T6_T7_T9_mT8_P12ihipStream_tbDpT10_ENKUlT_T0_E_clISt17integral_constantIbLb0EES1C_EEDaS17_S18_EUlS17_E_NS1_11comp_targetILNS1_3genE9ELNS1_11target_archE1100ELNS1_3gpuE3ELNS1_3repE0EEENS1_30default_config_static_selectorELNS0_4arch9wavefront6targetE1EEEvT1_,"axG",@progbits,_ZN7rocprim17ROCPRIM_400000_NS6detail17trampoline_kernelINS0_14default_configENS1_25partition_config_selectorILNS1_17partition_subalgoE8ElNS0_10empty_typeEbEEZZNS1_14partition_implILS5_8ELb0ES3_jPlPS6_PKS6_NS0_5tupleIJS9_S6_EEENSD_IJSA_SA_EEENS0_18inequality_wrapperIZN2at6native12_GLOBAL__N_124unique_dim_cuda_templateIlEESt5tupleIJNSH_6TensorESM_SM_EERKSM_lbbbEUlllE0_EEPmJS6_EEE10hipError_tPvRmT3_T4_T5_T6_T7_T9_mT8_P12ihipStream_tbDpT10_ENKUlT_T0_E_clISt17integral_constantIbLb0EES1C_EEDaS17_S18_EUlS17_E_NS1_11comp_targetILNS1_3genE9ELNS1_11target_archE1100ELNS1_3gpuE3ELNS1_3repE0EEENS1_30default_config_static_selectorELNS0_4arch9wavefront6targetE1EEEvT1_,comdat
	.globl	_ZN7rocprim17ROCPRIM_400000_NS6detail17trampoline_kernelINS0_14default_configENS1_25partition_config_selectorILNS1_17partition_subalgoE8ElNS0_10empty_typeEbEEZZNS1_14partition_implILS5_8ELb0ES3_jPlPS6_PKS6_NS0_5tupleIJS9_S6_EEENSD_IJSA_SA_EEENS0_18inequality_wrapperIZN2at6native12_GLOBAL__N_124unique_dim_cuda_templateIlEESt5tupleIJNSH_6TensorESM_SM_EERKSM_lbbbEUlllE0_EEPmJS6_EEE10hipError_tPvRmT3_T4_T5_T6_T7_T9_mT8_P12ihipStream_tbDpT10_ENKUlT_T0_E_clISt17integral_constantIbLb0EES1C_EEDaS17_S18_EUlS17_E_NS1_11comp_targetILNS1_3genE9ELNS1_11target_archE1100ELNS1_3gpuE3ELNS1_3repE0EEENS1_30default_config_static_selectorELNS0_4arch9wavefront6targetE1EEEvT1_ ; -- Begin function _ZN7rocprim17ROCPRIM_400000_NS6detail17trampoline_kernelINS0_14default_configENS1_25partition_config_selectorILNS1_17partition_subalgoE8ElNS0_10empty_typeEbEEZZNS1_14partition_implILS5_8ELb0ES3_jPlPS6_PKS6_NS0_5tupleIJS9_S6_EEENSD_IJSA_SA_EEENS0_18inequality_wrapperIZN2at6native12_GLOBAL__N_124unique_dim_cuda_templateIlEESt5tupleIJNSH_6TensorESM_SM_EERKSM_lbbbEUlllE0_EEPmJS6_EEE10hipError_tPvRmT3_T4_T5_T6_T7_T9_mT8_P12ihipStream_tbDpT10_ENKUlT_T0_E_clISt17integral_constantIbLb0EES1C_EEDaS17_S18_EUlS17_E_NS1_11comp_targetILNS1_3genE9ELNS1_11target_archE1100ELNS1_3gpuE3ELNS1_3repE0EEENS1_30default_config_static_selectorELNS0_4arch9wavefront6targetE1EEEvT1_
	.p2align	8
	.type	_ZN7rocprim17ROCPRIM_400000_NS6detail17trampoline_kernelINS0_14default_configENS1_25partition_config_selectorILNS1_17partition_subalgoE8ElNS0_10empty_typeEbEEZZNS1_14partition_implILS5_8ELb0ES3_jPlPS6_PKS6_NS0_5tupleIJS9_S6_EEENSD_IJSA_SA_EEENS0_18inequality_wrapperIZN2at6native12_GLOBAL__N_124unique_dim_cuda_templateIlEESt5tupleIJNSH_6TensorESM_SM_EERKSM_lbbbEUlllE0_EEPmJS6_EEE10hipError_tPvRmT3_T4_T5_T6_T7_T9_mT8_P12ihipStream_tbDpT10_ENKUlT_T0_E_clISt17integral_constantIbLb0EES1C_EEDaS17_S18_EUlS17_E_NS1_11comp_targetILNS1_3genE9ELNS1_11target_archE1100ELNS1_3gpuE3ELNS1_3repE0EEENS1_30default_config_static_selectorELNS0_4arch9wavefront6targetE1EEEvT1_,@function
_ZN7rocprim17ROCPRIM_400000_NS6detail17trampoline_kernelINS0_14default_configENS1_25partition_config_selectorILNS1_17partition_subalgoE8ElNS0_10empty_typeEbEEZZNS1_14partition_implILS5_8ELb0ES3_jPlPS6_PKS6_NS0_5tupleIJS9_S6_EEENSD_IJSA_SA_EEENS0_18inequality_wrapperIZN2at6native12_GLOBAL__N_124unique_dim_cuda_templateIlEESt5tupleIJNSH_6TensorESM_SM_EERKSM_lbbbEUlllE0_EEPmJS6_EEE10hipError_tPvRmT3_T4_T5_T6_T7_T9_mT8_P12ihipStream_tbDpT10_ENKUlT_T0_E_clISt17integral_constantIbLb0EES1C_EEDaS17_S18_EUlS17_E_NS1_11comp_targetILNS1_3genE9ELNS1_11target_archE1100ELNS1_3gpuE3ELNS1_3repE0EEENS1_30default_config_static_selectorELNS0_4arch9wavefront6targetE1EEEvT1_: ; @_ZN7rocprim17ROCPRIM_400000_NS6detail17trampoline_kernelINS0_14default_configENS1_25partition_config_selectorILNS1_17partition_subalgoE8ElNS0_10empty_typeEbEEZZNS1_14partition_implILS5_8ELb0ES3_jPlPS6_PKS6_NS0_5tupleIJS9_S6_EEENSD_IJSA_SA_EEENS0_18inequality_wrapperIZN2at6native12_GLOBAL__N_124unique_dim_cuda_templateIlEESt5tupleIJNSH_6TensorESM_SM_EERKSM_lbbbEUlllE0_EEPmJS6_EEE10hipError_tPvRmT3_T4_T5_T6_T7_T9_mT8_P12ihipStream_tbDpT10_ENKUlT_T0_E_clISt17integral_constantIbLb0EES1C_EEDaS17_S18_EUlS17_E_NS1_11comp_targetILNS1_3genE9ELNS1_11target_archE1100ELNS1_3gpuE3ELNS1_3repE0EEENS1_30default_config_static_selectorELNS0_4arch9wavefront6targetE1EEEvT1_
; %bb.0:
	.section	.rodata,"a",@progbits
	.p2align	6, 0x0
	.amdhsa_kernel _ZN7rocprim17ROCPRIM_400000_NS6detail17trampoline_kernelINS0_14default_configENS1_25partition_config_selectorILNS1_17partition_subalgoE8ElNS0_10empty_typeEbEEZZNS1_14partition_implILS5_8ELb0ES3_jPlPS6_PKS6_NS0_5tupleIJS9_S6_EEENSD_IJSA_SA_EEENS0_18inequality_wrapperIZN2at6native12_GLOBAL__N_124unique_dim_cuda_templateIlEESt5tupleIJNSH_6TensorESM_SM_EERKSM_lbbbEUlllE0_EEPmJS6_EEE10hipError_tPvRmT3_T4_T5_T6_T7_T9_mT8_P12ihipStream_tbDpT10_ENKUlT_T0_E_clISt17integral_constantIbLb0EES1C_EEDaS17_S18_EUlS17_E_NS1_11comp_targetILNS1_3genE9ELNS1_11target_archE1100ELNS1_3gpuE3ELNS1_3repE0EEENS1_30default_config_static_selectorELNS0_4arch9wavefront6targetE1EEEvT1_
		.amdhsa_group_segment_fixed_size 0
		.amdhsa_private_segment_fixed_size 0
		.amdhsa_kernarg_size 120
		.amdhsa_user_sgpr_count 6
		.amdhsa_user_sgpr_private_segment_buffer 1
		.amdhsa_user_sgpr_dispatch_ptr 0
		.amdhsa_user_sgpr_queue_ptr 0
		.amdhsa_user_sgpr_kernarg_segment_ptr 1
		.amdhsa_user_sgpr_dispatch_id 0
		.amdhsa_user_sgpr_flat_scratch_init 0
		.amdhsa_user_sgpr_kernarg_preload_length 0
		.amdhsa_user_sgpr_kernarg_preload_offset 0
		.amdhsa_user_sgpr_private_segment_size 0
		.amdhsa_uses_dynamic_stack 0
		.amdhsa_system_sgpr_private_segment_wavefront_offset 0
		.amdhsa_system_sgpr_workgroup_id_x 1
		.amdhsa_system_sgpr_workgroup_id_y 0
		.amdhsa_system_sgpr_workgroup_id_z 0
		.amdhsa_system_sgpr_workgroup_info 0
		.amdhsa_system_vgpr_workitem_id 0
		.amdhsa_next_free_vgpr 1
		.amdhsa_next_free_sgpr 0
		.amdhsa_accum_offset 4
		.amdhsa_reserve_vcc 0
		.amdhsa_reserve_flat_scratch 0
		.amdhsa_float_round_mode_32 0
		.amdhsa_float_round_mode_16_64 0
		.amdhsa_float_denorm_mode_32 3
		.amdhsa_float_denorm_mode_16_64 3
		.amdhsa_dx10_clamp 1
		.amdhsa_ieee_mode 1
		.amdhsa_fp16_overflow 0
		.amdhsa_tg_split 0
		.amdhsa_exception_fp_ieee_invalid_op 0
		.amdhsa_exception_fp_denorm_src 0
		.amdhsa_exception_fp_ieee_div_zero 0
		.amdhsa_exception_fp_ieee_overflow 0
		.amdhsa_exception_fp_ieee_underflow 0
		.amdhsa_exception_fp_ieee_inexact 0
		.amdhsa_exception_int_div_zero 0
	.end_amdhsa_kernel
	.section	.text._ZN7rocprim17ROCPRIM_400000_NS6detail17trampoline_kernelINS0_14default_configENS1_25partition_config_selectorILNS1_17partition_subalgoE8ElNS0_10empty_typeEbEEZZNS1_14partition_implILS5_8ELb0ES3_jPlPS6_PKS6_NS0_5tupleIJS9_S6_EEENSD_IJSA_SA_EEENS0_18inequality_wrapperIZN2at6native12_GLOBAL__N_124unique_dim_cuda_templateIlEESt5tupleIJNSH_6TensorESM_SM_EERKSM_lbbbEUlllE0_EEPmJS6_EEE10hipError_tPvRmT3_T4_T5_T6_T7_T9_mT8_P12ihipStream_tbDpT10_ENKUlT_T0_E_clISt17integral_constantIbLb0EES1C_EEDaS17_S18_EUlS17_E_NS1_11comp_targetILNS1_3genE9ELNS1_11target_archE1100ELNS1_3gpuE3ELNS1_3repE0EEENS1_30default_config_static_selectorELNS0_4arch9wavefront6targetE1EEEvT1_,"axG",@progbits,_ZN7rocprim17ROCPRIM_400000_NS6detail17trampoline_kernelINS0_14default_configENS1_25partition_config_selectorILNS1_17partition_subalgoE8ElNS0_10empty_typeEbEEZZNS1_14partition_implILS5_8ELb0ES3_jPlPS6_PKS6_NS0_5tupleIJS9_S6_EEENSD_IJSA_SA_EEENS0_18inequality_wrapperIZN2at6native12_GLOBAL__N_124unique_dim_cuda_templateIlEESt5tupleIJNSH_6TensorESM_SM_EERKSM_lbbbEUlllE0_EEPmJS6_EEE10hipError_tPvRmT3_T4_T5_T6_T7_T9_mT8_P12ihipStream_tbDpT10_ENKUlT_T0_E_clISt17integral_constantIbLb0EES1C_EEDaS17_S18_EUlS17_E_NS1_11comp_targetILNS1_3genE9ELNS1_11target_archE1100ELNS1_3gpuE3ELNS1_3repE0EEENS1_30default_config_static_selectorELNS0_4arch9wavefront6targetE1EEEvT1_,comdat
.Lfunc_end569:
	.size	_ZN7rocprim17ROCPRIM_400000_NS6detail17trampoline_kernelINS0_14default_configENS1_25partition_config_selectorILNS1_17partition_subalgoE8ElNS0_10empty_typeEbEEZZNS1_14partition_implILS5_8ELb0ES3_jPlPS6_PKS6_NS0_5tupleIJS9_S6_EEENSD_IJSA_SA_EEENS0_18inequality_wrapperIZN2at6native12_GLOBAL__N_124unique_dim_cuda_templateIlEESt5tupleIJNSH_6TensorESM_SM_EERKSM_lbbbEUlllE0_EEPmJS6_EEE10hipError_tPvRmT3_T4_T5_T6_T7_T9_mT8_P12ihipStream_tbDpT10_ENKUlT_T0_E_clISt17integral_constantIbLb0EES1C_EEDaS17_S18_EUlS17_E_NS1_11comp_targetILNS1_3genE9ELNS1_11target_archE1100ELNS1_3gpuE3ELNS1_3repE0EEENS1_30default_config_static_selectorELNS0_4arch9wavefront6targetE1EEEvT1_, .Lfunc_end569-_ZN7rocprim17ROCPRIM_400000_NS6detail17trampoline_kernelINS0_14default_configENS1_25partition_config_selectorILNS1_17partition_subalgoE8ElNS0_10empty_typeEbEEZZNS1_14partition_implILS5_8ELb0ES3_jPlPS6_PKS6_NS0_5tupleIJS9_S6_EEENSD_IJSA_SA_EEENS0_18inequality_wrapperIZN2at6native12_GLOBAL__N_124unique_dim_cuda_templateIlEESt5tupleIJNSH_6TensorESM_SM_EERKSM_lbbbEUlllE0_EEPmJS6_EEE10hipError_tPvRmT3_T4_T5_T6_T7_T9_mT8_P12ihipStream_tbDpT10_ENKUlT_T0_E_clISt17integral_constantIbLb0EES1C_EEDaS17_S18_EUlS17_E_NS1_11comp_targetILNS1_3genE9ELNS1_11target_archE1100ELNS1_3gpuE3ELNS1_3repE0EEENS1_30default_config_static_selectorELNS0_4arch9wavefront6targetE1EEEvT1_
                                        ; -- End function
	.section	.AMDGPU.csdata,"",@progbits
; Kernel info:
; codeLenInByte = 0
; NumSgprs: 4
; NumVgprs: 0
; NumAgprs: 0
; TotalNumVgprs: 0
; ScratchSize: 0
; MemoryBound: 0
; FloatMode: 240
; IeeeMode: 1
; LDSByteSize: 0 bytes/workgroup (compile time only)
; SGPRBlocks: 0
; VGPRBlocks: 0
; NumSGPRsForWavesPerEU: 4
; NumVGPRsForWavesPerEU: 1
; AccumOffset: 4
; Occupancy: 8
; WaveLimiterHint : 0
; COMPUTE_PGM_RSRC2:SCRATCH_EN: 0
; COMPUTE_PGM_RSRC2:USER_SGPR: 6
; COMPUTE_PGM_RSRC2:TRAP_HANDLER: 0
; COMPUTE_PGM_RSRC2:TGID_X_EN: 1
; COMPUTE_PGM_RSRC2:TGID_Y_EN: 0
; COMPUTE_PGM_RSRC2:TGID_Z_EN: 0
; COMPUTE_PGM_RSRC2:TIDIG_COMP_CNT: 0
; COMPUTE_PGM_RSRC3_GFX90A:ACCUM_OFFSET: 0
; COMPUTE_PGM_RSRC3_GFX90A:TG_SPLIT: 0
	.section	.text._ZN7rocprim17ROCPRIM_400000_NS6detail17trampoline_kernelINS0_14default_configENS1_25partition_config_selectorILNS1_17partition_subalgoE8ElNS0_10empty_typeEbEEZZNS1_14partition_implILS5_8ELb0ES3_jPlPS6_PKS6_NS0_5tupleIJS9_S6_EEENSD_IJSA_SA_EEENS0_18inequality_wrapperIZN2at6native12_GLOBAL__N_124unique_dim_cuda_templateIlEESt5tupleIJNSH_6TensorESM_SM_EERKSM_lbbbEUlllE0_EEPmJS6_EEE10hipError_tPvRmT3_T4_T5_T6_T7_T9_mT8_P12ihipStream_tbDpT10_ENKUlT_T0_E_clISt17integral_constantIbLb0EES1C_EEDaS17_S18_EUlS17_E_NS1_11comp_targetILNS1_3genE8ELNS1_11target_archE1030ELNS1_3gpuE2ELNS1_3repE0EEENS1_30default_config_static_selectorELNS0_4arch9wavefront6targetE1EEEvT1_,"axG",@progbits,_ZN7rocprim17ROCPRIM_400000_NS6detail17trampoline_kernelINS0_14default_configENS1_25partition_config_selectorILNS1_17partition_subalgoE8ElNS0_10empty_typeEbEEZZNS1_14partition_implILS5_8ELb0ES3_jPlPS6_PKS6_NS0_5tupleIJS9_S6_EEENSD_IJSA_SA_EEENS0_18inequality_wrapperIZN2at6native12_GLOBAL__N_124unique_dim_cuda_templateIlEESt5tupleIJNSH_6TensorESM_SM_EERKSM_lbbbEUlllE0_EEPmJS6_EEE10hipError_tPvRmT3_T4_T5_T6_T7_T9_mT8_P12ihipStream_tbDpT10_ENKUlT_T0_E_clISt17integral_constantIbLb0EES1C_EEDaS17_S18_EUlS17_E_NS1_11comp_targetILNS1_3genE8ELNS1_11target_archE1030ELNS1_3gpuE2ELNS1_3repE0EEENS1_30default_config_static_selectorELNS0_4arch9wavefront6targetE1EEEvT1_,comdat
	.globl	_ZN7rocprim17ROCPRIM_400000_NS6detail17trampoline_kernelINS0_14default_configENS1_25partition_config_selectorILNS1_17partition_subalgoE8ElNS0_10empty_typeEbEEZZNS1_14partition_implILS5_8ELb0ES3_jPlPS6_PKS6_NS0_5tupleIJS9_S6_EEENSD_IJSA_SA_EEENS0_18inequality_wrapperIZN2at6native12_GLOBAL__N_124unique_dim_cuda_templateIlEESt5tupleIJNSH_6TensorESM_SM_EERKSM_lbbbEUlllE0_EEPmJS6_EEE10hipError_tPvRmT3_T4_T5_T6_T7_T9_mT8_P12ihipStream_tbDpT10_ENKUlT_T0_E_clISt17integral_constantIbLb0EES1C_EEDaS17_S18_EUlS17_E_NS1_11comp_targetILNS1_3genE8ELNS1_11target_archE1030ELNS1_3gpuE2ELNS1_3repE0EEENS1_30default_config_static_selectorELNS0_4arch9wavefront6targetE1EEEvT1_ ; -- Begin function _ZN7rocprim17ROCPRIM_400000_NS6detail17trampoline_kernelINS0_14default_configENS1_25partition_config_selectorILNS1_17partition_subalgoE8ElNS0_10empty_typeEbEEZZNS1_14partition_implILS5_8ELb0ES3_jPlPS6_PKS6_NS0_5tupleIJS9_S6_EEENSD_IJSA_SA_EEENS0_18inequality_wrapperIZN2at6native12_GLOBAL__N_124unique_dim_cuda_templateIlEESt5tupleIJNSH_6TensorESM_SM_EERKSM_lbbbEUlllE0_EEPmJS6_EEE10hipError_tPvRmT3_T4_T5_T6_T7_T9_mT8_P12ihipStream_tbDpT10_ENKUlT_T0_E_clISt17integral_constantIbLb0EES1C_EEDaS17_S18_EUlS17_E_NS1_11comp_targetILNS1_3genE8ELNS1_11target_archE1030ELNS1_3gpuE2ELNS1_3repE0EEENS1_30default_config_static_selectorELNS0_4arch9wavefront6targetE1EEEvT1_
	.p2align	8
	.type	_ZN7rocprim17ROCPRIM_400000_NS6detail17trampoline_kernelINS0_14default_configENS1_25partition_config_selectorILNS1_17partition_subalgoE8ElNS0_10empty_typeEbEEZZNS1_14partition_implILS5_8ELb0ES3_jPlPS6_PKS6_NS0_5tupleIJS9_S6_EEENSD_IJSA_SA_EEENS0_18inequality_wrapperIZN2at6native12_GLOBAL__N_124unique_dim_cuda_templateIlEESt5tupleIJNSH_6TensorESM_SM_EERKSM_lbbbEUlllE0_EEPmJS6_EEE10hipError_tPvRmT3_T4_T5_T6_T7_T9_mT8_P12ihipStream_tbDpT10_ENKUlT_T0_E_clISt17integral_constantIbLb0EES1C_EEDaS17_S18_EUlS17_E_NS1_11comp_targetILNS1_3genE8ELNS1_11target_archE1030ELNS1_3gpuE2ELNS1_3repE0EEENS1_30default_config_static_selectorELNS0_4arch9wavefront6targetE1EEEvT1_,@function
_ZN7rocprim17ROCPRIM_400000_NS6detail17trampoline_kernelINS0_14default_configENS1_25partition_config_selectorILNS1_17partition_subalgoE8ElNS0_10empty_typeEbEEZZNS1_14partition_implILS5_8ELb0ES3_jPlPS6_PKS6_NS0_5tupleIJS9_S6_EEENSD_IJSA_SA_EEENS0_18inequality_wrapperIZN2at6native12_GLOBAL__N_124unique_dim_cuda_templateIlEESt5tupleIJNSH_6TensorESM_SM_EERKSM_lbbbEUlllE0_EEPmJS6_EEE10hipError_tPvRmT3_T4_T5_T6_T7_T9_mT8_P12ihipStream_tbDpT10_ENKUlT_T0_E_clISt17integral_constantIbLb0EES1C_EEDaS17_S18_EUlS17_E_NS1_11comp_targetILNS1_3genE8ELNS1_11target_archE1030ELNS1_3gpuE2ELNS1_3repE0EEENS1_30default_config_static_selectorELNS0_4arch9wavefront6targetE1EEEvT1_: ; @_ZN7rocprim17ROCPRIM_400000_NS6detail17trampoline_kernelINS0_14default_configENS1_25partition_config_selectorILNS1_17partition_subalgoE8ElNS0_10empty_typeEbEEZZNS1_14partition_implILS5_8ELb0ES3_jPlPS6_PKS6_NS0_5tupleIJS9_S6_EEENSD_IJSA_SA_EEENS0_18inequality_wrapperIZN2at6native12_GLOBAL__N_124unique_dim_cuda_templateIlEESt5tupleIJNSH_6TensorESM_SM_EERKSM_lbbbEUlllE0_EEPmJS6_EEE10hipError_tPvRmT3_T4_T5_T6_T7_T9_mT8_P12ihipStream_tbDpT10_ENKUlT_T0_E_clISt17integral_constantIbLb0EES1C_EEDaS17_S18_EUlS17_E_NS1_11comp_targetILNS1_3genE8ELNS1_11target_archE1030ELNS1_3gpuE2ELNS1_3repE0EEENS1_30default_config_static_selectorELNS0_4arch9wavefront6targetE1EEEvT1_
; %bb.0:
	.section	.rodata,"a",@progbits
	.p2align	6, 0x0
	.amdhsa_kernel _ZN7rocprim17ROCPRIM_400000_NS6detail17trampoline_kernelINS0_14default_configENS1_25partition_config_selectorILNS1_17partition_subalgoE8ElNS0_10empty_typeEbEEZZNS1_14partition_implILS5_8ELb0ES3_jPlPS6_PKS6_NS0_5tupleIJS9_S6_EEENSD_IJSA_SA_EEENS0_18inequality_wrapperIZN2at6native12_GLOBAL__N_124unique_dim_cuda_templateIlEESt5tupleIJNSH_6TensorESM_SM_EERKSM_lbbbEUlllE0_EEPmJS6_EEE10hipError_tPvRmT3_T4_T5_T6_T7_T9_mT8_P12ihipStream_tbDpT10_ENKUlT_T0_E_clISt17integral_constantIbLb0EES1C_EEDaS17_S18_EUlS17_E_NS1_11comp_targetILNS1_3genE8ELNS1_11target_archE1030ELNS1_3gpuE2ELNS1_3repE0EEENS1_30default_config_static_selectorELNS0_4arch9wavefront6targetE1EEEvT1_
		.amdhsa_group_segment_fixed_size 0
		.amdhsa_private_segment_fixed_size 0
		.amdhsa_kernarg_size 120
		.amdhsa_user_sgpr_count 6
		.amdhsa_user_sgpr_private_segment_buffer 1
		.amdhsa_user_sgpr_dispatch_ptr 0
		.amdhsa_user_sgpr_queue_ptr 0
		.amdhsa_user_sgpr_kernarg_segment_ptr 1
		.amdhsa_user_sgpr_dispatch_id 0
		.amdhsa_user_sgpr_flat_scratch_init 0
		.amdhsa_user_sgpr_kernarg_preload_length 0
		.amdhsa_user_sgpr_kernarg_preload_offset 0
		.amdhsa_user_sgpr_private_segment_size 0
		.amdhsa_uses_dynamic_stack 0
		.amdhsa_system_sgpr_private_segment_wavefront_offset 0
		.amdhsa_system_sgpr_workgroup_id_x 1
		.amdhsa_system_sgpr_workgroup_id_y 0
		.amdhsa_system_sgpr_workgroup_id_z 0
		.amdhsa_system_sgpr_workgroup_info 0
		.amdhsa_system_vgpr_workitem_id 0
		.amdhsa_next_free_vgpr 1
		.amdhsa_next_free_sgpr 0
		.amdhsa_accum_offset 4
		.amdhsa_reserve_vcc 0
		.amdhsa_reserve_flat_scratch 0
		.amdhsa_float_round_mode_32 0
		.amdhsa_float_round_mode_16_64 0
		.amdhsa_float_denorm_mode_32 3
		.amdhsa_float_denorm_mode_16_64 3
		.amdhsa_dx10_clamp 1
		.amdhsa_ieee_mode 1
		.amdhsa_fp16_overflow 0
		.amdhsa_tg_split 0
		.amdhsa_exception_fp_ieee_invalid_op 0
		.amdhsa_exception_fp_denorm_src 0
		.amdhsa_exception_fp_ieee_div_zero 0
		.amdhsa_exception_fp_ieee_overflow 0
		.amdhsa_exception_fp_ieee_underflow 0
		.amdhsa_exception_fp_ieee_inexact 0
		.amdhsa_exception_int_div_zero 0
	.end_amdhsa_kernel
	.section	.text._ZN7rocprim17ROCPRIM_400000_NS6detail17trampoline_kernelINS0_14default_configENS1_25partition_config_selectorILNS1_17partition_subalgoE8ElNS0_10empty_typeEbEEZZNS1_14partition_implILS5_8ELb0ES3_jPlPS6_PKS6_NS0_5tupleIJS9_S6_EEENSD_IJSA_SA_EEENS0_18inequality_wrapperIZN2at6native12_GLOBAL__N_124unique_dim_cuda_templateIlEESt5tupleIJNSH_6TensorESM_SM_EERKSM_lbbbEUlllE0_EEPmJS6_EEE10hipError_tPvRmT3_T4_T5_T6_T7_T9_mT8_P12ihipStream_tbDpT10_ENKUlT_T0_E_clISt17integral_constantIbLb0EES1C_EEDaS17_S18_EUlS17_E_NS1_11comp_targetILNS1_3genE8ELNS1_11target_archE1030ELNS1_3gpuE2ELNS1_3repE0EEENS1_30default_config_static_selectorELNS0_4arch9wavefront6targetE1EEEvT1_,"axG",@progbits,_ZN7rocprim17ROCPRIM_400000_NS6detail17trampoline_kernelINS0_14default_configENS1_25partition_config_selectorILNS1_17partition_subalgoE8ElNS0_10empty_typeEbEEZZNS1_14partition_implILS5_8ELb0ES3_jPlPS6_PKS6_NS0_5tupleIJS9_S6_EEENSD_IJSA_SA_EEENS0_18inequality_wrapperIZN2at6native12_GLOBAL__N_124unique_dim_cuda_templateIlEESt5tupleIJNSH_6TensorESM_SM_EERKSM_lbbbEUlllE0_EEPmJS6_EEE10hipError_tPvRmT3_T4_T5_T6_T7_T9_mT8_P12ihipStream_tbDpT10_ENKUlT_T0_E_clISt17integral_constantIbLb0EES1C_EEDaS17_S18_EUlS17_E_NS1_11comp_targetILNS1_3genE8ELNS1_11target_archE1030ELNS1_3gpuE2ELNS1_3repE0EEENS1_30default_config_static_selectorELNS0_4arch9wavefront6targetE1EEEvT1_,comdat
.Lfunc_end570:
	.size	_ZN7rocprim17ROCPRIM_400000_NS6detail17trampoline_kernelINS0_14default_configENS1_25partition_config_selectorILNS1_17partition_subalgoE8ElNS0_10empty_typeEbEEZZNS1_14partition_implILS5_8ELb0ES3_jPlPS6_PKS6_NS0_5tupleIJS9_S6_EEENSD_IJSA_SA_EEENS0_18inequality_wrapperIZN2at6native12_GLOBAL__N_124unique_dim_cuda_templateIlEESt5tupleIJNSH_6TensorESM_SM_EERKSM_lbbbEUlllE0_EEPmJS6_EEE10hipError_tPvRmT3_T4_T5_T6_T7_T9_mT8_P12ihipStream_tbDpT10_ENKUlT_T0_E_clISt17integral_constantIbLb0EES1C_EEDaS17_S18_EUlS17_E_NS1_11comp_targetILNS1_3genE8ELNS1_11target_archE1030ELNS1_3gpuE2ELNS1_3repE0EEENS1_30default_config_static_selectorELNS0_4arch9wavefront6targetE1EEEvT1_, .Lfunc_end570-_ZN7rocprim17ROCPRIM_400000_NS6detail17trampoline_kernelINS0_14default_configENS1_25partition_config_selectorILNS1_17partition_subalgoE8ElNS0_10empty_typeEbEEZZNS1_14partition_implILS5_8ELb0ES3_jPlPS6_PKS6_NS0_5tupleIJS9_S6_EEENSD_IJSA_SA_EEENS0_18inequality_wrapperIZN2at6native12_GLOBAL__N_124unique_dim_cuda_templateIlEESt5tupleIJNSH_6TensorESM_SM_EERKSM_lbbbEUlllE0_EEPmJS6_EEE10hipError_tPvRmT3_T4_T5_T6_T7_T9_mT8_P12ihipStream_tbDpT10_ENKUlT_T0_E_clISt17integral_constantIbLb0EES1C_EEDaS17_S18_EUlS17_E_NS1_11comp_targetILNS1_3genE8ELNS1_11target_archE1030ELNS1_3gpuE2ELNS1_3repE0EEENS1_30default_config_static_selectorELNS0_4arch9wavefront6targetE1EEEvT1_
                                        ; -- End function
	.section	.AMDGPU.csdata,"",@progbits
; Kernel info:
; codeLenInByte = 0
; NumSgprs: 4
; NumVgprs: 0
; NumAgprs: 0
; TotalNumVgprs: 0
; ScratchSize: 0
; MemoryBound: 0
; FloatMode: 240
; IeeeMode: 1
; LDSByteSize: 0 bytes/workgroup (compile time only)
; SGPRBlocks: 0
; VGPRBlocks: 0
; NumSGPRsForWavesPerEU: 4
; NumVGPRsForWavesPerEU: 1
; AccumOffset: 4
; Occupancy: 8
; WaveLimiterHint : 0
; COMPUTE_PGM_RSRC2:SCRATCH_EN: 0
; COMPUTE_PGM_RSRC2:USER_SGPR: 6
; COMPUTE_PGM_RSRC2:TRAP_HANDLER: 0
; COMPUTE_PGM_RSRC2:TGID_X_EN: 1
; COMPUTE_PGM_RSRC2:TGID_Y_EN: 0
; COMPUTE_PGM_RSRC2:TGID_Z_EN: 0
; COMPUTE_PGM_RSRC2:TIDIG_COMP_CNT: 0
; COMPUTE_PGM_RSRC3_GFX90A:ACCUM_OFFSET: 0
; COMPUTE_PGM_RSRC3_GFX90A:TG_SPLIT: 0
	.section	.text._ZN7rocprim17ROCPRIM_400000_NS6detail17trampoline_kernelINS0_14default_configENS1_25partition_config_selectorILNS1_17partition_subalgoE8ElNS0_10empty_typeEbEEZZNS1_14partition_implILS5_8ELb0ES3_jPlPS6_PKS6_NS0_5tupleIJS9_S6_EEENSD_IJSA_SA_EEENS0_18inequality_wrapperIZN2at6native12_GLOBAL__N_124unique_dim_cuda_templateIlEESt5tupleIJNSH_6TensorESM_SM_EERKSM_lbbbEUlllE0_EEPmJS6_EEE10hipError_tPvRmT3_T4_T5_T6_T7_T9_mT8_P12ihipStream_tbDpT10_ENKUlT_T0_E_clISt17integral_constantIbLb1EES1C_EEDaS17_S18_EUlS17_E_NS1_11comp_targetILNS1_3genE0ELNS1_11target_archE4294967295ELNS1_3gpuE0ELNS1_3repE0EEENS1_30default_config_static_selectorELNS0_4arch9wavefront6targetE1EEEvT1_,"axG",@progbits,_ZN7rocprim17ROCPRIM_400000_NS6detail17trampoline_kernelINS0_14default_configENS1_25partition_config_selectorILNS1_17partition_subalgoE8ElNS0_10empty_typeEbEEZZNS1_14partition_implILS5_8ELb0ES3_jPlPS6_PKS6_NS0_5tupleIJS9_S6_EEENSD_IJSA_SA_EEENS0_18inequality_wrapperIZN2at6native12_GLOBAL__N_124unique_dim_cuda_templateIlEESt5tupleIJNSH_6TensorESM_SM_EERKSM_lbbbEUlllE0_EEPmJS6_EEE10hipError_tPvRmT3_T4_T5_T6_T7_T9_mT8_P12ihipStream_tbDpT10_ENKUlT_T0_E_clISt17integral_constantIbLb1EES1C_EEDaS17_S18_EUlS17_E_NS1_11comp_targetILNS1_3genE0ELNS1_11target_archE4294967295ELNS1_3gpuE0ELNS1_3repE0EEENS1_30default_config_static_selectorELNS0_4arch9wavefront6targetE1EEEvT1_,comdat
	.globl	_ZN7rocprim17ROCPRIM_400000_NS6detail17trampoline_kernelINS0_14default_configENS1_25partition_config_selectorILNS1_17partition_subalgoE8ElNS0_10empty_typeEbEEZZNS1_14partition_implILS5_8ELb0ES3_jPlPS6_PKS6_NS0_5tupleIJS9_S6_EEENSD_IJSA_SA_EEENS0_18inequality_wrapperIZN2at6native12_GLOBAL__N_124unique_dim_cuda_templateIlEESt5tupleIJNSH_6TensorESM_SM_EERKSM_lbbbEUlllE0_EEPmJS6_EEE10hipError_tPvRmT3_T4_T5_T6_T7_T9_mT8_P12ihipStream_tbDpT10_ENKUlT_T0_E_clISt17integral_constantIbLb1EES1C_EEDaS17_S18_EUlS17_E_NS1_11comp_targetILNS1_3genE0ELNS1_11target_archE4294967295ELNS1_3gpuE0ELNS1_3repE0EEENS1_30default_config_static_selectorELNS0_4arch9wavefront6targetE1EEEvT1_ ; -- Begin function _ZN7rocprim17ROCPRIM_400000_NS6detail17trampoline_kernelINS0_14default_configENS1_25partition_config_selectorILNS1_17partition_subalgoE8ElNS0_10empty_typeEbEEZZNS1_14partition_implILS5_8ELb0ES3_jPlPS6_PKS6_NS0_5tupleIJS9_S6_EEENSD_IJSA_SA_EEENS0_18inequality_wrapperIZN2at6native12_GLOBAL__N_124unique_dim_cuda_templateIlEESt5tupleIJNSH_6TensorESM_SM_EERKSM_lbbbEUlllE0_EEPmJS6_EEE10hipError_tPvRmT3_T4_T5_T6_T7_T9_mT8_P12ihipStream_tbDpT10_ENKUlT_T0_E_clISt17integral_constantIbLb1EES1C_EEDaS17_S18_EUlS17_E_NS1_11comp_targetILNS1_3genE0ELNS1_11target_archE4294967295ELNS1_3gpuE0ELNS1_3repE0EEENS1_30default_config_static_selectorELNS0_4arch9wavefront6targetE1EEEvT1_
	.p2align	8
	.type	_ZN7rocprim17ROCPRIM_400000_NS6detail17trampoline_kernelINS0_14default_configENS1_25partition_config_selectorILNS1_17partition_subalgoE8ElNS0_10empty_typeEbEEZZNS1_14partition_implILS5_8ELb0ES3_jPlPS6_PKS6_NS0_5tupleIJS9_S6_EEENSD_IJSA_SA_EEENS0_18inequality_wrapperIZN2at6native12_GLOBAL__N_124unique_dim_cuda_templateIlEESt5tupleIJNSH_6TensorESM_SM_EERKSM_lbbbEUlllE0_EEPmJS6_EEE10hipError_tPvRmT3_T4_T5_T6_T7_T9_mT8_P12ihipStream_tbDpT10_ENKUlT_T0_E_clISt17integral_constantIbLb1EES1C_EEDaS17_S18_EUlS17_E_NS1_11comp_targetILNS1_3genE0ELNS1_11target_archE4294967295ELNS1_3gpuE0ELNS1_3repE0EEENS1_30default_config_static_selectorELNS0_4arch9wavefront6targetE1EEEvT1_,@function
_ZN7rocprim17ROCPRIM_400000_NS6detail17trampoline_kernelINS0_14default_configENS1_25partition_config_selectorILNS1_17partition_subalgoE8ElNS0_10empty_typeEbEEZZNS1_14partition_implILS5_8ELb0ES3_jPlPS6_PKS6_NS0_5tupleIJS9_S6_EEENSD_IJSA_SA_EEENS0_18inequality_wrapperIZN2at6native12_GLOBAL__N_124unique_dim_cuda_templateIlEESt5tupleIJNSH_6TensorESM_SM_EERKSM_lbbbEUlllE0_EEPmJS6_EEE10hipError_tPvRmT3_T4_T5_T6_T7_T9_mT8_P12ihipStream_tbDpT10_ENKUlT_T0_E_clISt17integral_constantIbLb1EES1C_EEDaS17_S18_EUlS17_E_NS1_11comp_targetILNS1_3genE0ELNS1_11target_archE4294967295ELNS1_3gpuE0ELNS1_3repE0EEENS1_30default_config_static_selectorELNS0_4arch9wavefront6targetE1EEEvT1_: ; @_ZN7rocprim17ROCPRIM_400000_NS6detail17trampoline_kernelINS0_14default_configENS1_25partition_config_selectorILNS1_17partition_subalgoE8ElNS0_10empty_typeEbEEZZNS1_14partition_implILS5_8ELb0ES3_jPlPS6_PKS6_NS0_5tupleIJS9_S6_EEENSD_IJSA_SA_EEENS0_18inequality_wrapperIZN2at6native12_GLOBAL__N_124unique_dim_cuda_templateIlEESt5tupleIJNSH_6TensorESM_SM_EERKSM_lbbbEUlllE0_EEPmJS6_EEE10hipError_tPvRmT3_T4_T5_T6_T7_T9_mT8_P12ihipStream_tbDpT10_ENKUlT_T0_E_clISt17integral_constantIbLb1EES1C_EEDaS17_S18_EUlS17_E_NS1_11comp_targetILNS1_3genE0ELNS1_11target_archE4294967295ELNS1_3gpuE0ELNS1_3repE0EEENS1_30default_config_static_selectorELNS0_4arch9wavefront6targetE1EEEvT1_
; %bb.0:
	.section	.rodata,"a",@progbits
	.p2align	6, 0x0
	.amdhsa_kernel _ZN7rocprim17ROCPRIM_400000_NS6detail17trampoline_kernelINS0_14default_configENS1_25partition_config_selectorILNS1_17partition_subalgoE8ElNS0_10empty_typeEbEEZZNS1_14partition_implILS5_8ELb0ES3_jPlPS6_PKS6_NS0_5tupleIJS9_S6_EEENSD_IJSA_SA_EEENS0_18inequality_wrapperIZN2at6native12_GLOBAL__N_124unique_dim_cuda_templateIlEESt5tupleIJNSH_6TensorESM_SM_EERKSM_lbbbEUlllE0_EEPmJS6_EEE10hipError_tPvRmT3_T4_T5_T6_T7_T9_mT8_P12ihipStream_tbDpT10_ENKUlT_T0_E_clISt17integral_constantIbLb1EES1C_EEDaS17_S18_EUlS17_E_NS1_11comp_targetILNS1_3genE0ELNS1_11target_archE4294967295ELNS1_3gpuE0ELNS1_3repE0EEENS1_30default_config_static_selectorELNS0_4arch9wavefront6targetE1EEEvT1_
		.amdhsa_group_segment_fixed_size 0
		.amdhsa_private_segment_fixed_size 0
		.amdhsa_kernarg_size 136
		.amdhsa_user_sgpr_count 6
		.amdhsa_user_sgpr_private_segment_buffer 1
		.amdhsa_user_sgpr_dispatch_ptr 0
		.amdhsa_user_sgpr_queue_ptr 0
		.amdhsa_user_sgpr_kernarg_segment_ptr 1
		.amdhsa_user_sgpr_dispatch_id 0
		.amdhsa_user_sgpr_flat_scratch_init 0
		.amdhsa_user_sgpr_kernarg_preload_length 0
		.amdhsa_user_sgpr_kernarg_preload_offset 0
		.amdhsa_user_sgpr_private_segment_size 0
		.amdhsa_uses_dynamic_stack 0
		.amdhsa_system_sgpr_private_segment_wavefront_offset 0
		.amdhsa_system_sgpr_workgroup_id_x 1
		.amdhsa_system_sgpr_workgroup_id_y 0
		.amdhsa_system_sgpr_workgroup_id_z 0
		.amdhsa_system_sgpr_workgroup_info 0
		.amdhsa_system_vgpr_workitem_id 0
		.amdhsa_next_free_vgpr 1
		.amdhsa_next_free_sgpr 0
		.amdhsa_accum_offset 4
		.amdhsa_reserve_vcc 0
		.amdhsa_reserve_flat_scratch 0
		.amdhsa_float_round_mode_32 0
		.amdhsa_float_round_mode_16_64 0
		.amdhsa_float_denorm_mode_32 3
		.amdhsa_float_denorm_mode_16_64 3
		.amdhsa_dx10_clamp 1
		.amdhsa_ieee_mode 1
		.amdhsa_fp16_overflow 0
		.amdhsa_tg_split 0
		.amdhsa_exception_fp_ieee_invalid_op 0
		.amdhsa_exception_fp_denorm_src 0
		.amdhsa_exception_fp_ieee_div_zero 0
		.amdhsa_exception_fp_ieee_overflow 0
		.amdhsa_exception_fp_ieee_underflow 0
		.amdhsa_exception_fp_ieee_inexact 0
		.amdhsa_exception_int_div_zero 0
	.end_amdhsa_kernel
	.section	.text._ZN7rocprim17ROCPRIM_400000_NS6detail17trampoline_kernelINS0_14default_configENS1_25partition_config_selectorILNS1_17partition_subalgoE8ElNS0_10empty_typeEbEEZZNS1_14partition_implILS5_8ELb0ES3_jPlPS6_PKS6_NS0_5tupleIJS9_S6_EEENSD_IJSA_SA_EEENS0_18inequality_wrapperIZN2at6native12_GLOBAL__N_124unique_dim_cuda_templateIlEESt5tupleIJNSH_6TensorESM_SM_EERKSM_lbbbEUlllE0_EEPmJS6_EEE10hipError_tPvRmT3_T4_T5_T6_T7_T9_mT8_P12ihipStream_tbDpT10_ENKUlT_T0_E_clISt17integral_constantIbLb1EES1C_EEDaS17_S18_EUlS17_E_NS1_11comp_targetILNS1_3genE0ELNS1_11target_archE4294967295ELNS1_3gpuE0ELNS1_3repE0EEENS1_30default_config_static_selectorELNS0_4arch9wavefront6targetE1EEEvT1_,"axG",@progbits,_ZN7rocprim17ROCPRIM_400000_NS6detail17trampoline_kernelINS0_14default_configENS1_25partition_config_selectorILNS1_17partition_subalgoE8ElNS0_10empty_typeEbEEZZNS1_14partition_implILS5_8ELb0ES3_jPlPS6_PKS6_NS0_5tupleIJS9_S6_EEENSD_IJSA_SA_EEENS0_18inequality_wrapperIZN2at6native12_GLOBAL__N_124unique_dim_cuda_templateIlEESt5tupleIJNSH_6TensorESM_SM_EERKSM_lbbbEUlllE0_EEPmJS6_EEE10hipError_tPvRmT3_T4_T5_T6_T7_T9_mT8_P12ihipStream_tbDpT10_ENKUlT_T0_E_clISt17integral_constantIbLb1EES1C_EEDaS17_S18_EUlS17_E_NS1_11comp_targetILNS1_3genE0ELNS1_11target_archE4294967295ELNS1_3gpuE0ELNS1_3repE0EEENS1_30default_config_static_selectorELNS0_4arch9wavefront6targetE1EEEvT1_,comdat
.Lfunc_end571:
	.size	_ZN7rocprim17ROCPRIM_400000_NS6detail17trampoline_kernelINS0_14default_configENS1_25partition_config_selectorILNS1_17partition_subalgoE8ElNS0_10empty_typeEbEEZZNS1_14partition_implILS5_8ELb0ES3_jPlPS6_PKS6_NS0_5tupleIJS9_S6_EEENSD_IJSA_SA_EEENS0_18inequality_wrapperIZN2at6native12_GLOBAL__N_124unique_dim_cuda_templateIlEESt5tupleIJNSH_6TensorESM_SM_EERKSM_lbbbEUlllE0_EEPmJS6_EEE10hipError_tPvRmT3_T4_T5_T6_T7_T9_mT8_P12ihipStream_tbDpT10_ENKUlT_T0_E_clISt17integral_constantIbLb1EES1C_EEDaS17_S18_EUlS17_E_NS1_11comp_targetILNS1_3genE0ELNS1_11target_archE4294967295ELNS1_3gpuE0ELNS1_3repE0EEENS1_30default_config_static_selectorELNS0_4arch9wavefront6targetE1EEEvT1_, .Lfunc_end571-_ZN7rocprim17ROCPRIM_400000_NS6detail17trampoline_kernelINS0_14default_configENS1_25partition_config_selectorILNS1_17partition_subalgoE8ElNS0_10empty_typeEbEEZZNS1_14partition_implILS5_8ELb0ES3_jPlPS6_PKS6_NS0_5tupleIJS9_S6_EEENSD_IJSA_SA_EEENS0_18inequality_wrapperIZN2at6native12_GLOBAL__N_124unique_dim_cuda_templateIlEESt5tupleIJNSH_6TensorESM_SM_EERKSM_lbbbEUlllE0_EEPmJS6_EEE10hipError_tPvRmT3_T4_T5_T6_T7_T9_mT8_P12ihipStream_tbDpT10_ENKUlT_T0_E_clISt17integral_constantIbLb1EES1C_EEDaS17_S18_EUlS17_E_NS1_11comp_targetILNS1_3genE0ELNS1_11target_archE4294967295ELNS1_3gpuE0ELNS1_3repE0EEENS1_30default_config_static_selectorELNS0_4arch9wavefront6targetE1EEEvT1_
                                        ; -- End function
	.section	.AMDGPU.csdata,"",@progbits
; Kernel info:
; codeLenInByte = 0
; NumSgprs: 4
; NumVgprs: 0
; NumAgprs: 0
; TotalNumVgprs: 0
; ScratchSize: 0
; MemoryBound: 0
; FloatMode: 240
; IeeeMode: 1
; LDSByteSize: 0 bytes/workgroup (compile time only)
; SGPRBlocks: 0
; VGPRBlocks: 0
; NumSGPRsForWavesPerEU: 4
; NumVGPRsForWavesPerEU: 1
; AccumOffset: 4
; Occupancy: 8
; WaveLimiterHint : 0
; COMPUTE_PGM_RSRC2:SCRATCH_EN: 0
; COMPUTE_PGM_RSRC2:USER_SGPR: 6
; COMPUTE_PGM_RSRC2:TRAP_HANDLER: 0
; COMPUTE_PGM_RSRC2:TGID_X_EN: 1
; COMPUTE_PGM_RSRC2:TGID_Y_EN: 0
; COMPUTE_PGM_RSRC2:TGID_Z_EN: 0
; COMPUTE_PGM_RSRC2:TIDIG_COMP_CNT: 0
; COMPUTE_PGM_RSRC3_GFX90A:ACCUM_OFFSET: 0
; COMPUTE_PGM_RSRC3_GFX90A:TG_SPLIT: 0
	.section	.text._ZN7rocprim17ROCPRIM_400000_NS6detail17trampoline_kernelINS0_14default_configENS1_25partition_config_selectorILNS1_17partition_subalgoE8ElNS0_10empty_typeEbEEZZNS1_14partition_implILS5_8ELb0ES3_jPlPS6_PKS6_NS0_5tupleIJS9_S6_EEENSD_IJSA_SA_EEENS0_18inequality_wrapperIZN2at6native12_GLOBAL__N_124unique_dim_cuda_templateIlEESt5tupleIJNSH_6TensorESM_SM_EERKSM_lbbbEUlllE0_EEPmJS6_EEE10hipError_tPvRmT3_T4_T5_T6_T7_T9_mT8_P12ihipStream_tbDpT10_ENKUlT_T0_E_clISt17integral_constantIbLb1EES1C_EEDaS17_S18_EUlS17_E_NS1_11comp_targetILNS1_3genE5ELNS1_11target_archE942ELNS1_3gpuE9ELNS1_3repE0EEENS1_30default_config_static_selectorELNS0_4arch9wavefront6targetE1EEEvT1_,"axG",@progbits,_ZN7rocprim17ROCPRIM_400000_NS6detail17trampoline_kernelINS0_14default_configENS1_25partition_config_selectorILNS1_17partition_subalgoE8ElNS0_10empty_typeEbEEZZNS1_14partition_implILS5_8ELb0ES3_jPlPS6_PKS6_NS0_5tupleIJS9_S6_EEENSD_IJSA_SA_EEENS0_18inequality_wrapperIZN2at6native12_GLOBAL__N_124unique_dim_cuda_templateIlEESt5tupleIJNSH_6TensorESM_SM_EERKSM_lbbbEUlllE0_EEPmJS6_EEE10hipError_tPvRmT3_T4_T5_T6_T7_T9_mT8_P12ihipStream_tbDpT10_ENKUlT_T0_E_clISt17integral_constantIbLb1EES1C_EEDaS17_S18_EUlS17_E_NS1_11comp_targetILNS1_3genE5ELNS1_11target_archE942ELNS1_3gpuE9ELNS1_3repE0EEENS1_30default_config_static_selectorELNS0_4arch9wavefront6targetE1EEEvT1_,comdat
	.globl	_ZN7rocprim17ROCPRIM_400000_NS6detail17trampoline_kernelINS0_14default_configENS1_25partition_config_selectorILNS1_17partition_subalgoE8ElNS0_10empty_typeEbEEZZNS1_14partition_implILS5_8ELb0ES3_jPlPS6_PKS6_NS0_5tupleIJS9_S6_EEENSD_IJSA_SA_EEENS0_18inequality_wrapperIZN2at6native12_GLOBAL__N_124unique_dim_cuda_templateIlEESt5tupleIJNSH_6TensorESM_SM_EERKSM_lbbbEUlllE0_EEPmJS6_EEE10hipError_tPvRmT3_T4_T5_T6_T7_T9_mT8_P12ihipStream_tbDpT10_ENKUlT_T0_E_clISt17integral_constantIbLb1EES1C_EEDaS17_S18_EUlS17_E_NS1_11comp_targetILNS1_3genE5ELNS1_11target_archE942ELNS1_3gpuE9ELNS1_3repE0EEENS1_30default_config_static_selectorELNS0_4arch9wavefront6targetE1EEEvT1_ ; -- Begin function _ZN7rocprim17ROCPRIM_400000_NS6detail17trampoline_kernelINS0_14default_configENS1_25partition_config_selectorILNS1_17partition_subalgoE8ElNS0_10empty_typeEbEEZZNS1_14partition_implILS5_8ELb0ES3_jPlPS6_PKS6_NS0_5tupleIJS9_S6_EEENSD_IJSA_SA_EEENS0_18inequality_wrapperIZN2at6native12_GLOBAL__N_124unique_dim_cuda_templateIlEESt5tupleIJNSH_6TensorESM_SM_EERKSM_lbbbEUlllE0_EEPmJS6_EEE10hipError_tPvRmT3_T4_T5_T6_T7_T9_mT8_P12ihipStream_tbDpT10_ENKUlT_T0_E_clISt17integral_constantIbLb1EES1C_EEDaS17_S18_EUlS17_E_NS1_11comp_targetILNS1_3genE5ELNS1_11target_archE942ELNS1_3gpuE9ELNS1_3repE0EEENS1_30default_config_static_selectorELNS0_4arch9wavefront6targetE1EEEvT1_
	.p2align	8
	.type	_ZN7rocprim17ROCPRIM_400000_NS6detail17trampoline_kernelINS0_14default_configENS1_25partition_config_selectorILNS1_17partition_subalgoE8ElNS0_10empty_typeEbEEZZNS1_14partition_implILS5_8ELb0ES3_jPlPS6_PKS6_NS0_5tupleIJS9_S6_EEENSD_IJSA_SA_EEENS0_18inequality_wrapperIZN2at6native12_GLOBAL__N_124unique_dim_cuda_templateIlEESt5tupleIJNSH_6TensorESM_SM_EERKSM_lbbbEUlllE0_EEPmJS6_EEE10hipError_tPvRmT3_T4_T5_T6_T7_T9_mT8_P12ihipStream_tbDpT10_ENKUlT_T0_E_clISt17integral_constantIbLb1EES1C_EEDaS17_S18_EUlS17_E_NS1_11comp_targetILNS1_3genE5ELNS1_11target_archE942ELNS1_3gpuE9ELNS1_3repE0EEENS1_30default_config_static_selectorELNS0_4arch9wavefront6targetE1EEEvT1_,@function
_ZN7rocprim17ROCPRIM_400000_NS6detail17trampoline_kernelINS0_14default_configENS1_25partition_config_selectorILNS1_17partition_subalgoE8ElNS0_10empty_typeEbEEZZNS1_14partition_implILS5_8ELb0ES3_jPlPS6_PKS6_NS0_5tupleIJS9_S6_EEENSD_IJSA_SA_EEENS0_18inequality_wrapperIZN2at6native12_GLOBAL__N_124unique_dim_cuda_templateIlEESt5tupleIJNSH_6TensorESM_SM_EERKSM_lbbbEUlllE0_EEPmJS6_EEE10hipError_tPvRmT3_T4_T5_T6_T7_T9_mT8_P12ihipStream_tbDpT10_ENKUlT_T0_E_clISt17integral_constantIbLb1EES1C_EEDaS17_S18_EUlS17_E_NS1_11comp_targetILNS1_3genE5ELNS1_11target_archE942ELNS1_3gpuE9ELNS1_3repE0EEENS1_30default_config_static_selectorELNS0_4arch9wavefront6targetE1EEEvT1_: ; @_ZN7rocprim17ROCPRIM_400000_NS6detail17trampoline_kernelINS0_14default_configENS1_25partition_config_selectorILNS1_17partition_subalgoE8ElNS0_10empty_typeEbEEZZNS1_14partition_implILS5_8ELb0ES3_jPlPS6_PKS6_NS0_5tupleIJS9_S6_EEENSD_IJSA_SA_EEENS0_18inequality_wrapperIZN2at6native12_GLOBAL__N_124unique_dim_cuda_templateIlEESt5tupleIJNSH_6TensorESM_SM_EERKSM_lbbbEUlllE0_EEPmJS6_EEE10hipError_tPvRmT3_T4_T5_T6_T7_T9_mT8_P12ihipStream_tbDpT10_ENKUlT_T0_E_clISt17integral_constantIbLb1EES1C_EEDaS17_S18_EUlS17_E_NS1_11comp_targetILNS1_3genE5ELNS1_11target_archE942ELNS1_3gpuE9ELNS1_3repE0EEENS1_30default_config_static_selectorELNS0_4arch9wavefront6targetE1EEEvT1_
; %bb.0:
	.section	.rodata,"a",@progbits
	.p2align	6, 0x0
	.amdhsa_kernel _ZN7rocprim17ROCPRIM_400000_NS6detail17trampoline_kernelINS0_14default_configENS1_25partition_config_selectorILNS1_17partition_subalgoE8ElNS0_10empty_typeEbEEZZNS1_14partition_implILS5_8ELb0ES3_jPlPS6_PKS6_NS0_5tupleIJS9_S6_EEENSD_IJSA_SA_EEENS0_18inequality_wrapperIZN2at6native12_GLOBAL__N_124unique_dim_cuda_templateIlEESt5tupleIJNSH_6TensorESM_SM_EERKSM_lbbbEUlllE0_EEPmJS6_EEE10hipError_tPvRmT3_T4_T5_T6_T7_T9_mT8_P12ihipStream_tbDpT10_ENKUlT_T0_E_clISt17integral_constantIbLb1EES1C_EEDaS17_S18_EUlS17_E_NS1_11comp_targetILNS1_3genE5ELNS1_11target_archE942ELNS1_3gpuE9ELNS1_3repE0EEENS1_30default_config_static_selectorELNS0_4arch9wavefront6targetE1EEEvT1_
		.amdhsa_group_segment_fixed_size 0
		.amdhsa_private_segment_fixed_size 0
		.amdhsa_kernarg_size 136
		.amdhsa_user_sgpr_count 6
		.amdhsa_user_sgpr_private_segment_buffer 1
		.amdhsa_user_sgpr_dispatch_ptr 0
		.amdhsa_user_sgpr_queue_ptr 0
		.amdhsa_user_sgpr_kernarg_segment_ptr 1
		.amdhsa_user_sgpr_dispatch_id 0
		.amdhsa_user_sgpr_flat_scratch_init 0
		.amdhsa_user_sgpr_kernarg_preload_length 0
		.amdhsa_user_sgpr_kernarg_preload_offset 0
		.amdhsa_user_sgpr_private_segment_size 0
		.amdhsa_uses_dynamic_stack 0
		.amdhsa_system_sgpr_private_segment_wavefront_offset 0
		.amdhsa_system_sgpr_workgroup_id_x 1
		.amdhsa_system_sgpr_workgroup_id_y 0
		.amdhsa_system_sgpr_workgroup_id_z 0
		.amdhsa_system_sgpr_workgroup_info 0
		.amdhsa_system_vgpr_workitem_id 0
		.amdhsa_next_free_vgpr 1
		.amdhsa_next_free_sgpr 0
		.amdhsa_accum_offset 4
		.amdhsa_reserve_vcc 0
		.amdhsa_reserve_flat_scratch 0
		.amdhsa_float_round_mode_32 0
		.amdhsa_float_round_mode_16_64 0
		.amdhsa_float_denorm_mode_32 3
		.amdhsa_float_denorm_mode_16_64 3
		.amdhsa_dx10_clamp 1
		.amdhsa_ieee_mode 1
		.amdhsa_fp16_overflow 0
		.amdhsa_tg_split 0
		.amdhsa_exception_fp_ieee_invalid_op 0
		.amdhsa_exception_fp_denorm_src 0
		.amdhsa_exception_fp_ieee_div_zero 0
		.amdhsa_exception_fp_ieee_overflow 0
		.amdhsa_exception_fp_ieee_underflow 0
		.amdhsa_exception_fp_ieee_inexact 0
		.amdhsa_exception_int_div_zero 0
	.end_amdhsa_kernel
	.section	.text._ZN7rocprim17ROCPRIM_400000_NS6detail17trampoline_kernelINS0_14default_configENS1_25partition_config_selectorILNS1_17partition_subalgoE8ElNS0_10empty_typeEbEEZZNS1_14partition_implILS5_8ELb0ES3_jPlPS6_PKS6_NS0_5tupleIJS9_S6_EEENSD_IJSA_SA_EEENS0_18inequality_wrapperIZN2at6native12_GLOBAL__N_124unique_dim_cuda_templateIlEESt5tupleIJNSH_6TensorESM_SM_EERKSM_lbbbEUlllE0_EEPmJS6_EEE10hipError_tPvRmT3_T4_T5_T6_T7_T9_mT8_P12ihipStream_tbDpT10_ENKUlT_T0_E_clISt17integral_constantIbLb1EES1C_EEDaS17_S18_EUlS17_E_NS1_11comp_targetILNS1_3genE5ELNS1_11target_archE942ELNS1_3gpuE9ELNS1_3repE0EEENS1_30default_config_static_selectorELNS0_4arch9wavefront6targetE1EEEvT1_,"axG",@progbits,_ZN7rocprim17ROCPRIM_400000_NS6detail17trampoline_kernelINS0_14default_configENS1_25partition_config_selectorILNS1_17partition_subalgoE8ElNS0_10empty_typeEbEEZZNS1_14partition_implILS5_8ELb0ES3_jPlPS6_PKS6_NS0_5tupleIJS9_S6_EEENSD_IJSA_SA_EEENS0_18inequality_wrapperIZN2at6native12_GLOBAL__N_124unique_dim_cuda_templateIlEESt5tupleIJNSH_6TensorESM_SM_EERKSM_lbbbEUlllE0_EEPmJS6_EEE10hipError_tPvRmT3_T4_T5_T6_T7_T9_mT8_P12ihipStream_tbDpT10_ENKUlT_T0_E_clISt17integral_constantIbLb1EES1C_EEDaS17_S18_EUlS17_E_NS1_11comp_targetILNS1_3genE5ELNS1_11target_archE942ELNS1_3gpuE9ELNS1_3repE0EEENS1_30default_config_static_selectorELNS0_4arch9wavefront6targetE1EEEvT1_,comdat
.Lfunc_end572:
	.size	_ZN7rocprim17ROCPRIM_400000_NS6detail17trampoline_kernelINS0_14default_configENS1_25partition_config_selectorILNS1_17partition_subalgoE8ElNS0_10empty_typeEbEEZZNS1_14partition_implILS5_8ELb0ES3_jPlPS6_PKS6_NS0_5tupleIJS9_S6_EEENSD_IJSA_SA_EEENS0_18inequality_wrapperIZN2at6native12_GLOBAL__N_124unique_dim_cuda_templateIlEESt5tupleIJNSH_6TensorESM_SM_EERKSM_lbbbEUlllE0_EEPmJS6_EEE10hipError_tPvRmT3_T4_T5_T6_T7_T9_mT8_P12ihipStream_tbDpT10_ENKUlT_T0_E_clISt17integral_constantIbLb1EES1C_EEDaS17_S18_EUlS17_E_NS1_11comp_targetILNS1_3genE5ELNS1_11target_archE942ELNS1_3gpuE9ELNS1_3repE0EEENS1_30default_config_static_selectorELNS0_4arch9wavefront6targetE1EEEvT1_, .Lfunc_end572-_ZN7rocprim17ROCPRIM_400000_NS6detail17trampoline_kernelINS0_14default_configENS1_25partition_config_selectorILNS1_17partition_subalgoE8ElNS0_10empty_typeEbEEZZNS1_14partition_implILS5_8ELb0ES3_jPlPS6_PKS6_NS0_5tupleIJS9_S6_EEENSD_IJSA_SA_EEENS0_18inequality_wrapperIZN2at6native12_GLOBAL__N_124unique_dim_cuda_templateIlEESt5tupleIJNSH_6TensorESM_SM_EERKSM_lbbbEUlllE0_EEPmJS6_EEE10hipError_tPvRmT3_T4_T5_T6_T7_T9_mT8_P12ihipStream_tbDpT10_ENKUlT_T0_E_clISt17integral_constantIbLb1EES1C_EEDaS17_S18_EUlS17_E_NS1_11comp_targetILNS1_3genE5ELNS1_11target_archE942ELNS1_3gpuE9ELNS1_3repE0EEENS1_30default_config_static_selectorELNS0_4arch9wavefront6targetE1EEEvT1_
                                        ; -- End function
	.section	.AMDGPU.csdata,"",@progbits
; Kernel info:
; codeLenInByte = 0
; NumSgprs: 4
; NumVgprs: 0
; NumAgprs: 0
; TotalNumVgprs: 0
; ScratchSize: 0
; MemoryBound: 0
; FloatMode: 240
; IeeeMode: 1
; LDSByteSize: 0 bytes/workgroup (compile time only)
; SGPRBlocks: 0
; VGPRBlocks: 0
; NumSGPRsForWavesPerEU: 4
; NumVGPRsForWavesPerEU: 1
; AccumOffset: 4
; Occupancy: 8
; WaveLimiterHint : 0
; COMPUTE_PGM_RSRC2:SCRATCH_EN: 0
; COMPUTE_PGM_RSRC2:USER_SGPR: 6
; COMPUTE_PGM_RSRC2:TRAP_HANDLER: 0
; COMPUTE_PGM_RSRC2:TGID_X_EN: 1
; COMPUTE_PGM_RSRC2:TGID_Y_EN: 0
; COMPUTE_PGM_RSRC2:TGID_Z_EN: 0
; COMPUTE_PGM_RSRC2:TIDIG_COMP_CNT: 0
; COMPUTE_PGM_RSRC3_GFX90A:ACCUM_OFFSET: 0
; COMPUTE_PGM_RSRC3_GFX90A:TG_SPLIT: 0
	.section	.text._ZN7rocprim17ROCPRIM_400000_NS6detail17trampoline_kernelINS0_14default_configENS1_25partition_config_selectorILNS1_17partition_subalgoE8ElNS0_10empty_typeEbEEZZNS1_14partition_implILS5_8ELb0ES3_jPlPS6_PKS6_NS0_5tupleIJS9_S6_EEENSD_IJSA_SA_EEENS0_18inequality_wrapperIZN2at6native12_GLOBAL__N_124unique_dim_cuda_templateIlEESt5tupleIJNSH_6TensorESM_SM_EERKSM_lbbbEUlllE0_EEPmJS6_EEE10hipError_tPvRmT3_T4_T5_T6_T7_T9_mT8_P12ihipStream_tbDpT10_ENKUlT_T0_E_clISt17integral_constantIbLb1EES1C_EEDaS17_S18_EUlS17_E_NS1_11comp_targetILNS1_3genE4ELNS1_11target_archE910ELNS1_3gpuE8ELNS1_3repE0EEENS1_30default_config_static_selectorELNS0_4arch9wavefront6targetE1EEEvT1_,"axG",@progbits,_ZN7rocprim17ROCPRIM_400000_NS6detail17trampoline_kernelINS0_14default_configENS1_25partition_config_selectorILNS1_17partition_subalgoE8ElNS0_10empty_typeEbEEZZNS1_14partition_implILS5_8ELb0ES3_jPlPS6_PKS6_NS0_5tupleIJS9_S6_EEENSD_IJSA_SA_EEENS0_18inequality_wrapperIZN2at6native12_GLOBAL__N_124unique_dim_cuda_templateIlEESt5tupleIJNSH_6TensorESM_SM_EERKSM_lbbbEUlllE0_EEPmJS6_EEE10hipError_tPvRmT3_T4_T5_T6_T7_T9_mT8_P12ihipStream_tbDpT10_ENKUlT_T0_E_clISt17integral_constantIbLb1EES1C_EEDaS17_S18_EUlS17_E_NS1_11comp_targetILNS1_3genE4ELNS1_11target_archE910ELNS1_3gpuE8ELNS1_3repE0EEENS1_30default_config_static_selectorELNS0_4arch9wavefront6targetE1EEEvT1_,comdat
	.globl	_ZN7rocprim17ROCPRIM_400000_NS6detail17trampoline_kernelINS0_14default_configENS1_25partition_config_selectorILNS1_17partition_subalgoE8ElNS0_10empty_typeEbEEZZNS1_14partition_implILS5_8ELb0ES3_jPlPS6_PKS6_NS0_5tupleIJS9_S6_EEENSD_IJSA_SA_EEENS0_18inequality_wrapperIZN2at6native12_GLOBAL__N_124unique_dim_cuda_templateIlEESt5tupleIJNSH_6TensorESM_SM_EERKSM_lbbbEUlllE0_EEPmJS6_EEE10hipError_tPvRmT3_T4_T5_T6_T7_T9_mT8_P12ihipStream_tbDpT10_ENKUlT_T0_E_clISt17integral_constantIbLb1EES1C_EEDaS17_S18_EUlS17_E_NS1_11comp_targetILNS1_3genE4ELNS1_11target_archE910ELNS1_3gpuE8ELNS1_3repE0EEENS1_30default_config_static_selectorELNS0_4arch9wavefront6targetE1EEEvT1_ ; -- Begin function _ZN7rocprim17ROCPRIM_400000_NS6detail17trampoline_kernelINS0_14default_configENS1_25partition_config_selectorILNS1_17partition_subalgoE8ElNS0_10empty_typeEbEEZZNS1_14partition_implILS5_8ELb0ES3_jPlPS6_PKS6_NS0_5tupleIJS9_S6_EEENSD_IJSA_SA_EEENS0_18inequality_wrapperIZN2at6native12_GLOBAL__N_124unique_dim_cuda_templateIlEESt5tupleIJNSH_6TensorESM_SM_EERKSM_lbbbEUlllE0_EEPmJS6_EEE10hipError_tPvRmT3_T4_T5_T6_T7_T9_mT8_P12ihipStream_tbDpT10_ENKUlT_T0_E_clISt17integral_constantIbLb1EES1C_EEDaS17_S18_EUlS17_E_NS1_11comp_targetILNS1_3genE4ELNS1_11target_archE910ELNS1_3gpuE8ELNS1_3repE0EEENS1_30default_config_static_selectorELNS0_4arch9wavefront6targetE1EEEvT1_
	.p2align	8
	.type	_ZN7rocprim17ROCPRIM_400000_NS6detail17trampoline_kernelINS0_14default_configENS1_25partition_config_selectorILNS1_17partition_subalgoE8ElNS0_10empty_typeEbEEZZNS1_14partition_implILS5_8ELb0ES3_jPlPS6_PKS6_NS0_5tupleIJS9_S6_EEENSD_IJSA_SA_EEENS0_18inequality_wrapperIZN2at6native12_GLOBAL__N_124unique_dim_cuda_templateIlEESt5tupleIJNSH_6TensorESM_SM_EERKSM_lbbbEUlllE0_EEPmJS6_EEE10hipError_tPvRmT3_T4_T5_T6_T7_T9_mT8_P12ihipStream_tbDpT10_ENKUlT_T0_E_clISt17integral_constantIbLb1EES1C_EEDaS17_S18_EUlS17_E_NS1_11comp_targetILNS1_3genE4ELNS1_11target_archE910ELNS1_3gpuE8ELNS1_3repE0EEENS1_30default_config_static_selectorELNS0_4arch9wavefront6targetE1EEEvT1_,@function
_ZN7rocprim17ROCPRIM_400000_NS6detail17trampoline_kernelINS0_14default_configENS1_25partition_config_selectorILNS1_17partition_subalgoE8ElNS0_10empty_typeEbEEZZNS1_14partition_implILS5_8ELb0ES3_jPlPS6_PKS6_NS0_5tupleIJS9_S6_EEENSD_IJSA_SA_EEENS0_18inequality_wrapperIZN2at6native12_GLOBAL__N_124unique_dim_cuda_templateIlEESt5tupleIJNSH_6TensorESM_SM_EERKSM_lbbbEUlllE0_EEPmJS6_EEE10hipError_tPvRmT3_T4_T5_T6_T7_T9_mT8_P12ihipStream_tbDpT10_ENKUlT_T0_E_clISt17integral_constantIbLb1EES1C_EEDaS17_S18_EUlS17_E_NS1_11comp_targetILNS1_3genE4ELNS1_11target_archE910ELNS1_3gpuE8ELNS1_3repE0EEENS1_30default_config_static_selectorELNS0_4arch9wavefront6targetE1EEEvT1_: ; @_ZN7rocprim17ROCPRIM_400000_NS6detail17trampoline_kernelINS0_14default_configENS1_25partition_config_selectorILNS1_17partition_subalgoE8ElNS0_10empty_typeEbEEZZNS1_14partition_implILS5_8ELb0ES3_jPlPS6_PKS6_NS0_5tupleIJS9_S6_EEENSD_IJSA_SA_EEENS0_18inequality_wrapperIZN2at6native12_GLOBAL__N_124unique_dim_cuda_templateIlEESt5tupleIJNSH_6TensorESM_SM_EERKSM_lbbbEUlllE0_EEPmJS6_EEE10hipError_tPvRmT3_T4_T5_T6_T7_T9_mT8_P12ihipStream_tbDpT10_ENKUlT_T0_E_clISt17integral_constantIbLb1EES1C_EEDaS17_S18_EUlS17_E_NS1_11comp_targetILNS1_3genE4ELNS1_11target_archE910ELNS1_3gpuE8ELNS1_3repE0EEENS1_30default_config_static_selectorELNS0_4arch9wavefront6targetE1EEEvT1_
; %bb.0:
	s_load_dwordx2 s[28:29], s[4:5], 0x28
	s_load_dwordx8 s[20:27], s[4:5], 0x40
	s_load_dwordx4 s[16:19], s[4:5], 0x60
	v_cmp_ne_u32_e64 s[2:3], 0, v0
	v_cmp_eq_u32_e64 s[0:1], 0, v0
	s_and_saveexec_b64 s[6:7], s[0:1]
	s_cbranch_execz .LBB573_4
; %bb.1:
	s_mov_b64 s[10:11], exec
	v_mbcnt_lo_u32_b32 v1, s10, 0
	v_mbcnt_hi_u32_b32 v1, s11, v1
	v_cmp_eq_u32_e32 vcc, 0, v1
                                        ; implicit-def: $vgpr2
	s_and_saveexec_b64 s[8:9], vcc
	s_cbranch_execz .LBB573_3
; %bb.2:
	s_load_dwordx2 s[12:13], s[4:5], 0x78
	s_bcnt1_i32_b64 s10, s[10:11]
	v_mov_b32_e32 v2, 0
	v_mov_b32_e32 v3, s10
	s_waitcnt lgkmcnt(0)
	global_atomic_add v2, v2, v3, s[12:13] glc
.LBB573_3:
	s_or_b64 exec, exec, s[8:9]
	s_waitcnt vmcnt(0)
	v_readfirstlane_b32 s8, v2
	v_add_u32_e32 v1, s8, v1
	v_mov_b32_e32 v2, 0
	ds_write_b32 v2, v1
.LBB573_4:
	s_or_b64 exec, exec, s[6:7]
	v_mov_b32_e32 v3, 0
	s_load_dwordx4 s[8:11], s[4:5], 0x8
	s_load_dword s12, s[4:5], 0x70
	s_waitcnt lgkmcnt(0)
	s_barrier
	ds_read_b32 v1, v3
	s_waitcnt lgkmcnt(0)
	s_barrier
	global_load_dwordx2 v[4:5], v3, s[22:23]
	s_lshl_b64 s[4:5], s[10:11], 3
	s_mul_i32 s14, s12, 0x500
	s_add_u32 s8, s8, s4
	s_addc_u32 s4, s9, s5
	s_add_i32 s5, s14, s10
	s_add_i32 s12, s12, -1
	s_sub_i32 s48, s24, s5
	v_mov_b32_e32 v8, s4
	s_add_u32 s4, s10, s14
	s_addc_u32 s5, s11, 0
	v_readfirstlane_b32 s33, v1
	v_mov_b32_e32 v6, s24
	v_mov_b32_e32 v7, s25
	s_movk_i32 s13, 0x500
	s_cmp_eq_u32 s33, s12
	v_mul_lo_u32 v2, v1, s13
	v_cmp_ge_u64_e32 vcc, s[4:5], v[6:7]
	s_cselect_b64 s[24:25], -1, 0
	v_lshlrev_b64 v[2:3], 3, v[2:3]
	s_and_b64 s[12:13], vcc, s[24:25]
	v_add_co_u32_e64 v18, s[4:5], s8, v2
	s_xor_b64 s[30:31], s[12:13], -1
	s_mov_b64 s[6:7], -1
	v_addc_co_u32_e64 v19, s[4:5], v8, v3, s[4:5]
	s_and_b64 vcc, exec, s[30:31]
	s_waitcnt vmcnt(0)
	v_readfirstlane_b32 s22, v4
	v_readfirstlane_b32 s23, v5
	s_cbranch_vccz .LBB573_6
; %bb.5:
	v_lshlrev_b32_e32 v1, 3, v0
	v_add_co_u32_e32 v12, vcc, v18, v1
	v_addc_co_u32_e32 v13, vcc, 0, v19, vcc
	v_add_co_u32_e32 v2, vcc, 0x1000, v12
	v_readfirstlane_b32 s4, v18
	v_readfirstlane_b32 s5, v19
	v_addc_co_u32_e32 v3, vcc, 0, v13, vcc
	s_nop 3
	global_load_dwordx2 v[4:5], v1, s[4:5]
	global_load_dwordx2 v[6:7], v1, s[4:5] offset:2048
	global_load_dwordx2 v[8:9], v[2:3], off
	global_load_dwordx2 v[10:11], v[2:3], off offset:2048
	v_add_co_u32_e32 v2, vcc, 0x2000, v12
	v_addc_co_u32_e32 v3, vcc, 0, v13, vcc
	global_load_dwordx2 v[2:3], v[2:3], off
	s_mov_b64 s[6:7], 0
	s_waitcnt vmcnt(3)
	ds_write2st64_b64 v1, v[4:5], v[6:7] offset1:4
	s_waitcnt vmcnt(1)
	ds_write2st64_b64 v1, v[8:9], v[10:11] offset0:8 offset1:12
	s_waitcnt vmcnt(0)
	ds_write_b64 v1, v[2:3] offset:8192
	s_waitcnt lgkmcnt(0)
	s_barrier
.LBB573_6:
	s_andn2_b64 vcc, exec, s[6:7]
	s_addk_i32 s48, 0x500
	s_cbranch_vccnz .LBB573_18
; %bb.7:
	v_cmp_gt_u32_e32 vcc, s48, v0
                                        ; implicit-def: $vgpr2_vgpr3_vgpr4_vgpr5_vgpr6_vgpr7_vgpr8_vgpr9_vgpr10_vgpr11_vgpr12_vgpr13_vgpr14_vgpr15_vgpr16_vgpr17
	s_and_saveexec_b64 s[4:5], vcc
	s_cbranch_execz .LBB573_9
; %bb.8:
	v_lshlrev_b32_e32 v1, 3, v0
	v_readfirstlane_b32 s6, v18
	v_readfirstlane_b32 s7, v19
	s_nop 4
	global_load_dwordx2 v[2:3], v1, s[6:7]
.LBB573_9:
	s_or_b64 exec, exec, s[4:5]
	v_or_b32_e32 v1, 0x100, v0
	v_cmp_gt_u32_e32 vcc, s48, v1
	s_and_saveexec_b64 s[4:5], vcc
	s_cbranch_execz .LBB573_11
; %bb.10:
	v_lshlrev_b32_e32 v1, 3, v0
	v_readfirstlane_b32 s6, v18
	v_readfirstlane_b32 s7, v19
	s_nop 4
	global_load_dwordx2 v[4:5], v1, s[6:7] offset:2048
.LBB573_11:
	s_or_b64 exec, exec, s[4:5]
	v_or_b32_e32 v1, 0x200, v0
	v_cmp_gt_u32_e32 vcc, s48, v1
	s_and_saveexec_b64 s[4:5], vcc
	s_cbranch_execz .LBB573_13
; %bb.12:
	v_lshlrev_b32_e32 v1, 3, v1
	v_readfirstlane_b32 s6, v18
	v_readfirstlane_b32 s7, v19
	s_nop 4
	global_load_dwordx2 v[6:7], v1, s[6:7]
.LBB573_13:
	s_or_b64 exec, exec, s[4:5]
	v_or_b32_e32 v1, 0x300, v0
	v_cmp_gt_u32_e32 vcc, s48, v1
	s_and_saveexec_b64 s[4:5], vcc
	s_cbranch_execz .LBB573_15
; %bb.14:
	v_lshlrev_b32_e32 v1, 3, v1
	v_readfirstlane_b32 s6, v18
	v_readfirstlane_b32 s7, v19
	s_nop 4
	global_load_dwordx2 v[8:9], v1, s[6:7]
.LBB573_15:
	;; [unrolled: 12-line block ×3, first 2 shown]
	s_or_b64 exec, exec, s[4:5]
	v_lshlrev_b32_e32 v1, 3, v0
	s_waitcnt vmcnt(0)
	ds_write2st64_b64 v1, v[2:3], v[4:5] offset1:4
	ds_write2st64_b64 v1, v[6:7], v[8:9] offset0:8 offset1:12
	ds_write_b64 v1, v[10:11] offset:8192
	s_waitcnt lgkmcnt(0)
	s_barrier
.LBB573_18:
	v_mul_u32_u24_e32 v1, 5, v0
	v_lshlrev_b32_e32 v26, 3, v1
	ds_read2_b64 v[6:9], v26 offset1:1
	ds_read2_b64 v[2:5], v26 offset0:2 offset1:3
	ds_read_b64 v[10:11], v26 offset:32
	s_cmp_lg_u32 s33, 0
	s_cselect_b64 s[34:35], -1, 0
	s_cmp_lg_u64 s[10:11], 0
	s_cselect_b64 s[4:5], -1, 0
	s_or_b64 s[4:5], s[4:5], s[34:35]
	v_mad_u32_u24 v24, v0, 5, 1
	v_mad_u32_u24 v22, v0, 5, 2
	;; [unrolled: 1-line block ×4, first 2 shown]
	s_mov_b64 s[14:15], 0
	s_and_b64 vcc, exec, s[4:5]
	v_cmp_gt_i64_e64 s[4:5], s[26:27], 0
	s_waitcnt lgkmcnt(0)
	s_barrier
	s_cbranch_vccz .LBB573_27
; %bb.19:
	global_load_dwordx2 v[14:15], v[18:19], off offset:-8
	v_cndmask_b32_e64 v12, 0, 1, s[4:5]
	v_lshlrev_b32_e32 v27, 3, v0
	s_mov_b64 s[10:11], 0
	s_and_b64 vcc, exec, s[30:31]
	v_cmp_ne_u32_e64 s[4:5], 1, v12
	ds_write_b64 v27, v[10:11]
	s_cbranch_vccz .LBB573_28
; %bb.20:
	v_mul_lo_u32 v16, v5, s26
	v_mul_lo_u32 v17, v4, s27
	v_mad_u64_u32 v[12:13], s[6:7], v4, s26, 0
	v_add3_u32 v13, v13, v17, v16
	s_and_b64 vcc, exec, s[4:5]
	v_lshlrev_b64 v[12:13], 3, v[12:13]
	s_cbranch_vccnz .LBB573_31
; %bb.21:
	v_mul_lo_u32 v18, v11, s26
	v_mul_lo_u32 v19, v10, s27
	v_mad_u64_u32 v[16:17], s[6:7], v10, s26, 0
	v_add3_u32 v17, v17, v19, v18
	v_mov_b32_e32 v19, s17
	v_add_co_u32_e32 v18, vcc, s16, v12
	v_addc_co_u32_e64 v19, s[6:7], v19, v13, vcc
	v_lshlrev_b64 v[16:17], 3, v[16:17]
	v_mov_b32_e32 v21, s17
	v_add_co_u32_e64 v20, s[6:7], s16, v16
	v_addc_co_u32_e64 v21, s[8:9], v21, v17, s[6:7]
	global_load_dwordx2 v[28:29], v[18:19], off
	global_load_dwordx2 v[30:31], v[20:21], off
	s_mov_b64 s[10:11], -1
	s_waitcnt vmcnt(0)
	v_cmp_eq_u64_e64 s[8:9], v[28:29], v[30:31]
	s_and_saveexec_b64 s[14:15], s[8:9]
	s_cbranch_execz .LBB573_30
; %bb.22:
	v_mov_b32_e32 v16, s17
	v_addc_co_u32_e64 v17, s[6:7], v17, v16, s[6:7]
	v_add_co_u32_e64 v16, s[6:7], 8, v20
	v_mov_b32_e32 v19, s17
	v_addc_co_u32_e64 v17, s[6:7], 0, v17, s[6:7]
	v_addc_co_u32_e32 v19, vcc, v13, v19, vcc
	v_add_co_u32_e32 v18, vcc, 8, v18
	s_add_u32 s6, s26, -1
	v_addc_co_u32_e32 v19, vcc, 0, v19, vcc
	s_addc_u32 s7, s27, -1
	s_mov_b64 s[8:9], 0
	s_mov_b64 s[36:37], 0
                                        ; implicit-def: $sgpr10_sgpr11
	s_branch .LBB573_25
.LBB573_23:                             ;   in Loop: Header=BB573_25 Depth=1
	global_load_dwordx2 v[20:21], v[18:19], off
	global_load_dwordx2 v[28:29], v[16:17], off
	v_add_co_u32_e32 v16, vcc, 8, v16
	v_addc_co_u32_e32 v17, vcc, 0, v17, vcc
	v_add_co_u32_e32 v18, vcc, 8, v18
	v_addc_co_u32_e32 v19, vcc, 0, v19, vcc
	s_add_u32 s36, s36, 1
	s_addc_u32 s37, s37, 0
	s_andn2_b64 s[10:11], s[10:11], exec
	s_waitcnt vmcnt(0)
	v_cmp_ne_u64_e32 vcc, v[20:21], v[28:29]
	s_and_b64 s[38:39], vcc, exec
	s_or_b64 s[10:11], s[10:11], s[38:39]
.LBB573_24:                             ;   in Loop: Header=BB573_25 Depth=1
	s_and_b64 s[38:39], exec, s[10:11]
	s_or_b64 s[8:9], s[38:39], s[8:9]
	v_pk_mov_b32 v[20:21], s[36:37], s[36:37] op_sel:[0,1]
	s_andn2_b64 exec, exec, s[8:9]
	s_cbranch_execz .LBB573_29
.LBB573_25:                             ; =>This Inner Loop Header: Depth=1
	s_or_b64 s[10:11], s[10:11], exec
	s_cmp_eq_u64 s[6:7], s[36:37]
	s_cbranch_scc0 .LBB573_23
; %bb.26:                               ;   in Loop: Header=BB573_25 Depth=1
                                        ; implicit-def: $vgpr16_vgpr17
                                        ; implicit-def: $vgpr18_vgpr19
	s_mov_b64 s[36:37], s[26:27]
	s_branch .LBB573_24
.LBB573_27:
                                        ; implicit-def: $sgpr36_sgpr37
                                        ; implicit-def: $vgpr13
                                        ; implicit-def: $vgpr16
	s_branch .LBB573_129
.LBB573_28:
                                        ; implicit-def: $sgpr36_sgpr37
                                        ; implicit-def: $vgpr13
                                        ; implicit-def: $vgpr16
	s_cbranch_execnz .LBB573_70
	s_branch .LBB573_128
.LBB573_29:
	s_or_b64 exec, exec, s[8:9]
	v_cmp_gt_i64_e32 vcc, s[26:27], v[20:21]
	s_orn2_b64 s[10:11], vcc, exec
.LBB573_30:
	s_or_b64 exec, exec, s[14:15]
.LBB573_31:
	v_mul_lo_u32 v18, v3, s26
	v_mul_lo_u32 v19, v2, s27
	v_mad_u64_u32 v[16:17], s[6:7], v2, s26, 0
	v_add3_u32 v17, v17, v19, v18
	s_mov_b64 s[14:15], 0
	s_and_b64 vcc, exec, s[4:5]
	v_lshlrev_b64 v[18:19], 3, v[16:17]
	s_mov_b64 s[36:37], 0
	s_cbranch_vccnz .LBB573_40
; %bb.32:
	v_mov_b32_e32 v17, s17
	v_add_co_u32_e32 v16, vcc, s16, v18
	v_addc_co_u32_e64 v17, s[6:7], v17, v19, vcc
	v_mov_b32_e32 v21, s17
	v_add_co_u32_e64 v20, s[6:7], s16, v12
	v_addc_co_u32_e64 v21, s[8:9], v21, v13, s[6:7]
	global_load_dwordx2 v[28:29], v[16:17], off
	global_load_dwordx2 v[30:31], v[20:21], off
	s_mov_b64 s[36:37], -1
	s_waitcnt vmcnt(0)
	v_cmp_eq_u64_e64 s[8:9], v[28:29], v[30:31]
	s_and_saveexec_b64 s[38:39], s[8:9]
	s_cbranch_execz .LBB573_39
; %bb.33:
	v_mov_b32_e32 v12, s17
	v_addc_co_u32_e64 v13, s[6:7], v13, v12, s[6:7]
	v_add_co_u32_e64 v12, s[6:7], 8, v20
	v_mov_b32_e32 v17, s17
	v_addc_co_u32_e64 v13, s[6:7], 0, v13, s[6:7]
	v_addc_co_u32_e32 v17, vcc, v19, v17, vcc
	v_add_co_u32_e32 v16, vcc, 8, v16
	s_add_u32 s6, s26, -1
	v_addc_co_u32_e32 v17, vcc, 0, v17, vcc
	s_addc_u32 s7, s27, -1
	s_mov_b64 s[8:9], 0
	s_mov_b64 s[40:41], 0
                                        ; implicit-def: $sgpr36_sgpr37
	s_branch .LBB573_36
.LBB573_34:                             ;   in Loop: Header=BB573_36 Depth=1
	global_load_dwordx2 v[20:21], v[16:17], off
	global_load_dwordx2 v[28:29], v[12:13], off
	v_add_co_u32_e32 v12, vcc, 8, v12
	v_addc_co_u32_e32 v13, vcc, 0, v13, vcc
	v_add_co_u32_e32 v16, vcc, 8, v16
	v_addc_co_u32_e32 v17, vcc, 0, v17, vcc
	s_add_u32 s40, s40, 1
	s_addc_u32 s41, s41, 0
	s_andn2_b64 s[36:37], s[36:37], exec
	s_waitcnt vmcnt(0)
	v_cmp_ne_u64_e32 vcc, v[20:21], v[28:29]
	s_and_b64 s[42:43], vcc, exec
	s_or_b64 s[36:37], s[36:37], s[42:43]
.LBB573_35:                             ;   in Loop: Header=BB573_36 Depth=1
	s_and_b64 s[42:43], exec, s[36:37]
	s_or_b64 s[8:9], s[42:43], s[8:9]
	v_pk_mov_b32 v[20:21], s[40:41], s[40:41] op_sel:[0,1]
	s_andn2_b64 exec, exec, s[8:9]
	s_cbranch_execz .LBB573_38
.LBB573_36:                             ; =>This Inner Loop Header: Depth=1
	s_or_b64 s[36:37], s[36:37], exec
	s_cmp_eq_u64 s[6:7], s[40:41]
	s_cbranch_scc0 .LBB573_34
; %bb.37:                               ;   in Loop: Header=BB573_36 Depth=1
                                        ; implicit-def: $vgpr12_vgpr13
                                        ; implicit-def: $vgpr16_vgpr17
	s_mov_b64 s[40:41], s[26:27]
	s_branch .LBB573_35
.LBB573_38:
	s_or_b64 exec, exec, s[8:9]
	v_cmp_gt_i64_e32 vcc, s[26:27], v[20:21]
	s_orn2_b64 s[36:37], vcc, exec
.LBB573_39:
	s_or_b64 exec, exec, s[38:39]
.LBB573_40:
	v_mul_lo_u32 v16, v9, s26
	v_mul_lo_u32 v17, v8, s27
	v_mad_u64_u32 v[12:13], s[6:7], v8, s26, 0
	v_add3_u32 v13, v13, v17, v16
	s_and_b64 vcc, exec, s[4:5]
	v_lshlrev_b64 v[16:17], 3, v[12:13]
	s_cbranch_vccnz .LBB573_49
; %bb.41:
	v_mov_b32_e32 v12, s17
	v_add_co_u32_e32 v20, vcc, s16, v16
	v_addc_co_u32_e64 v21, s[6:7], v12, v17, vcc
	v_mov_b32_e32 v13, s17
	v_add_co_u32_e64 v12, s[6:7], s16, v18
	v_addc_co_u32_e64 v13, s[8:9], v13, v19, s[6:7]
	global_load_dwordx2 v[28:29], v[20:21], off
	global_load_dwordx2 v[30:31], v[12:13], off
	s_mov_b64 s[14:15], -1
	s_waitcnt vmcnt(0)
	v_cmp_eq_u64_e64 s[8:9], v[28:29], v[30:31]
	s_and_saveexec_b64 s[38:39], s[8:9]
	s_cbranch_execz .LBB573_48
; %bb.42:
	v_mov_b32_e32 v13, s17
	v_addc_co_u32_e64 v13, s[6:7], v19, v13, s[6:7]
	v_add_co_u32_e64 v12, s[6:7], 8, v12
	v_mov_b32_e32 v18, s17
	v_addc_co_u32_e64 v13, s[6:7], 0, v13, s[6:7]
	v_addc_co_u32_e32 v19, vcc, v17, v18, vcc
	v_add_co_u32_e32 v18, vcc, 8, v20
	s_add_u32 s6, s26, -1
	v_addc_co_u32_e32 v19, vcc, 0, v19, vcc
	s_addc_u32 s7, s27, -1
	s_mov_b64 s[8:9], 0
	s_mov_b64 s[40:41], 0
                                        ; implicit-def: $sgpr14_sgpr15
	s_branch .LBB573_45
.LBB573_43:                             ;   in Loop: Header=BB573_45 Depth=1
	global_load_dwordx2 v[20:21], v[18:19], off
	global_load_dwordx2 v[28:29], v[12:13], off
	v_add_co_u32_e32 v12, vcc, 8, v12
	v_addc_co_u32_e32 v13, vcc, 0, v13, vcc
	v_add_co_u32_e32 v18, vcc, 8, v18
	v_addc_co_u32_e32 v19, vcc, 0, v19, vcc
	s_add_u32 s40, s40, 1
	s_addc_u32 s41, s41, 0
	s_andn2_b64 s[14:15], s[14:15], exec
	s_waitcnt vmcnt(0)
	v_cmp_ne_u64_e32 vcc, v[20:21], v[28:29]
	s_and_b64 s[42:43], vcc, exec
	s_or_b64 s[14:15], s[14:15], s[42:43]
.LBB573_44:                             ;   in Loop: Header=BB573_45 Depth=1
	s_and_b64 s[42:43], exec, s[14:15]
	s_or_b64 s[8:9], s[42:43], s[8:9]
	v_pk_mov_b32 v[20:21], s[40:41], s[40:41] op_sel:[0,1]
	s_andn2_b64 exec, exec, s[8:9]
	s_cbranch_execz .LBB573_47
.LBB573_45:                             ; =>This Inner Loop Header: Depth=1
	s_or_b64 s[14:15], s[14:15], exec
	s_cmp_eq_u64 s[6:7], s[40:41]
	s_cbranch_scc0 .LBB573_43
; %bb.46:                               ;   in Loop: Header=BB573_45 Depth=1
                                        ; implicit-def: $vgpr12_vgpr13
                                        ; implicit-def: $vgpr18_vgpr19
	s_mov_b64 s[40:41], s[26:27]
	s_branch .LBB573_44
.LBB573_47:
	s_or_b64 exec, exec, s[8:9]
	v_cmp_gt_i64_e32 vcc, s[26:27], v[20:21]
	s_orn2_b64 s[14:15], vcc, exec
.LBB573_48:
	s_or_b64 exec, exec, s[38:39]
.LBB573_49:
	v_mul_lo_u32 v18, v7, s26
	v_mul_lo_u32 v19, v6, s27
	v_mad_u64_u32 v[12:13], s[6:7], v6, s26, 0
	v_add3_u32 v13, v13, v19, v18
	s_mov_b64 s[40:41], 0
	s_and_b64 vcc, exec, s[4:5]
	v_lshlrev_b64 v[12:13], 3, v[12:13]
	s_cbranch_vccnz .LBB573_58
; %bb.50:
	v_mov_b32_e32 v19, s17
	v_add_co_u32_e32 v18, vcc, s16, v12
	v_addc_co_u32_e64 v19, s[6:7], v19, v13, vcc
	v_mov_b32_e32 v21, s17
	v_add_co_u32_e64 v20, s[6:7], s16, v16
	v_addc_co_u32_e64 v21, s[8:9], v21, v17, s[6:7]
	global_load_dwordx2 v[28:29], v[18:19], off
	global_load_dwordx2 v[30:31], v[20:21], off
	s_mov_b64 s[40:41], -1
	s_waitcnt vmcnt(0)
	v_cmp_eq_u64_e64 s[8:9], v[28:29], v[30:31]
	s_and_saveexec_b64 s[38:39], s[8:9]
	s_cbranch_execz .LBB573_57
; %bb.51:
	v_mov_b32_e32 v16, s17
	v_addc_co_u32_e64 v17, s[6:7], v17, v16, s[6:7]
	v_add_co_u32_e64 v16, s[6:7], 8, v20
	v_mov_b32_e32 v19, s17
	v_addc_co_u32_e64 v17, s[6:7], 0, v17, s[6:7]
	v_addc_co_u32_e32 v19, vcc, v13, v19, vcc
	v_add_co_u32_e32 v18, vcc, 8, v18
	s_add_u32 s6, s26, -1
	v_addc_co_u32_e32 v19, vcc, 0, v19, vcc
	s_addc_u32 s7, s27, -1
	s_mov_b64 s[8:9], 0
	s_mov_b64 s[42:43], 0
                                        ; implicit-def: $sgpr40_sgpr41
	s_branch .LBB573_54
.LBB573_52:                             ;   in Loop: Header=BB573_54 Depth=1
	global_load_dwordx2 v[20:21], v[18:19], off
	global_load_dwordx2 v[28:29], v[16:17], off
	v_add_co_u32_e32 v16, vcc, 8, v16
	v_addc_co_u32_e32 v17, vcc, 0, v17, vcc
	v_add_co_u32_e32 v18, vcc, 8, v18
	v_addc_co_u32_e32 v19, vcc, 0, v19, vcc
	s_add_u32 s42, s42, 1
	s_addc_u32 s43, s43, 0
	s_andn2_b64 s[40:41], s[40:41], exec
	s_waitcnt vmcnt(0)
	v_cmp_ne_u64_e32 vcc, v[20:21], v[28:29]
	s_and_b64 s[44:45], vcc, exec
	s_or_b64 s[40:41], s[40:41], s[44:45]
.LBB573_53:                             ;   in Loop: Header=BB573_54 Depth=1
	s_and_b64 s[44:45], exec, s[40:41]
	s_or_b64 s[8:9], s[44:45], s[8:9]
	v_pk_mov_b32 v[20:21], s[42:43], s[42:43] op_sel:[0,1]
	s_andn2_b64 exec, exec, s[8:9]
	s_cbranch_execz .LBB573_56
.LBB573_54:                             ; =>This Inner Loop Header: Depth=1
	s_or_b64 s[40:41], s[40:41], exec
	s_cmp_eq_u64 s[6:7], s[42:43]
	s_cbranch_scc0 .LBB573_52
; %bb.55:                               ;   in Loop: Header=BB573_54 Depth=1
                                        ; implicit-def: $vgpr16_vgpr17
                                        ; implicit-def: $vgpr18_vgpr19
	s_mov_b64 s[42:43], s[26:27]
	s_branch .LBB573_53
.LBB573_56:
	s_or_b64 exec, exec, s[8:9]
	v_cmp_gt_i64_e32 vcc, s[26:27], v[20:21]
	s_orn2_b64 s[40:41], vcc, exec
.LBB573_57:
	s_or_b64 exec, exec, s[38:39]
.LBB573_58:
	s_waitcnt vmcnt(0)
	v_pk_mov_b32 v[16:17], v[14:15], v[14:15] op_sel:[0,1]
	s_waitcnt lgkmcnt(0)
	s_barrier
	s_and_saveexec_b64 s[6:7], s[2:3]
	s_cbranch_execz .LBB573_60
; %bb.59:
	v_add_u32_e32 v16, -8, v27
	ds_read_b64 v[16:17], v16
.LBB573_60:
	s_or_b64 exec, exec, s[6:7]
	v_cndmask_b32_e64 v19, 0, 1, s[36:37]
	v_cndmask_b32_e64 v18, 0, 1, s[14:15]
	;; [unrolled: 1-line block ×3, first 2 shown]
	v_lshlrev_b16_e32 v19, 8, v19
	v_lshlrev_b16_e32 v28, 8, v20
	v_or_b32_sdwa v29, v18, v19 dst_sel:WORD_1 dst_unused:UNUSED_PAD src0_sel:DWORD src1_sel:DWORD
	s_mov_b64 s[14:15], 0
	s_and_b64 vcc, exec, s[4:5]
	s_mov_b64 s[36:37], 0
	s_cbranch_vccnz .LBB573_69
; %bb.61:
	s_waitcnt lgkmcnt(0)
	v_mul_lo_u32 v18, v17, s26
	v_mul_lo_u32 v19, v16, s27
	v_mad_u64_u32 v[16:17], s[6:7], v16, s26, 0
	v_add3_u32 v17, v17, v19, v18
	v_lshlrev_b64 v[16:17], 3, v[16:17]
	v_mov_b32_e32 v19, s17
	v_add_co_u32_e32 v18, vcc, s16, v16
	v_addc_co_u32_e64 v19, s[6:7], v19, v17, vcc
	v_mov_b32_e32 v16, s17
	v_add_co_u32_e64 v20, s[6:7], s16, v12
	v_addc_co_u32_e64 v21, s[8:9], v16, v13, s[6:7]
	global_load_dwordx2 v[30:31], v[18:19], off
	global_load_dwordx2 v[32:33], v[20:21], off
	s_mov_b64 s[36:37], -1
	s_waitcnt vmcnt(0)
	v_cmp_eq_u64_e64 s[8:9], v[30:31], v[32:33]
	s_and_saveexec_b64 s[38:39], s[8:9]
	s_cbranch_execz .LBB573_68
; %bb.62:
	v_mov_b32_e32 v12, s17
	v_addc_co_u32_e64 v13, s[6:7], v13, v12, s[6:7]
	v_add_co_u32_e64 v12, s[6:7], 8, v20
	v_mov_b32_e32 v16, s17
	v_addc_co_u32_e64 v13, s[6:7], 0, v13, s[6:7]
	v_addc_co_u32_e32 v17, vcc, v17, v16, vcc
	v_add_co_u32_e32 v16, vcc, 8, v18
	s_add_u32 s6, s26, -1
	v_addc_co_u32_e32 v17, vcc, 0, v17, vcc
	s_addc_u32 s7, s27, -1
	s_mov_b64 s[8:9], 0
	s_mov_b64 s[40:41], 0
                                        ; implicit-def: $sgpr36_sgpr37
	s_branch .LBB573_65
.LBB573_63:                             ;   in Loop: Header=BB573_65 Depth=1
	global_load_dwordx2 v[18:19], v[16:17], off
	global_load_dwordx2 v[20:21], v[12:13], off
	v_add_co_u32_e32 v12, vcc, 8, v12
	v_addc_co_u32_e32 v13, vcc, 0, v13, vcc
	v_add_co_u32_e32 v16, vcc, 8, v16
	v_addc_co_u32_e32 v17, vcc, 0, v17, vcc
	s_add_u32 s40, s40, 1
	s_addc_u32 s41, s41, 0
	s_andn2_b64 s[36:37], s[36:37], exec
	s_waitcnt vmcnt(0)
	v_cmp_ne_u64_e32 vcc, v[18:19], v[20:21]
	s_and_b64 s[42:43], vcc, exec
	s_or_b64 s[36:37], s[36:37], s[42:43]
.LBB573_64:                             ;   in Loop: Header=BB573_65 Depth=1
	s_and_b64 s[42:43], exec, s[36:37]
	s_or_b64 s[8:9], s[42:43], s[8:9]
	v_pk_mov_b32 v[18:19], s[40:41], s[40:41] op_sel:[0,1]
	s_andn2_b64 exec, exec, s[8:9]
	s_cbranch_execz .LBB573_67
.LBB573_65:                             ; =>This Inner Loop Header: Depth=1
	s_or_b64 s[36:37], s[36:37], exec
	s_cmp_eq_u64 s[6:7], s[40:41]
	s_cbranch_scc0 .LBB573_63
; %bb.66:                               ;   in Loop: Header=BB573_65 Depth=1
                                        ; implicit-def: $vgpr12_vgpr13
                                        ; implicit-def: $vgpr16_vgpr17
	s_mov_b64 s[40:41], s[26:27]
	s_branch .LBB573_64
.LBB573_67:
	s_or_b64 exec, exec, s[8:9]
	v_cmp_gt_i64_e32 vcc, s[26:27], v[18:19]
	s_orn2_b64 s[36:37], vcc, exec
.LBB573_68:
	s_or_b64 exec, exec, s[38:39]
.LBB573_69:
	v_cndmask_b32_e64 v13, 0, 1, s[10:11]
	s_waitcnt lgkmcnt(0)
	v_or_b32_e32 v16, v28, v29
	s_and_b64 vcc, exec, s[14:15]
	s_cbranch_vccz .LBB573_128
.LBB573_70:
	v_cmp_gt_u32_e32 vcc, s48, v23
	s_mov_b64 s[14:15], 0
	s_mov_b64 s[10:11], 0
	s_and_saveexec_b64 s[36:37], vcc
	s_cbranch_execz .LBB573_81
; %bb.71:
	s_and_b64 vcc, exec, s[4:5]
	s_mov_b64 s[38:39], 0
	s_cbranch_vccnz .LBB573_80
; %bb.72:
	v_mul_lo_u32 v16, v5, s26
	v_mul_lo_u32 v17, v4, s27
	v_mad_u64_u32 v[12:13], s[6:7], v4, s26, 0
	v_add3_u32 v13, v13, v17, v16
	v_mul_lo_u32 v16, v11, s26
	v_mul_lo_u32 v17, v10, s27
	v_mad_u64_u32 v[20:21], s[6:7], v10, s26, 0
	v_add3_u32 v21, v21, v17, v16
	v_lshlrev_b64 v[16:17], 3, v[12:13]
	v_mov_b32_e32 v12, s17
	v_add_co_u32_e32 v18, vcc, s16, v16
	v_addc_co_u32_e64 v19, s[6:7], v12, v17, vcc
	v_lshlrev_b64 v[12:13], 3, v[20:21]
	v_mov_b32_e32 v16, s17
	v_add_co_u32_e64 v20, s[6:7], s16, v12
	v_addc_co_u32_e64 v21, s[8:9], v16, v13, s[6:7]
	global_load_dwordx2 v[28:29], v[18:19], off
	global_load_dwordx2 v[30:31], v[20:21], off
	s_mov_b64 s[38:39], -1
	s_waitcnt vmcnt(0)
	v_cmp_eq_u64_e64 s[8:9], v[28:29], v[30:31]
	s_and_saveexec_b64 s[10:11], s[8:9]
	s_cbranch_execz .LBB573_79
; %bb.73:
	v_mov_b32_e32 v12, s17
	v_addc_co_u32_e64 v13, s[6:7], v13, v12, s[6:7]
	v_add_co_u32_e64 v12, s[6:7], 8, v20
	v_mov_b32_e32 v16, s17
	v_addc_co_u32_e64 v13, s[6:7], 0, v13, s[6:7]
	v_addc_co_u32_e32 v17, vcc, v17, v16, vcc
	v_add_co_u32_e32 v16, vcc, 8, v18
	s_add_u32 s6, s26, -1
	v_addc_co_u32_e32 v17, vcc, 0, v17, vcc
	s_addc_u32 s7, s27, -1
	s_mov_b64 s[8:9], 0
	s_mov_b64 s[40:41], 0
                                        ; implicit-def: $sgpr38_sgpr39
	s_branch .LBB573_76
.LBB573_74:                             ;   in Loop: Header=BB573_76 Depth=1
	global_load_dwordx2 v[18:19], v[16:17], off
	global_load_dwordx2 v[20:21], v[12:13], off
	v_add_co_u32_e32 v12, vcc, 8, v12
	v_addc_co_u32_e32 v13, vcc, 0, v13, vcc
	v_add_co_u32_e32 v16, vcc, 8, v16
	v_addc_co_u32_e32 v17, vcc, 0, v17, vcc
	s_add_u32 s40, s40, 1
	s_addc_u32 s41, s41, 0
	s_andn2_b64 s[38:39], s[38:39], exec
	s_waitcnt vmcnt(0)
	v_cmp_ne_u64_e32 vcc, v[18:19], v[20:21]
	s_and_b64 s[42:43], vcc, exec
	s_or_b64 s[38:39], s[38:39], s[42:43]
.LBB573_75:                             ;   in Loop: Header=BB573_76 Depth=1
	s_and_b64 s[42:43], exec, s[38:39]
	s_or_b64 s[8:9], s[42:43], s[8:9]
	v_pk_mov_b32 v[18:19], s[40:41], s[40:41] op_sel:[0,1]
	s_andn2_b64 exec, exec, s[8:9]
	s_cbranch_execz .LBB573_78
.LBB573_76:                             ; =>This Inner Loop Header: Depth=1
	s_or_b64 s[38:39], s[38:39], exec
	s_cmp_eq_u64 s[6:7], s[40:41]
	s_cbranch_scc0 .LBB573_74
; %bb.77:                               ;   in Loop: Header=BB573_76 Depth=1
                                        ; implicit-def: $vgpr12_vgpr13
                                        ; implicit-def: $vgpr16_vgpr17
	s_mov_b64 s[40:41], s[26:27]
	s_branch .LBB573_75
.LBB573_78:
	s_or_b64 exec, exec, s[8:9]
	v_cmp_gt_i64_e32 vcc, s[26:27], v[18:19]
	s_orn2_b64 s[38:39], vcc, exec
.LBB573_79:
	s_or_b64 exec, exec, s[10:11]
.LBB573_80:
	s_and_b64 s[10:11], s[38:39], exec
.LBB573_81:
	s_or_b64 exec, exec, s[36:37]
	v_cmp_gt_u32_e32 vcc, s48, v25
	s_and_saveexec_b64 s[36:37], vcc
	s_cbranch_execz .LBB573_92
; %bb.82:
	s_and_b64 vcc, exec, s[4:5]
	s_mov_b64 s[38:39], 0
	s_cbranch_vccnz .LBB573_91
; %bb.83:
	v_mul_lo_u32 v16, v3, s26
	v_mul_lo_u32 v17, v2, s27
	v_mad_u64_u32 v[12:13], s[6:7], v2, s26, 0
	v_add3_u32 v13, v13, v17, v16
	v_mul_lo_u32 v16, v5, s26
	v_mul_lo_u32 v17, v4, s27
	v_mad_u64_u32 v[20:21], s[6:7], v4, s26, 0
	v_add3_u32 v21, v21, v17, v16
	v_lshlrev_b64 v[16:17], 3, v[12:13]
	v_mov_b32_e32 v12, s17
	v_add_co_u32_e32 v18, vcc, s16, v16
	v_addc_co_u32_e64 v19, s[6:7], v12, v17, vcc
	v_lshlrev_b64 v[12:13], 3, v[20:21]
	v_mov_b32_e32 v16, s17
	v_add_co_u32_e64 v20, s[6:7], s16, v12
	v_addc_co_u32_e64 v21, s[8:9], v16, v13, s[6:7]
	global_load_dwordx2 v[28:29], v[18:19], off
	global_load_dwordx2 v[30:31], v[20:21], off
	s_mov_b64 s[38:39], -1
	s_waitcnt vmcnt(0)
	v_cmp_eq_u64_e64 s[8:9], v[28:29], v[30:31]
	s_and_saveexec_b64 s[14:15], s[8:9]
	s_cbranch_execz .LBB573_90
; %bb.84:
	v_mov_b32_e32 v12, s17
	v_addc_co_u32_e64 v13, s[6:7], v13, v12, s[6:7]
	v_add_co_u32_e64 v12, s[6:7], 8, v20
	v_mov_b32_e32 v16, s17
	v_addc_co_u32_e64 v13, s[6:7], 0, v13, s[6:7]
	v_addc_co_u32_e32 v17, vcc, v17, v16, vcc
	v_add_co_u32_e32 v16, vcc, 8, v18
	s_add_u32 s6, s26, -1
	v_addc_co_u32_e32 v17, vcc, 0, v17, vcc
	s_addc_u32 s7, s27, -1
	s_mov_b64 s[8:9], 0
	s_mov_b64 s[40:41], 0
                                        ; implicit-def: $sgpr38_sgpr39
	s_branch .LBB573_87
.LBB573_85:                             ;   in Loop: Header=BB573_87 Depth=1
	global_load_dwordx2 v[18:19], v[16:17], off
	global_load_dwordx2 v[20:21], v[12:13], off
	v_add_co_u32_e32 v12, vcc, 8, v12
	v_addc_co_u32_e32 v13, vcc, 0, v13, vcc
	v_add_co_u32_e32 v16, vcc, 8, v16
	v_addc_co_u32_e32 v17, vcc, 0, v17, vcc
	s_add_u32 s40, s40, 1
	s_addc_u32 s41, s41, 0
	s_andn2_b64 s[38:39], s[38:39], exec
	s_waitcnt vmcnt(0)
	v_cmp_ne_u64_e32 vcc, v[18:19], v[20:21]
	s_and_b64 s[42:43], vcc, exec
	s_or_b64 s[38:39], s[38:39], s[42:43]
.LBB573_86:                             ;   in Loop: Header=BB573_87 Depth=1
	s_and_b64 s[42:43], exec, s[38:39]
	s_or_b64 s[8:9], s[42:43], s[8:9]
	v_pk_mov_b32 v[18:19], s[40:41], s[40:41] op_sel:[0,1]
	s_andn2_b64 exec, exec, s[8:9]
	s_cbranch_execz .LBB573_89
.LBB573_87:                             ; =>This Inner Loop Header: Depth=1
	s_or_b64 s[38:39], s[38:39], exec
	s_cmp_eq_u64 s[6:7], s[40:41]
	s_cbranch_scc0 .LBB573_85
; %bb.88:                               ;   in Loop: Header=BB573_87 Depth=1
                                        ; implicit-def: $vgpr12_vgpr13
                                        ; implicit-def: $vgpr16_vgpr17
	s_mov_b64 s[40:41], s[26:27]
	s_branch .LBB573_86
.LBB573_89:
	s_or_b64 exec, exec, s[8:9]
	v_cmp_gt_i64_e32 vcc, s[26:27], v[18:19]
	s_orn2_b64 s[38:39], vcc, exec
.LBB573_90:
	s_or_b64 exec, exec, s[14:15]
.LBB573_91:
	s_and_b64 s[14:15], s[38:39], exec
.LBB573_92:
	s_or_b64 exec, exec, s[36:37]
	v_cmp_gt_u32_e32 vcc, s48, v22
	s_mov_b64 s[36:37], 0
	s_mov_b64 s[38:39], 0
	s_and_saveexec_b64 s[40:41], vcc
	s_cbranch_execz .LBB573_103
; %bb.93:
	s_and_b64 vcc, exec, s[4:5]
	s_mov_b64 s[42:43], 0
	s_cbranch_vccnz .LBB573_102
; %bb.94:
	v_mul_lo_u32 v16, v9, s26
	v_mul_lo_u32 v17, v8, s27
	v_mad_u64_u32 v[12:13], s[6:7], v8, s26, 0
	v_add3_u32 v13, v13, v17, v16
	v_mul_lo_u32 v16, v3, s26
	v_mul_lo_u32 v17, v2, s27
	v_mad_u64_u32 v[20:21], s[6:7], v2, s26, 0
	v_add3_u32 v21, v21, v17, v16
	v_lshlrev_b64 v[16:17], 3, v[12:13]
	v_mov_b32_e32 v12, s17
	v_add_co_u32_e32 v18, vcc, s16, v16
	v_addc_co_u32_e64 v19, s[6:7], v12, v17, vcc
	v_lshlrev_b64 v[12:13], 3, v[20:21]
	v_mov_b32_e32 v16, s17
	v_add_co_u32_e64 v20, s[6:7], s16, v12
	v_addc_co_u32_e64 v21, s[8:9], v16, v13, s[6:7]
	global_load_dwordx2 v[28:29], v[18:19], off
	global_load_dwordx2 v[30:31], v[20:21], off
	s_mov_b64 s[42:43], -1
	s_waitcnt vmcnt(0)
	v_cmp_eq_u64_e64 s[8:9], v[28:29], v[30:31]
	s_and_saveexec_b64 s[38:39], s[8:9]
	s_cbranch_execz .LBB573_101
; %bb.95:
	v_mov_b32_e32 v12, s17
	v_addc_co_u32_e64 v13, s[6:7], v13, v12, s[6:7]
	v_add_co_u32_e64 v12, s[6:7], 8, v20
	v_mov_b32_e32 v16, s17
	v_addc_co_u32_e64 v13, s[6:7], 0, v13, s[6:7]
	v_addc_co_u32_e32 v17, vcc, v17, v16, vcc
	v_add_co_u32_e32 v16, vcc, 8, v18
	s_add_u32 s6, s26, -1
	v_addc_co_u32_e32 v17, vcc, 0, v17, vcc
	s_addc_u32 s7, s27, -1
	s_mov_b64 s[8:9], 0
	s_mov_b64 s[44:45], 0
                                        ; implicit-def: $sgpr42_sgpr43
	s_branch .LBB573_98
.LBB573_96:                             ;   in Loop: Header=BB573_98 Depth=1
	global_load_dwordx2 v[18:19], v[16:17], off
	global_load_dwordx2 v[20:21], v[12:13], off
	v_add_co_u32_e32 v12, vcc, 8, v12
	v_addc_co_u32_e32 v13, vcc, 0, v13, vcc
	v_add_co_u32_e32 v16, vcc, 8, v16
	v_addc_co_u32_e32 v17, vcc, 0, v17, vcc
	s_add_u32 s44, s44, 1
	s_addc_u32 s45, s45, 0
	s_andn2_b64 s[42:43], s[42:43], exec
	s_waitcnt vmcnt(0)
	v_cmp_ne_u64_e32 vcc, v[18:19], v[20:21]
	s_and_b64 s[46:47], vcc, exec
	s_or_b64 s[42:43], s[42:43], s[46:47]
.LBB573_97:                             ;   in Loop: Header=BB573_98 Depth=1
	s_and_b64 s[46:47], exec, s[42:43]
	s_or_b64 s[8:9], s[46:47], s[8:9]
	v_pk_mov_b32 v[18:19], s[44:45], s[44:45] op_sel:[0,1]
	s_andn2_b64 exec, exec, s[8:9]
	s_cbranch_execz .LBB573_100
.LBB573_98:                             ; =>This Inner Loop Header: Depth=1
	s_or_b64 s[42:43], s[42:43], exec
	s_cmp_eq_u64 s[6:7], s[44:45]
	s_cbranch_scc0 .LBB573_96
; %bb.99:                               ;   in Loop: Header=BB573_98 Depth=1
                                        ; implicit-def: $vgpr12_vgpr13
                                        ; implicit-def: $vgpr16_vgpr17
	s_mov_b64 s[44:45], s[26:27]
	s_branch .LBB573_97
.LBB573_100:
	s_or_b64 exec, exec, s[8:9]
	v_cmp_gt_i64_e32 vcc, s[26:27], v[18:19]
	s_orn2_b64 s[42:43], vcc, exec
.LBB573_101:
	s_or_b64 exec, exec, s[38:39]
.LBB573_102:
	s_and_b64 s[38:39], s[42:43], exec
.LBB573_103:
	s_or_b64 exec, exec, s[40:41]
	v_cmp_gt_u32_e32 vcc, s48, v24
	s_and_saveexec_b64 s[40:41], vcc
	s_cbranch_execz .LBB573_114
; %bb.104:
	s_and_b64 vcc, exec, s[4:5]
	s_mov_b64 s[42:43], 0
	s_cbranch_vccnz .LBB573_113
; %bb.105:
	v_mul_lo_u32 v16, v7, s26
	v_mul_lo_u32 v17, v6, s27
	v_mad_u64_u32 v[12:13], s[6:7], v6, s26, 0
	v_add3_u32 v13, v13, v17, v16
	v_mul_lo_u32 v16, v9, s26
	v_mul_lo_u32 v17, v8, s27
	v_mad_u64_u32 v[20:21], s[6:7], v8, s26, 0
	v_add3_u32 v21, v21, v17, v16
	v_lshlrev_b64 v[16:17], 3, v[12:13]
	v_mov_b32_e32 v12, s17
	v_add_co_u32_e32 v18, vcc, s16, v16
	v_addc_co_u32_e64 v19, s[6:7], v12, v17, vcc
	v_lshlrev_b64 v[12:13], 3, v[20:21]
	v_mov_b32_e32 v16, s17
	v_add_co_u32_e64 v20, s[6:7], s16, v12
	v_addc_co_u32_e64 v21, s[8:9], v16, v13, s[6:7]
	global_load_dwordx2 v[28:29], v[18:19], off
	global_load_dwordx2 v[30:31], v[20:21], off
	s_mov_b64 s[42:43], -1
	s_waitcnt vmcnt(0)
	v_cmp_eq_u64_e64 s[8:9], v[28:29], v[30:31]
	s_and_saveexec_b64 s[36:37], s[8:9]
	s_cbranch_execz .LBB573_112
; %bb.106:
	v_mov_b32_e32 v12, s17
	v_addc_co_u32_e64 v13, s[6:7], v13, v12, s[6:7]
	v_add_co_u32_e64 v12, s[6:7], 8, v20
	v_mov_b32_e32 v16, s17
	v_addc_co_u32_e64 v13, s[6:7], 0, v13, s[6:7]
	v_addc_co_u32_e32 v17, vcc, v17, v16, vcc
	v_add_co_u32_e32 v16, vcc, 8, v18
	s_add_u32 s6, s26, -1
	v_addc_co_u32_e32 v17, vcc, 0, v17, vcc
	s_addc_u32 s7, s27, -1
	s_mov_b64 s[8:9], 0
	s_mov_b64 s[44:45], 0
                                        ; implicit-def: $sgpr42_sgpr43
	s_branch .LBB573_109
.LBB573_107:                            ;   in Loop: Header=BB573_109 Depth=1
	global_load_dwordx2 v[18:19], v[16:17], off
	global_load_dwordx2 v[20:21], v[12:13], off
	v_add_co_u32_e32 v12, vcc, 8, v12
	v_addc_co_u32_e32 v13, vcc, 0, v13, vcc
	v_add_co_u32_e32 v16, vcc, 8, v16
	v_addc_co_u32_e32 v17, vcc, 0, v17, vcc
	s_add_u32 s44, s44, 1
	s_addc_u32 s45, s45, 0
	s_andn2_b64 s[42:43], s[42:43], exec
	s_waitcnt vmcnt(0)
	v_cmp_ne_u64_e32 vcc, v[18:19], v[20:21]
	s_and_b64 s[46:47], vcc, exec
	s_or_b64 s[42:43], s[42:43], s[46:47]
.LBB573_108:                            ;   in Loop: Header=BB573_109 Depth=1
	s_and_b64 s[46:47], exec, s[42:43]
	s_or_b64 s[8:9], s[46:47], s[8:9]
	v_pk_mov_b32 v[18:19], s[44:45], s[44:45] op_sel:[0,1]
	s_andn2_b64 exec, exec, s[8:9]
	s_cbranch_execz .LBB573_111
.LBB573_109:                            ; =>This Inner Loop Header: Depth=1
	s_or_b64 s[42:43], s[42:43], exec
	s_cmp_eq_u64 s[6:7], s[44:45]
	s_cbranch_scc0 .LBB573_107
; %bb.110:                              ;   in Loop: Header=BB573_109 Depth=1
                                        ; implicit-def: $vgpr12_vgpr13
                                        ; implicit-def: $vgpr16_vgpr17
	s_mov_b64 s[44:45], s[26:27]
	s_branch .LBB573_108
.LBB573_111:
	s_or_b64 exec, exec, s[8:9]
	v_cmp_gt_i64_e32 vcc, s[26:27], v[18:19]
	s_orn2_b64 s[42:43], vcc, exec
.LBB573_112:
	s_or_b64 exec, exec, s[36:37]
.LBB573_113:
	s_and_b64 s[36:37], s[42:43], exec
.LBB573_114:
	s_or_b64 exec, exec, s[40:41]
	s_waitcnt lgkmcnt(0)
	s_barrier
	s_and_saveexec_b64 s[6:7], s[2:3]
	s_cbranch_execz .LBB573_116
; %bb.115:
	v_add_u32_e32 v12, -8, v27
	s_waitcnt vmcnt(0)
	ds_read_b64 v[14:15], v12
.LBB573_116:
	s_or_b64 exec, exec, s[6:7]
	v_cndmask_b32_e64 v13, 0, 1, s[14:15]
	v_cndmask_b32_e64 v12, 0, 1, s[38:39]
	v_cndmask_b32_e64 v16, 0, 1, s[36:37]
	v_lshlrev_b16_e32 v13, 8, v13
	v_cmp_gt_u32_e32 vcc, s48, v1
	v_lshlrev_b16_e32 v20, 8, v16
	v_or_b32_sdwa v21, v12, v13 dst_sel:WORD_1 dst_unused:UNUSED_PAD src0_sel:DWORD src1_sel:DWORD
	s_mov_b64 s[36:37], 0
	s_and_saveexec_b64 s[8:9], vcc
	s_cbranch_execz .LBB573_127
; %bb.117:
	s_and_b64 vcc, exec, s[4:5]
	s_cbranch_vccnz .LBB573_126
; %bb.118:
	s_waitcnt vmcnt(0) lgkmcnt(0)
	v_mul_lo_u32 v15, v15, s26
	v_mul_lo_u32 v16, v14, s27
	v_mad_u64_u32 v[12:13], s[4:5], v14, s26, 0
	v_add3_u32 v13, v13, v16, v15
	v_mul_lo_u32 v14, v7, s26
	v_mul_lo_u32 v15, v6, s27
	v_mad_u64_u32 v[18:19], s[4:5], v6, s26, 0
	v_add3_u32 v19, v19, v15, v14
	v_lshlrev_b64 v[14:15], 3, v[12:13]
	v_mov_b32_e32 v12, s17
	v_add_co_u32_e32 v16, vcc, s16, v14
	v_addc_co_u32_e64 v17, s[4:5], v12, v15, vcc
	v_lshlrev_b64 v[12:13], 3, v[18:19]
	v_mov_b32_e32 v14, s17
	v_add_co_u32_e64 v18, s[4:5], s16, v12
	v_addc_co_u32_e64 v19, s[6:7], v14, v13, s[4:5]
	global_load_dwordx2 v[28:29], v[16:17], off
	global_load_dwordx2 v[30:31], v[18:19], off
	s_mov_b64 s[36:37], -1
	s_waitcnt vmcnt(0)
	v_cmp_eq_u64_e64 s[6:7], v[28:29], v[30:31]
	s_and_saveexec_b64 s[14:15], s[6:7]
	s_cbranch_execz .LBB573_125
; %bb.119:
	v_mov_b32_e32 v12, s17
	v_addc_co_u32_e64 v13, s[4:5], v13, v12, s[4:5]
	v_add_co_u32_e64 v12, s[4:5], 8, v18
	v_mov_b32_e32 v14, s17
	v_addc_co_u32_e64 v13, s[4:5], 0, v13, s[4:5]
	v_addc_co_u32_e32 v15, vcc, v15, v14, vcc
	v_add_co_u32_e32 v14, vcc, 8, v16
	s_add_u32 s4, s26, -1
	v_addc_co_u32_e32 v15, vcc, 0, v15, vcc
	s_addc_u32 s5, s27, -1
	s_mov_b64 s[6:7], 0
	s_mov_b64 s[38:39], 0
                                        ; implicit-def: $sgpr36_sgpr37
	s_branch .LBB573_122
.LBB573_120:                            ;   in Loop: Header=BB573_122 Depth=1
	global_load_dwordx2 v[16:17], v[14:15], off
	global_load_dwordx2 v[18:19], v[12:13], off
	v_add_co_u32_e32 v12, vcc, 8, v12
	v_addc_co_u32_e32 v13, vcc, 0, v13, vcc
	v_add_co_u32_e32 v14, vcc, 8, v14
	v_addc_co_u32_e32 v15, vcc, 0, v15, vcc
	s_add_u32 s38, s38, 1
	s_addc_u32 s39, s39, 0
	s_andn2_b64 s[36:37], s[36:37], exec
	s_waitcnt vmcnt(0)
	v_cmp_ne_u64_e32 vcc, v[16:17], v[18:19]
	s_and_b64 s[40:41], vcc, exec
	s_or_b64 s[36:37], s[36:37], s[40:41]
.LBB573_121:                            ;   in Loop: Header=BB573_122 Depth=1
	s_and_b64 s[40:41], exec, s[36:37]
	s_or_b64 s[6:7], s[40:41], s[6:7]
	v_pk_mov_b32 v[16:17], s[38:39], s[38:39] op_sel:[0,1]
	s_andn2_b64 exec, exec, s[6:7]
	s_cbranch_execz .LBB573_124
.LBB573_122:                            ; =>This Inner Loop Header: Depth=1
	s_or_b64 s[36:37], s[36:37], exec
	s_cmp_eq_u64 s[4:5], s[38:39]
	s_cbranch_scc0 .LBB573_120
; %bb.123:                              ;   in Loop: Header=BB573_122 Depth=1
                                        ; implicit-def: $vgpr12_vgpr13
                                        ; implicit-def: $vgpr14_vgpr15
	s_mov_b64 s[38:39], s[26:27]
	s_branch .LBB573_121
.LBB573_124:
	s_or_b64 exec, exec, s[6:7]
	v_cmp_gt_i64_e32 vcc, s[26:27], v[16:17]
	s_orn2_b64 s[36:37], vcc, exec
.LBB573_125:
	s_or_b64 exec, exec, s[14:15]
.LBB573_126:
	s_and_b64 s[36:37], s[36:37], exec
.LBB573_127:
	s_or_b64 exec, exec, s[8:9]
	v_cndmask_b32_e64 v13, 0, 1, s[10:11]
	v_or_b32_e32 v16, v20, v21
.LBB573_128:
	s_mov_b64 s[14:15], -1
	s_cbranch_execnz .LBB573_237
.LBB573_129:
	v_lshlrev_b32_e32 v12, 5, v0
	v_sub_u32_e32 v26, v26, v12
	s_mov_b64 s[36:37], 0
	v_cmp_gt_i64_e64 s[10:11], s[26:27], 0
	s_and_b64 vcc, exec, s[30:31]
	ds_write_b64 v26, v[10:11]
	s_cbranch_vccz .LBB573_137
; %bb.130:
	s_waitcnt vmcnt(0) lgkmcnt(1)
	v_mul_lo_u32 v14, v5, s26
	v_mul_lo_u32 v15, v4, s27
	v_mad_u64_u32 v[12:13], s[4:5], v4, s26, 0
	v_add3_u32 v13, v13, v15, v14
	v_cndmask_b32_e64 v14, 0, 1, s[10:11]
	v_cmp_ne_u32_e64 s[4:5], 1, v14
	s_andn2_b64 vcc, exec, s[10:11]
	v_lshlrev_b64 v[12:13], 3, v[12:13]
	s_cbranch_vccnz .LBB573_140
; %bb.131:
	v_mul_lo_u32 v16, v11, s26
	v_mul_lo_u32 v17, v10, s27
	v_mad_u64_u32 v[14:15], s[6:7], v10, s26, 0
	v_add3_u32 v15, v15, v17, v16
	v_mov_b32_e32 v17, s17
	v_add_co_u32_e32 v16, vcc, s16, v12
	v_addc_co_u32_e64 v17, s[6:7], v17, v13, vcc
	v_lshlrev_b64 v[14:15], 3, v[14:15]
	v_mov_b32_e32 v19, s17
	v_add_co_u32_e64 v18, s[6:7], s16, v14
	v_addc_co_u32_e64 v19, s[8:9], v19, v15, s[6:7]
	global_load_dwordx2 v[20:21], v[16:17], off
	global_load_dwordx2 v[28:29], v[18:19], off
	s_mov_b64 s[36:37], -1
	s_waitcnt vmcnt(0)
	v_cmp_eq_u64_e64 s[8:9], v[20:21], v[28:29]
	s_and_saveexec_b64 s[38:39], s[8:9]
	s_cbranch_execz .LBB573_139
; %bb.132:
	v_mov_b32_e32 v14, s17
	v_addc_co_u32_e64 v15, s[6:7], v15, v14, s[6:7]
	v_add_co_u32_e64 v14, s[6:7], 8, v18
	v_mov_b32_e32 v17, s17
	v_addc_co_u32_e64 v15, s[6:7], 0, v15, s[6:7]
	v_addc_co_u32_e32 v17, vcc, v13, v17, vcc
	v_add_co_u32_e32 v16, vcc, 8, v16
	s_add_u32 s6, s26, -1
	v_addc_co_u32_e32 v17, vcc, 0, v17, vcc
	s_addc_u32 s7, s27, -1
	s_mov_b64 s[8:9], 0
	s_mov_b64 s[40:41], 0
                                        ; implicit-def: $sgpr36_sgpr37
	s_branch .LBB573_135
.LBB573_133:                            ;   in Loop: Header=BB573_135 Depth=1
	global_load_dwordx2 v[18:19], v[16:17], off
	global_load_dwordx2 v[20:21], v[14:15], off
	v_add_co_u32_e32 v14, vcc, 8, v14
	v_addc_co_u32_e32 v15, vcc, 0, v15, vcc
	v_add_co_u32_e32 v16, vcc, 8, v16
	v_addc_co_u32_e32 v17, vcc, 0, v17, vcc
	s_add_u32 s40, s40, 1
	s_addc_u32 s41, s41, 0
	s_andn2_b64 s[36:37], s[36:37], exec
	s_waitcnt vmcnt(0)
	v_cmp_ne_u64_e32 vcc, v[18:19], v[20:21]
	s_and_b64 s[42:43], vcc, exec
	s_or_b64 s[36:37], s[36:37], s[42:43]
.LBB573_134:                            ;   in Loop: Header=BB573_135 Depth=1
	s_and_b64 s[42:43], exec, s[36:37]
	s_or_b64 s[8:9], s[42:43], s[8:9]
	v_pk_mov_b32 v[18:19], s[40:41], s[40:41] op_sel:[0,1]
	s_andn2_b64 exec, exec, s[8:9]
	s_cbranch_execz .LBB573_138
.LBB573_135:                            ; =>This Inner Loop Header: Depth=1
	s_or_b64 s[36:37], s[36:37], exec
	s_cmp_eq_u64 s[6:7], s[40:41]
	s_cbranch_scc0 .LBB573_133
; %bb.136:                              ;   in Loop: Header=BB573_135 Depth=1
                                        ; implicit-def: $vgpr14_vgpr15
                                        ; implicit-def: $vgpr16_vgpr17
	s_mov_b64 s[40:41], s[26:27]
	s_branch .LBB573_134
.LBB573_137:
                                        ; implicit-def: $sgpr36_sgpr37
                                        ; implicit-def: $vgpr13
                                        ; implicit-def: $vgpr16
	s_cbranch_execnz .LBB573_179
	s_branch .LBB573_237
.LBB573_138:
	s_or_b64 exec, exec, s[8:9]
	v_cmp_gt_i64_e32 vcc, s[26:27], v[18:19]
	s_orn2_b64 s[36:37], vcc, exec
.LBB573_139:
	s_or_b64 exec, exec, s[38:39]
.LBB573_140:
	v_mul_lo_u32 v16, v3, s26
	v_mul_lo_u32 v17, v2, s27
	v_mad_u64_u32 v[14:15], s[6:7], v2, s26, 0
	v_add3_u32 v15, v15, v17, v16
	s_mov_b64 s[38:39], 0
	s_and_b64 vcc, exec, s[4:5]
	v_lshlrev_b64 v[14:15], 3, v[14:15]
	s_mov_b64 s[40:41], 0
	s_cbranch_vccnz .LBB573_149
; %bb.141:
	v_mov_b32_e32 v17, s17
	v_add_co_u32_e32 v16, vcc, s16, v14
	v_addc_co_u32_e64 v17, s[6:7], v17, v15, vcc
	v_mov_b32_e32 v19, s17
	v_add_co_u32_e64 v18, s[6:7], s16, v12
	v_addc_co_u32_e64 v19, s[8:9], v19, v13, s[6:7]
	global_load_dwordx2 v[20:21], v[16:17], off
	global_load_dwordx2 v[28:29], v[18:19], off
	s_mov_b64 s[40:41], -1
	s_waitcnt vmcnt(0)
	v_cmp_eq_u64_e64 s[8:9], v[20:21], v[28:29]
	s_and_saveexec_b64 s[42:43], s[8:9]
	s_cbranch_execz .LBB573_148
; %bb.142:
	v_mov_b32_e32 v12, s17
	v_addc_co_u32_e64 v13, s[6:7], v13, v12, s[6:7]
	v_add_co_u32_e64 v12, s[6:7], 8, v18
	v_mov_b32_e32 v17, s17
	v_addc_co_u32_e64 v13, s[6:7], 0, v13, s[6:7]
	v_addc_co_u32_e32 v17, vcc, v15, v17, vcc
	v_add_co_u32_e32 v16, vcc, 8, v16
	s_add_u32 s6, s26, -1
	v_addc_co_u32_e32 v17, vcc, 0, v17, vcc
	s_addc_u32 s7, s27, -1
	s_mov_b64 s[8:9], 0
	s_mov_b64 s[44:45], 0
                                        ; implicit-def: $sgpr40_sgpr41
	s_branch .LBB573_145
.LBB573_143:                            ;   in Loop: Header=BB573_145 Depth=1
	global_load_dwordx2 v[18:19], v[16:17], off
	global_load_dwordx2 v[20:21], v[12:13], off
	v_add_co_u32_e32 v12, vcc, 8, v12
	v_addc_co_u32_e32 v13, vcc, 0, v13, vcc
	v_add_co_u32_e32 v16, vcc, 8, v16
	v_addc_co_u32_e32 v17, vcc, 0, v17, vcc
	s_add_u32 s44, s44, 1
	s_addc_u32 s45, s45, 0
	s_andn2_b64 s[40:41], s[40:41], exec
	s_waitcnt vmcnt(0)
	v_cmp_ne_u64_e32 vcc, v[18:19], v[20:21]
	s_and_b64 s[46:47], vcc, exec
	s_or_b64 s[40:41], s[40:41], s[46:47]
.LBB573_144:                            ;   in Loop: Header=BB573_145 Depth=1
	s_and_b64 s[46:47], exec, s[40:41]
	s_or_b64 s[8:9], s[46:47], s[8:9]
	v_pk_mov_b32 v[18:19], s[44:45], s[44:45] op_sel:[0,1]
	s_andn2_b64 exec, exec, s[8:9]
	s_cbranch_execz .LBB573_147
.LBB573_145:                            ; =>This Inner Loop Header: Depth=1
	s_or_b64 s[40:41], s[40:41], exec
	s_cmp_eq_u64 s[6:7], s[44:45]
	s_cbranch_scc0 .LBB573_143
; %bb.146:                              ;   in Loop: Header=BB573_145 Depth=1
                                        ; implicit-def: $vgpr12_vgpr13
                                        ; implicit-def: $vgpr16_vgpr17
	s_mov_b64 s[44:45], s[26:27]
	s_branch .LBB573_144
.LBB573_147:
	s_or_b64 exec, exec, s[8:9]
	v_cmp_gt_i64_e32 vcc, s[26:27], v[18:19]
	s_orn2_b64 s[40:41], vcc, exec
.LBB573_148:
	s_or_b64 exec, exec, s[42:43]
.LBB573_149:
	v_mul_lo_u32 v16, v9, s26
	v_mul_lo_u32 v17, v8, s27
	v_mad_u64_u32 v[12:13], s[6:7], v8, s26, 0
	v_add3_u32 v13, v13, v17, v16
	s_and_b64 vcc, exec, s[4:5]
	v_lshlrev_b64 v[12:13], 3, v[12:13]
	s_cbranch_vccnz .LBB573_158
; %bb.150:
	v_mov_b32_e32 v17, s17
	v_add_co_u32_e32 v16, vcc, s16, v12
	v_addc_co_u32_e64 v17, s[6:7], v17, v13, vcc
	v_mov_b32_e32 v19, s17
	v_add_co_u32_e64 v18, s[6:7], s16, v14
	v_addc_co_u32_e64 v19, s[8:9], v19, v15, s[6:7]
	global_load_dwordx2 v[20:21], v[16:17], off
	global_load_dwordx2 v[28:29], v[18:19], off
	s_mov_b64 s[38:39], -1
	s_waitcnt vmcnt(0)
	v_cmp_eq_u64_e64 s[8:9], v[20:21], v[28:29]
	s_and_saveexec_b64 s[42:43], s[8:9]
	s_cbranch_execz .LBB573_157
; %bb.151:
	v_mov_b32_e32 v14, s17
	v_addc_co_u32_e64 v15, s[6:7], v15, v14, s[6:7]
	v_add_co_u32_e64 v14, s[6:7], 8, v18
	v_mov_b32_e32 v17, s17
	v_addc_co_u32_e64 v15, s[6:7], 0, v15, s[6:7]
	v_addc_co_u32_e32 v17, vcc, v13, v17, vcc
	v_add_co_u32_e32 v16, vcc, 8, v16
	s_add_u32 s6, s26, -1
	v_addc_co_u32_e32 v17, vcc, 0, v17, vcc
	s_addc_u32 s7, s27, -1
	s_mov_b64 s[8:9], 0
	s_mov_b64 s[44:45], 0
                                        ; implicit-def: $sgpr38_sgpr39
	s_branch .LBB573_154
.LBB573_152:                            ;   in Loop: Header=BB573_154 Depth=1
	global_load_dwordx2 v[18:19], v[16:17], off
	global_load_dwordx2 v[20:21], v[14:15], off
	v_add_co_u32_e32 v14, vcc, 8, v14
	v_addc_co_u32_e32 v15, vcc, 0, v15, vcc
	v_add_co_u32_e32 v16, vcc, 8, v16
	v_addc_co_u32_e32 v17, vcc, 0, v17, vcc
	s_add_u32 s44, s44, 1
	s_addc_u32 s45, s45, 0
	s_andn2_b64 s[38:39], s[38:39], exec
	s_waitcnt vmcnt(0)
	v_cmp_ne_u64_e32 vcc, v[18:19], v[20:21]
	s_and_b64 s[46:47], vcc, exec
	s_or_b64 s[38:39], s[38:39], s[46:47]
.LBB573_153:                            ;   in Loop: Header=BB573_154 Depth=1
	s_and_b64 s[46:47], exec, s[38:39]
	s_or_b64 s[8:9], s[46:47], s[8:9]
	v_pk_mov_b32 v[18:19], s[44:45], s[44:45] op_sel:[0,1]
	s_andn2_b64 exec, exec, s[8:9]
	s_cbranch_execz .LBB573_156
.LBB573_154:                            ; =>This Inner Loop Header: Depth=1
	s_or_b64 s[38:39], s[38:39], exec
	s_cmp_eq_u64 s[6:7], s[44:45]
	s_cbranch_scc0 .LBB573_152
; %bb.155:                              ;   in Loop: Header=BB573_154 Depth=1
                                        ; implicit-def: $vgpr14_vgpr15
                                        ; implicit-def: $vgpr16_vgpr17
	s_mov_b64 s[44:45], s[26:27]
	s_branch .LBB573_153
.LBB573_156:
	s_or_b64 exec, exec, s[8:9]
	v_cmp_gt_i64_e32 vcc, s[26:27], v[18:19]
	s_orn2_b64 s[38:39], vcc, exec
.LBB573_157:
	s_or_b64 exec, exec, s[42:43]
.LBB573_158:
	v_mul_lo_u32 v16, v7, s26
	v_mul_lo_u32 v17, v6, s27
	v_mad_u64_u32 v[14:15], s[6:7], v6, s26, 0
	v_add3_u32 v15, v15, v17, v16
	s_and_b64 vcc, exec, s[4:5]
	s_mov_b64 s[44:45], 0
	s_cbranch_vccnz .LBB573_167
; %bb.159:
	v_lshlrev_b64 v[16:17], 3, v[14:15]
	v_mov_b32_e32 v19, s17
	v_add_co_u32_e32 v18, vcc, s16, v16
	v_addc_co_u32_e64 v19, s[6:7], v19, v17, vcc
	v_mov_b32_e32 v16, s17
	v_add_co_u32_e64 v20, s[6:7], s16, v12
	v_addc_co_u32_e64 v21, s[8:9], v16, v13, s[6:7]
	global_load_dwordx2 v[28:29], v[18:19], off
	global_load_dwordx2 v[30:31], v[20:21], off
	s_mov_b64 s[44:45], -1
	s_waitcnt vmcnt(0)
	v_cmp_eq_u64_e64 s[8:9], v[28:29], v[30:31]
	s_and_saveexec_b64 s[42:43], s[8:9]
	s_cbranch_execz .LBB573_166
; %bb.160:
	v_mov_b32_e32 v12, s17
	v_addc_co_u32_e64 v13, s[6:7], v13, v12, s[6:7]
	v_add_co_u32_e64 v12, s[6:7], 8, v20
	v_mov_b32_e32 v16, s17
	v_addc_co_u32_e64 v13, s[6:7], 0, v13, s[6:7]
	v_addc_co_u32_e32 v17, vcc, v17, v16, vcc
	v_add_co_u32_e32 v16, vcc, 8, v18
	s_add_u32 s6, s26, -1
	v_addc_co_u32_e32 v17, vcc, 0, v17, vcc
	s_addc_u32 s7, s27, -1
	s_mov_b64 s[8:9], 0
	s_mov_b64 s[46:47], 0
                                        ; implicit-def: $sgpr44_sgpr45
	s_branch .LBB573_163
.LBB573_161:                            ;   in Loop: Header=BB573_163 Depth=1
	global_load_dwordx2 v[18:19], v[16:17], off
	global_load_dwordx2 v[20:21], v[12:13], off
	v_add_co_u32_e32 v12, vcc, 8, v12
	v_addc_co_u32_e32 v13, vcc, 0, v13, vcc
	v_add_co_u32_e32 v16, vcc, 8, v16
	v_addc_co_u32_e32 v17, vcc, 0, v17, vcc
	s_add_u32 s46, s46, 1
	s_addc_u32 s47, s47, 0
	s_andn2_b64 s[44:45], s[44:45], exec
	s_waitcnt vmcnt(0)
	v_cmp_ne_u64_e32 vcc, v[18:19], v[20:21]
	s_and_b64 s[50:51], vcc, exec
	s_or_b64 s[44:45], s[44:45], s[50:51]
.LBB573_162:                            ;   in Loop: Header=BB573_163 Depth=1
	s_and_b64 s[50:51], exec, s[44:45]
	s_or_b64 s[8:9], s[50:51], s[8:9]
	v_pk_mov_b32 v[18:19], s[46:47], s[46:47] op_sel:[0,1]
	s_andn2_b64 exec, exec, s[8:9]
	s_cbranch_execz .LBB573_165
.LBB573_163:                            ; =>This Inner Loop Header: Depth=1
	s_or_b64 s[44:45], s[44:45], exec
	s_cmp_eq_u64 s[6:7], s[46:47]
	s_cbranch_scc0 .LBB573_161
; %bb.164:                              ;   in Loop: Header=BB573_163 Depth=1
                                        ; implicit-def: $vgpr12_vgpr13
                                        ; implicit-def: $vgpr16_vgpr17
	s_mov_b64 s[46:47], s[26:27]
	s_branch .LBB573_162
.LBB573_165:
	s_or_b64 exec, exec, s[8:9]
	v_cmp_gt_i64_e32 vcc, s[26:27], v[18:19]
	s_orn2_b64 s[44:45], vcc, exec
.LBB573_166:
	s_or_b64 exec, exec, s[42:43]
.LBB573_167:
	v_cndmask_b32_e64 v13, 0, 1, s[40:41]
	v_cndmask_b32_e64 v16, 0, 1, s[44:45]
	;; [unrolled: 1-line block ×3, first 2 shown]
	v_lshlrev_b16_e32 v16, 8, v16
	v_lshlrev_b16_e32 v13, 8, v13
	v_or_b32_e32 v16, 1, v16
	v_or_b32_sdwa v12, v12, v13 dst_sel:WORD_1 dst_unused:UNUSED_PAD src0_sel:DWORD src1_sel:DWORD
	v_or_b32_sdwa v12, v16, v12 dst_sel:DWORD dst_unused:UNUSED_PAD src0_sel:WORD_0 src1_sel:DWORD
	v_cndmask_b32_e64 v13, 0, 1, s[36:37]
	s_waitcnt lgkmcnt(0)
	s_barrier
	s_waitcnt lgkmcnt(0)
                                        ; implicit-def: $sgpr36_sgpr37
                                        ; implicit-def: $vgpr16
	s_and_saveexec_b64 s[6:7], s[2:3]
	s_xor_b64 s[8:9], exec, s[6:7]
	s_cbranch_execz .LBB573_178
; %bb.168:
	s_mov_b32 s42, 0x3020104
	s_and_b64 vcc, exec, s[4:5]
	s_mov_b64 s[38:39], 0
	s_cbranch_vccnz .LBB573_177
; %bb.169:
	v_add_u32_e32 v16, -8, v26
	ds_read_b64 v[16:17], v16
	v_mov_b32_e32 v19, s17
	v_lshlrev_b64 v[14:15], 3, v[14:15]
	s_mov_b64 s[38:39], -1
	s_waitcnt lgkmcnt(0)
	v_mul_lo_u32 v18, v17, s26
	v_mul_lo_u32 v20, v16, s27
	v_mad_u64_u32 v[16:17], s[4:5], v16, s26, 0
	v_add3_u32 v17, v17, v20, v18
	v_lshlrev_b64 v[16:17], 3, v[16:17]
	v_add_co_u32_e32 v18, vcc, s16, v16
	v_addc_co_u32_e64 v19, s[4:5], v19, v17, vcc
	v_mov_b32_e32 v16, s17
	v_add_co_u32_e64 v20, s[4:5], s16, v14
	v_addc_co_u32_e64 v21, s[6:7], v16, v15, s[4:5]
	global_load_dwordx2 v[28:29], v[18:19], off
	global_load_dwordx2 v[30:31], v[20:21], off
	s_waitcnt vmcnt(0)
	v_cmp_eq_u64_e64 s[6:7], v[28:29], v[30:31]
	s_and_saveexec_b64 s[36:37], s[6:7]
	s_cbranch_execz .LBB573_176
; %bb.170:
	v_mov_b32_e32 v14, s17
	v_addc_co_u32_e64 v15, s[4:5], v15, v14, s[4:5]
	v_add_co_u32_e64 v14, s[4:5], 8, v20
	v_mov_b32_e32 v16, s17
	v_addc_co_u32_e64 v15, s[4:5], 0, v15, s[4:5]
	v_addc_co_u32_e32 v17, vcc, v17, v16, vcc
	v_add_co_u32_e32 v16, vcc, 8, v18
	s_add_u32 s4, s26, -1
	v_addc_co_u32_e32 v17, vcc, 0, v17, vcc
	s_addc_u32 s5, s27, -1
	s_mov_b64 s[6:7], 0
	s_mov_b64 s[40:41], 0
                                        ; implicit-def: $sgpr38_sgpr39
	s_branch .LBB573_173
.LBB573_171:                            ;   in Loop: Header=BB573_173 Depth=1
	global_load_dwordx2 v[18:19], v[16:17], off
	global_load_dwordx2 v[20:21], v[14:15], off
	v_add_co_u32_e32 v14, vcc, 8, v14
	v_addc_co_u32_e32 v15, vcc, 0, v15, vcc
	v_add_co_u32_e32 v16, vcc, 8, v16
	v_addc_co_u32_e32 v17, vcc, 0, v17, vcc
	s_add_u32 s40, s40, 1
	s_addc_u32 s41, s41, 0
	s_andn2_b64 s[38:39], s[38:39], exec
	s_waitcnt vmcnt(0)
	v_cmp_ne_u64_e32 vcc, v[18:19], v[20:21]
	s_and_b64 s[44:45], vcc, exec
	s_or_b64 s[38:39], s[38:39], s[44:45]
.LBB573_172:                            ;   in Loop: Header=BB573_173 Depth=1
	s_and_b64 s[44:45], exec, s[38:39]
	s_or_b64 s[6:7], s[44:45], s[6:7]
	v_pk_mov_b32 v[18:19], s[40:41], s[40:41] op_sel:[0,1]
	s_andn2_b64 exec, exec, s[6:7]
	s_cbranch_execz .LBB573_175
.LBB573_173:                            ; =>This Inner Loop Header: Depth=1
	s_or_b64 s[38:39], s[38:39], exec
	s_cmp_eq_u64 s[4:5], s[40:41]
	s_cbranch_scc0 .LBB573_171
; %bb.174:                              ;   in Loop: Header=BB573_173 Depth=1
                                        ; implicit-def: $vgpr14_vgpr15
                                        ; implicit-def: $vgpr16_vgpr17
	s_mov_b64 s[40:41], s[26:27]
	s_branch .LBB573_172
.LBB573_175:
	s_or_b64 exec, exec, s[6:7]
	v_cmp_gt_i64_e32 vcc, s[26:27], v[18:19]
	s_orn2_b64 s[38:39], vcc, exec
.LBB573_176:
	s_or_b64 exec, exec, s[36:37]
.LBB573_177:
	v_perm_b32 v16, v12, v12, s42
	s_and_b64 s[36:37], s[38:39], exec
	s_or_b64 s[14:15], s[14:15], exec
.LBB573_178:
	s_or_b64 exec, exec, s[8:9]
	s_branch .LBB573_237
.LBB573_179:
	v_cmp_gt_u32_e32 vcc, s48, v23
	s_mov_b64 s[36:37], 0
	s_mov_b64 s[8:9], 0
	s_and_saveexec_b64 s[38:39], vcc
	s_cbranch_execz .LBB573_190
; %bb.180:
	s_andn2_b64 vcc, exec, s[10:11]
	s_mov_b64 s[40:41], 0
	s_cbranch_vccnz .LBB573_189
; %bb.181:
	s_waitcnt vmcnt(0) lgkmcnt(1)
	v_mul_lo_u32 v14, v5, s26
	v_mul_lo_u32 v15, v4, s27
	v_mad_u64_u32 v[12:13], s[4:5], v4, s26, 0
	v_add3_u32 v13, v13, v15, v14
	v_mul_lo_u32 v14, v11, s26
	v_mul_lo_u32 v15, v10, s27
	v_mad_u64_u32 v[18:19], s[4:5], v10, s26, 0
	v_add3_u32 v19, v19, v15, v14
	v_lshlrev_b64 v[14:15], 3, v[12:13]
	v_mov_b32_e32 v12, s17
	v_add_co_u32_e32 v16, vcc, s16, v14
	v_addc_co_u32_e64 v17, s[4:5], v12, v15, vcc
	v_lshlrev_b64 v[12:13], 3, v[18:19]
	v_mov_b32_e32 v14, s17
	v_add_co_u32_e64 v18, s[4:5], s16, v12
	v_addc_co_u32_e64 v19, s[6:7], v14, v13, s[4:5]
	global_load_dwordx2 v[20:21], v[16:17], off
	global_load_dwordx2 v[28:29], v[18:19], off
	s_mov_b64 s[40:41], -1
	s_waitcnt vmcnt(0)
	v_cmp_eq_u64_e64 s[6:7], v[20:21], v[28:29]
	s_and_saveexec_b64 s[8:9], s[6:7]
	s_cbranch_execz .LBB573_188
; %bb.182:
	v_mov_b32_e32 v12, s17
	v_addc_co_u32_e64 v13, s[4:5], v13, v12, s[4:5]
	v_add_co_u32_e64 v12, s[4:5], 8, v18
	v_mov_b32_e32 v14, s17
	v_addc_co_u32_e64 v13, s[4:5], 0, v13, s[4:5]
	v_addc_co_u32_e32 v15, vcc, v15, v14, vcc
	v_add_co_u32_e32 v14, vcc, 8, v16
	s_add_u32 s4, s26, -1
	v_addc_co_u32_e32 v15, vcc, 0, v15, vcc
	s_addc_u32 s5, s27, -1
	s_mov_b64 s[6:7], 0
	s_mov_b64 s[42:43], 0
                                        ; implicit-def: $sgpr40_sgpr41
	s_branch .LBB573_185
.LBB573_183:                            ;   in Loop: Header=BB573_185 Depth=1
	global_load_dwordx2 v[16:17], v[14:15], off
	global_load_dwordx2 v[18:19], v[12:13], off
	v_add_co_u32_e32 v12, vcc, 8, v12
	v_addc_co_u32_e32 v13, vcc, 0, v13, vcc
	v_add_co_u32_e32 v14, vcc, 8, v14
	v_addc_co_u32_e32 v15, vcc, 0, v15, vcc
	s_add_u32 s42, s42, 1
	s_addc_u32 s43, s43, 0
	s_andn2_b64 s[40:41], s[40:41], exec
	s_waitcnt vmcnt(0)
	v_cmp_ne_u64_e32 vcc, v[16:17], v[18:19]
	s_and_b64 s[44:45], vcc, exec
	s_or_b64 s[40:41], s[40:41], s[44:45]
.LBB573_184:                            ;   in Loop: Header=BB573_185 Depth=1
	s_and_b64 s[44:45], exec, s[40:41]
	s_or_b64 s[6:7], s[44:45], s[6:7]
	v_pk_mov_b32 v[16:17], s[42:43], s[42:43] op_sel:[0,1]
	s_andn2_b64 exec, exec, s[6:7]
	s_cbranch_execz .LBB573_187
.LBB573_185:                            ; =>This Inner Loop Header: Depth=1
	s_or_b64 s[40:41], s[40:41], exec
	s_cmp_eq_u64 s[4:5], s[42:43]
	s_cbranch_scc0 .LBB573_183
; %bb.186:                              ;   in Loop: Header=BB573_185 Depth=1
                                        ; implicit-def: $vgpr12_vgpr13
                                        ; implicit-def: $vgpr14_vgpr15
	s_mov_b64 s[42:43], s[26:27]
	s_branch .LBB573_184
.LBB573_187:
	s_or_b64 exec, exec, s[6:7]
	v_cmp_gt_i64_e32 vcc, s[26:27], v[16:17]
	s_orn2_b64 s[40:41], vcc, exec
.LBB573_188:
	s_or_b64 exec, exec, s[8:9]
.LBB573_189:
	s_and_b64 s[8:9], s[40:41], exec
.LBB573_190:
	s_or_b64 exec, exec, s[38:39]
	v_cmp_gt_u32_e32 vcc, s48, v25
	s_and_saveexec_b64 s[38:39], vcc
	s_cbranch_execz .LBB573_201
; %bb.191:
	s_andn2_b64 vcc, exec, s[10:11]
	s_mov_b64 s[40:41], 0
	s_cbranch_vccnz .LBB573_200
; %bb.192:
	s_waitcnt vmcnt(0) lgkmcnt(1)
	v_mul_lo_u32 v14, v3, s26
	v_mul_lo_u32 v15, v2, s27
	v_mad_u64_u32 v[12:13], s[4:5], v2, s26, 0
	v_add3_u32 v13, v13, v15, v14
	v_mul_lo_u32 v14, v5, s26
	v_mul_lo_u32 v15, v4, s27
	v_mad_u64_u32 v[18:19], s[4:5], v4, s26, 0
	v_add3_u32 v19, v19, v15, v14
	v_lshlrev_b64 v[14:15], 3, v[12:13]
	v_mov_b32_e32 v12, s17
	v_add_co_u32_e32 v16, vcc, s16, v14
	v_addc_co_u32_e64 v17, s[4:5], v12, v15, vcc
	v_lshlrev_b64 v[12:13], 3, v[18:19]
	v_mov_b32_e32 v14, s17
	v_add_co_u32_e64 v18, s[4:5], s16, v12
	v_addc_co_u32_e64 v19, s[6:7], v14, v13, s[4:5]
	global_load_dwordx2 v[20:21], v[16:17], off
	global_load_dwordx2 v[28:29], v[18:19], off
	s_mov_b64 s[40:41], -1
	s_waitcnt vmcnt(0)
	v_cmp_eq_u64_e64 s[6:7], v[20:21], v[28:29]
	s_and_saveexec_b64 s[36:37], s[6:7]
	s_cbranch_execz .LBB573_199
; %bb.193:
	v_mov_b32_e32 v12, s17
	v_addc_co_u32_e64 v13, s[4:5], v13, v12, s[4:5]
	v_add_co_u32_e64 v12, s[4:5], 8, v18
	v_mov_b32_e32 v14, s17
	v_addc_co_u32_e64 v13, s[4:5], 0, v13, s[4:5]
	v_addc_co_u32_e32 v15, vcc, v15, v14, vcc
	v_add_co_u32_e32 v14, vcc, 8, v16
	s_add_u32 s4, s26, -1
	v_addc_co_u32_e32 v15, vcc, 0, v15, vcc
	s_addc_u32 s5, s27, -1
	s_mov_b64 s[6:7], 0
	s_mov_b64 s[42:43], 0
                                        ; implicit-def: $sgpr40_sgpr41
	s_branch .LBB573_196
.LBB573_194:                            ;   in Loop: Header=BB573_196 Depth=1
	global_load_dwordx2 v[16:17], v[14:15], off
	global_load_dwordx2 v[18:19], v[12:13], off
	v_add_co_u32_e32 v12, vcc, 8, v12
	v_addc_co_u32_e32 v13, vcc, 0, v13, vcc
	v_add_co_u32_e32 v14, vcc, 8, v14
	v_addc_co_u32_e32 v15, vcc, 0, v15, vcc
	s_add_u32 s42, s42, 1
	s_addc_u32 s43, s43, 0
	s_andn2_b64 s[40:41], s[40:41], exec
	s_waitcnt vmcnt(0)
	v_cmp_ne_u64_e32 vcc, v[16:17], v[18:19]
	s_and_b64 s[44:45], vcc, exec
	s_or_b64 s[40:41], s[40:41], s[44:45]
.LBB573_195:                            ;   in Loop: Header=BB573_196 Depth=1
	s_and_b64 s[44:45], exec, s[40:41]
	s_or_b64 s[6:7], s[44:45], s[6:7]
	v_pk_mov_b32 v[16:17], s[42:43], s[42:43] op_sel:[0,1]
	s_andn2_b64 exec, exec, s[6:7]
	s_cbranch_execz .LBB573_198
.LBB573_196:                            ; =>This Inner Loop Header: Depth=1
	s_or_b64 s[40:41], s[40:41], exec
	s_cmp_eq_u64 s[4:5], s[42:43]
	s_cbranch_scc0 .LBB573_194
; %bb.197:                              ;   in Loop: Header=BB573_196 Depth=1
                                        ; implicit-def: $vgpr12_vgpr13
                                        ; implicit-def: $vgpr14_vgpr15
	s_mov_b64 s[42:43], s[26:27]
	s_branch .LBB573_195
.LBB573_198:
	s_or_b64 exec, exec, s[6:7]
	v_cmp_gt_i64_e32 vcc, s[26:27], v[16:17]
	s_orn2_b64 s[40:41], vcc, exec
.LBB573_199:
	s_or_b64 exec, exec, s[36:37]
.LBB573_200:
	s_and_b64 s[36:37], s[40:41], exec
.LBB573_201:
	s_or_b64 exec, exec, s[38:39]
	v_cmp_gt_u32_e32 vcc, s48, v22
	s_mov_b64 s[38:39], 0
	s_mov_b64 s[40:41], 0
	s_and_saveexec_b64 s[42:43], vcc
	s_cbranch_execz .LBB573_212
; %bb.202:
	s_andn2_b64 vcc, exec, s[10:11]
	s_mov_b64 s[44:45], 0
	s_cbranch_vccnz .LBB573_211
; %bb.203:
	s_waitcnt vmcnt(0) lgkmcnt(1)
	v_mul_lo_u32 v14, v9, s26
	v_mul_lo_u32 v15, v8, s27
	v_mad_u64_u32 v[12:13], s[4:5], v8, s26, 0
	v_add3_u32 v13, v13, v15, v14
	v_mul_lo_u32 v14, v3, s26
	v_mul_lo_u32 v15, v2, s27
	v_mad_u64_u32 v[18:19], s[4:5], v2, s26, 0
	v_add3_u32 v19, v19, v15, v14
	v_lshlrev_b64 v[14:15], 3, v[12:13]
	v_mov_b32_e32 v12, s17
	v_add_co_u32_e32 v16, vcc, s16, v14
	v_addc_co_u32_e64 v17, s[4:5], v12, v15, vcc
	v_lshlrev_b64 v[12:13], 3, v[18:19]
	v_mov_b32_e32 v14, s17
	v_add_co_u32_e64 v18, s[4:5], s16, v12
	v_addc_co_u32_e64 v19, s[6:7], v14, v13, s[4:5]
	global_load_dwordx2 v[20:21], v[16:17], off
	global_load_dwordx2 v[28:29], v[18:19], off
	s_mov_b64 s[44:45], -1
	s_waitcnt vmcnt(0)
	v_cmp_eq_u64_e64 s[6:7], v[20:21], v[28:29]
	s_and_saveexec_b64 s[40:41], s[6:7]
	s_cbranch_execz .LBB573_210
; %bb.204:
	v_mov_b32_e32 v12, s17
	v_addc_co_u32_e64 v13, s[4:5], v13, v12, s[4:5]
	v_add_co_u32_e64 v12, s[4:5], 8, v18
	v_mov_b32_e32 v14, s17
	v_addc_co_u32_e64 v13, s[4:5], 0, v13, s[4:5]
	v_addc_co_u32_e32 v15, vcc, v15, v14, vcc
	v_add_co_u32_e32 v14, vcc, 8, v16
	s_add_u32 s4, s26, -1
	v_addc_co_u32_e32 v15, vcc, 0, v15, vcc
	s_addc_u32 s5, s27, -1
	s_mov_b64 s[6:7], 0
	s_mov_b64 s[46:47], 0
                                        ; implicit-def: $sgpr44_sgpr45
	s_branch .LBB573_207
.LBB573_205:                            ;   in Loop: Header=BB573_207 Depth=1
	global_load_dwordx2 v[16:17], v[14:15], off
	global_load_dwordx2 v[18:19], v[12:13], off
	v_add_co_u32_e32 v12, vcc, 8, v12
	v_addc_co_u32_e32 v13, vcc, 0, v13, vcc
	v_add_co_u32_e32 v14, vcc, 8, v14
	v_addc_co_u32_e32 v15, vcc, 0, v15, vcc
	s_add_u32 s46, s46, 1
	s_addc_u32 s47, s47, 0
	s_andn2_b64 s[44:45], s[44:45], exec
	s_waitcnt vmcnt(0)
	v_cmp_ne_u64_e32 vcc, v[16:17], v[18:19]
	s_and_b64 s[50:51], vcc, exec
	s_or_b64 s[44:45], s[44:45], s[50:51]
.LBB573_206:                            ;   in Loop: Header=BB573_207 Depth=1
	s_and_b64 s[50:51], exec, s[44:45]
	s_or_b64 s[6:7], s[50:51], s[6:7]
	v_pk_mov_b32 v[16:17], s[46:47], s[46:47] op_sel:[0,1]
	s_andn2_b64 exec, exec, s[6:7]
	s_cbranch_execz .LBB573_209
.LBB573_207:                            ; =>This Inner Loop Header: Depth=1
	s_or_b64 s[44:45], s[44:45], exec
	s_cmp_eq_u64 s[4:5], s[46:47]
	s_cbranch_scc0 .LBB573_205
; %bb.208:                              ;   in Loop: Header=BB573_207 Depth=1
                                        ; implicit-def: $vgpr12_vgpr13
                                        ; implicit-def: $vgpr14_vgpr15
	s_mov_b64 s[46:47], s[26:27]
	s_branch .LBB573_206
.LBB573_209:
	s_or_b64 exec, exec, s[6:7]
	v_cmp_gt_i64_e32 vcc, s[26:27], v[16:17]
	s_orn2_b64 s[44:45], vcc, exec
.LBB573_210:
	s_or_b64 exec, exec, s[40:41]
.LBB573_211:
	s_and_b64 s[40:41], s[44:45], exec
.LBB573_212:
	s_or_b64 exec, exec, s[42:43]
	v_cmp_gt_u32_e32 vcc, s48, v24
	s_and_saveexec_b64 s[42:43], vcc
	s_cbranch_execz .LBB573_223
; %bb.213:
	s_andn2_b64 vcc, exec, s[10:11]
	s_mov_b64 s[44:45], 0
	s_cbranch_vccnz .LBB573_222
; %bb.214:
	s_waitcnt vmcnt(0) lgkmcnt(1)
	v_mul_lo_u32 v14, v7, s26
	v_mul_lo_u32 v15, v6, s27
	v_mad_u64_u32 v[12:13], s[4:5], v6, s26, 0
	v_add3_u32 v13, v13, v15, v14
	v_mul_lo_u32 v14, v9, s26
	v_mul_lo_u32 v15, v8, s27
	v_mad_u64_u32 v[18:19], s[4:5], v8, s26, 0
	v_add3_u32 v19, v19, v15, v14
	v_lshlrev_b64 v[14:15], 3, v[12:13]
	v_mov_b32_e32 v12, s17
	v_add_co_u32_e32 v16, vcc, s16, v14
	v_addc_co_u32_e64 v17, s[4:5], v12, v15, vcc
	v_lshlrev_b64 v[12:13], 3, v[18:19]
	v_mov_b32_e32 v14, s17
	v_add_co_u32_e64 v18, s[4:5], s16, v12
	v_addc_co_u32_e64 v19, s[6:7], v14, v13, s[4:5]
	global_load_dwordx2 v[20:21], v[16:17], off
	global_load_dwordx2 v[28:29], v[18:19], off
	s_mov_b64 s[44:45], -1
	s_waitcnt vmcnt(0)
	v_cmp_eq_u64_e64 s[6:7], v[20:21], v[28:29]
	s_and_saveexec_b64 s[38:39], s[6:7]
	s_cbranch_execz .LBB573_221
; %bb.215:
	v_mov_b32_e32 v12, s17
	v_addc_co_u32_e64 v13, s[4:5], v13, v12, s[4:5]
	v_add_co_u32_e64 v12, s[4:5], 8, v18
	v_mov_b32_e32 v14, s17
	v_addc_co_u32_e64 v13, s[4:5], 0, v13, s[4:5]
	v_addc_co_u32_e32 v15, vcc, v15, v14, vcc
	v_add_co_u32_e32 v14, vcc, 8, v16
	s_add_u32 s4, s26, -1
	v_addc_co_u32_e32 v15, vcc, 0, v15, vcc
	s_addc_u32 s5, s27, -1
	s_mov_b64 s[6:7], 0
	s_mov_b64 s[46:47], 0
                                        ; implicit-def: $sgpr44_sgpr45
	s_branch .LBB573_218
.LBB573_216:                            ;   in Loop: Header=BB573_218 Depth=1
	global_load_dwordx2 v[16:17], v[14:15], off
	global_load_dwordx2 v[18:19], v[12:13], off
	v_add_co_u32_e32 v12, vcc, 8, v12
	v_addc_co_u32_e32 v13, vcc, 0, v13, vcc
	v_add_co_u32_e32 v14, vcc, 8, v14
	v_addc_co_u32_e32 v15, vcc, 0, v15, vcc
	s_add_u32 s46, s46, 1
	s_addc_u32 s47, s47, 0
	s_andn2_b64 s[44:45], s[44:45], exec
	s_waitcnt vmcnt(0)
	v_cmp_ne_u64_e32 vcc, v[16:17], v[18:19]
	s_and_b64 s[50:51], vcc, exec
	s_or_b64 s[44:45], s[44:45], s[50:51]
.LBB573_217:                            ;   in Loop: Header=BB573_218 Depth=1
	s_and_b64 s[50:51], exec, s[44:45]
	s_or_b64 s[6:7], s[50:51], s[6:7]
	v_pk_mov_b32 v[16:17], s[46:47], s[46:47] op_sel:[0,1]
	s_andn2_b64 exec, exec, s[6:7]
	s_cbranch_execz .LBB573_220
.LBB573_218:                            ; =>This Inner Loop Header: Depth=1
	s_or_b64 s[44:45], s[44:45], exec
	s_cmp_eq_u64 s[4:5], s[46:47]
	s_cbranch_scc0 .LBB573_216
; %bb.219:                              ;   in Loop: Header=BB573_218 Depth=1
                                        ; implicit-def: $vgpr12_vgpr13
                                        ; implicit-def: $vgpr14_vgpr15
	s_mov_b64 s[46:47], s[26:27]
	s_branch .LBB573_217
.LBB573_220:
	s_or_b64 exec, exec, s[6:7]
	v_cmp_gt_i64_e32 vcc, s[26:27], v[16:17]
	s_orn2_b64 s[44:45], vcc, exec
.LBB573_221:
	s_or_b64 exec, exec, s[38:39]
.LBB573_222:
	s_and_b64 s[38:39], s[44:45], exec
.LBB573_223:
	s_or_b64 exec, exec, s[42:43]
	v_cndmask_b32_e64 v13, 0, 1, s[36:37]
	s_waitcnt vmcnt(0) lgkmcnt(1)
	v_cndmask_b32_e64 v14, 0, 1, s[38:39]
	v_cndmask_b32_e64 v12, 0, 1, s[40:41]
	v_lshlrev_b16_e32 v14, 8, v14
	v_lshlrev_b16_e32 v13, 8, v13
	v_or_b32_e32 v14, 1, v14
	v_or_b32_sdwa v12, v12, v13 dst_sel:WORD_1 dst_unused:UNUSED_PAD src0_sel:DWORD src1_sel:DWORD
	v_or_b32_sdwa v12, v14, v12 dst_sel:DWORD dst_unused:UNUSED_PAD src0_sel:WORD_0 src1_sel:DWORD
	v_cndmask_b32_e64 v13, 0, 1, s[8:9]
	s_waitcnt lgkmcnt(0)
	s_barrier
	s_waitcnt lgkmcnt(0)
                                        ; implicit-def: $sgpr36_sgpr37
                                        ; implicit-def: $vgpr16
	s_and_saveexec_b64 s[6:7], s[2:3]
	s_cbranch_execz .LBB573_236
; %bb.224:
	v_cmp_gt_u32_e32 vcc, s48, v1
	s_mov_b32 s38, 0x3020104
	s_mov_b64 s[2:3], 0
	s_and_saveexec_b64 s[8:9], vcc
	s_cbranch_execz .LBB573_235
; %bb.225:
	s_andn2_b64 vcc, exec, s[10:11]
	s_mov_b64 s[36:37], 0
	s_cbranch_vccnz .LBB573_234
; %bb.226:
	v_add_u32_e32 v14, -8, v26
	ds_read_b64 v[14:15], v14
	v_mul_lo_u32 v16, v7, s26
	v_mad_u64_u32 v[20:21], s[2:3], v6, s26, 0
	s_mov_b64 s[36:37], -1
	s_waitcnt lgkmcnt(0)
	v_mul_lo_u32 v17, v15, s26
	v_mul_lo_u32 v18, v14, s27
	v_mad_u64_u32 v[14:15], s[2:3], v14, s26, 0
	v_add3_u32 v15, v15, v18, v17
	v_mul_lo_u32 v17, v6, s27
	v_add3_u32 v21, v21, v17, v16
	v_lshlrev_b64 v[16:17], 3, v[14:15]
	v_mov_b32_e32 v14, s17
	v_add_co_u32_e32 v18, vcc, s16, v16
	v_addc_co_u32_e64 v19, s[2:3], v14, v17, vcc
	v_lshlrev_b64 v[14:15], 3, v[20:21]
	v_mov_b32_e32 v16, s17
	v_add_co_u32_e64 v20, s[2:3], s16, v14
	v_addc_co_u32_e64 v21, s[4:5], v16, v15, s[2:3]
	global_load_dwordx2 v[26:27], v[18:19], off
	global_load_dwordx2 v[28:29], v[20:21], off
	s_waitcnt vmcnt(0)
	v_cmp_eq_u64_e64 s[4:5], v[26:27], v[28:29]
	s_and_saveexec_b64 s[10:11], s[4:5]
	s_cbranch_execz .LBB573_233
; %bb.227:
	v_mov_b32_e32 v14, s17
	v_addc_co_u32_e64 v15, s[2:3], v15, v14, s[2:3]
	v_add_co_u32_e64 v14, s[2:3], 8, v20
	v_mov_b32_e32 v16, s17
	v_addc_co_u32_e64 v15, s[2:3], 0, v15, s[2:3]
	v_addc_co_u32_e32 v17, vcc, v17, v16, vcc
	v_add_co_u32_e32 v16, vcc, 8, v18
	s_add_u32 s2, s26, -1
	v_addc_co_u32_e32 v17, vcc, 0, v17, vcc
	s_addc_u32 s3, s27, -1
	s_mov_b64 s[4:5], 0
	s_mov_b64 s[36:37], 0
                                        ; implicit-def: $sgpr16_sgpr17
	s_branch .LBB573_230
.LBB573_228:                            ;   in Loop: Header=BB573_230 Depth=1
	global_load_dwordx2 v[18:19], v[16:17], off
	global_load_dwordx2 v[20:21], v[14:15], off
	v_add_co_u32_e32 v14, vcc, 8, v14
	v_addc_co_u32_e32 v15, vcc, 0, v15, vcc
	v_add_co_u32_e32 v16, vcc, 8, v16
	v_addc_co_u32_e32 v17, vcc, 0, v17, vcc
	s_add_u32 s36, s36, 1
	s_addc_u32 s37, s37, 0
	s_andn2_b64 s[16:17], s[16:17], exec
	s_waitcnt vmcnt(0)
	v_cmp_ne_u64_e32 vcc, v[18:19], v[20:21]
	s_and_b64 s[40:41], vcc, exec
	s_or_b64 s[16:17], s[16:17], s[40:41]
.LBB573_229:                            ;   in Loop: Header=BB573_230 Depth=1
	s_and_b64 s[40:41], exec, s[16:17]
	s_or_b64 s[4:5], s[40:41], s[4:5]
	v_pk_mov_b32 v[18:19], s[36:37], s[36:37] op_sel:[0,1]
	s_andn2_b64 exec, exec, s[4:5]
	s_cbranch_execz .LBB573_232
.LBB573_230:                            ; =>This Inner Loop Header: Depth=1
	s_or_b64 s[16:17], s[16:17], exec
	s_cmp_eq_u64 s[2:3], s[36:37]
	s_cbranch_scc0 .LBB573_228
; %bb.231:                              ;   in Loop: Header=BB573_230 Depth=1
                                        ; implicit-def: $vgpr14_vgpr15
                                        ; implicit-def: $vgpr16_vgpr17
	s_mov_b64 s[36:37], s[26:27]
	s_branch .LBB573_229
.LBB573_232:
	s_or_b64 exec, exec, s[4:5]
	v_cmp_gt_i64_e32 vcc, s[26:27], v[18:19]
	s_orn2_b64 s[36:37], vcc, exec
.LBB573_233:
	s_or_b64 exec, exec, s[10:11]
.LBB573_234:
	s_and_b64 s[2:3], s[36:37], exec
.LBB573_235:
	s_or_b64 exec, exec, s[8:9]
	v_perm_b32 v16, v12, v12, s38
	s_and_b64 s[36:37], s[2:3], exec
	s_or_b64 s[14:15], s[14:15], exec
.LBB573_236:
	s_or_b64 exec, exec, s[6:7]
.LBB573_237:
	s_and_saveexec_b64 s[2:3], s[14:15]
	s_cbranch_execz .LBB573_239
; %bb.238:
	s_waitcnt vmcnt(0) lgkmcnt(0)
	v_lshrrev_b32_e32 v14, 24, v16
	s_movk_i32 s4, 0xff
	v_lshlrev_b16_e32 v14, 8, v14
	v_and_b32_sdwa v15, v16, s4 dst_sel:DWORD dst_unused:UNUSED_PAD src0_sel:WORD_1 src1_sel:DWORD
	v_or_b32_sdwa v14, v15, v14 dst_sel:WORD_1 dst_unused:UNUSED_PAD src0_sel:DWORD src1_sel:DWORD
	v_mov_b32_e32 v15, 8
	v_cndmask_b32_e64 v12, 0, 1, s[36:37]
	v_lshrrev_b32_sdwa v15, v15, v16 dst_sel:BYTE_1 dst_unused:UNUSED_PAD src0_sel:DWORD src1_sel:DWORD
	v_or_b32_e32 v12, v12, v15
	s_mov_b32 s4, 0xffff
	v_or_b32_sdwa v12, v12, v14 dst_sel:DWORD dst_unused:UNUSED_PAD src0_sel:WORD_0 src1_sel:DWORD
	v_and_b32_sdwa v13, s4, v13 dst_sel:DWORD dst_unused:UNUSED_PAD src0_sel:DWORD src1_sel:BYTE_0
.LBB573_239:
	s_or_b64 exec, exec, s[2:3]
	s_andn2_b64 vcc, exec, s[12:13]
	s_cbranch_vccnz .LBB573_241
; %bb.240:
	v_cmp_gt_u32_e32 vcc, s48, v1
	v_cndmask_b32_e32 v1, 0, v12, vcc
	v_and_b32_e32 v1, 0xffff00ff, v1
	v_cmp_gt_u32_e64 s[2:3], s48, v24
	v_cndmask_b32_e64 v1, v1, v12, s[2:3]
	s_waitcnt vmcnt(0) lgkmcnt(0)
	v_lshrrev_b32_e32 v14, 24, v1
	s_mov_b32 s4, 0x40c0100
	v_perm_b32 v1, v14, v1, s4
	v_cmp_gt_u32_e64 s[4:5], s48, v22
	v_cmp_gt_u32_e64 s[6:7], s48, v25
	v_cndmask_b32_e64 v1, v1, v12, s[4:5]
	s_or_b64 s[4:5], s[6:7], s[4:5]
	s_or_b64 s[2:3], s[4:5], s[2:3]
	s_or_b64 vcc, s[2:3], vcc
	v_and_b32_e32 v1, 0xffffff, v1
	v_cndmask_b32_e32 v14, 0, v13, vcc
	v_cndmask_b32_e64 v1, v1, v12, s[6:7]
	v_and_b32_e32 v14, 0xffffff00, v14
	v_cmp_gt_u32_e32 vcc, s48, v23
	v_cndmask_b32_e32 v1, v1, v12, vcc
	v_cndmask_b32_e32 v12, v14, v13, vcc
	s_mov_b32 s2, 0x3020104
	v_and_b32_e32 v13, 0xff, v12
	v_perm_b32 v12, v1, v1, s2
.LBB573_241:
	v_and_b32_e32 v1, 0xff, v12
	v_bfe_u32 v25, v12, 8, 8
	v_bfe_u32 v27, v12, 16, 8
	s_waitcnt vmcnt(0) lgkmcnt(0)
	v_alignbit_b32 v14, v13, v12, 24
	v_and_b32_e32 v28, 0xff, v14
	v_and_b32_e32 v14, 0xff, v13
	v_add3_u32 v15, v25, v1, v27
	v_add3_u32 v31, v15, v28, v14
	v_mbcnt_lo_u32_b32 v14, -1, 0
	v_mbcnt_hi_u32_b32 v29, -1, v14
	v_and_b32_e32 v14, 15, v29
	v_cmp_eq_u32_e64 s[14:15], 0, v14
	v_cmp_lt_u32_e64 s[12:13], 1, v14
	v_cmp_lt_u32_e64 s[10:11], 3, v14
	;; [unrolled: 1-line block ×3, first 2 shown]
	v_and_b32_e32 v14, 16, v29
	v_cmp_eq_u32_e64 s[6:7], 0, v14
	v_or_b32_e32 v14, 63, v0
	v_cmp_lt_u32_e64 s[2:3], 31, v29
	v_lshrrev_b32_e32 v30, 6, v0
	v_cmp_eq_u32_e64 s[4:5], v14, v0
	s_and_b64 vcc, exec, s[34:35]
	s_barrier
	s_cbranch_vccz .LBB573_272
; %bb.242:
	v_mov_b32_dpp v14, v31 row_shr:1 row_mask:0xf bank_mask:0xf
	v_cndmask_b32_e64 v14, v14, 0, s[14:15]
	v_add_u32_e32 v14, v14, v31
	s_nop 1
	v_mov_b32_dpp v15, v14 row_shr:2 row_mask:0xf bank_mask:0xf
	v_cndmask_b32_e64 v15, 0, v15, s[12:13]
	v_add_u32_e32 v14, v14, v15
	s_nop 1
	;; [unrolled: 4-line block ×4, first 2 shown]
	v_mov_b32_dpp v15, v14 row_bcast:15 row_mask:0xf bank_mask:0xf
	v_cndmask_b32_e64 v15, v15, 0, s[6:7]
	v_add_u32_e32 v14, v14, v15
	s_nop 1
	v_mov_b32_dpp v15, v14 row_bcast:31 row_mask:0xf bank_mask:0xf
	v_cndmask_b32_e64 v15, 0, v15, s[2:3]
	v_add_u32_e32 v14, v14, v15
	s_and_saveexec_b64 s[16:17], s[4:5]
	s_cbranch_execz .LBB573_244
; %bb.243:
	v_lshlrev_b32_e32 v15, 2, v30
	ds_write_b32 v15, v14
.LBB573_244:
	s_or_b64 exec, exec, s[16:17]
	v_cmp_gt_u32_e32 vcc, 4, v0
	s_waitcnt lgkmcnt(0)
	s_barrier
	s_and_saveexec_b64 s[16:17], vcc
	s_cbranch_execz .LBB573_246
; %bb.245:
	v_lshlrev_b32_e32 v15, 2, v0
	ds_read_b32 v16, v15
	v_and_b32_e32 v17, 3, v29
	v_cmp_ne_u32_e32 vcc, 0, v17
	s_waitcnt lgkmcnt(0)
	v_mov_b32_dpp v18, v16 row_shr:1 row_mask:0xf bank_mask:0xf
	v_cndmask_b32_e32 v18, 0, v18, vcc
	v_add_u32_e32 v16, v18, v16
	v_cmp_lt_u32_e32 vcc, 1, v17
	s_nop 0
	v_mov_b32_dpp v18, v16 row_shr:2 row_mask:0xf bank_mask:0xf
	v_cndmask_b32_e32 v17, 0, v18, vcc
	v_add_u32_e32 v16, v16, v17
	ds_write_b32 v15, v16
.LBB573_246:
	s_or_b64 exec, exec, s[16:17]
	v_cmp_gt_u32_e32 vcc, 64, v0
	v_cmp_lt_u32_e64 s[16:17], 63, v0
	s_waitcnt lgkmcnt(0)
	s_barrier
	s_waitcnt lgkmcnt(0)
                                        ; implicit-def: $vgpr24
	s_and_saveexec_b64 s[26:27], s[16:17]
	s_cbranch_execz .LBB573_248
; %bb.247:
	v_lshl_add_u32 v15, v30, 2, -4
	ds_read_b32 v24, v15
	s_waitcnt lgkmcnt(0)
	v_add_u32_e32 v14, v24, v14
.LBB573_248:
	s_or_b64 exec, exec, s[26:27]
	v_add_u32_e32 v15, -1, v29
	v_and_b32_e32 v16, 64, v29
	v_cmp_lt_i32_e64 s[16:17], v15, v16
	v_cndmask_b32_e64 v15, v15, v29, s[16:17]
	v_lshlrev_b32_e32 v15, 2, v15
	ds_bpermute_b32 v26, v15, v14
	v_cmp_eq_u32_e64 s[16:17], 0, v29
	s_and_saveexec_b64 s[26:27], vcc
	s_cbranch_execz .LBB573_271
; %bb.249:
	v_mov_b32_e32 v23, 0
	ds_read_b32 v14, v23 offset:12
	s_and_saveexec_b64 s[34:35], s[16:17]
	s_cbranch_execz .LBB573_251
; %bb.250:
	s_add_i32 s36, s33, 64
	s_mov_b32 s37, 0
	s_lshl_b64 s[36:37], s[36:37], 3
	s_add_u32 s36, s18, s36
	v_mov_b32_e32 v15, 1
	s_addc_u32 s37, s19, s37
	s_waitcnt lgkmcnt(0)
	global_store_dwordx2 v23, v[14:15], s[36:37]
.LBB573_251:
	s_or_b64 exec, exec, s[34:35]
	v_xad_u32 v16, v29, -1, s33
	v_add_u32_e32 v22, 64, v16
	v_lshlrev_b64 v[18:19], 3, v[22:23]
	v_mov_b32_e32 v15, s19
	v_add_co_u32_e32 v18, vcc, s18, v18
	v_addc_co_u32_e32 v19, vcc, v15, v19, vcc
	global_load_dwordx2 v[20:21], v[18:19], off glc
	s_waitcnt vmcnt(0)
	v_cmp_eq_u16_sdwa s[36:37], v21, v23 src0_sel:BYTE_0 src1_sel:DWORD
	s_and_saveexec_b64 s[34:35], s[36:37]
	s_cbranch_execz .LBB573_257
; %bb.252:
	s_mov_b32 s38, 1
	s_mov_b64 s[36:37], 0
	v_mov_b32_e32 v15, 0
.LBB573_253:                            ; =>This Loop Header: Depth=1
                                        ;     Child Loop BB573_254 Depth 2
	s_max_u32 s39, s38, 1
.LBB573_254:                            ;   Parent Loop BB573_253 Depth=1
                                        ; =>  This Inner Loop Header: Depth=2
	s_add_i32 s39, s39, -1
	s_cmp_eq_u32 s39, 0
	s_sleep 1
	s_cbranch_scc0 .LBB573_254
; %bb.255:                              ;   in Loop: Header=BB573_253 Depth=1
	global_load_dwordx2 v[20:21], v[18:19], off glc
	s_cmp_lt_u32 s38, 32
	s_cselect_b64 s[40:41], -1, 0
	s_cmp_lg_u64 s[40:41], 0
	s_addc_u32 s38, s38, 0
	s_waitcnt vmcnt(0)
	v_cmp_ne_u16_sdwa s[40:41], v21, v15 src0_sel:BYTE_0 src1_sel:DWORD
	s_or_b64 s[36:37], s[40:41], s[36:37]
	s_andn2_b64 exec, exec, s[36:37]
	s_cbranch_execnz .LBB573_253
; %bb.256:
	s_or_b64 exec, exec, s[36:37]
.LBB573_257:
	s_or_b64 exec, exec, s[34:35]
	v_and_b32_e32 v32, 63, v29
	v_mov_b32_e32 v15, 2
	v_cmp_ne_u32_e32 vcc, 63, v32
	v_cmp_eq_u16_sdwa s[34:35], v21, v15 src0_sel:BYTE_0 src1_sel:DWORD
	v_lshlrev_b64 v[18:19], v29, -1
	v_addc_co_u32_e32 v23, vcc, 0, v29, vcc
	v_and_b32_e32 v17, s35, v19
	v_lshlrev_b32_e32 v33, 2, v23
	v_or_b32_e32 v17, 0x80000000, v17
	ds_bpermute_b32 v23, v33, v20
	v_and_b32_e32 v22, s34, v18
	v_ffbl_b32_e32 v17, v17
	v_add_u32_e32 v17, 32, v17
	v_ffbl_b32_e32 v22, v22
	v_min_u32_e32 v17, v22, v17
	v_cmp_lt_u32_e32 vcc, v32, v17
	s_waitcnt lgkmcnt(0)
	v_cndmask_b32_e32 v22, 0, v23, vcc
	v_cmp_gt_u32_e32 vcc, 62, v32
	v_add_u32_e32 v20, v22, v20
	v_cndmask_b32_e64 v22, 0, 1, vcc
	v_lshlrev_b32_e32 v22, 1, v22
	v_add_lshl_u32 v34, v22, v29, 2
	ds_bpermute_b32 v22, v34, v20
	v_add_u32_e32 v35, 2, v32
	v_cmp_le_u32_e32 vcc, v35, v17
	v_add_u32_e32 v37, 4, v32
	v_add_u32_e32 v39, 8, v32
	s_waitcnt lgkmcnt(0)
	v_cndmask_b32_e32 v22, 0, v22, vcc
	v_cmp_gt_u32_e32 vcc, 60, v32
	v_add_u32_e32 v20, v20, v22
	v_cndmask_b32_e64 v22, 0, 1, vcc
	v_lshlrev_b32_e32 v22, 2, v22
	v_add_lshl_u32 v36, v22, v29, 2
	ds_bpermute_b32 v22, v36, v20
	v_cmp_le_u32_e32 vcc, v37, v17
	v_add_u32_e32 v42, 16, v32
	v_add_u32_e32 v44, 32, v32
	s_waitcnt lgkmcnt(0)
	v_cndmask_b32_e32 v22, 0, v22, vcc
	v_cmp_gt_u32_e32 vcc, 56, v32
	v_add_u32_e32 v20, v20, v22
	v_cndmask_b32_e64 v22, 0, 1, vcc
	v_lshlrev_b32_e32 v22, 3, v22
	v_add_lshl_u32 v38, v22, v29, 2
	ds_bpermute_b32 v22, v38, v20
	v_cmp_le_u32_e32 vcc, v39, v17
	s_waitcnt lgkmcnt(0)
	v_cndmask_b32_e32 v22, 0, v22, vcc
	v_cmp_gt_u32_e32 vcc, 48, v32
	v_add_u32_e32 v20, v20, v22
	v_cndmask_b32_e64 v22, 0, 1, vcc
	v_lshlrev_b32_e32 v22, 4, v22
	v_add_lshl_u32 v41, v22, v29, 2
	ds_bpermute_b32 v22, v41, v20
	v_cmp_le_u32_e32 vcc, v42, v17
	;; [unrolled: 9-line block ×3, first 2 shown]
	s_waitcnt lgkmcnt(0)
	v_cndmask_b32_e32 v17, 0, v22, vcc
	v_add_u32_e32 v20, v20, v17
	v_mov_b32_e32 v17, 0
	s_branch .LBB573_259
.LBB573_258:                            ;   in Loop: Header=BB573_259 Depth=1
	s_or_b64 exec, exec, s[34:35]
	v_cmp_eq_u16_sdwa s[34:35], v21, v15 src0_sel:BYTE_0 src1_sel:DWORD
	v_and_b32_e32 v22, s35, v19
	v_or_b32_e32 v22, 0x80000000, v22
	ds_bpermute_b32 v45, v33, v20
	v_and_b32_e32 v23, s34, v18
	v_ffbl_b32_e32 v22, v22
	v_add_u32_e32 v22, 32, v22
	v_ffbl_b32_e32 v23, v23
	v_min_u32_e32 v22, v23, v22
	v_cmp_lt_u32_e32 vcc, v32, v22
	s_waitcnt lgkmcnt(0)
	v_cndmask_b32_e32 v23, 0, v45, vcc
	v_add_u32_e32 v20, v23, v20
	ds_bpermute_b32 v23, v34, v20
	v_cmp_le_u32_e32 vcc, v35, v22
	v_subrev_u32_e32 v16, 64, v16
	s_waitcnt lgkmcnt(0)
	v_cndmask_b32_e32 v23, 0, v23, vcc
	v_add_u32_e32 v20, v20, v23
	ds_bpermute_b32 v23, v36, v20
	v_cmp_le_u32_e32 vcc, v37, v22
	s_waitcnt lgkmcnt(0)
	v_cndmask_b32_e32 v23, 0, v23, vcc
	v_add_u32_e32 v20, v20, v23
	ds_bpermute_b32 v23, v38, v20
	v_cmp_le_u32_e32 vcc, v39, v22
	;; [unrolled: 5-line block ×4, first 2 shown]
	s_waitcnt lgkmcnt(0)
	v_cndmask_b32_e32 v22, 0, v23, vcc
	v_add3_u32 v20, v22, v40, v20
.LBB573_259:                            ; =>This Loop Header: Depth=1
                                        ;     Child Loop BB573_262 Depth 2
                                        ;       Child Loop BB573_263 Depth 3
	v_cmp_ne_u16_sdwa s[34:35], v21, v15 src0_sel:BYTE_0 src1_sel:DWORD
	v_cndmask_b32_e64 v21, 0, 1, s[34:35]
	;;#ASMSTART
	;;#ASMEND
	v_cmp_ne_u32_e32 vcc, 0, v21
	s_cmp_lg_u64 vcc, exec
	v_mov_b32_e32 v40, v20
	s_cbranch_scc1 .LBB573_266
; %bb.260:                              ;   in Loop: Header=BB573_259 Depth=1
	v_lshlrev_b64 v[20:21], 3, v[16:17]
	v_mov_b32_e32 v23, s19
	v_add_co_u32_e32 v22, vcc, s18, v20
	v_addc_co_u32_e32 v23, vcc, v23, v21, vcc
	global_load_dwordx2 v[20:21], v[22:23], off glc
	s_waitcnt vmcnt(0)
	v_cmp_eq_u16_sdwa s[36:37], v21, v17 src0_sel:BYTE_0 src1_sel:DWORD
	s_and_saveexec_b64 s[34:35], s[36:37]
	s_cbranch_execz .LBB573_258
; %bb.261:                              ;   in Loop: Header=BB573_259 Depth=1
	s_mov_b32 s38, 1
	s_mov_b64 s[36:37], 0
.LBB573_262:                            ;   Parent Loop BB573_259 Depth=1
                                        ; =>  This Loop Header: Depth=2
                                        ;       Child Loop BB573_263 Depth 3
	s_max_u32 s39, s38, 1
.LBB573_263:                            ;   Parent Loop BB573_259 Depth=1
                                        ;     Parent Loop BB573_262 Depth=2
                                        ; =>    This Inner Loop Header: Depth=3
	s_add_i32 s39, s39, -1
	s_cmp_eq_u32 s39, 0
	s_sleep 1
	s_cbranch_scc0 .LBB573_263
; %bb.264:                              ;   in Loop: Header=BB573_262 Depth=2
	global_load_dwordx2 v[20:21], v[22:23], off glc
	s_cmp_lt_u32 s38, 32
	s_cselect_b64 s[40:41], -1, 0
	s_cmp_lg_u64 s[40:41], 0
	s_addc_u32 s38, s38, 0
	s_waitcnt vmcnt(0)
	v_cmp_ne_u16_sdwa s[40:41], v21, v17 src0_sel:BYTE_0 src1_sel:DWORD
	s_or_b64 s[36:37], s[40:41], s[36:37]
	s_andn2_b64 exec, exec, s[36:37]
	s_cbranch_execnz .LBB573_262
; %bb.265:                              ;   in Loop: Header=BB573_259 Depth=1
	s_or_b64 exec, exec, s[36:37]
	s_branch .LBB573_258
.LBB573_266:                            ;   in Loop: Header=BB573_259 Depth=1
                                        ; implicit-def: $vgpr20
                                        ; implicit-def: $vgpr21
	s_cbranch_execz .LBB573_259
; %bb.267:
	s_and_saveexec_b64 s[34:35], s[16:17]
	s_cbranch_execz .LBB573_269
; %bb.268:
	s_add_i32 s36, s33, 64
	s_mov_b32 s37, 0
	s_lshl_b64 s[36:37], s[36:37], 3
	s_add_u32 s36, s18, s36
	v_add_u32_e32 v16, v40, v14
	v_mov_b32_e32 v17, 2
	s_addc_u32 s37, s19, s37
	v_mov_b32_e32 v15, 0
	s_movk_i32 s33, 0x2800
	global_store_dwordx2 v15, v[16:17], s[36:37]
	v_add_u32_e64 v15, s33, 0
	ds_write2_b32 v15, v14, v40 offset1:2
.LBB573_269:
	s_or_b64 exec, exec, s[34:35]
	s_and_b64 exec, exec, s[0:1]
	s_cbranch_execz .LBB573_271
; %bb.270:
	v_mov_b32_e32 v14, 0
	ds_write_b32 v14, v40 offset:12
.LBB573_271:
	s_or_b64 exec, exec, s[26:27]
	v_mov_b32_e32 v14, 0
	s_waitcnt lgkmcnt(0)
	s_barrier
	ds_read_b32 v14, v14 offset:12
	v_cndmask_b32_e64 v15, v26, v24, s[16:17]
	v_cndmask_b32_e64 v15, v15, 0, s[0:1]
	s_movk_i32 s16, 0x2800
	s_waitcnt lgkmcnt(0)
	v_add_u32_e32 v26, v14, v15
	v_add_u32_e64 v14, s16, 0
	s_barrier
	ds_read2_b32 v[14:15], v14 offset1:2
	v_add_u32_e32 v24, v26, v1
	v_add_u32_e32 v22, v24, v25
	;; [unrolled: 1-line block ×4, first 2 shown]
	v_lshrrev_b64 v[16:17], 24, v[12:13]
	s_branch .LBB573_282
.LBB573_272:
                                        ; implicit-def: $vgpr18
                                        ; implicit-def: $vgpr20
                                        ; implicit-def: $vgpr22
                                        ; implicit-def: $vgpr24
                                        ; implicit-def: $vgpr26
                                        ; implicit-def: $vgpr15
	v_lshrrev_b64 v[16:17], 24, v[12:13]
	s_cbranch_execz .LBB573_282
; %bb.273:
	s_waitcnt lgkmcnt(0)
	v_mov_b32_dpp v14, v31 row_shr:1 row_mask:0xf bank_mask:0xf
	v_cndmask_b32_e64 v14, v14, 0, s[14:15]
	v_add_u32_e32 v14, v14, v31
	s_nop 1
	v_mov_b32_dpp v15, v14 row_shr:2 row_mask:0xf bank_mask:0xf
	v_cndmask_b32_e64 v15, 0, v15, s[12:13]
	v_add_u32_e32 v14, v14, v15
	s_nop 1
	;; [unrolled: 4-line block ×4, first 2 shown]
	v_mov_b32_dpp v15, v14 row_bcast:15 row_mask:0xf bank_mask:0xf
	v_cndmask_b32_e64 v15, v15, 0, s[6:7]
	v_add_u32_e32 v14, v14, v15
	s_nop 1
	v_mov_b32_dpp v15, v14 row_bcast:31 row_mask:0xf bank_mask:0xf
	v_cndmask_b32_e64 v15, 0, v15, s[2:3]
	v_add_u32_e32 v14, v14, v15
	s_and_saveexec_b64 s[2:3], s[4:5]
	s_cbranch_execz .LBB573_275
; %bb.274:
	v_lshlrev_b32_e32 v15, 2, v30
	ds_write_b32 v15, v14
.LBB573_275:
	s_or_b64 exec, exec, s[2:3]
	v_cmp_gt_u32_e32 vcc, 4, v0
	s_waitcnt lgkmcnt(0)
	s_barrier
	s_and_saveexec_b64 s[2:3], vcc
	s_cbranch_execz .LBB573_277
; %bb.276:
	v_lshlrev_b32_e32 v15, 2, v0
	ds_read_b32 v17, v15
	v_and_b32_e32 v18, 3, v29
	v_cmp_ne_u32_e32 vcc, 0, v18
	s_waitcnt lgkmcnt(0)
	v_mov_b32_dpp v19, v17 row_shr:1 row_mask:0xf bank_mask:0xf
	v_cndmask_b32_e32 v19, 0, v19, vcc
	v_add_u32_e32 v17, v19, v17
	v_cmp_lt_u32_e32 vcc, 1, v18
	s_nop 0
	v_mov_b32_dpp v19, v17 row_shr:2 row_mask:0xf bank_mask:0xf
	v_cndmask_b32_e32 v18, 0, v19, vcc
	v_add_u32_e32 v17, v17, v18
	ds_write_b32 v15, v17
.LBB573_277:
	s_or_b64 exec, exec, s[2:3]
	v_cmp_lt_u32_e32 vcc, 63, v0
	v_mov_b32_e32 v15, 0
	v_mov_b32_e32 v17, 0
	s_waitcnt lgkmcnt(0)
	s_barrier
	s_and_saveexec_b64 s[2:3], vcc
	s_cbranch_execz .LBB573_279
; %bb.278:
	v_lshl_add_u32 v17, v30, 2, -4
	ds_read_b32 v17, v17
.LBB573_279:
	s_or_b64 exec, exec, s[2:3]
	v_add_u32_e32 v18, -1, v29
	v_and_b32_e32 v19, 64, v29
	v_cmp_lt_i32_e32 vcc, v18, v19
	v_cndmask_b32_e32 v18, v18, v29, vcc
	s_waitcnt lgkmcnt(0)
	v_add_u32_e32 v14, v17, v14
	v_lshlrev_b32_e32 v18, 2, v18
	ds_bpermute_b32 v18, v18, v14
	ds_read_b32 v14, v15 offset:12
	s_and_saveexec_b64 s[2:3], s[0:1]
	s_cbranch_execz .LBB573_281
; %bb.280:
	v_mov_b32_e32 v19, 0
	v_mov_b32_e32 v15, 2
	s_waitcnt lgkmcnt(0)
	global_store_dwordx2 v19, v[14:15], s[18:19] offset:512
.LBB573_281:
	s_or_b64 exec, exec, s[2:3]
	v_cmp_eq_u32_e32 vcc, 0, v29
	s_waitcnt lgkmcnt(1)
	v_cndmask_b32_e32 v17, v18, v17, vcc
	v_cndmask_b32_e64 v26, v17, 0, s[0:1]
	v_add_u32_e32 v24, v26, v1
	v_add_u32_e32 v22, v24, v25
	;; [unrolled: 1-line block ×3, first 2 shown]
	v_mov_b32_e32 v15, 0
	v_add_u32_e32 v18, v20, v28
	s_waitcnt lgkmcnt(0)
	s_barrier
.LBB573_282:
	s_movk_i32 s2, 0x101
	s_waitcnt lgkmcnt(0)
	v_cmp_gt_u32_e32 vcc, s2, v14
	v_lshrrev_b32_e32 v1, 8, v12
	s_mov_b64 s[2:3], -1
	s_cbranch_vccnz .LBB573_286
; %bb.283:
	s_and_b64 vcc, exec, s[2:3]
	s_cbranch_vccnz .LBB573_302
.LBB573_284:
	s_and_b64 s[0:1], s[0:1], s[24:25]
	s_and_saveexec_b64 s[2:3], s[0:1]
	s_cbranch_execnz .LBB573_316
.LBB573_285:
	s_endpgm
.LBB573_286:
	v_add_u32_e32 v17, v15, v14
	v_cmp_lt_u32_e32 vcc, v26, v17
	s_or_b64 s[4:5], s[30:31], vcc
	s_and_saveexec_b64 s[2:3], s[4:5]
	s_cbranch_execz .LBB573_289
; %bb.287:
	v_and_b32_e32 v19, 1, v12
	v_cmp_eq_u32_e32 vcc, 1, v19
	s_and_b64 exec, exec, vcc
	s_cbranch_execz .LBB573_289
; %bb.288:
	s_lshl_b64 s[4:5], s[22:23], 3
	s_add_u32 s4, s28, s4
	v_mov_b32_e32 v27, 0
	s_addc_u32 s5, s29, s5
	v_lshlrev_b64 v[28:29], 3, v[26:27]
	v_mov_b32_e32 v19, s5
	v_add_co_u32_e32 v28, vcc, s4, v28
	v_addc_co_u32_e32 v29, vcc, v19, v29, vcc
	global_store_dwordx2 v[28:29], v[6:7], off
.LBB573_289:
	s_or_b64 exec, exec, s[2:3]
	v_cmp_lt_u32_e32 vcc, v24, v17
	s_or_b64 s[4:5], s[30:31], vcc
	s_and_saveexec_b64 s[2:3], s[4:5]
	s_cbranch_execz .LBB573_292
; %bb.290:
	v_and_b32_e32 v19, 1, v1
	v_cmp_eq_u32_e32 vcc, 1, v19
	s_and_b64 exec, exec, vcc
	s_cbranch_execz .LBB573_292
; %bb.291:
	s_lshl_b64 s[4:5], s[22:23], 3
	s_add_u32 s4, s28, s4
	v_mov_b32_e32 v25, 0
	s_addc_u32 s5, s29, s5
	v_lshlrev_b64 v[28:29], 3, v[24:25]
	v_mov_b32_e32 v19, s5
	v_add_co_u32_e32 v28, vcc, s4, v28
	v_addc_co_u32_e32 v29, vcc, v19, v29, vcc
	global_store_dwordx2 v[28:29], v[8:9], off
.LBB573_292:
	s_or_b64 exec, exec, s[2:3]
	v_cmp_lt_u32_e32 vcc, v22, v17
	s_or_b64 s[4:5], s[30:31], vcc
	s_and_saveexec_b64 s[2:3], s[4:5]
	s_cbranch_execz .LBB573_295
; %bb.293:
	v_mov_b32_e32 v19, 1
	v_and_b32_sdwa v19, v19, v12 dst_sel:DWORD dst_unused:UNUSED_PAD src0_sel:DWORD src1_sel:WORD_1
	v_cmp_eq_u32_e32 vcc, 1, v19
	s_and_b64 exec, exec, vcc
	s_cbranch_execz .LBB573_295
; %bb.294:
	s_lshl_b64 s[4:5], s[22:23], 3
	s_add_u32 s4, s28, s4
	v_mov_b32_e32 v23, 0
	s_addc_u32 s5, s29, s5
	v_lshlrev_b64 v[28:29], 3, v[22:23]
	v_mov_b32_e32 v19, s5
	v_add_co_u32_e32 v28, vcc, s4, v28
	v_addc_co_u32_e32 v29, vcc, v19, v29, vcc
	global_store_dwordx2 v[28:29], v[2:3], off
.LBB573_295:
	s_or_b64 exec, exec, s[2:3]
	v_cmp_lt_u32_e32 vcc, v20, v17
	s_or_b64 s[4:5], s[30:31], vcc
	s_and_saveexec_b64 s[2:3], s[4:5]
	s_cbranch_execz .LBB573_298
; %bb.296:
	v_and_b32_e32 v19, 1, v16
	v_cmp_eq_u32_e32 vcc, 1, v19
	s_and_b64 exec, exec, vcc
	s_cbranch_execz .LBB573_298
; %bb.297:
	s_lshl_b64 s[4:5], s[22:23], 3
	s_add_u32 s4, s28, s4
	v_mov_b32_e32 v21, 0
	s_addc_u32 s5, s29, s5
	v_lshlrev_b64 v[28:29], 3, v[20:21]
	v_mov_b32_e32 v19, s5
	v_add_co_u32_e32 v28, vcc, s4, v28
	v_addc_co_u32_e32 v29, vcc, v19, v29, vcc
	global_store_dwordx2 v[28:29], v[4:5], off
.LBB573_298:
	s_or_b64 exec, exec, s[2:3]
	v_cmp_lt_u32_e32 vcc, v18, v17
	s_or_b64 s[4:5], s[30:31], vcc
	s_and_saveexec_b64 s[2:3], s[4:5]
	s_cbranch_execz .LBB573_301
; %bb.299:
	v_and_b32_e32 v17, 1, v13
	v_cmp_eq_u32_e32 vcc, 1, v17
	s_and_b64 exec, exec, vcc
	s_cbranch_execz .LBB573_301
; %bb.300:
	s_lshl_b64 s[4:5], s[22:23], 3
	s_add_u32 s4, s28, s4
	v_mov_b32_e32 v19, 0
	s_addc_u32 s5, s29, s5
	v_lshlrev_b64 v[28:29], 3, v[18:19]
	v_mov_b32_e32 v17, s5
	v_add_co_u32_e32 v28, vcc, s4, v28
	v_addc_co_u32_e32 v29, vcc, v17, v29, vcc
	global_store_dwordx2 v[28:29], v[10:11], off
.LBB573_301:
	s_or_b64 exec, exec, s[2:3]
	s_branch .LBB573_284
.LBB573_302:
	v_and_b32_e32 v17, 1, v12
	v_cmp_eq_u32_e32 vcc, 1, v17
	s_and_saveexec_b64 s[2:3], vcc
	s_cbranch_execz .LBB573_304
; %bb.303:
	v_sub_u32_e32 v17, v26, v15
	v_lshlrev_b32_e32 v17, 3, v17
	ds_write_b64 v17, v[6:7]
.LBB573_304:
	s_or_b64 exec, exec, s[2:3]
	v_and_b32_e32 v1, 1, v1
	v_cmp_eq_u32_e32 vcc, 1, v1
	s_and_saveexec_b64 s[2:3], vcc
	s_cbranch_execz .LBB573_306
; %bb.305:
	v_sub_u32_e32 v1, v24, v15
	v_lshlrev_b32_e32 v1, 3, v1
	ds_write_b64 v1, v[8:9]
.LBB573_306:
	s_or_b64 exec, exec, s[2:3]
	v_mov_b32_e32 v1, 1
	v_and_b32_sdwa v1, v1, v12 dst_sel:DWORD dst_unused:UNUSED_PAD src0_sel:DWORD src1_sel:WORD_1
	v_cmp_eq_u32_e32 vcc, 1, v1
	s_and_saveexec_b64 s[2:3], vcc
	s_cbranch_execz .LBB573_308
; %bb.307:
	v_sub_u32_e32 v1, v22, v15
	v_lshlrev_b32_e32 v1, 3, v1
	ds_write_b64 v1, v[2:3]
.LBB573_308:
	s_or_b64 exec, exec, s[2:3]
	v_and_b32_e32 v1, 1, v16
	v_cmp_eq_u32_e32 vcc, 1, v1
	s_and_saveexec_b64 s[2:3], vcc
	s_cbranch_execz .LBB573_310
; %bb.309:
	v_sub_u32_e32 v1, v20, v15
	v_lshlrev_b32_e32 v1, 3, v1
	ds_write_b64 v1, v[4:5]
.LBB573_310:
	s_or_b64 exec, exec, s[2:3]
	v_and_b32_e32 v1, 1, v13
	v_cmp_eq_u32_e32 vcc, 1, v1
	s_and_saveexec_b64 s[2:3], vcc
	s_cbranch_execz .LBB573_312
; %bb.311:
	v_sub_u32_e32 v1, v18, v15
	v_lshlrev_b32_e32 v1, 3, v1
	ds_write_b64 v1, v[10:11]
.LBB573_312:
	s_or_b64 exec, exec, s[2:3]
	v_cmp_lt_u32_e32 vcc, v0, v14
	s_waitcnt lgkmcnt(0)
	s_barrier
	s_and_saveexec_b64 s[2:3], vcc
	s_cbranch_execz .LBB573_315
; %bb.313:
	v_mov_b32_e32 v1, 0
	v_mov_b32_e32 v2, v15
	;; [unrolled: 1-line block ×3, first 2 shown]
	v_lshlrev_b64 v[2:3], 3, v[2:3]
	v_mov_b32_e32 v4, s29
	v_add_co_u32_e32 v2, vcc, s28, v2
	v_addc_co_u32_e32 v3, vcc, v4, v3, vcc
	s_lshl_b64 s[4:5], s[22:23], 3
	v_mov_b32_e32 v4, s5
	v_add_co_u32_e32 v2, vcc, s4, v2
	v_addc_co_u32_e32 v3, vcc, v3, v4, vcc
	v_lshlrev_b32_e32 v4, 3, v0
	s_mov_b64 s[4:5], 0
.LBB573_314:                            ; =>This Inner Loop Header: Depth=1
	ds_read_b64 v[6:7], v4
	v_lshlrev_b64 v[8:9], 3, v[0:1]
	v_add_co_u32_e32 v8, vcc, v2, v8
	v_add_u32_e32 v0, 0x100, v0
	v_addc_co_u32_e32 v9, vcc, v3, v9, vcc
	v_cmp_ge_u32_e32 vcc, v0, v14
	v_add_u32_e32 v4, 0x800, v4
	s_or_b64 s[4:5], vcc, s[4:5]
	s_waitcnt lgkmcnt(0)
	global_store_dwordx2 v[8:9], v[6:7], off
	s_andn2_b64 exec, exec, s[4:5]
	s_cbranch_execnz .LBB573_314
.LBB573_315:
	s_or_b64 exec, exec, s[2:3]
	s_and_b64 s[0:1], s[0:1], s[24:25]
	s_and_saveexec_b64 s[2:3], s[0:1]
	s_cbranch_execz .LBB573_285
.LBB573_316:
	v_mov_b32_e32 v0, s23
	v_add_co_u32_e32 v1, vcc, s22, v14
	v_addc_co_u32_e32 v3, vcc, 0, v0, vcc
	v_add_co_u32_e32 v0, vcc, v1, v15
	v_mov_b32_e32 v2, 0
	v_addc_co_u32_e32 v1, vcc, 0, v3, vcc
	global_store_dwordx2 v2, v[0:1], s[20:21]
	s_endpgm
	.section	.rodata,"a",@progbits
	.p2align	6, 0x0
	.amdhsa_kernel _ZN7rocprim17ROCPRIM_400000_NS6detail17trampoline_kernelINS0_14default_configENS1_25partition_config_selectorILNS1_17partition_subalgoE8ElNS0_10empty_typeEbEEZZNS1_14partition_implILS5_8ELb0ES3_jPlPS6_PKS6_NS0_5tupleIJS9_S6_EEENSD_IJSA_SA_EEENS0_18inequality_wrapperIZN2at6native12_GLOBAL__N_124unique_dim_cuda_templateIlEESt5tupleIJNSH_6TensorESM_SM_EERKSM_lbbbEUlllE0_EEPmJS6_EEE10hipError_tPvRmT3_T4_T5_T6_T7_T9_mT8_P12ihipStream_tbDpT10_ENKUlT_T0_E_clISt17integral_constantIbLb1EES1C_EEDaS17_S18_EUlS17_E_NS1_11comp_targetILNS1_3genE4ELNS1_11target_archE910ELNS1_3gpuE8ELNS1_3repE0EEENS1_30default_config_static_selectorELNS0_4arch9wavefront6targetE1EEEvT1_
		.amdhsa_group_segment_fixed_size 10252
		.amdhsa_private_segment_fixed_size 0
		.amdhsa_kernarg_size 136
		.amdhsa_user_sgpr_count 6
		.amdhsa_user_sgpr_private_segment_buffer 1
		.amdhsa_user_sgpr_dispatch_ptr 0
		.amdhsa_user_sgpr_queue_ptr 0
		.amdhsa_user_sgpr_kernarg_segment_ptr 1
		.amdhsa_user_sgpr_dispatch_id 0
		.amdhsa_user_sgpr_flat_scratch_init 0
		.amdhsa_user_sgpr_kernarg_preload_length 0
		.amdhsa_user_sgpr_kernarg_preload_offset 0
		.amdhsa_user_sgpr_private_segment_size 0
		.amdhsa_uses_dynamic_stack 0
		.amdhsa_system_sgpr_private_segment_wavefront_offset 0
		.amdhsa_system_sgpr_workgroup_id_x 1
		.amdhsa_system_sgpr_workgroup_id_y 0
		.amdhsa_system_sgpr_workgroup_id_z 0
		.amdhsa_system_sgpr_workgroup_info 0
		.amdhsa_system_vgpr_workitem_id 0
		.amdhsa_next_free_vgpr 46
		.amdhsa_next_free_sgpr 52
		.amdhsa_accum_offset 48
		.amdhsa_reserve_vcc 1
		.amdhsa_reserve_flat_scratch 0
		.amdhsa_float_round_mode_32 0
		.amdhsa_float_round_mode_16_64 0
		.amdhsa_float_denorm_mode_32 3
		.amdhsa_float_denorm_mode_16_64 3
		.amdhsa_dx10_clamp 1
		.amdhsa_ieee_mode 1
		.amdhsa_fp16_overflow 0
		.amdhsa_tg_split 0
		.amdhsa_exception_fp_ieee_invalid_op 0
		.amdhsa_exception_fp_denorm_src 0
		.amdhsa_exception_fp_ieee_div_zero 0
		.amdhsa_exception_fp_ieee_overflow 0
		.amdhsa_exception_fp_ieee_underflow 0
		.amdhsa_exception_fp_ieee_inexact 0
		.amdhsa_exception_int_div_zero 0
	.end_amdhsa_kernel
	.section	.text._ZN7rocprim17ROCPRIM_400000_NS6detail17trampoline_kernelINS0_14default_configENS1_25partition_config_selectorILNS1_17partition_subalgoE8ElNS0_10empty_typeEbEEZZNS1_14partition_implILS5_8ELb0ES3_jPlPS6_PKS6_NS0_5tupleIJS9_S6_EEENSD_IJSA_SA_EEENS0_18inequality_wrapperIZN2at6native12_GLOBAL__N_124unique_dim_cuda_templateIlEESt5tupleIJNSH_6TensorESM_SM_EERKSM_lbbbEUlllE0_EEPmJS6_EEE10hipError_tPvRmT3_T4_T5_T6_T7_T9_mT8_P12ihipStream_tbDpT10_ENKUlT_T0_E_clISt17integral_constantIbLb1EES1C_EEDaS17_S18_EUlS17_E_NS1_11comp_targetILNS1_3genE4ELNS1_11target_archE910ELNS1_3gpuE8ELNS1_3repE0EEENS1_30default_config_static_selectorELNS0_4arch9wavefront6targetE1EEEvT1_,"axG",@progbits,_ZN7rocprim17ROCPRIM_400000_NS6detail17trampoline_kernelINS0_14default_configENS1_25partition_config_selectorILNS1_17partition_subalgoE8ElNS0_10empty_typeEbEEZZNS1_14partition_implILS5_8ELb0ES3_jPlPS6_PKS6_NS0_5tupleIJS9_S6_EEENSD_IJSA_SA_EEENS0_18inequality_wrapperIZN2at6native12_GLOBAL__N_124unique_dim_cuda_templateIlEESt5tupleIJNSH_6TensorESM_SM_EERKSM_lbbbEUlllE0_EEPmJS6_EEE10hipError_tPvRmT3_T4_T5_T6_T7_T9_mT8_P12ihipStream_tbDpT10_ENKUlT_T0_E_clISt17integral_constantIbLb1EES1C_EEDaS17_S18_EUlS17_E_NS1_11comp_targetILNS1_3genE4ELNS1_11target_archE910ELNS1_3gpuE8ELNS1_3repE0EEENS1_30default_config_static_selectorELNS0_4arch9wavefront6targetE1EEEvT1_,comdat
.Lfunc_end573:
	.size	_ZN7rocprim17ROCPRIM_400000_NS6detail17trampoline_kernelINS0_14default_configENS1_25partition_config_selectorILNS1_17partition_subalgoE8ElNS0_10empty_typeEbEEZZNS1_14partition_implILS5_8ELb0ES3_jPlPS6_PKS6_NS0_5tupleIJS9_S6_EEENSD_IJSA_SA_EEENS0_18inequality_wrapperIZN2at6native12_GLOBAL__N_124unique_dim_cuda_templateIlEESt5tupleIJNSH_6TensorESM_SM_EERKSM_lbbbEUlllE0_EEPmJS6_EEE10hipError_tPvRmT3_T4_T5_T6_T7_T9_mT8_P12ihipStream_tbDpT10_ENKUlT_T0_E_clISt17integral_constantIbLb1EES1C_EEDaS17_S18_EUlS17_E_NS1_11comp_targetILNS1_3genE4ELNS1_11target_archE910ELNS1_3gpuE8ELNS1_3repE0EEENS1_30default_config_static_selectorELNS0_4arch9wavefront6targetE1EEEvT1_, .Lfunc_end573-_ZN7rocprim17ROCPRIM_400000_NS6detail17trampoline_kernelINS0_14default_configENS1_25partition_config_selectorILNS1_17partition_subalgoE8ElNS0_10empty_typeEbEEZZNS1_14partition_implILS5_8ELb0ES3_jPlPS6_PKS6_NS0_5tupleIJS9_S6_EEENSD_IJSA_SA_EEENS0_18inequality_wrapperIZN2at6native12_GLOBAL__N_124unique_dim_cuda_templateIlEESt5tupleIJNSH_6TensorESM_SM_EERKSM_lbbbEUlllE0_EEPmJS6_EEE10hipError_tPvRmT3_T4_T5_T6_T7_T9_mT8_P12ihipStream_tbDpT10_ENKUlT_T0_E_clISt17integral_constantIbLb1EES1C_EEDaS17_S18_EUlS17_E_NS1_11comp_targetILNS1_3genE4ELNS1_11target_archE910ELNS1_3gpuE8ELNS1_3repE0EEENS1_30default_config_static_selectorELNS0_4arch9wavefront6targetE1EEEvT1_
                                        ; -- End function
	.section	.AMDGPU.csdata,"",@progbits
; Kernel info:
; codeLenInByte = 11652
; NumSgprs: 56
; NumVgprs: 46
; NumAgprs: 0
; TotalNumVgprs: 46
; ScratchSize: 0
; MemoryBound: 1
; FloatMode: 240
; IeeeMode: 1
; LDSByteSize: 10252 bytes/workgroup (compile time only)
; SGPRBlocks: 6
; VGPRBlocks: 5
; NumSGPRsForWavesPerEU: 56
; NumVGPRsForWavesPerEU: 46
; AccumOffset: 48
; Occupancy: 6
; WaveLimiterHint : 1
; COMPUTE_PGM_RSRC2:SCRATCH_EN: 0
; COMPUTE_PGM_RSRC2:USER_SGPR: 6
; COMPUTE_PGM_RSRC2:TRAP_HANDLER: 0
; COMPUTE_PGM_RSRC2:TGID_X_EN: 1
; COMPUTE_PGM_RSRC2:TGID_Y_EN: 0
; COMPUTE_PGM_RSRC2:TGID_Z_EN: 0
; COMPUTE_PGM_RSRC2:TIDIG_COMP_CNT: 0
; COMPUTE_PGM_RSRC3_GFX90A:ACCUM_OFFSET: 11
; COMPUTE_PGM_RSRC3_GFX90A:TG_SPLIT: 0
	.section	.text._ZN7rocprim17ROCPRIM_400000_NS6detail17trampoline_kernelINS0_14default_configENS1_25partition_config_selectorILNS1_17partition_subalgoE8ElNS0_10empty_typeEbEEZZNS1_14partition_implILS5_8ELb0ES3_jPlPS6_PKS6_NS0_5tupleIJS9_S6_EEENSD_IJSA_SA_EEENS0_18inequality_wrapperIZN2at6native12_GLOBAL__N_124unique_dim_cuda_templateIlEESt5tupleIJNSH_6TensorESM_SM_EERKSM_lbbbEUlllE0_EEPmJS6_EEE10hipError_tPvRmT3_T4_T5_T6_T7_T9_mT8_P12ihipStream_tbDpT10_ENKUlT_T0_E_clISt17integral_constantIbLb1EES1C_EEDaS17_S18_EUlS17_E_NS1_11comp_targetILNS1_3genE3ELNS1_11target_archE908ELNS1_3gpuE7ELNS1_3repE0EEENS1_30default_config_static_selectorELNS0_4arch9wavefront6targetE1EEEvT1_,"axG",@progbits,_ZN7rocprim17ROCPRIM_400000_NS6detail17trampoline_kernelINS0_14default_configENS1_25partition_config_selectorILNS1_17partition_subalgoE8ElNS0_10empty_typeEbEEZZNS1_14partition_implILS5_8ELb0ES3_jPlPS6_PKS6_NS0_5tupleIJS9_S6_EEENSD_IJSA_SA_EEENS0_18inequality_wrapperIZN2at6native12_GLOBAL__N_124unique_dim_cuda_templateIlEESt5tupleIJNSH_6TensorESM_SM_EERKSM_lbbbEUlllE0_EEPmJS6_EEE10hipError_tPvRmT3_T4_T5_T6_T7_T9_mT8_P12ihipStream_tbDpT10_ENKUlT_T0_E_clISt17integral_constantIbLb1EES1C_EEDaS17_S18_EUlS17_E_NS1_11comp_targetILNS1_3genE3ELNS1_11target_archE908ELNS1_3gpuE7ELNS1_3repE0EEENS1_30default_config_static_selectorELNS0_4arch9wavefront6targetE1EEEvT1_,comdat
	.globl	_ZN7rocprim17ROCPRIM_400000_NS6detail17trampoline_kernelINS0_14default_configENS1_25partition_config_selectorILNS1_17partition_subalgoE8ElNS0_10empty_typeEbEEZZNS1_14partition_implILS5_8ELb0ES3_jPlPS6_PKS6_NS0_5tupleIJS9_S6_EEENSD_IJSA_SA_EEENS0_18inequality_wrapperIZN2at6native12_GLOBAL__N_124unique_dim_cuda_templateIlEESt5tupleIJNSH_6TensorESM_SM_EERKSM_lbbbEUlllE0_EEPmJS6_EEE10hipError_tPvRmT3_T4_T5_T6_T7_T9_mT8_P12ihipStream_tbDpT10_ENKUlT_T0_E_clISt17integral_constantIbLb1EES1C_EEDaS17_S18_EUlS17_E_NS1_11comp_targetILNS1_3genE3ELNS1_11target_archE908ELNS1_3gpuE7ELNS1_3repE0EEENS1_30default_config_static_selectorELNS0_4arch9wavefront6targetE1EEEvT1_ ; -- Begin function _ZN7rocprim17ROCPRIM_400000_NS6detail17trampoline_kernelINS0_14default_configENS1_25partition_config_selectorILNS1_17partition_subalgoE8ElNS0_10empty_typeEbEEZZNS1_14partition_implILS5_8ELb0ES3_jPlPS6_PKS6_NS0_5tupleIJS9_S6_EEENSD_IJSA_SA_EEENS0_18inequality_wrapperIZN2at6native12_GLOBAL__N_124unique_dim_cuda_templateIlEESt5tupleIJNSH_6TensorESM_SM_EERKSM_lbbbEUlllE0_EEPmJS6_EEE10hipError_tPvRmT3_T4_T5_T6_T7_T9_mT8_P12ihipStream_tbDpT10_ENKUlT_T0_E_clISt17integral_constantIbLb1EES1C_EEDaS17_S18_EUlS17_E_NS1_11comp_targetILNS1_3genE3ELNS1_11target_archE908ELNS1_3gpuE7ELNS1_3repE0EEENS1_30default_config_static_selectorELNS0_4arch9wavefront6targetE1EEEvT1_
	.p2align	8
	.type	_ZN7rocprim17ROCPRIM_400000_NS6detail17trampoline_kernelINS0_14default_configENS1_25partition_config_selectorILNS1_17partition_subalgoE8ElNS0_10empty_typeEbEEZZNS1_14partition_implILS5_8ELb0ES3_jPlPS6_PKS6_NS0_5tupleIJS9_S6_EEENSD_IJSA_SA_EEENS0_18inequality_wrapperIZN2at6native12_GLOBAL__N_124unique_dim_cuda_templateIlEESt5tupleIJNSH_6TensorESM_SM_EERKSM_lbbbEUlllE0_EEPmJS6_EEE10hipError_tPvRmT3_T4_T5_T6_T7_T9_mT8_P12ihipStream_tbDpT10_ENKUlT_T0_E_clISt17integral_constantIbLb1EES1C_EEDaS17_S18_EUlS17_E_NS1_11comp_targetILNS1_3genE3ELNS1_11target_archE908ELNS1_3gpuE7ELNS1_3repE0EEENS1_30default_config_static_selectorELNS0_4arch9wavefront6targetE1EEEvT1_,@function
_ZN7rocprim17ROCPRIM_400000_NS6detail17trampoline_kernelINS0_14default_configENS1_25partition_config_selectorILNS1_17partition_subalgoE8ElNS0_10empty_typeEbEEZZNS1_14partition_implILS5_8ELb0ES3_jPlPS6_PKS6_NS0_5tupleIJS9_S6_EEENSD_IJSA_SA_EEENS0_18inequality_wrapperIZN2at6native12_GLOBAL__N_124unique_dim_cuda_templateIlEESt5tupleIJNSH_6TensorESM_SM_EERKSM_lbbbEUlllE0_EEPmJS6_EEE10hipError_tPvRmT3_T4_T5_T6_T7_T9_mT8_P12ihipStream_tbDpT10_ENKUlT_T0_E_clISt17integral_constantIbLb1EES1C_EEDaS17_S18_EUlS17_E_NS1_11comp_targetILNS1_3genE3ELNS1_11target_archE908ELNS1_3gpuE7ELNS1_3repE0EEENS1_30default_config_static_selectorELNS0_4arch9wavefront6targetE1EEEvT1_: ; @_ZN7rocprim17ROCPRIM_400000_NS6detail17trampoline_kernelINS0_14default_configENS1_25partition_config_selectorILNS1_17partition_subalgoE8ElNS0_10empty_typeEbEEZZNS1_14partition_implILS5_8ELb0ES3_jPlPS6_PKS6_NS0_5tupleIJS9_S6_EEENSD_IJSA_SA_EEENS0_18inequality_wrapperIZN2at6native12_GLOBAL__N_124unique_dim_cuda_templateIlEESt5tupleIJNSH_6TensorESM_SM_EERKSM_lbbbEUlllE0_EEPmJS6_EEE10hipError_tPvRmT3_T4_T5_T6_T7_T9_mT8_P12ihipStream_tbDpT10_ENKUlT_T0_E_clISt17integral_constantIbLb1EES1C_EEDaS17_S18_EUlS17_E_NS1_11comp_targetILNS1_3genE3ELNS1_11target_archE908ELNS1_3gpuE7ELNS1_3repE0EEENS1_30default_config_static_selectorELNS0_4arch9wavefront6targetE1EEEvT1_
; %bb.0:
	.section	.rodata,"a",@progbits
	.p2align	6, 0x0
	.amdhsa_kernel _ZN7rocprim17ROCPRIM_400000_NS6detail17trampoline_kernelINS0_14default_configENS1_25partition_config_selectorILNS1_17partition_subalgoE8ElNS0_10empty_typeEbEEZZNS1_14partition_implILS5_8ELb0ES3_jPlPS6_PKS6_NS0_5tupleIJS9_S6_EEENSD_IJSA_SA_EEENS0_18inequality_wrapperIZN2at6native12_GLOBAL__N_124unique_dim_cuda_templateIlEESt5tupleIJNSH_6TensorESM_SM_EERKSM_lbbbEUlllE0_EEPmJS6_EEE10hipError_tPvRmT3_T4_T5_T6_T7_T9_mT8_P12ihipStream_tbDpT10_ENKUlT_T0_E_clISt17integral_constantIbLb1EES1C_EEDaS17_S18_EUlS17_E_NS1_11comp_targetILNS1_3genE3ELNS1_11target_archE908ELNS1_3gpuE7ELNS1_3repE0EEENS1_30default_config_static_selectorELNS0_4arch9wavefront6targetE1EEEvT1_
		.amdhsa_group_segment_fixed_size 0
		.amdhsa_private_segment_fixed_size 0
		.amdhsa_kernarg_size 136
		.amdhsa_user_sgpr_count 6
		.amdhsa_user_sgpr_private_segment_buffer 1
		.amdhsa_user_sgpr_dispatch_ptr 0
		.amdhsa_user_sgpr_queue_ptr 0
		.amdhsa_user_sgpr_kernarg_segment_ptr 1
		.amdhsa_user_sgpr_dispatch_id 0
		.amdhsa_user_sgpr_flat_scratch_init 0
		.amdhsa_user_sgpr_kernarg_preload_length 0
		.amdhsa_user_sgpr_kernarg_preload_offset 0
		.amdhsa_user_sgpr_private_segment_size 0
		.amdhsa_uses_dynamic_stack 0
		.amdhsa_system_sgpr_private_segment_wavefront_offset 0
		.amdhsa_system_sgpr_workgroup_id_x 1
		.amdhsa_system_sgpr_workgroup_id_y 0
		.amdhsa_system_sgpr_workgroup_id_z 0
		.amdhsa_system_sgpr_workgroup_info 0
		.amdhsa_system_vgpr_workitem_id 0
		.amdhsa_next_free_vgpr 1
		.amdhsa_next_free_sgpr 0
		.amdhsa_accum_offset 4
		.amdhsa_reserve_vcc 0
		.amdhsa_reserve_flat_scratch 0
		.amdhsa_float_round_mode_32 0
		.amdhsa_float_round_mode_16_64 0
		.amdhsa_float_denorm_mode_32 3
		.amdhsa_float_denorm_mode_16_64 3
		.amdhsa_dx10_clamp 1
		.amdhsa_ieee_mode 1
		.amdhsa_fp16_overflow 0
		.amdhsa_tg_split 0
		.amdhsa_exception_fp_ieee_invalid_op 0
		.amdhsa_exception_fp_denorm_src 0
		.amdhsa_exception_fp_ieee_div_zero 0
		.amdhsa_exception_fp_ieee_overflow 0
		.amdhsa_exception_fp_ieee_underflow 0
		.amdhsa_exception_fp_ieee_inexact 0
		.amdhsa_exception_int_div_zero 0
	.end_amdhsa_kernel
	.section	.text._ZN7rocprim17ROCPRIM_400000_NS6detail17trampoline_kernelINS0_14default_configENS1_25partition_config_selectorILNS1_17partition_subalgoE8ElNS0_10empty_typeEbEEZZNS1_14partition_implILS5_8ELb0ES3_jPlPS6_PKS6_NS0_5tupleIJS9_S6_EEENSD_IJSA_SA_EEENS0_18inequality_wrapperIZN2at6native12_GLOBAL__N_124unique_dim_cuda_templateIlEESt5tupleIJNSH_6TensorESM_SM_EERKSM_lbbbEUlllE0_EEPmJS6_EEE10hipError_tPvRmT3_T4_T5_T6_T7_T9_mT8_P12ihipStream_tbDpT10_ENKUlT_T0_E_clISt17integral_constantIbLb1EES1C_EEDaS17_S18_EUlS17_E_NS1_11comp_targetILNS1_3genE3ELNS1_11target_archE908ELNS1_3gpuE7ELNS1_3repE0EEENS1_30default_config_static_selectorELNS0_4arch9wavefront6targetE1EEEvT1_,"axG",@progbits,_ZN7rocprim17ROCPRIM_400000_NS6detail17trampoline_kernelINS0_14default_configENS1_25partition_config_selectorILNS1_17partition_subalgoE8ElNS0_10empty_typeEbEEZZNS1_14partition_implILS5_8ELb0ES3_jPlPS6_PKS6_NS0_5tupleIJS9_S6_EEENSD_IJSA_SA_EEENS0_18inequality_wrapperIZN2at6native12_GLOBAL__N_124unique_dim_cuda_templateIlEESt5tupleIJNSH_6TensorESM_SM_EERKSM_lbbbEUlllE0_EEPmJS6_EEE10hipError_tPvRmT3_T4_T5_T6_T7_T9_mT8_P12ihipStream_tbDpT10_ENKUlT_T0_E_clISt17integral_constantIbLb1EES1C_EEDaS17_S18_EUlS17_E_NS1_11comp_targetILNS1_3genE3ELNS1_11target_archE908ELNS1_3gpuE7ELNS1_3repE0EEENS1_30default_config_static_selectorELNS0_4arch9wavefront6targetE1EEEvT1_,comdat
.Lfunc_end574:
	.size	_ZN7rocprim17ROCPRIM_400000_NS6detail17trampoline_kernelINS0_14default_configENS1_25partition_config_selectorILNS1_17partition_subalgoE8ElNS0_10empty_typeEbEEZZNS1_14partition_implILS5_8ELb0ES3_jPlPS6_PKS6_NS0_5tupleIJS9_S6_EEENSD_IJSA_SA_EEENS0_18inequality_wrapperIZN2at6native12_GLOBAL__N_124unique_dim_cuda_templateIlEESt5tupleIJNSH_6TensorESM_SM_EERKSM_lbbbEUlllE0_EEPmJS6_EEE10hipError_tPvRmT3_T4_T5_T6_T7_T9_mT8_P12ihipStream_tbDpT10_ENKUlT_T0_E_clISt17integral_constantIbLb1EES1C_EEDaS17_S18_EUlS17_E_NS1_11comp_targetILNS1_3genE3ELNS1_11target_archE908ELNS1_3gpuE7ELNS1_3repE0EEENS1_30default_config_static_selectorELNS0_4arch9wavefront6targetE1EEEvT1_, .Lfunc_end574-_ZN7rocprim17ROCPRIM_400000_NS6detail17trampoline_kernelINS0_14default_configENS1_25partition_config_selectorILNS1_17partition_subalgoE8ElNS0_10empty_typeEbEEZZNS1_14partition_implILS5_8ELb0ES3_jPlPS6_PKS6_NS0_5tupleIJS9_S6_EEENSD_IJSA_SA_EEENS0_18inequality_wrapperIZN2at6native12_GLOBAL__N_124unique_dim_cuda_templateIlEESt5tupleIJNSH_6TensorESM_SM_EERKSM_lbbbEUlllE0_EEPmJS6_EEE10hipError_tPvRmT3_T4_T5_T6_T7_T9_mT8_P12ihipStream_tbDpT10_ENKUlT_T0_E_clISt17integral_constantIbLb1EES1C_EEDaS17_S18_EUlS17_E_NS1_11comp_targetILNS1_3genE3ELNS1_11target_archE908ELNS1_3gpuE7ELNS1_3repE0EEENS1_30default_config_static_selectorELNS0_4arch9wavefront6targetE1EEEvT1_
                                        ; -- End function
	.section	.AMDGPU.csdata,"",@progbits
; Kernel info:
; codeLenInByte = 0
; NumSgprs: 4
; NumVgprs: 0
; NumAgprs: 0
; TotalNumVgprs: 0
; ScratchSize: 0
; MemoryBound: 0
; FloatMode: 240
; IeeeMode: 1
; LDSByteSize: 0 bytes/workgroup (compile time only)
; SGPRBlocks: 0
; VGPRBlocks: 0
; NumSGPRsForWavesPerEU: 4
; NumVGPRsForWavesPerEU: 1
; AccumOffset: 4
; Occupancy: 8
; WaveLimiterHint : 0
; COMPUTE_PGM_RSRC2:SCRATCH_EN: 0
; COMPUTE_PGM_RSRC2:USER_SGPR: 6
; COMPUTE_PGM_RSRC2:TRAP_HANDLER: 0
; COMPUTE_PGM_RSRC2:TGID_X_EN: 1
; COMPUTE_PGM_RSRC2:TGID_Y_EN: 0
; COMPUTE_PGM_RSRC2:TGID_Z_EN: 0
; COMPUTE_PGM_RSRC2:TIDIG_COMP_CNT: 0
; COMPUTE_PGM_RSRC3_GFX90A:ACCUM_OFFSET: 0
; COMPUTE_PGM_RSRC3_GFX90A:TG_SPLIT: 0
	.section	.text._ZN7rocprim17ROCPRIM_400000_NS6detail17trampoline_kernelINS0_14default_configENS1_25partition_config_selectorILNS1_17partition_subalgoE8ElNS0_10empty_typeEbEEZZNS1_14partition_implILS5_8ELb0ES3_jPlPS6_PKS6_NS0_5tupleIJS9_S6_EEENSD_IJSA_SA_EEENS0_18inequality_wrapperIZN2at6native12_GLOBAL__N_124unique_dim_cuda_templateIlEESt5tupleIJNSH_6TensorESM_SM_EERKSM_lbbbEUlllE0_EEPmJS6_EEE10hipError_tPvRmT3_T4_T5_T6_T7_T9_mT8_P12ihipStream_tbDpT10_ENKUlT_T0_E_clISt17integral_constantIbLb1EES1C_EEDaS17_S18_EUlS17_E_NS1_11comp_targetILNS1_3genE2ELNS1_11target_archE906ELNS1_3gpuE6ELNS1_3repE0EEENS1_30default_config_static_selectorELNS0_4arch9wavefront6targetE1EEEvT1_,"axG",@progbits,_ZN7rocprim17ROCPRIM_400000_NS6detail17trampoline_kernelINS0_14default_configENS1_25partition_config_selectorILNS1_17partition_subalgoE8ElNS0_10empty_typeEbEEZZNS1_14partition_implILS5_8ELb0ES3_jPlPS6_PKS6_NS0_5tupleIJS9_S6_EEENSD_IJSA_SA_EEENS0_18inequality_wrapperIZN2at6native12_GLOBAL__N_124unique_dim_cuda_templateIlEESt5tupleIJNSH_6TensorESM_SM_EERKSM_lbbbEUlllE0_EEPmJS6_EEE10hipError_tPvRmT3_T4_T5_T6_T7_T9_mT8_P12ihipStream_tbDpT10_ENKUlT_T0_E_clISt17integral_constantIbLb1EES1C_EEDaS17_S18_EUlS17_E_NS1_11comp_targetILNS1_3genE2ELNS1_11target_archE906ELNS1_3gpuE6ELNS1_3repE0EEENS1_30default_config_static_selectorELNS0_4arch9wavefront6targetE1EEEvT1_,comdat
	.globl	_ZN7rocprim17ROCPRIM_400000_NS6detail17trampoline_kernelINS0_14default_configENS1_25partition_config_selectorILNS1_17partition_subalgoE8ElNS0_10empty_typeEbEEZZNS1_14partition_implILS5_8ELb0ES3_jPlPS6_PKS6_NS0_5tupleIJS9_S6_EEENSD_IJSA_SA_EEENS0_18inequality_wrapperIZN2at6native12_GLOBAL__N_124unique_dim_cuda_templateIlEESt5tupleIJNSH_6TensorESM_SM_EERKSM_lbbbEUlllE0_EEPmJS6_EEE10hipError_tPvRmT3_T4_T5_T6_T7_T9_mT8_P12ihipStream_tbDpT10_ENKUlT_T0_E_clISt17integral_constantIbLb1EES1C_EEDaS17_S18_EUlS17_E_NS1_11comp_targetILNS1_3genE2ELNS1_11target_archE906ELNS1_3gpuE6ELNS1_3repE0EEENS1_30default_config_static_selectorELNS0_4arch9wavefront6targetE1EEEvT1_ ; -- Begin function _ZN7rocprim17ROCPRIM_400000_NS6detail17trampoline_kernelINS0_14default_configENS1_25partition_config_selectorILNS1_17partition_subalgoE8ElNS0_10empty_typeEbEEZZNS1_14partition_implILS5_8ELb0ES3_jPlPS6_PKS6_NS0_5tupleIJS9_S6_EEENSD_IJSA_SA_EEENS0_18inequality_wrapperIZN2at6native12_GLOBAL__N_124unique_dim_cuda_templateIlEESt5tupleIJNSH_6TensorESM_SM_EERKSM_lbbbEUlllE0_EEPmJS6_EEE10hipError_tPvRmT3_T4_T5_T6_T7_T9_mT8_P12ihipStream_tbDpT10_ENKUlT_T0_E_clISt17integral_constantIbLb1EES1C_EEDaS17_S18_EUlS17_E_NS1_11comp_targetILNS1_3genE2ELNS1_11target_archE906ELNS1_3gpuE6ELNS1_3repE0EEENS1_30default_config_static_selectorELNS0_4arch9wavefront6targetE1EEEvT1_
	.p2align	8
	.type	_ZN7rocprim17ROCPRIM_400000_NS6detail17trampoline_kernelINS0_14default_configENS1_25partition_config_selectorILNS1_17partition_subalgoE8ElNS0_10empty_typeEbEEZZNS1_14partition_implILS5_8ELb0ES3_jPlPS6_PKS6_NS0_5tupleIJS9_S6_EEENSD_IJSA_SA_EEENS0_18inequality_wrapperIZN2at6native12_GLOBAL__N_124unique_dim_cuda_templateIlEESt5tupleIJNSH_6TensorESM_SM_EERKSM_lbbbEUlllE0_EEPmJS6_EEE10hipError_tPvRmT3_T4_T5_T6_T7_T9_mT8_P12ihipStream_tbDpT10_ENKUlT_T0_E_clISt17integral_constantIbLb1EES1C_EEDaS17_S18_EUlS17_E_NS1_11comp_targetILNS1_3genE2ELNS1_11target_archE906ELNS1_3gpuE6ELNS1_3repE0EEENS1_30default_config_static_selectorELNS0_4arch9wavefront6targetE1EEEvT1_,@function
_ZN7rocprim17ROCPRIM_400000_NS6detail17trampoline_kernelINS0_14default_configENS1_25partition_config_selectorILNS1_17partition_subalgoE8ElNS0_10empty_typeEbEEZZNS1_14partition_implILS5_8ELb0ES3_jPlPS6_PKS6_NS0_5tupleIJS9_S6_EEENSD_IJSA_SA_EEENS0_18inequality_wrapperIZN2at6native12_GLOBAL__N_124unique_dim_cuda_templateIlEESt5tupleIJNSH_6TensorESM_SM_EERKSM_lbbbEUlllE0_EEPmJS6_EEE10hipError_tPvRmT3_T4_T5_T6_T7_T9_mT8_P12ihipStream_tbDpT10_ENKUlT_T0_E_clISt17integral_constantIbLb1EES1C_EEDaS17_S18_EUlS17_E_NS1_11comp_targetILNS1_3genE2ELNS1_11target_archE906ELNS1_3gpuE6ELNS1_3repE0EEENS1_30default_config_static_selectorELNS0_4arch9wavefront6targetE1EEEvT1_: ; @_ZN7rocprim17ROCPRIM_400000_NS6detail17trampoline_kernelINS0_14default_configENS1_25partition_config_selectorILNS1_17partition_subalgoE8ElNS0_10empty_typeEbEEZZNS1_14partition_implILS5_8ELb0ES3_jPlPS6_PKS6_NS0_5tupleIJS9_S6_EEENSD_IJSA_SA_EEENS0_18inequality_wrapperIZN2at6native12_GLOBAL__N_124unique_dim_cuda_templateIlEESt5tupleIJNSH_6TensorESM_SM_EERKSM_lbbbEUlllE0_EEPmJS6_EEE10hipError_tPvRmT3_T4_T5_T6_T7_T9_mT8_P12ihipStream_tbDpT10_ENKUlT_T0_E_clISt17integral_constantIbLb1EES1C_EEDaS17_S18_EUlS17_E_NS1_11comp_targetILNS1_3genE2ELNS1_11target_archE906ELNS1_3gpuE6ELNS1_3repE0EEENS1_30default_config_static_selectorELNS0_4arch9wavefront6targetE1EEEvT1_
; %bb.0:
	.section	.rodata,"a",@progbits
	.p2align	6, 0x0
	.amdhsa_kernel _ZN7rocprim17ROCPRIM_400000_NS6detail17trampoline_kernelINS0_14default_configENS1_25partition_config_selectorILNS1_17partition_subalgoE8ElNS0_10empty_typeEbEEZZNS1_14partition_implILS5_8ELb0ES3_jPlPS6_PKS6_NS0_5tupleIJS9_S6_EEENSD_IJSA_SA_EEENS0_18inequality_wrapperIZN2at6native12_GLOBAL__N_124unique_dim_cuda_templateIlEESt5tupleIJNSH_6TensorESM_SM_EERKSM_lbbbEUlllE0_EEPmJS6_EEE10hipError_tPvRmT3_T4_T5_T6_T7_T9_mT8_P12ihipStream_tbDpT10_ENKUlT_T0_E_clISt17integral_constantIbLb1EES1C_EEDaS17_S18_EUlS17_E_NS1_11comp_targetILNS1_3genE2ELNS1_11target_archE906ELNS1_3gpuE6ELNS1_3repE0EEENS1_30default_config_static_selectorELNS0_4arch9wavefront6targetE1EEEvT1_
		.amdhsa_group_segment_fixed_size 0
		.amdhsa_private_segment_fixed_size 0
		.amdhsa_kernarg_size 136
		.amdhsa_user_sgpr_count 6
		.amdhsa_user_sgpr_private_segment_buffer 1
		.amdhsa_user_sgpr_dispatch_ptr 0
		.amdhsa_user_sgpr_queue_ptr 0
		.amdhsa_user_sgpr_kernarg_segment_ptr 1
		.amdhsa_user_sgpr_dispatch_id 0
		.amdhsa_user_sgpr_flat_scratch_init 0
		.amdhsa_user_sgpr_kernarg_preload_length 0
		.amdhsa_user_sgpr_kernarg_preload_offset 0
		.amdhsa_user_sgpr_private_segment_size 0
		.amdhsa_uses_dynamic_stack 0
		.amdhsa_system_sgpr_private_segment_wavefront_offset 0
		.amdhsa_system_sgpr_workgroup_id_x 1
		.amdhsa_system_sgpr_workgroup_id_y 0
		.amdhsa_system_sgpr_workgroup_id_z 0
		.amdhsa_system_sgpr_workgroup_info 0
		.amdhsa_system_vgpr_workitem_id 0
		.amdhsa_next_free_vgpr 1
		.amdhsa_next_free_sgpr 0
		.amdhsa_accum_offset 4
		.amdhsa_reserve_vcc 0
		.amdhsa_reserve_flat_scratch 0
		.amdhsa_float_round_mode_32 0
		.amdhsa_float_round_mode_16_64 0
		.amdhsa_float_denorm_mode_32 3
		.amdhsa_float_denorm_mode_16_64 3
		.amdhsa_dx10_clamp 1
		.amdhsa_ieee_mode 1
		.amdhsa_fp16_overflow 0
		.amdhsa_tg_split 0
		.amdhsa_exception_fp_ieee_invalid_op 0
		.amdhsa_exception_fp_denorm_src 0
		.amdhsa_exception_fp_ieee_div_zero 0
		.amdhsa_exception_fp_ieee_overflow 0
		.amdhsa_exception_fp_ieee_underflow 0
		.amdhsa_exception_fp_ieee_inexact 0
		.amdhsa_exception_int_div_zero 0
	.end_amdhsa_kernel
	.section	.text._ZN7rocprim17ROCPRIM_400000_NS6detail17trampoline_kernelINS0_14default_configENS1_25partition_config_selectorILNS1_17partition_subalgoE8ElNS0_10empty_typeEbEEZZNS1_14partition_implILS5_8ELb0ES3_jPlPS6_PKS6_NS0_5tupleIJS9_S6_EEENSD_IJSA_SA_EEENS0_18inequality_wrapperIZN2at6native12_GLOBAL__N_124unique_dim_cuda_templateIlEESt5tupleIJNSH_6TensorESM_SM_EERKSM_lbbbEUlllE0_EEPmJS6_EEE10hipError_tPvRmT3_T4_T5_T6_T7_T9_mT8_P12ihipStream_tbDpT10_ENKUlT_T0_E_clISt17integral_constantIbLb1EES1C_EEDaS17_S18_EUlS17_E_NS1_11comp_targetILNS1_3genE2ELNS1_11target_archE906ELNS1_3gpuE6ELNS1_3repE0EEENS1_30default_config_static_selectorELNS0_4arch9wavefront6targetE1EEEvT1_,"axG",@progbits,_ZN7rocprim17ROCPRIM_400000_NS6detail17trampoline_kernelINS0_14default_configENS1_25partition_config_selectorILNS1_17partition_subalgoE8ElNS0_10empty_typeEbEEZZNS1_14partition_implILS5_8ELb0ES3_jPlPS6_PKS6_NS0_5tupleIJS9_S6_EEENSD_IJSA_SA_EEENS0_18inequality_wrapperIZN2at6native12_GLOBAL__N_124unique_dim_cuda_templateIlEESt5tupleIJNSH_6TensorESM_SM_EERKSM_lbbbEUlllE0_EEPmJS6_EEE10hipError_tPvRmT3_T4_T5_T6_T7_T9_mT8_P12ihipStream_tbDpT10_ENKUlT_T0_E_clISt17integral_constantIbLb1EES1C_EEDaS17_S18_EUlS17_E_NS1_11comp_targetILNS1_3genE2ELNS1_11target_archE906ELNS1_3gpuE6ELNS1_3repE0EEENS1_30default_config_static_selectorELNS0_4arch9wavefront6targetE1EEEvT1_,comdat
.Lfunc_end575:
	.size	_ZN7rocprim17ROCPRIM_400000_NS6detail17trampoline_kernelINS0_14default_configENS1_25partition_config_selectorILNS1_17partition_subalgoE8ElNS0_10empty_typeEbEEZZNS1_14partition_implILS5_8ELb0ES3_jPlPS6_PKS6_NS0_5tupleIJS9_S6_EEENSD_IJSA_SA_EEENS0_18inequality_wrapperIZN2at6native12_GLOBAL__N_124unique_dim_cuda_templateIlEESt5tupleIJNSH_6TensorESM_SM_EERKSM_lbbbEUlllE0_EEPmJS6_EEE10hipError_tPvRmT3_T4_T5_T6_T7_T9_mT8_P12ihipStream_tbDpT10_ENKUlT_T0_E_clISt17integral_constantIbLb1EES1C_EEDaS17_S18_EUlS17_E_NS1_11comp_targetILNS1_3genE2ELNS1_11target_archE906ELNS1_3gpuE6ELNS1_3repE0EEENS1_30default_config_static_selectorELNS0_4arch9wavefront6targetE1EEEvT1_, .Lfunc_end575-_ZN7rocprim17ROCPRIM_400000_NS6detail17trampoline_kernelINS0_14default_configENS1_25partition_config_selectorILNS1_17partition_subalgoE8ElNS0_10empty_typeEbEEZZNS1_14partition_implILS5_8ELb0ES3_jPlPS6_PKS6_NS0_5tupleIJS9_S6_EEENSD_IJSA_SA_EEENS0_18inequality_wrapperIZN2at6native12_GLOBAL__N_124unique_dim_cuda_templateIlEESt5tupleIJNSH_6TensorESM_SM_EERKSM_lbbbEUlllE0_EEPmJS6_EEE10hipError_tPvRmT3_T4_T5_T6_T7_T9_mT8_P12ihipStream_tbDpT10_ENKUlT_T0_E_clISt17integral_constantIbLb1EES1C_EEDaS17_S18_EUlS17_E_NS1_11comp_targetILNS1_3genE2ELNS1_11target_archE906ELNS1_3gpuE6ELNS1_3repE0EEENS1_30default_config_static_selectorELNS0_4arch9wavefront6targetE1EEEvT1_
                                        ; -- End function
	.section	.AMDGPU.csdata,"",@progbits
; Kernel info:
; codeLenInByte = 0
; NumSgprs: 4
; NumVgprs: 0
; NumAgprs: 0
; TotalNumVgprs: 0
; ScratchSize: 0
; MemoryBound: 0
; FloatMode: 240
; IeeeMode: 1
; LDSByteSize: 0 bytes/workgroup (compile time only)
; SGPRBlocks: 0
; VGPRBlocks: 0
; NumSGPRsForWavesPerEU: 4
; NumVGPRsForWavesPerEU: 1
; AccumOffset: 4
; Occupancy: 8
; WaveLimiterHint : 0
; COMPUTE_PGM_RSRC2:SCRATCH_EN: 0
; COMPUTE_PGM_RSRC2:USER_SGPR: 6
; COMPUTE_PGM_RSRC2:TRAP_HANDLER: 0
; COMPUTE_PGM_RSRC2:TGID_X_EN: 1
; COMPUTE_PGM_RSRC2:TGID_Y_EN: 0
; COMPUTE_PGM_RSRC2:TGID_Z_EN: 0
; COMPUTE_PGM_RSRC2:TIDIG_COMP_CNT: 0
; COMPUTE_PGM_RSRC3_GFX90A:ACCUM_OFFSET: 0
; COMPUTE_PGM_RSRC3_GFX90A:TG_SPLIT: 0
	.section	.text._ZN7rocprim17ROCPRIM_400000_NS6detail17trampoline_kernelINS0_14default_configENS1_25partition_config_selectorILNS1_17partition_subalgoE8ElNS0_10empty_typeEbEEZZNS1_14partition_implILS5_8ELb0ES3_jPlPS6_PKS6_NS0_5tupleIJS9_S6_EEENSD_IJSA_SA_EEENS0_18inequality_wrapperIZN2at6native12_GLOBAL__N_124unique_dim_cuda_templateIlEESt5tupleIJNSH_6TensorESM_SM_EERKSM_lbbbEUlllE0_EEPmJS6_EEE10hipError_tPvRmT3_T4_T5_T6_T7_T9_mT8_P12ihipStream_tbDpT10_ENKUlT_T0_E_clISt17integral_constantIbLb1EES1C_EEDaS17_S18_EUlS17_E_NS1_11comp_targetILNS1_3genE10ELNS1_11target_archE1200ELNS1_3gpuE4ELNS1_3repE0EEENS1_30default_config_static_selectorELNS0_4arch9wavefront6targetE1EEEvT1_,"axG",@progbits,_ZN7rocprim17ROCPRIM_400000_NS6detail17trampoline_kernelINS0_14default_configENS1_25partition_config_selectorILNS1_17partition_subalgoE8ElNS0_10empty_typeEbEEZZNS1_14partition_implILS5_8ELb0ES3_jPlPS6_PKS6_NS0_5tupleIJS9_S6_EEENSD_IJSA_SA_EEENS0_18inequality_wrapperIZN2at6native12_GLOBAL__N_124unique_dim_cuda_templateIlEESt5tupleIJNSH_6TensorESM_SM_EERKSM_lbbbEUlllE0_EEPmJS6_EEE10hipError_tPvRmT3_T4_T5_T6_T7_T9_mT8_P12ihipStream_tbDpT10_ENKUlT_T0_E_clISt17integral_constantIbLb1EES1C_EEDaS17_S18_EUlS17_E_NS1_11comp_targetILNS1_3genE10ELNS1_11target_archE1200ELNS1_3gpuE4ELNS1_3repE0EEENS1_30default_config_static_selectorELNS0_4arch9wavefront6targetE1EEEvT1_,comdat
	.globl	_ZN7rocprim17ROCPRIM_400000_NS6detail17trampoline_kernelINS0_14default_configENS1_25partition_config_selectorILNS1_17partition_subalgoE8ElNS0_10empty_typeEbEEZZNS1_14partition_implILS5_8ELb0ES3_jPlPS6_PKS6_NS0_5tupleIJS9_S6_EEENSD_IJSA_SA_EEENS0_18inequality_wrapperIZN2at6native12_GLOBAL__N_124unique_dim_cuda_templateIlEESt5tupleIJNSH_6TensorESM_SM_EERKSM_lbbbEUlllE0_EEPmJS6_EEE10hipError_tPvRmT3_T4_T5_T6_T7_T9_mT8_P12ihipStream_tbDpT10_ENKUlT_T0_E_clISt17integral_constantIbLb1EES1C_EEDaS17_S18_EUlS17_E_NS1_11comp_targetILNS1_3genE10ELNS1_11target_archE1200ELNS1_3gpuE4ELNS1_3repE0EEENS1_30default_config_static_selectorELNS0_4arch9wavefront6targetE1EEEvT1_ ; -- Begin function _ZN7rocprim17ROCPRIM_400000_NS6detail17trampoline_kernelINS0_14default_configENS1_25partition_config_selectorILNS1_17partition_subalgoE8ElNS0_10empty_typeEbEEZZNS1_14partition_implILS5_8ELb0ES3_jPlPS6_PKS6_NS0_5tupleIJS9_S6_EEENSD_IJSA_SA_EEENS0_18inequality_wrapperIZN2at6native12_GLOBAL__N_124unique_dim_cuda_templateIlEESt5tupleIJNSH_6TensorESM_SM_EERKSM_lbbbEUlllE0_EEPmJS6_EEE10hipError_tPvRmT3_T4_T5_T6_T7_T9_mT8_P12ihipStream_tbDpT10_ENKUlT_T0_E_clISt17integral_constantIbLb1EES1C_EEDaS17_S18_EUlS17_E_NS1_11comp_targetILNS1_3genE10ELNS1_11target_archE1200ELNS1_3gpuE4ELNS1_3repE0EEENS1_30default_config_static_selectorELNS0_4arch9wavefront6targetE1EEEvT1_
	.p2align	8
	.type	_ZN7rocprim17ROCPRIM_400000_NS6detail17trampoline_kernelINS0_14default_configENS1_25partition_config_selectorILNS1_17partition_subalgoE8ElNS0_10empty_typeEbEEZZNS1_14partition_implILS5_8ELb0ES3_jPlPS6_PKS6_NS0_5tupleIJS9_S6_EEENSD_IJSA_SA_EEENS0_18inequality_wrapperIZN2at6native12_GLOBAL__N_124unique_dim_cuda_templateIlEESt5tupleIJNSH_6TensorESM_SM_EERKSM_lbbbEUlllE0_EEPmJS6_EEE10hipError_tPvRmT3_T4_T5_T6_T7_T9_mT8_P12ihipStream_tbDpT10_ENKUlT_T0_E_clISt17integral_constantIbLb1EES1C_EEDaS17_S18_EUlS17_E_NS1_11comp_targetILNS1_3genE10ELNS1_11target_archE1200ELNS1_3gpuE4ELNS1_3repE0EEENS1_30default_config_static_selectorELNS0_4arch9wavefront6targetE1EEEvT1_,@function
_ZN7rocprim17ROCPRIM_400000_NS6detail17trampoline_kernelINS0_14default_configENS1_25partition_config_selectorILNS1_17partition_subalgoE8ElNS0_10empty_typeEbEEZZNS1_14partition_implILS5_8ELb0ES3_jPlPS6_PKS6_NS0_5tupleIJS9_S6_EEENSD_IJSA_SA_EEENS0_18inequality_wrapperIZN2at6native12_GLOBAL__N_124unique_dim_cuda_templateIlEESt5tupleIJNSH_6TensorESM_SM_EERKSM_lbbbEUlllE0_EEPmJS6_EEE10hipError_tPvRmT3_T4_T5_T6_T7_T9_mT8_P12ihipStream_tbDpT10_ENKUlT_T0_E_clISt17integral_constantIbLb1EES1C_EEDaS17_S18_EUlS17_E_NS1_11comp_targetILNS1_3genE10ELNS1_11target_archE1200ELNS1_3gpuE4ELNS1_3repE0EEENS1_30default_config_static_selectorELNS0_4arch9wavefront6targetE1EEEvT1_: ; @_ZN7rocprim17ROCPRIM_400000_NS6detail17trampoline_kernelINS0_14default_configENS1_25partition_config_selectorILNS1_17partition_subalgoE8ElNS0_10empty_typeEbEEZZNS1_14partition_implILS5_8ELb0ES3_jPlPS6_PKS6_NS0_5tupleIJS9_S6_EEENSD_IJSA_SA_EEENS0_18inequality_wrapperIZN2at6native12_GLOBAL__N_124unique_dim_cuda_templateIlEESt5tupleIJNSH_6TensorESM_SM_EERKSM_lbbbEUlllE0_EEPmJS6_EEE10hipError_tPvRmT3_T4_T5_T6_T7_T9_mT8_P12ihipStream_tbDpT10_ENKUlT_T0_E_clISt17integral_constantIbLb1EES1C_EEDaS17_S18_EUlS17_E_NS1_11comp_targetILNS1_3genE10ELNS1_11target_archE1200ELNS1_3gpuE4ELNS1_3repE0EEENS1_30default_config_static_selectorELNS0_4arch9wavefront6targetE1EEEvT1_
; %bb.0:
	.section	.rodata,"a",@progbits
	.p2align	6, 0x0
	.amdhsa_kernel _ZN7rocprim17ROCPRIM_400000_NS6detail17trampoline_kernelINS0_14default_configENS1_25partition_config_selectorILNS1_17partition_subalgoE8ElNS0_10empty_typeEbEEZZNS1_14partition_implILS5_8ELb0ES3_jPlPS6_PKS6_NS0_5tupleIJS9_S6_EEENSD_IJSA_SA_EEENS0_18inequality_wrapperIZN2at6native12_GLOBAL__N_124unique_dim_cuda_templateIlEESt5tupleIJNSH_6TensorESM_SM_EERKSM_lbbbEUlllE0_EEPmJS6_EEE10hipError_tPvRmT3_T4_T5_T6_T7_T9_mT8_P12ihipStream_tbDpT10_ENKUlT_T0_E_clISt17integral_constantIbLb1EES1C_EEDaS17_S18_EUlS17_E_NS1_11comp_targetILNS1_3genE10ELNS1_11target_archE1200ELNS1_3gpuE4ELNS1_3repE0EEENS1_30default_config_static_selectorELNS0_4arch9wavefront6targetE1EEEvT1_
		.amdhsa_group_segment_fixed_size 0
		.amdhsa_private_segment_fixed_size 0
		.amdhsa_kernarg_size 136
		.amdhsa_user_sgpr_count 6
		.amdhsa_user_sgpr_private_segment_buffer 1
		.amdhsa_user_sgpr_dispatch_ptr 0
		.amdhsa_user_sgpr_queue_ptr 0
		.amdhsa_user_sgpr_kernarg_segment_ptr 1
		.amdhsa_user_sgpr_dispatch_id 0
		.amdhsa_user_sgpr_flat_scratch_init 0
		.amdhsa_user_sgpr_kernarg_preload_length 0
		.amdhsa_user_sgpr_kernarg_preload_offset 0
		.amdhsa_user_sgpr_private_segment_size 0
		.amdhsa_uses_dynamic_stack 0
		.amdhsa_system_sgpr_private_segment_wavefront_offset 0
		.amdhsa_system_sgpr_workgroup_id_x 1
		.amdhsa_system_sgpr_workgroup_id_y 0
		.amdhsa_system_sgpr_workgroup_id_z 0
		.amdhsa_system_sgpr_workgroup_info 0
		.amdhsa_system_vgpr_workitem_id 0
		.amdhsa_next_free_vgpr 1
		.amdhsa_next_free_sgpr 0
		.amdhsa_accum_offset 4
		.amdhsa_reserve_vcc 0
		.amdhsa_reserve_flat_scratch 0
		.amdhsa_float_round_mode_32 0
		.amdhsa_float_round_mode_16_64 0
		.amdhsa_float_denorm_mode_32 3
		.amdhsa_float_denorm_mode_16_64 3
		.amdhsa_dx10_clamp 1
		.amdhsa_ieee_mode 1
		.amdhsa_fp16_overflow 0
		.amdhsa_tg_split 0
		.amdhsa_exception_fp_ieee_invalid_op 0
		.amdhsa_exception_fp_denorm_src 0
		.amdhsa_exception_fp_ieee_div_zero 0
		.amdhsa_exception_fp_ieee_overflow 0
		.amdhsa_exception_fp_ieee_underflow 0
		.amdhsa_exception_fp_ieee_inexact 0
		.amdhsa_exception_int_div_zero 0
	.end_amdhsa_kernel
	.section	.text._ZN7rocprim17ROCPRIM_400000_NS6detail17trampoline_kernelINS0_14default_configENS1_25partition_config_selectorILNS1_17partition_subalgoE8ElNS0_10empty_typeEbEEZZNS1_14partition_implILS5_8ELb0ES3_jPlPS6_PKS6_NS0_5tupleIJS9_S6_EEENSD_IJSA_SA_EEENS0_18inequality_wrapperIZN2at6native12_GLOBAL__N_124unique_dim_cuda_templateIlEESt5tupleIJNSH_6TensorESM_SM_EERKSM_lbbbEUlllE0_EEPmJS6_EEE10hipError_tPvRmT3_T4_T5_T6_T7_T9_mT8_P12ihipStream_tbDpT10_ENKUlT_T0_E_clISt17integral_constantIbLb1EES1C_EEDaS17_S18_EUlS17_E_NS1_11comp_targetILNS1_3genE10ELNS1_11target_archE1200ELNS1_3gpuE4ELNS1_3repE0EEENS1_30default_config_static_selectorELNS0_4arch9wavefront6targetE1EEEvT1_,"axG",@progbits,_ZN7rocprim17ROCPRIM_400000_NS6detail17trampoline_kernelINS0_14default_configENS1_25partition_config_selectorILNS1_17partition_subalgoE8ElNS0_10empty_typeEbEEZZNS1_14partition_implILS5_8ELb0ES3_jPlPS6_PKS6_NS0_5tupleIJS9_S6_EEENSD_IJSA_SA_EEENS0_18inequality_wrapperIZN2at6native12_GLOBAL__N_124unique_dim_cuda_templateIlEESt5tupleIJNSH_6TensorESM_SM_EERKSM_lbbbEUlllE0_EEPmJS6_EEE10hipError_tPvRmT3_T4_T5_T6_T7_T9_mT8_P12ihipStream_tbDpT10_ENKUlT_T0_E_clISt17integral_constantIbLb1EES1C_EEDaS17_S18_EUlS17_E_NS1_11comp_targetILNS1_3genE10ELNS1_11target_archE1200ELNS1_3gpuE4ELNS1_3repE0EEENS1_30default_config_static_selectorELNS0_4arch9wavefront6targetE1EEEvT1_,comdat
.Lfunc_end576:
	.size	_ZN7rocprim17ROCPRIM_400000_NS6detail17trampoline_kernelINS0_14default_configENS1_25partition_config_selectorILNS1_17partition_subalgoE8ElNS0_10empty_typeEbEEZZNS1_14partition_implILS5_8ELb0ES3_jPlPS6_PKS6_NS0_5tupleIJS9_S6_EEENSD_IJSA_SA_EEENS0_18inequality_wrapperIZN2at6native12_GLOBAL__N_124unique_dim_cuda_templateIlEESt5tupleIJNSH_6TensorESM_SM_EERKSM_lbbbEUlllE0_EEPmJS6_EEE10hipError_tPvRmT3_T4_T5_T6_T7_T9_mT8_P12ihipStream_tbDpT10_ENKUlT_T0_E_clISt17integral_constantIbLb1EES1C_EEDaS17_S18_EUlS17_E_NS1_11comp_targetILNS1_3genE10ELNS1_11target_archE1200ELNS1_3gpuE4ELNS1_3repE0EEENS1_30default_config_static_selectorELNS0_4arch9wavefront6targetE1EEEvT1_, .Lfunc_end576-_ZN7rocprim17ROCPRIM_400000_NS6detail17trampoline_kernelINS0_14default_configENS1_25partition_config_selectorILNS1_17partition_subalgoE8ElNS0_10empty_typeEbEEZZNS1_14partition_implILS5_8ELb0ES3_jPlPS6_PKS6_NS0_5tupleIJS9_S6_EEENSD_IJSA_SA_EEENS0_18inequality_wrapperIZN2at6native12_GLOBAL__N_124unique_dim_cuda_templateIlEESt5tupleIJNSH_6TensorESM_SM_EERKSM_lbbbEUlllE0_EEPmJS6_EEE10hipError_tPvRmT3_T4_T5_T6_T7_T9_mT8_P12ihipStream_tbDpT10_ENKUlT_T0_E_clISt17integral_constantIbLb1EES1C_EEDaS17_S18_EUlS17_E_NS1_11comp_targetILNS1_3genE10ELNS1_11target_archE1200ELNS1_3gpuE4ELNS1_3repE0EEENS1_30default_config_static_selectorELNS0_4arch9wavefront6targetE1EEEvT1_
                                        ; -- End function
	.section	.AMDGPU.csdata,"",@progbits
; Kernel info:
; codeLenInByte = 0
; NumSgprs: 4
; NumVgprs: 0
; NumAgprs: 0
; TotalNumVgprs: 0
; ScratchSize: 0
; MemoryBound: 0
; FloatMode: 240
; IeeeMode: 1
; LDSByteSize: 0 bytes/workgroup (compile time only)
; SGPRBlocks: 0
; VGPRBlocks: 0
; NumSGPRsForWavesPerEU: 4
; NumVGPRsForWavesPerEU: 1
; AccumOffset: 4
; Occupancy: 8
; WaveLimiterHint : 0
; COMPUTE_PGM_RSRC2:SCRATCH_EN: 0
; COMPUTE_PGM_RSRC2:USER_SGPR: 6
; COMPUTE_PGM_RSRC2:TRAP_HANDLER: 0
; COMPUTE_PGM_RSRC2:TGID_X_EN: 1
; COMPUTE_PGM_RSRC2:TGID_Y_EN: 0
; COMPUTE_PGM_RSRC2:TGID_Z_EN: 0
; COMPUTE_PGM_RSRC2:TIDIG_COMP_CNT: 0
; COMPUTE_PGM_RSRC3_GFX90A:ACCUM_OFFSET: 0
; COMPUTE_PGM_RSRC3_GFX90A:TG_SPLIT: 0
	.section	.text._ZN7rocprim17ROCPRIM_400000_NS6detail17trampoline_kernelINS0_14default_configENS1_25partition_config_selectorILNS1_17partition_subalgoE8ElNS0_10empty_typeEbEEZZNS1_14partition_implILS5_8ELb0ES3_jPlPS6_PKS6_NS0_5tupleIJS9_S6_EEENSD_IJSA_SA_EEENS0_18inequality_wrapperIZN2at6native12_GLOBAL__N_124unique_dim_cuda_templateIlEESt5tupleIJNSH_6TensorESM_SM_EERKSM_lbbbEUlllE0_EEPmJS6_EEE10hipError_tPvRmT3_T4_T5_T6_T7_T9_mT8_P12ihipStream_tbDpT10_ENKUlT_T0_E_clISt17integral_constantIbLb1EES1C_EEDaS17_S18_EUlS17_E_NS1_11comp_targetILNS1_3genE9ELNS1_11target_archE1100ELNS1_3gpuE3ELNS1_3repE0EEENS1_30default_config_static_selectorELNS0_4arch9wavefront6targetE1EEEvT1_,"axG",@progbits,_ZN7rocprim17ROCPRIM_400000_NS6detail17trampoline_kernelINS0_14default_configENS1_25partition_config_selectorILNS1_17partition_subalgoE8ElNS0_10empty_typeEbEEZZNS1_14partition_implILS5_8ELb0ES3_jPlPS6_PKS6_NS0_5tupleIJS9_S6_EEENSD_IJSA_SA_EEENS0_18inequality_wrapperIZN2at6native12_GLOBAL__N_124unique_dim_cuda_templateIlEESt5tupleIJNSH_6TensorESM_SM_EERKSM_lbbbEUlllE0_EEPmJS6_EEE10hipError_tPvRmT3_T4_T5_T6_T7_T9_mT8_P12ihipStream_tbDpT10_ENKUlT_T0_E_clISt17integral_constantIbLb1EES1C_EEDaS17_S18_EUlS17_E_NS1_11comp_targetILNS1_3genE9ELNS1_11target_archE1100ELNS1_3gpuE3ELNS1_3repE0EEENS1_30default_config_static_selectorELNS0_4arch9wavefront6targetE1EEEvT1_,comdat
	.globl	_ZN7rocprim17ROCPRIM_400000_NS6detail17trampoline_kernelINS0_14default_configENS1_25partition_config_selectorILNS1_17partition_subalgoE8ElNS0_10empty_typeEbEEZZNS1_14partition_implILS5_8ELb0ES3_jPlPS6_PKS6_NS0_5tupleIJS9_S6_EEENSD_IJSA_SA_EEENS0_18inequality_wrapperIZN2at6native12_GLOBAL__N_124unique_dim_cuda_templateIlEESt5tupleIJNSH_6TensorESM_SM_EERKSM_lbbbEUlllE0_EEPmJS6_EEE10hipError_tPvRmT3_T4_T5_T6_T7_T9_mT8_P12ihipStream_tbDpT10_ENKUlT_T0_E_clISt17integral_constantIbLb1EES1C_EEDaS17_S18_EUlS17_E_NS1_11comp_targetILNS1_3genE9ELNS1_11target_archE1100ELNS1_3gpuE3ELNS1_3repE0EEENS1_30default_config_static_selectorELNS0_4arch9wavefront6targetE1EEEvT1_ ; -- Begin function _ZN7rocprim17ROCPRIM_400000_NS6detail17trampoline_kernelINS0_14default_configENS1_25partition_config_selectorILNS1_17partition_subalgoE8ElNS0_10empty_typeEbEEZZNS1_14partition_implILS5_8ELb0ES3_jPlPS6_PKS6_NS0_5tupleIJS9_S6_EEENSD_IJSA_SA_EEENS0_18inequality_wrapperIZN2at6native12_GLOBAL__N_124unique_dim_cuda_templateIlEESt5tupleIJNSH_6TensorESM_SM_EERKSM_lbbbEUlllE0_EEPmJS6_EEE10hipError_tPvRmT3_T4_T5_T6_T7_T9_mT8_P12ihipStream_tbDpT10_ENKUlT_T0_E_clISt17integral_constantIbLb1EES1C_EEDaS17_S18_EUlS17_E_NS1_11comp_targetILNS1_3genE9ELNS1_11target_archE1100ELNS1_3gpuE3ELNS1_3repE0EEENS1_30default_config_static_selectorELNS0_4arch9wavefront6targetE1EEEvT1_
	.p2align	8
	.type	_ZN7rocprim17ROCPRIM_400000_NS6detail17trampoline_kernelINS0_14default_configENS1_25partition_config_selectorILNS1_17partition_subalgoE8ElNS0_10empty_typeEbEEZZNS1_14partition_implILS5_8ELb0ES3_jPlPS6_PKS6_NS0_5tupleIJS9_S6_EEENSD_IJSA_SA_EEENS0_18inequality_wrapperIZN2at6native12_GLOBAL__N_124unique_dim_cuda_templateIlEESt5tupleIJNSH_6TensorESM_SM_EERKSM_lbbbEUlllE0_EEPmJS6_EEE10hipError_tPvRmT3_T4_T5_T6_T7_T9_mT8_P12ihipStream_tbDpT10_ENKUlT_T0_E_clISt17integral_constantIbLb1EES1C_EEDaS17_S18_EUlS17_E_NS1_11comp_targetILNS1_3genE9ELNS1_11target_archE1100ELNS1_3gpuE3ELNS1_3repE0EEENS1_30default_config_static_selectorELNS0_4arch9wavefront6targetE1EEEvT1_,@function
_ZN7rocprim17ROCPRIM_400000_NS6detail17trampoline_kernelINS0_14default_configENS1_25partition_config_selectorILNS1_17partition_subalgoE8ElNS0_10empty_typeEbEEZZNS1_14partition_implILS5_8ELb0ES3_jPlPS6_PKS6_NS0_5tupleIJS9_S6_EEENSD_IJSA_SA_EEENS0_18inequality_wrapperIZN2at6native12_GLOBAL__N_124unique_dim_cuda_templateIlEESt5tupleIJNSH_6TensorESM_SM_EERKSM_lbbbEUlllE0_EEPmJS6_EEE10hipError_tPvRmT3_T4_T5_T6_T7_T9_mT8_P12ihipStream_tbDpT10_ENKUlT_T0_E_clISt17integral_constantIbLb1EES1C_EEDaS17_S18_EUlS17_E_NS1_11comp_targetILNS1_3genE9ELNS1_11target_archE1100ELNS1_3gpuE3ELNS1_3repE0EEENS1_30default_config_static_selectorELNS0_4arch9wavefront6targetE1EEEvT1_: ; @_ZN7rocprim17ROCPRIM_400000_NS6detail17trampoline_kernelINS0_14default_configENS1_25partition_config_selectorILNS1_17partition_subalgoE8ElNS0_10empty_typeEbEEZZNS1_14partition_implILS5_8ELb0ES3_jPlPS6_PKS6_NS0_5tupleIJS9_S6_EEENSD_IJSA_SA_EEENS0_18inequality_wrapperIZN2at6native12_GLOBAL__N_124unique_dim_cuda_templateIlEESt5tupleIJNSH_6TensorESM_SM_EERKSM_lbbbEUlllE0_EEPmJS6_EEE10hipError_tPvRmT3_T4_T5_T6_T7_T9_mT8_P12ihipStream_tbDpT10_ENKUlT_T0_E_clISt17integral_constantIbLb1EES1C_EEDaS17_S18_EUlS17_E_NS1_11comp_targetILNS1_3genE9ELNS1_11target_archE1100ELNS1_3gpuE3ELNS1_3repE0EEENS1_30default_config_static_selectorELNS0_4arch9wavefront6targetE1EEEvT1_
; %bb.0:
	.section	.rodata,"a",@progbits
	.p2align	6, 0x0
	.amdhsa_kernel _ZN7rocprim17ROCPRIM_400000_NS6detail17trampoline_kernelINS0_14default_configENS1_25partition_config_selectorILNS1_17partition_subalgoE8ElNS0_10empty_typeEbEEZZNS1_14partition_implILS5_8ELb0ES3_jPlPS6_PKS6_NS0_5tupleIJS9_S6_EEENSD_IJSA_SA_EEENS0_18inequality_wrapperIZN2at6native12_GLOBAL__N_124unique_dim_cuda_templateIlEESt5tupleIJNSH_6TensorESM_SM_EERKSM_lbbbEUlllE0_EEPmJS6_EEE10hipError_tPvRmT3_T4_T5_T6_T7_T9_mT8_P12ihipStream_tbDpT10_ENKUlT_T0_E_clISt17integral_constantIbLb1EES1C_EEDaS17_S18_EUlS17_E_NS1_11comp_targetILNS1_3genE9ELNS1_11target_archE1100ELNS1_3gpuE3ELNS1_3repE0EEENS1_30default_config_static_selectorELNS0_4arch9wavefront6targetE1EEEvT1_
		.amdhsa_group_segment_fixed_size 0
		.amdhsa_private_segment_fixed_size 0
		.amdhsa_kernarg_size 136
		.amdhsa_user_sgpr_count 6
		.amdhsa_user_sgpr_private_segment_buffer 1
		.amdhsa_user_sgpr_dispatch_ptr 0
		.amdhsa_user_sgpr_queue_ptr 0
		.amdhsa_user_sgpr_kernarg_segment_ptr 1
		.amdhsa_user_sgpr_dispatch_id 0
		.amdhsa_user_sgpr_flat_scratch_init 0
		.amdhsa_user_sgpr_kernarg_preload_length 0
		.amdhsa_user_sgpr_kernarg_preload_offset 0
		.amdhsa_user_sgpr_private_segment_size 0
		.amdhsa_uses_dynamic_stack 0
		.amdhsa_system_sgpr_private_segment_wavefront_offset 0
		.amdhsa_system_sgpr_workgroup_id_x 1
		.amdhsa_system_sgpr_workgroup_id_y 0
		.amdhsa_system_sgpr_workgroup_id_z 0
		.amdhsa_system_sgpr_workgroup_info 0
		.amdhsa_system_vgpr_workitem_id 0
		.amdhsa_next_free_vgpr 1
		.amdhsa_next_free_sgpr 0
		.amdhsa_accum_offset 4
		.amdhsa_reserve_vcc 0
		.amdhsa_reserve_flat_scratch 0
		.amdhsa_float_round_mode_32 0
		.amdhsa_float_round_mode_16_64 0
		.amdhsa_float_denorm_mode_32 3
		.amdhsa_float_denorm_mode_16_64 3
		.amdhsa_dx10_clamp 1
		.amdhsa_ieee_mode 1
		.amdhsa_fp16_overflow 0
		.amdhsa_tg_split 0
		.amdhsa_exception_fp_ieee_invalid_op 0
		.amdhsa_exception_fp_denorm_src 0
		.amdhsa_exception_fp_ieee_div_zero 0
		.amdhsa_exception_fp_ieee_overflow 0
		.amdhsa_exception_fp_ieee_underflow 0
		.amdhsa_exception_fp_ieee_inexact 0
		.amdhsa_exception_int_div_zero 0
	.end_amdhsa_kernel
	.section	.text._ZN7rocprim17ROCPRIM_400000_NS6detail17trampoline_kernelINS0_14default_configENS1_25partition_config_selectorILNS1_17partition_subalgoE8ElNS0_10empty_typeEbEEZZNS1_14partition_implILS5_8ELb0ES3_jPlPS6_PKS6_NS0_5tupleIJS9_S6_EEENSD_IJSA_SA_EEENS0_18inequality_wrapperIZN2at6native12_GLOBAL__N_124unique_dim_cuda_templateIlEESt5tupleIJNSH_6TensorESM_SM_EERKSM_lbbbEUlllE0_EEPmJS6_EEE10hipError_tPvRmT3_T4_T5_T6_T7_T9_mT8_P12ihipStream_tbDpT10_ENKUlT_T0_E_clISt17integral_constantIbLb1EES1C_EEDaS17_S18_EUlS17_E_NS1_11comp_targetILNS1_3genE9ELNS1_11target_archE1100ELNS1_3gpuE3ELNS1_3repE0EEENS1_30default_config_static_selectorELNS0_4arch9wavefront6targetE1EEEvT1_,"axG",@progbits,_ZN7rocprim17ROCPRIM_400000_NS6detail17trampoline_kernelINS0_14default_configENS1_25partition_config_selectorILNS1_17partition_subalgoE8ElNS0_10empty_typeEbEEZZNS1_14partition_implILS5_8ELb0ES3_jPlPS6_PKS6_NS0_5tupleIJS9_S6_EEENSD_IJSA_SA_EEENS0_18inequality_wrapperIZN2at6native12_GLOBAL__N_124unique_dim_cuda_templateIlEESt5tupleIJNSH_6TensorESM_SM_EERKSM_lbbbEUlllE0_EEPmJS6_EEE10hipError_tPvRmT3_T4_T5_T6_T7_T9_mT8_P12ihipStream_tbDpT10_ENKUlT_T0_E_clISt17integral_constantIbLb1EES1C_EEDaS17_S18_EUlS17_E_NS1_11comp_targetILNS1_3genE9ELNS1_11target_archE1100ELNS1_3gpuE3ELNS1_3repE0EEENS1_30default_config_static_selectorELNS0_4arch9wavefront6targetE1EEEvT1_,comdat
.Lfunc_end577:
	.size	_ZN7rocprim17ROCPRIM_400000_NS6detail17trampoline_kernelINS0_14default_configENS1_25partition_config_selectorILNS1_17partition_subalgoE8ElNS0_10empty_typeEbEEZZNS1_14partition_implILS5_8ELb0ES3_jPlPS6_PKS6_NS0_5tupleIJS9_S6_EEENSD_IJSA_SA_EEENS0_18inequality_wrapperIZN2at6native12_GLOBAL__N_124unique_dim_cuda_templateIlEESt5tupleIJNSH_6TensorESM_SM_EERKSM_lbbbEUlllE0_EEPmJS6_EEE10hipError_tPvRmT3_T4_T5_T6_T7_T9_mT8_P12ihipStream_tbDpT10_ENKUlT_T0_E_clISt17integral_constantIbLb1EES1C_EEDaS17_S18_EUlS17_E_NS1_11comp_targetILNS1_3genE9ELNS1_11target_archE1100ELNS1_3gpuE3ELNS1_3repE0EEENS1_30default_config_static_selectorELNS0_4arch9wavefront6targetE1EEEvT1_, .Lfunc_end577-_ZN7rocprim17ROCPRIM_400000_NS6detail17trampoline_kernelINS0_14default_configENS1_25partition_config_selectorILNS1_17partition_subalgoE8ElNS0_10empty_typeEbEEZZNS1_14partition_implILS5_8ELb0ES3_jPlPS6_PKS6_NS0_5tupleIJS9_S6_EEENSD_IJSA_SA_EEENS0_18inequality_wrapperIZN2at6native12_GLOBAL__N_124unique_dim_cuda_templateIlEESt5tupleIJNSH_6TensorESM_SM_EERKSM_lbbbEUlllE0_EEPmJS6_EEE10hipError_tPvRmT3_T4_T5_T6_T7_T9_mT8_P12ihipStream_tbDpT10_ENKUlT_T0_E_clISt17integral_constantIbLb1EES1C_EEDaS17_S18_EUlS17_E_NS1_11comp_targetILNS1_3genE9ELNS1_11target_archE1100ELNS1_3gpuE3ELNS1_3repE0EEENS1_30default_config_static_selectorELNS0_4arch9wavefront6targetE1EEEvT1_
                                        ; -- End function
	.section	.AMDGPU.csdata,"",@progbits
; Kernel info:
; codeLenInByte = 0
; NumSgprs: 4
; NumVgprs: 0
; NumAgprs: 0
; TotalNumVgprs: 0
; ScratchSize: 0
; MemoryBound: 0
; FloatMode: 240
; IeeeMode: 1
; LDSByteSize: 0 bytes/workgroup (compile time only)
; SGPRBlocks: 0
; VGPRBlocks: 0
; NumSGPRsForWavesPerEU: 4
; NumVGPRsForWavesPerEU: 1
; AccumOffset: 4
; Occupancy: 8
; WaveLimiterHint : 0
; COMPUTE_PGM_RSRC2:SCRATCH_EN: 0
; COMPUTE_PGM_RSRC2:USER_SGPR: 6
; COMPUTE_PGM_RSRC2:TRAP_HANDLER: 0
; COMPUTE_PGM_RSRC2:TGID_X_EN: 1
; COMPUTE_PGM_RSRC2:TGID_Y_EN: 0
; COMPUTE_PGM_RSRC2:TGID_Z_EN: 0
; COMPUTE_PGM_RSRC2:TIDIG_COMP_CNT: 0
; COMPUTE_PGM_RSRC3_GFX90A:ACCUM_OFFSET: 0
; COMPUTE_PGM_RSRC3_GFX90A:TG_SPLIT: 0
	.section	.text._ZN7rocprim17ROCPRIM_400000_NS6detail17trampoline_kernelINS0_14default_configENS1_25partition_config_selectorILNS1_17partition_subalgoE8ElNS0_10empty_typeEbEEZZNS1_14partition_implILS5_8ELb0ES3_jPlPS6_PKS6_NS0_5tupleIJS9_S6_EEENSD_IJSA_SA_EEENS0_18inequality_wrapperIZN2at6native12_GLOBAL__N_124unique_dim_cuda_templateIlEESt5tupleIJNSH_6TensorESM_SM_EERKSM_lbbbEUlllE0_EEPmJS6_EEE10hipError_tPvRmT3_T4_T5_T6_T7_T9_mT8_P12ihipStream_tbDpT10_ENKUlT_T0_E_clISt17integral_constantIbLb1EES1C_EEDaS17_S18_EUlS17_E_NS1_11comp_targetILNS1_3genE8ELNS1_11target_archE1030ELNS1_3gpuE2ELNS1_3repE0EEENS1_30default_config_static_selectorELNS0_4arch9wavefront6targetE1EEEvT1_,"axG",@progbits,_ZN7rocprim17ROCPRIM_400000_NS6detail17trampoline_kernelINS0_14default_configENS1_25partition_config_selectorILNS1_17partition_subalgoE8ElNS0_10empty_typeEbEEZZNS1_14partition_implILS5_8ELb0ES3_jPlPS6_PKS6_NS0_5tupleIJS9_S6_EEENSD_IJSA_SA_EEENS0_18inequality_wrapperIZN2at6native12_GLOBAL__N_124unique_dim_cuda_templateIlEESt5tupleIJNSH_6TensorESM_SM_EERKSM_lbbbEUlllE0_EEPmJS6_EEE10hipError_tPvRmT3_T4_T5_T6_T7_T9_mT8_P12ihipStream_tbDpT10_ENKUlT_T0_E_clISt17integral_constantIbLb1EES1C_EEDaS17_S18_EUlS17_E_NS1_11comp_targetILNS1_3genE8ELNS1_11target_archE1030ELNS1_3gpuE2ELNS1_3repE0EEENS1_30default_config_static_selectorELNS0_4arch9wavefront6targetE1EEEvT1_,comdat
	.globl	_ZN7rocprim17ROCPRIM_400000_NS6detail17trampoline_kernelINS0_14default_configENS1_25partition_config_selectorILNS1_17partition_subalgoE8ElNS0_10empty_typeEbEEZZNS1_14partition_implILS5_8ELb0ES3_jPlPS6_PKS6_NS0_5tupleIJS9_S6_EEENSD_IJSA_SA_EEENS0_18inequality_wrapperIZN2at6native12_GLOBAL__N_124unique_dim_cuda_templateIlEESt5tupleIJNSH_6TensorESM_SM_EERKSM_lbbbEUlllE0_EEPmJS6_EEE10hipError_tPvRmT3_T4_T5_T6_T7_T9_mT8_P12ihipStream_tbDpT10_ENKUlT_T0_E_clISt17integral_constantIbLb1EES1C_EEDaS17_S18_EUlS17_E_NS1_11comp_targetILNS1_3genE8ELNS1_11target_archE1030ELNS1_3gpuE2ELNS1_3repE0EEENS1_30default_config_static_selectorELNS0_4arch9wavefront6targetE1EEEvT1_ ; -- Begin function _ZN7rocprim17ROCPRIM_400000_NS6detail17trampoline_kernelINS0_14default_configENS1_25partition_config_selectorILNS1_17partition_subalgoE8ElNS0_10empty_typeEbEEZZNS1_14partition_implILS5_8ELb0ES3_jPlPS6_PKS6_NS0_5tupleIJS9_S6_EEENSD_IJSA_SA_EEENS0_18inequality_wrapperIZN2at6native12_GLOBAL__N_124unique_dim_cuda_templateIlEESt5tupleIJNSH_6TensorESM_SM_EERKSM_lbbbEUlllE0_EEPmJS6_EEE10hipError_tPvRmT3_T4_T5_T6_T7_T9_mT8_P12ihipStream_tbDpT10_ENKUlT_T0_E_clISt17integral_constantIbLb1EES1C_EEDaS17_S18_EUlS17_E_NS1_11comp_targetILNS1_3genE8ELNS1_11target_archE1030ELNS1_3gpuE2ELNS1_3repE0EEENS1_30default_config_static_selectorELNS0_4arch9wavefront6targetE1EEEvT1_
	.p2align	8
	.type	_ZN7rocprim17ROCPRIM_400000_NS6detail17trampoline_kernelINS0_14default_configENS1_25partition_config_selectorILNS1_17partition_subalgoE8ElNS0_10empty_typeEbEEZZNS1_14partition_implILS5_8ELb0ES3_jPlPS6_PKS6_NS0_5tupleIJS9_S6_EEENSD_IJSA_SA_EEENS0_18inequality_wrapperIZN2at6native12_GLOBAL__N_124unique_dim_cuda_templateIlEESt5tupleIJNSH_6TensorESM_SM_EERKSM_lbbbEUlllE0_EEPmJS6_EEE10hipError_tPvRmT3_T4_T5_T6_T7_T9_mT8_P12ihipStream_tbDpT10_ENKUlT_T0_E_clISt17integral_constantIbLb1EES1C_EEDaS17_S18_EUlS17_E_NS1_11comp_targetILNS1_3genE8ELNS1_11target_archE1030ELNS1_3gpuE2ELNS1_3repE0EEENS1_30default_config_static_selectorELNS0_4arch9wavefront6targetE1EEEvT1_,@function
_ZN7rocprim17ROCPRIM_400000_NS6detail17trampoline_kernelINS0_14default_configENS1_25partition_config_selectorILNS1_17partition_subalgoE8ElNS0_10empty_typeEbEEZZNS1_14partition_implILS5_8ELb0ES3_jPlPS6_PKS6_NS0_5tupleIJS9_S6_EEENSD_IJSA_SA_EEENS0_18inequality_wrapperIZN2at6native12_GLOBAL__N_124unique_dim_cuda_templateIlEESt5tupleIJNSH_6TensorESM_SM_EERKSM_lbbbEUlllE0_EEPmJS6_EEE10hipError_tPvRmT3_T4_T5_T6_T7_T9_mT8_P12ihipStream_tbDpT10_ENKUlT_T0_E_clISt17integral_constantIbLb1EES1C_EEDaS17_S18_EUlS17_E_NS1_11comp_targetILNS1_3genE8ELNS1_11target_archE1030ELNS1_3gpuE2ELNS1_3repE0EEENS1_30default_config_static_selectorELNS0_4arch9wavefront6targetE1EEEvT1_: ; @_ZN7rocprim17ROCPRIM_400000_NS6detail17trampoline_kernelINS0_14default_configENS1_25partition_config_selectorILNS1_17partition_subalgoE8ElNS0_10empty_typeEbEEZZNS1_14partition_implILS5_8ELb0ES3_jPlPS6_PKS6_NS0_5tupleIJS9_S6_EEENSD_IJSA_SA_EEENS0_18inequality_wrapperIZN2at6native12_GLOBAL__N_124unique_dim_cuda_templateIlEESt5tupleIJNSH_6TensorESM_SM_EERKSM_lbbbEUlllE0_EEPmJS6_EEE10hipError_tPvRmT3_T4_T5_T6_T7_T9_mT8_P12ihipStream_tbDpT10_ENKUlT_T0_E_clISt17integral_constantIbLb1EES1C_EEDaS17_S18_EUlS17_E_NS1_11comp_targetILNS1_3genE8ELNS1_11target_archE1030ELNS1_3gpuE2ELNS1_3repE0EEENS1_30default_config_static_selectorELNS0_4arch9wavefront6targetE1EEEvT1_
; %bb.0:
	.section	.rodata,"a",@progbits
	.p2align	6, 0x0
	.amdhsa_kernel _ZN7rocprim17ROCPRIM_400000_NS6detail17trampoline_kernelINS0_14default_configENS1_25partition_config_selectorILNS1_17partition_subalgoE8ElNS0_10empty_typeEbEEZZNS1_14partition_implILS5_8ELb0ES3_jPlPS6_PKS6_NS0_5tupleIJS9_S6_EEENSD_IJSA_SA_EEENS0_18inequality_wrapperIZN2at6native12_GLOBAL__N_124unique_dim_cuda_templateIlEESt5tupleIJNSH_6TensorESM_SM_EERKSM_lbbbEUlllE0_EEPmJS6_EEE10hipError_tPvRmT3_T4_T5_T6_T7_T9_mT8_P12ihipStream_tbDpT10_ENKUlT_T0_E_clISt17integral_constantIbLb1EES1C_EEDaS17_S18_EUlS17_E_NS1_11comp_targetILNS1_3genE8ELNS1_11target_archE1030ELNS1_3gpuE2ELNS1_3repE0EEENS1_30default_config_static_selectorELNS0_4arch9wavefront6targetE1EEEvT1_
		.amdhsa_group_segment_fixed_size 0
		.amdhsa_private_segment_fixed_size 0
		.amdhsa_kernarg_size 136
		.amdhsa_user_sgpr_count 6
		.amdhsa_user_sgpr_private_segment_buffer 1
		.amdhsa_user_sgpr_dispatch_ptr 0
		.amdhsa_user_sgpr_queue_ptr 0
		.amdhsa_user_sgpr_kernarg_segment_ptr 1
		.amdhsa_user_sgpr_dispatch_id 0
		.amdhsa_user_sgpr_flat_scratch_init 0
		.amdhsa_user_sgpr_kernarg_preload_length 0
		.amdhsa_user_sgpr_kernarg_preload_offset 0
		.amdhsa_user_sgpr_private_segment_size 0
		.amdhsa_uses_dynamic_stack 0
		.amdhsa_system_sgpr_private_segment_wavefront_offset 0
		.amdhsa_system_sgpr_workgroup_id_x 1
		.amdhsa_system_sgpr_workgroup_id_y 0
		.amdhsa_system_sgpr_workgroup_id_z 0
		.amdhsa_system_sgpr_workgroup_info 0
		.amdhsa_system_vgpr_workitem_id 0
		.amdhsa_next_free_vgpr 1
		.amdhsa_next_free_sgpr 0
		.amdhsa_accum_offset 4
		.amdhsa_reserve_vcc 0
		.amdhsa_reserve_flat_scratch 0
		.amdhsa_float_round_mode_32 0
		.amdhsa_float_round_mode_16_64 0
		.amdhsa_float_denorm_mode_32 3
		.amdhsa_float_denorm_mode_16_64 3
		.amdhsa_dx10_clamp 1
		.amdhsa_ieee_mode 1
		.amdhsa_fp16_overflow 0
		.amdhsa_tg_split 0
		.amdhsa_exception_fp_ieee_invalid_op 0
		.amdhsa_exception_fp_denorm_src 0
		.amdhsa_exception_fp_ieee_div_zero 0
		.amdhsa_exception_fp_ieee_overflow 0
		.amdhsa_exception_fp_ieee_underflow 0
		.amdhsa_exception_fp_ieee_inexact 0
		.amdhsa_exception_int_div_zero 0
	.end_amdhsa_kernel
	.section	.text._ZN7rocprim17ROCPRIM_400000_NS6detail17trampoline_kernelINS0_14default_configENS1_25partition_config_selectorILNS1_17partition_subalgoE8ElNS0_10empty_typeEbEEZZNS1_14partition_implILS5_8ELb0ES3_jPlPS6_PKS6_NS0_5tupleIJS9_S6_EEENSD_IJSA_SA_EEENS0_18inequality_wrapperIZN2at6native12_GLOBAL__N_124unique_dim_cuda_templateIlEESt5tupleIJNSH_6TensorESM_SM_EERKSM_lbbbEUlllE0_EEPmJS6_EEE10hipError_tPvRmT3_T4_T5_T6_T7_T9_mT8_P12ihipStream_tbDpT10_ENKUlT_T0_E_clISt17integral_constantIbLb1EES1C_EEDaS17_S18_EUlS17_E_NS1_11comp_targetILNS1_3genE8ELNS1_11target_archE1030ELNS1_3gpuE2ELNS1_3repE0EEENS1_30default_config_static_selectorELNS0_4arch9wavefront6targetE1EEEvT1_,"axG",@progbits,_ZN7rocprim17ROCPRIM_400000_NS6detail17trampoline_kernelINS0_14default_configENS1_25partition_config_selectorILNS1_17partition_subalgoE8ElNS0_10empty_typeEbEEZZNS1_14partition_implILS5_8ELb0ES3_jPlPS6_PKS6_NS0_5tupleIJS9_S6_EEENSD_IJSA_SA_EEENS0_18inequality_wrapperIZN2at6native12_GLOBAL__N_124unique_dim_cuda_templateIlEESt5tupleIJNSH_6TensorESM_SM_EERKSM_lbbbEUlllE0_EEPmJS6_EEE10hipError_tPvRmT3_T4_T5_T6_T7_T9_mT8_P12ihipStream_tbDpT10_ENKUlT_T0_E_clISt17integral_constantIbLb1EES1C_EEDaS17_S18_EUlS17_E_NS1_11comp_targetILNS1_3genE8ELNS1_11target_archE1030ELNS1_3gpuE2ELNS1_3repE0EEENS1_30default_config_static_selectorELNS0_4arch9wavefront6targetE1EEEvT1_,comdat
.Lfunc_end578:
	.size	_ZN7rocprim17ROCPRIM_400000_NS6detail17trampoline_kernelINS0_14default_configENS1_25partition_config_selectorILNS1_17partition_subalgoE8ElNS0_10empty_typeEbEEZZNS1_14partition_implILS5_8ELb0ES3_jPlPS6_PKS6_NS0_5tupleIJS9_S6_EEENSD_IJSA_SA_EEENS0_18inequality_wrapperIZN2at6native12_GLOBAL__N_124unique_dim_cuda_templateIlEESt5tupleIJNSH_6TensorESM_SM_EERKSM_lbbbEUlllE0_EEPmJS6_EEE10hipError_tPvRmT3_T4_T5_T6_T7_T9_mT8_P12ihipStream_tbDpT10_ENKUlT_T0_E_clISt17integral_constantIbLb1EES1C_EEDaS17_S18_EUlS17_E_NS1_11comp_targetILNS1_3genE8ELNS1_11target_archE1030ELNS1_3gpuE2ELNS1_3repE0EEENS1_30default_config_static_selectorELNS0_4arch9wavefront6targetE1EEEvT1_, .Lfunc_end578-_ZN7rocprim17ROCPRIM_400000_NS6detail17trampoline_kernelINS0_14default_configENS1_25partition_config_selectorILNS1_17partition_subalgoE8ElNS0_10empty_typeEbEEZZNS1_14partition_implILS5_8ELb0ES3_jPlPS6_PKS6_NS0_5tupleIJS9_S6_EEENSD_IJSA_SA_EEENS0_18inequality_wrapperIZN2at6native12_GLOBAL__N_124unique_dim_cuda_templateIlEESt5tupleIJNSH_6TensorESM_SM_EERKSM_lbbbEUlllE0_EEPmJS6_EEE10hipError_tPvRmT3_T4_T5_T6_T7_T9_mT8_P12ihipStream_tbDpT10_ENKUlT_T0_E_clISt17integral_constantIbLb1EES1C_EEDaS17_S18_EUlS17_E_NS1_11comp_targetILNS1_3genE8ELNS1_11target_archE1030ELNS1_3gpuE2ELNS1_3repE0EEENS1_30default_config_static_selectorELNS0_4arch9wavefront6targetE1EEEvT1_
                                        ; -- End function
	.section	.AMDGPU.csdata,"",@progbits
; Kernel info:
; codeLenInByte = 0
; NumSgprs: 4
; NumVgprs: 0
; NumAgprs: 0
; TotalNumVgprs: 0
; ScratchSize: 0
; MemoryBound: 0
; FloatMode: 240
; IeeeMode: 1
; LDSByteSize: 0 bytes/workgroup (compile time only)
; SGPRBlocks: 0
; VGPRBlocks: 0
; NumSGPRsForWavesPerEU: 4
; NumVGPRsForWavesPerEU: 1
; AccumOffset: 4
; Occupancy: 8
; WaveLimiterHint : 0
; COMPUTE_PGM_RSRC2:SCRATCH_EN: 0
; COMPUTE_PGM_RSRC2:USER_SGPR: 6
; COMPUTE_PGM_RSRC2:TRAP_HANDLER: 0
; COMPUTE_PGM_RSRC2:TGID_X_EN: 1
; COMPUTE_PGM_RSRC2:TGID_Y_EN: 0
; COMPUTE_PGM_RSRC2:TGID_Z_EN: 0
; COMPUTE_PGM_RSRC2:TIDIG_COMP_CNT: 0
; COMPUTE_PGM_RSRC3_GFX90A:ACCUM_OFFSET: 0
; COMPUTE_PGM_RSRC3_GFX90A:TG_SPLIT: 0
	.section	.text._ZN7rocprim17ROCPRIM_400000_NS6detail17trampoline_kernelINS0_14default_configENS1_25partition_config_selectorILNS1_17partition_subalgoE8ElNS0_10empty_typeEbEEZZNS1_14partition_implILS5_8ELb0ES3_jPlPS6_PKS6_NS0_5tupleIJS9_S6_EEENSD_IJSA_SA_EEENS0_18inequality_wrapperIZN2at6native12_GLOBAL__N_124unique_dim_cuda_templateIlEESt5tupleIJNSH_6TensorESM_SM_EERKSM_lbbbEUlllE0_EEPmJS6_EEE10hipError_tPvRmT3_T4_T5_T6_T7_T9_mT8_P12ihipStream_tbDpT10_ENKUlT_T0_E_clISt17integral_constantIbLb1EES1B_IbLb0EEEEDaS17_S18_EUlS17_E_NS1_11comp_targetILNS1_3genE0ELNS1_11target_archE4294967295ELNS1_3gpuE0ELNS1_3repE0EEENS1_30default_config_static_selectorELNS0_4arch9wavefront6targetE1EEEvT1_,"axG",@progbits,_ZN7rocprim17ROCPRIM_400000_NS6detail17trampoline_kernelINS0_14default_configENS1_25partition_config_selectorILNS1_17partition_subalgoE8ElNS0_10empty_typeEbEEZZNS1_14partition_implILS5_8ELb0ES3_jPlPS6_PKS6_NS0_5tupleIJS9_S6_EEENSD_IJSA_SA_EEENS0_18inequality_wrapperIZN2at6native12_GLOBAL__N_124unique_dim_cuda_templateIlEESt5tupleIJNSH_6TensorESM_SM_EERKSM_lbbbEUlllE0_EEPmJS6_EEE10hipError_tPvRmT3_T4_T5_T6_T7_T9_mT8_P12ihipStream_tbDpT10_ENKUlT_T0_E_clISt17integral_constantIbLb1EES1B_IbLb0EEEEDaS17_S18_EUlS17_E_NS1_11comp_targetILNS1_3genE0ELNS1_11target_archE4294967295ELNS1_3gpuE0ELNS1_3repE0EEENS1_30default_config_static_selectorELNS0_4arch9wavefront6targetE1EEEvT1_,comdat
	.globl	_ZN7rocprim17ROCPRIM_400000_NS6detail17trampoline_kernelINS0_14default_configENS1_25partition_config_selectorILNS1_17partition_subalgoE8ElNS0_10empty_typeEbEEZZNS1_14partition_implILS5_8ELb0ES3_jPlPS6_PKS6_NS0_5tupleIJS9_S6_EEENSD_IJSA_SA_EEENS0_18inequality_wrapperIZN2at6native12_GLOBAL__N_124unique_dim_cuda_templateIlEESt5tupleIJNSH_6TensorESM_SM_EERKSM_lbbbEUlllE0_EEPmJS6_EEE10hipError_tPvRmT3_T4_T5_T6_T7_T9_mT8_P12ihipStream_tbDpT10_ENKUlT_T0_E_clISt17integral_constantIbLb1EES1B_IbLb0EEEEDaS17_S18_EUlS17_E_NS1_11comp_targetILNS1_3genE0ELNS1_11target_archE4294967295ELNS1_3gpuE0ELNS1_3repE0EEENS1_30default_config_static_selectorELNS0_4arch9wavefront6targetE1EEEvT1_ ; -- Begin function _ZN7rocprim17ROCPRIM_400000_NS6detail17trampoline_kernelINS0_14default_configENS1_25partition_config_selectorILNS1_17partition_subalgoE8ElNS0_10empty_typeEbEEZZNS1_14partition_implILS5_8ELb0ES3_jPlPS6_PKS6_NS0_5tupleIJS9_S6_EEENSD_IJSA_SA_EEENS0_18inequality_wrapperIZN2at6native12_GLOBAL__N_124unique_dim_cuda_templateIlEESt5tupleIJNSH_6TensorESM_SM_EERKSM_lbbbEUlllE0_EEPmJS6_EEE10hipError_tPvRmT3_T4_T5_T6_T7_T9_mT8_P12ihipStream_tbDpT10_ENKUlT_T0_E_clISt17integral_constantIbLb1EES1B_IbLb0EEEEDaS17_S18_EUlS17_E_NS1_11comp_targetILNS1_3genE0ELNS1_11target_archE4294967295ELNS1_3gpuE0ELNS1_3repE0EEENS1_30default_config_static_selectorELNS0_4arch9wavefront6targetE1EEEvT1_
	.p2align	8
	.type	_ZN7rocprim17ROCPRIM_400000_NS6detail17trampoline_kernelINS0_14default_configENS1_25partition_config_selectorILNS1_17partition_subalgoE8ElNS0_10empty_typeEbEEZZNS1_14partition_implILS5_8ELb0ES3_jPlPS6_PKS6_NS0_5tupleIJS9_S6_EEENSD_IJSA_SA_EEENS0_18inequality_wrapperIZN2at6native12_GLOBAL__N_124unique_dim_cuda_templateIlEESt5tupleIJNSH_6TensorESM_SM_EERKSM_lbbbEUlllE0_EEPmJS6_EEE10hipError_tPvRmT3_T4_T5_T6_T7_T9_mT8_P12ihipStream_tbDpT10_ENKUlT_T0_E_clISt17integral_constantIbLb1EES1B_IbLb0EEEEDaS17_S18_EUlS17_E_NS1_11comp_targetILNS1_3genE0ELNS1_11target_archE4294967295ELNS1_3gpuE0ELNS1_3repE0EEENS1_30default_config_static_selectorELNS0_4arch9wavefront6targetE1EEEvT1_,@function
_ZN7rocprim17ROCPRIM_400000_NS6detail17trampoline_kernelINS0_14default_configENS1_25partition_config_selectorILNS1_17partition_subalgoE8ElNS0_10empty_typeEbEEZZNS1_14partition_implILS5_8ELb0ES3_jPlPS6_PKS6_NS0_5tupleIJS9_S6_EEENSD_IJSA_SA_EEENS0_18inequality_wrapperIZN2at6native12_GLOBAL__N_124unique_dim_cuda_templateIlEESt5tupleIJNSH_6TensorESM_SM_EERKSM_lbbbEUlllE0_EEPmJS6_EEE10hipError_tPvRmT3_T4_T5_T6_T7_T9_mT8_P12ihipStream_tbDpT10_ENKUlT_T0_E_clISt17integral_constantIbLb1EES1B_IbLb0EEEEDaS17_S18_EUlS17_E_NS1_11comp_targetILNS1_3genE0ELNS1_11target_archE4294967295ELNS1_3gpuE0ELNS1_3repE0EEENS1_30default_config_static_selectorELNS0_4arch9wavefront6targetE1EEEvT1_: ; @_ZN7rocprim17ROCPRIM_400000_NS6detail17trampoline_kernelINS0_14default_configENS1_25partition_config_selectorILNS1_17partition_subalgoE8ElNS0_10empty_typeEbEEZZNS1_14partition_implILS5_8ELb0ES3_jPlPS6_PKS6_NS0_5tupleIJS9_S6_EEENSD_IJSA_SA_EEENS0_18inequality_wrapperIZN2at6native12_GLOBAL__N_124unique_dim_cuda_templateIlEESt5tupleIJNSH_6TensorESM_SM_EERKSM_lbbbEUlllE0_EEPmJS6_EEE10hipError_tPvRmT3_T4_T5_T6_T7_T9_mT8_P12ihipStream_tbDpT10_ENKUlT_T0_E_clISt17integral_constantIbLb1EES1B_IbLb0EEEEDaS17_S18_EUlS17_E_NS1_11comp_targetILNS1_3genE0ELNS1_11target_archE4294967295ELNS1_3gpuE0ELNS1_3repE0EEENS1_30default_config_static_selectorELNS0_4arch9wavefront6targetE1EEEvT1_
; %bb.0:
	.section	.rodata,"a",@progbits
	.p2align	6, 0x0
	.amdhsa_kernel _ZN7rocprim17ROCPRIM_400000_NS6detail17trampoline_kernelINS0_14default_configENS1_25partition_config_selectorILNS1_17partition_subalgoE8ElNS0_10empty_typeEbEEZZNS1_14partition_implILS5_8ELb0ES3_jPlPS6_PKS6_NS0_5tupleIJS9_S6_EEENSD_IJSA_SA_EEENS0_18inequality_wrapperIZN2at6native12_GLOBAL__N_124unique_dim_cuda_templateIlEESt5tupleIJNSH_6TensorESM_SM_EERKSM_lbbbEUlllE0_EEPmJS6_EEE10hipError_tPvRmT3_T4_T5_T6_T7_T9_mT8_P12ihipStream_tbDpT10_ENKUlT_T0_E_clISt17integral_constantIbLb1EES1B_IbLb0EEEEDaS17_S18_EUlS17_E_NS1_11comp_targetILNS1_3genE0ELNS1_11target_archE4294967295ELNS1_3gpuE0ELNS1_3repE0EEENS1_30default_config_static_selectorELNS0_4arch9wavefront6targetE1EEEvT1_
		.amdhsa_group_segment_fixed_size 0
		.amdhsa_private_segment_fixed_size 0
		.amdhsa_kernarg_size 120
		.amdhsa_user_sgpr_count 6
		.amdhsa_user_sgpr_private_segment_buffer 1
		.amdhsa_user_sgpr_dispatch_ptr 0
		.amdhsa_user_sgpr_queue_ptr 0
		.amdhsa_user_sgpr_kernarg_segment_ptr 1
		.amdhsa_user_sgpr_dispatch_id 0
		.amdhsa_user_sgpr_flat_scratch_init 0
		.amdhsa_user_sgpr_kernarg_preload_length 0
		.amdhsa_user_sgpr_kernarg_preload_offset 0
		.amdhsa_user_sgpr_private_segment_size 0
		.amdhsa_uses_dynamic_stack 0
		.amdhsa_system_sgpr_private_segment_wavefront_offset 0
		.amdhsa_system_sgpr_workgroup_id_x 1
		.amdhsa_system_sgpr_workgroup_id_y 0
		.amdhsa_system_sgpr_workgroup_id_z 0
		.amdhsa_system_sgpr_workgroup_info 0
		.amdhsa_system_vgpr_workitem_id 0
		.amdhsa_next_free_vgpr 1
		.amdhsa_next_free_sgpr 0
		.amdhsa_accum_offset 4
		.amdhsa_reserve_vcc 0
		.amdhsa_reserve_flat_scratch 0
		.amdhsa_float_round_mode_32 0
		.amdhsa_float_round_mode_16_64 0
		.amdhsa_float_denorm_mode_32 3
		.amdhsa_float_denorm_mode_16_64 3
		.amdhsa_dx10_clamp 1
		.amdhsa_ieee_mode 1
		.amdhsa_fp16_overflow 0
		.amdhsa_tg_split 0
		.amdhsa_exception_fp_ieee_invalid_op 0
		.amdhsa_exception_fp_denorm_src 0
		.amdhsa_exception_fp_ieee_div_zero 0
		.amdhsa_exception_fp_ieee_overflow 0
		.amdhsa_exception_fp_ieee_underflow 0
		.amdhsa_exception_fp_ieee_inexact 0
		.amdhsa_exception_int_div_zero 0
	.end_amdhsa_kernel
	.section	.text._ZN7rocprim17ROCPRIM_400000_NS6detail17trampoline_kernelINS0_14default_configENS1_25partition_config_selectorILNS1_17partition_subalgoE8ElNS0_10empty_typeEbEEZZNS1_14partition_implILS5_8ELb0ES3_jPlPS6_PKS6_NS0_5tupleIJS9_S6_EEENSD_IJSA_SA_EEENS0_18inequality_wrapperIZN2at6native12_GLOBAL__N_124unique_dim_cuda_templateIlEESt5tupleIJNSH_6TensorESM_SM_EERKSM_lbbbEUlllE0_EEPmJS6_EEE10hipError_tPvRmT3_T4_T5_T6_T7_T9_mT8_P12ihipStream_tbDpT10_ENKUlT_T0_E_clISt17integral_constantIbLb1EES1B_IbLb0EEEEDaS17_S18_EUlS17_E_NS1_11comp_targetILNS1_3genE0ELNS1_11target_archE4294967295ELNS1_3gpuE0ELNS1_3repE0EEENS1_30default_config_static_selectorELNS0_4arch9wavefront6targetE1EEEvT1_,"axG",@progbits,_ZN7rocprim17ROCPRIM_400000_NS6detail17trampoline_kernelINS0_14default_configENS1_25partition_config_selectorILNS1_17partition_subalgoE8ElNS0_10empty_typeEbEEZZNS1_14partition_implILS5_8ELb0ES3_jPlPS6_PKS6_NS0_5tupleIJS9_S6_EEENSD_IJSA_SA_EEENS0_18inequality_wrapperIZN2at6native12_GLOBAL__N_124unique_dim_cuda_templateIlEESt5tupleIJNSH_6TensorESM_SM_EERKSM_lbbbEUlllE0_EEPmJS6_EEE10hipError_tPvRmT3_T4_T5_T6_T7_T9_mT8_P12ihipStream_tbDpT10_ENKUlT_T0_E_clISt17integral_constantIbLb1EES1B_IbLb0EEEEDaS17_S18_EUlS17_E_NS1_11comp_targetILNS1_3genE0ELNS1_11target_archE4294967295ELNS1_3gpuE0ELNS1_3repE0EEENS1_30default_config_static_selectorELNS0_4arch9wavefront6targetE1EEEvT1_,comdat
.Lfunc_end579:
	.size	_ZN7rocprim17ROCPRIM_400000_NS6detail17trampoline_kernelINS0_14default_configENS1_25partition_config_selectorILNS1_17partition_subalgoE8ElNS0_10empty_typeEbEEZZNS1_14partition_implILS5_8ELb0ES3_jPlPS6_PKS6_NS0_5tupleIJS9_S6_EEENSD_IJSA_SA_EEENS0_18inequality_wrapperIZN2at6native12_GLOBAL__N_124unique_dim_cuda_templateIlEESt5tupleIJNSH_6TensorESM_SM_EERKSM_lbbbEUlllE0_EEPmJS6_EEE10hipError_tPvRmT3_T4_T5_T6_T7_T9_mT8_P12ihipStream_tbDpT10_ENKUlT_T0_E_clISt17integral_constantIbLb1EES1B_IbLb0EEEEDaS17_S18_EUlS17_E_NS1_11comp_targetILNS1_3genE0ELNS1_11target_archE4294967295ELNS1_3gpuE0ELNS1_3repE0EEENS1_30default_config_static_selectorELNS0_4arch9wavefront6targetE1EEEvT1_, .Lfunc_end579-_ZN7rocprim17ROCPRIM_400000_NS6detail17trampoline_kernelINS0_14default_configENS1_25partition_config_selectorILNS1_17partition_subalgoE8ElNS0_10empty_typeEbEEZZNS1_14partition_implILS5_8ELb0ES3_jPlPS6_PKS6_NS0_5tupleIJS9_S6_EEENSD_IJSA_SA_EEENS0_18inequality_wrapperIZN2at6native12_GLOBAL__N_124unique_dim_cuda_templateIlEESt5tupleIJNSH_6TensorESM_SM_EERKSM_lbbbEUlllE0_EEPmJS6_EEE10hipError_tPvRmT3_T4_T5_T6_T7_T9_mT8_P12ihipStream_tbDpT10_ENKUlT_T0_E_clISt17integral_constantIbLb1EES1B_IbLb0EEEEDaS17_S18_EUlS17_E_NS1_11comp_targetILNS1_3genE0ELNS1_11target_archE4294967295ELNS1_3gpuE0ELNS1_3repE0EEENS1_30default_config_static_selectorELNS0_4arch9wavefront6targetE1EEEvT1_
                                        ; -- End function
	.section	.AMDGPU.csdata,"",@progbits
; Kernel info:
; codeLenInByte = 0
; NumSgprs: 4
; NumVgprs: 0
; NumAgprs: 0
; TotalNumVgprs: 0
; ScratchSize: 0
; MemoryBound: 0
; FloatMode: 240
; IeeeMode: 1
; LDSByteSize: 0 bytes/workgroup (compile time only)
; SGPRBlocks: 0
; VGPRBlocks: 0
; NumSGPRsForWavesPerEU: 4
; NumVGPRsForWavesPerEU: 1
; AccumOffset: 4
; Occupancy: 8
; WaveLimiterHint : 0
; COMPUTE_PGM_RSRC2:SCRATCH_EN: 0
; COMPUTE_PGM_RSRC2:USER_SGPR: 6
; COMPUTE_PGM_RSRC2:TRAP_HANDLER: 0
; COMPUTE_PGM_RSRC2:TGID_X_EN: 1
; COMPUTE_PGM_RSRC2:TGID_Y_EN: 0
; COMPUTE_PGM_RSRC2:TGID_Z_EN: 0
; COMPUTE_PGM_RSRC2:TIDIG_COMP_CNT: 0
; COMPUTE_PGM_RSRC3_GFX90A:ACCUM_OFFSET: 0
; COMPUTE_PGM_RSRC3_GFX90A:TG_SPLIT: 0
	.section	.text._ZN7rocprim17ROCPRIM_400000_NS6detail17trampoline_kernelINS0_14default_configENS1_25partition_config_selectorILNS1_17partition_subalgoE8ElNS0_10empty_typeEbEEZZNS1_14partition_implILS5_8ELb0ES3_jPlPS6_PKS6_NS0_5tupleIJS9_S6_EEENSD_IJSA_SA_EEENS0_18inequality_wrapperIZN2at6native12_GLOBAL__N_124unique_dim_cuda_templateIlEESt5tupleIJNSH_6TensorESM_SM_EERKSM_lbbbEUlllE0_EEPmJS6_EEE10hipError_tPvRmT3_T4_T5_T6_T7_T9_mT8_P12ihipStream_tbDpT10_ENKUlT_T0_E_clISt17integral_constantIbLb1EES1B_IbLb0EEEEDaS17_S18_EUlS17_E_NS1_11comp_targetILNS1_3genE5ELNS1_11target_archE942ELNS1_3gpuE9ELNS1_3repE0EEENS1_30default_config_static_selectorELNS0_4arch9wavefront6targetE1EEEvT1_,"axG",@progbits,_ZN7rocprim17ROCPRIM_400000_NS6detail17trampoline_kernelINS0_14default_configENS1_25partition_config_selectorILNS1_17partition_subalgoE8ElNS0_10empty_typeEbEEZZNS1_14partition_implILS5_8ELb0ES3_jPlPS6_PKS6_NS0_5tupleIJS9_S6_EEENSD_IJSA_SA_EEENS0_18inequality_wrapperIZN2at6native12_GLOBAL__N_124unique_dim_cuda_templateIlEESt5tupleIJNSH_6TensorESM_SM_EERKSM_lbbbEUlllE0_EEPmJS6_EEE10hipError_tPvRmT3_T4_T5_T6_T7_T9_mT8_P12ihipStream_tbDpT10_ENKUlT_T0_E_clISt17integral_constantIbLb1EES1B_IbLb0EEEEDaS17_S18_EUlS17_E_NS1_11comp_targetILNS1_3genE5ELNS1_11target_archE942ELNS1_3gpuE9ELNS1_3repE0EEENS1_30default_config_static_selectorELNS0_4arch9wavefront6targetE1EEEvT1_,comdat
	.globl	_ZN7rocprim17ROCPRIM_400000_NS6detail17trampoline_kernelINS0_14default_configENS1_25partition_config_selectorILNS1_17partition_subalgoE8ElNS0_10empty_typeEbEEZZNS1_14partition_implILS5_8ELb0ES3_jPlPS6_PKS6_NS0_5tupleIJS9_S6_EEENSD_IJSA_SA_EEENS0_18inequality_wrapperIZN2at6native12_GLOBAL__N_124unique_dim_cuda_templateIlEESt5tupleIJNSH_6TensorESM_SM_EERKSM_lbbbEUlllE0_EEPmJS6_EEE10hipError_tPvRmT3_T4_T5_T6_T7_T9_mT8_P12ihipStream_tbDpT10_ENKUlT_T0_E_clISt17integral_constantIbLb1EES1B_IbLb0EEEEDaS17_S18_EUlS17_E_NS1_11comp_targetILNS1_3genE5ELNS1_11target_archE942ELNS1_3gpuE9ELNS1_3repE0EEENS1_30default_config_static_selectorELNS0_4arch9wavefront6targetE1EEEvT1_ ; -- Begin function _ZN7rocprim17ROCPRIM_400000_NS6detail17trampoline_kernelINS0_14default_configENS1_25partition_config_selectorILNS1_17partition_subalgoE8ElNS0_10empty_typeEbEEZZNS1_14partition_implILS5_8ELb0ES3_jPlPS6_PKS6_NS0_5tupleIJS9_S6_EEENSD_IJSA_SA_EEENS0_18inequality_wrapperIZN2at6native12_GLOBAL__N_124unique_dim_cuda_templateIlEESt5tupleIJNSH_6TensorESM_SM_EERKSM_lbbbEUlllE0_EEPmJS6_EEE10hipError_tPvRmT3_T4_T5_T6_T7_T9_mT8_P12ihipStream_tbDpT10_ENKUlT_T0_E_clISt17integral_constantIbLb1EES1B_IbLb0EEEEDaS17_S18_EUlS17_E_NS1_11comp_targetILNS1_3genE5ELNS1_11target_archE942ELNS1_3gpuE9ELNS1_3repE0EEENS1_30default_config_static_selectorELNS0_4arch9wavefront6targetE1EEEvT1_
	.p2align	8
	.type	_ZN7rocprim17ROCPRIM_400000_NS6detail17trampoline_kernelINS0_14default_configENS1_25partition_config_selectorILNS1_17partition_subalgoE8ElNS0_10empty_typeEbEEZZNS1_14partition_implILS5_8ELb0ES3_jPlPS6_PKS6_NS0_5tupleIJS9_S6_EEENSD_IJSA_SA_EEENS0_18inequality_wrapperIZN2at6native12_GLOBAL__N_124unique_dim_cuda_templateIlEESt5tupleIJNSH_6TensorESM_SM_EERKSM_lbbbEUlllE0_EEPmJS6_EEE10hipError_tPvRmT3_T4_T5_T6_T7_T9_mT8_P12ihipStream_tbDpT10_ENKUlT_T0_E_clISt17integral_constantIbLb1EES1B_IbLb0EEEEDaS17_S18_EUlS17_E_NS1_11comp_targetILNS1_3genE5ELNS1_11target_archE942ELNS1_3gpuE9ELNS1_3repE0EEENS1_30default_config_static_selectorELNS0_4arch9wavefront6targetE1EEEvT1_,@function
_ZN7rocprim17ROCPRIM_400000_NS6detail17trampoline_kernelINS0_14default_configENS1_25partition_config_selectorILNS1_17partition_subalgoE8ElNS0_10empty_typeEbEEZZNS1_14partition_implILS5_8ELb0ES3_jPlPS6_PKS6_NS0_5tupleIJS9_S6_EEENSD_IJSA_SA_EEENS0_18inequality_wrapperIZN2at6native12_GLOBAL__N_124unique_dim_cuda_templateIlEESt5tupleIJNSH_6TensorESM_SM_EERKSM_lbbbEUlllE0_EEPmJS6_EEE10hipError_tPvRmT3_T4_T5_T6_T7_T9_mT8_P12ihipStream_tbDpT10_ENKUlT_T0_E_clISt17integral_constantIbLb1EES1B_IbLb0EEEEDaS17_S18_EUlS17_E_NS1_11comp_targetILNS1_3genE5ELNS1_11target_archE942ELNS1_3gpuE9ELNS1_3repE0EEENS1_30default_config_static_selectorELNS0_4arch9wavefront6targetE1EEEvT1_: ; @_ZN7rocprim17ROCPRIM_400000_NS6detail17trampoline_kernelINS0_14default_configENS1_25partition_config_selectorILNS1_17partition_subalgoE8ElNS0_10empty_typeEbEEZZNS1_14partition_implILS5_8ELb0ES3_jPlPS6_PKS6_NS0_5tupleIJS9_S6_EEENSD_IJSA_SA_EEENS0_18inequality_wrapperIZN2at6native12_GLOBAL__N_124unique_dim_cuda_templateIlEESt5tupleIJNSH_6TensorESM_SM_EERKSM_lbbbEUlllE0_EEPmJS6_EEE10hipError_tPvRmT3_T4_T5_T6_T7_T9_mT8_P12ihipStream_tbDpT10_ENKUlT_T0_E_clISt17integral_constantIbLb1EES1B_IbLb0EEEEDaS17_S18_EUlS17_E_NS1_11comp_targetILNS1_3genE5ELNS1_11target_archE942ELNS1_3gpuE9ELNS1_3repE0EEENS1_30default_config_static_selectorELNS0_4arch9wavefront6targetE1EEEvT1_
; %bb.0:
	.section	.rodata,"a",@progbits
	.p2align	6, 0x0
	.amdhsa_kernel _ZN7rocprim17ROCPRIM_400000_NS6detail17trampoline_kernelINS0_14default_configENS1_25partition_config_selectorILNS1_17partition_subalgoE8ElNS0_10empty_typeEbEEZZNS1_14partition_implILS5_8ELb0ES3_jPlPS6_PKS6_NS0_5tupleIJS9_S6_EEENSD_IJSA_SA_EEENS0_18inequality_wrapperIZN2at6native12_GLOBAL__N_124unique_dim_cuda_templateIlEESt5tupleIJNSH_6TensorESM_SM_EERKSM_lbbbEUlllE0_EEPmJS6_EEE10hipError_tPvRmT3_T4_T5_T6_T7_T9_mT8_P12ihipStream_tbDpT10_ENKUlT_T0_E_clISt17integral_constantIbLb1EES1B_IbLb0EEEEDaS17_S18_EUlS17_E_NS1_11comp_targetILNS1_3genE5ELNS1_11target_archE942ELNS1_3gpuE9ELNS1_3repE0EEENS1_30default_config_static_selectorELNS0_4arch9wavefront6targetE1EEEvT1_
		.amdhsa_group_segment_fixed_size 0
		.amdhsa_private_segment_fixed_size 0
		.amdhsa_kernarg_size 120
		.amdhsa_user_sgpr_count 6
		.amdhsa_user_sgpr_private_segment_buffer 1
		.amdhsa_user_sgpr_dispatch_ptr 0
		.amdhsa_user_sgpr_queue_ptr 0
		.amdhsa_user_sgpr_kernarg_segment_ptr 1
		.amdhsa_user_sgpr_dispatch_id 0
		.amdhsa_user_sgpr_flat_scratch_init 0
		.amdhsa_user_sgpr_kernarg_preload_length 0
		.amdhsa_user_sgpr_kernarg_preload_offset 0
		.amdhsa_user_sgpr_private_segment_size 0
		.amdhsa_uses_dynamic_stack 0
		.amdhsa_system_sgpr_private_segment_wavefront_offset 0
		.amdhsa_system_sgpr_workgroup_id_x 1
		.amdhsa_system_sgpr_workgroup_id_y 0
		.amdhsa_system_sgpr_workgroup_id_z 0
		.amdhsa_system_sgpr_workgroup_info 0
		.amdhsa_system_vgpr_workitem_id 0
		.amdhsa_next_free_vgpr 1
		.amdhsa_next_free_sgpr 0
		.amdhsa_accum_offset 4
		.amdhsa_reserve_vcc 0
		.amdhsa_reserve_flat_scratch 0
		.amdhsa_float_round_mode_32 0
		.amdhsa_float_round_mode_16_64 0
		.amdhsa_float_denorm_mode_32 3
		.amdhsa_float_denorm_mode_16_64 3
		.amdhsa_dx10_clamp 1
		.amdhsa_ieee_mode 1
		.amdhsa_fp16_overflow 0
		.amdhsa_tg_split 0
		.amdhsa_exception_fp_ieee_invalid_op 0
		.amdhsa_exception_fp_denorm_src 0
		.amdhsa_exception_fp_ieee_div_zero 0
		.amdhsa_exception_fp_ieee_overflow 0
		.amdhsa_exception_fp_ieee_underflow 0
		.amdhsa_exception_fp_ieee_inexact 0
		.amdhsa_exception_int_div_zero 0
	.end_amdhsa_kernel
	.section	.text._ZN7rocprim17ROCPRIM_400000_NS6detail17trampoline_kernelINS0_14default_configENS1_25partition_config_selectorILNS1_17partition_subalgoE8ElNS0_10empty_typeEbEEZZNS1_14partition_implILS5_8ELb0ES3_jPlPS6_PKS6_NS0_5tupleIJS9_S6_EEENSD_IJSA_SA_EEENS0_18inequality_wrapperIZN2at6native12_GLOBAL__N_124unique_dim_cuda_templateIlEESt5tupleIJNSH_6TensorESM_SM_EERKSM_lbbbEUlllE0_EEPmJS6_EEE10hipError_tPvRmT3_T4_T5_T6_T7_T9_mT8_P12ihipStream_tbDpT10_ENKUlT_T0_E_clISt17integral_constantIbLb1EES1B_IbLb0EEEEDaS17_S18_EUlS17_E_NS1_11comp_targetILNS1_3genE5ELNS1_11target_archE942ELNS1_3gpuE9ELNS1_3repE0EEENS1_30default_config_static_selectorELNS0_4arch9wavefront6targetE1EEEvT1_,"axG",@progbits,_ZN7rocprim17ROCPRIM_400000_NS6detail17trampoline_kernelINS0_14default_configENS1_25partition_config_selectorILNS1_17partition_subalgoE8ElNS0_10empty_typeEbEEZZNS1_14partition_implILS5_8ELb0ES3_jPlPS6_PKS6_NS0_5tupleIJS9_S6_EEENSD_IJSA_SA_EEENS0_18inequality_wrapperIZN2at6native12_GLOBAL__N_124unique_dim_cuda_templateIlEESt5tupleIJNSH_6TensorESM_SM_EERKSM_lbbbEUlllE0_EEPmJS6_EEE10hipError_tPvRmT3_T4_T5_T6_T7_T9_mT8_P12ihipStream_tbDpT10_ENKUlT_T0_E_clISt17integral_constantIbLb1EES1B_IbLb0EEEEDaS17_S18_EUlS17_E_NS1_11comp_targetILNS1_3genE5ELNS1_11target_archE942ELNS1_3gpuE9ELNS1_3repE0EEENS1_30default_config_static_selectorELNS0_4arch9wavefront6targetE1EEEvT1_,comdat
.Lfunc_end580:
	.size	_ZN7rocprim17ROCPRIM_400000_NS6detail17trampoline_kernelINS0_14default_configENS1_25partition_config_selectorILNS1_17partition_subalgoE8ElNS0_10empty_typeEbEEZZNS1_14partition_implILS5_8ELb0ES3_jPlPS6_PKS6_NS0_5tupleIJS9_S6_EEENSD_IJSA_SA_EEENS0_18inequality_wrapperIZN2at6native12_GLOBAL__N_124unique_dim_cuda_templateIlEESt5tupleIJNSH_6TensorESM_SM_EERKSM_lbbbEUlllE0_EEPmJS6_EEE10hipError_tPvRmT3_T4_T5_T6_T7_T9_mT8_P12ihipStream_tbDpT10_ENKUlT_T0_E_clISt17integral_constantIbLb1EES1B_IbLb0EEEEDaS17_S18_EUlS17_E_NS1_11comp_targetILNS1_3genE5ELNS1_11target_archE942ELNS1_3gpuE9ELNS1_3repE0EEENS1_30default_config_static_selectorELNS0_4arch9wavefront6targetE1EEEvT1_, .Lfunc_end580-_ZN7rocprim17ROCPRIM_400000_NS6detail17trampoline_kernelINS0_14default_configENS1_25partition_config_selectorILNS1_17partition_subalgoE8ElNS0_10empty_typeEbEEZZNS1_14partition_implILS5_8ELb0ES3_jPlPS6_PKS6_NS0_5tupleIJS9_S6_EEENSD_IJSA_SA_EEENS0_18inequality_wrapperIZN2at6native12_GLOBAL__N_124unique_dim_cuda_templateIlEESt5tupleIJNSH_6TensorESM_SM_EERKSM_lbbbEUlllE0_EEPmJS6_EEE10hipError_tPvRmT3_T4_T5_T6_T7_T9_mT8_P12ihipStream_tbDpT10_ENKUlT_T0_E_clISt17integral_constantIbLb1EES1B_IbLb0EEEEDaS17_S18_EUlS17_E_NS1_11comp_targetILNS1_3genE5ELNS1_11target_archE942ELNS1_3gpuE9ELNS1_3repE0EEENS1_30default_config_static_selectorELNS0_4arch9wavefront6targetE1EEEvT1_
                                        ; -- End function
	.section	.AMDGPU.csdata,"",@progbits
; Kernel info:
; codeLenInByte = 0
; NumSgprs: 4
; NumVgprs: 0
; NumAgprs: 0
; TotalNumVgprs: 0
; ScratchSize: 0
; MemoryBound: 0
; FloatMode: 240
; IeeeMode: 1
; LDSByteSize: 0 bytes/workgroup (compile time only)
; SGPRBlocks: 0
; VGPRBlocks: 0
; NumSGPRsForWavesPerEU: 4
; NumVGPRsForWavesPerEU: 1
; AccumOffset: 4
; Occupancy: 8
; WaveLimiterHint : 0
; COMPUTE_PGM_RSRC2:SCRATCH_EN: 0
; COMPUTE_PGM_RSRC2:USER_SGPR: 6
; COMPUTE_PGM_RSRC2:TRAP_HANDLER: 0
; COMPUTE_PGM_RSRC2:TGID_X_EN: 1
; COMPUTE_PGM_RSRC2:TGID_Y_EN: 0
; COMPUTE_PGM_RSRC2:TGID_Z_EN: 0
; COMPUTE_PGM_RSRC2:TIDIG_COMP_CNT: 0
; COMPUTE_PGM_RSRC3_GFX90A:ACCUM_OFFSET: 0
; COMPUTE_PGM_RSRC3_GFX90A:TG_SPLIT: 0
	.section	.text._ZN7rocprim17ROCPRIM_400000_NS6detail17trampoline_kernelINS0_14default_configENS1_25partition_config_selectorILNS1_17partition_subalgoE8ElNS0_10empty_typeEbEEZZNS1_14partition_implILS5_8ELb0ES3_jPlPS6_PKS6_NS0_5tupleIJS9_S6_EEENSD_IJSA_SA_EEENS0_18inequality_wrapperIZN2at6native12_GLOBAL__N_124unique_dim_cuda_templateIlEESt5tupleIJNSH_6TensorESM_SM_EERKSM_lbbbEUlllE0_EEPmJS6_EEE10hipError_tPvRmT3_T4_T5_T6_T7_T9_mT8_P12ihipStream_tbDpT10_ENKUlT_T0_E_clISt17integral_constantIbLb1EES1B_IbLb0EEEEDaS17_S18_EUlS17_E_NS1_11comp_targetILNS1_3genE4ELNS1_11target_archE910ELNS1_3gpuE8ELNS1_3repE0EEENS1_30default_config_static_selectorELNS0_4arch9wavefront6targetE1EEEvT1_,"axG",@progbits,_ZN7rocprim17ROCPRIM_400000_NS6detail17trampoline_kernelINS0_14default_configENS1_25partition_config_selectorILNS1_17partition_subalgoE8ElNS0_10empty_typeEbEEZZNS1_14partition_implILS5_8ELb0ES3_jPlPS6_PKS6_NS0_5tupleIJS9_S6_EEENSD_IJSA_SA_EEENS0_18inequality_wrapperIZN2at6native12_GLOBAL__N_124unique_dim_cuda_templateIlEESt5tupleIJNSH_6TensorESM_SM_EERKSM_lbbbEUlllE0_EEPmJS6_EEE10hipError_tPvRmT3_T4_T5_T6_T7_T9_mT8_P12ihipStream_tbDpT10_ENKUlT_T0_E_clISt17integral_constantIbLb1EES1B_IbLb0EEEEDaS17_S18_EUlS17_E_NS1_11comp_targetILNS1_3genE4ELNS1_11target_archE910ELNS1_3gpuE8ELNS1_3repE0EEENS1_30default_config_static_selectorELNS0_4arch9wavefront6targetE1EEEvT1_,comdat
	.globl	_ZN7rocprim17ROCPRIM_400000_NS6detail17trampoline_kernelINS0_14default_configENS1_25partition_config_selectorILNS1_17partition_subalgoE8ElNS0_10empty_typeEbEEZZNS1_14partition_implILS5_8ELb0ES3_jPlPS6_PKS6_NS0_5tupleIJS9_S6_EEENSD_IJSA_SA_EEENS0_18inequality_wrapperIZN2at6native12_GLOBAL__N_124unique_dim_cuda_templateIlEESt5tupleIJNSH_6TensorESM_SM_EERKSM_lbbbEUlllE0_EEPmJS6_EEE10hipError_tPvRmT3_T4_T5_T6_T7_T9_mT8_P12ihipStream_tbDpT10_ENKUlT_T0_E_clISt17integral_constantIbLb1EES1B_IbLb0EEEEDaS17_S18_EUlS17_E_NS1_11comp_targetILNS1_3genE4ELNS1_11target_archE910ELNS1_3gpuE8ELNS1_3repE0EEENS1_30default_config_static_selectorELNS0_4arch9wavefront6targetE1EEEvT1_ ; -- Begin function _ZN7rocprim17ROCPRIM_400000_NS6detail17trampoline_kernelINS0_14default_configENS1_25partition_config_selectorILNS1_17partition_subalgoE8ElNS0_10empty_typeEbEEZZNS1_14partition_implILS5_8ELb0ES3_jPlPS6_PKS6_NS0_5tupleIJS9_S6_EEENSD_IJSA_SA_EEENS0_18inequality_wrapperIZN2at6native12_GLOBAL__N_124unique_dim_cuda_templateIlEESt5tupleIJNSH_6TensorESM_SM_EERKSM_lbbbEUlllE0_EEPmJS6_EEE10hipError_tPvRmT3_T4_T5_T6_T7_T9_mT8_P12ihipStream_tbDpT10_ENKUlT_T0_E_clISt17integral_constantIbLb1EES1B_IbLb0EEEEDaS17_S18_EUlS17_E_NS1_11comp_targetILNS1_3genE4ELNS1_11target_archE910ELNS1_3gpuE8ELNS1_3repE0EEENS1_30default_config_static_selectorELNS0_4arch9wavefront6targetE1EEEvT1_
	.p2align	8
	.type	_ZN7rocprim17ROCPRIM_400000_NS6detail17trampoline_kernelINS0_14default_configENS1_25partition_config_selectorILNS1_17partition_subalgoE8ElNS0_10empty_typeEbEEZZNS1_14partition_implILS5_8ELb0ES3_jPlPS6_PKS6_NS0_5tupleIJS9_S6_EEENSD_IJSA_SA_EEENS0_18inequality_wrapperIZN2at6native12_GLOBAL__N_124unique_dim_cuda_templateIlEESt5tupleIJNSH_6TensorESM_SM_EERKSM_lbbbEUlllE0_EEPmJS6_EEE10hipError_tPvRmT3_T4_T5_T6_T7_T9_mT8_P12ihipStream_tbDpT10_ENKUlT_T0_E_clISt17integral_constantIbLb1EES1B_IbLb0EEEEDaS17_S18_EUlS17_E_NS1_11comp_targetILNS1_3genE4ELNS1_11target_archE910ELNS1_3gpuE8ELNS1_3repE0EEENS1_30default_config_static_selectorELNS0_4arch9wavefront6targetE1EEEvT1_,@function
_ZN7rocprim17ROCPRIM_400000_NS6detail17trampoline_kernelINS0_14default_configENS1_25partition_config_selectorILNS1_17partition_subalgoE8ElNS0_10empty_typeEbEEZZNS1_14partition_implILS5_8ELb0ES3_jPlPS6_PKS6_NS0_5tupleIJS9_S6_EEENSD_IJSA_SA_EEENS0_18inequality_wrapperIZN2at6native12_GLOBAL__N_124unique_dim_cuda_templateIlEESt5tupleIJNSH_6TensorESM_SM_EERKSM_lbbbEUlllE0_EEPmJS6_EEE10hipError_tPvRmT3_T4_T5_T6_T7_T9_mT8_P12ihipStream_tbDpT10_ENKUlT_T0_E_clISt17integral_constantIbLb1EES1B_IbLb0EEEEDaS17_S18_EUlS17_E_NS1_11comp_targetILNS1_3genE4ELNS1_11target_archE910ELNS1_3gpuE8ELNS1_3repE0EEENS1_30default_config_static_selectorELNS0_4arch9wavefront6targetE1EEEvT1_: ; @_ZN7rocprim17ROCPRIM_400000_NS6detail17trampoline_kernelINS0_14default_configENS1_25partition_config_selectorILNS1_17partition_subalgoE8ElNS0_10empty_typeEbEEZZNS1_14partition_implILS5_8ELb0ES3_jPlPS6_PKS6_NS0_5tupleIJS9_S6_EEENSD_IJSA_SA_EEENS0_18inequality_wrapperIZN2at6native12_GLOBAL__N_124unique_dim_cuda_templateIlEESt5tupleIJNSH_6TensorESM_SM_EERKSM_lbbbEUlllE0_EEPmJS6_EEE10hipError_tPvRmT3_T4_T5_T6_T7_T9_mT8_P12ihipStream_tbDpT10_ENKUlT_T0_E_clISt17integral_constantIbLb1EES1B_IbLb0EEEEDaS17_S18_EUlS17_E_NS1_11comp_targetILNS1_3genE4ELNS1_11target_archE910ELNS1_3gpuE8ELNS1_3repE0EEENS1_30default_config_static_selectorELNS0_4arch9wavefront6targetE1EEEvT1_
; %bb.0:
	s_load_dwordx8 s[20:27], s[4:5], 0x40
	s_load_dwordx4 s[0:3], s[4:5], 0x8
	s_load_dwordx4 s[28:31], s[4:5], 0x60
	s_load_dword s7, s[4:5], 0x70
	s_waitcnt lgkmcnt(0)
	v_mov_b32_e32 v2, s24
	s_lshl_b64 s[8:9], s[2:3], 3
	s_add_u32 s12, s0, s8
	s_mul_i32 s8, s7, 0x500
	s_addc_u32 s13, s1, s9
	s_add_i32 s1, s8, s2
	s_add_i32 s10, s7, -1
	s_sub_i32 s7, s24, s1
	s_add_u32 s8, s2, s8
	s_addc_u32 s9, s3, 0
	v_mov_b32_e32 v3, s25
	s_cmp_eq_u32 s6, s10
	s_load_dwordx2 s[22:23], s[22:23], 0x0
	v_cmp_ge_u64_e32 vcc, s[8:9], v[2:3]
	s_cselect_b64 s[24:25], -1, 0
	s_mul_i32 s0, s6, 0x500
	s_mov_b32 s1, 0
	s_and_b64 s[10:11], s[24:25], vcc
	s_xor_b64 s[34:35], s[10:11], -1
	s_lshl_b64 s[0:1], s[0:1], 3
	s_add_u32 s0, s12, s0
	s_mov_b64 s[8:9], -1
	s_addc_u32 s1, s13, s1
	s_and_b64 vcc, exec, s[34:35]
	s_cbranch_vccz .LBB581_2
; %bb.1:
	v_lshlrev_b32_e32 v1, 3, v0
	v_mov_b32_e32 v2, s1
	v_add_co_u32_e32 v12, vcc, s0, v1
	v_addc_co_u32_e32 v13, vcc, 0, v2, vcc
	v_add_co_u32_e32 v2, vcc, 0x1000, v12
	v_addc_co_u32_e32 v3, vcc, 0, v13, vcc
	global_load_dwordx2 v[4:5], v1, s[0:1]
	global_load_dwordx2 v[6:7], v1, s[0:1] offset:2048
	global_load_dwordx2 v[8:9], v[2:3], off
	global_load_dwordx2 v[10:11], v[2:3], off offset:2048
	v_add_co_u32_e32 v2, vcc, 0x2000, v12
	v_addc_co_u32_e32 v3, vcc, 0, v13, vcc
	global_load_dwordx2 v[2:3], v[2:3], off
	s_mov_b64 s[8:9], 0
	s_waitcnt vmcnt(3)
	ds_write2st64_b64 v1, v[4:5], v[6:7] offset1:4
	s_waitcnt vmcnt(1)
	ds_write2st64_b64 v1, v[8:9], v[10:11] offset0:8 offset1:12
	s_waitcnt vmcnt(0)
	ds_write_b64 v1, v[2:3] offset:8192
	s_waitcnt lgkmcnt(0)
	s_barrier
.LBB581_2:
	s_andn2_b64 vcc, exec, s[8:9]
	s_addk_i32 s7, 0x500
	s_cbranch_vccnz .LBB581_14
; %bb.3:
	v_cmp_gt_u32_e32 vcc, s7, v0
                                        ; implicit-def: $vgpr2_vgpr3_vgpr4_vgpr5_vgpr6_vgpr7_vgpr8_vgpr9_vgpr10_vgpr11_vgpr12_vgpr13_vgpr14_vgpr15_vgpr16_vgpr17
	s_and_saveexec_b64 s[8:9], vcc
	s_cbranch_execz .LBB581_5
; %bb.4:
	v_lshlrev_b32_e32 v1, 3, v0
	global_load_dwordx2 v[2:3], v1, s[0:1]
.LBB581_5:
	s_or_b64 exec, exec, s[8:9]
	v_or_b32_e32 v1, 0x100, v0
	v_cmp_gt_u32_e32 vcc, s7, v1
	s_and_saveexec_b64 s[8:9], vcc
	s_cbranch_execz .LBB581_7
; %bb.6:
	v_lshlrev_b32_e32 v1, 3, v0
	global_load_dwordx2 v[4:5], v1, s[0:1] offset:2048
.LBB581_7:
	s_or_b64 exec, exec, s[8:9]
	v_or_b32_e32 v1, 0x200, v0
	v_cmp_gt_u32_e32 vcc, s7, v1
	s_and_saveexec_b64 s[8:9], vcc
	s_cbranch_execz .LBB581_9
; %bb.8:
	v_lshlrev_b32_e32 v1, 3, v1
	global_load_dwordx2 v[6:7], v1, s[0:1]
.LBB581_9:
	s_or_b64 exec, exec, s[8:9]
	v_or_b32_e32 v1, 0x300, v0
	v_cmp_gt_u32_e32 vcc, s7, v1
	s_and_saveexec_b64 s[8:9], vcc
	s_cbranch_execz .LBB581_11
; %bb.10:
	v_lshlrev_b32_e32 v1, 3, v1
	global_load_dwordx2 v[8:9], v1, s[0:1]
.LBB581_11:
	;; [unrolled: 9-line block ×3, first 2 shown]
	s_or_b64 exec, exec, s[8:9]
	v_lshlrev_b32_e32 v1, 3, v0
	s_waitcnt vmcnt(0)
	ds_write2st64_b64 v1, v[2:3], v[4:5] offset1:4
	ds_write2st64_b64 v1, v[6:7], v[8:9] offset0:8 offset1:12
	ds_write_b64 v1, v[10:11] offset:8192
	s_waitcnt lgkmcnt(0)
	s_barrier
.LBB581_14:
	v_mul_u32_u24_e32 v1, 5, v0
	v_lshlrev_b32_e32 v20, 3, v1
	s_waitcnt lgkmcnt(0)
	ds_read2_b64 v[6:9], v20 offset1:1
	ds_read2_b64 v[2:5], v20 offset0:2 offset1:3
	ds_read_b64 v[10:11], v20 offset:32
	s_cmp_lg_u32 s6, 0
	s_cselect_b64 s[16:17], -1, 0
	s_cmp_lg_u64 s[2:3], 0
	s_cselect_b64 s[2:3], -1, 0
	s_or_b64 s[2:3], s[16:17], s[2:3]
	v_mad_u32_u24 v24, v0, 5, 1
	v_mad_u32_u24 v22, v0, 5, 2
	;; [unrolled: 1-line block ×4, first 2 shown]
	s_mov_b64 s[12:13], 0
	s_and_b64 vcc, exec, s[2:3]
	v_cmp_gt_i64_e64 s[2:3], s[26:27], 0
	s_waitcnt lgkmcnt(0)
	s_barrier
	s_cbranch_vccz .LBB581_23
; %bb.15:
	s_add_u32 s0, s0, -8
	s_addc_u32 s1, s1, -1
	s_load_dwordx2 s[12:13], s[0:1], 0x0
	v_cndmask_b32_e64 v12, 0, 1, s[2:3]
	v_lshlrev_b32_e32 v21, 3, v0
	s_mov_b64 s[14:15], 0
	s_and_b64 vcc, exec, s[34:35]
	v_cmp_ne_u32_e64 s[0:1], 1, v12
	ds_write_b64 v21, v[10:11]
	s_cbranch_vccz .LBB581_24
; %bb.16:
	v_mul_lo_u32 v14, v5, s26
	v_mul_lo_u32 v15, v4, s27
	v_mad_u64_u32 v[12:13], s[2:3], v4, s26, 0
	v_add3_u32 v13, v13, v15, v14
	s_and_b64 vcc, exec, s[0:1]
	v_lshlrev_b64 v[12:13], 3, v[12:13]
	s_cbranch_vccnz .LBB581_27
; %bb.17:
	v_mul_lo_u32 v16, v11, s26
	v_mul_lo_u32 v17, v10, s27
	v_mad_u64_u32 v[14:15], s[2:3], v10, s26, 0
	v_add3_u32 v15, v15, v17, v16
	v_mov_b32_e32 v17, s29
	v_add_co_u32_e32 v16, vcc, s28, v12
	v_addc_co_u32_e64 v17, s[2:3], v17, v13, vcc
	v_lshlrev_b64 v[14:15], 3, v[14:15]
	v_mov_b32_e32 v19, s29
	v_add_co_u32_e64 v18, s[2:3], s28, v14
	v_addc_co_u32_e64 v19, s[8:9], v19, v15, s[2:3]
	global_load_dwordx2 v[26:27], v[16:17], off
	global_load_dwordx2 v[28:29], v[18:19], off
	s_mov_b64 s[14:15], -1
	s_waitcnt vmcnt(0)
	v_cmp_eq_u64_e64 s[8:9], v[26:27], v[28:29]
	s_and_saveexec_b64 s[18:19], s[8:9]
	s_cbranch_execz .LBB581_26
; %bb.18:
	v_mov_b32_e32 v14, s29
	v_addc_co_u32_e64 v15, s[2:3], v15, v14, s[2:3]
	v_add_co_u32_e64 v14, s[2:3], 8, v18
	v_mov_b32_e32 v17, s29
	v_addc_co_u32_e64 v15, s[2:3], 0, v15, s[2:3]
	v_addc_co_u32_e32 v17, vcc, v13, v17, vcc
	v_add_co_u32_e32 v16, vcc, 8, v16
	s_add_u32 s2, s26, -1
	v_addc_co_u32_e32 v17, vcc, 0, v17, vcc
	s_addc_u32 s3, s27, -1
	s_mov_b64 s[8:9], 0
	s_mov_b64 s[36:37], 0
                                        ; implicit-def: $sgpr14_sgpr15
	s_branch .LBB581_21
.LBB581_19:                             ;   in Loop: Header=BB581_21 Depth=1
	global_load_dwordx2 v[18:19], v[16:17], off
	global_load_dwordx2 v[26:27], v[14:15], off
	v_add_co_u32_e32 v14, vcc, 8, v14
	v_addc_co_u32_e32 v15, vcc, 0, v15, vcc
	v_add_co_u32_e32 v16, vcc, 8, v16
	v_addc_co_u32_e32 v17, vcc, 0, v17, vcc
	s_add_u32 s36, s36, 1
	s_addc_u32 s37, s37, 0
	s_andn2_b64 s[14:15], s[14:15], exec
	s_waitcnt vmcnt(0)
	v_cmp_ne_u64_e32 vcc, v[18:19], v[26:27]
	s_and_b64 s[38:39], vcc, exec
	s_or_b64 s[14:15], s[14:15], s[38:39]
.LBB581_20:                             ;   in Loop: Header=BB581_21 Depth=1
	s_and_b64 s[38:39], exec, s[14:15]
	s_or_b64 s[8:9], s[38:39], s[8:9]
	v_pk_mov_b32 v[18:19], s[36:37], s[36:37] op_sel:[0,1]
	s_andn2_b64 exec, exec, s[8:9]
	s_cbranch_execz .LBB581_25
.LBB581_21:                             ; =>This Inner Loop Header: Depth=1
	s_or_b64 s[14:15], s[14:15], exec
	s_cmp_eq_u64 s[2:3], s[36:37]
	s_cbranch_scc0 .LBB581_19
; %bb.22:                               ;   in Loop: Header=BB581_21 Depth=1
                                        ; implicit-def: $vgpr14_vgpr15
                                        ; implicit-def: $vgpr16_vgpr17
	s_mov_b64 s[36:37], s[26:27]
	s_branch .LBB581_20
.LBB581_23:
                                        ; implicit-def: $sgpr18_sgpr19
                                        ; implicit-def: $vgpr13
                                        ; implicit-def: $vgpr16
	s_branch .LBB581_125
.LBB581_24:
                                        ; implicit-def: $sgpr18_sgpr19
                                        ; implicit-def: $vgpr13
                                        ; implicit-def: $vgpr16
	s_cbranch_execnz .LBB581_66
	s_branch .LBB581_124
.LBB581_25:
	s_or_b64 exec, exec, s[8:9]
	v_cmp_gt_i64_e32 vcc, s[26:27], v[18:19]
	s_orn2_b64 s[14:15], vcc, exec
.LBB581_26:
	s_or_b64 exec, exec, s[18:19]
.LBB581_27:
	v_mul_lo_u32 v16, v3, s26
	v_mul_lo_u32 v17, v2, s27
	v_mad_u64_u32 v[14:15], s[2:3], v2, s26, 0
	v_add3_u32 v15, v15, v17, v16
	s_mov_b64 s[18:19], 0
	s_and_b64 vcc, exec, s[0:1]
	v_lshlrev_b64 v[16:17], 3, v[14:15]
	s_mov_b64 s[36:37], 0
	s_cbranch_vccnz .LBB581_36
; %bb.28:
	v_mov_b32_e32 v15, s29
	v_add_co_u32_e32 v14, vcc, s28, v16
	v_addc_co_u32_e64 v15, s[2:3], v15, v17, vcc
	v_mov_b32_e32 v19, s29
	v_add_co_u32_e64 v18, s[2:3], s28, v12
	v_addc_co_u32_e64 v19, s[8:9], v19, v13, s[2:3]
	global_load_dwordx2 v[26:27], v[14:15], off
	global_load_dwordx2 v[28:29], v[18:19], off
	s_mov_b64 s[36:37], -1
	s_waitcnt vmcnt(0)
	v_cmp_eq_u64_e64 s[8:9], v[26:27], v[28:29]
	s_and_saveexec_b64 s[38:39], s[8:9]
	s_cbranch_execz .LBB581_35
; %bb.29:
	v_mov_b32_e32 v12, s29
	v_addc_co_u32_e64 v13, s[2:3], v13, v12, s[2:3]
	v_add_co_u32_e64 v12, s[2:3], 8, v18
	v_mov_b32_e32 v15, s29
	v_addc_co_u32_e64 v13, s[2:3], 0, v13, s[2:3]
	v_addc_co_u32_e32 v15, vcc, v17, v15, vcc
	v_add_co_u32_e32 v14, vcc, 8, v14
	s_add_u32 s2, s26, -1
	v_addc_co_u32_e32 v15, vcc, 0, v15, vcc
	s_addc_u32 s3, s27, -1
	s_mov_b64 s[8:9], 0
	s_mov_b64 s[40:41], 0
                                        ; implicit-def: $sgpr36_sgpr37
	s_branch .LBB581_32
.LBB581_30:                             ;   in Loop: Header=BB581_32 Depth=1
	global_load_dwordx2 v[18:19], v[14:15], off
	global_load_dwordx2 v[26:27], v[12:13], off
	v_add_co_u32_e32 v12, vcc, 8, v12
	v_addc_co_u32_e32 v13, vcc, 0, v13, vcc
	v_add_co_u32_e32 v14, vcc, 8, v14
	v_addc_co_u32_e32 v15, vcc, 0, v15, vcc
	s_add_u32 s40, s40, 1
	s_addc_u32 s41, s41, 0
	s_andn2_b64 s[36:37], s[36:37], exec
	s_waitcnt vmcnt(0)
	v_cmp_ne_u64_e32 vcc, v[18:19], v[26:27]
	s_and_b64 s[42:43], vcc, exec
	s_or_b64 s[36:37], s[36:37], s[42:43]
.LBB581_31:                             ;   in Loop: Header=BB581_32 Depth=1
	s_and_b64 s[42:43], exec, s[36:37]
	s_or_b64 s[8:9], s[42:43], s[8:9]
	v_pk_mov_b32 v[18:19], s[40:41], s[40:41] op_sel:[0,1]
	s_andn2_b64 exec, exec, s[8:9]
	s_cbranch_execz .LBB581_34
.LBB581_32:                             ; =>This Inner Loop Header: Depth=1
	s_or_b64 s[36:37], s[36:37], exec
	s_cmp_eq_u64 s[2:3], s[40:41]
	s_cbranch_scc0 .LBB581_30
; %bb.33:                               ;   in Loop: Header=BB581_32 Depth=1
                                        ; implicit-def: $vgpr12_vgpr13
                                        ; implicit-def: $vgpr14_vgpr15
	s_mov_b64 s[40:41], s[26:27]
	s_branch .LBB581_31
.LBB581_34:
	s_or_b64 exec, exec, s[8:9]
	v_cmp_gt_i64_e32 vcc, s[26:27], v[18:19]
	s_orn2_b64 s[36:37], vcc, exec
.LBB581_35:
	s_or_b64 exec, exec, s[38:39]
.LBB581_36:
	v_mul_lo_u32 v14, v9, s26
	v_mul_lo_u32 v15, v8, s27
	v_mad_u64_u32 v[12:13], s[2:3], v8, s26, 0
	v_add3_u32 v13, v13, v15, v14
	s_and_b64 vcc, exec, s[0:1]
	v_lshlrev_b64 v[14:15], 3, v[12:13]
	s_cbranch_vccnz .LBB581_45
; %bb.37:
	v_mov_b32_e32 v12, s29
	v_add_co_u32_e32 v18, vcc, s28, v14
	v_addc_co_u32_e64 v19, s[2:3], v12, v15, vcc
	v_mov_b32_e32 v13, s29
	v_add_co_u32_e64 v12, s[2:3], s28, v16
	v_addc_co_u32_e64 v13, s[8:9], v13, v17, s[2:3]
	global_load_dwordx2 v[26:27], v[18:19], off
	global_load_dwordx2 v[28:29], v[12:13], off
	s_mov_b64 s[18:19], -1
	s_waitcnt vmcnt(0)
	v_cmp_eq_u64_e64 s[8:9], v[26:27], v[28:29]
	s_and_saveexec_b64 s[38:39], s[8:9]
	s_cbranch_execz .LBB581_44
; %bb.38:
	v_mov_b32_e32 v13, s29
	v_addc_co_u32_e64 v13, s[2:3], v17, v13, s[2:3]
	v_add_co_u32_e64 v12, s[2:3], 8, v12
	v_mov_b32_e32 v16, s29
	v_addc_co_u32_e64 v13, s[2:3], 0, v13, s[2:3]
	v_addc_co_u32_e32 v17, vcc, v15, v16, vcc
	v_add_co_u32_e32 v16, vcc, 8, v18
	s_add_u32 s2, s26, -1
	v_addc_co_u32_e32 v17, vcc, 0, v17, vcc
	s_addc_u32 s3, s27, -1
	s_mov_b64 s[8:9], 0
	s_mov_b64 s[40:41], 0
                                        ; implicit-def: $sgpr18_sgpr19
	s_branch .LBB581_41
.LBB581_39:                             ;   in Loop: Header=BB581_41 Depth=1
	global_load_dwordx2 v[18:19], v[16:17], off
	global_load_dwordx2 v[26:27], v[12:13], off
	v_add_co_u32_e32 v12, vcc, 8, v12
	v_addc_co_u32_e32 v13, vcc, 0, v13, vcc
	v_add_co_u32_e32 v16, vcc, 8, v16
	v_addc_co_u32_e32 v17, vcc, 0, v17, vcc
	s_add_u32 s40, s40, 1
	s_addc_u32 s41, s41, 0
	s_andn2_b64 s[18:19], s[18:19], exec
	s_waitcnt vmcnt(0)
	v_cmp_ne_u64_e32 vcc, v[18:19], v[26:27]
	s_and_b64 s[42:43], vcc, exec
	s_or_b64 s[18:19], s[18:19], s[42:43]
.LBB581_40:                             ;   in Loop: Header=BB581_41 Depth=1
	s_and_b64 s[42:43], exec, s[18:19]
	s_or_b64 s[8:9], s[42:43], s[8:9]
	v_pk_mov_b32 v[18:19], s[40:41], s[40:41] op_sel:[0,1]
	s_andn2_b64 exec, exec, s[8:9]
	s_cbranch_execz .LBB581_43
.LBB581_41:                             ; =>This Inner Loop Header: Depth=1
	s_or_b64 s[18:19], s[18:19], exec
	s_cmp_eq_u64 s[2:3], s[40:41]
	s_cbranch_scc0 .LBB581_39
; %bb.42:                               ;   in Loop: Header=BB581_41 Depth=1
                                        ; implicit-def: $vgpr12_vgpr13
                                        ; implicit-def: $vgpr16_vgpr17
	s_mov_b64 s[40:41], s[26:27]
	s_branch .LBB581_40
.LBB581_43:
	s_or_b64 exec, exec, s[8:9]
	v_cmp_gt_i64_e32 vcc, s[26:27], v[18:19]
	s_orn2_b64 s[18:19], vcc, exec
.LBB581_44:
	s_or_b64 exec, exec, s[38:39]
.LBB581_45:
	v_mul_lo_u32 v16, v7, s26
	v_mul_lo_u32 v17, v6, s27
	v_mad_u64_u32 v[12:13], s[2:3], v6, s26, 0
	v_add3_u32 v13, v13, v17, v16
	s_mov_b64 s[40:41], 0
	s_and_b64 vcc, exec, s[0:1]
	v_lshlrev_b64 v[12:13], 3, v[12:13]
	s_cbranch_vccnz .LBB581_54
; %bb.46:
	v_mov_b32_e32 v17, s29
	v_add_co_u32_e32 v16, vcc, s28, v12
	v_addc_co_u32_e64 v17, s[2:3], v17, v13, vcc
	v_mov_b32_e32 v19, s29
	v_add_co_u32_e64 v18, s[2:3], s28, v14
	v_addc_co_u32_e64 v19, s[8:9], v19, v15, s[2:3]
	global_load_dwordx2 v[26:27], v[16:17], off
	global_load_dwordx2 v[28:29], v[18:19], off
	s_mov_b64 s[40:41], -1
	s_waitcnt vmcnt(0)
	v_cmp_eq_u64_e64 s[8:9], v[26:27], v[28:29]
	s_and_saveexec_b64 s[38:39], s[8:9]
	s_cbranch_execz .LBB581_53
; %bb.47:
	v_mov_b32_e32 v14, s29
	v_addc_co_u32_e64 v15, s[2:3], v15, v14, s[2:3]
	v_add_co_u32_e64 v14, s[2:3], 8, v18
	v_mov_b32_e32 v17, s29
	v_addc_co_u32_e64 v15, s[2:3], 0, v15, s[2:3]
	v_addc_co_u32_e32 v17, vcc, v13, v17, vcc
	v_add_co_u32_e32 v16, vcc, 8, v16
	s_add_u32 s2, s26, -1
	v_addc_co_u32_e32 v17, vcc, 0, v17, vcc
	s_addc_u32 s3, s27, -1
	s_mov_b64 s[8:9], 0
	s_mov_b64 s[42:43], 0
                                        ; implicit-def: $sgpr40_sgpr41
	s_branch .LBB581_50
.LBB581_48:                             ;   in Loop: Header=BB581_50 Depth=1
	global_load_dwordx2 v[18:19], v[16:17], off
	global_load_dwordx2 v[26:27], v[14:15], off
	v_add_co_u32_e32 v14, vcc, 8, v14
	v_addc_co_u32_e32 v15, vcc, 0, v15, vcc
	v_add_co_u32_e32 v16, vcc, 8, v16
	v_addc_co_u32_e32 v17, vcc, 0, v17, vcc
	s_add_u32 s42, s42, 1
	s_addc_u32 s43, s43, 0
	s_andn2_b64 s[40:41], s[40:41], exec
	s_waitcnt vmcnt(0)
	v_cmp_ne_u64_e32 vcc, v[18:19], v[26:27]
	s_and_b64 s[44:45], vcc, exec
	s_or_b64 s[40:41], s[40:41], s[44:45]
.LBB581_49:                             ;   in Loop: Header=BB581_50 Depth=1
	s_and_b64 s[44:45], exec, s[40:41]
	s_or_b64 s[8:9], s[44:45], s[8:9]
	v_pk_mov_b32 v[18:19], s[42:43], s[42:43] op_sel:[0,1]
	s_andn2_b64 exec, exec, s[8:9]
	s_cbranch_execz .LBB581_52
.LBB581_50:                             ; =>This Inner Loop Header: Depth=1
	s_or_b64 s[40:41], s[40:41], exec
	s_cmp_eq_u64 s[2:3], s[42:43]
	s_cbranch_scc0 .LBB581_48
; %bb.51:                               ;   in Loop: Header=BB581_50 Depth=1
                                        ; implicit-def: $vgpr14_vgpr15
                                        ; implicit-def: $vgpr16_vgpr17
	s_mov_b64 s[42:43], s[26:27]
	s_branch .LBB581_49
.LBB581_52:
	s_or_b64 exec, exec, s[8:9]
	v_cmp_gt_i64_e32 vcc, s[26:27], v[18:19]
	s_orn2_b64 s[40:41], vcc, exec
.LBB581_53:
	s_or_b64 exec, exec, s[38:39]
.LBB581_54:
	v_cmp_ne_u32_e32 vcc, 0, v0
	s_waitcnt lgkmcnt(0)
	v_pk_mov_b32 v[14:15], s[12:13], s[12:13] op_sel:[0,1]
	s_barrier
	s_and_saveexec_b64 s[2:3], vcc
	s_cbranch_execz .LBB581_56
; %bb.55:
	v_add_u32_e32 v14, -8, v21
	ds_read_b64 v[14:15], v14
.LBB581_56:
	s_or_b64 exec, exec, s[2:3]
	v_cndmask_b32_e64 v17, 0, 1, s[36:37]
	v_cndmask_b32_e64 v16, 0, 1, s[18:19]
	;; [unrolled: 1-line block ×3, first 2 shown]
	v_lshlrev_b16_e32 v17, 8, v17
	v_lshlrev_b16_e32 v26, 8, v18
	v_or_b32_sdwa v27, v16, v17 dst_sel:WORD_1 dst_unused:UNUSED_PAD src0_sel:DWORD src1_sel:DWORD
	s_mov_b64 s[36:37], 0
	s_and_b64 vcc, exec, s[0:1]
	s_mov_b64 s[18:19], 0
	s_cbranch_vccnz .LBB581_65
; %bb.57:
	s_waitcnt lgkmcnt(0)
	v_mul_lo_u32 v16, v15, s26
	v_mul_lo_u32 v17, v14, s27
	v_mad_u64_u32 v[14:15], s[2:3], v14, s26, 0
	v_add3_u32 v15, v15, v17, v16
	v_lshlrev_b64 v[14:15], 3, v[14:15]
	v_mov_b32_e32 v17, s29
	v_add_co_u32_e32 v16, vcc, s28, v14
	v_addc_co_u32_e64 v17, s[2:3], v17, v15, vcc
	v_mov_b32_e32 v14, s29
	v_add_co_u32_e64 v18, s[2:3], s28, v12
	v_addc_co_u32_e64 v19, s[8:9], v14, v13, s[2:3]
	global_load_dwordx2 v[28:29], v[16:17], off
	global_load_dwordx2 v[30:31], v[18:19], off
	s_mov_b64 s[18:19], -1
	s_waitcnt vmcnt(0)
	v_cmp_eq_u64_e64 s[8:9], v[28:29], v[30:31]
	s_and_saveexec_b64 s[38:39], s[8:9]
	s_cbranch_execz .LBB581_64
; %bb.58:
	v_mov_b32_e32 v12, s29
	v_addc_co_u32_e64 v13, s[2:3], v13, v12, s[2:3]
	v_add_co_u32_e64 v12, s[2:3], 8, v18
	v_mov_b32_e32 v14, s29
	v_addc_co_u32_e64 v13, s[2:3], 0, v13, s[2:3]
	v_addc_co_u32_e32 v15, vcc, v15, v14, vcc
	v_add_co_u32_e32 v14, vcc, 8, v16
	s_add_u32 s2, s26, -1
	v_addc_co_u32_e32 v15, vcc, 0, v15, vcc
	s_addc_u32 s3, s27, -1
	s_mov_b64 s[8:9], 0
	s_mov_b64 s[40:41], 0
                                        ; implicit-def: $sgpr18_sgpr19
	s_branch .LBB581_61
.LBB581_59:                             ;   in Loop: Header=BB581_61 Depth=1
	global_load_dwordx2 v[16:17], v[14:15], off
	global_load_dwordx2 v[18:19], v[12:13], off
	v_add_co_u32_e32 v12, vcc, 8, v12
	v_addc_co_u32_e32 v13, vcc, 0, v13, vcc
	v_add_co_u32_e32 v14, vcc, 8, v14
	v_addc_co_u32_e32 v15, vcc, 0, v15, vcc
	s_add_u32 s40, s40, 1
	s_addc_u32 s41, s41, 0
	s_andn2_b64 s[18:19], s[18:19], exec
	s_waitcnt vmcnt(0)
	v_cmp_ne_u64_e32 vcc, v[16:17], v[18:19]
	s_and_b64 s[42:43], vcc, exec
	s_or_b64 s[18:19], s[18:19], s[42:43]
.LBB581_60:                             ;   in Loop: Header=BB581_61 Depth=1
	s_and_b64 s[42:43], exec, s[18:19]
	s_or_b64 s[8:9], s[42:43], s[8:9]
	v_pk_mov_b32 v[16:17], s[40:41], s[40:41] op_sel:[0,1]
	s_andn2_b64 exec, exec, s[8:9]
	s_cbranch_execz .LBB581_63
.LBB581_61:                             ; =>This Inner Loop Header: Depth=1
	s_or_b64 s[18:19], s[18:19], exec
	s_cmp_eq_u64 s[2:3], s[40:41]
	s_cbranch_scc0 .LBB581_59
; %bb.62:                               ;   in Loop: Header=BB581_61 Depth=1
                                        ; implicit-def: $vgpr12_vgpr13
                                        ; implicit-def: $vgpr14_vgpr15
	s_mov_b64 s[40:41], s[26:27]
	s_branch .LBB581_60
.LBB581_63:
	s_or_b64 exec, exec, s[8:9]
	v_cmp_gt_i64_e32 vcc, s[26:27], v[16:17]
	s_orn2_b64 s[18:19], vcc, exec
.LBB581_64:
	s_or_b64 exec, exec, s[38:39]
.LBB581_65:
	v_cndmask_b32_e64 v13, 0, 1, s[14:15]
	v_or_b32_e32 v16, v26, v27
	s_and_b64 vcc, exec, s[36:37]
	s_cbranch_vccz .LBB581_124
.LBB581_66:
	v_cmp_gt_u32_e32 vcc, s7, v23
	s_mov_b64 s[18:19], 0
	s_mov_b64 s[14:15], 0
	s_and_saveexec_b64 s[36:37], vcc
	s_cbranch_execz .LBB581_77
; %bb.67:
	s_and_b64 vcc, exec, s[0:1]
	s_mov_b64 s[38:39], 0
	s_cbranch_vccnz .LBB581_76
; %bb.68:
	s_waitcnt lgkmcnt(0)
	v_mul_lo_u32 v14, v5, s26
	v_mul_lo_u32 v15, v4, s27
	v_mad_u64_u32 v[12:13], s[2:3], v4, s26, 0
	v_add3_u32 v13, v13, v15, v14
	v_mul_lo_u32 v14, v11, s26
	v_mul_lo_u32 v15, v10, s27
	v_mad_u64_u32 v[18:19], s[2:3], v10, s26, 0
	v_add3_u32 v19, v19, v15, v14
	v_lshlrev_b64 v[14:15], 3, v[12:13]
	v_mov_b32_e32 v12, s29
	v_add_co_u32_e32 v16, vcc, s28, v14
	v_addc_co_u32_e64 v17, s[2:3], v12, v15, vcc
	v_lshlrev_b64 v[12:13], 3, v[18:19]
	v_mov_b32_e32 v14, s29
	v_add_co_u32_e64 v18, s[2:3], s28, v12
	v_addc_co_u32_e64 v19, s[8:9], v14, v13, s[2:3]
	global_load_dwordx2 v[26:27], v[16:17], off
	global_load_dwordx2 v[28:29], v[18:19], off
	s_mov_b64 s[38:39], -1
	s_waitcnt vmcnt(0)
	v_cmp_eq_u64_e64 s[8:9], v[26:27], v[28:29]
	s_and_saveexec_b64 s[14:15], s[8:9]
	s_cbranch_execz .LBB581_75
; %bb.69:
	v_mov_b32_e32 v12, s29
	v_addc_co_u32_e64 v13, s[2:3], v13, v12, s[2:3]
	v_add_co_u32_e64 v12, s[2:3], 8, v18
	v_mov_b32_e32 v14, s29
	v_addc_co_u32_e64 v13, s[2:3], 0, v13, s[2:3]
	v_addc_co_u32_e32 v15, vcc, v15, v14, vcc
	v_add_co_u32_e32 v14, vcc, 8, v16
	s_add_u32 s2, s26, -1
	v_addc_co_u32_e32 v15, vcc, 0, v15, vcc
	s_addc_u32 s3, s27, -1
	s_mov_b64 s[8:9], 0
	s_mov_b64 s[40:41], 0
                                        ; implicit-def: $sgpr38_sgpr39
	s_branch .LBB581_72
.LBB581_70:                             ;   in Loop: Header=BB581_72 Depth=1
	global_load_dwordx2 v[16:17], v[14:15], off
	global_load_dwordx2 v[18:19], v[12:13], off
	v_add_co_u32_e32 v12, vcc, 8, v12
	v_addc_co_u32_e32 v13, vcc, 0, v13, vcc
	v_add_co_u32_e32 v14, vcc, 8, v14
	v_addc_co_u32_e32 v15, vcc, 0, v15, vcc
	s_add_u32 s40, s40, 1
	s_addc_u32 s41, s41, 0
	s_andn2_b64 s[38:39], s[38:39], exec
	s_waitcnt vmcnt(0)
	v_cmp_ne_u64_e32 vcc, v[16:17], v[18:19]
	s_and_b64 s[42:43], vcc, exec
	s_or_b64 s[38:39], s[38:39], s[42:43]
.LBB581_71:                             ;   in Loop: Header=BB581_72 Depth=1
	s_and_b64 s[42:43], exec, s[38:39]
	s_or_b64 s[8:9], s[42:43], s[8:9]
	v_pk_mov_b32 v[16:17], s[40:41], s[40:41] op_sel:[0,1]
	s_andn2_b64 exec, exec, s[8:9]
	s_cbranch_execz .LBB581_74
.LBB581_72:                             ; =>This Inner Loop Header: Depth=1
	s_or_b64 s[38:39], s[38:39], exec
	s_cmp_eq_u64 s[2:3], s[40:41]
	s_cbranch_scc0 .LBB581_70
; %bb.73:                               ;   in Loop: Header=BB581_72 Depth=1
                                        ; implicit-def: $vgpr12_vgpr13
                                        ; implicit-def: $vgpr14_vgpr15
	s_mov_b64 s[40:41], s[26:27]
	s_branch .LBB581_71
.LBB581_74:
	s_or_b64 exec, exec, s[8:9]
	v_cmp_gt_i64_e32 vcc, s[26:27], v[16:17]
	s_orn2_b64 s[38:39], vcc, exec
.LBB581_75:
	s_or_b64 exec, exec, s[14:15]
.LBB581_76:
	s_and_b64 s[14:15], s[38:39], exec
.LBB581_77:
	s_or_b64 exec, exec, s[36:37]
	v_cmp_gt_u32_e32 vcc, s7, v25
	s_and_saveexec_b64 s[36:37], vcc
	s_cbranch_execz .LBB581_88
; %bb.78:
	s_and_b64 vcc, exec, s[0:1]
	s_mov_b64 s[38:39], 0
	s_cbranch_vccnz .LBB581_87
; %bb.79:
	s_waitcnt lgkmcnt(0)
	v_mul_lo_u32 v14, v3, s26
	v_mul_lo_u32 v15, v2, s27
	v_mad_u64_u32 v[12:13], s[2:3], v2, s26, 0
	v_add3_u32 v13, v13, v15, v14
	v_mul_lo_u32 v14, v5, s26
	v_mul_lo_u32 v15, v4, s27
	v_mad_u64_u32 v[18:19], s[2:3], v4, s26, 0
	v_add3_u32 v19, v19, v15, v14
	v_lshlrev_b64 v[14:15], 3, v[12:13]
	v_mov_b32_e32 v12, s29
	v_add_co_u32_e32 v16, vcc, s28, v14
	v_addc_co_u32_e64 v17, s[2:3], v12, v15, vcc
	v_lshlrev_b64 v[12:13], 3, v[18:19]
	v_mov_b32_e32 v14, s29
	v_add_co_u32_e64 v18, s[2:3], s28, v12
	v_addc_co_u32_e64 v19, s[8:9], v14, v13, s[2:3]
	global_load_dwordx2 v[26:27], v[16:17], off
	global_load_dwordx2 v[28:29], v[18:19], off
	s_mov_b64 s[38:39], -1
	s_waitcnt vmcnt(0)
	v_cmp_eq_u64_e64 s[8:9], v[26:27], v[28:29]
	s_and_saveexec_b64 s[18:19], s[8:9]
	s_cbranch_execz .LBB581_86
; %bb.80:
	v_mov_b32_e32 v12, s29
	v_addc_co_u32_e64 v13, s[2:3], v13, v12, s[2:3]
	v_add_co_u32_e64 v12, s[2:3], 8, v18
	v_mov_b32_e32 v14, s29
	v_addc_co_u32_e64 v13, s[2:3], 0, v13, s[2:3]
	v_addc_co_u32_e32 v15, vcc, v15, v14, vcc
	v_add_co_u32_e32 v14, vcc, 8, v16
	s_add_u32 s2, s26, -1
	v_addc_co_u32_e32 v15, vcc, 0, v15, vcc
	s_addc_u32 s3, s27, -1
	s_mov_b64 s[8:9], 0
	s_mov_b64 s[40:41], 0
                                        ; implicit-def: $sgpr38_sgpr39
	s_branch .LBB581_83
.LBB581_81:                             ;   in Loop: Header=BB581_83 Depth=1
	global_load_dwordx2 v[16:17], v[14:15], off
	global_load_dwordx2 v[18:19], v[12:13], off
	v_add_co_u32_e32 v12, vcc, 8, v12
	v_addc_co_u32_e32 v13, vcc, 0, v13, vcc
	v_add_co_u32_e32 v14, vcc, 8, v14
	v_addc_co_u32_e32 v15, vcc, 0, v15, vcc
	s_add_u32 s40, s40, 1
	s_addc_u32 s41, s41, 0
	s_andn2_b64 s[38:39], s[38:39], exec
	s_waitcnt vmcnt(0)
	v_cmp_ne_u64_e32 vcc, v[16:17], v[18:19]
	s_and_b64 s[42:43], vcc, exec
	s_or_b64 s[38:39], s[38:39], s[42:43]
.LBB581_82:                             ;   in Loop: Header=BB581_83 Depth=1
	s_and_b64 s[42:43], exec, s[38:39]
	s_or_b64 s[8:9], s[42:43], s[8:9]
	v_pk_mov_b32 v[16:17], s[40:41], s[40:41] op_sel:[0,1]
	s_andn2_b64 exec, exec, s[8:9]
	s_cbranch_execz .LBB581_85
.LBB581_83:                             ; =>This Inner Loop Header: Depth=1
	s_or_b64 s[38:39], s[38:39], exec
	s_cmp_eq_u64 s[2:3], s[40:41]
	s_cbranch_scc0 .LBB581_81
; %bb.84:                               ;   in Loop: Header=BB581_83 Depth=1
                                        ; implicit-def: $vgpr12_vgpr13
                                        ; implicit-def: $vgpr14_vgpr15
	s_mov_b64 s[40:41], s[26:27]
	s_branch .LBB581_82
.LBB581_85:
	s_or_b64 exec, exec, s[8:9]
	v_cmp_gt_i64_e32 vcc, s[26:27], v[16:17]
	s_orn2_b64 s[38:39], vcc, exec
.LBB581_86:
	s_or_b64 exec, exec, s[18:19]
.LBB581_87:
	s_and_b64 s[18:19], s[38:39], exec
.LBB581_88:
	s_or_b64 exec, exec, s[36:37]
	v_cmp_gt_u32_e32 vcc, s7, v22
	s_mov_b64 s[36:37], 0
	s_mov_b64 s[38:39], 0
	s_and_saveexec_b64 s[40:41], vcc
	s_cbranch_execz .LBB581_99
; %bb.89:
	s_and_b64 vcc, exec, s[0:1]
	s_mov_b64 s[42:43], 0
	s_cbranch_vccnz .LBB581_98
; %bb.90:
	s_waitcnt lgkmcnt(0)
	v_mul_lo_u32 v14, v9, s26
	v_mul_lo_u32 v15, v8, s27
	v_mad_u64_u32 v[12:13], s[2:3], v8, s26, 0
	v_add3_u32 v13, v13, v15, v14
	v_mul_lo_u32 v14, v3, s26
	v_mul_lo_u32 v15, v2, s27
	v_mad_u64_u32 v[18:19], s[2:3], v2, s26, 0
	v_add3_u32 v19, v19, v15, v14
	v_lshlrev_b64 v[14:15], 3, v[12:13]
	v_mov_b32_e32 v12, s29
	v_add_co_u32_e32 v16, vcc, s28, v14
	v_addc_co_u32_e64 v17, s[2:3], v12, v15, vcc
	v_lshlrev_b64 v[12:13], 3, v[18:19]
	v_mov_b32_e32 v14, s29
	v_add_co_u32_e64 v18, s[2:3], s28, v12
	v_addc_co_u32_e64 v19, s[8:9], v14, v13, s[2:3]
	global_load_dwordx2 v[26:27], v[16:17], off
	global_load_dwordx2 v[28:29], v[18:19], off
	s_mov_b64 s[42:43], -1
	s_waitcnt vmcnt(0)
	v_cmp_eq_u64_e64 s[8:9], v[26:27], v[28:29]
	s_and_saveexec_b64 s[38:39], s[8:9]
	s_cbranch_execz .LBB581_97
; %bb.91:
	v_mov_b32_e32 v12, s29
	v_addc_co_u32_e64 v13, s[2:3], v13, v12, s[2:3]
	v_add_co_u32_e64 v12, s[2:3], 8, v18
	v_mov_b32_e32 v14, s29
	v_addc_co_u32_e64 v13, s[2:3], 0, v13, s[2:3]
	v_addc_co_u32_e32 v15, vcc, v15, v14, vcc
	v_add_co_u32_e32 v14, vcc, 8, v16
	s_add_u32 s2, s26, -1
	v_addc_co_u32_e32 v15, vcc, 0, v15, vcc
	s_addc_u32 s3, s27, -1
	s_mov_b64 s[8:9], 0
	s_mov_b64 s[44:45], 0
                                        ; implicit-def: $sgpr42_sgpr43
	s_branch .LBB581_94
.LBB581_92:                             ;   in Loop: Header=BB581_94 Depth=1
	global_load_dwordx2 v[16:17], v[14:15], off
	global_load_dwordx2 v[18:19], v[12:13], off
	v_add_co_u32_e32 v12, vcc, 8, v12
	v_addc_co_u32_e32 v13, vcc, 0, v13, vcc
	v_add_co_u32_e32 v14, vcc, 8, v14
	v_addc_co_u32_e32 v15, vcc, 0, v15, vcc
	s_add_u32 s44, s44, 1
	s_addc_u32 s45, s45, 0
	s_andn2_b64 s[42:43], s[42:43], exec
	s_waitcnt vmcnt(0)
	v_cmp_ne_u64_e32 vcc, v[16:17], v[18:19]
	s_and_b64 s[46:47], vcc, exec
	s_or_b64 s[42:43], s[42:43], s[46:47]
.LBB581_93:                             ;   in Loop: Header=BB581_94 Depth=1
	s_and_b64 s[46:47], exec, s[42:43]
	s_or_b64 s[8:9], s[46:47], s[8:9]
	v_pk_mov_b32 v[16:17], s[44:45], s[44:45] op_sel:[0,1]
	s_andn2_b64 exec, exec, s[8:9]
	s_cbranch_execz .LBB581_96
.LBB581_94:                             ; =>This Inner Loop Header: Depth=1
	s_or_b64 s[42:43], s[42:43], exec
	s_cmp_eq_u64 s[2:3], s[44:45]
	s_cbranch_scc0 .LBB581_92
; %bb.95:                               ;   in Loop: Header=BB581_94 Depth=1
                                        ; implicit-def: $vgpr12_vgpr13
                                        ; implicit-def: $vgpr14_vgpr15
	s_mov_b64 s[44:45], s[26:27]
	s_branch .LBB581_93
.LBB581_96:
	s_or_b64 exec, exec, s[8:9]
	v_cmp_gt_i64_e32 vcc, s[26:27], v[16:17]
	s_orn2_b64 s[42:43], vcc, exec
.LBB581_97:
	s_or_b64 exec, exec, s[38:39]
.LBB581_98:
	s_and_b64 s[38:39], s[42:43], exec
.LBB581_99:
	s_or_b64 exec, exec, s[40:41]
	v_cmp_gt_u32_e32 vcc, s7, v24
	s_and_saveexec_b64 s[40:41], vcc
	s_cbranch_execz .LBB581_110
; %bb.100:
	s_and_b64 vcc, exec, s[0:1]
	s_mov_b64 s[42:43], 0
	s_cbranch_vccnz .LBB581_109
; %bb.101:
	s_waitcnt lgkmcnt(0)
	v_mul_lo_u32 v14, v7, s26
	v_mul_lo_u32 v15, v6, s27
	v_mad_u64_u32 v[12:13], s[2:3], v6, s26, 0
	v_add3_u32 v13, v13, v15, v14
	v_mul_lo_u32 v14, v9, s26
	v_mul_lo_u32 v15, v8, s27
	v_mad_u64_u32 v[18:19], s[2:3], v8, s26, 0
	v_add3_u32 v19, v19, v15, v14
	v_lshlrev_b64 v[14:15], 3, v[12:13]
	v_mov_b32_e32 v12, s29
	v_add_co_u32_e32 v16, vcc, s28, v14
	v_addc_co_u32_e64 v17, s[2:3], v12, v15, vcc
	v_lshlrev_b64 v[12:13], 3, v[18:19]
	v_mov_b32_e32 v14, s29
	v_add_co_u32_e64 v18, s[2:3], s28, v12
	v_addc_co_u32_e64 v19, s[8:9], v14, v13, s[2:3]
	global_load_dwordx2 v[26:27], v[16:17], off
	global_load_dwordx2 v[28:29], v[18:19], off
	s_mov_b64 s[42:43], -1
	s_waitcnt vmcnt(0)
	v_cmp_eq_u64_e64 s[8:9], v[26:27], v[28:29]
	s_and_saveexec_b64 s[36:37], s[8:9]
	s_cbranch_execz .LBB581_108
; %bb.102:
	v_mov_b32_e32 v12, s29
	v_addc_co_u32_e64 v13, s[2:3], v13, v12, s[2:3]
	v_add_co_u32_e64 v12, s[2:3], 8, v18
	v_mov_b32_e32 v14, s29
	v_addc_co_u32_e64 v13, s[2:3], 0, v13, s[2:3]
	v_addc_co_u32_e32 v15, vcc, v15, v14, vcc
	v_add_co_u32_e32 v14, vcc, 8, v16
	s_add_u32 s2, s26, -1
	v_addc_co_u32_e32 v15, vcc, 0, v15, vcc
	s_addc_u32 s3, s27, -1
	s_mov_b64 s[8:9], 0
	s_mov_b64 s[44:45], 0
                                        ; implicit-def: $sgpr42_sgpr43
	s_branch .LBB581_105
.LBB581_103:                            ;   in Loop: Header=BB581_105 Depth=1
	global_load_dwordx2 v[16:17], v[14:15], off
	global_load_dwordx2 v[18:19], v[12:13], off
	v_add_co_u32_e32 v12, vcc, 8, v12
	v_addc_co_u32_e32 v13, vcc, 0, v13, vcc
	v_add_co_u32_e32 v14, vcc, 8, v14
	v_addc_co_u32_e32 v15, vcc, 0, v15, vcc
	s_add_u32 s44, s44, 1
	s_addc_u32 s45, s45, 0
	s_andn2_b64 s[42:43], s[42:43], exec
	s_waitcnt vmcnt(0)
	v_cmp_ne_u64_e32 vcc, v[16:17], v[18:19]
	s_and_b64 s[46:47], vcc, exec
	s_or_b64 s[42:43], s[42:43], s[46:47]
.LBB581_104:                            ;   in Loop: Header=BB581_105 Depth=1
	s_and_b64 s[46:47], exec, s[42:43]
	s_or_b64 s[8:9], s[46:47], s[8:9]
	v_pk_mov_b32 v[16:17], s[44:45], s[44:45] op_sel:[0,1]
	s_andn2_b64 exec, exec, s[8:9]
	s_cbranch_execz .LBB581_107
.LBB581_105:                            ; =>This Inner Loop Header: Depth=1
	s_or_b64 s[42:43], s[42:43], exec
	s_cmp_eq_u64 s[2:3], s[44:45]
	s_cbranch_scc0 .LBB581_103
; %bb.106:                              ;   in Loop: Header=BB581_105 Depth=1
                                        ; implicit-def: $vgpr12_vgpr13
                                        ; implicit-def: $vgpr14_vgpr15
	s_mov_b64 s[44:45], s[26:27]
	s_branch .LBB581_104
.LBB581_107:
	s_or_b64 exec, exec, s[8:9]
	v_cmp_gt_i64_e32 vcc, s[26:27], v[16:17]
	s_orn2_b64 s[42:43], vcc, exec
.LBB581_108:
	s_or_b64 exec, exec, s[36:37]
.LBB581_109:
	s_and_b64 s[36:37], s[42:43], exec
.LBB581_110:
	s_or_b64 exec, exec, s[40:41]
	v_cmp_ne_u32_e32 vcc, 0, v0
	s_waitcnt lgkmcnt(0)
	v_pk_mov_b32 v[12:13], s[12:13], s[12:13] op_sel:[0,1]
	s_barrier
	s_and_saveexec_b64 s[2:3], vcc
	s_cbranch_execz .LBB581_112
; %bb.111:
	v_add_u32_e32 v12, -8, v21
	ds_read_b64 v[12:13], v12
.LBB581_112:
	s_or_b64 exec, exec, s[2:3]
	v_cndmask_b32_e64 v15, 0, 1, s[18:19]
	v_cndmask_b32_e64 v14, 0, 1, s[38:39]
	;; [unrolled: 1-line block ×3, first 2 shown]
	v_lshlrev_b16_e32 v15, 8, v15
	v_cmp_gt_u32_e32 vcc, s7, v1
	v_lshlrev_b16_e32 v21, 8, v16
	v_or_b32_sdwa v26, v14, v15 dst_sel:WORD_1 dst_unused:UNUSED_PAD src0_sel:DWORD src1_sel:DWORD
	s_mov_b64 s[18:19], 0
	s_and_saveexec_b64 s[8:9], vcc
	s_cbranch_execz .LBB581_123
; %bb.113:
	s_and_b64 vcc, exec, s[0:1]
	s_cbranch_vccnz .LBB581_122
; %bb.114:
	s_waitcnt lgkmcnt(0)
	v_mul_lo_u32 v14, v13, s26
	v_mul_lo_u32 v15, v12, s27
	v_mad_u64_u32 v[12:13], s[0:1], v12, s26, 0
	v_add3_u32 v13, v13, v15, v14
	v_mul_lo_u32 v14, v7, s26
	v_mul_lo_u32 v15, v6, s27
	v_mad_u64_u32 v[18:19], s[0:1], v6, s26, 0
	v_add3_u32 v19, v19, v15, v14
	v_lshlrev_b64 v[14:15], 3, v[12:13]
	v_mov_b32_e32 v12, s29
	v_add_co_u32_e32 v16, vcc, s28, v14
	v_addc_co_u32_e64 v17, s[0:1], v12, v15, vcc
	v_lshlrev_b64 v[12:13], 3, v[18:19]
	v_mov_b32_e32 v14, s29
	v_add_co_u32_e64 v18, s[0:1], s28, v12
	v_addc_co_u32_e64 v19, s[2:3], v14, v13, s[0:1]
	global_load_dwordx2 v[28:29], v[16:17], off
	global_load_dwordx2 v[30:31], v[18:19], off
	s_mov_b64 s[18:19], -1
	s_waitcnt vmcnt(0)
	v_cmp_eq_u64_e64 s[2:3], v[28:29], v[30:31]
	s_and_saveexec_b64 s[12:13], s[2:3]
	s_cbranch_execz .LBB581_121
; %bb.115:
	v_mov_b32_e32 v12, s29
	v_addc_co_u32_e64 v13, s[0:1], v13, v12, s[0:1]
	v_add_co_u32_e64 v12, s[0:1], 8, v18
	v_mov_b32_e32 v14, s29
	v_addc_co_u32_e64 v13, s[0:1], 0, v13, s[0:1]
	v_addc_co_u32_e32 v15, vcc, v15, v14, vcc
	v_add_co_u32_e32 v14, vcc, 8, v16
	s_add_u32 s0, s26, -1
	v_addc_co_u32_e32 v15, vcc, 0, v15, vcc
	s_addc_u32 s1, s27, -1
	s_mov_b64 s[2:3], 0
	s_mov_b64 s[36:37], 0
                                        ; implicit-def: $sgpr18_sgpr19
	s_branch .LBB581_118
.LBB581_116:                            ;   in Loop: Header=BB581_118 Depth=1
	global_load_dwordx2 v[16:17], v[14:15], off
	global_load_dwordx2 v[18:19], v[12:13], off
	v_add_co_u32_e32 v12, vcc, 8, v12
	v_addc_co_u32_e32 v13, vcc, 0, v13, vcc
	v_add_co_u32_e32 v14, vcc, 8, v14
	v_addc_co_u32_e32 v15, vcc, 0, v15, vcc
	s_add_u32 s36, s36, 1
	s_addc_u32 s37, s37, 0
	s_andn2_b64 s[18:19], s[18:19], exec
	s_waitcnt vmcnt(0)
	v_cmp_ne_u64_e32 vcc, v[16:17], v[18:19]
	s_and_b64 s[38:39], vcc, exec
	s_or_b64 s[18:19], s[18:19], s[38:39]
.LBB581_117:                            ;   in Loop: Header=BB581_118 Depth=1
	s_and_b64 s[38:39], exec, s[18:19]
	s_or_b64 s[2:3], s[38:39], s[2:3]
	v_pk_mov_b32 v[16:17], s[36:37], s[36:37] op_sel:[0,1]
	s_andn2_b64 exec, exec, s[2:3]
	s_cbranch_execz .LBB581_120
.LBB581_118:                            ; =>This Inner Loop Header: Depth=1
	s_or_b64 s[18:19], s[18:19], exec
	s_cmp_eq_u64 s[0:1], s[36:37]
	s_cbranch_scc0 .LBB581_116
; %bb.119:                              ;   in Loop: Header=BB581_118 Depth=1
                                        ; implicit-def: $vgpr12_vgpr13
                                        ; implicit-def: $vgpr14_vgpr15
	s_mov_b64 s[36:37], s[26:27]
	s_branch .LBB581_117
.LBB581_120:
	s_or_b64 exec, exec, s[2:3]
	v_cmp_gt_i64_e32 vcc, s[26:27], v[16:17]
	s_orn2_b64 s[18:19], vcc, exec
.LBB581_121:
	s_or_b64 exec, exec, s[12:13]
.LBB581_122:
	s_and_b64 s[18:19], s[18:19], exec
.LBB581_123:
	s_or_b64 exec, exec, s[8:9]
	s_waitcnt lgkmcnt(0)
	v_cndmask_b32_e64 v13, 0, 1, s[14:15]
	v_or_b32_e32 v16, v21, v26
.LBB581_124:
	s_waitcnt lgkmcnt(0)
	s_mov_b64 s[12:13], -1
	s_cbranch_execnz .LBB581_233
.LBB581_125:
	v_lshlrev_b32_e32 v12, 5, v0
	v_sub_u32_e32 v26, v20, v12
	s_mov_b64 s[18:19], 0
	v_cmp_gt_i64_e64 s[14:15], s[26:27], 0
	s_and_b64 vcc, exec, s[34:35]
	ds_write_b64 v26, v[10:11]
	s_cbranch_vccz .LBB581_133
; %bb.126:
	v_mul_lo_u32 v14, v5, s26
	v_mul_lo_u32 v15, v4, s27
	v_mad_u64_u32 v[12:13], s[0:1], v4, s26, 0
	v_add3_u32 v13, v13, v15, v14
	v_cndmask_b32_e64 v14, 0, 1, s[14:15]
	v_cmp_ne_u32_e64 s[0:1], 1, v14
	s_andn2_b64 vcc, exec, s[14:15]
	v_lshlrev_b64 v[12:13], 3, v[12:13]
	s_cbranch_vccnz .LBB581_136
; %bb.127:
	v_mul_lo_u32 v16, v11, s26
	v_mul_lo_u32 v17, v10, s27
	v_mad_u64_u32 v[14:15], s[2:3], v10, s26, 0
	v_add3_u32 v15, v15, v17, v16
	v_mov_b32_e32 v17, s29
	v_add_co_u32_e32 v16, vcc, s28, v12
	v_addc_co_u32_e64 v17, s[2:3], v17, v13, vcc
	v_lshlrev_b64 v[14:15], 3, v[14:15]
	v_mov_b32_e32 v19, s29
	v_add_co_u32_e64 v18, s[2:3], s28, v14
	v_addc_co_u32_e64 v19, s[8:9], v19, v15, s[2:3]
	global_load_dwordx2 v[20:21], v[16:17], off
	global_load_dwordx2 v[28:29], v[18:19], off
	s_mov_b64 s[18:19], -1
	s_waitcnt vmcnt(0)
	v_cmp_eq_u64_e64 s[8:9], v[20:21], v[28:29]
	s_and_saveexec_b64 s[36:37], s[8:9]
	s_cbranch_execz .LBB581_135
; %bb.128:
	v_mov_b32_e32 v14, s29
	v_addc_co_u32_e64 v15, s[2:3], v15, v14, s[2:3]
	v_add_co_u32_e64 v14, s[2:3], 8, v18
	v_mov_b32_e32 v17, s29
	v_addc_co_u32_e64 v15, s[2:3], 0, v15, s[2:3]
	v_addc_co_u32_e32 v17, vcc, v13, v17, vcc
	v_add_co_u32_e32 v16, vcc, 8, v16
	s_add_u32 s2, s26, -1
	v_addc_co_u32_e32 v17, vcc, 0, v17, vcc
	s_addc_u32 s3, s27, -1
	s_mov_b64 s[8:9], 0
	s_mov_b64 s[38:39], 0
                                        ; implicit-def: $sgpr18_sgpr19
	s_branch .LBB581_131
.LBB581_129:                            ;   in Loop: Header=BB581_131 Depth=1
	global_load_dwordx2 v[18:19], v[16:17], off
	global_load_dwordx2 v[20:21], v[14:15], off
	v_add_co_u32_e32 v14, vcc, 8, v14
	v_addc_co_u32_e32 v15, vcc, 0, v15, vcc
	v_add_co_u32_e32 v16, vcc, 8, v16
	v_addc_co_u32_e32 v17, vcc, 0, v17, vcc
	s_add_u32 s38, s38, 1
	s_addc_u32 s39, s39, 0
	s_andn2_b64 s[18:19], s[18:19], exec
	s_waitcnt vmcnt(0)
	v_cmp_ne_u64_e32 vcc, v[18:19], v[20:21]
	s_and_b64 s[40:41], vcc, exec
	s_or_b64 s[18:19], s[18:19], s[40:41]
.LBB581_130:                            ;   in Loop: Header=BB581_131 Depth=1
	s_and_b64 s[40:41], exec, s[18:19]
	s_or_b64 s[8:9], s[40:41], s[8:9]
	v_pk_mov_b32 v[18:19], s[38:39], s[38:39] op_sel:[0,1]
	s_andn2_b64 exec, exec, s[8:9]
	s_cbranch_execz .LBB581_134
.LBB581_131:                            ; =>This Inner Loop Header: Depth=1
	s_or_b64 s[18:19], s[18:19], exec
	s_cmp_eq_u64 s[2:3], s[38:39]
	s_cbranch_scc0 .LBB581_129
; %bb.132:                              ;   in Loop: Header=BB581_131 Depth=1
                                        ; implicit-def: $vgpr14_vgpr15
                                        ; implicit-def: $vgpr16_vgpr17
	s_mov_b64 s[38:39], s[26:27]
	s_branch .LBB581_130
.LBB581_133:
                                        ; implicit-def: $sgpr18_sgpr19
                                        ; implicit-def: $vgpr13
                                        ; implicit-def: $vgpr16
	s_cbranch_execnz .LBB581_175
	s_branch .LBB581_233
.LBB581_134:
	s_or_b64 exec, exec, s[8:9]
	v_cmp_gt_i64_e32 vcc, s[26:27], v[18:19]
	s_orn2_b64 s[18:19], vcc, exec
.LBB581_135:
	s_or_b64 exec, exec, s[36:37]
.LBB581_136:
	v_mul_lo_u32 v16, v3, s26
	v_mul_lo_u32 v17, v2, s27
	v_mad_u64_u32 v[14:15], s[2:3], v2, s26, 0
	v_add3_u32 v15, v15, v17, v16
	s_mov_b64 s[36:37], 0
	s_and_b64 vcc, exec, s[0:1]
	v_lshlrev_b64 v[14:15], 3, v[14:15]
	s_mov_b64 s[38:39], 0
	s_cbranch_vccnz .LBB581_145
; %bb.137:
	v_mov_b32_e32 v17, s29
	v_add_co_u32_e32 v16, vcc, s28, v14
	v_addc_co_u32_e64 v17, s[2:3], v17, v15, vcc
	v_mov_b32_e32 v19, s29
	v_add_co_u32_e64 v18, s[2:3], s28, v12
	v_addc_co_u32_e64 v19, s[8:9], v19, v13, s[2:3]
	global_load_dwordx2 v[20:21], v[16:17], off
	global_load_dwordx2 v[28:29], v[18:19], off
	s_mov_b64 s[38:39], -1
	s_waitcnt vmcnt(0)
	v_cmp_eq_u64_e64 s[8:9], v[20:21], v[28:29]
	s_and_saveexec_b64 s[40:41], s[8:9]
	s_cbranch_execz .LBB581_144
; %bb.138:
	v_mov_b32_e32 v12, s29
	v_addc_co_u32_e64 v13, s[2:3], v13, v12, s[2:3]
	v_add_co_u32_e64 v12, s[2:3], 8, v18
	v_mov_b32_e32 v17, s29
	v_addc_co_u32_e64 v13, s[2:3], 0, v13, s[2:3]
	v_addc_co_u32_e32 v17, vcc, v15, v17, vcc
	v_add_co_u32_e32 v16, vcc, 8, v16
	s_add_u32 s2, s26, -1
	v_addc_co_u32_e32 v17, vcc, 0, v17, vcc
	s_addc_u32 s3, s27, -1
	s_mov_b64 s[8:9], 0
	s_mov_b64 s[42:43], 0
                                        ; implicit-def: $sgpr38_sgpr39
	s_branch .LBB581_141
.LBB581_139:                            ;   in Loop: Header=BB581_141 Depth=1
	global_load_dwordx2 v[18:19], v[16:17], off
	global_load_dwordx2 v[20:21], v[12:13], off
	v_add_co_u32_e32 v12, vcc, 8, v12
	v_addc_co_u32_e32 v13, vcc, 0, v13, vcc
	v_add_co_u32_e32 v16, vcc, 8, v16
	v_addc_co_u32_e32 v17, vcc, 0, v17, vcc
	s_add_u32 s42, s42, 1
	s_addc_u32 s43, s43, 0
	s_andn2_b64 s[38:39], s[38:39], exec
	s_waitcnt vmcnt(0)
	v_cmp_ne_u64_e32 vcc, v[18:19], v[20:21]
	s_and_b64 s[44:45], vcc, exec
	s_or_b64 s[38:39], s[38:39], s[44:45]
.LBB581_140:                            ;   in Loop: Header=BB581_141 Depth=1
	s_and_b64 s[44:45], exec, s[38:39]
	s_or_b64 s[8:9], s[44:45], s[8:9]
	v_pk_mov_b32 v[18:19], s[42:43], s[42:43] op_sel:[0,1]
	s_andn2_b64 exec, exec, s[8:9]
	s_cbranch_execz .LBB581_143
.LBB581_141:                            ; =>This Inner Loop Header: Depth=1
	s_or_b64 s[38:39], s[38:39], exec
	s_cmp_eq_u64 s[2:3], s[42:43]
	s_cbranch_scc0 .LBB581_139
; %bb.142:                              ;   in Loop: Header=BB581_141 Depth=1
                                        ; implicit-def: $vgpr12_vgpr13
                                        ; implicit-def: $vgpr16_vgpr17
	s_mov_b64 s[42:43], s[26:27]
	s_branch .LBB581_140
.LBB581_143:
	s_or_b64 exec, exec, s[8:9]
	v_cmp_gt_i64_e32 vcc, s[26:27], v[18:19]
	s_orn2_b64 s[38:39], vcc, exec
.LBB581_144:
	s_or_b64 exec, exec, s[40:41]
.LBB581_145:
	v_mul_lo_u32 v16, v9, s26
	v_mul_lo_u32 v17, v8, s27
	v_mad_u64_u32 v[12:13], s[2:3], v8, s26, 0
	v_add3_u32 v13, v13, v17, v16
	s_and_b64 vcc, exec, s[0:1]
	v_lshlrev_b64 v[12:13], 3, v[12:13]
	s_cbranch_vccnz .LBB581_154
; %bb.146:
	v_mov_b32_e32 v17, s29
	v_add_co_u32_e32 v16, vcc, s28, v12
	v_addc_co_u32_e64 v17, s[2:3], v17, v13, vcc
	v_mov_b32_e32 v19, s29
	v_add_co_u32_e64 v18, s[2:3], s28, v14
	v_addc_co_u32_e64 v19, s[8:9], v19, v15, s[2:3]
	global_load_dwordx2 v[20:21], v[16:17], off
	global_load_dwordx2 v[28:29], v[18:19], off
	s_mov_b64 s[36:37], -1
	s_waitcnt vmcnt(0)
	v_cmp_eq_u64_e64 s[8:9], v[20:21], v[28:29]
	s_and_saveexec_b64 s[40:41], s[8:9]
	s_cbranch_execz .LBB581_153
; %bb.147:
	v_mov_b32_e32 v14, s29
	v_addc_co_u32_e64 v15, s[2:3], v15, v14, s[2:3]
	v_add_co_u32_e64 v14, s[2:3], 8, v18
	v_mov_b32_e32 v17, s29
	v_addc_co_u32_e64 v15, s[2:3], 0, v15, s[2:3]
	v_addc_co_u32_e32 v17, vcc, v13, v17, vcc
	v_add_co_u32_e32 v16, vcc, 8, v16
	s_add_u32 s2, s26, -1
	v_addc_co_u32_e32 v17, vcc, 0, v17, vcc
	s_addc_u32 s3, s27, -1
	s_mov_b64 s[8:9], 0
	s_mov_b64 s[42:43], 0
                                        ; implicit-def: $sgpr36_sgpr37
	s_branch .LBB581_150
.LBB581_148:                            ;   in Loop: Header=BB581_150 Depth=1
	global_load_dwordx2 v[18:19], v[16:17], off
	global_load_dwordx2 v[20:21], v[14:15], off
	v_add_co_u32_e32 v14, vcc, 8, v14
	v_addc_co_u32_e32 v15, vcc, 0, v15, vcc
	v_add_co_u32_e32 v16, vcc, 8, v16
	v_addc_co_u32_e32 v17, vcc, 0, v17, vcc
	s_add_u32 s42, s42, 1
	s_addc_u32 s43, s43, 0
	s_andn2_b64 s[36:37], s[36:37], exec
	s_waitcnt vmcnt(0)
	v_cmp_ne_u64_e32 vcc, v[18:19], v[20:21]
	s_and_b64 s[44:45], vcc, exec
	s_or_b64 s[36:37], s[36:37], s[44:45]
.LBB581_149:                            ;   in Loop: Header=BB581_150 Depth=1
	s_and_b64 s[44:45], exec, s[36:37]
	s_or_b64 s[8:9], s[44:45], s[8:9]
	v_pk_mov_b32 v[18:19], s[42:43], s[42:43] op_sel:[0,1]
	s_andn2_b64 exec, exec, s[8:9]
	s_cbranch_execz .LBB581_152
.LBB581_150:                            ; =>This Inner Loop Header: Depth=1
	s_or_b64 s[36:37], s[36:37], exec
	s_cmp_eq_u64 s[2:3], s[42:43]
	s_cbranch_scc0 .LBB581_148
; %bb.151:                              ;   in Loop: Header=BB581_150 Depth=1
                                        ; implicit-def: $vgpr14_vgpr15
                                        ; implicit-def: $vgpr16_vgpr17
	s_mov_b64 s[42:43], s[26:27]
	s_branch .LBB581_149
.LBB581_152:
	s_or_b64 exec, exec, s[8:9]
	v_cmp_gt_i64_e32 vcc, s[26:27], v[18:19]
	s_orn2_b64 s[36:37], vcc, exec
.LBB581_153:
	s_or_b64 exec, exec, s[40:41]
.LBB581_154:
	v_mul_lo_u32 v16, v7, s26
	v_mul_lo_u32 v17, v6, s27
	v_mad_u64_u32 v[14:15], s[2:3], v6, s26, 0
	v_add3_u32 v15, v15, v17, v16
	s_and_b64 vcc, exec, s[0:1]
	s_mov_b64 s[42:43], 0
	s_cbranch_vccnz .LBB581_163
; %bb.155:
	v_lshlrev_b64 v[16:17], 3, v[14:15]
	v_mov_b32_e32 v19, s29
	v_add_co_u32_e32 v18, vcc, s28, v16
	v_addc_co_u32_e64 v19, s[2:3], v19, v17, vcc
	v_mov_b32_e32 v16, s29
	v_add_co_u32_e64 v20, s[2:3], s28, v12
	v_addc_co_u32_e64 v21, s[8:9], v16, v13, s[2:3]
	global_load_dwordx2 v[28:29], v[18:19], off
	global_load_dwordx2 v[30:31], v[20:21], off
	s_mov_b64 s[42:43], -1
	s_waitcnt vmcnt(0)
	v_cmp_eq_u64_e64 s[8:9], v[28:29], v[30:31]
	s_and_saveexec_b64 s[40:41], s[8:9]
	s_cbranch_execz .LBB581_162
; %bb.156:
	v_mov_b32_e32 v12, s29
	v_addc_co_u32_e64 v13, s[2:3], v13, v12, s[2:3]
	v_add_co_u32_e64 v12, s[2:3], 8, v20
	v_mov_b32_e32 v16, s29
	v_addc_co_u32_e64 v13, s[2:3], 0, v13, s[2:3]
	v_addc_co_u32_e32 v17, vcc, v17, v16, vcc
	v_add_co_u32_e32 v16, vcc, 8, v18
	s_add_u32 s2, s26, -1
	v_addc_co_u32_e32 v17, vcc, 0, v17, vcc
	s_addc_u32 s3, s27, -1
	s_mov_b64 s[8:9], 0
	s_mov_b64 s[44:45], 0
                                        ; implicit-def: $sgpr42_sgpr43
	s_branch .LBB581_159
.LBB581_157:                            ;   in Loop: Header=BB581_159 Depth=1
	global_load_dwordx2 v[18:19], v[16:17], off
	global_load_dwordx2 v[20:21], v[12:13], off
	v_add_co_u32_e32 v12, vcc, 8, v12
	v_addc_co_u32_e32 v13, vcc, 0, v13, vcc
	v_add_co_u32_e32 v16, vcc, 8, v16
	v_addc_co_u32_e32 v17, vcc, 0, v17, vcc
	s_add_u32 s44, s44, 1
	s_addc_u32 s45, s45, 0
	s_andn2_b64 s[42:43], s[42:43], exec
	s_waitcnt vmcnt(0)
	v_cmp_ne_u64_e32 vcc, v[18:19], v[20:21]
	s_and_b64 s[46:47], vcc, exec
	s_or_b64 s[42:43], s[42:43], s[46:47]
.LBB581_158:                            ;   in Loop: Header=BB581_159 Depth=1
	s_and_b64 s[46:47], exec, s[42:43]
	s_or_b64 s[8:9], s[46:47], s[8:9]
	v_pk_mov_b32 v[18:19], s[44:45], s[44:45] op_sel:[0,1]
	s_andn2_b64 exec, exec, s[8:9]
	s_cbranch_execz .LBB581_161
.LBB581_159:                            ; =>This Inner Loop Header: Depth=1
	s_or_b64 s[42:43], s[42:43], exec
	s_cmp_eq_u64 s[2:3], s[44:45]
	s_cbranch_scc0 .LBB581_157
; %bb.160:                              ;   in Loop: Header=BB581_159 Depth=1
                                        ; implicit-def: $vgpr12_vgpr13
                                        ; implicit-def: $vgpr16_vgpr17
	s_mov_b64 s[44:45], s[26:27]
	s_branch .LBB581_158
.LBB581_161:
	s_or_b64 exec, exec, s[8:9]
	v_cmp_gt_i64_e32 vcc, s[26:27], v[18:19]
	s_orn2_b64 s[42:43], vcc, exec
.LBB581_162:
	s_or_b64 exec, exec, s[40:41]
.LBB581_163:
	v_cndmask_b32_e64 v13, 0, 1, s[38:39]
	v_cndmask_b32_e64 v16, 0, 1, s[42:43]
	;; [unrolled: 1-line block ×3, first 2 shown]
	v_lshlrev_b16_e32 v16, 8, v16
	v_lshlrev_b16_e32 v13, 8, v13
	v_or_b32_e32 v16, 1, v16
	v_or_b32_sdwa v12, v12, v13 dst_sel:WORD_1 dst_unused:UNUSED_PAD src0_sel:DWORD src1_sel:DWORD
	v_or_b32_sdwa v12, v16, v12 dst_sel:DWORD dst_unused:UNUSED_PAD src0_sel:WORD_0 src1_sel:DWORD
	v_cndmask_b32_e64 v13, 0, 1, s[18:19]
	v_cmp_ne_u32_e32 vcc, 0, v0
	s_waitcnt lgkmcnt(0)
	s_barrier
	s_waitcnt lgkmcnt(0)
                                        ; implicit-def: $sgpr18_sgpr19
                                        ; implicit-def: $vgpr16
	s_and_saveexec_b64 s[2:3], vcc
	s_xor_b64 s[8:9], exec, s[2:3]
	s_cbranch_execz .LBB581_174
; %bb.164:
	s_mov_b32 s33, 0x3020104
	s_and_b64 vcc, exec, s[0:1]
	s_mov_b64 s[36:37], 0
	s_cbranch_vccnz .LBB581_173
; %bb.165:
	v_add_u32_e32 v16, -8, v26
	ds_read_b64 v[16:17], v16
	v_mov_b32_e32 v19, s29
	v_lshlrev_b64 v[14:15], 3, v[14:15]
	s_mov_b64 s[36:37], -1
	s_waitcnt lgkmcnt(0)
	v_mul_lo_u32 v18, v17, s26
	v_mul_lo_u32 v20, v16, s27
	v_mad_u64_u32 v[16:17], s[0:1], v16, s26, 0
	v_add3_u32 v17, v17, v20, v18
	v_lshlrev_b64 v[16:17], 3, v[16:17]
	v_add_co_u32_e32 v18, vcc, s28, v16
	v_addc_co_u32_e64 v19, s[0:1], v19, v17, vcc
	v_mov_b32_e32 v16, s29
	v_add_co_u32_e64 v20, s[0:1], s28, v14
	v_addc_co_u32_e64 v21, s[2:3], v16, v15, s[0:1]
	global_load_dwordx2 v[28:29], v[18:19], off
	global_load_dwordx2 v[30:31], v[20:21], off
	s_waitcnt vmcnt(0)
	v_cmp_eq_u64_e64 s[2:3], v[28:29], v[30:31]
	s_and_saveexec_b64 s[18:19], s[2:3]
	s_cbranch_execz .LBB581_172
; %bb.166:
	v_mov_b32_e32 v14, s29
	v_addc_co_u32_e64 v15, s[0:1], v15, v14, s[0:1]
	v_add_co_u32_e64 v14, s[0:1], 8, v20
	v_mov_b32_e32 v16, s29
	v_addc_co_u32_e64 v15, s[0:1], 0, v15, s[0:1]
	v_addc_co_u32_e32 v17, vcc, v17, v16, vcc
	v_add_co_u32_e32 v16, vcc, 8, v18
	s_add_u32 s0, s26, -1
	v_addc_co_u32_e32 v17, vcc, 0, v17, vcc
	s_addc_u32 s1, s27, -1
	s_mov_b64 s[2:3], 0
	s_mov_b64 s[38:39], 0
                                        ; implicit-def: $sgpr36_sgpr37
	s_branch .LBB581_169
.LBB581_167:                            ;   in Loop: Header=BB581_169 Depth=1
	global_load_dwordx2 v[18:19], v[16:17], off
	global_load_dwordx2 v[20:21], v[14:15], off
	v_add_co_u32_e32 v14, vcc, 8, v14
	v_addc_co_u32_e32 v15, vcc, 0, v15, vcc
	v_add_co_u32_e32 v16, vcc, 8, v16
	v_addc_co_u32_e32 v17, vcc, 0, v17, vcc
	s_add_u32 s38, s38, 1
	s_addc_u32 s39, s39, 0
	s_andn2_b64 s[36:37], s[36:37], exec
	s_waitcnt vmcnt(0)
	v_cmp_ne_u64_e32 vcc, v[18:19], v[20:21]
	s_and_b64 s[40:41], vcc, exec
	s_or_b64 s[36:37], s[36:37], s[40:41]
.LBB581_168:                            ;   in Loop: Header=BB581_169 Depth=1
	s_and_b64 s[40:41], exec, s[36:37]
	s_or_b64 s[2:3], s[40:41], s[2:3]
	v_pk_mov_b32 v[18:19], s[38:39], s[38:39] op_sel:[0,1]
	s_andn2_b64 exec, exec, s[2:3]
	s_cbranch_execz .LBB581_171
.LBB581_169:                            ; =>This Inner Loop Header: Depth=1
	s_or_b64 s[36:37], s[36:37], exec
	s_cmp_eq_u64 s[0:1], s[38:39]
	s_cbranch_scc0 .LBB581_167
; %bb.170:                              ;   in Loop: Header=BB581_169 Depth=1
                                        ; implicit-def: $vgpr14_vgpr15
                                        ; implicit-def: $vgpr16_vgpr17
	s_mov_b64 s[38:39], s[26:27]
	s_branch .LBB581_168
.LBB581_171:
	s_or_b64 exec, exec, s[2:3]
	v_cmp_gt_i64_e32 vcc, s[26:27], v[18:19]
	s_orn2_b64 s[36:37], vcc, exec
.LBB581_172:
	s_or_b64 exec, exec, s[18:19]
.LBB581_173:
	v_perm_b32 v16, v12, v12, s33
	s_and_b64 s[18:19], s[36:37], exec
	s_or_b64 s[12:13], s[12:13], exec
.LBB581_174:
	s_or_b64 exec, exec, s[8:9]
	s_branch .LBB581_233
.LBB581_175:
	v_cmp_gt_u32_e32 vcc, s7, v23
	s_mov_b64 s[18:19], 0
	s_mov_b64 s[8:9], 0
	s_and_saveexec_b64 s[36:37], vcc
	s_cbranch_execz .LBB581_186
; %bb.176:
	s_andn2_b64 vcc, exec, s[14:15]
	s_mov_b64 s[38:39], 0
	s_cbranch_vccnz .LBB581_185
; %bb.177:
	v_mul_lo_u32 v14, v5, s26
	v_mul_lo_u32 v15, v4, s27
	v_mad_u64_u32 v[12:13], s[0:1], v4, s26, 0
	v_add3_u32 v13, v13, v15, v14
	v_mul_lo_u32 v14, v11, s26
	v_mul_lo_u32 v15, v10, s27
	v_mad_u64_u32 v[18:19], s[0:1], v10, s26, 0
	v_add3_u32 v19, v19, v15, v14
	v_lshlrev_b64 v[14:15], 3, v[12:13]
	v_mov_b32_e32 v12, s29
	v_add_co_u32_e32 v16, vcc, s28, v14
	v_addc_co_u32_e64 v17, s[0:1], v12, v15, vcc
	v_lshlrev_b64 v[12:13], 3, v[18:19]
	v_mov_b32_e32 v14, s29
	v_add_co_u32_e64 v18, s[0:1], s28, v12
	v_addc_co_u32_e64 v19, s[2:3], v14, v13, s[0:1]
	global_load_dwordx2 v[20:21], v[16:17], off
	global_load_dwordx2 v[28:29], v[18:19], off
	s_mov_b64 s[38:39], -1
	s_waitcnt vmcnt(0)
	v_cmp_eq_u64_e64 s[2:3], v[20:21], v[28:29]
	s_and_saveexec_b64 s[8:9], s[2:3]
	s_cbranch_execz .LBB581_184
; %bb.178:
	v_mov_b32_e32 v12, s29
	v_addc_co_u32_e64 v13, s[0:1], v13, v12, s[0:1]
	v_add_co_u32_e64 v12, s[0:1], 8, v18
	v_mov_b32_e32 v14, s29
	v_addc_co_u32_e64 v13, s[0:1], 0, v13, s[0:1]
	v_addc_co_u32_e32 v15, vcc, v15, v14, vcc
	v_add_co_u32_e32 v14, vcc, 8, v16
	s_add_u32 s0, s26, -1
	v_addc_co_u32_e32 v15, vcc, 0, v15, vcc
	s_addc_u32 s1, s27, -1
	s_mov_b64 s[2:3], 0
	s_mov_b64 s[40:41], 0
                                        ; implicit-def: $sgpr38_sgpr39
	s_branch .LBB581_181
.LBB581_179:                            ;   in Loop: Header=BB581_181 Depth=1
	global_load_dwordx2 v[16:17], v[14:15], off
	global_load_dwordx2 v[18:19], v[12:13], off
	v_add_co_u32_e32 v12, vcc, 8, v12
	v_addc_co_u32_e32 v13, vcc, 0, v13, vcc
	v_add_co_u32_e32 v14, vcc, 8, v14
	v_addc_co_u32_e32 v15, vcc, 0, v15, vcc
	s_add_u32 s40, s40, 1
	s_addc_u32 s41, s41, 0
	s_andn2_b64 s[38:39], s[38:39], exec
	s_waitcnt vmcnt(0)
	v_cmp_ne_u64_e32 vcc, v[16:17], v[18:19]
	s_and_b64 s[42:43], vcc, exec
	s_or_b64 s[38:39], s[38:39], s[42:43]
.LBB581_180:                            ;   in Loop: Header=BB581_181 Depth=1
	s_and_b64 s[42:43], exec, s[38:39]
	s_or_b64 s[2:3], s[42:43], s[2:3]
	v_pk_mov_b32 v[16:17], s[40:41], s[40:41] op_sel:[0,1]
	s_andn2_b64 exec, exec, s[2:3]
	s_cbranch_execz .LBB581_183
.LBB581_181:                            ; =>This Inner Loop Header: Depth=1
	s_or_b64 s[38:39], s[38:39], exec
	s_cmp_eq_u64 s[0:1], s[40:41]
	s_cbranch_scc0 .LBB581_179
; %bb.182:                              ;   in Loop: Header=BB581_181 Depth=1
                                        ; implicit-def: $vgpr12_vgpr13
                                        ; implicit-def: $vgpr14_vgpr15
	s_mov_b64 s[40:41], s[26:27]
	s_branch .LBB581_180
.LBB581_183:
	s_or_b64 exec, exec, s[2:3]
	v_cmp_gt_i64_e32 vcc, s[26:27], v[16:17]
	s_orn2_b64 s[38:39], vcc, exec
.LBB581_184:
	s_or_b64 exec, exec, s[8:9]
.LBB581_185:
	s_and_b64 s[8:9], s[38:39], exec
.LBB581_186:
	s_or_b64 exec, exec, s[36:37]
	v_cmp_gt_u32_e32 vcc, s7, v25
	s_and_saveexec_b64 s[36:37], vcc
	s_cbranch_execz .LBB581_197
; %bb.187:
	s_andn2_b64 vcc, exec, s[14:15]
	s_mov_b64 s[38:39], 0
	s_cbranch_vccnz .LBB581_196
; %bb.188:
	v_mul_lo_u32 v14, v3, s26
	v_mul_lo_u32 v15, v2, s27
	v_mad_u64_u32 v[12:13], s[0:1], v2, s26, 0
	v_add3_u32 v13, v13, v15, v14
	v_mul_lo_u32 v14, v5, s26
	v_mul_lo_u32 v15, v4, s27
	v_mad_u64_u32 v[18:19], s[0:1], v4, s26, 0
	v_add3_u32 v19, v19, v15, v14
	v_lshlrev_b64 v[14:15], 3, v[12:13]
	v_mov_b32_e32 v12, s29
	v_add_co_u32_e32 v16, vcc, s28, v14
	v_addc_co_u32_e64 v17, s[0:1], v12, v15, vcc
	v_lshlrev_b64 v[12:13], 3, v[18:19]
	v_mov_b32_e32 v14, s29
	v_add_co_u32_e64 v18, s[0:1], s28, v12
	v_addc_co_u32_e64 v19, s[2:3], v14, v13, s[0:1]
	global_load_dwordx2 v[20:21], v[16:17], off
	global_load_dwordx2 v[28:29], v[18:19], off
	s_mov_b64 s[38:39], -1
	s_waitcnt vmcnt(0)
	v_cmp_eq_u64_e64 s[2:3], v[20:21], v[28:29]
	s_and_saveexec_b64 s[18:19], s[2:3]
	s_cbranch_execz .LBB581_195
; %bb.189:
	v_mov_b32_e32 v12, s29
	v_addc_co_u32_e64 v13, s[0:1], v13, v12, s[0:1]
	v_add_co_u32_e64 v12, s[0:1], 8, v18
	v_mov_b32_e32 v14, s29
	v_addc_co_u32_e64 v13, s[0:1], 0, v13, s[0:1]
	v_addc_co_u32_e32 v15, vcc, v15, v14, vcc
	v_add_co_u32_e32 v14, vcc, 8, v16
	s_add_u32 s0, s26, -1
	v_addc_co_u32_e32 v15, vcc, 0, v15, vcc
	s_addc_u32 s1, s27, -1
	s_mov_b64 s[2:3], 0
	s_mov_b64 s[40:41], 0
                                        ; implicit-def: $sgpr38_sgpr39
	s_branch .LBB581_192
.LBB581_190:                            ;   in Loop: Header=BB581_192 Depth=1
	global_load_dwordx2 v[16:17], v[14:15], off
	global_load_dwordx2 v[18:19], v[12:13], off
	v_add_co_u32_e32 v12, vcc, 8, v12
	v_addc_co_u32_e32 v13, vcc, 0, v13, vcc
	v_add_co_u32_e32 v14, vcc, 8, v14
	v_addc_co_u32_e32 v15, vcc, 0, v15, vcc
	s_add_u32 s40, s40, 1
	s_addc_u32 s41, s41, 0
	s_andn2_b64 s[38:39], s[38:39], exec
	s_waitcnt vmcnt(0)
	v_cmp_ne_u64_e32 vcc, v[16:17], v[18:19]
	s_and_b64 s[42:43], vcc, exec
	s_or_b64 s[38:39], s[38:39], s[42:43]
.LBB581_191:                            ;   in Loop: Header=BB581_192 Depth=1
	s_and_b64 s[42:43], exec, s[38:39]
	s_or_b64 s[2:3], s[42:43], s[2:3]
	v_pk_mov_b32 v[16:17], s[40:41], s[40:41] op_sel:[0,1]
	s_andn2_b64 exec, exec, s[2:3]
	s_cbranch_execz .LBB581_194
.LBB581_192:                            ; =>This Inner Loop Header: Depth=1
	s_or_b64 s[38:39], s[38:39], exec
	s_cmp_eq_u64 s[0:1], s[40:41]
	s_cbranch_scc0 .LBB581_190
; %bb.193:                              ;   in Loop: Header=BB581_192 Depth=1
                                        ; implicit-def: $vgpr12_vgpr13
                                        ; implicit-def: $vgpr14_vgpr15
	s_mov_b64 s[40:41], s[26:27]
	s_branch .LBB581_191
.LBB581_194:
	s_or_b64 exec, exec, s[2:3]
	v_cmp_gt_i64_e32 vcc, s[26:27], v[16:17]
	s_orn2_b64 s[38:39], vcc, exec
.LBB581_195:
	s_or_b64 exec, exec, s[18:19]
.LBB581_196:
	s_and_b64 s[18:19], s[38:39], exec
.LBB581_197:
	s_or_b64 exec, exec, s[36:37]
	v_cmp_gt_u32_e32 vcc, s7, v22
	s_mov_b64 s[36:37], 0
	s_mov_b64 s[38:39], 0
	s_and_saveexec_b64 s[40:41], vcc
	s_cbranch_execz .LBB581_208
; %bb.198:
	s_andn2_b64 vcc, exec, s[14:15]
	s_mov_b64 s[42:43], 0
	s_cbranch_vccnz .LBB581_207
; %bb.199:
	v_mul_lo_u32 v14, v9, s26
	v_mul_lo_u32 v15, v8, s27
	v_mad_u64_u32 v[12:13], s[0:1], v8, s26, 0
	v_add3_u32 v13, v13, v15, v14
	v_mul_lo_u32 v14, v3, s26
	v_mul_lo_u32 v15, v2, s27
	v_mad_u64_u32 v[18:19], s[0:1], v2, s26, 0
	v_add3_u32 v19, v19, v15, v14
	v_lshlrev_b64 v[14:15], 3, v[12:13]
	v_mov_b32_e32 v12, s29
	v_add_co_u32_e32 v16, vcc, s28, v14
	v_addc_co_u32_e64 v17, s[0:1], v12, v15, vcc
	v_lshlrev_b64 v[12:13], 3, v[18:19]
	v_mov_b32_e32 v14, s29
	v_add_co_u32_e64 v18, s[0:1], s28, v12
	v_addc_co_u32_e64 v19, s[2:3], v14, v13, s[0:1]
	global_load_dwordx2 v[20:21], v[16:17], off
	global_load_dwordx2 v[28:29], v[18:19], off
	s_mov_b64 s[42:43], -1
	s_waitcnt vmcnt(0)
	v_cmp_eq_u64_e64 s[2:3], v[20:21], v[28:29]
	s_and_saveexec_b64 s[38:39], s[2:3]
	s_cbranch_execz .LBB581_206
; %bb.200:
	v_mov_b32_e32 v12, s29
	v_addc_co_u32_e64 v13, s[0:1], v13, v12, s[0:1]
	v_add_co_u32_e64 v12, s[0:1], 8, v18
	v_mov_b32_e32 v14, s29
	v_addc_co_u32_e64 v13, s[0:1], 0, v13, s[0:1]
	v_addc_co_u32_e32 v15, vcc, v15, v14, vcc
	v_add_co_u32_e32 v14, vcc, 8, v16
	s_add_u32 s0, s26, -1
	v_addc_co_u32_e32 v15, vcc, 0, v15, vcc
	s_addc_u32 s1, s27, -1
	s_mov_b64 s[2:3], 0
	s_mov_b64 s[44:45], 0
                                        ; implicit-def: $sgpr42_sgpr43
	s_branch .LBB581_203
.LBB581_201:                            ;   in Loop: Header=BB581_203 Depth=1
	global_load_dwordx2 v[16:17], v[14:15], off
	global_load_dwordx2 v[18:19], v[12:13], off
	v_add_co_u32_e32 v12, vcc, 8, v12
	v_addc_co_u32_e32 v13, vcc, 0, v13, vcc
	v_add_co_u32_e32 v14, vcc, 8, v14
	v_addc_co_u32_e32 v15, vcc, 0, v15, vcc
	s_add_u32 s44, s44, 1
	s_addc_u32 s45, s45, 0
	s_andn2_b64 s[42:43], s[42:43], exec
	s_waitcnt vmcnt(0)
	v_cmp_ne_u64_e32 vcc, v[16:17], v[18:19]
	s_and_b64 s[46:47], vcc, exec
	s_or_b64 s[42:43], s[42:43], s[46:47]
.LBB581_202:                            ;   in Loop: Header=BB581_203 Depth=1
	s_and_b64 s[46:47], exec, s[42:43]
	s_or_b64 s[2:3], s[46:47], s[2:3]
	v_pk_mov_b32 v[16:17], s[44:45], s[44:45] op_sel:[0,1]
	s_andn2_b64 exec, exec, s[2:3]
	s_cbranch_execz .LBB581_205
.LBB581_203:                            ; =>This Inner Loop Header: Depth=1
	s_or_b64 s[42:43], s[42:43], exec
	s_cmp_eq_u64 s[0:1], s[44:45]
	s_cbranch_scc0 .LBB581_201
; %bb.204:                              ;   in Loop: Header=BB581_203 Depth=1
                                        ; implicit-def: $vgpr12_vgpr13
                                        ; implicit-def: $vgpr14_vgpr15
	s_mov_b64 s[44:45], s[26:27]
	s_branch .LBB581_202
.LBB581_205:
	s_or_b64 exec, exec, s[2:3]
	v_cmp_gt_i64_e32 vcc, s[26:27], v[16:17]
	s_orn2_b64 s[42:43], vcc, exec
.LBB581_206:
	s_or_b64 exec, exec, s[38:39]
.LBB581_207:
	s_and_b64 s[38:39], s[42:43], exec
.LBB581_208:
	s_or_b64 exec, exec, s[40:41]
	v_cmp_gt_u32_e32 vcc, s7, v24
	s_and_saveexec_b64 s[40:41], vcc
	s_cbranch_execz .LBB581_219
; %bb.209:
	s_andn2_b64 vcc, exec, s[14:15]
	s_mov_b64 s[42:43], 0
	s_cbranch_vccnz .LBB581_218
; %bb.210:
	v_mul_lo_u32 v14, v7, s26
	v_mul_lo_u32 v15, v6, s27
	v_mad_u64_u32 v[12:13], s[0:1], v6, s26, 0
	v_add3_u32 v13, v13, v15, v14
	v_mul_lo_u32 v14, v9, s26
	v_mul_lo_u32 v15, v8, s27
	v_mad_u64_u32 v[18:19], s[0:1], v8, s26, 0
	v_add3_u32 v19, v19, v15, v14
	v_lshlrev_b64 v[14:15], 3, v[12:13]
	v_mov_b32_e32 v12, s29
	v_add_co_u32_e32 v16, vcc, s28, v14
	v_addc_co_u32_e64 v17, s[0:1], v12, v15, vcc
	v_lshlrev_b64 v[12:13], 3, v[18:19]
	v_mov_b32_e32 v14, s29
	v_add_co_u32_e64 v18, s[0:1], s28, v12
	v_addc_co_u32_e64 v19, s[2:3], v14, v13, s[0:1]
	global_load_dwordx2 v[20:21], v[16:17], off
	global_load_dwordx2 v[28:29], v[18:19], off
	s_mov_b64 s[42:43], -1
	s_waitcnt vmcnt(0)
	v_cmp_eq_u64_e64 s[2:3], v[20:21], v[28:29]
	s_and_saveexec_b64 s[36:37], s[2:3]
	s_cbranch_execz .LBB581_217
; %bb.211:
	v_mov_b32_e32 v12, s29
	v_addc_co_u32_e64 v13, s[0:1], v13, v12, s[0:1]
	v_add_co_u32_e64 v12, s[0:1], 8, v18
	v_mov_b32_e32 v14, s29
	v_addc_co_u32_e64 v13, s[0:1], 0, v13, s[0:1]
	v_addc_co_u32_e32 v15, vcc, v15, v14, vcc
	v_add_co_u32_e32 v14, vcc, 8, v16
	s_add_u32 s0, s26, -1
	v_addc_co_u32_e32 v15, vcc, 0, v15, vcc
	s_addc_u32 s1, s27, -1
	s_mov_b64 s[2:3], 0
	s_mov_b64 s[44:45], 0
                                        ; implicit-def: $sgpr42_sgpr43
	s_branch .LBB581_214
.LBB581_212:                            ;   in Loop: Header=BB581_214 Depth=1
	global_load_dwordx2 v[16:17], v[14:15], off
	global_load_dwordx2 v[18:19], v[12:13], off
	v_add_co_u32_e32 v12, vcc, 8, v12
	v_addc_co_u32_e32 v13, vcc, 0, v13, vcc
	v_add_co_u32_e32 v14, vcc, 8, v14
	v_addc_co_u32_e32 v15, vcc, 0, v15, vcc
	s_add_u32 s44, s44, 1
	s_addc_u32 s45, s45, 0
	s_andn2_b64 s[42:43], s[42:43], exec
	s_waitcnt vmcnt(0)
	v_cmp_ne_u64_e32 vcc, v[16:17], v[18:19]
	s_and_b64 s[46:47], vcc, exec
	s_or_b64 s[42:43], s[42:43], s[46:47]
.LBB581_213:                            ;   in Loop: Header=BB581_214 Depth=1
	s_and_b64 s[46:47], exec, s[42:43]
	s_or_b64 s[2:3], s[46:47], s[2:3]
	v_pk_mov_b32 v[16:17], s[44:45], s[44:45] op_sel:[0,1]
	s_andn2_b64 exec, exec, s[2:3]
	s_cbranch_execz .LBB581_216
.LBB581_214:                            ; =>This Inner Loop Header: Depth=1
	s_or_b64 s[42:43], s[42:43], exec
	s_cmp_eq_u64 s[0:1], s[44:45]
	s_cbranch_scc0 .LBB581_212
; %bb.215:                              ;   in Loop: Header=BB581_214 Depth=1
                                        ; implicit-def: $vgpr12_vgpr13
                                        ; implicit-def: $vgpr14_vgpr15
	s_mov_b64 s[44:45], s[26:27]
	s_branch .LBB581_213
.LBB581_216:
	s_or_b64 exec, exec, s[2:3]
	v_cmp_gt_i64_e32 vcc, s[26:27], v[16:17]
	s_orn2_b64 s[42:43], vcc, exec
.LBB581_217:
	s_or_b64 exec, exec, s[36:37]
.LBB581_218:
	s_and_b64 s[36:37], s[42:43], exec
.LBB581_219:
	s_or_b64 exec, exec, s[40:41]
	v_cndmask_b32_e64 v13, 0, 1, s[18:19]
	v_cndmask_b32_e64 v14, 0, 1, s[36:37]
	;; [unrolled: 1-line block ×3, first 2 shown]
	v_lshlrev_b16_e32 v14, 8, v14
	v_lshlrev_b16_e32 v13, 8, v13
	v_or_b32_e32 v14, 1, v14
	v_or_b32_sdwa v12, v12, v13 dst_sel:WORD_1 dst_unused:UNUSED_PAD src0_sel:DWORD src1_sel:DWORD
	v_or_b32_sdwa v12, v14, v12 dst_sel:DWORD dst_unused:UNUSED_PAD src0_sel:WORD_0 src1_sel:DWORD
	v_cndmask_b32_e64 v13, 0, 1, s[8:9]
	v_cmp_ne_u32_e32 vcc, 0, v0
	s_waitcnt lgkmcnt(0)
	s_barrier
	s_waitcnt lgkmcnt(0)
                                        ; implicit-def: $sgpr18_sgpr19
                                        ; implicit-def: $vgpr16
	s_and_saveexec_b64 s[8:9], vcc
	s_cbranch_execz .LBB581_232
; %bb.220:
	v_cmp_gt_u32_e32 vcc, s7, v1
	s_mov_b32 s33, 0x3020104
	s_mov_b64 s[0:1], 0
	s_and_saveexec_b64 s[18:19], vcc
	s_cbranch_execz .LBB581_231
; %bb.221:
	s_andn2_b64 vcc, exec, s[14:15]
	s_mov_b64 s[36:37], 0
	s_cbranch_vccnz .LBB581_230
; %bb.222:
	v_add_u32_e32 v14, -8, v26
	ds_read_b64 v[14:15], v14
	v_mul_lo_u32 v16, v7, s26
	v_mad_u64_u32 v[20:21], s[0:1], v6, s26, 0
	s_mov_b64 s[36:37], -1
	s_waitcnt lgkmcnt(0)
	v_mul_lo_u32 v17, v15, s26
	v_mul_lo_u32 v18, v14, s27
	v_mad_u64_u32 v[14:15], s[0:1], v14, s26, 0
	v_add3_u32 v15, v15, v18, v17
	v_mul_lo_u32 v17, v6, s27
	v_add3_u32 v21, v21, v17, v16
	v_lshlrev_b64 v[16:17], 3, v[14:15]
	v_mov_b32_e32 v14, s29
	v_add_co_u32_e32 v18, vcc, s28, v16
	v_addc_co_u32_e64 v19, s[0:1], v14, v17, vcc
	v_lshlrev_b64 v[14:15], 3, v[20:21]
	v_mov_b32_e32 v16, s29
	v_add_co_u32_e64 v20, s[0:1], s28, v14
	v_addc_co_u32_e64 v21, s[2:3], v16, v15, s[0:1]
	global_load_dwordx2 v[26:27], v[18:19], off
	global_load_dwordx2 v[28:29], v[20:21], off
	s_waitcnt vmcnt(0)
	v_cmp_eq_u64_e64 s[2:3], v[26:27], v[28:29]
	s_and_saveexec_b64 s[14:15], s[2:3]
	s_cbranch_execz .LBB581_229
; %bb.223:
	v_mov_b32_e32 v14, s29
	v_addc_co_u32_e64 v15, s[0:1], v15, v14, s[0:1]
	v_add_co_u32_e64 v14, s[0:1], 8, v20
	v_mov_b32_e32 v16, s29
	v_addc_co_u32_e64 v15, s[0:1], 0, v15, s[0:1]
	v_addc_co_u32_e32 v17, vcc, v17, v16, vcc
	v_add_co_u32_e32 v16, vcc, 8, v18
	s_add_u32 s0, s26, -1
	v_addc_co_u32_e32 v17, vcc, 0, v17, vcc
	s_addc_u32 s1, s27, -1
	s_mov_b64 s[2:3], 0
	s_mov_b64 s[36:37], 0
                                        ; implicit-def: $sgpr28_sgpr29
	s_branch .LBB581_226
.LBB581_224:                            ;   in Loop: Header=BB581_226 Depth=1
	global_load_dwordx2 v[18:19], v[16:17], off
	global_load_dwordx2 v[20:21], v[14:15], off
	v_add_co_u32_e32 v14, vcc, 8, v14
	v_addc_co_u32_e32 v15, vcc, 0, v15, vcc
	v_add_co_u32_e32 v16, vcc, 8, v16
	v_addc_co_u32_e32 v17, vcc, 0, v17, vcc
	s_add_u32 s36, s36, 1
	s_addc_u32 s37, s37, 0
	s_andn2_b64 s[28:29], s[28:29], exec
	s_waitcnt vmcnt(0)
	v_cmp_ne_u64_e32 vcc, v[18:19], v[20:21]
	s_and_b64 s[38:39], vcc, exec
	s_or_b64 s[28:29], s[28:29], s[38:39]
.LBB581_225:                            ;   in Loop: Header=BB581_226 Depth=1
	s_and_b64 s[38:39], exec, s[28:29]
	s_or_b64 s[2:3], s[38:39], s[2:3]
	v_pk_mov_b32 v[18:19], s[36:37], s[36:37] op_sel:[0,1]
	s_andn2_b64 exec, exec, s[2:3]
	s_cbranch_execz .LBB581_228
.LBB581_226:                            ; =>This Inner Loop Header: Depth=1
	s_or_b64 s[28:29], s[28:29], exec
	s_cmp_eq_u64 s[0:1], s[36:37]
	s_cbranch_scc0 .LBB581_224
; %bb.227:                              ;   in Loop: Header=BB581_226 Depth=1
                                        ; implicit-def: $vgpr14_vgpr15
                                        ; implicit-def: $vgpr16_vgpr17
	s_mov_b64 s[36:37], s[26:27]
	s_branch .LBB581_225
.LBB581_228:
	s_or_b64 exec, exec, s[2:3]
	v_cmp_gt_i64_e32 vcc, s[26:27], v[18:19]
	s_orn2_b64 s[36:37], vcc, exec
.LBB581_229:
	s_or_b64 exec, exec, s[14:15]
.LBB581_230:
	s_and_b64 s[0:1], s[36:37], exec
.LBB581_231:
	s_or_b64 exec, exec, s[18:19]
	v_perm_b32 v16, v12, v12, s33
	s_and_b64 s[18:19], s[0:1], exec
	s_or_b64 s[12:13], s[12:13], exec
.LBB581_232:
	s_or_b64 exec, exec, s[8:9]
.LBB581_233:
	s_and_saveexec_b64 s[0:1], s[12:13]
	s_cbranch_execz .LBB581_235
; %bb.234:
	v_lshrrev_b32_e32 v14, 24, v16
	s_movk_i32 s2, 0xff
	v_lshlrev_b16_e32 v14, 8, v14
	v_and_b32_sdwa v15, v16, s2 dst_sel:DWORD dst_unused:UNUSED_PAD src0_sel:WORD_1 src1_sel:DWORD
	v_or_b32_sdwa v14, v15, v14 dst_sel:WORD_1 dst_unused:UNUSED_PAD src0_sel:DWORD src1_sel:DWORD
	v_mov_b32_e32 v15, 8
	v_cndmask_b32_e64 v12, 0, 1, s[18:19]
	v_lshrrev_b32_sdwa v15, v15, v16 dst_sel:BYTE_1 dst_unused:UNUSED_PAD src0_sel:DWORD src1_sel:DWORD
	v_or_b32_e32 v12, v12, v15
	s_mov_b32 s2, 0xffff
	v_or_b32_sdwa v12, v12, v14 dst_sel:DWORD dst_unused:UNUSED_PAD src0_sel:WORD_0 src1_sel:DWORD
	v_and_b32_sdwa v13, s2, v13 dst_sel:DWORD dst_unused:UNUSED_PAD src0_sel:DWORD src1_sel:BYTE_0
.LBB581_235:
	s_or_b64 exec, exec, s[0:1]
	s_andn2_b64 vcc, exec, s[10:11]
	s_cbranch_vccnz .LBB581_237
; %bb.236:
	v_cmp_gt_u32_e32 vcc, s7, v1
	v_cndmask_b32_e32 v1, 0, v12, vcc
	v_and_b32_e32 v1, 0xffff00ff, v1
	v_cmp_gt_u32_e64 s[0:1], s7, v24
	v_cndmask_b32_e64 v1, v1, v12, s[0:1]
	v_lshrrev_b32_e32 v14, 24, v1
	s_mov_b32 s2, 0x40c0100
	v_perm_b32 v1, v14, v1, s2
	v_cmp_gt_u32_e64 s[2:3], s7, v22
	v_cmp_gt_u32_e64 s[8:9], s7, v25
	v_cndmask_b32_e64 v1, v1, v12, s[2:3]
	s_or_b64 s[2:3], s[8:9], s[2:3]
	s_or_b64 s[0:1], s[2:3], s[0:1]
	s_or_b64 vcc, s[0:1], vcc
	v_and_b32_e32 v1, 0xffffff, v1
	v_cndmask_b32_e32 v14, 0, v13, vcc
	v_cndmask_b32_e64 v1, v1, v12, s[8:9]
	v_and_b32_e32 v14, 0xffffff00, v14
	v_cmp_gt_u32_e32 vcc, s7, v23
	v_cndmask_b32_e32 v1, v1, v12, vcc
	v_cndmask_b32_e32 v12, v14, v13, vcc
	s_mov_b32 s0, 0x3020104
	v_and_b32_e32 v13, 0xff, v12
	v_perm_b32 v12, v1, v1, s0
.LBB581_237:
	v_and_b32_e32 v1, 0xff, v12
	v_bfe_u32 v25, v12, 8, 8
	v_bfe_u32 v27, v12, 16, 8
	v_alignbit_b32 v14, v13, v12, 24
	v_and_b32_e32 v28, 0xff, v14
	v_and_b32_e32 v14, 0xff, v13
	v_add3_u32 v15, v25, v1, v27
	v_add3_u32 v31, v15, v28, v14
	v_mbcnt_lo_u32_b32 v14, -1, 0
	v_mbcnt_hi_u32_b32 v29, -1, v14
	v_and_b32_e32 v14, 15, v29
	v_cmp_eq_u32_e64 s[14:15], 0, v14
	v_cmp_lt_u32_e64 s[12:13], 1, v14
	v_cmp_lt_u32_e64 s[10:11], 3, v14
	;; [unrolled: 1-line block ×3, first 2 shown]
	v_and_b32_e32 v14, 16, v29
	v_cmp_eq_u32_e64 s[18:19], 0, v14
	v_or_b32_e32 v14, 63, v0
	v_cmp_lt_u32_e64 s[0:1], 31, v29
	v_lshrrev_b32_e32 v30, 6, v0
	v_cmp_eq_u32_e64 s[2:3], v14, v0
	s_and_b64 vcc, exec, s[16:17]
	s_waitcnt lgkmcnt(0)
	s_barrier
	s_cbranch_vccz .LBB581_268
; %bb.238:
	v_mov_b32_dpp v14, v31 row_shr:1 row_mask:0xf bank_mask:0xf
	v_cndmask_b32_e64 v14, v14, 0, s[14:15]
	v_add_u32_e32 v14, v14, v31
	s_nop 1
	v_mov_b32_dpp v15, v14 row_shr:2 row_mask:0xf bank_mask:0xf
	v_cndmask_b32_e64 v15, 0, v15, s[12:13]
	v_add_u32_e32 v14, v14, v15
	s_nop 1
	;; [unrolled: 4-line block ×4, first 2 shown]
	v_mov_b32_dpp v15, v14 row_bcast:15 row_mask:0xf bank_mask:0xf
	v_cndmask_b32_e64 v15, v15, 0, s[18:19]
	v_add_u32_e32 v14, v14, v15
	s_nop 1
	v_mov_b32_dpp v15, v14 row_bcast:31 row_mask:0xf bank_mask:0xf
	v_cndmask_b32_e64 v15, 0, v15, s[0:1]
	v_add_u32_e32 v14, v14, v15
	s_and_saveexec_b64 s[16:17], s[2:3]
	s_cbranch_execz .LBB581_240
; %bb.239:
	v_lshlrev_b32_e32 v15, 2, v30
	ds_write_b32 v15, v14
.LBB581_240:
	s_or_b64 exec, exec, s[16:17]
	v_cmp_gt_u32_e32 vcc, 4, v0
	s_waitcnt lgkmcnt(0)
	s_barrier
	s_and_saveexec_b64 s[16:17], vcc
	s_cbranch_execz .LBB581_242
; %bb.241:
	v_lshlrev_b32_e32 v15, 2, v0
	ds_read_b32 v16, v15
	v_and_b32_e32 v17, 3, v29
	v_cmp_ne_u32_e32 vcc, 0, v17
	s_waitcnt lgkmcnt(0)
	v_mov_b32_dpp v18, v16 row_shr:1 row_mask:0xf bank_mask:0xf
	v_cndmask_b32_e32 v18, 0, v18, vcc
	v_add_u32_e32 v16, v18, v16
	v_cmp_lt_u32_e32 vcc, 1, v17
	s_nop 0
	v_mov_b32_dpp v18, v16 row_shr:2 row_mask:0xf bank_mask:0xf
	v_cndmask_b32_e32 v17, 0, v18, vcc
	v_add_u32_e32 v16, v16, v17
	ds_write_b32 v15, v16
.LBB581_242:
	s_or_b64 exec, exec, s[16:17]
	v_cmp_gt_u32_e32 vcc, 64, v0
	v_cmp_lt_u32_e64 s[16:17], 63, v0
	s_waitcnt lgkmcnt(0)
	s_barrier
	s_waitcnt lgkmcnt(0)
                                        ; implicit-def: $vgpr24
	s_and_saveexec_b64 s[26:27], s[16:17]
	s_cbranch_execz .LBB581_244
; %bb.243:
	v_lshl_add_u32 v15, v30, 2, -4
	ds_read_b32 v24, v15
	s_waitcnt lgkmcnt(0)
	v_add_u32_e32 v14, v24, v14
.LBB581_244:
	s_or_b64 exec, exec, s[26:27]
	v_add_u32_e32 v15, -1, v29
	v_and_b32_e32 v16, 64, v29
	v_cmp_lt_i32_e64 s[16:17], v15, v16
	v_cndmask_b32_e64 v15, v15, v29, s[16:17]
	v_lshlrev_b32_e32 v15, 2, v15
	ds_bpermute_b32 v26, v15, v14
	v_cmp_eq_u32_e64 s[16:17], 0, v29
	s_and_saveexec_b64 s[26:27], vcc
	s_cbranch_execz .LBB581_267
; %bb.245:
	v_mov_b32_e32 v23, 0
	ds_read_b32 v14, v23 offset:12
	s_and_saveexec_b64 s[28:29], s[16:17]
	s_cbranch_execz .LBB581_247
; %bb.246:
	s_add_i32 s36, s6, 64
	s_mov_b32 s37, 0
	s_lshl_b64 s[36:37], s[36:37], 3
	s_add_u32 s36, s30, s36
	v_mov_b32_e32 v15, 1
	s_addc_u32 s37, s31, s37
	s_waitcnt lgkmcnt(0)
	global_store_dwordx2 v23, v[14:15], s[36:37]
.LBB581_247:
	s_or_b64 exec, exec, s[28:29]
	v_xad_u32 v16, v29, -1, s6
	v_add_u32_e32 v22, 64, v16
	v_lshlrev_b64 v[18:19], 3, v[22:23]
	v_mov_b32_e32 v15, s31
	v_add_co_u32_e32 v18, vcc, s30, v18
	v_addc_co_u32_e32 v19, vcc, v15, v19, vcc
	global_load_dwordx2 v[20:21], v[18:19], off glc
	s_waitcnt vmcnt(0)
	v_cmp_eq_u16_sdwa s[36:37], v21, v23 src0_sel:BYTE_0 src1_sel:DWORD
	s_and_saveexec_b64 s[28:29], s[36:37]
	s_cbranch_execz .LBB581_253
; %bb.248:
	s_mov_b32 s7, 1
	s_mov_b64 s[36:37], 0
	v_mov_b32_e32 v15, 0
.LBB581_249:                            ; =>This Loop Header: Depth=1
                                        ;     Child Loop BB581_250 Depth 2
	s_max_u32 s33, s7, 1
.LBB581_250:                            ;   Parent Loop BB581_249 Depth=1
                                        ; =>  This Inner Loop Header: Depth=2
	s_add_i32 s33, s33, -1
	s_cmp_eq_u32 s33, 0
	s_sleep 1
	s_cbranch_scc0 .LBB581_250
; %bb.251:                              ;   in Loop: Header=BB581_249 Depth=1
	global_load_dwordx2 v[20:21], v[18:19], off glc
	s_cmp_lt_u32 s7, 32
	s_cselect_b64 s[38:39], -1, 0
	s_cmp_lg_u64 s[38:39], 0
	s_addc_u32 s7, s7, 0
	s_waitcnt vmcnt(0)
	v_cmp_ne_u16_sdwa s[38:39], v21, v15 src0_sel:BYTE_0 src1_sel:DWORD
	s_or_b64 s[36:37], s[38:39], s[36:37]
	s_andn2_b64 exec, exec, s[36:37]
	s_cbranch_execnz .LBB581_249
; %bb.252:
	s_or_b64 exec, exec, s[36:37]
.LBB581_253:
	s_or_b64 exec, exec, s[28:29]
	v_and_b32_e32 v32, 63, v29
	v_mov_b32_e32 v15, 2
	v_cmp_ne_u32_e32 vcc, 63, v32
	v_cmp_eq_u16_sdwa s[28:29], v21, v15 src0_sel:BYTE_0 src1_sel:DWORD
	v_lshlrev_b64 v[18:19], v29, -1
	v_addc_co_u32_e32 v23, vcc, 0, v29, vcc
	v_and_b32_e32 v17, s29, v19
	v_lshlrev_b32_e32 v33, 2, v23
	v_or_b32_e32 v17, 0x80000000, v17
	ds_bpermute_b32 v23, v33, v20
	v_and_b32_e32 v22, s28, v18
	v_ffbl_b32_e32 v17, v17
	v_add_u32_e32 v17, 32, v17
	v_ffbl_b32_e32 v22, v22
	v_min_u32_e32 v17, v22, v17
	v_cmp_lt_u32_e32 vcc, v32, v17
	s_waitcnt lgkmcnt(0)
	v_cndmask_b32_e32 v22, 0, v23, vcc
	v_cmp_gt_u32_e32 vcc, 62, v32
	v_add_u32_e32 v20, v22, v20
	v_cndmask_b32_e64 v22, 0, 1, vcc
	v_lshlrev_b32_e32 v22, 1, v22
	v_add_lshl_u32 v34, v22, v29, 2
	ds_bpermute_b32 v22, v34, v20
	v_add_u32_e32 v35, 2, v32
	v_cmp_le_u32_e32 vcc, v35, v17
	v_add_u32_e32 v37, 4, v32
	v_add_u32_e32 v39, 8, v32
	s_waitcnt lgkmcnt(0)
	v_cndmask_b32_e32 v22, 0, v22, vcc
	v_cmp_gt_u32_e32 vcc, 60, v32
	v_add_u32_e32 v20, v20, v22
	v_cndmask_b32_e64 v22, 0, 1, vcc
	v_lshlrev_b32_e32 v22, 2, v22
	v_add_lshl_u32 v36, v22, v29, 2
	ds_bpermute_b32 v22, v36, v20
	v_cmp_le_u32_e32 vcc, v37, v17
	v_add_u32_e32 v42, 16, v32
	v_add_u32_e32 v44, 32, v32
	s_waitcnt lgkmcnt(0)
	v_cndmask_b32_e32 v22, 0, v22, vcc
	v_cmp_gt_u32_e32 vcc, 56, v32
	v_add_u32_e32 v20, v20, v22
	v_cndmask_b32_e64 v22, 0, 1, vcc
	v_lshlrev_b32_e32 v22, 3, v22
	v_add_lshl_u32 v38, v22, v29, 2
	ds_bpermute_b32 v22, v38, v20
	v_cmp_le_u32_e32 vcc, v39, v17
	s_waitcnt lgkmcnt(0)
	v_cndmask_b32_e32 v22, 0, v22, vcc
	v_cmp_gt_u32_e32 vcc, 48, v32
	v_add_u32_e32 v20, v20, v22
	v_cndmask_b32_e64 v22, 0, 1, vcc
	v_lshlrev_b32_e32 v22, 4, v22
	v_add_lshl_u32 v41, v22, v29, 2
	ds_bpermute_b32 v22, v41, v20
	v_cmp_le_u32_e32 vcc, v42, v17
	;; [unrolled: 9-line block ×3, first 2 shown]
	s_waitcnt lgkmcnt(0)
	v_cndmask_b32_e32 v17, 0, v22, vcc
	v_add_u32_e32 v20, v20, v17
	v_mov_b32_e32 v17, 0
	s_branch .LBB581_255
.LBB581_254:                            ;   in Loop: Header=BB581_255 Depth=1
	s_or_b64 exec, exec, s[28:29]
	v_cmp_eq_u16_sdwa s[28:29], v21, v15 src0_sel:BYTE_0 src1_sel:DWORD
	v_and_b32_e32 v22, s29, v19
	v_or_b32_e32 v22, 0x80000000, v22
	ds_bpermute_b32 v45, v33, v20
	v_and_b32_e32 v23, s28, v18
	v_ffbl_b32_e32 v22, v22
	v_add_u32_e32 v22, 32, v22
	v_ffbl_b32_e32 v23, v23
	v_min_u32_e32 v22, v23, v22
	v_cmp_lt_u32_e32 vcc, v32, v22
	s_waitcnt lgkmcnt(0)
	v_cndmask_b32_e32 v23, 0, v45, vcc
	v_add_u32_e32 v20, v23, v20
	ds_bpermute_b32 v23, v34, v20
	v_cmp_le_u32_e32 vcc, v35, v22
	v_subrev_u32_e32 v16, 64, v16
	s_waitcnt lgkmcnt(0)
	v_cndmask_b32_e32 v23, 0, v23, vcc
	v_add_u32_e32 v20, v20, v23
	ds_bpermute_b32 v23, v36, v20
	v_cmp_le_u32_e32 vcc, v37, v22
	s_waitcnt lgkmcnt(0)
	v_cndmask_b32_e32 v23, 0, v23, vcc
	v_add_u32_e32 v20, v20, v23
	ds_bpermute_b32 v23, v38, v20
	v_cmp_le_u32_e32 vcc, v39, v22
	;; [unrolled: 5-line block ×4, first 2 shown]
	s_waitcnt lgkmcnt(0)
	v_cndmask_b32_e32 v22, 0, v23, vcc
	v_add3_u32 v20, v22, v40, v20
.LBB581_255:                            ; =>This Loop Header: Depth=1
                                        ;     Child Loop BB581_258 Depth 2
                                        ;       Child Loop BB581_259 Depth 3
	v_cmp_ne_u16_sdwa s[28:29], v21, v15 src0_sel:BYTE_0 src1_sel:DWORD
	v_cndmask_b32_e64 v21, 0, 1, s[28:29]
	;;#ASMSTART
	;;#ASMEND
	v_cmp_ne_u32_e32 vcc, 0, v21
	s_cmp_lg_u64 vcc, exec
	v_mov_b32_e32 v40, v20
	s_cbranch_scc1 .LBB581_262
; %bb.256:                              ;   in Loop: Header=BB581_255 Depth=1
	v_lshlrev_b64 v[20:21], 3, v[16:17]
	v_mov_b32_e32 v23, s31
	v_add_co_u32_e32 v22, vcc, s30, v20
	v_addc_co_u32_e32 v23, vcc, v23, v21, vcc
	global_load_dwordx2 v[20:21], v[22:23], off glc
	s_waitcnt vmcnt(0)
	v_cmp_eq_u16_sdwa s[36:37], v21, v17 src0_sel:BYTE_0 src1_sel:DWORD
	s_and_saveexec_b64 s[28:29], s[36:37]
	s_cbranch_execz .LBB581_254
; %bb.257:                              ;   in Loop: Header=BB581_255 Depth=1
	s_mov_b32 s7, 1
	s_mov_b64 s[36:37], 0
.LBB581_258:                            ;   Parent Loop BB581_255 Depth=1
                                        ; =>  This Loop Header: Depth=2
                                        ;       Child Loop BB581_259 Depth 3
	s_max_u32 s33, s7, 1
.LBB581_259:                            ;   Parent Loop BB581_255 Depth=1
                                        ;     Parent Loop BB581_258 Depth=2
                                        ; =>    This Inner Loop Header: Depth=3
	s_add_i32 s33, s33, -1
	s_cmp_eq_u32 s33, 0
	s_sleep 1
	s_cbranch_scc0 .LBB581_259
; %bb.260:                              ;   in Loop: Header=BB581_258 Depth=2
	global_load_dwordx2 v[20:21], v[22:23], off glc
	s_cmp_lt_u32 s7, 32
	s_cselect_b64 s[38:39], -1, 0
	s_cmp_lg_u64 s[38:39], 0
	s_addc_u32 s7, s7, 0
	s_waitcnt vmcnt(0)
	v_cmp_ne_u16_sdwa s[38:39], v21, v17 src0_sel:BYTE_0 src1_sel:DWORD
	s_or_b64 s[36:37], s[38:39], s[36:37]
	s_andn2_b64 exec, exec, s[36:37]
	s_cbranch_execnz .LBB581_258
; %bb.261:                              ;   in Loop: Header=BB581_255 Depth=1
	s_or_b64 exec, exec, s[36:37]
	s_branch .LBB581_254
.LBB581_262:                            ;   in Loop: Header=BB581_255 Depth=1
                                        ; implicit-def: $vgpr20
                                        ; implicit-def: $vgpr21
	s_cbranch_execz .LBB581_255
; %bb.263:
	s_and_saveexec_b64 s[28:29], s[16:17]
	s_cbranch_execz .LBB581_265
; %bb.264:
	s_add_i32 s6, s6, 64
	s_mov_b32 s7, 0
	s_lshl_b64 s[6:7], s[6:7], 3
	s_add_u32 s6, s30, s6
	v_add_u32_e32 v16, v40, v14
	v_mov_b32_e32 v17, 2
	s_addc_u32 s7, s31, s7
	v_mov_b32_e32 v15, 0
	global_store_dwordx2 v15, v[16:17], s[6:7]
	s_movk_i32 s6, 0x2800
	v_add_u32_e64 v15, s6, 0
	ds_write2_b32 v15, v14, v40 offset1:2
.LBB581_265:
	s_or_b64 exec, exec, s[28:29]
	v_cmp_eq_u32_e32 vcc, 0, v0
	s_and_b64 exec, exec, vcc
	s_cbranch_execz .LBB581_267
; %bb.266:
	v_mov_b32_e32 v14, 0
	ds_write_b32 v14, v40 offset:12
.LBB581_267:
	s_or_b64 exec, exec, s[26:27]
	v_mov_b32_e32 v14, 0
	s_waitcnt lgkmcnt(0)
	s_barrier
	ds_read_b32 v14, v14 offset:12
	v_cndmask_b32_e64 v15, v26, v24, s[16:17]
	v_cmp_ne_u32_e32 vcc, 0, v0
	v_cndmask_b32_e32 v15, 0, v15, vcc
	s_movk_i32 s6, 0x2800
	s_waitcnt lgkmcnt(0)
	v_add_u32_e32 v26, v14, v15
	v_add_u32_e64 v14, s6, 0
	s_barrier
	ds_read2_b32 v[14:15], v14 offset1:2
	v_add_u32_e32 v24, v26, v1
	v_add_u32_e32 v22, v24, v25
	;; [unrolled: 1-line block ×4, first 2 shown]
	s_load_dwordx2 s[4:5], s[4:5], 0x28
	v_lshrrev_b64 v[16:17], 24, v[12:13]
	s_branch .LBB581_278
.LBB581_268:
                                        ; implicit-def: $vgpr18
                                        ; implicit-def: $vgpr20
                                        ; implicit-def: $vgpr22
                                        ; implicit-def: $vgpr24
                                        ; implicit-def: $vgpr26
                                        ; implicit-def: $vgpr15
	s_load_dwordx2 s[4:5], s[4:5], 0x28
	v_lshrrev_b64 v[16:17], 24, v[12:13]
	s_cbranch_execz .LBB581_278
; %bb.269:
	s_waitcnt lgkmcnt(0)
	v_mov_b32_dpp v14, v31 row_shr:1 row_mask:0xf bank_mask:0xf
	v_cndmask_b32_e64 v14, v14, 0, s[14:15]
	v_add_u32_e32 v14, v14, v31
	s_nop 1
	v_mov_b32_dpp v15, v14 row_shr:2 row_mask:0xf bank_mask:0xf
	v_cndmask_b32_e64 v15, 0, v15, s[12:13]
	v_add_u32_e32 v14, v14, v15
	s_nop 1
	;; [unrolled: 4-line block ×4, first 2 shown]
	v_mov_b32_dpp v15, v14 row_bcast:15 row_mask:0xf bank_mask:0xf
	v_cndmask_b32_e64 v15, v15, 0, s[18:19]
	v_add_u32_e32 v14, v14, v15
	s_nop 1
	v_mov_b32_dpp v15, v14 row_bcast:31 row_mask:0xf bank_mask:0xf
	v_cndmask_b32_e64 v15, 0, v15, s[0:1]
	v_add_u32_e32 v14, v14, v15
	s_and_saveexec_b64 s[0:1], s[2:3]
	s_cbranch_execz .LBB581_271
; %bb.270:
	v_lshlrev_b32_e32 v15, 2, v30
	ds_write_b32 v15, v14
.LBB581_271:
	s_or_b64 exec, exec, s[0:1]
	v_cmp_gt_u32_e32 vcc, 4, v0
	s_waitcnt lgkmcnt(0)
	s_barrier
	s_and_saveexec_b64 s[0:1], vcc
	s_cbranch_execz .LBB581_273
; %bb.272:
	v_lshlrev_b32_e32 v15, 2, v0
	ds_read_b32 v17, v15
	v_and_b32_e32 v18, 3, v29
	v_cmp_ne_u32_e32 vcc, 0, v18
	s_waitcnt lgkmcnt(0)
	v_mov_b32_dpp v19, v17 row_shr:1 row_mask:0xf bank_mask:0xf
	v_cndmask_b32_e32 v19, 0, v19, vcc
	v_add_u32_e32 v17, v19, v17
	v_cmp_lt_u32_e32 vcc, 1, v18
	s_nop 0
	v_mov_b32_dpp v19, v17 row_shr:2 row_mask:0xf bank_mask:0xf
	v_cndmask_b32_e32 v18, 0, v19, vcc
	v_add_u32_e32 v17, v17, v18
	ds_write_b32 v15, v17
.LBB581_273:
	s_or_b64 exec, exec, s[0:1]
	v_cmp_lt_u32_e32 vcc, 63, v0
	v_mov_b32_e32 v15, 0
	v_mov_b32_e32 v17, 0
	s_waitcnt lgkmcnt(0)
	s_barrier
	s_and_saveexec_b64 s[0:1], vcc
	s_cbranch_execz .LBB581_275
; %bb.274:
	v_lshl_add_u32 v17, v30, 2, -4
	ds_read_b32 v17, v17
.LBB581_275:
	s_or_b64 exec, exec, s[0:1]
	v_add_u32_e32 v18, -1, v29
	v_and_b32_e32 v19, 64, v29
	v_cmp_lt_i32_e32 vcc, v18, v19
	v_cndmask_b32_e32 v18, v18, v29, vcc
	s_waitcnt lgkmcnt(0)
	v_add_u32_e32 v14, v17, v14
	v_lshlrev_b32_e32 v18, 2, v18
	ds_bpermute_b32 v18, v18, v14
	ds_read_b32 v14, v15 offset:12
	v_cmp_eq_u32_e32 vcc, 0, v0
	s_and_saveexec_b64 s[0:1], vcc
	s_cbranch_execz .LBB581_277
; %bb.276:
	v_mov_b32_e32 v19, 0
	v_mov_b32_e32 v15, 2
	s_waitcnt lgkmcnt(0)
	global_store_dwordx2 v19, v[14:15], s[30:31] offset:512
.LBB581_277:
	s_or_b64 exec, exec, s[0:1]
	v_cmp_eq_u32_e64 s[0:1], 0, v29
	s_waitcnt lgkmcnt(1)
	v_cndmask_b32_e64 v17, v18, v17, s[0:1]
	v_cndmask_b32_e64 v26, v17, 0, vcc
	v_add_u32_e32 v24, v26, v1
	v_add_u32_e32 v22, v24, v25
	;; [unrolled: 1-line block ×3, first 2 shown]
	v_mov_b32_e32 v15, 0
	v_add_u32_e32 v18, v20, v28
	s_waitcnt lgkmcnt(0)
	s_barrier
.LBB581_278:
	s_movk_i32 s0, 0x101
	s_waitcnt lgkmcnt(0)
	v_cmp_gt_u32_e32 vcc, s0, v14
	v_lshrrev_b32_e32 v1, 8, v12
	s_mov_b64 s[0:1], -1
	s_cbranch_vccnz .LBB581_282
; %bb.279:
	s_and_b64 vcc, exec, s[0:1]
	s_cbranch_vccnz .LBB581_298
.LBB581_280:
	v_cmp_eq_u32_e32 vcc, 0, v0
	s_and_b64 s[0:1], vcc, s[24:25]
	s_and_saveexec_b64 s[2:3], s[0:1]
	s_cbranch_execnz .LBB581_312
.LBB581_281:
	s_endpgm
.LBB581_282:
	v_add_u32_e32 v17, v15, v14
	v_cmp_lt_u32_e32 vcc, v26, v17
	s_or_b64 s[2:3], s[34:35], vcc
	s_and_saveexec_b64 s[0:1], s[2:3]
	s_cbranch_execz .LBB581_285
; %bb.283:
	v_and_b32_e32 v19, 1, v12
	v_cmp_eq_u32_e32 vcc, 1, v19
	s_and_b64 exec, exec, vcc
	s_cbranch_execz .LBB581_285
; %bb.284:
	s_lshl_b64 s[2:3], s[22:23], 3
	s_add_u32 s2, s4, s2
	v_mov_b32_e32 v27, 0
	s_addc_u32 s3, s5, s3
	v_lshlrev_b64 v[28:29], 3, v[26:27]
	v_mov_b32_e32 v19, s3
	v_add_co_u32_e32 v28, vcc, s2, v28
	v_addc_co_u32_e32 v29, vcc, v19, v29, vcc
	global_store_dwordx2 v[28:29], v[6:7], off
.LBB581_285:
	s_or_b64 exec, exec, s[0:1]
	v_cmp_lt_u32_e32 vcc, v24, v17
	s_or_b64 s[2:3], s[34:35], vcc
	s_and_saveexec_b64 s[0:1], s[2:3]
	s_cbranch_execz .LBB581_288
; %bb.286:
	v_and_b32_e32 v19, 1, v1
	v_cmp_eq_u32_e32 vcc, 1, v19
	s_and_b64 exec, exec, vcc
	s_cbranch_execz .LBB581_288
; %bb.287:
	s_lshl_b64 s[2:3], s[22:23], 3
	s_add_u32 s2, s4, s2
	v_mov_b32_e32 v25, 0
	s_addc_u32 s3, s5, s3
	v_lshlrev_b64 v[28:29], 3, v[24:25]
	v_mov_b32_e32 v19, s3
	v_add_co_u32_e32 v28, vcc, s2, v28
	v_addc_co_u32_e32 v29, vcc, v19, v29, vcc
	global_store_dwordx2 v[28:29], v[8:9], off
.LBB581_288:
	s_or_b64 exec, exec, s[0:1]
	v_cmp_lt_u32_e32 vcc, v22, v17
	s_or_b64 s[2:3], s[34:35], vcc
	s_and_saveexec_b64 s[0:1], s[2:3]
	s_cbranch_execz .LBB581_291
; %bb.289:
	v_mov_b32_e32 v19, 1
	v_and_b32_sdwa v19, v19, v12 dst_sel:DWORD dst_unused:UNUSED_PAD src0_sel:DWORD src1_sel:WORD_1
	v_cmp_eq_u32_e32 vcc, 1, v19
	s_and_b64 exec, exec, vcc
	s_cbranch_execz .LBB581_291
; %bb.290:
	s_lshl_b64 s[2:3], s[22:23], 3
	s_add_u32 s2, s4, s2
	v_mov_b32_e32 v23, 0
	s_addc_u32 s3, s5, s3
	v_lshlrev_b64 v[28:29], 3, v[22:23]
	v_mov_b32_e32 v19, s3
	v_add_co_u32_e32 v28, vcc, s2, v28
	v_addc_co_u32_e32 v29, vcc, v19, v29, vcc
	global_store_dwordx2 v[28:29], v[2:3], off
.LBB581_291:
	s_or_b64 exec, exec, s[0:1]
	v_cmp_lt_u32_e32 vcc, v20, v17
	s_or_b64 s[2:3], s[34:35], vcc
	s_and_saveexec_b64 s[0:1], s[2:3]
	s_cbranch_execz .LBB581_294
; %bb.292:
	v_and_b32_e32 v19, 1, v16
	v_cmp_eq_u32_e32 vcc, 1, v19
	s_and_b64 exec, exec, vcc
	s_cbranch_execz .LBB581_294
; %bb.293:
	s_lshl_b64 s[2:3], s[22:23], 3
	s_add_u32 s2, s4, s2
	v_mov_b32_e32 v21, 0
	s_addc_u32 s3, s5, s3
	v_lshlrev_b64 v[28:29], 3, v[20:21]
	v_mov_b32_e32 v19, s3
	v_add_co_u32_e32 v28, vcc, s2, v28
	v_addc_co_u32_e32 v29, vcc, v19, v29, vcc
	global_store_dwordx2 v[28:29], v[4:5], off
.LBB581_294:
	s_or_b64 exec, exec, s[0:1]
	v_cmp_lt_u32_e32 vcc, v18, v17
	s_or_b64 s[2:3], s[34:35], vcc
	s_and_saveexec_b64 s[0:1], s[2:3]
	s_cbranch_execz .LBB581_297
; %bb.295:
	v_and_b32_e32 v17, 1, v13
	v_cmp_eq_u32_e32 vcc, 1, v17
	s_and_b64 exec, exec, vcc
	s_cbranch_execz .LBB581_297
; %bb.296:
	s_lshl_b64 s[2:3], s[22:23], 3
	s_add_u32 s2, s4, s2
	v_mov_b32_e32 v19, 0
	s_addc_u32 s3, s5, s3
	v_lshlrev_b64 v[28:29], 3, v[18:19]
	v_mov_b32_e32 v17, s3
	v_add_co_u32_e32 v28, vcc, s2, v28
	v_addc_co_u32_e32 v29, vcc, v17, v29, vcc
	global_store_dwordx2 v[28:29], v[10:11], off
.LBB581_297:
	s_or_b64 exec, exec, s[0:1]
	s_branch .LBB581_280
.LBB581_298:
	v_and_b32_e32 v17, 1, v12
	v_cmp_eq_u32_e32 vcc, 1, v17
	s_and_saveexec_b64 s[0:1], vcc
	s_cbranch_execz .LBB581_300
; %bb.299:
	v_sub_u32_e32 v17, v26, v15
	v_lshlrev_b32_e32 v17, 3, v17
	ds_write_b64 v17, v[6:7]
.LBB581_300:
	s_or_b64 exec, exec, s[0:1]
	v_and_b32_e32 v1, 1, v1
	v_cmp_eq_u32_e32 vcc, 1, v1
	s_and_saveexec_b64 s[0:1], vcc
	s_cbranch_execz .LBB581_302
; %bb.301:
	v_sub_u32_e32 v1, v24, v15
	v_lshlrev_b32_e32 v1, 3, v1
	ds_write_b64 v1, v[8:9]
.LBB581_302:
	s_or_b64 exec, exec, s[0:1]
	v_mov_b32_e32 v1, 1
	v_and_b32_sdwa v1, v1, v12 dst_sel:DWORD dst_unused:UNUSED_PAD src0_sel:DWORD src1_sel:WORD_1
	v_cmp_eq_u32_e32 vcc, 1, v1
	s_and_saveexec_b64 s[0:1], vcc
	s_cbranch_execz .LBB581_304
; %bb.303:
	v_sub_u32_e32 v1, v22, v15
	v_lshlrev_b32_e32 v1, 3, v1
	ds_write_b64 v1, v[2:3]
.LBB581_304:
	s_or_b64 exec, exec, s[0:1]
	v_and_b32_e32 v1, 1, v16
	v_cmp_eq_u32_e32 vcc, 1, v1
	s_and_saveexec_b64 s[0:1], vcc
	s_cbranch_execz .LBB581_306
; %bb.305:
	v_sub_u32_e32 v1, v20, v15
	v_lshlrev_b32_e32 v1, 3, v1
	ds_write_b64 v1, v[4:5]
.LBB581_306:
	s_or_b64 exec, exec, s[0:1]
	v_and_b32_e32 v1, 1, v13
	v_cmp_eq_u32_e32 vcc, 1, v1
	s_and_saveexec_b64 s[0:1], vcc
	s_cbranch_execz .LBB581_308
; %bb.307:
	v_sub_u32_e32 v1, v18, v15
	v_lshlrev_b32_e32 v1, 3, v1
	ds_write_b64 v1, v[10:11]
.LBB581_308:
	s_or_b64 exec, exec, s[0:1]
	v_cmp_lt_u32_e32 vcc, v0, v14
	s_waitcnt lgkmcnt(0)
	s_barrier
	s_and_saveexec_b64 s[0:1], vcc
	s_cbranch_execz .LBB581_311
; %bb.309:
	v_mov_b32_e32 v3, 0
	v_mov_b32_e32 v2, v15
	v_lshlrev_b64 v[4:5], 3, v[2:3]
	v_mov_b32_e32 v1, s5
	v_add_co_u32_e32 v2, vcc, s4, v4
	v_addc_co_u32_e32 v4, vcc, v1, v5, vcc
	s_lshl_b64 s[2:3], s[22:23], 3
	v_mov_b32_e32 v5, s3
	v_add_co_u32_e32 v1, vcc, s2, v2
	v_addc_co_u32_e32 v4, vcc, v4, v5, vcc
	v_lshlrev_b32_e32 v5, 3, v0
	s_mov_b64 s[2:3], 0
	v_mov_b32_e32 v2, v0
.LBB581_310:                            ; =>This Inner Loop Header: Depth=1
	ds_read_b64 v[6:7], v5
	v_lshlrev_b64 v[8:9], 3, v[2:3]
	v_add_co_u32_e32 v8, vcc, v1, v8
	v_add_u32_e32 v2, 0x100, v2
	v_addc_co_u32_e32 v9, vcc, v4, v9, vcc
	v_cmp_ge_u32_e32 vcc, v2, v14
	v_add_u32_e32 v5, 0x800, v5
	s_or_b64 s[2:3], vcc, s[2:3]
	s_waitcnt lgkmcnt(0)
	global_store_dwordx2 v[8:9], v[6:7], off
	s_andn2_b64 exec, exec, s[2:3]
	s_cbranch_execnz .LBB581_310
.LBB581_311:
	s_or_b64 exec, exec, s[0:1]
	v_cmp_eq_u32_e32 vcc, 0, v0
	s_and_b64 s[0:1], vcc, s[24:25]
	s_and_saveexec_b64 s[2:3], s[0:1]
	s_cbranch_execz .LBB581_281
.LBB581_312:
	v_mov_b32_e32 v0, s23
	v_add_co_u32_e32 v1, vcc, s22, v14
	v_addc_co_u32_e32 v3, vcc, 0, v0, vcc
	v_add_co_u32_e32 v0, vcc, v1, v15
	v_mov_b32_e32 v2, 0
	v_addc_co_u32_e32 v1, vcc, 0, v3, vcc
	global_store_dwordx2 v2, v[0:1], s[20:21]
	s_endpgm
	.section	.rodata,"a",@progbits
	.p2align	6, 0x0
	.amdhsa_kernel _ZN7rocprim17ROCPRIM_400000_NS6detail17trampoline_kernelINS0_14default_configENS1_25partition_config_selectorILNS1_17partition_subalgoE8ElNS0_10empty_typeEbEEZZNS1_14partition_implILS5_8ELb0ES3_jPlPS6_PKS6_NS0_5tupleIJS9_S6_EEENSD_IJSA_SA_EEENS0_18inequality_wrapperIZN2at6native12_GLOBAL__N_124unique_dim_cuda_templateIlEESt5tupleIJNSH_6TensorESM_SM_EERKSM_lbbbEUlllE0_EEPmJS6_EEE10hipError_tPvRmT3_T4_T5_T6_T7_T9_mT8_P12ihipStream_tbDpT10_ENKUlT_T0_E_clISt17integral_constantIbLb1EES1B_IbLb0EEEEDaS17_S18_EUlS17_E_NS1_11comp_targetILNS1_3genE4ELNS1_11target_archE910ELNS1_3gpuE8ELNS1_3repE0EEENS1_30default_config_static_selectorELNS0_4arch9wavefront6targetE1EEEvT1_
		.amdhsa_group_segment_fixed_size 10252
		.amdhsa_private_segment_fixed_size 0
		.amdhsa_kernarg_size 120
		.amdhsa_user_sgpr_count 6
		.amdhsa_user_sgpr_private_segment_buffer 1
		.amdhsa_user_sgpr_dispatch_ptr 0
		.amdhsa_user_sgpr_queue_ptr 0
		.amdhsa_user_sgpr_kernarg_segment_ptr 1
		.amdhsa_user_sgpr_dispatch_id 0
		.amdhsa_user_sgpr_flat_scratch_init 0
		.amdhsa_user_sgpr_kernarg_preload_length 0
		.amdhsa_user_sgpr_kernarg_preload_offset 0
		.amdhsa_user_sgpr_private_segment_size 0
		.amdhsa_uses_dynamic_stack 0
		.amdhsa_system_sgpr_private_segment_wavefront_offset 0
		.amdhsa_system_sgpr_workgroup_id_x 1
		.amdhsa_system_sgpr_workgroup_id_y 0
		.amdhsa_system_sgpr_workgroup_id_z 0
		.amdhsa_system_sgpr_workgroup_info 0
		.amdhsa_system_vgpr_workitem_id 0
		.amdhsa_next_free_vgpr 46
		.amdhsa_next_free_sgpr 48
		.amdhsa_accum_offset 48
		.amdhsa_reserve_vcc 1
		.amdhsa_reserve_flat_scratch 0
		.amdhsa_float_round_mode_32 0
		.amdhsa_float_round_mode_16_64 0
		.amdhsa_float_denorm_mode_32 3
		.amdhsa_float_denorm_mode_16_64 3
		.amdhsa_dx10_clamp 1
		.amdhsa_ieee_mode 1
		.amdhsa_fp16_overflow 0
		.amdhsa_tg_split 0
		.amdhsa_exception_fp_ieee_invalid_op 0
		.amdhsa_exception_fp_denorm_src 0
		.amdhsa_exception_fp_ieee_div_zero 0
		.amdhsa_exception_fp_ieee_overflow 0
		.amdhsa_exception_fp_ieee_underflow 0
		.amdhsa_exception_fp_ieee_inexact 0
		.amdhsa_exception_int_div_zero 0
	.end_amdhsa_kernel
	.section	.text._ZN7rocprim17ROCPRIM_400000_NS6detail17trampoline_kernelINS0_14default_configENS1_25partition_config_selectorILNS1_17partition_subalgoE8ElNS0_10empty_typeEbEEZZNS1_14partition_implILS5_8ELb0ES3_jPlPS6_PKS6_NS0_5tupleIJS9_S6_EEENSD_IJSA_SA_EEENS0_18inequality_wrapperIZN2at6native12_GLOBAL__N_124unique_dim_cuda_templateIlEESt5tupleIJNSH_6TensorESM_SM_EERKSM_lbbbEUlllE0_EEPmJS6_EEE10hipError_tPvRmT3_T4_T5_T6_T7_T9_mT8_P12ihipStream_tbDpT10_ENKUlT_T0_E_clISt17integral_constantIbLb1EES1B_IbLb0EEEEDaS17_S18_EUlS17_E_NS1_11comp_targetILNS1_3genE4ELNS1_11target_archE910ELNS1_3gpuE8ELNS1_3repE0EEENS1_30default_config_static_selectorELNS0_4arch9wavefront6targetE1EEEvT1_,"axG",@progbits,_ZN7rocprim17ROCPRIM_400000_NS6detail17trampoline_kernelINS0_14default_configENS1_25partition_config_selectorILNS1_17partition_subalgoE8ElNS0_10empty_typeEbEEZZNS1_14partition_implILS5_8ELb0ES3_jPlPS6_PKS6_NS0_5tupleIJS9_S6_EEENSD_IJSA_SA_EEENS0_18inequality_wrapperIZN2at6native12_GLOBAL__N_124unique_dim_cuda_templateIlEESt5tupleIJNSH_6TensorESM_SM_EERKSM_lbbbEUlllE0_EEPmJS6_EEE10hipError_tPvRmT3_T4_T5_T6_T7_T9_mT8_P12ihipStream_tbDpT10_ENKUlT_T0_E_clISt17integral_constantIbLb1EES1B_IbLb0EEEEDaS17_S18_EUlS17_E_NS1_11comp_targetILNS1_3genE4ELNS1_11target_archE910ELNS1_3gpuE8ELNS1_3repE0EEENS1_30default_config_static_selectorELNS0_4arch9wavefront6targetE1EEEvT1_,comdat
.Lfunc_end581:
	.size	_ZN7rocprim17ROCPRIM_400000_NS6detail17trampoline_kernelINS0_14default_configENS1_25partition_config_selectorILNS1_17partition_subalgoE8ElNS0_10empty_typeEbEEZZNS1_14partition_implILS5_8ELb0ES3_jPlPS6_PKS6_NS0_5tupleIJS9_S6_EEENSD_IJSA_SA_EEENS0_18inequality_wrapperIZN2at6native12_GLOBAL__N_124unique_dim_cuda_templateIlEESt5tupleIJNSH_6TensorESM_SM_EERKSM_lbbbEUlllE0_EEPmJS6_EEE10hipError_tPvRmT3_T4_T5_T6_T7_T9_mT8_P12ihipStream_tbDpT10_ENKUlT_T0_E_clISt17integral_constantIbLb1EES1B_IbLb0EEEEDaS17_S18_EUlS17_E_NS1_11comp_targetILNS1_3genE4ELNS1_11target_archE910ELNS1_3gpuE8ELNS1_3repE0EEENS1_30default_config_static_selectorELNS0_4arch9wavefront6targetE1EEEvT1_, .Lfunc_end581-_ZN7rocprim17ROCPRIM_400000_NS6detail17trampoline_kernelINS0_14default_configENS1_25partition_config_selectorILNS1_17partition_subalgoE8ElNS0_10empty_typeEbEEZZNS1_14partition_implILS5_8ELb0ES3_jPlPS6_PKS6_NS0_5tupleIJS9_S6_EEENSD_IJSA_SA_EEENS0_18inequality_wrapperIZN2at6native12_GLOBAL__N_124unique_dim_cuda_templateIlEESt5tupleIJNSH_6TensorESM_SM_EERKSM_lbbbEUlllE0_EEPmJS6_EEE10hipError_tPvRmT3_T4_T5_T6_T7_T9_mT8_P12ihipStream_tbDpT10_ENKUlT_T0_E_clISt17integral_constantIbLb1EES1B_IbLb0EEEEDaS17_S18_EUlS17_E_NS1_11comp_targetILNS1_3genE4ELNS1_11target_archE910ELNS1_3gpuE8ELNS1_3repE0EEENS1_30default_config_static_selectorELNS0_4arch9wavefront6targetE1EEEvT1_
                                        ; -- End function
	.section	.AMDGPU.csdata,"",@progbits
; Kernel info:
; codeLenInByte = 11456
; NumSgprs: 52
; NumVgprs: 46
; NumAgprs: 0
; TotalNumVgprs: 46
; ScratchSize: 0
; MemoryBound: 1
; FloatMode: 240
; IeeeMode: 1
; LDSByteSize: 10252 bytes/workgroup (compile time only)
; SGPRBlocks: 6
; VGPRBlocks: 5
; NumSGPRsForWavesPerEU: 52
; NumVGPRsForWavesPerEU: 46
; AccumOffset: 48
; Occupancy: 6
; WaveLimiterHint : 1
; COMPUTE_PGM_RSRC2:SCRATCH_EN: 0
; COMPUTE_PGM_RSRC2:USER_SGPR: 6
; COMPUTE_PGM_RSRC2:TRAP_HANDLER: 0
; COMPUTE_PGM_RSRC2:TGID_X_EN: 1
; COMPUTE_PGM_RSRC2:TGID_Y_EN: 0
; COMPUTE_PGM_RSRC2:TGID_Z_EN: 0
; COMPUTE_PGM_RSRC2:TIDIG_COMP_CNT: 0
; COMPUTE_PGM_RSRC3_GFX90A:ACCUM_OFFSET: 11
; COMPUTE_PGM_RSRC3_GFX90A:TG_SPLIT: 0
	.section	.text._ZN7rocprim17ROCPRIM_400000_NS6detail17trampoline_kernelINS0_14default_configENS1_25partition_config_selectorILNS1_17partition_subalgoE8ElNS0_10empty_typeEbEEZZNS1_14partition_implILS5_8ELb0ES3_jPlPS6_PKS6_NS0_5tupleIJS9_S6_EEENSD_IJSA_SA_EEENS0_18inequality_wrapperIZN2at6native12_GLOBAL__N_124unique_dim_cuda_templateIlEESt5tupleIJNSH_6TensorESM_SM_EERKSM_lbbbEUlllE0_EEPmJS6_EEE10hipError_tPvRmT3_T4_T5_T6_T7_T9_mT8_P12ihipStream_tbDpT10_ENKUlT_T0_E_clISt17integral_constantIbLb1EES1B_IbLb0EEEEDaS17_S18_EUlS17_E_NS1_11comp_targetILNS1_3genE3ELNS1_11target_archE908ELNS1_3gpuE7ELNS1_3repE0EEENS1_30default_config_static_selectorELNS0_4arch9wavefront6targetE1EEEvT1_,"axG",@progbits,_ZN7rocprim17ROCPRIM_400000_NS6detail17trampoline_kernelINS0_14default_configENS1_25partition_config_selectorILNS1_17partition_subalgoE8ElNS0_10empty_typeEbEEZZNS1_14partition_implILS5_8ELb0ES3_jPlPS6_PKS6_NS0_5tupleIJS9_S6_EEENSD_IJSA_SA_EEENS0_18inequality_wrapperIZN2at6native12_GLOBAL__N_124unique_dim_cuda_templateIlEESt5tupleIJNSH_6TensorESM_SM_EERKSM_lbbbEUlllE0_EEPmJS6_EEE10hipError_tPvRmT3_T4_T5_T6_T7_T9_mT8_P12ihipStream_tbDpT10_ENKUlT_T0_E_clISt17integral_constantIbLb1EES1B_IbLb0EEEEDaS17_S18_EUlS17_E_NS1_11comp_targetILNS1_3genE3ELNS1_11target_archE908ELNS1_3gpuE7ELNS1_3repE0EEENS1_30default_config_static_selectorELNS0_4arch9wavefront6targetE1EEEvT1_,comdat
	.globl	_ZN7rocprim17ROCPRIM_400000_NS6detail17trampoline_kernelINS0_14default_configENS1_25partition_config_selectorILNS1_17partition_subalgoE8ElNS0_10empty_typeEbEEZZNS1_14partition_implILS5_8ELb0ES3_jPlPS6_PKS6_NS0_5tupleIJS9_S6_EEENSD_IJSA_SA_EEENS0_18inequality_wrapperIZN2at6native12_GLOBAL__N_124unique_dim_cuda_templateIlEESt5tupleIJNSH_6TensorESM_SM_EERKSM_lbbbEUlllE0_EEPmJS6_EEE10hipError_tPvRmT3_T4_T5_T6_T7_T9_mT8_P12ihipStream_tbDpT10_ENKUlT_T0_E_clISt17integral_constantIbLb1EES1B_IbLb0EEEEDaS17_S18_EUlS17_E_NS1_11comp_targetILNS1_3genE3ELNS1_11target_archE908ELNS1_3gpuE7ELNS1_3repE0EEENS1_30default_config_static_selectorELNS0_4arch9wavefront6targetE1EEEvT1_ ; -- Begin function _ZN7rocprim17ROCPRIM_400000_NS6detail17trampoline_kernelINS0_14default_configENS1_25partition_config_selectorILNS1_17partition_subalgoE8ElNS0_10empty_typeEbEEZZNS1_14partition_implILS5_8ELb0ES3_jPlPS6_PKS6_NS0_5tupleIJS9_S6_EEENSD_IJSA_SA_EEENS0_18inequality_wrapperIZN2at6native12_GLOBAL__N_124unique_dim_cuda_templateIlEESt5tupleIJNSH_6TensorESM_SM_EERKSM_lbbbEUlllE0_EEPmJS6_EEE10hipError_tPvRmT3_T4_T5_T6_T7_T9_mT8_P12ihipStream_tbDpT10_ENKUlT_T0_E_clISt17integral_constantIbLb1EES1B_IbLb0EEEEDaS17_S18_EUlS17_E_NS1_11comp_targetILNS1_3genE3ELNS1_11target_archE908ELNS1_3gpuE7ELNS1_3repE0EEENS1_30default_config_static_selectorELNS0_4arch9wavefront6targetE1EEEvT1_
	.p2align	8
	.type	_ZN7rocprim17ROCPRIM_400000_NS6detail17trampoline_kernelINS0_14default_configENS1_25partition_config_selectorILNS1_17partition_subalgoE8ElNS0_10empty_typeEbEEZZNS1_14partition_implILS5_8ELb0ES3_jPlPS6_PKS6_NS0_5tupleIJS9_S6_EEENSD_IJSA_SA_EEENS0_18inequality_wrapperIZN2at6native12_GLOBAL__N_124unique_dim_cuda_templateIlEESt5tupleIJNSH_6TensorESM_SM_EERKSM_lbbbEUlllE0_EEPmJS6_EEE10hipError_tPvRmT3_T4_T5_T6_T7_T9_mT8_P12ihipStream_tbDpT10_ENKUlT_T0_E_clISt17integral_constantIbLb1EES1B_IbLb0EEEEDaS17_S18_EUlS17_E_NS1_11comp_targetILNS1_3genE3ELNS1_11target_archE908ELNS1_3gpuE7ELNS1_3repE0EEENS1_30default_config_static_selectorELNS0_4arch9wavefront6targetE1EEEvT1_,@function
_ZN7rocprim17ROCPRIM_400000_NS6detail17trampoline_kernelINS0_14default_configENS1_25partition_config_selectorILNS1_17partition_subalgoE8ElNS0_10empty_typeEbEEZZNS1_14partition_implILS5_8ELb0ES3_jPlPS6_PKS6_NS0_5tupleIJS9_S6_EEENSD_IJSA_SA_EEENS0_18inequality_wrapperIZN2at6native12_GLOBAL__N_124unique_dim_cuda_templateIlEESt5tupleIJNSH_6TensorESM_SM_EERKSM_lbbbEUlllE0_EEPmJS6_EEE10hipError_tPvRmT3_T4_T5_T6_T7_T9_mT8_P12ihipStream_tbDpT10_ENKUlT_T0_E_clISt17integral_constantIbLb1EES1B_IbLb0EEEEDaS17_S18_EUlS17_E_NS1_11comp_targetILNS1_3genE3ELNS1_11target_archE908ELNS1_3gpuE7ELNS1_3repE0EEENS1_30default_config_static_selectorELNS0_4arch9wavefront6targetE1EEEvT1_: ; @_ZN7rocprim17ROCPRIM_400000_NS6detail17trampoline_kernelINS0_14default_configENS1_25partition_config_selectorILNS1_17partition_subalgoE8ElNS0_10empty_typeEbEEZZNS1_14partition_implILS5_8ELb0ES3_jPlPS6_PKS6_NS0_5tupleIJS9_S6_EEENSD_IJSA_SA_EEENS0_18inequality_wrapperIZN2at6native12_GLOBAL__N_124unique_dim_cuda_templateIlEESt5tupleIJNSH_6TensorESM_SM_EERKSM_lbbbEUlllE0_EEPmJS6_EEE10hipError_tPvRmT3_T4_T5_T6_T7_T9_mT8_P12ihipStream_tbDpT10_ENKUlT_T0_E_clISt17integral_constantIbLb1EES1B_IbLb0EEEEDaS17_S18_EUlS17_E_NS1_11comp_targetILNS1_3genE3ELNS1_11target_archE908ELNS1_3gpuE7ELNS1_3repE0EEENS1_30default_config_static_selectorELNS0_4arch9wavefront6targetE1EEEvT1_
; %bb.0:
	.section	.rodata,"a",@progbits
	.p2align	6, 0x0
	.amdhsa_kernel _ZN7rocprim17ROCPRIM_400000_NS6detail17trampoline_kernelINS0_14default_configENS1_25partition_config_selectorILNS1_17partition_subalgoE8ElNS0_10empty_typeEbEEZZNS1_14partition_implILS5_8ELb0ES3_jPlPS6_PKS6_NS0_5tupleIJS9_S6_EEENSD_IJSA_SA_EEENS0_18inequality_wrapperIZN2at6native12_GLOBAL__N_124unique_dim_cuda_templateIlEESt5tupleIJNSH_6TensorESM_SM_EERKSM_lbbbEUlllE0_EEPmJS6_EEE10hipError_tPvRmT3_T4_T5_T6_T7_T9_mT8_P12ihipStream_tbDpT10_ENKUlT_T0_E_clISt17integral_constantIbLb1EES1B_IbLb0EEEEDaS17_S18_EUlS17_E_NS1_11comp_targetILNS1_3genE3ELNS1_11target_archE908ELNS1_3gpuE7ELNS1_3repE0EEENS1_30default_config_static_selectorELNS0_4arch9wavefront6targetE1EEEvT1_
		.amdhsa_group_segment_fixed_size 0
		.amdhsa_private_segment_fixed_size 0
		.amdhsa_kernarg_size 120
		.amdhsa_user_sgpr_count 6
		.amdhsa_user_sgpr_private_segment_buffer 1
		.amdhsa_user_sgpr_dispatch_ptr 0
		.amdhsa_user_sgpr_queue_ptr 0
		.amdhsa_user_sgpr_kernarg_segment_ptr 1
		.amdhsa_user_sgpr_dispatch_id 0
		.amdhsa_user_sgpr_flat_scratch_init 0
		.amdhsa_user_sgpr_kernarg_preload_length 0
		.amdhsa_user_sgpr_kernarg_preload_offset 0
		.amdhsa_user_sgpr_private_segment_size 0
		.amdhsa_uses_dynamic_stack 0
		.amdhsa_system_sgpr_private_segment_wavefront_offset 0
		.amdhsa_system_sgpr_workgroup_id_x 1
		.amdhsa_system_sgpr_workgroup_id_y 0
		.amdhsa_system_sgpr_workgroup_id_z 0
		.amdhsa_system_sgpr_workgroup_info 0
		.amdhsa_system_vgpr_workitem_id 0
		.amdhsa_next_free_vgpr 1
		.amdhsa_next_free_sgpr 0
		.amdhsa_accum_offset 4
		.amdhsa_reserve_vcc 0
		.amdhsa_reserve_flat_scratch 0
		.amdhsa_float_round_mode_32 0
		.amdhsa_float_round_mode_16_64 0
		.amdhsa_float_denorm_mode_32 3
		.amdhsa_float_denorm_mode_16_64 3
		.amdhsa_dx10_clamp 1
		.amdhsa_ieee_mode 1
		.amdhsa_fp16_overflow 0
		.amdhsa_tg_split 0
		.amdhsa_exception_fp_ieee_invalid_op 0
		.amdhsa_exception_fp_denorm_src 0
		.amdhsa_exception_fp_ieee_div_zero 0
		.amdhsa_exception_fp_ieee_overflow 0
		.amdhsa_exception_fp_ieee_underflow 0
		.amdhsa_exception_fp_ieee_inexact 0
		.amdhsa_exception_int_div_zero 0
	.end_amdhsa_kernel
	.section	.text._ZN7rocprim17ROCPRIM_400000_NS6detail17trampoline_kernelINS0_14default_configENS1_25partition_config_selectorILNS1_17partition_subalgoE8ElNS0_10empty_typeEbEEZZNS1_14partition_implILS5_8ELb0ES3_jPlPS6_PKS6_NS0_5tupleIJS9_S6_EEENSD_IJSA_SA_EEENS0_18inequality_wrapperIZN2at6native12_GLOBAL__N_124unique_dim_cuda_templateIlEESt5tupleIJNSH_6TensorESM_SM_EERKSM_lbbbEUlllE0_EEPmJS6_EEE10hipError_tPvRmT3_T4_T5_T6_T7_T9_mT8_P12ihipStream_tbDpT10_ENKUlT_T0_E_clISt17integral_constantIbLb1EES1B_IbLb0EEEEDaS17_S18_EUlS17_E_NS1_11comp_targetILNS1_3genE3ELNS1_11target_archE908ELNS1_3gpuE7ELNS1_3repE0EEENS1_30default_config_static_selectorELNS0_4arch9wavefront6targetE1EEEvT1_,"axG",@progbits,_ZN7rocprim17ROCPRIM_400000_NS6detail17trampoline_kernelINS0_14default_configENS1_25partition_config_selectorILNS1_17partition_subalgoE8ElNS0_10empty_typeEbEEZZNS1_14partition_implILS5_8ELb0ES3_jPlPS6_PKS6_NS0_5tupleIJS9_S6_EEENSD_IJSA_SA_EEENS0_18inequality_wrapperIZN2at6native12_GLOBAL__N_124unique_dim_cuda_templateIlEESt5tupleIJNSH_6TensorESM_SM_EERKSM_lbbbEUlllE0_EEPmJS6_EEE10hipError_tPvRmT3_T4_T5_T6_T7_T9_mT8_P12ihipStream_tbDpT10_ENKUlT_T0_E_clISt17integral_constantIbLb1EES1B_IbLb0EEEEDaS17_S18_EUlS17_E_NS1_11comp_targetILNS1_3genE3ELNS1_11target_archE908ELNS1_3gpuE7ELNS1_3repE0EEENS1_30default_config_static_selectorELNS0_4arch9wavefront6targetE1EEEvT1_,comdat
.Lfunc_end582:
	.size	_ZN7rocprim17ROCPRIM_400000_NS6detail17trampoline_kernelINS0_14default_configENS1_25partition_config_selectorILNS1_17partition_subalgoE8ElNS0_10empty_typeEbEEZZNS1_14partition_implILS5_8ELb0ES3_jPlPS6_PKS6_NS0_5tupleIJS9_S6_EEENSD_IJSA_SA_EEENS0_18inequality_wrapperIZN2at6native12_GLOBAL__N_124unique_dim_cuda_templateIlEESt5tupleIJNSH_6TensorESM_SM_EERKSM_lbbbEUlllE0_EEPmJS6_EEE10hipError_tPvRmT3_T4_T5_T6_T7_T9_mT8_P12ihipStream_tbDpT10_ENKUlT_T0_E_clISt17integral_constantIbLb1EES1B_IbLb0EEEEDaS17_S18_EUlS17_E_NS1_11comp_targetILNS1_3genE3ELNS1_11target_archE908ELNS1_3gpuE7ELNS1_3repE0EEENS1_30default_config_static_selectorELNS0_4arch9wavefront6targetE1EEEvT1_, .Lfunc_end582-_ZN7rocprim17ROCPRIM_400000_NS6detail17trampoline_kernelINS0_14default_configENS1_25partition_config_selectorILNS1_17partition_subalgoE8ElNS0_10empty_typeEbEEZZNS1_14partition_implILS5_8ELb0ES3_jPlPS6_PKS6_NS0_5tupleIJS9_S6_EEENSD_IJSA_SA_EEENS0_18inequality_wrapperIZN2at6native12_GLOBAL__N_124unique_dim_cuda_templateIlEESt5tupleIJNSH_6TensorESM_SM_EERKSM_lbbbEUlllE0_EEPmJS6_EEE10hipError_tPvRmT3_T4_T5_T6_T7_T9_mT8_P12ihipStream_tbDpT10_ENKUlT_T0_E_clISt17integral_constantIbLb1EES1B_IbLb0EEEEDaS17_S18_EUlS17_E_NS1_11comp_targetILNS1_3genE3ELNS1_11target_archE908ELNS1_3gpuE7ELNS1_3repE0EEENS1_30default_config_static_selectorELNS0_4arch9wavefront6targetE1EEEvT1_
                                        ; -- End function
	.section	.AMDGPU.csdata,"",@progbits
; Kernel info:
; codeLenInByte = 0
; NumSgprs: 4
; NumVgprs: 0
; NumAgprs: 0
; TotalNumVgprs: 0
; ScratchSize: 0
; MemoryBound: 0
; FloatMode: 240
; IeeeMode: 1
; LDSByteSize: 0 bytes/workgroup (compile time only)
; SGPRBlocks: 0
; VGPRBlocks: 0
; NumSGPRsForWavesPerEU: 4
; NumVGPRsForWavesPerEU: 1
; AccumOffset: 4
; Occupancy: 8
; WaveLimiterHint : 0
; COMPUTE_PGM_RSRC2:SCRATCH_EN: 0
; COMPUTE_PGM_RSRC2:USER_SGPR: 6
; COMPUTE_PGM_RSRC2:TRAP_HANDLER: 0
; COMPUTE_PGM_RSRC2:TGID_X_EN: 1
; COMPUTE_PGM_RSRC2:TGID_Y_EN: 0
; COMPUTE_PGM_RSRC2:TGID_Z_EN: 0
; COMPUTE_PGM_RSRC2:TIDIG_COMP_CNT: 0
; COMPUTE_PGM_RSRC3_GFX90A:ACCUM_OFFSET: 0
; COMPUTE_PGM_RSRC3_GFX90A:TG_SPLIT: 0
	.section	.text._ZN7rocprim17ROCPRIM_400000_NS6detail17trampoline_kernelINS0_14default_configENS1_25partition_config_selectorILNS1_17partition_subalgoE8ElNS0_10empty_typeEbEEZZNS1_14partition_implILS5_8ELb0ES3_jPlPS6_PKS6_NS0_5tupleIJS9_S6_EEENSD_IJSA_SA_EEENS0_18inequality_wrapperIZN2at6native12_GLOBAL__N_124unique_dim_cuda_templateIlEESt5tupleIJNSH_6TensorESM_SM_EERKSM_lbbbEUlllE0_EEPmJS6_EEE10hipError_tPvRmT3_T4_T5_T6_T7_T9_mT8_P12ihipStream_tbDpT10_ENKUlT_T0_E_clISt17integral_constantIbLb1EES1B_IbLb0EEEEDaS17_S18_EUlS17_E_NS1_11comp_targetILNS1_3genE2ELNS1_11target_archE906ELNS1_3gpuE6ELNS1_3repE0EEENS1_30default_config_static_selectorELNS0_4arch9wavefront6targetE1EEEvT1_,"axG",@progbits,_ZN7rocprim17ROCPRIM_400000_NS6detail17trampoline_kernelINS0_14default_configENS1_25partition_config_selectorILNS1_17partition_subalgoE8ElNS0_10empty_typeEbEEZZNS1_14partition_implILS5_8ELb0ES3_jPlPS6_PKS6_NS0_5tupleIJS9_S6_EEENSD_IJSA_SA_EEENS0_18inequality_wrapperIZN2at6native12_GLOBAL__N_124unique_dim_cuda_templateIlEESt5tupleIJNSH_6TensorESM_SM_EERKSM_lbbbEUlllE0_EEPmJS6_EEE10hipError_tPvRmT3_T4_T5_T6_T7_T9_mT8_P12ihipStream_tbDpT10_ENKUlT_T0_E_clISt17integral_constantIbLb1EES1B_IbLb0EEEEDaS17_S18_EUlS17_E_NS1_11comp_targetILNS1_3genE2ELNS1_11target_archE906ELNS1_3gpuE6ELNS1_3repE0EEENS1_30default_config_static_selectorELNS0_4arch9wavefront6targetE1EEEvT1_,comdat
	.globl	_ZN7rocprim17ROCPRIM_400000_NS6detail17trampoline_kernelINS0_14default_configENS1_25partition_config_selectorILNS1_17partition_subalgoE8ElNS0_10empty_typeEbEEZZNS1_14partition_implILS5_8ELb0ES3_jPlPS6_PKS6_NS0_5tupleIJS9_S6_EEENSD_IJSA_SA_EEENS0_18inequality_wrapperIZN2at6native12_GLOBAL__N_124unique_dim_cuda_templateIlEESt5tupleIJNSH_6TensorESM_SM_EERKSM_lbbbEUlllE0_EEPmJS6_EEE10hipError_tPvRmT3_T4_T5_T6_T7_T9_mT8_P12ihipStream_tbDpT10_ENKUlT_T0_E_clISt17integral_constantIbLb1EES1B_IbLb0EEEEDaS17_S18_EUlS17_E_NS1_11comp_targetILNS1_3genE2ELNS1_11target_archE906ELNS1_3gpuE6ELNS1_3repE0EEENS1_30default_config_static_selectorELNS0_4arch9wavefront6targetE1EEEvT1_ ; -- Begin function _ZN7rocprim17ROCPRIM_400000_NS6detail17trampoline_kernelINS0_14default_configENS1_25partition_config_selectorILNS1_17partition_subalgoE8ElNS0_10empty_typeEbEEZZNS1_14partition_implILS5_8ELb0ES3_jPlPS6_PKS6_NS0_5tupleIJS9_S6_EEENSD_IJSA_SA_EEENS0_18inequality_wrapperIZN2at6native12_GLOBAL__N_124unique_dim_cuda_templateIlEESt5tupleIJNSH_6TensorESM_SM_EERKSM_lbbbEUlllE0_EEPmJS6_EEE10hipError_tPvRmT3_T4_T5_T6_T7_T9_mT8_P12ihipStream_tbDpT10_ENKUlT_T0_E_clISt17integral_constantIbLb1EES1B_IbLb0EEEEDaS17_S18_EUlS17_E_NS1_11comp_targetILNS1_3genE2ELNS1_11target_archE906ELNS1_3gpuE6ELNS1_3repE0EEENS1_30default_config_static_selectorELNS0_4arch9wavefront6targetE1EEEvT1_
	.p2align	8
	.type	_ZN7rocprim17ROCPRIM_400000_NS6detail17trampoline_kernelINS0_14default_configENS1_25partition_config_selectorILNS1_17partition_subalgoE8ElNS0_10empty_typeEbEEZZNS1_14partition_implILS5_8ELb0ES3_jPlPS6_PKS6_NS0_5tupleIJS9_S6_EEENSD_IJSA_SA_EEENS0_18inequality_wrapperIZN2at6native12_GLOBAL__N_124unique_dim_cuda_templateIlEESt5tupleIJNSH_6TensorESM_SM_EERKSM_lbbbEUlllE0_EEPmJS6_EEE10hipError_tPvRmT3_T4_T5_T6_T7_T9_mT8_P12ihipStream_tbDpT10_ENKUlT_T0_E_clISt17integral_constantIbLb1EES1B_IbLb0EEEEDaS17_S18_EUlS17_E_NS1_11comp_targetILNS1_3genE2ELNS1_11target_archE906ELNS1_3gpuE6ELNS1_3repE0EEENS1_30default_config_static_selectorELNS0_4arch9wavefront6targetE1EEEvT1_,@function
_ZN7rocprim17ROCPRIM_400000_NS6detail17trampoline_kernelINS0_14default_configENS1_25partition_config_selectorILNS1_17partition_subalgoE8ElNS0_10empty_typeEbEEZZNS1_14partition_implILS5_8ELb0ES3_jPlPS6_PKS6_NS0_5tupleIJS9_S6_EEENSD_IJSA_SA_EEENS0_18inequality_wrapperIZN2at6native12_GLOBAL__N_124unique_dim_cuda_templateIlEESt5tupleIJNSH_6TensorESM_SM_EERKSM_lbbbEUlllE0_EEPmJS6_EEE10hipError_tPvRmT3_T4_T5_T6_T7_T9_mT8_P12ihipStream_tbDpT10_ENKUlT_T0_E_clISt17integral_constantIbLb1EES1B_IbLb0EEEEDaS17_S18_EUlS17_E_NS1_11comp_targetILNS1_3genE2ELNS1_11target_archE906ELNS1_3gpuE6ELNS1_3repE0EEENS1_30default_config_static_selectorELNS0_4arch9wavefront6targetE1EEEvT1_: ; @_ZN7rocprim17ROCPRIM_400000_NS6detail17trampoline_kernelINS0_14default_configENS1_25partition_config_selectorILNS1_17partition_subalgoE8ElNS0_10empty_typeEbEEZZNS1_14partition_implILS5_8ELb0ES3_jPlPS6_PKS6_NS0_5tupleIJS9_S6_EEENSD_IJSA_SA_EEENS0_18inequality_wrapperIZN2at6native12_GLOBAL__N_124unique_dim_cuda_templateIlEESt5tupleIJNSH_6TensorESM_SM_EERKSM_lbbbEUlllE0_EEPmJS6_EEE10hipError_tPvRmT3_T4_T5_T6_T7_T9_mT8_P12ihipStream_tbDpT10_ENKUlT_T0_E_clISt17integral_constantIbLb1EES1B_IbLb0EEEEDaS17_S18_EUlS17_E_NS1_11comp_targetILNS1_3genE2ELNS1_11target_archE906ELNS1_3gpuE6ELNS1_3repE0EEENS1_30default_config_static_selectorELNS0_4arch9wavefront6targetE1EEEvT1_
; %bb.0:
	.section	.rodata,"a",@progbits
	.p2align	6, 0x0
	.amdhsa_kernel _ZN7rocprim17ROCPRIM_400000_NS6detail17trampoline_kernelINS0_14default_configENS1_25partition_config_selectorILNS1_17partition_subalgoE8ElNS0_10empty_typeEbEEZZNS1_14partition_implILS5_8ELb0ES3_jPlPS6_PKS6_NS0_5tupleIJS9_S6_EEENSD_IJSA_SA_EEENS0_18inequality_wrapperIZN2at6native12_GLOBAL__N_124unique_dim_cuda_templateIlEESt5tupleIJNSH_6TensorESM_SM_EERKSM_lbbbEUlllE0_EEPmJS6_EEE10hipError_tPvRmT3_T4_T5_T6_T7_T9_mT8_P12ihipStream_tbDpT10_ENKUlT_T0_E_clISt17integral_constantIbLb1EES1B_IbLb0EEEEDaS17_S18_EUlS17_E_NS1_11comp_targetILNS1_3genE2ELNS1_11target_archE906ELNS1_3gpuE6ELNS1_3repE0EEENS1_30default_config_static_selectorELNS0_4arch9wavefront6targetE1EEEvT1_
		.amdhsa_group_segment_fixed_size 0
		.amdhsa_private_segment_fixed_size 0
		.amdhsa_kernarg_size 120
		.amdhsa_user_sgpr_count 6
		.amdhsa_user_sgpr_private_segment_buffer 1
		.amdhsa_user_sgpr_dispatch_ptr 0
		.amdhsa_user_sgpr_queue_ptr 0
		.amdhsa_user_sgpr_kernarg_segment_ptr 1
		.amdhsa_user_sgpr_dispatch_id 0
		.amdhsa_user_sgpr_flat_scratch_init 0
		.amdhsa_user_sgpr_kernarg_preload_length 0
		.amdhsa_user_sgpr_kernarg_preload_offset 0
		.amdhsa_user_sgpr_private_segment_size 0
		.amdhsa_uses_dynamic_stack 0
		.amdhsa_system_sgpr_private_segment_wavefront_offset 0
		.amdhsa_system_sgpr_workgroup_id_x 1
		.amdhsa_system_sgpr_workgroup_id_y 0
		.amdhsa_system_sgpr_workgroup_id_z 0
		.amdhsa_system_sgpr_workgroup_info 0
		.amdhsa_system_vgpr_workitem_id 0
		.amdhsa_next_free_vgpr 1
		.amdhsa_next_free_sgpr 0
		.amdhsa_accum_offset 4
		.amdhsa_reserve_vcc 0
		.amdhsa_reserve_flat_scratch 0
		.amdhsa_float_round_mode_32 0
		.amdhsa_float_round_mode_16_64 0
		.amdhsa_float_denorm_mode_32 3
		.amdhsa_float_denorm_mode_16_64 3
		.amdhsa_dx10_clamp 1
		.amdhsa_ieee_mode 1
		.amdhsa_fp16_overflow 0
		.amdhsa_tg_split 0
		.amdhsa_exception_fp_ieee_invalid_op 0
		.amdhsa_exception_fp_denorm_src 0
		.amdhsa_exception_fp_ieee_div_zero 0
		.amdhsa_exception_fp_ieee_overflow 0
		.amdhsa_exception_fp_ieee_underflow 0
		.amdhsa_exception_fp_ieee_inexact 0
		.amdhsa_exception_int_div_zero 0
	.end_amdhsa_kernel
	.section	.text._ZN7rocprim17ROCPRIM_400000_NS6detail17trampoline_kernelINS0_14default_configENS1_25partition_config_selectorILNS1_17partition_subalgoE8ElNS0_10empty_typeEbEEZZNS1_14partition_implILS5_8ELb0ES3_jPlPS6_PKS6_NS0_5tupleIJS9_S6_EEENSD_IJSA_SA_EEENS0_18inequality_wrapperIZN2at6native12_GLOBAL__N_124unique_dim_cuda_templateIlEESt5tupleIJNSH_6TensorESM_SM_EERKSM_lbbbEUlllE0_EEPmJS6_EEE10hipError_tPvRmT3_T4_T5_T6_T7_T9_mT8_P12ihipStream_tbDpT10_ENKUlT_T0_E_clISt17integral_constantIbLb1EES1B_IbLb0EEEEDaS17_S18_EUlS17_E_NS1_11comp_targetILNS1_3genE2ELNS1_11target_archE906ELNS1_3gpuE6ELNS1_3repE0EEENS1_30default_config_static_selectorELNS0_4arch9wavefront6targetE1EEEvT1_,"axG",@progbits,_ZN7rocprim17ROCPRIM_400000_NS6detail17trampoline_kernelINS0_14default_configENS1_25partition_config_selectorILNS1_17partition_subalgoE8ElNS0_10empty_typeEbEEZZNS1_14partition_implILS5_8ELb0ES3_jPlPS6_PKS6_NS0_5tupleIJS9_S6_EEENSD_IJSA_SA_EEENS0_18inequality_wrapperIZN2at6native12_GLOBAL__N_124unique_dim_cuda_templateIlEESt5tupleIJNSH_6TensorESM_SM_EERKSM_lbbbEUlllE0_EEPmJS6_EEE10hipError_tPvRmT3_T4_T5_T6_T7_T9_mT8_P12ihipStream_tbDpT10_ENKUlT_T0_E_clISt17integral_constantIbLb1EES1B_IbLb0EEEEDaS17_S18_EUlS17_E_NS1_11comp_targetILNS1_3genE2ELNS1_11target_archE906ELNS1_3gpuE6ELNS1_3repE0EEENS1_30default_config_static_selectorELNS0_4arch9wavefront6targetE1EEEvT1_,comdat
.Lfunc_end583:
	.size	_ZN7rocprim17ROCPRIM_400000_NS6detail17trampoline_kernelINS0_14default_configENS1_25partition_config_selectorILNS1_17partition_subalgoE8ElNS0_10empty_typeEbEEZZNS1_14partition_implILS5_8ELb0ES3_jPlPS6_PKS6_NS0_5tupleIJS9_S6_EEENSD_IJSA_SA_EEENS0_18inequality_wrapperIZN2at6native12_GLOBAL__N_124unique_dim_cuda_templateIlEESt5tupleIJNSH_6TensorESM_SM_EERKSM_lbbbEUlllE0_EEPmJS6_EEE10hipError_tPvRmT3_T4_T5_T6_T7_T9_mT8_P12ihipStream_tbDpT10_ENKUlT_T0_E_clISt17integral_constantIbLb1EES1B_IbLb0EEEEDaS17_S18_EUlS17_E_NS1_11comp_targetILNS1_3genE2ELNS1_11target_archE906ELNS1_3gpuE6ELNS1_3repE0EEENS1_30default_config_static_selectorELNS0_4arch9wavefront6targetE1EEEvT1_, .Lfunc_end583-_ZN7rocprim17ROCPRIM_400000_NS6detail17trampoline_kernelINS0_14default_configENS1_25partition_config_selectorILNS1_17partition_subalgoE8ElNS0_10empty_typeEbEEZZNS1_14partition_implILS5_8ELb0ES3_jPlPS6_PKS6_NS0_5tupleIJS9_S6_EEENSD_IJSA_SA_EEENS0_18inequality_wrapperIZN2at6native12_GLOBAL__N_124unique_dim_cuda_templateIlEESt5tupleIJNSH_6TensorESM_SM_EERKSM_lbbbEUlllE0_EEPmJS6_EEE10hipError_tPvRmT3_T4_T5_T6_T7_T9_mT8_P12ihipStream_tbDpT10_ENKUlT_T0_E_clISt17integral_constantIbLb1EES1B_IbLb0EEEEDaS17_S18_EUlS17_E_NS1_11comp_targetILNS1_3genE2ELNS1_11target_archE906ELNS1_3gpuE6ELNS1_3repE0EEENS1_30default_config_static_selectorELNS0_4arch9wavefront6targetE1EEEvT1_
                                        ; -- End function
	.section	.AMDGPU.csdata,"",@progbits
; Kernel info:
; codeLenInByte = 0
; NumSgprs: 4
; NumVgprs: 0
; NumAgprs: 0
; TotalNumVgprs: 0
; ScratchSize: 0
; MemoryBound: 0
; FloatMode: 240
; IeeeMode: 1
; LDSByteSize: 0 bytes/workgroup (compile time only)
; SGPRBlocks: 0
; VGPRBlocks: 0
; NumSGPRsForWavesPerEU: 4
; NumVGPRsForWavesPerEU: 1
; AccumOffset: 4
; Occupancy: 8
; WaveLimiterHint : 0
; COMPUTE_PGM_RSRC2:SCRATCH_EN: 0
; COMPUTE_PGM_RSRC2:USER_SGPR: 6
; COMPUTE_PGM_RSRC2:TRAP_HANDLER: 0
; COMPUTE_PGM_RSRC2:TGID_X_EN: 1
; COMPUTE_PGM_RSRC2:TGID_Y_EN: 0
; COMPUTE_PGM_RSRC2:TGID_Z_EN: 0
; COMPUTE_PGM_RSRC2:TIDIG_COMP_CNT: 0
; COMPUTE_PGM_RSRC3_GFX90A:ACCUM_OFFSET: 0
; COMPUTE_PGM_RSRC3_GFX90A:TG_SPLIT: 0
	.section	.text._ZN7rocprim17ROCPRIM_400000_NS6detail17trampoline_kernelINS0_14default_configENS1_25partition_config_selectorILNS1_17partition_subalgoE8ElNS0_10empty_typeEbEEZZNS1_14partition_implILS5_8ELb0ES3_jPlPS6_PKS6_NS0_5tupleIJS9_S6_EEENSD_IJSA_SA_EEENS0_18inequality_wrapperIZN2at6native12_GLOBAL__N_124unique_dim_cuda_templateIlEESt5tupleIJNSH_6TensorESM_SM_EERKSM_lbbbEUlllE0_EEPmJS6_EEE10hipError_tPvRmT3_T4_T5_T6_T7_T9_mT8_P12ihipStream_tbDpT10_ENKUlT_T0_E_clISt17integral_constantIbLb1EES1B_IbLb0EEEEDaS17_S18_EUlS17_E_NS1_11comp_targetILNS1_3genE10ELNS1_11target_archE1200ELNS1_3gpuE4ELNS1_3repE0EEENS1_30default_config_static_selectorELNS0_4arch9wavefront6targetE1EEEvT1_,"axG",@progbits,_ZN7rocprim17ROCPRIM_400000_NS6detail17trampoline_kernelINS0_14default_configENS1_25partition_config_selectorILNS1_17partition_subalgoE8ElNS0_10empty_typeEbEEZZNS1_14partition_implILS5_8ELb0ES3_jPlPS6_PKS6_NS0_5tupleIJS9_S6_EEENSD_IJSA_SA_EEENS0_18inequality_wrapperIZN2at6native12_GLOBAL__N_124unique_dim_cuda_templateIlEESt5tupleIJNSH_6TensorESM_SM_EERKSM_lbbbEUlllE0_EEPmJS6_EEE10hipError_tPvRmT3_T4_T5_T6_T7_T9_mT8_P12ihipStream_tbDpT10_ENKUlT_T0_E_clISt17integral_constantIbLb1EES1B_IbLb0EEEEDaS17_S18_EUlS17_E_NS1_11comp_targetILNS1_3genE10ELNS1_11target_archE1200ELNS1_3gpuE4ELNS1_3repE0EEENS1_30default_config_static_selectorELNS0_4arch9wavefront6targetE1EEEvT1_,comdat
	.globl	_ZN7rocprim17ROCPRIM_400000_NS6detail17trampoline_kernelINS0_14default_configENS1_25partition_config_selectorILNS1_17partition_subalgoE8ElNS0_10empty_typeEbEEZZNS1_14partition_implILS5_8ELb0ES3_jPlPS6_PKS6_NS0_5tupleIJS9_S6_EEENSD_IJSA_SA_EEENS0_18inequality_wrapperIZN2at6native12_GLOBAL__N_124unique_dim_cuda_templateIlEESt5tupleIJNSH_6TensorESM_SM_EERKSM_lbbbEUlllE0_EEPmJS6_EEE10hipError_tPvRmT3_T4_T5_T6_T7_T9_mT8_P12ihipStream_tbDpT10_ENKUlT_T0_E_clISt17integral_constantIbLb1EES1B_IbLb0EEEEDaS17_S18_EUlS17_E_NS1_11comp_targetILNS1_3genE10ELNS1_11target_archE1200ELNS1_3gpuE4ELNS1_3repE0EEENS1_30default_config_static_selectorELNS0_4arch9wavefront6targetE1EEEvT1_ ; -- Begin function _ZN7rocprim17ROCPRIM_400000_NS6detail17trampoline_kernelINS0_14default_configENS1_25partition_config_selectorILNS1_17partition_subalgoE8ElNS0_10empty_typeEbEEZZNS1_14partition_implILS5_8ELb0ES3_jPlPS6_PKS6_NS0_5tupleIJS9_S6_EEENSD_IJSA_SA_EEENS0_18inequality_wrapperIZN2at6native12_GLOBAL__N_124unique_dim_cuda_templateIlEESt5tupleIJNSH_6TensorESM_SM_EERKSM_lbbbEUlllE0_EEPmJS6_EEE10hipError_tPvRmT3_T4_T5_T6_T7_T9_mT8_P12ihipStream_tbDpT10_ENKUlT_T0_E_clISt17integral_constantIbLb1EES1B_IbLb0EEEEDaS17_S18_EUlS17_E_NS1_11comp_targetILNS1_3genE10ELNS1_11target_archE1200ELNS1_3gpuE4ELNS1_3repE0EEENS1_30default_config_static_selectorELNS0_4arch9wavefront6targetE1EEEvT1_
	.p2align	8
	.type	_ZN7rocprim17ROCPRIM_400000_NS6detail17trampoline_kernelINS0_14default_configENS1_25partition_config_selectorILNS1_17partition_subalgoE8ElNS0_10empty_typeEbEEZZNS1_14partition_implILS5_8ELb0ES3_jPlPS6_PKS6_NS0_5tupleIJS9_S6_EEENSD_IJSA_SA_EEENS0_18inequality_wrapperIZN2at6native12_GLOBAL__N_124unique_dim_cuda_templateIlEESt5tupleIJNSH_6TensorESM_SM_EERKSM_lbbbEUlllE0_EEPmJS6_EEE10hipError_tPvRmT3_T4_T5_T6_T7_T9_mT8_P12ihipStream_tbDpT10_ENKUlT_T0_E_clISt17integral_constantIbLb1EES1B_IbLb0EEEEDaS17_S18_EUlS17_E_NS1_11comp_targetILNS1_3genE10ELNS1_11target_archE1200ELNS1_3gpuE4ELNS1_3repE0EEENS1_30default_config_static_selectorELNS0_4arch9wavefront6targetE1EEEvT1_,@function
_ZN7rocprim17ROCPRIM_400000_NS6detail17trampoline_kernelINS0_14default_configENS1_25partition_config_selectorILNS1_17partition_subalgoE8ElNS0_10empty_typeEbEEZZNS1_14partition_implILS5_8ELb0ES3_jPlPS6_PKS6_NS0_5tupleIJS9_S6_EEENSD_IJSA_SA_EEENS0_18inequality_wrapperIZN2at6native12_GLOBAL__N_124unique_dim_cuda_templateIlEESt5tupleIJNSH_6TensorESM_SM_EERKSM_lbbbEUlllE0_EEPmJS6_EEE10hipError_tPvRmT3_T4_T5_T6_T7_T9_mT8_P12ihipStream_tbDpT10_ENKUlT_T0_E_clISt17integral_constantIbLb1EES1B_IbLb0EEEEDaS17_S18_EUlS17_E_NS1_11comp_targetILNS1_3genE10ELNS1_11target_archE1200ELNS1_3gpuE4ELNS1_3repE0EEENS1_30default_config_static_selectorELNS0_4arch9wavefront6targetE1EEEvT1_: ; @_ZN7rocprim17ROCPRIM_400000_NS6detail17trampoline_kernelINS0_14default_configENS1_25partition_config_selectorILNS1_17partition_subalgoE8ElNS0_10empty_typeEbEEZZNS1_14partition_implILS5_8ELb0ES3_jPlPS6_PKS6_NS0_5tupleIJS9_S6_EEENSD_IJSA_SA_EEENS0_18inequality_wrapperIZN2at6native12_GLOBAL__N_124unique_dim_cuda_templateIlEESt5tupleIJNSH_6TensorESM_SM_EERKSM_lbbbEUlllE0_EEPmJS6_EEE10hipError_tPvRmT3_T4_T5_T6_T7_T9_mT8_P12ihipStream_tbDpT10_ENKUlT_T0_E_clISt17integral_constantIbLb1EES1B_IbLb0EEEEDaS17_S18_EUlS17_E_NS1_11comp_targetILNS1_3genE10ELNS1_11target_archE1200ELNS1_3gpuE4ELNS1_3repE0EEENS1_30default_config_static_selectorELNS0_4arch9wavefront6targetE1EEEvT1_
; %bb.0:
	.section	.rodata,"a",@progbits
	.p2align	6, 0x0
	.amdhsa_kernel _ZN7rocprim17ROCPRIM_400000_NS6detail17trampoline_kernelINS0_14default_configENS1_25partition_config_selectorILNS1_17partition_subalgoE8ElNS0_10empty_typeEbEEZZNS1_14partition_implILS5_8ELb0ES3_jPlPS6_PKS6_NS0_5tupleIJS9_S6_EEENSD_IJSA_SA_EEENS0_18inequality_wrapperIZN2at6native12_GLOBAL__N_124unique_dim_cuda_templateIlEESt5tupleIJNSH_6TensorESM_SM_EERKSM_lbbbEUlllE0_EEPmJS6_EEE10hipError_tPvRmT3_T4_T5_T6_T7_T9_mT8_P12ihipStream_tbDpT10_ENKUlT_T0_E_clISt17integral_constantIbLb1EES1B_IbLb0EEEEDaS17_S18_EUlS17_E_NS1_11comp_targetILNS1_3genE10ELNS1_11target_archE1200ELNS1_3gpuE4ELNS1_3repE0EEENS1_30default_config_static_selectorELNS0_4arch9wavefront6targetE1EEEvT1_
		.amdhsa_group_segment_fixed_size 0
		.amdhsa_private_segment_fixed_size 0
		.amdhsa_kernarg_size 120
		.amdhsa_user_sgpr_count 6
		.amdhsa_user_sgpr_private_segment_buffer 1
		.amdhsa_user_sgpr_dispatch_ptr 0
		.amdhsa_user_sgpr_queue_ptr 0
		.amdhsa_user_sgpr_kernarg_segment_ptr 1
		.amdhsa_user_sgpr_dispatch_id 0
		.amdhsa_user_sgpr_flat_scratch_init 0
		.amdhsa_user_sgpr_kernarg_preload_length 0
		.amdhsa_user_sgpr_kernarg_preload_offset 0
		.amdhsa_user_sgpr_private_segment_size 0
		.amdhsa_uses_dynamic_stack 0
		.amdhsa_system_sgpr_private_segment_wavefront_offset 0
		.amdhsa_system_sgpr_workgroup_id_x 1
		.amdhsa_system_sgpr_workgroup_id_y 0
		.amdhsa_system_sgpr_workgroup_id_z 0
		.amdhsa_system_sgpr_workgroup_info 0
		.amdhsa_system_vgpr_workitem_id 0
		.amdhsa_next_free_vgpr 1
		.amdhsa_next_free_sgpr 0
		.amdhsa_accum_offset 4
		.amdhsa_reserve_vcc 0
		.amdhsa_reserve_flat_scratch 0
		.amdhsa_float_round_mode_32 0
		.amdhsa_float_round_mode_16_64 0
		.amdhsa_float_denorm_mode_32 3
		.amdhsa_float_denorm_mode_16_64 3
		.amdhsa_dx10_clamp 1
		.amdhsa_ieee_mode 1
		.amdhsa_fp16_overflow 0
		.amdhsa_tg_split 0
		.amdhsa_exception_fp_ieee_invalid_op 0
		.amdhsa_exception_fp_denorm_src 0
		.amdhsa_exception_fp_ieee_div_zero 0
		.amdhsa_exception_fp_ieee_overflow 0
		.amdhsa_exception_fp_ieee_underflow 0
		.amdhsa_exception_fp_ieee_inexact 0
		.amdhsa_exception_int_div_zero 0
	.end_amdhsa_kernel
	.section	.text._ZN7rocprim17ROCPRIM_400000_NS6detail17trampoline_kernelINS0_14default_configENS1_25partition_config_selectorILNS1_17partition_subalgoE8ElNS0_10empty_typeEbEEZZNS1_14partition_implILS5_8ELb0ES3_jPlPS6_PKS6_NS0_5tupleIJS9_S6_EEENSD_IJSA_SA_EEENS0_18inequality_wrapperIZN2at6native12_GLOBAL__N_124unique_dim_cuda_templateIlEESt5tupleIJNSH_6TensorESM_SM_EERKSM_lbbbEUlllE0_EEPmJS6_EEE10hipError_tPvRmT3_T4_T5_T6_T7_T9_mT8_P12ihipStream_tbDpT10_ENKUlT_T0_E_clISt17integral_constantIbLb1EES1B_IbLb0EEEEDaS17_S18_EUlS17_E_NS1_11comp_targetILNS1_3genE10ELNS1_11target_archE1200ELNS1_3gpuE4ELNS1_3repE0EEENS1_30default_config_static_selectorELNS0_4arch9wavefront6targetE1EEEvT1_,"axG",@progbits,_ZN7rocprim17ROCPRIM_400000_NS6detail17trampoline_kernelINS0_14default_configENS1_25partition_config_selectorILNS1_17partition_subalgoE8ElNS0_10empty_typeEbEEZZNS1_14partition_implILS5_8ELb0ES3_jPlPS6_PKS6_NS0_5tupleIJS9_S6_EEENSD_IJSA_SA_EEENS0_18inequality_wrapperIZN2at6native12_GLOBAL__N_124unique_dim_cuda_templateIlEESt5tupleIJNSH_6TensorESM_SM_EERKSM_lbbbEUlllE0_EEPmJS6_EEE10hipError_tPvRmT3_T4_T5_T6_T7_T9_mT8_P12ihipStream_tbDpT10_ENKUlT_T0_E_clISt17integral_constantIbLb1EES1B_IbLb0EEEEDaS17_S18_EUlS17_E_NS1_11comp_targetILNS1_3genE10ELNS1_11target_archE1200ELNS1_3gpuE4ELNS1_3repE0EEENS1_30default_config_static_selectorELNS0_4arch9wavefront6targetE1EEEvT1_,comdat
.Lfunc_end584:
	.size	_ZN7rocprim17ROCPRIM_400000_NS6detail17trampoline_kernelINS0_14default_configENS1_25partition_config_selectorILNS1_17partition_subalgoE8ElNS0_10empty_typeEbEEZZNS1_14partition_implILS5_8ELb0ES3_jPlPS6_PKS6_NS0_5tupleIJS9_S6_EEENSD_IJSA_SA_EEENS0_18inequality_wrapperIZN2at6native12_GLOBAL__N_124unique_dim_cuda_templateIlEESt5tupleIJNSH_6TensorESM_SM_EERKSM_lbbbEUlllE0_EEPmJS6_EEE10hipError_tPvRmT3_T4_T5_T6_T7_T9_mT8_P12ihipStream_tbDpT10_ENKUlT_T0_E_clISt17integral_constantIbLb1EES1B_IbLb0EEEEDaS17_S18_EUlS17_E_NS1_11comp_targetILNS1_3genE10ELNS1_11target_archE1200ELNS1_3gpuE4ELNS1_3repE0EEENS1_30default_config_static_selectorELNS0_4arch9wavefront6targetE1EEEvT1_, .Lfunc_end584-_ZN7rocprim17ROCPRIM_400000_NS6detail17trampoline_kernelINS0_14default_configENS1_25partition_config_selectorILNS1_17partition_subalgoE8ElNS0_10empty_typeEbEEZZNS1_14partition_implILS5_8ELb0ES3_jPlPS6_PKS6_NS0_5tupleIJS9_S6_EEENSD_IJSA_SA_EEENS0_18inequality_wrapperIZN2at6native12_GLOBAL__N_124unique_dim_cuda_templateIlEESt5tupleIJNSH_6TensorESM_SM_EERKSM_lbbbEUlllE0_EEPmJS6_EEE10hipError_tPvRmT3_T4_T5_T6_T7_T9_mT8_P12ihipStream_tbDpT10_ENKUlT_T0_E_clISt17integral_constantIbLb1EES1B_IbLb0EEEEDaS17_S18_EUlS17_E_NS1_11comp_targetILNS1_3genE10ELNS1_11target_archE1200ELNS1_3gpuE4ELNS1_3repE0EEENS1_30default_config_static_selectorELNS0_4arch9wavefront6targetE1EEEvT1_
                                        ; -- End function
	.section	.AMDGPU.csdata,"",@progbits
; Kernel info:
; codeLenInByte = 0
; NumSgprs: 4
; NumVgprs: 0
; NumAgprs: 0
; TotalNumVgprs: 0
; ScratchSize: 0
; MemoryBound: 0
; FloatMode: 240
; IeeeMode: 1
; LDSByteSize: 0 bytes/workgroup (compile time only)
; SGPRBlocks: 0
; VGPRBlocks: 0
; NumSGPRsForWavesPerEU: 4
; NumVGPRsForWavesPerEU: 1
; AccumOffset: 4
; Occupancy: 8
; WaveLimiterHint : 0
; COMPUTE_PGM_RSRC2:SCRATCH_EN: 0
; COMPUTE_PGM_RSRC2:USER_SGPR: 6
; COMPUTE_PGM_RSRC2:TRAP_HANDLER: 0
; COMPUTE_PGM_RSRC2:TGID_X_EN: 1
; COMPUTE_PGM_RSRC2:TGID_Y_EN: 0
; COMPUTE_PGM_RSRC2:TGID_Z_EN: 0
; COMPUTE_PGM_RSRC2:TIDIG_COMP_CNT: 0
; COMPUTE_PGM_RSRC3_GFX90A:ACCUM_OFFSET: 0
; COMPUTE_PGM_RSRC3_GFX90A:TG_SPLIT: 0
	.section	.text._ZN7rocprim17ROCPRIM_400000_NS6detail17trampoline_kernelINS0_14default_configENS1_25partition_config_selectorILNS1_17partition_subalgoE8ElNS0_10empty_typeEbEEZZNS1_14partition_implILS5_8ELb0ES3_jPlPS6_PKS6_NS0_5tupleIJS9_S6_EEENSD_IJSA_SA_EEENS0_18inequality_wrapperIZN2at6native12_GLOBAL__N_124unique_dim_cuda_templateIlEESt5tupleIJNSH_6TensorESM_SM_EERKSM_lbbbEUlllE0_EEPmJS6_EEE10hipError_tPvRmT3_T4_T5_T6_T7_T9_mT8_P12ihipStream_tbDpT10_ENKUlT_T0_E_clISt17integral_constantIbLb1EES1B_IbLb0EEEEDaS17_S18_EUlS17_E_NS1_11comp_targetILNS1_3genE9ELNS1_11target_archE1100ELNS1_3gpuE3ELNS1_3repE0EEENS1_30default_config_static_selectorELNS0_4arch9wavefront6targetE1EEEvT1_,"axG",@progbits,_ZN7rocprim17ROCPRIM_400000_NS6detail17trampoline_kernelINS0_14default_configENS1_25partition_config_selectorILNS1_17partition_subalgoE8ElNS0_10empty_typeEbEEZZNS1_14partition_implILS5_8ELb0ES3_jPlPS6_PKS6_NS0_5tupleIJS9_S6_EEENSD_IJSA_SA_EEENS0_18inequality_wrapperIZN2at6native12_GLOBAL__N_124unique_dim_cuda_templateIlEESt5tupleIJNSH_6TensorESM_SM_EERKSM_lbbbEUlllE0_EEPmJS6_EEE10hipError_tPvRmT3_T4_T5_T6_T7_T9_mT8_P12ihipStream_tbDpT10_ENKUlT_T0_E_clISt17integral_constantIbLb1EES1B_IbLb0EEEEDaS17_S18_EUlS17_E_NS1_11comp_targetILNS1_3genE9ELNS1_11target_archE1100ELNS1_3gpuE3ELNS1_3repE0EEENS1_30default_config_static_selectorELNS0_4arch9wavefront6targetE1EEEvT1_,comdat
	.globl	_ZN7rocprim17ROCPRIM_400000_NS6detail17trampoline_kernelINS0_14default_configENS1_25partition_config_selectorILNS1_17partition_subalgoE8ElNS0_10empty_typeEbEEZZNS1_14partition_implILS5_8ELb0ES3_jPlPS6_PKS6_NS0_5tupleIJS9_S6_EEENSD_IJSA_SA_EEENS0_18inequality_wrapperIZN2at6native12_GLOBAL__N_124unique_dim_cuda_templateIlEESt5tupleIJNSH_6TensorESM_SM_EERKSM_lbbbEUlllE0_EEPmJS6_EEE10hipError_tPvRmT3_T4_T5_T6_T7_T9_mT8_P12ihipStream_tbDpT10_ENKUlT_T0_E_clISt17integral_constantIbLb1EES1B_IbLb0EEEEDaS17_S18_EUlS17_E_NS1_11comp_targetILNS1_3genE9ELNS1_11target_archE1100ELNS1_3gpuE3ELNS1_3repE0EEENS1_30default_config_static_selectorELNS0_4arch9wavefront6targetE1EEEvT1_ ; -- Begin function _ZN7rocprim17ROCPRIM_400000_NS6detail17trampoline_kernelINS0_14default_configENS1_25partition_config_selectorILNS1_17partition_subalgoE8ElNS0_10empty_typeEbEEZZNS1_14partition_implILS5_8ELb0ES3_jPlPS6_PKS6_NS0_5tupleIJS9_S6_EEENSD_IJSA_SA_EEENS0_18inequality_wrapperIZN2at6native12_GLOBAL__N_124unique_dim_cuda_templateIlEESt5tupleIJNSH_6TensorESM_SM_EERKSM_lbbbEUlllE0_EEPmJS6_EEE10hipError_tPvRmT3_T4_T5_T6_T7_T9_mT8_P12ihipStream_tbDpT10_ENKUlT_T0_E_clISt17integral_constantIbLb1EES1B_IbLb0EEEEDaS17_S18_EUlS17_E_NS1_11comp_targetILNS1_3genE9ELNS1_11target_archE1100ELNS1_3gpuE3ELNS1_3repE0EEENS1_30default_config_static_selectorELNS0_4arch9wavefront6targetE1EEEvT1_
	.p2align	8
	.type	_ZN7rocprim17ROCPRIM_400000_NS6detail17trampoline_kernelINS0_14default_configENS1_25partition_config_selectorILNS1_17partition_subalgoE8ElNS0_10empty_typeEbEEZZNS1_14partition_implILS5_8ELb0ES3_jPlPS6_PKS6_NS0_5tupleIJS9_S6_EEENSD_IJSA_SA_EEENS0_18inequality_wrapperIZN2at6native12_GLOBAL__N_124unique_dim_cuda_templateIlEESt5tupleIJNSH_6TensorESM_SM_EERKSM_lbbbEUlllE0_EEPmJS6_EEE10hipError_tPvRmT3_T4_T5_T6_T7_T9_mT8_P12ihipStream_tbDpT10_ENKUlT_T0_E_clISt17integral_constantIbLb1EES1B_IbLb0EEEEDaS17_S18_EUlS17_E_NS1_11comp_targetILNS1_3genE9ELNS1_11target_archE1100ELNS1_3gpuE3ELNS1_3repE0EEENS1_30default_config_static_selectorELNS0_4arch9wavefront6targetE1EEEvT1_,@function
_ZN7rocprim17ROCPRIM_400000_NS6detail17trampoline_kernelINS0_14default_configENS1_25partition_config_selectorILNS1_17partition_subalgoE8ElNS0_10empty_typeEbEEZZNS1_14partition_implILS5_8ELb0ES3_jPlPS6_PKS6_NS0_5tupleIJS9_S6_EEENSD_IJSA_SA_EEENS0_18inequality_wrapperIZN2at6native12_GLOBAL__N_124unique_dim_cuda_templateIlEESt5tupleIJNSH_6TensorESM_SM_EERKSM_lbbbEUlllE0_EEPmJS6_EEE10hipError_tPvRmT3_T4_T5_T6_T7_T9_mT8_P12ihipStream_tbDpT10_ENKUlT_T0_E_clISt17integral_constantIbLb1EES1B_IbLb0EEEEDaS17_S18_EUlS17_E_NS1_11comp_targetILNS1_3genE9ELNS1_11target_archE1100ELNS1_3gpuE3ELNS1_3repE0EEENS1_30default_config_static_selectorELNS0_4arch9wavefront6targetE1EEEvT1_: ; @_ZN7rocprim17ROCPRIM_400000_NS6detail17trampoline_kernelINS0_14default_configENS1_25partition_config_selectorILNS1_17partition_subalgoE8ElNS0_10empty_typeEbEEZZNS1_14partition_implILS5_8ELb0ES3_jPlPS6_PKS6_NS0_5tupleIJS9_S6_EEENSD_IJSA_SA_EEENS0_18inequality_wrapperIZN2at6native12_GLOBAL__N_124unique_dim_cuda_templateIlEESt5tupleIJNSH_6TensorESM_SM_EERKSM_lbbbEUlllE0_EEPmJS6_EEE10hipError_tPvRmT3_T4_T5_T6_T7_T9_mT8_P12ihipStream_tbDpT10_ENKUlT_T0_E_clISt17integral_constantIbLb1EES1B_IbLb0EEEEDaS17_S18_EUlS17_E_NS1_11comp_targetILNS1_3genE9ELNS1_11target_archE1100ELNS1_3gpuE3ELNS1_3repE0EEENS1_30default_config_static_selectorELNS0_4arch9wavefront6targetE1EEEvT1_
; %bb.0:
	.section	.rodata,"a",@progbits
	.p2align	6, 0x0
	.amdhsa_kernel _ZN7rocprim17ROCPRIM_400000_NS6detail17trampoline_kernelINS0_14default_configENS1_25partition_config_selectorILNS1_17partition_subalgoE8ElNS0_10empty_typeEbEEZZNS1_14partition_implILS5_8ELb0ES3_jPlPS6_PKS6_NS0_5tupleIJS9_S6_EEENSD_IJSA_SA_EEENS0_18inequality_wrapperIZN2at6native12_GLOBAL__N_124unique_dim_cuda_templateIlEESt5tupleIJNSH_6TensorESM_SM_EERKSM_lbbbEUlllE0_EEPmJS6_EEE10hipError_tPvRmT3_T4_T5_T6_T7_T9_mT8_P12ihipStream_tbDpT10_ENKUlT_T0_E_clISt17integral_constantIbLb1EES1B_IbLb0EEEEDaS17_S18_EUlS17_E_NS1_11comp_targetILNS1_3genE9ELNS1_11target_archE1100ELNS1_3gpuE3ELNS1_3repE0EEENS1_30default_config_static_selectorELNS0_4arch9wavefront6targetE1EEEvT1_
		.amdhsa_group_segment_fixed_size 0
		.amdhsa_private_segment_fixed_size 0
		.amdhsa_kernarg_size 120
		.amdhsa_user_sgpr_count 6
		.amdhsa_user_sgpr_private_segment_buffer 1
		.amdhsa_user_sgpr_dispatch_ptr 0
		.amdhsa_user_sgpr_queue_ptr 0
		.amdhsa_user_sgpr_kernarg_segment_ptr 1
		.amdhsa_user_sgpr_dispatch_id 0
		.amdhsa_user_sgpr_flat_scratch_init 0
		.amdhsa_user_sgpr_kernarg_preload_length 0
		.amdhsa_user_sgpr_kernarg_preload_offset 0
		.amdhsa_user_sgpr_private_segment_size 0
		.amdhsa_uses_dynamic_stack 0
		.amdhsa_system_sgpr_private_segment_wavefront_offset 0
		.amdhsa_system_sgpr_workgroup_id_x 1
		.amdhsa_system_sgpr_workgroup_id_y 0
		.amdhsa_system_sgpr_workgroup_id_z 0
		.amdhsa_system_sgpr_workgroup_info 0
		.amdhsa_system_vgpr_workitem_id 0
		.amdhsa_next_free_vgpr 1
		.amdhsa_next_free_sgpr 0
		.amdhsa_accum_offset 4
		.amdhsa_reserve_vcc 0
		.amdhsa_reserve_flat_scratch 0
		.amdhsa_float_round_mode_32 0
		.amdhsa_float_round_mode_16_64 0
		.amdhsa_float_denorm_mode_32 3
		.amdhsa_float_denorm_mode_16_64 3
		.amdhsa_dx10_clamp 1
		.amdhsa_ieee_mode 1
		.amdhsa_fp16_overflow 0
		.amdhsa_tg_split 0
		.amdhsa_exception_fp_ieee_invalid_op 0
		.amdhsa_exception_fp_denorm_src 0
		.amdhsa_exception_fp_ieee_div_zero 0
		.amdhsa_exception_fp_ieee_overflow 0
		.amdhsa_exception_fp_ieee_underflow 0
		.amdhsa_exception_fp_ieee_inexact 0
		.amdhsa_exception_int_div_zero 0
	.end_amdhsa_kernel
	.section	.text._ZN7rocprim17ROCPRIM_400000_NS6detail17trampoline_kernelINS0_14default_configENS1_25partition_config_selectorILNS1_17partition_subalgoE8ElNS0_10empty_typeEbEEZZNS1_14partition_implILS5_8ELb0ES3_jPlPS6_PKS6_NS0_5tupleIJS9_S6_EEENSD_IJSA_SA_EEENS0_18inequality_wrapperIZN2at6native12_GLOBAL__N_124unique_dim_cuda_templateIlEESt5tupleIJNSH_6TensorESM_SM_EERKSM_lbbbEUlllE0_EEPmJS6_EEE10hipError_tPvRmT3_T4_T5_T6_T7_T9_mT8_P12ihipStream_tbDpT10_ENKUlT_T0_E_clISt17integral_constantIbLb1EES1B_IbLb0EEEEDaS17_S18_EUlS17_E_NS1_11comp_targetILNS1_3genE9ELNS1_11target_archE1100ELNS1_3gpuE3ELNS1_3repE0EEENS1_30default_config_static_selectorELNS0_4arch9wavefront6targetE1EEEvT1_,"axG",@progbits,_ZN7rocprim17ROCPRIM_400000_NS6detail17trampoline_kernelINS0_14default_configENS1_25partition_config_selectorILNS1_17partition_subalgoE8ElNS0_10empty_typeEbEEZZNS1_14partition_implILS5_8ELb0ES3_jPlPS6_PKS6_NS0_5tupleIJS9_S6_EEENSD_IJSA_SA_EEENS0_18inequality_wrapperIZN2at6native12_GLOBAL__N_124unique_dim_cuda_templateIlEESt5tupleIJNSH_6TensorESM_SM_EERKSM_lbbbEUlllE0_EEPmJS6_EEE10hipError_tPvRmT3_T4_T5_T6_T7_T9_mT8_P12ihipStream_tbDpT10_ENKUlT_T0_E_clISt17integral_constantIbLb1EES1B_IbLb0EEEEDaS17_S18_EUlS17_E_NS1_11comp_targetILNS1_3genE9ELNS1_11target_archE1100ELNS1_3gpuE3ELNS1_3repE0EEENS1_30default_config_static_selectorELNS0_4arch9wavefront6targetE1EEEvT1_,comdat
.Lfunc_end585:
	.size	_ZN7rocprim17ROCPRIM_400000_NS6detail17trampoline_kernelINS0_14default_configENS1_25partition_config_selectorILNS1_17partition_subalgoE8ElNS0_10empty_typeEbEEZZNS1_14partition_implILS5_8ELb0ES3_jPlPS6_PKS6_NS0_5tupleIJS9_S6_EEENSD_IJSA_SA_EEENS0_18inequality_wrapperIZN2at6native12_GLOBAL__N_124unique_dim_cuda_templateIlEESt5tupleIJNSH_6TensorESM_SM_EERKSM_lbbbEUlllE0_EEPmJS6_EEE10hipError_tPvRmT3_T4_T5_T6_T7_T9_mT8_P12ihipStream_tbDpT10_ENKUlT_T0_E_clISt17integral_constantIbLb1EES1B_IbLb0EEEEDaS17_S18_EUlS17_E_NS1_11comp_targetILNS1_3genE9ELNS1_11target_archE1100ELNS1_3gpuE3ELNS1_3repE0EEENS1_30default_config_static_selectorELNS0_4arch9wavefront6targetE1EEEvT1_, .Lfunc_end585-_ZN7rocprim17ROCPRIM_400000_NS6detail17trampoline_kernelINS0_14default_configENS1_25partition_config_selectorILNS1_17partition_subalgoE8ElNS0_10empty_typeEbEEZZNS1_14partition_implILS5_8ELb0ES3_jPlPS6_PKS6_NS0_5tupleIJS9_S6_EEENSD_IJSA_SA_EEENS0_18inequality_wrapperIZN2at6native12_GLOBAL__N_124unique_dim_cuda_templateIlEESt5tupleIJNSH_6TensorESM_SM_EERKSM_lbbbEUlllE0_EEPmJS6_EEE10hipError_tPvRmT3_T4_T5_T6_T7_T9_mT8_P12ihipStream_tbDpT10_ENKUlT_T0_E_clISt17integral_constantIbLb1EES1B_IbLb0EEEEDaS17_S18_EUlS17_E_NS1_11comp_targetILNS1_3genE9ELNS1_11target_archE1100ELNS1_3gpuE3ELNS1_3repE0EEENS1_30default_config_static_selectorELNS0_4arch9wavefront6targetE1EEEvT1_
                                        ; -- End function
	.section	.AMDGPU.csdata,"",@progbits
; Kernel info:
; codeLenInByte = 0
; NumSgprs: 4
; NumVgprs: 0
; NumAgprs: 0
; TotalNumVgprs: 0
; ScratchSize: 0
; MemoryBound: 0
; FloatMode: 240
; IeeeMode: 1
; LDSByteSize: 0 bytes/workgroup (compile time only)
; SGPRBlocks: 0
; VGPRBlocks: 0
; NumSGPRsForWavesPerEU: 4
; NumVGPRsForWavesPerEU: 1
; AccumOffset: 4
; Occupancy: 8
; WaveLimiterHint : 0
; COMPUTE_PGM_RSRC2:SCRATCH_EN: 0
; COMPUTE_PGM_RSRC2:USER_SGPR: 6
; COMPUTE_PGM_RSRC2:TRAP_HANDLER: 0
; COMPUTE_PGM_RSRC2:TGID_X_EN: 1
; COMPUTE_PGM_RSRC2:TGID_Y_EN: 0
; COMPUTE_PGM_RSRC2:TGID_Z_EN: 0
; COMPUTE_PGM_RSRC2:TIDIG_COMP_CNT: 0
; COMPUTE_PGM_RSRC3_GFX90A:ACCUM_OFFSET: 0
; COMPUTE_PGM_RSRC3_GFX90A:TG_SPLIT: 0
	.section	.text._ZN7rocprim17ROCPRIM_400000_NS6detail17trampoline_kernelINS0_14default_configENS1_25partition_config_selectorILNS1_17partition_subalgoE8ElNS0_10empty_typeEbEEZZNS1_14partition_implILS5_8ELb0ES3_jPlPS6_PKS6_NS0_5tupleIJS9_S6_EEENSD_IJSA_SA_EEENS0_18inequality_wrapperIZN2at6native12_GLOBAL__N_124unique_dim_cuda_templateIlEESt5tupleIJNSH_6TensorESM_SM_EERKSM_lbbbEUlllE0_EEPmJS6_EEE10hipError_tPvRmT3_T4_T5_T6_T7_T9_mT8_P12ihipStream_tbDpT10_ENKUlT_T0_E_clISt17integral_constantIbLb1EES1B_IbLb0EEEEDaS17_S18_EUlS17_E_NS1_11comp_targetILNS1_3genE8ELNS1_11target_archE1030ELNS1_3gpuE2ELNS1_3repE0EEENS1_30default_config_static_selectorELNS0_4arch9wavefront6targetE1EEEvT1_,"axG",@progbits,_ZN7rocprim17ROCPRIM_400000_NS6detail17trampoline_kernelINS0_14default_configENS1_25partition_config_selectorILNS1_17partition_subalgoE8ElNS0_10empty_typeEbEEZZNS1_14partition_implILS5_8ELb0ES3_jPlPS6_PKS6_NS0_5tupleIJS9_S6_EEENSD_IJSA_SA_EEENS0_18inequality_wrapperIZN2at6native12_GLOBAL__N_124unique_dim_cuda_templateIlEESt5tupleIJNSH_6TensorESM_SM_EERKSM_lbbbEUlllE0_EEPmJS6_EEE10hipError_tPvRmT3_T4_T5_T6_T7_T9_mT8_P12ihipStream_tbDpT10_ENKUlT_T0_E_clISt17integral_constantIbLb1EES1B_IbLb0EEEEDaS17_S18_EUlS17_E_NS1_11comp_targetILNS1_3genE8ELNS1_11target_archE1030ELNS1_3gpuE2ELNS1_3repE0EEENS1_30default_config_static_selectorELNS0_4arch9wavefront6targetE1EEEvT1_,comdat
	.globl	_ZN7rocprim17ROCPRIM_400000_NS6detail17trampoline_kernelINS0_14default_configENS1_25partition_config_selectorILNS1_17partition_subalgoE8ElNS0_10empty_typeEbEEZZNS1_14partition_implILS5_8ELb0ES3_jPlPS6_PKS6_NS0_5tupleIJS9_S6_EEENSD_IJSA_SA_EEENS0_18inequality_wrapperIZN2at6native12_GLOBAL__N_124unique_dim_cuda_templateIlEESt5tupleIJNSH_6TensorESM_SM_EERKSM_lbbbEUlllE0_EEPmJS6_EEE10hipError_tPvRmT3_T4_T5_T6_T7_T9_mT8_P12ihipStream_tbDpT10_ENKUlT_T0_E_clISt17integral_constantIbLb1EES1B_IbLb0EEEEDaS17_S18_EUlS17_E_NS1_11comp_targetILNS1_3genE8ELNS1_11target_archE1030ELNS1_3gpuE2ELNS1_3repE0EEENS1_30default_config_static_selectorELNS0_4arch9wavefront6targetE1EEEvT1_ ; -- Begin function _ZN7rocprim17ROCPRIM_400000_NS6detail17trampoline_kernelINS0_14default_configENS1_25partition_config_selectorILNS1_17partition_subalgoE8ElNS0_10empty_typeEbEEZZNS1_14partition_implILS5_8ELb0ES3_jPlPS6_PKS6_NS0_5tupleIJS9_S6_EEENSD_IJSA_SA_EEENS0_18inequality_wrapperIZN2at6native12_GLOBAL__N_124unique_dim_cuda_templateIlEESt5tupleIJNSH_6TensorESM_SM_EERKSM_lbbbEUlllE0_EEPmJS6_EEE10hipError_tPvRmT3_T4_T5_T6_T7_T9_mT8_P12ihipStream_tbDpT10_ENKUlT_T0_E_clISt17integral_constantIbLb1EES1B_IbLb0EEEEDaS17_S18_EUlS17_E_NS1_11comp_targetILNS1_3genE8ELNS1_11target_archE1030ELNS1_3gpuE2ELNS1_3repE0EEENS1_30default_config_static_selectorELNS0_4arch9wavefront6targetE1EEEvT1_
	.p2align	8
	.type	_ZN7rocprim17ROCPRIM_400000_NS6detail17trampoline_kernelINS0_14default_configENS1_25partition_config_selectorILNS1_17partition_subalgoE8ElNS0_10empty_typeEbEEZZNS1_14partition_implILS5_8ELb0ES3_jPlPS6_PKS6_NS0_5tupleIJS9_S6_EEENSD_IJSA_SA_EEENS0_18inequality_wrapperIZN2at6native12_GLOBAL__N_124unique_dim_cuda_templateIlEESt5tupleIJNSH_6TensorESM_SM_EERKSM_lbbbEUlllE0_EEPmJS6_EEE10hipError_tPvRmT3_T4_T5_T6_T7_T9_mT8_P12ihipStream_tbDpT10_ENKUlT_T0_E_clISt17integral_constantIbLb1EES1B_IbLb0EEEEDaS17_S18_EUlS17_E_NS1_11comp_targetILNS1_3genE8ELNS1_11target_archE1030ELNS1_3gpuE2ELNS1_3repE0EEENS1_30default_config_static_selectorELNS0_4arch9wavefront6targetE1EEEvT1_,@function
_ZN7rocprim17ROCPRIM_400000_NS6detail17trampoline_kernelINS0_14default_configENS1_25partition_config_selectorILNS1_17partition_subalgoE8ElNS0_10empty_typeEbEEZZNS1_14partition_implILS5_8ELb0ES3_jPlPS6_PKS6_NS0_5tupleIJS9_S6_EEENSD_IJSA_SA_EEENS0_18inequality_wrapperIZN2at6native12_GLOBAL__N_124unique_dim_cuda_templateIlEESt5tupleIJNSH_6TensorESM_SM_EERKSM_lbbbEUlllE0_EEPmJS6_EEE10hipError_tPvRmT3_T4_T5_T6_T7_T9_mT8_P12ihipStream_tbDpT10_ENKUlT_T0_E_clISt17integral_constantIbLb1EES1B_IbLb0EEEEDaS17_S18_EUlS17_E_NS1_11comp_targetILNS1_3genE8ELNS1_11target_archE1030ELNS1_3gpuE2ELNS1_3repE0EEENS1_30default_config_static_selectorELNS0_4arch9wavefront6targetE1EEEvT1_: ; @_ZN7rocprim17ROCPRIM_400000_NS6detail17trampoline_kernelINS0_14default_configENS1_25partition_config_selectorILNS1_17partition_subalgoE8ElNS0_10empty_typeEbEEZZNS1_14partition_implILS5_8ELb0ES3_jPlPS6_PKS6_NS0_5tupleIJS9_S6_EEENSD_IJSA_SA_EEENS0_18inequality_wrapperIZN2at6native12_GLOBAL__N_124unique_dim_cuda_templateIlEESt5tupleIJNSH_6TensorESM_SM_EERKSM_lbbbEUlllE0_EEPmJS6_EEE10hipError_tPvRmT3_T4_T5_T6_T7_T9_mT8_P12ihipStream_tbDpT10_ENKUlT_T0_E_clISt17integral_constantIbLb1EES1B_IbLb0EEEEDaS17_S18_EUlS17_E_NS1_11comp_targetILNS1_3genE8ELNS1_11target_archE1030ELNS1_3gpuE2ELNS1_3repE0EEENS1_30default_config_static_selectorELNS0_4arch9wavefront6targetE1EEEvT1_
; %bb.0:
	.section	.rodata,"a",@progbits
	.p2align	6, 0x0
	.amdhsa_kernel _ZN7rocprim17ROCPRIM_400000_NS6detail17trampoline_kernelINS0_14default_configENS1_25partition_config_selectorILNS1_17partition_subalgoE8ElNS0_10empty_typeEbEEZZNS1_14partition_implILS5_8ELb0ES3_jPlPS6_PKS6_NS0_5tupleIJS9_S6_EEENSD_IJSA_SA_EEENS0_18inequality_wrapperIZN2at6native12_GLOBAL__N_124unique_dim_cuda_templateIlEESt5tupleIJNSH_6TensorESM_SM_EERKSM_lbbbEUlllE0_EEPmJS6_EEE10hipError_tPvRmT3_T4_T5_T6_T7_T9_mT8_P12ihipStream_tbDpT10_ENKUlT_T0_E_clISt17integral_constantIbLb1EES1B_IbLb0EEEEDaS17_S18_EUlS17_E_NS1_11comp_targetILNS1_3genE8ELNS1_11target_archE1030ELNS1_3gpuE2ELNS1_3repE0EEENS1_30default_config_static_selectorELNS0_4arch9wavefront6targetE1EEEvT1_
		.amdhsa_group_segment_fixed_size 0
		.amdhsa_private_segment_fixed_size 0
		.amdhsa_kernarg_size 120
		.amdhsa_user_sgpr_count 6
		.amdhsa_user_sgpr_private_segment_buffer 1
		.amdhsa_user_sgpr_dispatch_ptr 0
		.amdhsa_user_sgpr_queue_ptr 0
		.amdhsa_user_sgpr_kernarg_segment_ptr 1
		.amdhsa_user_sgpr_dispatch_id 0
		.amdhsa_user_sgpr_flat_scratch_init 0
		.amdhsa_user_sgpr_kernarg_preload_length 0
		.amdhsa_user_sgpr_kernarg_preload_offset 0
		.amdhsa_user_sgpr_private_segment_size 0
		.amdhsa_uses_dynamic_stack 0
		.amdhsa_system_sgpr_private_segment_wavefront_offset 0
		.amdhsa_system_sgpr_workgroup_id_x 1
		.amdhsa_system_sgpr_workgroup_id_y 0
		.amdhsa_system_sgpr_workgroup_id_z 0
		.amdhsa_system_sgpr_workgroup_info 0
		.amdhsa_system_vgpr_workitem_id 0
		.amdhsa_next_free_vgpr 1
		.amdhsa_next_free_sgpr 0
		.amdhsa_accum_offset 4
		.amdhsa_reserve_vcc 0
		.amdhsa_reserve_flat_scratch 0
		.amdhsa_float_round_mode_32 0
		.amdhsa_float_round_mode_16_64 0
		.amdhsa_float_denorm_mode_32 3
		.amdhsa_float_denorm_mode_16_64 3
		.amdhsa_dx10_clamp 1
		.amdhsa_ieee_mode 1
		.amdhsa_fp16_overflow 0
		.amdhsa_tg_split 0
		.amdhsa_exception_fp_ieee_invalid_op 0
		.amdhsa_exception_fp_denorm_src 0
		.amdhsa_exception_fp_ieee_div_zero 0
		.amdhsa_exception_fp_ieee_overflow 0
		.amdhsa_exception_fp_ieee_underflow 0
		.amdhsa_exception_fp_ieee_inexact 0
		.amdhsa_exception_int_div_zero 0
	.end_amdhsa_kernel
	.section	.text._ZN7rocprim17ROCPRIM_400000_NS6detail17trampoline_kernelINS0_14default_configENS1_25partition_config_selectorILNS1_17partition_subalgoE8ElNS0_10empty_typeEbEEZZNS1_14partition_implILS5_8ELb0ES3_jPlPS6_PKS6_NS0_5tupleIJS9_S6_EEENSD_IJSA_SA_EEENS0_18inequality_wrapperIZN2at6native12_GLOBAL__N_124unique_dim_cuda_templateIlEESt5tupleIJNSH_6TensorESM_SM_EERKSM_lbbbEUlllE0_EEPmJS6_EEE10hipError_tPvRmT3_T4_T5_T6_T7_T9_mT8_P12ihipStream_tbDpT10_ENKUlT_T0_E_clISt17integral_constantIbLb1EES1B_IbLb0EEEEDaS17_S18_EUlS17_E_NS1_11comp_targetILNS1_3genE8ELNS1_11target_archE1030ELNS1_3gpuE2ELNS1_3repE0EEENS1_30default_config_static_selectorELNS0_4arch9wavefront6targetE1EEEvT1_,"axG",@progbits,_ZN7rocprim17ROCPRIM_400000_NS6detail17trampoline_kernelINS0_14default_configENS1_25partition_config_selectorILNS1_17partition_subalgoE8ElNS0_10empty_typeEbEEZZNS1_14partition_implILS5_8ELb0ES3_jPlPS6_PKS6_NS0_5tupleIJS9_S6_EEENSD_IJSA_SA_EEENS0_18inequality_wrapperIZN2at6native12_GLOBAL__N_124unique_dim_cuda_templateIlEESt5tupleIJNSH_6TensorESM_SM_EERKSM_lbbbEUlllE0_EEPmJS6_EEE10hipError_tPvRmT3_T4_T5_T6_T7_T9_mT8_P12ihipStream_tbDpT10_ENKUlT_T0_E_clISt17integral_constantIbLb1EES1B_IbLb0EEEEDaS17_S18_EUlS17_E_NS1_11comp_targetILNS1_3genE8ELNS1_11target_archE1030ELNS1_3gpuE2ELNS1_3repE0EEENS1_30default_config_static_selectorELNS0_4arch9wavefront6targetE1EEEvT1_,comdat
.Lfunc_end586:
	.size	_ZN7rocprim17ROCPRIM_400000_NS6detail17trampoline_kernelINS0_14default_configENS1_25partition_config_selectorILNS1_17partition_subalgoE8ElNS0_10empty_typeEbEEZZNS1_14partition_implILS5_8ELb0ES3_jPlPS6_PKS6_NS0_5tupleIJS9_S6_EEENSD_IJSA_SA_EEENS0_18inequality_wrapperIZN2at6native12_GLOBAL__N_124unique_dim_cuda_templateIlEESt5tupleIJNSH_6TensorESM_SM_EERKSM_lbbbEUlllE0_EEPmJS6_EEE10hipError_tPvRmT3_T4_T5_T6_T7_T9_mT8_P12ihipStream_tbDpT10_ENKUlT_T0_E_clISt17integral_constantIbLb1EES1B_IbLb0EEEEDaS17_S18_EUlS17_E_NS1_11comp_targetILNS1_3genE8ELNS1_11target_archE1030ELNS1_3gpuE2ELNS1_3repE0EEENS1_30default_config_static_selectorELNS0_4arch9wavefront6targetE1EEEvT1_, .Lfunc_end586-_ZN7rocprim17ROCPRIM_400000_NS6detail17trampoline_kernelINS0_14default_configENS1_25partition_config_selectorILNS1_17partition_subalgoE8ElNS0_10empty_typeEbEEZZNS1_14partition_implILS5_8ELb0ES3_jPlPS6_PKS6_NS0_5tupleIJS9_S6_EEENSD_IJSA_SA_EEENS0_18inequality_wrapperIZN2at6native12_GLOBAL__N_124unique_dim_cuda_templateIlEESt5tupleIJNSH_6TensorESM_SM_EERKSM_lbbbEUlllE0_EEPmJS6_EEE10hipError_tPvRmT3_T4_T5_T6_T7_T9_mT8_P12ihipStream_tbDpT10_ENKUlT_T0_E_clISt17integral_constantIbLb1EES1B_IbLb0EEEEDaS17_S18_EUlS17_E_NS1_11comp_targetILNS1_3genE8ELNS1_11target_archE1030ELNS1_3gpuE2ELNS1_3repE0EEENS1_30default_config_static_selectorELNS0_4arch9wavefront6targetE1EEEvT1_
                                        ; -- End function
	.section	.AMDGPU.csdata,"",@progbits
; Kernel info:
; codeLenInByte = 0
; NumSgprs: 4
; NumVgprs: 0
; NumAgprs: 0
; TotalNumVgprs: 0
; ScratchSize: 0
; MemoryBound: 0
; FloatMode: 240
; IeeeMode: 1
; LDSByteSize: 0 bytes/workgroup (compile time only)
; SGPRBlocks: 0
; VGPRBlocks: 0
; NumSGPRsForWavesPerEU: 4
; NumVGPRsForWavesPerEU: 1
; AccumOffset: 4
; Occupancy: 8
; WaveLimiterHint : 0
; COMPUTE_PGM_RSRC2:SCRATCH_EN: 0
; COMPUTE_PGM_RSRC2:USER_SGPR: 6
; COMPUTE_PGM_RSRC2:TRAP_HANDLER: 0
; COMPUTE_PGM_RSRC2:TGID_X_EN: 1
; COMPUTE_PGM_RSRC2:TGID_Y_EN: 0
; COMPUTE_PGM_RSRC2:TGID_Z_EN: 0
; COMPUTE_PGM_RSRC2:TIDIG_COMP_CNT: 0
; COMPUTE_PGM_RSRC3_GFX90A:ACCUM_OFFSET: 0
; COMPUTE_PGM_RSRC3_GFX90A:TG_SPLIT: 0
	.section	.text._ZN7rocprim17ROCPRIM_400000_NS6detail17trampoline_kernelINS0_14default_configENS1_25partition_config_selectorILNS1_17partition_subalgoE8ElNS0_10empty_typeEbEEZZNS1_14partition_implILS5_8ELb0ES3_jPlPS6_PKS6_NS0_5tupleIJS9_S6_EEENSD_IJSA_SA_EEENS0_18inequality_wrapperIZN2at6native12_GLOBAL__N_124unique_dim_cuda_templateIlEESt5tupleIJNSH_6TensorESM_SM_EERKSM_lbbbEUlllE0_EEPmJS6_EEE10hipError_tPvRmT3_T4_T5_T6_T7_T9_mT8_P12ihipStream_tbDpT10_ENKUlT_T0_E_clISt17integral_constantIbLb0EES1B_IbLb1EEEEDaS17_S18_EUlS17_E_NS1_11comp_targetILNS1_3genE0ELNS1_11target_archE4294967295ELNS1_3gpuE0ELNS1_3repE0EEENS1_30default_config_static_selectorELNS0_4arch9wavefront6targetE1EEEvT1_,"axG",@progbits,_ZN7rocprim17ROCPRIM_400000_NS6detail17trampoline_kernelINS0_14default_configENS1_25partition_config_selectorILNS1_17partition_subalgoE8ElNS0_10empty_typeEbEEZZNS1_14partition_implILS5_8ELb0ES3_jPlPS6_PKS6_NS0_5tupleIJS9_S6_EEENSD_IJSA_SA_EEENS0_18inequality_wrapperIZN2at6native12_GLOBAL__N_124unique_dim_cuda_templateIlEESt5tupleIJNSH_6TensorESM_SM_EERKSM_lbbbEUlllE0_EEPmJS6_EEE10hipError_tPvRmT3_T4_T5_T6_T7_T9_mT8_P12ihipStream_tbDpT10_ENKUlT_T0_E_clISt17integral_constantIbLb0EES1B_IbLb1EEEEDaS17_S18_EUlS17_E_NS1_11comp_targetILNS1_3genE0ELNS1_11target_archE4294967295ELNS1_3gpuE0ELNS1_3repE0EEENS1_30default_config_static_selectorELNS0_4arch9wavefront6targetE1EEEvT1_,comdat
	.globl	_ZN7rocprim17ROCPRIM_400000_NS6detail17trampoline_kernelINS0_14default_configENS1_25partition_config_selectorILNS1_17partition_subalgoE8ElNS0_10empty_typeEbEEZZNS1_14partition_implILS5_8ELb0ES3_jPlPS6_PKS6_NS0_5tupleIJS9_S6_EEENSD_IJSA_SA_EEENS0_18inequality_wrapperIZN2at6native12_GLOBAL__N_124unique_dim_cuda_templateIlEESt5tupleIJNSH_6TensorESM_SM_EERKSM_lbbbEUlllE0_EEPmJS6_EEE10hipError_tPvRmT3_T4_T5_T6_T7_T9_mT8_P12ihipStream_tbDpT10_ENKUlT_T0_E_clISt17integral_constantIbLb0EES1B_IbLb1EEEEDaS17_S18_EUlS17_E_NS1_11comp_targetILNS1_3genE0ELNS1_11target_archE4294967295ELNS1_3gpuE0ELNS1_3repE0EEENS1_30default_config_static_selectorELNS0_4arch9wavefront6targetE1EEEvT1_ ; -- Begin function _ZN7rocprim17ROCPRIM_400000_NS6detail17trampoline_kernelINS0_14default_configENS1_25partition_config_selectorILNS1_17partition_subalgoE8ElNS0_10empty_typeEbEEZZNS1_14partition_implILS5_8ELb0ES3_jPlPS6_PKS6_NS0_5tupleIJS9_S6_EEENSD_IJSA_SA_EEENS0_18inequality_wrapperIZN2at6native12_GLOBAL__N_124unique_dim_cuda_templateIlEESt5tupleIJNSH_6TensorESM_SM_EERKSM_lbbbEUlllE0_EEPmJS6_EEE10hipError_tPvRmT3_T4_T5_T6_T7_T9_mT8_P12ihipStream_tbDpT10_ENKUlT_T0_E_clISt17integral_constantIbLb0EES1B_IbLb1EEEEDaS17_S18_EUlS17_E_NS1_11comp_targetILNS1_3genE0ELNS1_11target_archE4294967295ELNS1_3gpuE0ELNS1_3repE0EEENS1_30default_config_static_selectorELNS0_4arch9wavefront6targetE1EEEvT1_
	.p2align	8
	.type	_ZN7rocprim17ROCPRIM_400000_NS6detail17trampoline_kernelINS0_14default_configENS1_25partition_config_selectorILNS1_17partition_subalgoE8ElNS0_10empty_typeEbEEZZNS1_14partition_implILS5_8ELb0ES3_jPlPS6_PKS6_NS0_5tupleIJS9_S6_EEENSD_IJSA_SA_EEENS0_18inequality_wrapperIZN2at6native12_GLOBAL__N_124unique_dim_cuda_templateIlEESt5tupleIJNSH_6TensorESM_SM_EERKSM_lbbbEUlllE0_EEPmJS6_EEE10hipError_tPvRmT3_T4_T5_T6_T7_T9_mT8_P12ihipStream_tbDpT10_ENKUlT_T0_E_clISt17integral_constantIbLb0EES1B_IbLb1EEEEDaS17_S18_EUlS17_E_NS1_11comp_targetILNS1_3genE0ELNS1_11target_archE4294967295ELNS1_3gpuE0ELNS1_3repE0EEENS1_30default_config_static_selectorELNS0_4arch9wavefront6targetE1EEEvT1_,@function
_ZN7rocprim17ROCPRIM_400000_NS6detail17trampoline_kernelINS0_14default_configENS1_25partition_config_selectorILNS1_17partition_subalgoE8ElNS0_10empty_typeEbEEZZNS1_14partition_implILS5_8ELb0ES3_jPlPS6_PKS6_NS0_5tupleIJS9_S6_EEENSD_IJSA_SA_EEENS0_18inequality_wrapperIZN2at6native12_GLOBAL__N_124unique_dim_cuda_templateIlEESt5tupleIJNSH_6TensorESM_SM_EERKSM_lbbbEUlllE0_EEPmJS6_EEE10hipError_tPvRmT3_T4_T5_T6_T7_T9_mT8_P12ihipStream_tbDpT10_ENKUlT_T0_E_clISt17integral_constantIbLb0EES1B_IbLb1EEEEDaS17_S18_EUlS17_E_NS1_11comp_targetILNS1_3genE0ELNS1_11target_archE4294967295ELNS1_3gpuE0ELNS1_3repE0EEENS1_30default_config_static_selectorELNS0_4arch9wavefront6targetE1EEEvT1_: ; @_ZN7rocprim17ROCPRIM_400000_NS6detail17trampoline_kernelINS0_14default_configENS1_25partition_config_selectorILNS1_17partition_subalgoE8ElNS0_10empty_typeEbEEZZNS1_14partition_implILS5_8ELb0ES3_jPlPS6_PKS6_NS0_5tupleIJS9_S6_EEENSD_IJSA_SA_EEENS0_18inequality_wrapperIZN2at6native12_GLOBAL__N_124unique_dim_cuda_templateIlEESt5tupleIJNSH_6TensorESM_SM_EERKSM_lbbbEUlllE0_EEPmJS6_EEE10hipError_tPvRmT3_T4_T5_T6_T7_T9_mT8_P12ihipStream_tbDpT10_ENKUlT_T0_E_clISt17integral_constantIbLb0EES1B_IbLb1EEEEDaS17_S18_EUlS17_E_NS1_11comp_targetILNS1_3genE0ELNS1_11target_archE4294967295ELNS1_3gpuE0ELNS1_3repE0EEENS1_30default_config_static_selectorELNS0_4arch9wavefront6targetE1EEEvT1_
; %bb.0:
	.section	.rodata,"a",@progbits
	.p2align	6, 0x0
	.amdhsa_kernel _ZN7rocprim17ROCPRIM_400000_NS6detail17trampoline_kernelINS0_14default_configENS1_25partition_config_selectorILNS1_17partition_subalgoE8ElNS0_10empty_typeEbEEZZNS1_14partition_implILS5_8ELb0ES3_jPlPS6_PKS6_NS0_5tupleIJS9_S6_EEENSD_IJSA_SA_EEENS0_18inequality_wrapperIZN2at6native12_GLOBAL__N_124unique_dim_cuda_templateIlEESt5tupleIJNSH_6TensorESM_SM_EERKSM_lbbbEUlllE0_EEPmJS6_EEE10hipError_tPvRmT3_T4_T5_T6_T7_T9_mT8_P12ihipStream_tbDpT10_ENKUlT_T0_E_clISt17integral_constantIbLb0EES1B_IbLb1EEEEDaS17_S18_EUlS17_E_NS1_11comp_targetILNS1_3genE0ELNS1_11target_archE4294967295ELNS1_3gpuE0ELNS1_3repE0EEENS1_30default_config_static_selectorELNS0_4arch9wavefront6targetE1EEEvT1_
		.amdhsa_group_segment_fixed_size 0
		.amdhsa_private_segment_fixed_size 0
		.amdhsa_kernarg_size 136
		.amdhsa_user_sgpr_count 6
		.amdhsa_user_sgpr_private_segment_buffer 1
		.amdhsa_user_sgpr_dispatch_ptr 0
		.amdhsa_user_sgpr_queue_ptr 0
		.amdhsa_user_sgpr_kernarg_segment_ptr 1
		.amdhsa_user_sgpr_dispatch_id 0
		.amdhsa_user_sgpr_flat_scratch_init 0
		.amdhsa_user_sgpr_kernarg_preload_length 0
		.amdhsa_user_sgpr_kernarg_preload_offset 0
		.amdhsa_user_sgpr_private_segment_size 0
		.amdhsa_uses_dynamic_stack 0
		.amdhsa_system_sgpr_private_segment_wavefront_offset 0
		.amdhsa_system_sgpr_workgroup_id_x 1
		.amdhsa_system_sgpr_workgroup_id_y 0
		.amdhsa_system_sgpr_workgroup_id_z 0
		.amdhsa_system_sgpr_workgroup_info 0
		.amdhsa_system_vgpr_workitem_id 0
		.amdhsa_next_free_vgpr 1
		.amdhsa_next_free_sgpr 0
		.amdhsa_accum_offset 4
		.amdhsa_reserve_vcc 0
		.amdhsa_reserve_flat_scratch 0
		.amdhsa_float_round_mode_32 0
		.amdhsa_float_round_mode_16_64 0
		.amdhsa_float_denorm_mode_32 3
		.amdhsa_float_denorm_mode_16_64 3
		.amdhsa_dx10_clamp 1
		.amdhsa_ieee_mode 1
		.amdhsa_fp16_overflow 0
		.amdhsa_tg_split 0
		.amdhsa_exception_fp_ieee_invalid_op 0
		.amdhsa_exception_fp_denorm_src 0
		.amdhsa_exception_fp_ieee_div_zero 0
		.amdhsa_exception_fp_ieee_overflow 0
		.amdhsa_exception_fp_ieee_underflow 0
		.amdhsa_exception_fp_ieee_inexact 0
		.amdhsa_exception_int_div_zero 0
	.end_amdhsa_kernel
	.section	.text._ZN7rocprim17ROCPRIM_400000_NS6detail17trampoline_kernelINS0_14default_configENS1_25partition_config_selectorILNS1_17partition_subalgoE8ElNS0_10empty_typeEbEEZZNS1_14partition_implILS5_8ELb0ES3_jPlPS6_PKS6_NS0_5tupleIJS9_S6_EEENSD_IJSA_SA_EEENS0_18inequality_wrapperIZN2at6native12_GLOBAL__N_124unique_dim_cuda_templateIlEESt5tupleIJNSH_6TensorESM_SM_EERKSM_lbbbEUlllE0_EEPmJS6_EEE10hipError_tPvRmT3_T4_T5_T6_T7_T9_mT8_P12ihipStream_tbDpT10_ENKUlT_T0_E_clISt17integral_constantIbLb0EES1B_IbLb1EEEEDaS17_S18_EUlS17_E_NS1_11comp_targetILNS1_3genE0ELNS1_11target_archE4294967295ELNS1_3gpuE0ELNS1_3repE0EEENS1_30default_config_static_selectorELNS0_4arch9wavefront6targetE1EEEvT1_,"axG",@progbits,_ZN7rocprim17ROCPRIM_400000_NS6detail17trampoline_kernelINS0_14default_configENS1_25partition_config_selectorILNS1_17partition_subalgoE8ElNS0_10empty_typeEbEEZZNS1_14partition_implILS5_8ELb0ES3_jPlPS6_PKS6_NS0_5tupleIJS9_S6_EEENSD_IJSA_SA_EEENS0_18inequality_wrapperIZN2at6native12_GLOBAL__N_124unique_dim_cuda_templateIlEESt5tupleIJNSH_6TensorESM_SM_EERKSM_lbbbEUlllE0_EEPmJS6_EEE10hipError_tPvRmT3_T4_T5_T6_T7_T9_mT8_P12ihipStream_tbDpT10_ENKUlT_T0_E_clISt17integral_constantIbLb0EES1B_IbLb1EEEEDaS17_S18_EUlS17_E_NS1_11comp_targetILNS1_3genE0ELNS1_11target_archE4294967295ELNS1_3gpuE0ELNS1_3repE0EEENS1_30default_config_static_selectorELNS0_4arch9wavefront6targetE1EEEvT1_,comdat
.Lfunc_end587:
	.size	_ZN7rocprim17ROCPRIM_400000_NS6detail17trampoline_kernelINS0_14default_configENS1_25partition_config_selectorILNS1_17partition_subalgoE8ElNS0_10empty_typeEbEEZZNS1_14partition_implILS5_8ELb0ES3_jPlPS6_PKS6_NS0_5tupleIJS9_S6_EEENSD_IJSA_SA_EEENS0_18inequality_wrapperIZN2at6native12_GLOBAL__N_124unique_dim_cuda_templateIlEESt5tupleIJNSH_6TensorESM_SM_EERKSM_lbbbEUlllE0_EEPmJS6_EEE10hipError_tPvRmT3_T4_T5_T6_T7_T9_mT8_P12ihipStream_tbDpT10_ENKUlT_T0_E_clISt17integral_constantIbLb0EES1B_IbLb1EEEEDaS17_S18_EUlS17_E_NS1_11comp_targetILNS1_3genE0ELNS1_11target_archE4294967295ELNS1_3gpuE0ELNS1_3repE0EEENS1_30default_config_static_selectorELNS0_4arch9wavefront6targetE1EEEvT1_, .Lfunc_end587-_ZN7rocprim17ROCPRIM_400000_NS6detail17trampoline_kernelINS0_14default_configENS1_25partition_config_selectorILNS1_17partition_subalgoE8ElNS0_10empty_typeEbEEZZNS1_14partition_implILS5_8ELb0ES3_jPlPS6_PKS6_NS0_5tupleIJS9_S6_EEENSD_IJSA_SA_EEENS0_18inequality_wrapperIZN2at6native12_GLOBAL__N_124unique_dim_cuda_templateIlEESt5tupleIJNSH_6TensorESM_SM_EERKSM_lbbbEUlllE0_EEPmJS6_EEE10hipError_tPvRmT3_T4_T5_T6_T7_T9_mT8_P12ihipStream_tbDpT10_ENKUlT_T0_E_clISt17integral_constantIbLb0EES1B_IbLb1EEEEDaS17_S18_EUlS17_E_NS1_11comp_targetILNS1_3genE0ELNS1_11target_archE4294967295ELNS1_3gpuE0ELNS1_3repE0EEENS1_30default_config_static_selectorELNS0_4arch9wavefront6targetE1EEEvT1_
                                        ; -- End function
	.section	.AMDGPU.csdata,"",@progbits
; Kernel info:
; codeLenInByte = 0
; NumSgprs: 4
; NumVgprs: 0
; NumAgprs: 0
; TotalNumVgprs: 0
; ScratchSize: 0
; MemoryBound: 0
; FloatMode: 240
; IeeeMode: 1
; LDSByteSize: 0 bytes/workgroup (compile time only)
; SGPRBlocks: 0
; VGPRBlocks: 0
; NumSGPRsForWavesPerEU: 4
; NumVGPRsForWavesPerEU: 1
; AccumOffset: 4
; Occupancy: 8
; WaveLimiterHint : 0
; COMPUTE_PGM_RSRC2:SCRATCH_EN: 0
; COMPUTE_PGM_RSRC2:USER_SGPR: 6
; COMPUTE_PGM_RSRC2:TRAP_HANDLER: 0
; COMPUTE_PGM_RSRC2:TGID_X_EN: 1
; COMPUTE_PGM_RSRC2:TGID_Y_EN: 0
; COMPUTE_PGM_RSRC2:TGID_Z_EN: 0
; COMPUTE_PGM_RSRC2:TIDIG_COMP_CNT: 0
; COMPUTE_PGM_RSRC3_GFX90A:ACCUM_OFFSET: 0
; COMPUTE_PGM_RSRC3_GFX90A:TG_SPLIT: 0
	.section	.text._ZN7rocprim17ROCPRIM_400000_NS6detail17trampoline_kernelINS0_14default_configENS1_25partition_config_selectorILNS1_17partition_subalgoE8ElNS0_10empty_typeEbEEZZNS1_14partition_implILS5_8ELb0ES3_jPlPS6_PKS6_NS0_5tupleIJS9_S6_EEENSD_IJSA_SA_EEENS0_18inequality_wrapperIZN2at6native12_GLOBAL__N_124unique_dim_cuda_templateIlEESt5tupleIJNSH_6TensorESM_SM_EERKSM_lbbbEUlllE0_EEPmJS6_EEE10hipError_tPvRmT3_T4_T5_T6_T7_T9_mT8_P12ihipStream_tbDpT10_ENKUlT_T0_E_clISt17integral_constantIbLb0EES1B_IbLb1EEEEDaS17_S18_EUlS17_E_NS1_11comp_targetILNS1_3genE5ELNS1_11target_archE942ELNS1_3gpuE9ELNS1_3repE0EEENS1_30default_config_static_selectorELNS0_4arch9wavefront6targetE1EEEvT1_,"axG",@progbits,_ZN7rocprim17ROCPRIM_400000_NS6detail17trampoline_kernelINS0_14default_configENS1_25partition_config_selectorILNS1_17partition_subalgoE8ElNS0_10empty_typeEbEEZZNS1_14partition_implILS5_8ELb0ES3_jPlPS6_PKS6_NS0_5tupleIJS9_S6_EEENSD_IJSA_SA_EEENS0_18inequality_wrapperIZN2at6native12_GLOBAL__N_124unique_dim_cuda_templateIlEESt5tupleIJNSH_6TensorESM_SM_EERKSM_lbbbEUlllE0_EEPmJS6_EEE10hipError_tPvRmT3_T4_T5_T6_T7_T9_mT8_P12ihipStream_tbDpT10_ENKUlT_T0_E_clISt17integral_constantIbLb0EES1B_IbLb1EEEEDaS17_S18_EUlS17_E_NS1_11comp_targetILNS1_3genE5ELNS1_11target_archE942ELNS1_3gpuE9ELNS1_3repE0EEENS1_30default_config_static_selectorELNS0_4arch9wavefront6targetE1EEEvT1_,comdat
	.globl	_ZN7rocprim17ROCPRIM_400000_NS6detail17trampoline_kernelINS0_14default_configENS1_25partition_config_selectorILNS1_17partition_subalgoE8ElNS0_10empty_typeEbEEZZNS1_14partition_implILS5_8ELb0ES3_jPlPS6_PKS6_NS0_5tupleIJS9_S6_EEENSD_IJSA_SA_EEENS0_18inequality_wrapperIZN2at6native12_GLOBAL__N_124unique_dim_cuda_templateIlEESt5tupleIJNSH_6TensorESM_SM_EERKSM_lbbbEUlllE0_EEPmJS6_EEE10hipError_tPvRmT3_T4_T5_T6_T7_T9_mT8_P12ihipStream_tbDpT10_ENKUlT_T0_E_clISt17integral_constantIbLb0EES1B_IbLb1EEEEDaS17_S18_EUlS17_E_NS1_11comp_targetILNS1_3genE5ELNS1_11target_archE942ELNS1_3gpuE9ELNS1_3repE0EEENS1_30default_config_static_selectorELNS0_4arch9wavefront6targetE1EEEvT1_ ; -- Begin function _ZN7rocprim17ROCPRIM_400000_NS6detail17trampoline_kernelINS0_14default_configENS1_25partition_config_selectorILNS1_17partition_subalgoE8ElNS0_10empty_typeEbEEZZNS1_14partition_implILS5_8ELb0ES3_jPlPS6_PKS6_NS0_5tupleIJS9_S6_EEENSD_IJSA_SA_EEENS0_18inequality_wrapperIZN2at6native12_GLOBAL__N_124unique_dim_cuda_templateIlEESt5tupleIJNSH_6TensorESM_SM_EERKSM_lbbbEUlllE0_EEPmJS6_EEE10hipError_tPvRmT3_T4_T5_T6_T7_T9_mT8_P12ihipStream_tbDpT10_ENKUlT_T0_E_clISt17integral_constantIbLb0EES1B_IbLb1EEEEDaS17_S18_EUlS17_E_NS1_11comp_targetILNS1_3genE5ELNS1_11target_archE942ELNS1_3gpuE9ELNS1_3repE0EEENS1_30default_config_static_selectorELNS0_4arch9wavefront6targetE1EEEvT1_
	.p2align	8
	.type	_ZN7rocprim17ROCPRIM_400000_NS6detail17trampoline_kernelINS0_14default_configENS1_25partition_config_selectorILNS1_17partition_subalgoE8ElNS0_10empty_typeEbEEZZNS1_14partition_implILS5_8ELb0ES3_jPlPS6_PKS6_NS0_5tupleIJS9_S6_EEENSD_IJSA_SA_EEENS0_18inequality_wrapperIZN2at6native12_GLOBAL__N_124unique_dim_cuda_templateIlEESt5tupleIJNSH_6TensorESM_SM_EERKSM_lbbbEUlllE0_EEPmJS6_EEE10hipError_tPvRmT3_T4_T5_T6_T7_T9_mT8_P12ihipStream_tbDpT10_ENKUlT_T0_E_clISt17integral_constantIbLb0EES1B_IbLb1EEEEDaS17_S18_EUlS17_E_NS1_11comp_targetILNS1_3genE5ELNS1_11target_archE942ELNS1_3gpuE9ELNS1_3repE0EEENS1_30default_config_static_selectorELNS0_4arch9wavefront6targetE1EEEvT1_,@function
_ZN7rocprim17ROCPRIM_400000_NS6detail17trampoline_kernelINS0_14default_configENS1_25partition_config_selectorILNS1_17partition_subalgoE8ElNS0_10empty_typeEbEEZZNS1_14partition_implILS5_8ELb0ES3_jPlPS6_PKS6_NS0_5tupleIJS9_S6_EEENSD_IJSA_SA_EEENS0_18inequality_wrapperIZN2at6native12_GLOBAL__N_124unique_dim_cuda_templateIlEESt5tupleIJNSH_6TensorESM_SM_EERKSM_lbbbEUlllE0_EEPmJS6_EEE10hipError_tPvRmT3_T4_T5_T6_T7_T9_mT8_P12ihipStream_tbDpT10_ENKUlT_T0_E_clISt17integral_constantIbLb0EES1B_IbLb1EEEEDaS17_S18_EUlS17_E_NS1_11comp_targetILNS1_3genE5ELNS1_11target_archE942ELNS1_3gpuE9ELNS1_3repE0EEENS1_30default_config_static_selectorELNS0_4arch9wavefront6targetE1EEEvT1_: ; @_ZN7rocprim17ROCPRIM_400000_NS6detail17trampoline_kernelINS0_14default_configENS1_25partition_config_selectorILNS1_17partition_subalgoE8ElNS0_10empty_typeEbEEZZNS1_14partition_implILS5_8ELb0ES3_jPlPS6_PKS6_NS0_5tupleIJS9_S6_EEENSD_IJSA_SA_EEENS0_18inequality_wrapperIZN2at6native12_GLOBAL__N_124unique_dim_cuda_templateIlEESt5tupleIJNSH_6TensorESM_SM_EERKSM_lbbbEUlllE0_EEPmJS6_EEE10hipError_tPvRmT3_T4_T5_T6_T7_T9_mT8_P12ihipStream_tbDpT10_ENKUlT_T0_E_clISt17integral_constantIbLb0EES1B_IbLb1EEEEDaS17_S18_EUlS17_E_NS1_11comp_targetILNS1_3genE5ELNS1_11target_archE942ELNS1_3gpuE9ELNS1_3repE0EEENS1_30default_config_static_selectorELNS0_4arch9wavefront6targetE1EEEvT1_
; %bb.0:
	.section	.rodata,"a",@progbits
	.p2align	6, 0x0
	.amdhsa_kernel _ZN7rocprim17ROCPRIM_400000_NS6detail17trampoline_kernelINS0_14default_configENS1_25partition_config_selectorILNS1_17partition_subalgoE8ElNS0_10empty_typeEbEEZZNS1_14partition_implILS5_8ELb0ES3_jPlPS6_PKS6_NS0_5tupleIJS9_S6_EEENSD_IJSA_SA_EEENS0_18inequality_wrapperIZN2at6native12_GLOBAL__N_124unique_dim_cuda_templateIlEESt5tupleIJNSH_6TensorESM_SM_EERKSM_lbbbEUlllE0_EEPmJS6_EEE10hipError_tPvRmT3_T4_T5_T6_T7_T9_mT8_P12ihipStream_tbDpT10_ENKUlT_T0_E_clISt17integral_constantIbLb0EES1B_IbLb1EEEEDaS17_S18_EUlS17_E_NS1_11comp_targetILNS1_3genE5ELNS1_11target_archE942ELNS1_3gpuE9ELNS1_3repE0EEENS1_30default_config_static_selectorELNS0_4arch9wavefront6targetE1EEEvT1_
		.amdhsa_group_segment_fixed_size 0
		.amdhsa_private_segment_fixed_size 0
		.amdhsa_kernarg_size 136
		.amdhsa_user_sgpr_count 6
		.amdhsa_user_sgpr_private_segment_buffer 1
		.amdhsa_user_sgpr_dispatch_ptr 0
		.amdhsa_user_sgpr_queue_ptr 0
		.amdhsa_user_sgpr_kernarg_segment_ptr 1
		.amdhsa_user_sgpr_dispatch_id 0
		.amdhsa_user_sgpr_flat_scratch_init 0
		.amdhsa_user_sgpr_kernarg_preload_length 0
		.amdhsa_user_sgpr_kernarg_preload_offset 0
		.amdhsa_user_sgpr_private_segment_size 0
		.amdhsa_uses_dynamic_stack 0
		.amdhsa_system_sgpr_private_segment_wavefront_offset 0
		.amdhsa_system_sgpr_workgroup_id_x 1
		.amdhsa_system_sgpr_workgroup_id_y 0
		.amdhsa_system_sgpr_workgroup_id_z 0
		.amdhsa_system_sgpr_workgroup_info 0
		.amdhsa_system_vgpr_workitem_id 0
		.amdhsa_next_free_vgpr 1
		.amdhsa_next_free_sgpr 0
		.amdhsa_accum_offset 4
		.amdhsa_reserve_vcc 0
		.amdhsa_reserve_flat_scratch 0
		.amdhsa_float_round_mode_32 0
		.amdhsa_float_round_mode_16_64 0
		.amdhsa_float_denorm_mode_32 3
		.amdhsa_float_denorm_mode_16_64 3
		.amdhsa_dx10_clamp 1
		.amdhsa_ieee_mode 1
		.amdhsa_fp16_overflow 0
		.amdhsa_tg_split 0
		.amdhsa_exception_fp_ieee_invalid_op 0
		.amdhsa_exception_fp_denorm_src 0
		.amdhsa_exception_fp_ieee_div_zero 0
		.amdhsa_exception_fp_ieee_overflow 0
		.amdhsa_exception_fp_ieee_underflow 0
		.amdhsa_exception_fp_ieee_inexact 0
		.amdhsa_exception_int_div_zero 0
	.end_amdhsa_kernel
	.section	.text._ZN7rocprim17ROCPRIM_400000_NS6detail17trampoline_kernelINS0_14default_configENS1_25partition_config_selectorILNS1_17partition_subalgoE8ElNS0_10empty_typeEbEEZZNS1_14partition_implILS5_8ELb0ES3_jPlPS6_PKS6_NS0_5tupleIJS9_S6_EEENSD_IJSA_SA_EEENS0_18inequality_wrapperIZN2at6native12_GLOBAL__N_124unique_dim_cuda_templateIlEESt5tupleIJNSH_6TensorESM_SM_EERKSM_lbbbEUlllE0_EEPmJS6_EEE10hipError_tPvRmT3_T4_T5_T6_T7_T9_mT8_P12ihipStream_tbDpT10_ENKUlT_T0_E_clISt17integral_constantIbLb0EES1B_IbLb1EEEEDaS17_S18_EUlS17_E_NS1_11comp_targetILNS1_3genE5ELNS1_11target_archE942ELNS1_3gpuE9ELNS1_3repE0EEENS1_30default_config_static_selectorELNS0_4arch9wavefront6targetE1EEEvT1_,"axG",@progbits,_ZN7rocprim17ROCPRIM_400000_NS6detail17trampoline_kernelINS0_14default_configENS1_25partition_config_selectorILNS1_17partition_subalgoE8ElNS0_10empty_typeEbEEZZNS1_14partition_implILS5_8ELb0ES3_jPlPS6_PKS6_NS0_5tupleIJS9_S6_EEENSD_IJSA_SA_EEENS0_18inequality_wrapperIZN2at6native12_GLOBAL__N_124unique_dim_cuda_templateIlEESt5tupleIJNSH_6TensorESM_SM_EERKSM_lbbbEUlllE0_EEPmJS6_EEE10hipError_tPvRmT3_T4_T5_T6_T7_T9_mT8_P12ihipStream_tbDpT10_ENKUlT_T0_E_clISt17integral_constantIbLb0EES1B_IbLb1EEEEDaS17_S18_EUlS17_E_NS1_11comp_targetILNS1_3genE5ELNS1_11target_archE942ELNS1_3gpuE9ELNS1_3repE0EEENS1_30default_config_static_selectorELNS0_4arch9wavefront6targetE1EEEvT1_,comdat
.Lfunc_end588:
	.size	_ZN7rocprim17ROCPRIM_400000_NS6detail17trampoline_kernelINS0_14default_configENS1_25partition_config_selectorILNS1_17partition_subalgoE8ElNS0_10empty_typeEbEEZZNS1_14partition_implILS5_8ELb0ES3_jPlPS6_PKS6_NS0_5tupleIJS9_S6_EEENSD_IJSA_SA_EEENS0_18inequality_wrapperIZN2at6native12_GLOBAL__N_124unique_dim_cuda_templateIlEESt5tupleIJNSH_6TensorESM_SM_EERKSM_lbbbEUlllE0_EEPmJS6_EEE10hipError_tPvRmT3_T4_T5_T6_T7_T9_mT8_P12ihipStream_tbDpT10_ENKUlT_T0_E_clISt17integral_constantIbLb0EES1B_IbLb1EEEEDaS17_S18_EUlS17_E_NS1_11comp_targetILNS1_3genE5ELNS1_11target_archE942ELNS1_3gpuE9ELNS1_3repE0EEENS1_30default_config_static_selectorELNS0_4arch9wavefront6targetE1EEEvT1_, .Lfunc_end588-_ZN7rocprim17ROCPRIM_400000_NS6detail17trampoline_kernelINS0_14default_configENS1_25partition_config_selectorILNS1_17partition_subalgoE8ElNS0_10empty_typeEbEEZZNS1_14partition_implILS5_8ELb0ES3_jPlPS6_PKS6_NS0_5tupleIJS9_S6_EEENSD_IJSA_SA_EEENS0_18inequality_wrapperIZN2at6native12_GLOBAL__N_124unique_dim_cuda_templateIlEESt5tupleIJNSH_6TensorESM_SM_EERKSM_lbbbEUlllE0_EEPmJS6_EEE10hipError_tPvRmT3_T4_T5_T6_T7_T9_mT8_P12ihipStream_tbDpT10_ENKUlT_T0_E_clISt17integral_constantIbLb0EES1B_IbLb1EEEEDaS17_S18_EUlS17_E_NS1_11comp_targetILNS1_3genE5ELNS1_11target_archE942ELNS1_3gpuE9ELNS1_3repE0EEENS1_30default_config_static_selectorELNS0_4arch9wavefront6targetE1EEEvT1_
                                        ; -- End function
	.section	.AMDGPU.csdata,"",@progbits
; Kernel info:
; codeLenInByte = 0
; NumSgprs: 4
; NumVgprs: 0
; NumAgprs: 0
; TotalNumVgprs: 0
; ScratchSize: 0
; MemoryBound: 0
; FloatMode: 240
; IeeeMode: 1
; LDSByteSize: 0 bytes/workgroup (compile time only)
; SGPRBlocks: 0
; VGPRBlocks: 0
; NumSGPRsForWavesPerEU: 4
; NumVGPRsForWavesPerEU: 1
; AccumOffset: 4
; Occupancy: 8
; WaveLimiterHint : 0
; COMPUTE_PGM_RSRC2:SCRATCH_EN: 0
; COMPUTE_PGM_RSRC2:USER_SGPR: 6
; COMPUTE_PGM_RSRC2:TRAP_HANDLER: 0
; COMPUTE_PGM_RSRC2:TGID_X_EN: 1
; COMPUTE_PGM_RSRC2:TGID_Y_EN: 0
; COMPUTE_PGM_RSRC2:TGID_Z_EN: 0
; COMPUTE_PGM_RSRC2:TIDIG_COMP_CNT: 0
; COMPUTE_PGM_RSRC3_GFX90A:ACCUM_OFFSET: 0
; COMPUTE_PGM_RSRC3_GFX90A:TG_SPLIT: 0
	.section	.text._ZN7rocprim17ROCPRIM_400000_NS6detail17trampoline_kernelINS0_14default_configENS1_25partition_config_selectorILNS1_17partition_subalgoE8ElNS0_10empty_typeEbEEZZNS1_14partition_implILS5_8ELb0ES3_jPlPS6_PKS6_NS0_5tupleIJS9_S6_EEENSD_IJSA_SA_EEENS0_18inequality_wrapperIZN2at6native12_GLOBAL__N_124unique_dim_cuda_templateIlEESt5tupleIJNSH_6TensorESM_SM_EERKSM_lbbbEUlllE0_EEPmJS6_EEE10hipError_tPvRmT3_T4_T5_T6_T7_T9_mT8_P12ihipStream_tbDpT10_ENKUlT_T0_E_clISt17integral_constantIbLb0EES1B_IbLb1EEEEDaS17_S18_EUlS17_E_NS1_11comp_targetILNS1_3genE4ELNS1_11target_archE910ELNS1_3gpuE8ELNS1_3repE0EEENS1_30default_config_static_selectorELNS0_4arch9wavefront6targetE1EEEvT1_,"axG",@progbits,_ZN7rocprim17ROCPRIM_400000_NS6detail17trampoline_kernelINS0_14default_configENS1_25partition_config_selectorILNS1_17partition_subalgoE8ElNS0_10empty_typeEbEEZZNS1_14partition_implILS5_8ELb0ES3_jPlPS6_PKS6_NS0_5tupleIJS9_S6_EEENSD_IJSA_SA_EEENS0_18inequality_wrapperIZN2at6native12_GLOBAL__N_124unique_dim_cuda_templateIlEESt5tupleIJNSH_6TensorESM_SM_EERKSM_lbbbEUlllE0_EEPmJS6_EEE10hipError_tPvRmT3_T4_T5_T6_T7_T9_mT8_P12ihipStream_tbDpT10_ENKUlT_T0_E_clISt17integral_constantIbLb0EES1B_IbLb1EEEEDaS17_S18_EUlS17_E_NS1_11comp_targetILNS1_3genE4ELNS1_11target_archE910ELNS1_3gpuE8ELNS1_3repE0EEENS1_30default_config_static_selectorELNS0_4arch9wavefront6targetE1EEEvT1_,comdat
	.globl	_ZN7rocprim17ROCPRIM_400000_NS6detail17trampoline_kernelINS0_14default_configENS1_25partition_config_selectorILNS1_17partition_subalgoE8ElNS0_10empty_typeEbEEZZNS1_14partition_implILS5_8ELb0ES3_jPlPS6_PKS6_NS0_5tupleIJS9_S6_EEENSD_IJSA_SA_EEENS0_18inequality_wrapperIZN2at6native12_GLOBAL__N_124unique_dim_cuda_templateIlEESt5tupleIJNSH_6TensorESM_SM_EERKSM_lbbbEUlllE0_EEPmJS6_EEE10hipError_tPvRmT3_T4_T5_T6_T7_T9_mT8_P12ihipStream_tbDpT10_ENKUlT_T0_E_clISt17integral_constantIbLb0EES1B_IbLb1EEEEDaS17_S18_EUlS17_E_NS1_11comp_targetILNS1_3genE4ELNS1_11target_archE910ELNS1_3gpuE8ELNS1_3repE0EEENS1_30default_config_static_selectorELNS0_4arch9wavefront6targetE1EEEvT1_ ; -- Begin function _ZN7rocprim17ROCPRIM_400000_NS6detail17trampoline_kernelINS0_14default_configENS1_25partition_config_selectorILNS1_17partition_subalgoE8ElNS0_10empty_typeEbEEZZNS1_14partition_implILS5_8ELb0ES3_jPlPS6_PKS6_NS0_5tupleIJS9_S6_EEENSD_IJSA_SA_EEENS0_18inequality_wrapperIZN2at6native12_GLOBAL__N_124unique_dim_cuda_templateIlEESt5tupleIJNSH_6TensorESM_SM_EERKSM_lbbbEUlllE0_EEPmJS6_EEE10hipError_tPvRmT3_T4_T5_T6_T7_T9_mT8_P12ihipStream_tbDpT10_ENKUlT_T0_E_clISt17integral_constantIbLb0EES1B_IbLb1EEEEDaS17_S18_EUlS17_E_NS1_11comp_targetILNS1_3genE4ELNS1_11target_archE910ELNS1_3gpuE8ELNS1_3repE0EEENS1_30default_config_static_selectorELNS0_4arch9wavefront6targetE1EEEvT1_
	.p2align	8
	.type	_ZN7rocprim17ROCPRIM_400000_NS6detail17trampoline_kernelINS0_14default_configENS1_25partition_config_selectorILNS1_17partition_subalgoE8ElNS0_10empty_typeEbEEZZNS1_14partition_implILS5_8ELb0ES3_jPlPS6_PKS6_NS0_5tupleIJS9_S6_EEENSD_IJSA_SA_EEENS0_18inequality_wrapperIZN2at6native12_GLOBAL__N_124unique_dim_cuda_templateIlEESt5tupleIJNSH_6TensorESM_SM_EERKSM_lbbbEUlllE0_EEPmJS6_EEE10hipError_tPvRmT3_T4_T5_T6_T7_T9_mT8_P12ihipStream_tbDpT10_ENKUlT_T0_E_clISt17integral_constantIbLb0EES1B_IbLb1EEEEDaS17_S18_EUlS17_E_NS1_11comp_targetILNS1_3genE4ELNS1_11target_archE910ELNS1_3gpuE8ELNS1_3repE0EEENS1_30default_config_static_selectorELNS0_4arch9wavefront6targetE1EEEvT1_,@function
_ZN7rocprim17ROCPRIM_400000_NS6detail17trampoline_kernelINS0_14default_configENS1_25partition_config_selectorILNS1_17partition_subalgoE8ElNS0_10empty_typeEbEEZZNS1_14partition_implILS5_8ELb0ES3_jPlPS6_PKS6_NS0_5tupleIJS9_S6_EEENSD_IJSA_SA_EEENS0_18inequality_wrapperIZN2at6native12_GLOBAL__N_124unique_dim_cuda_templateIlEESt5tupleIJNSH_6TensorESM_SM_EERKSM_lbbbEUlllE0_EEPmJS6_EEE10hipError_tPvRmT3_T4_T5_T6_T7_T9_mT8_P12ihipStream_tbDpT10_ENKUlT_T0_E_clISt17integral_constantIbLb0EES1B_IbLb1EEEEDaS17_S18_EUlS17_E_NS1_11comp_targetILNS1_3genE4ELNS1_11target_archE910ELNS1_3gpuE8ELNS1_3repE0EEENS1_30default_config_static_selectorELNS0_4arch9wavefront6targetE1EEEvT1_: ; @_ZN7rocprim17ROCPRIM_400000_NS6detail17trampoline_kernelINS0_14default_configENS1_25partition_config_selectorILNS1_17partition_subalgoE8ElNS0_10empty_typeEbEEZZNS1_14partition_implILS5_8ELb0ES3_jPlPS6_PKS6_NS0_5tupleIJS9_S6_EEENSD_IJSA_SA_EEENS0_18inequality_wrapperIZN2at6native12_GLOBAL__N_124unique_dim_cuda_templateIlEESt5tupleIJNSH_6TensorESM_SM_EERKSM_lbbbEUlllE0_EEPmJS6_EEE10hipError_tPvRmT3_T4_T5_T6_T7_T9_mT8_P12ihipStream_tbDpT10_ENKUlT_T0_E_clISt17integral_constantIbLb0EES1B_IbLb1EEEEDaS17_S18_EUlS17_E_NS1_11comp_targetILNS1_3genE4ELNS1_11target_archE910ELNS1_3gpuE8ELNS1_3repE0EEENS1_30default_config_static_selectorELNS0_4arch9wavefront6targetE1EEEvT1_
; %bb.0:
	s_load_dwordx2 s[28:29], s[4:5], 0x28
	s_load_dwordx8 s[20:27], s[4:5], 0x40
	s_load_dwordx4 s[16:19], s[4:5], 0x60
	v_cmp_ne_u32_e64 s[2:3], 0, v0
	v_cmp_eq_u32_e64 s[0:1], 0, v0
	s_and_saveexec_b64 s[6:7], s[0:1]
	s_cbranch_execz .LBB589_4
; %bb.1:
	s_mov_b64 s[10:11], exec
	v_mbcnt_lo_u32_b32 v1, s10, 0
	v_mbcnt_hi_u32_b32 v1, s11, v1
	v_cmp_eq_u32_e32 vcc, 0, v1
                                        ; implicit-def: $vgpr2
	s_and_saveexec_b64 s[8:9], vcc
	s_cbranch_execz .LBB589_3
; %bb.2:
	s_load_dwordx2 s[12:13], s[4:5], 0x78
	s_bcnt1_i32_b64 s10, s[10:11]
	v_mov_b32_e32 v2, 0
	v_mov_b32_e32 v3, s10
	s_waitcnt lgkmcnt(0)
	global_atomic_add v2, v2, v3, s[12:13] glc
.LBB589_3:
	s_or_b64 exec, exec, s[8:9]
	s_waitcnt vmcnt(0)
	v_readfirstlane_b32 s8, v2
	v_add_u32_e32 v1, s8, v1
	v_mov_b32_e32 v2, 0
	ds_write_b32 v2, v1
.LBB589_4:
	s_or_b64 exec, exec, s[6:7]
	v_mov_b32_e32 v3, 0
	s_load_dwordx4 s[8:11], s[4:5], 0x8
	s_load_dword s12, s[4:5], 0x70
	s_waitcnt lgkmcnt(0)
	s_barrier
	ds_read_b32 v1, v3
	s_waitcnt lgkmcnt(0)
	s_barrier
	global_load_dwordx2 v[4:5], v3, s[22:23]
	s_lshl_b64 s[4:5], s[10:11], 3
	s_mul_i32 s14, s12, 0x500
	s_add_u32 s8, s8, s4
	s_addc_u32 s4, s9, s5
	s_add_i32 s5, s14, s10
	s_add_i32 s12, s12, -1
	s_sub_i32 s48, s24, s5
	v_mov_b32_e32 v8, s4
	s_add_u32 s4, s10, s14
	s_addc_u32 s5, s11, 0
	v_readfirstlane_b32 s33, v1
	v_mov_b32_e32 v6, s24
	v_mov_b32_e32 v7, s25
	s_movk_i32 s13, 0x500
	s_cmp_eq_u32 s33, s12
	v_mul_lo_u32 v2, v1, s13
	v_cmp_ge_u64_e32 vcc, s[4:5], v[6:7]
	s_cselect_b64 s[24:25], -1, 0
	v_lshlrev_b64 v[2:3], 3, v[2:3]
	s_and_b64 s[12:13], vcc, s[24:25]
	v_add_co_u32_e64 v18, s[4:5], s8, v2
	s_xor_b64 s[30:31], s[12:13], -1
	s_mov_b64 s[6:7], -1
	v_addc_co_u32_e64 v19, s[4:5], v8, v3, s[4:5]
	s_and_b64 vcc, exec, s[30:31]
	s_waitcnt vmcnt(0)
	v_readfirstlane_b32 s22, v4
	v_readfirstlane_b32 s23, v5
	s_cbranch_vccz .LBB589_6
; %bb.5:
	v_lshlrev_b32_e32 v1, 3, v0
	v_add_co_u32_e32 v12, vcc, v18, v1
	v_addc_co_u32_e32 v13, vcc, 0, v19, vcc
	v_add_co_u32_e32 v2, vcc, 0x1000, v12
	v_readfirstlane_b32 s4, v18
	v_readfirstlane_b32 s5, v19
	v_addc_co_u32_e32 v3, vcc, 0, v13, vcc
	s_nop 3
	global_load_dwordx2 v[4:5], v1, s[4:5]
	global_load_dwordx2 v[6:7], v1, s[4:5] offset:2048
	global_load_dwordx2 v[8:9], v[2:3], off
	global_load_dwordx2 v[10:11], v[2:3], off offset:2048
	v_add_co_u32_e32 v2, vcc, 0x2000, v12
	v_addc_co_u32_e32 v3, vcc, 0, v13, vcc
	global_load_dwordx2 v[2:3], v[2:3], off
	s_mov_b64 s[6:7], 0
	s_waitcnt vmcnt(3)
	ds_write2st64_b64 v1, v[4:5], v[6:7] offset1:4
	s_waitcnt vmcnt(1)
	ds_write2st64_b64 v1, v[8:9], v[10:11] offset0:8 offset1:12
	s_waitcnt vmcnt(0)
	ds_write_b64 v1, v[2:3] offset:8192
	s_waitcnt lgkmcnt(0)
	s_barrier
.LBB589_6:
	s_andn2_b64 vcc, exec, s[6:7]
	s_addk_i32 s48, 0x500
	s_cbranch_vccnz .LBB589_18
; %bb.7:
	v_cmp_gt_u32_e32 vcc, s48, v0
                                        ; implicit-def: $vgpr2_vgpr3_vgpr4_vgpr5_vgpr6_vgpr7_vgpr8_vgpr9_vgpr10_vgpr11_vgpr12_vgpr13_vgpr14_vgpr15_vgpr16_vgpr17
	s_and_saveexec_b64 s[4:5], vcc
	s_cbranch_execz .LBB589_9
; %bb.8:
	v_lshlrev_b32_e32 v1, 3, v0
	v_readfirstlane_b32 s6, v18
	v_readfirstlane_b32 s7, v19
	s_nop 4
	global_load_dwordx2 v[2:3], v1, s[6:7]
.LBB589_9:
	s_or_b64 exec, exec, s[4:5]
	v_or_b32_e32 v1, 0x100, v0
	v_cmp_gt_u32_e32 vcc, s48, v1
	s_and_saveexec_b64 s[4:5], vcc
	s_cbranch_execz .LBB589_11
; %bb.10:
	v_lshlrev_b32_e32 v1, 3, v0
	v_readfirstlane_b32 s6, v18
	v_readfirstlane_b32 s7, v19
	s_nop 4
	global_load_dwordx2 v[4:5], v1, s[6:7] offset:2048
.LBB589_11:
	s_or_b64 exec, exec, s[4:5]
	v_or_b32_e32 v1, 0x200, v0
	v_cmp_gt_u32_e32 vcc, s48, v1
	s_and_saveexec_b64 s[4:5], vcc
	s_cbranch_execz .LBB589_13
; %bb.12:
	v_lshlrev_b32_e32 v1, 3, v1
	v_readfirstlane_b32 s6, v18
	v_readfirstlane_b32 s7, v19
	s_nop 4
	global_load_dwordx2 v[6:7], v1, s[6:7]
.LBB589_13:
	s_or_b64 exec, exec, s[4:5]
	v_or_b32_e32 v1, 0x300, v0
	v_cmp_gt_u32_e32 vcc, s48, v1
	s_and_saveexec_b64 s[4:5], vcc
	s_cbranch_execz .LBB589_15
; %bb.14:
	v_lshlrev_b32_e32 v1, 3, v1
	v_readfirstlane_b32 s6, v18
	v_readfirstlane_b32 s7, v19
	s_nop 4
	global_load_dwordx2 v[8:9], v1, s[6:7]
.LBB589_15:
	;; [unrolled: 12-line block ×3, first 2 shown]
	s_or_b64 exec, exec, s[4:5]
	v_lshlrev_b32_e32 v1, 3, v0
	s_waitcnt vmcnt(0)
	ds_write2st64_b64 v1, v[2:3], v[4:5] offset1:4
	ds_write2st64_b64 v1, v[6:7], v[8:9] offset0:8 offset1:12
	ds_write_b64 v1, v[10:11] offset:8192
	s_waitcnt lgkmcnt(0)
	s_barrier
.LBB589_18:
	v_mul_u32_u24_e32 v1, 5, v0
	v_lshlrev_b32_e32 v26, 3, v1
	ds_read2_b64 v[6:9], v26 offset1:1
	ds_read2_b64 v[2:5], v26 offset0:2 offset1:3
	ds_read_b64 v[10:11], v26 offset:32
	s_cmp_lg_u32 s33, 0
	s_cselect_b64 s[34:35], -1, 0
	s_cmp_lg_u64 s[10:11], 0
	s_cselect_b64 s[4:5], -1, 0
	s_or_b64 s[4:5], s[4:5], s[34:35]
	v_mad_u32_u24 v24, v0, 5, 1
	v_mad_u32_u24 v22, v0, 5, 2
	;; [unrolled: 1-line block ×4, first 2 shown]
	s_mov_b64 s[14:15], 0
	s_and_b64 vcc, exec, s[4:5]
	v_cmp_gt_i64_e64 s[4:5], s[26:27], 0
	s_waitcnt lgkmcnt(0)
	s_barrier
	s_cbranch_vccz .LBB589_27
; %bb.19:
	global_load_dwordx2 v[14:15], v[18:19], off offset:-8
	v_cndmask_b32_e64 v12, 0, 1, s[4:5]
	v_lshlrev_b32_e32 v27, 3, v0
	s_mov_b64 s[10:11], 0
	s_and_b64 vcc, exec, s[30:31]
	v_cmp_ne_u32_e64 s[4:5], 1, v12
	ds_write_b64 v27, v[10:11]
	s_cbranch_vccz .LBB589_28
; %bb.20:
	v_mul_lo_u32 v16, v5, s26
	v_mul_lo_u32 v17, v4, s27
	v_mad_u64_u32 v[12:13], s[6:7], v4, s26, 0
	v_add3_u32 v13, v13, v17, v16
	s_and_b64 vcc, exec, s[4:5]
	v_lshlrev_b64 v[12:13], 3, v[12:13]
	s_cbranch_vccnz .LBB589_31
; %bb.21:
	v_mul_lo_u32 v18, v11, s26
	v_mul_lo_u32 v19, v10, s27
	v_mad_u64_u32 v[16:17], s[6:7], v10, s26, 0
	v_add3_u32 v17, v17, v19, v18
	v_mov_b32_e32 v19, s17
	v_add_co_u32_e32 v18, vcc, s16, v12
	v_addc_co_u32_e64 v19, s[6:7], v19, v13, vcc
	v_lshlrev_b64 v[16:17], 3, v[16:17]
	v_mov_b32_e32 v21, s17
	v_add_co_u32_e64 v20, s[6:7], s16, v16
	v_addc_co_u32_e64 v21, s[8:9], v21, v17, s[6:7]
	global_load_dwordx2 v[28:29], v[18:19], off
	global_load_dwordx2 v[30:31], v[20:21], off
	s_mov_b64 s[10:11], -1
	s_waitcnt vmcnt(0)
	v_cmp_eq_u64_e64 s[8:9], v[28:29], v[30:31]
	s_and_saveexec_b64 s[14:15], s[8:9]
	s_cbranch_execz .LBB589_30
; %bb.22:
	v_mov_b32_e32 v16, s17
	v_addc_co_u32_e64 v17, s[6:7], v17, v16, s[6:7]
	v_add_co_u32_e64 v16, s[6:7], 8, v20
	v_mov_b32_e32 v19, s17
	v_addc_co_u32_e64 v17, s[6:7], 0, v17, s[6:7]
	v_addc_co_u32_e32 v19, vcc, v13, v19, vcc
	v_add_co_u32_e32 v18, vcc, 8, v18
	s_add_u32 s6, s26, -1
	v_addc_co_u32_e32 v19, vcc, 0, v19, vcc
	s_addc_u32 s7, s27, -1
	s_mov_b64 s[8:9], 0
	s_mov_b64 s[36:37], 0
                                        ; implicit-def: $sgpr10_sgpr11
	s_branch .LBB589_25
.LBB589_23:                             ;   in Loop: Header=BB589_25 Depth=1
	global_load_dwordx2 v[20:21], v[18:19], off
	global_load_dwordx2 v[28:29], v[16:17], off
	v_add_co_u32_e32 v16, vcc, 8, v16
	v_addc_co_u32_e32 v17, vcc, 0, v17, vcc
	v_add_co_u32_e32 v18, vcc, 8, v18
	v_addc_co_u32_e32 v19, vcc, 0, v19, vcc
	s_add_u32 s36, s36, 1
	s_addc_u32 s37, s37, 0
	s_andn2_b64 s[10:11], s[10:11], exec
	s_waitcnt vmcnt(0)
	v_cmp_ne_u64_e32 vcc, v[20:21], v[28:29]
	s_and_b64 s[38:39], vcc, exec
	s_or_b64 s[10:11], s[10:11], s[38:39]
.LBB589_24:                             ;   in Loop: Header=BB589_25 Depth=1
	s_and_b64 s[38:39], exec, s[10:11]
	s_or_b64 s[8:9], s[38:39], s[8:9]
	v_pk_mov_b32 v[20:21], s[36:37], s[36:37] op_sel:[0,1]
	s_andn2_b64 exec, exec, s[8:9]
	s_cbranch_execz .LBB589_29
.LBB589_25:                             ; =>This Inner Loop Header: Depth=1
	s_or_b64 s[10:11], s[10:11], exec
	s_cmp_eq_u64 s[6:7], s[36:37]
	s_cbranch_scc0 .LBB589_23
; %bb.26:                               ;   in Loop: Header=BB589_25 Depth=1
                                        ; implicit-def: $vgpr16_vgpr17
                                        ; implicit-def: $vgpr18_vgpr19
	s_mov_b64 s[36:37], s[26:27]
	s_branch .LBB589_24
.LBB589_27:
                                        ; implicit-def: $sgpr36_sgpr37
                                        ; implicit-def: $vgpr13
                                        ; implicit-def: $vgpr16
	s_branch .LBB589_129
.LBB589_28:
                                        ; implicit-def: $sgpr36_sgpr37
                                        ; implicit-def: $vgpr13
                                        ; implicit-def: $vgpr16
	s_cbranch_execnz .LBB589_70
	s_branch .LBB589_128
.LBB589_29:
	s_or_b64 exec, exec, s[8:9]
	v_cmp_gt_i64_e32 vcc, s[26:27], v[20:21]
	s_orn2_b64 s[10:11], vcc, exec
.LBB589_30:
	s_or_b64 exec, exec, s[14:15]
.LBB589_31:
	v_mul_lo_u32 v18, v3, s26
	v_mul_lo_u32 v19, v2, s27
	v_mad_u64_u32 v[16:17], s[6:7], v2, s26, 0
	v_add3_u32 v17, v17, v19, v18
	s_mov_b64 s[14:15], 0
	s_and_b64 vcc, exec, s[4:5]
	v_lshlrev_b64 v[18:19], 3, v[16:17]
	s_mov_b64 s[36:37], 0
	s_cbranch_vccnz .LBB589_40
; %bb.32:
	v_mov_b32_e32 v17, s17
	v_add_co_u32_e32 v16, vcc, s16, v18
	v_addc_co_u32_e64 v17, s[6:7], v17, v19, vcc
	v_mov_b32_e32 v21, s17
	v_add_co_u32_e64 v20, s[6:7], s16, v12
	v_addc_co_u32_e64 v21, s[8:9], v21, v13, s[6:7]
	global_load_dwordx2 v[28:29], v[16:17], off
	global_load_dwordx2 v[30:31], v[20:21], off
	s_mov_b64 s[36:37], -1
	s_waitcnt vmcnt(0)
	v_cmp_eq_u64_e64 s[8:9], v[28:29], v[30:31]
	s_and_saveexec_b64 s[38:39], s[8:9]
	s_cbranch_execz .LBB589_39
; %bb.33:
	v_mov_b32_e32 v12, s17
	v_addc_co_u32_e64 v13, s[6:7], v13, v12, s[6:7]
	v_add_co_u32_e64 v12, s[6:7], 8, v20
	v_mov_b32_e32 v17, s17
	v_addc_co_u32_e64 v13, s[6:7], 0, v13, s[6:7]
	v_addc_co_u32_e32 v17, vcc, v19, v17, vcc
	v_add_co_u32_e32 v16, vcc, 8, v16
	s_add_u32 s6, s26, -1
	v_addc_co_u32_e32 v17, vcc, 0, v17, vcc
	s_addc_u32 s7, s27, -1
	s_mov_b64 s[8:9], 0
	s_mov_b64 s[40:41], 0
                                        ; implicit-def: $sgpr36_sgpr37
	s_branch .LBB589_36
.LBB589_34:                             ;   in Loop: Header=BB589_36 Depth=1
	global_load_dwordx2 v[20:21], v[16:17], off
	global_load_dwordx2 v[28:29], v[12:13], off
	v_add_co_u32_e32 v12, vcc, 8, v12
	v_addc_co_u32_e32 v13, vcc, 0, v13, vcc
	v_add_co_u32_e32 v16, vcc, 8, v16
	v_addc_co_u32_e32 v17, vcc, 0, v17, vcc
	s_add_u32 s40, s40, 1
	s_addc_u32 s41, s41, 0
	s_andn2_b64 s[36:37], s[36:37], exec
	s_waitcnt vmcnt(0)
	v_cmp_ne_u64_e32 vcc, v[20:21], v[28:29]
	s_and_b64 s[42:43], vcc, exec
	s_or_b64 s[36:37], s[36:37], s[42:43]
.LBB589_35:                             ;   in Loop: Header=BB589_36 Depth=1
	s_and_b64 s[42:43], exec, s[36:37]
	s_or_b64 s[8:9], s[42:43], s[8:9]
	v_pk_mov_b32 v[20:21], s[40:41], s[40:41] op_sel:[0,1]
	s_andn2_b64 exec, exec, s[8:9]
	s_cbranch_execz .LBB589_38
.LBB589_36:                             ; =>This Inner Loop Header: Depth=1
	s_or_b64 s[36:37], s[36:37], exec
	s_cmp_eq_u64 s[6:7], s[40:41]
	s_cbranch_scc0 .LBB589_34
; %bb.37:                               ;   in Loop: Header=BB589_36 Depth=1
                                        ; implicit-def: $vgpr12_vgpr13
                                        ; implicit-def: $vgpr16_vgpr17
	s_mov_b64 s[40:41], s[26:27]
	s_branch .LBB589_35
.LBB589_38:
	s_or_b64 exec, exec, s[8:9]
	v_cmp_gt_i64_e32 vcc, s[26:27], v[20:21]
	s_orn2_b64 s[36:37], vcc, exec
.LBB589_39:
	s_or_b64 exec, exec, s[38:39]
.LBB589_40:
	v_mul_lo_u32 v16, v9, s26
	v_mul_lo_u32 v17, v8, s27
	v_mad_u64_u32 v[12:13], s[6:7], v8, s26, 0
	v_add3_u32 v13, v13, v17, v16
	s_and_b64 vcc, exec, s[4:5]
	v_lshlrev_b64 v[16:17], 3, v[12:13]
	s_cbranch_vccnz .LBB589_49
; %bb.41:
	v_mov_b32_e32 v12, s17
	v_add_co_u32_e32 v20, vcc, s16, v16
	v_addc_co_u32_e64 v21, s[6:7], v12, v17, vcc
	v_mov_b32_e32 v13, s17
	v_add_co_u32_e64 v12, s[6:7], s16, v18
	v_addc_co_u32_e64 v13, s[8:9], v13, v19, s[6:7]
	global_load_dwordx2 v[28:29], v[20:21], off
	global_load_dwordx2 v[30:31], v[12:13], off
	s_mov_b64 s[14:15], -1
	s_waitcnt vmcnt(0)
	v_cmp_eq_u64_e64 s[8:9], v[28:29], v[30:31]
	s_and_saveexec_b64 s[38:39], s[8:9]
	s_cbranch_execz .LBB589_48
; %bb.42:
	v_mov_b32_e32 v13, s17
	v_addc_co_u32_e64 v13, s[6:7], v19, v13, s[6:7]
	v_add_co_u32_e64 v12, s[6:7], 8, v12
	v_mov_b32_e32 v18, s17
	v_addc_co_u32_e64 v13, s[6:7], 0, v13, s[6:7]
	v_addc_co_u32_e32 v19, vcc, v17, v18, vcc
	v_add_co_u32_e32 v18, vcc, 8, v20
	s_add_u32 s6, s26, -1
	v_addc_co_u32_e32 v19, vcc, 0, v19, vcc
	s_addc_u32 s7, s27, -1
	s_mov_b64 s[8:9], 0
	s_mov_b64 s[40:41], 0
                                        ; implicit-def: $sgpr14_sgpr15
	s_branch .LBB589_45
.LBB589_43:                             ;   in Loop: Header=BB589_45 Depth=1
	global_load_dwordx2 v[20:21], v[18:19], off
	global_load_dwordx2 v[28:29], v[12:13], off
	v_add_co_u32_e32 v12, vcc, 8, v12
	v_addc_co_u32_e32 v13, vcc, 0, v13, vcc
	v_add_co_u32_e32 v18, vcc, 8, v18
	v_addc_co_u32_e32 v19, vcc, 0, v19, vcc
	s_add_u32 s40, s40, 1
	s_addc_u32 s41, s41, 0
	s_andn2_b64 s[14:15], s[14:15], exec
	s_waitcnt vmcnt(0)
	v_cmp_ne_u64_e32 vcc, v[20:21], v[28:29]
	s_and_b64 s[42:43], vcc, exec
	s_or_b64 s[14:15], s[14:15], s[42:43]
.LBB589_44:                             ;   in Loop: Header=BB589_45 Depth=1
	s_and_b64 s[42:43], exec, s[14:15]
	s_or_b64 s[8:9], s[42:43], s[8:9]
	v_pk_mov_b32 v[20:21], s[40:41], s[40:41] op_sel:[0,1]
	s_andn2_b64 exec, exec, s[8:9]
	s_cbranch_execz .LBB589_47
.LBB589_45:                             ; =>This Inner Loop Header: Depth=1
	s_or_b64 s[14:15], s[14:15], exec
	s_cmp_eq_u64 s[6:7], s[40:41]
	s_cbranch_scc0 .LBB589_43
; %bb.46:                               ;   in Loop: Header=BB589_45 Depth=1
                                        ; implicit-def: $vgpr12_vgpr13
                                        ; implicit-def: $vgpr18_vgpr19
	s_mov_b64 s[40:41], s[26:27]
	s_branch .LBB589_44
.LBB589_47:
	s_or_b64 exec, exec, s[8:9]
	v_cmp_gt_i64_e32 vcc, s[26:27], v[20:21]
	s_orn2_b64 s[14:15], vcc, exec
.LBB589_48:
	s_or_b64 exec, exec, s[38:39]
.LBB589_49:
	v_mul_lo_u32 v18, v7, s26
	v_mul_lo_u32 v19, v6, s27
	v_mad_u64_u32 v[12:13], s[6:7], v6, s26, 0
	v_add3_u32 v13, v13, v19, v18
	s_mov_b64 s[40:41], 0
	s_and_b64 vcc, exec, s[4:5]
	v_lshlrev_b64 v[12:13], 3, v[12:13]
	s_cbranch_vccnz .LBB589_58
; %bb.50:
	v_mov_b32_e32 v19, s17
	v_add_co_u32_e32 v18, vcc, s16, v12
	v_addc_co_u32_e64 v19, s[6:7], v19, v13, vcc
	v_mov_b32_e32 v21, s17
	v_add_co_u32_e64 v20, s[6:7], s16, v16
	v_addc_co_u32_e64 v21, s[8:9], v21, v17, s[6:7]
	global_load_dwordx2 v[28:29], v[18:19], off
	global_load_dwordx2 v[30:31], v[20:21], off
	s_mov_b64 s[40:41], -1
	s_waitcnt vmcnt(0)
	v_cmp_eq_u64_e64 s[8:9], v[28:29], v[30:31]
	s_and_saveexec_b64 s[38:39], s[8:9]
	s_cbranch_execz .LBB589_57
; %bb.51:
	v_mov_b32_e32 v16, s17
	v_addc_co_u32_e64 v17, s[6:7], v17, v16, s[6:7]
	v_add_co_u32_e64 v16, s[6:7], 8, v20
	v_mov_b32_e32 v19, s17
	v_addc_co_u32_e64 v17, s[6:7], 0, v17, s[6:7]
	v_addc_co_u32_e32 v19, vcc, v13, v19, vcc
	v_add_co_u32_e32 v18, vcc, 8, v18
	s_add_u32 s6, s26, -1
	v_addc_co_u32_e32 v19, vcc, 0, v19, vcc
	s_addc_u32 s7, s27, -1
	s_mov_b64 s[8:9], 0
	s_mov_b64 s[42:43], 0
                                        ; implicit-def: $sgpr40_sgpr41
	s_branch .LBB589_54
.LBB589_52:                             ;   in Loop: Header=BB589_54 Depth=1
	global_load_dwordx2 v[20:21], v[18:19], off
	global_load_dwordx2 v[28:29], v[16:17], off
	v_add_co_u32_e32 v16, vcc, 8, v16
	v_addc_co_u32_e32 v17, vcc, 0, v17, vcc
	v_add_co_u32_e32 v18, vcc, 8, v18
	v_addc_co_u32_e32 v19, vcc, 0, v19, vcc
	s_add_u32 s42, s42, 1
	s_addc_u32 s43, s43, 0
	s_andn2_b64 s[40:41], s[40:41], exec
	s_waitcnt vmcnt(0)
	v_cmp_ne_u64_e32 vcc, v[20:21], v[28:29]
	s_and_b64 s[44:45], vcc, exec
	s_or_b64 s[40:41], s[40:41], s[44:45]
.LBB589_53:                             ;   in Loop: Header=BB589_54 Depth=1
	s_and_b64 s[44:45], exec, s[40:41]
	s_or_b64 s[8:9], s[44:45], s[8:9]
	v_pk_mov_b32 v[20:21], s[42:43], s[42:43] op_sel:[0,1]
	s_andn2_b64 exec, exec, s[8:9]
	s_cbranch_execz .LBB589_56
.LBB589_54:                             ; =>This Inner Loop Header: Depth=1
	s_or_b64 s[40:41], s[40:41], exec
	s_cmp_eq_u64 s[6:7], s[42:43]
	s_cbranch_scc0 .LBB589_52
; %bb.55:                               ;   in Loop: Header=BB589_54 Depth=1
                                        ; implicit-def: $vgpr16_vgpr17
                                        ; implicit-def: $vgpr18_vgpr19
	s_mov_b64 s[42:43], s[26:27]
	s_branch .LBB589_53
.LBB589_56:
	s_or_b64 exec, exec, s[8:9]
	v_cmp_gt_i64_e32 vcc, s[26:27], v[20:21]
	s_orn2_b64 s[40:41], vcc, exec
.LBB589_57:
	s_or_b64 exec, exec, s[38:39]
.LBB589_58:
	s_waitcnt vmcnt(0)
	v_pk_mov_b32 v[16:17], v[14:15], v[14:15] op_sel:[0,1]
	s_waitcnt lgkmcnt(0)
	s_barrier
	s_and_saveexec_b64 s[6:7], s[2:3]
	s_cbranch_execz .LBB589_60
; %bb.59:
	v_add_u32_e32 v16, -8, v27
	ds_read_b64 v[16:17], v16
.LBB589_60:
	s_or_b64 exec, exec, s[6:7]
	v_cndmask_b32_e64 v19, 0, 1, s[36:37]
	v_cndmask_b32_e64 v18, 0, 1, s[14:15]
	v_cndmask_b32_e64 v20, 0, 1, s[40:41]
	v_lshlrev_b16_e32 v19, 8, v19
	v_lshlrev_b16_e32 v28, 8, v20
	v_or_b32_sdwa v29, v18, v19 dst_sel:WORD_1 dst_unused:UNUSED_PAD src0_sel:DWORD src1_sel:DWORD
	s_mov_b64 s[14:15], 0
	s_and_b64 vcc, exec, s[4:5]
	s_mov_b64 s[36:37], 0
	s_cbranch_vccnz .LBB589_69
; %bb.61:
	s_waitcnt lgkmcnt(0)
	v_mul_lo_u32 v18, v17, s26
	v_mul_lo_u32 v19, v16, s27
	v_mad_u64_u32 v[16:17], s[6:7], v16, s26, 0
	v_add3_u32 v17, v17, v19, v18
	v_lshlrev_b64 v[16:17], 3, v[16:17]
	v_mov_b32_e32 v19, s17
	v_add_co_u32_e32 v18, vcc, s16, v16
	v_addc_co_u32_e64 v19, s[6:7], v19, v17, vcc
	v_mov_b32_e32 v16, s17
	v_add_co_u32_e64 v20, s[6:7], s16, v12
	v_addc_co_u32_e64 v21, s[8:9], v16, v13, s[6:7]
	global_load_dwordx2 v[30:31], v[18:19], off
	global_load_dwordx2 v[32:33], v[20:21], off
	s_mov_b64 s[36:37], -1
	s_waitcnt vmcnt(0)
	v_cmp_eq_u64_e64 s[8:9], v[30:31], v[32:33]
	s_and_saveexec_b64 s[38:39], s[8:9]
	s_cbranch_execz .LBB589_68
; %bb.62:
	v_mov_b32_e32 v12, s17
	v_addc_co_u32_e64 v13, s[6:7], v13, v12, s[6:7]
	v_add_co_u32_e64 v12, s[6:7], 8, v20
	v_mov_b32_e32 v16, s17
	v_addc_co_u32_e64 v13, s[6:7], 0, v13, s[6:7]
	v_addc_co_u32_e32 v17, vcc, v17, v16, vcc
	v_add_co_u32_e32 v16, vcc, 8, v18
	s_add_u32 s6, s26, -1
	v_addc_co_u32_e32 v17, vcc, 0, v17, vcc
	s_addc_u32 s7, s27, -1
	s_mov_b64 s[8:9], 0
	s_mov_b64 s[40:41], 0
                                        ; implicit-def: $sgpr36_sgpr37
	s_branch .LBB589_65
.LBB589_63:                             ;   in Loop: Header=BB589_65 Depth=1
	global_load_dwordx2 v[18:19], v[16:17], off
	global_load_dwordx2 v[20:21], v[12:13], off
	v_add_co_u32_e32 v12, vcc, 8, v12
	v_addc_co_u32_e32 v13, vcc, 0, v13, vcc
	v_add_co_u32_e32 v16, vcc, 8, v16
	v_addc_co_u32_e32 v17, vcc, 0, v17, vcc
	s_add_u32 s40, s40, 1
	s_addc_u32 s41, s41, 0
	s_andn2_b64 s[36:37], s[36:37], exec
	s_waitcnt vmcnt(0)
	v_cmp_ne_u64_e32 vcc, v[18:19], v[20:21]
	s_and_b64 s[42:43], vcc, exec
	s_or_b64 s[36:37], s[36:37], s[42:43]
.LBB589_64:                             ;   in Loop: Header=BB589_65 Depth=1
	s_and_b64 s[42:43], exec, s[36:37]
	s_or_b64 s[8:9], s[42:43], s[8:9]
	v_pk_mov_b32 v[18:19], s[40:41], s[40:41] op_sel:[0,1]
	s_andn2_b64 exec, exec, s[8:9]
	s_cbranch_execz .LBB589_67
.LBB589_65:                             ; =>This Inner Loop Header: Depth=1
	s_or_b64 s[36:37], s[36:37], exec
	s_cmp_eq_u64 s[6:7], s[40:41]
	s_cbranch_scc0 .LBB589_63
; %bb.66:                               ;   in Loop: Header=BB589_65 Depth=1
                                        ; implicit-def: $vgpr12_vgpr13
                                        ; implicit-def: $vgpr16_vgpr17
	s_mov_b64 s[40:41], s[26:27]
	s_branch .LBB589_64
.LBB589_67:
	s_or_b64 exec, exec, s[8:9]
	v_cmp_gt_i64_e32 vcc, s[26:27], v[18:19]
	s_orn2_b64 s[36:37], vcc, exec
.LBB589_68:
	s_or_b64 exec, exec, s[38:39]
.LBB589_69:
	v_cndmask_b32_e64 v13, 0, 1, s[10:11]
	s_waitcnt lgkmcnt(0)
	v_or_b32_e32 v16, v28, v29
	s_and_b64 vcc, exec, s[14:15]
	s_cbranch_vccz .LBB589_128
.LBB589_70:
	v_cmp_gt_u32_e32 vcc, s48, v23
	s_mov_b64 s[14:15], 0
	s_mov_b64 s[10:11], 0
	s_and_saveexec_b64 s[36:37], vcc
	s_cbranch_execz .LBB589_81
; %bb.71:
	s_and_b64 vcc, exec, s[4:5]
	s_mov_b64 s[38:39], 0
	s_cbranch_vccnz .LBB589_80
; %bb.72:
	v_mul_lo_u32 v16, v5, s26
	v_mul_lo_u32 v17, v4, s27
	v_mad_u64_u32 v[12:13], s[6:7], v4, s26, 0
	v_add3_u32 v13, v13, v17, v16
	v_mul_lo_u32 v16, v11, s26
	v_mul_lo_u32 v17, v10, s27
	v_mad_u64_u32 v[20:21], s[6:7], v10, s26, 0
	v_add3_u32 v21, v21, v17, v16
	v_lshlrev_b64 v[16:17], 3, v[12:13]
	v_mov_b32_e32 v12, s17
	v_add_co_u32_e32 v18, vcc, s16, v16
	v_addc_co_u32_e64 v19, s[6:7], v12, v17, vcc
	v_lshlrev_b64 v[12:13], 3, v[20:21]
	v_mov_b32_e32 v16, s17
	v_add_co_u32_e64 v20, s[6:7], s16, v12
	v_addc_co_u32_e64 v21, s[8:9], v16, v13, s[6:7]
	global_load_dwordx2 v[28:29], v[18:19], off
	global_load_dwordx2 v[30:31], v[20:21], off
	s_mov_b64 s[38:39], -1
	s_waitcnt vmcnt(0)
	v_cmp_eq_u64_e64 s[8:9], v[28:29], v[30:31]
	s_and_saveexec_b64 s[10:11], s[8:9]
	s_cbranch_execz .LBB589_79
; %bb.73:
	v_mov_b32_e32 v12, s17
	v_addc_co_u32_e64 v13, s[6:7], v13, v12, s[6:7]
	v_add_co_u32_e64 v12, s[6:7], 8, v20
	v_mov_b32_e32 v16, s17
	v_addc_co_u32_e64 v13, s[6:7], 0, v13, s[6:7]
	v_addc_co_u32_e32 v17, vcc, v17, v16, vcc
	v_add_co_u32_e32 v16, vcc, 8, v18
	s_add_u32 s6, s26, -1
	v_addc_co_u32_e32 v17, vcc, 0, v17, vcc
	s_addc_u32 s7, s27, -1
	s_mov_b64 s[8:9], 0
	s_mov_b64 s[40:41], 0
                                        ; implicit-def: $sgpr38_sgpr39
	s_branch .LBB589_76
.LBB589_74:                             ;   in Loop: Header=BB589_76 Depth=1
	global_load_dwordx2 v[18:19], v[16:17], off
	global_load_dwordx2 v[20:21], v[12:13], off
	v_add_co_u32_e32 v12, vcc, 8, v12
	v_addc_co_u32_e32 v13, vcc, 0, v13, vcc
	v_add_co_u32_e32 v16, vcc, 8, v16
	v_addc_co_u32_e32 v17, vcc, 0, v17, vcc
	s_add_u32 s40, s40, 1
	s_addc_u32 s41, s41, 0
	s_andn2_b64 s[38:39], s[38:39], exec
	s_waitcnt vmcnt(0)
	v_cmp_ne_u64_e32 vcc, v[18:19], v[20:21]
	s_and_b64 s[42:43], vcc, exec
	s_or_b64 s[38:39], s[38:39], s[42:43]
.LBB589_75:                             ;   in Loop: Header=BB589_76 Depth=1
	s_and_b64 s[42:43], exec, s[38:39]
	s_or_b64 s[8:9], s[42:43], s[8:9]
	v_pk_mov_b32 v[18:19], s[40:41], s[40:41] op_sel:[0,1]
	s_andn2_b64 exec, exec, s[8:9]
	s_cbranch_execz .LBB589_78
.LBB589_76:                             ; =>This Inner Loop Header: Depth=1
	s_or_b64 s[38:39], s[38:39], exec
	s_cmp_eq_u64 s[6:7], s[40:41]
	s_cbranch_scc0 .LBB589_74
; %bb.77:                               ;   in Loop: Header=BB589_76 Depth=1
                                        ; implicit-def: $vgpr12_vgpr13
                                        ; implicit-def: $vgpr16_vgpr17
	s_mov_b64 s[40:41], s[26:27]
	s_branch .LBB589_75
.LBB589_78:
	s_or_b64 exec, exec, s[8:9]
	v_cmp_gt_i64_e32 vcc, s[26:27], v[18:19]
	s_orn2_b64 s[38:39], vcc, exec
.LBB589_79:
	s_or_b64 exec, exec, s[10:11]
.LBB589_80:
	s_and_b64 s[10:11], s[38:39], exec
.LBB589_81:
	s_or_b64 exec, exec, s[36:37]
	v_cmp_gt_u32_e32 vcc, s48, v25
	s_and_saveexec_b64 s[36:37], vcc
	s_cbranch_execz .LBB589_92
; %bb.82:
	s_and_b64 vcc, exec, s[4:5]
	s_mov_b64 s[38:39], 0
	s_cbranch_vccnz .LBB589_91
; %bb.83:
	v_mul_lo_u32 v16, v3, s26
	v_mul_lo_u32 v17, v2, s27
	v_mad_u64_u32 v[12:13], s[6:7], v2, s26, 0
	v_add3_u32 v13, v13, v17, v16
	v_mul_lo_u32 v16, v5, s26
	v_mul_lo_u32 v17, v4, s27
	v_mad_u64_u32 v[20:21], s[6:7], v4, s26, 0
	v_add3_u32 v21, v21, v17, v16
	v_lshlrev_b64 v[16:17], 3, v[12:13]
	v_mov_b32_e32 v12, s17
	v_add_co_u32_e32 v18, vcc, s16, v16
	v_addc_co_u32_e64 v19, s[6:7], v12, v17, vcc
	v_lshlrev_b64 v[12:13], 3, v[20:21]
	v_mov_b32_e32 v16, s17
	v_add_co_u32_e64 v20, s[6:7], s16, v12
	v_addc_co_u32_e64 v21, s[8:9], v16, v13, s[6:7]
	global_load_dwordx2 v[28:29], v[18:19], off
	global_load_dwordx2 v[30:31], v[20:21], off
	s_mov_b64 s[38:39], -1
	s_waitcnt vmcnt(0)
	v_cmp_eq_u64_e64 s[8:9], v[28:29], v[30:31]
	s_and_saveexec_b64 s[14:15], s[8:9]
	s_cbranch_execz .LBB589_90
; %bb.84:
	v_mov_b32_e32 v12, s17
	v_addc_co_u32_e64 v13, s[6:7], v13, v12, s[6:7]
	v_add_co_u32_e64 v12, s[6:7], 8, v20
	v_mov_b32_e32 v16, s17
	v_addc_co_u32_e64 v13, s[6:7], 0, v13, s[6:7]
	v_addc_co_u32_e32 v17, vcc, v17, v16, vcc
	v_add_co_u32_e32 v16, vcc, 8, v18
	s_add_u32 s6, s26, -1
	v_addc_co_u32_e32 v17, vcc, 0, v17, vcc
	s_addc_u32 s7, s27, -1
	s_mov_b64 s[8:9], 0
	s_mov_b64 s[40:41], 0
                                        ; implicit-def: $sgpr38_sgpr39
	s_branch .LBB589_87
.LBB589_85:                             ;   in Loop: Header=BB589_87 Depth=1
	global_load_dwordx2 v[18:19], v[16:17], off
	global_load_dwordx2 v[20:21], v[12:13], off
	v_add_co_u32_e32 v12, vcc, 8, v12
	v_addc_co_u32_e32 v13, vcc, 0, v13, vcc
	v_add_co_u32_e32 v16, vcc, 8, v16
	v_addc_co_u32_e32 v17, vcc, 0, v17, vcc
	s_add_u32 s40, s40, 1
	s_addc_u32 s41, s41, 0
	s_andn2_b64 s[38:39], s[38:39], exec
	s_waitcnt vmcnt(0)
	v_cmp_ne_u64_e32 vcc, v[18:19], v[20:21]
	s_and_b64 s[42:43], vcc, exec
	s_or_b64 s[38:39], s[38:39], s[42:43]
.LBB589_86:                             ;   in Loop: Header=BB589_87 Depth=1
	s_and_b64 s[42:43], exec, s[38:39]
	s_or_b64 s[8:9], s[42:43], s[8:9]
	v_pk_mov_b32 v[18:19], s[40:41], s[40:41] op_sel:[0,1]
	s_andn2_b64 exec, exec, s[8:9]
	s_cbranch_execz .LBB589_89
.LBB589_87:                             ; =>This Inner Loop Header: Depth=1
	s_or_b64 s[38:39], s[38:39], exec
	s_cmp_eq_u64 s[6:7], s[40:41]
	s_cbranch_scc0 .LBB589_85
; %bb.88:                               ;   in Loop: Header=BB589_87 Depth=1
                                        ; implicit-def: $vgpr12_vgpr13
                                        ; implicit-def: $vgpr16_vgpr17
	s_mov_b64 s[40:41], s[26:27]
	s_branch .LBB589_86
.LBB589_89:
	s_or_b64 exec, exec, s[8:9]
	v_cmp_gt_i64_e32 vcc, s[26:27], v[18:19]
	s_orn2_b64 s[38:39], vcc, exec
.LBB589_90:
	s_or_b64 exec, exec, s[14:15]
.LBB589_91:
	s_and_b64 s[14:15], s[38:39], exec
.LBB589_92:
	s_or_b64 exec, exec, s[36:37]
	v_cmp_gt_u32_e32 vcc, s48, v22
	s_mov_b64 s[36:37], 0
	s_mov_b64 s[38:39], 0
	s_and_saveexec_b64 s[40:41], vcc
	s_cbranch_execz .LBB589_103
; %bb.93:
	s_and_b64 vcc, exec, s[4:5]
	s_mov_b64 s[42:43], 0
	s_cbranch_vccnz .LBB589_102
; %bb.94:
	v_mul_lo_u32 v16, v9, s26
	v_mul_lo_u32 v17, v8, s27
	v_mad_u64_u32 v[12:13], s[6:7], v8, s26, 0
	v_add3_u32 v13, v13, v17, v16
	v_mul_lo_u32 v16, v3, s26
	v_mul_lo_u32 v17, v2, s27
	v_mad_u64_u32 v[20:21], s[6:7], v2, s26, 0
	v_add3_u32 v21, v21, v17, v16
	v_lshlrev_b64 v[16:17], 3, v[12:13]
	v_mov_b32_e32 v12, s17
	v_add_co_u32_e32 v18, vcc, s16, v16
	v_addc_co_u32_e64 v19, s[6:7], v12, v17, vcc
	v_lshlrev_b64 v[12:13], 3, v[20:21]
	v_mov_b32_e32 v16, s17
	v_add_co_u32_e64 v20, s[6:7], s16, v12
	v_addc_co_u32_e64 v21, s[8:9], v16, v13, s[6:7]
	global_load_dwordx2 v[28:29], v[18:19], off
	global_load_dwordx2 v[30:31], v[20:21], off
	s_mov_b64 s[42:43], -1
	s_waitcnt vmcnt(0)
	v_cmp_eq_u64_e64 s[8:9], v[28:29], v[30:31]
	s_and_saveexec_b64 s[38:39], s[8:9]
	s_cbranch_execz .LBB589_101
; %bb.95:
	v_mov_b32_e32 v12, s17
	v_addc_co_u32_e64 v13, s[6:7], v13, v12, s[6:7]
	v_add_co_u32_e64 v12, s[6:7], 8, v20
	v_mov_b32_e32 v16, s17
	v_addc_co_u32_e64 v13, s[6:7], 0, v13, s[6:7]
	v_addc_co_u32_e32 v17, vcc, v17, v16, vcc
	v_add_co_u32_e32 v16, vcc, 8, v18
	s_add_u32 s6, s26, -1
	v_addc_co_u32_e32 v17, vcc, 0, v17, vcc
	s_addc_u32 s7, s27, -1
	s_mov_b64 s[8:9], 0
	s_mov_b64 s[44:45], 0
                                        ; implicit-def: $sgpr42_sgpr43
	s_branch .LBB589_98
.LBB589_96:                             ;   in Loop: Header=BB589_98 Depth=1
	global_load_dwordx2 v[18:19], v[16:17], off
	global_load_dwordx2 v[20:21], v[12:13], off
	v_add_co_u32_e32 v12, vcc, 8, v12
	v_addc_co_u32_e32 v13, vcc, 0, v13, vcc
	v_add_co_u32_e32 v16, vcc, 8, v16
	v_addc_co_u32_e32 v17, vcc, 0, v17, vcc
	s_add_u32 s44, s44, 1
	s_addc_u32 s45, s45, 0
	s_andn2_b64 s[42:43], s[42:43], exec
	s_waitcnt vmcnt(0)
	v_cmp_ne_u64_e32 vcc, v[18:19], v[20:21]
	s_and_b64 s[46:47], vcc, exec
	s_or_b64 s[42:43], s[42:43], s[46:47]
.LBB589_97:                             ;   in Loop: Header=BB589_98 Depth=1
	s_and_b64 s[46:47], exec, s[42:43]
	s_or_b64 s[8:9], s[46:47], s[8:9]
	v_pk_mov_b32 v[18:19], s[44:45], s[44:45] op_sel:[0,1]
	s_andn2_b64 exec, exec, s[8:9]
	s_cbranch_execz .LBB589_100
.LBB589_98:                             ; =>This Inner Loop Header: Depth=1
	s_or_b64 s[42:43], s[42:43], exec
	s_cmp_eq_u64 s[6:7], s[44:45]
	s_cbranch_scc0 .LBB589_96
; %bb.99:                               ;   in Loop: Header=BB589_98 Depth=1
                                        ; implicit-def: $vgpr12_vgpr13
                                        ; implicit-def: $vgpr16_vgpr17
	s_mov_b64 s[44:45], s[26:27]
	s_branch .LBB589_97
.LBB589_100:
	s_or_b64 exec, exec, s[8:9]
	v_cmp_gt_i64_e32 vcc, s[26:27], v[18:19]
	s_orn2_b64 s[42:43], vcc, exec
.LBB589_101:
	s_or_b64 exec, exec, s[38:39]
.LBB589_102:
	s_and_b64 s[38:39], s[42:43], exec
.LBB589_103:
	s_or_b64 exec, exec, s[40:41]
	v_cmp_gt_u32_e32 vcc, s48, v24
	s_and_saveexec_b64 s[40:41], vcc
	s_cbranch_execz .LBB589_114
; %bb.104:
	s_and_b64 vcc, exec, s[4:5]
	s_mov_b64 s[42:43], 0
	s_cbranch_vccnz .LBB589_113
; %bb.105:
	v_mul_lo_u32 v16, v7, s26
	v_mul_lo_u32 v17, v6, s27
	v_mad_u64_u32 v[12:13], s[6:7], v6, s26, 0
	v_add3_u32 v13, v13, v17, v16
	v_mul_lo_u32 v16, v9, s26
	v_mul_lo_u32 v17, v8, s27
	v_mad_u64_u32 v[20:21], s[6:7], v8, s26, 0
	v_add3_u32 v21, v21, v17, v16
	v_lshlrev_b64 v[16:17], 3, v[12:13]
	v_mov_b32_e32 v12, s17
	v_add_co_u32_e32 v18, vcc, s16, v16
	v_addc_co_u32_e64 v19, s[6:7], v12, v17, vcc
	v_lshlrev_b64 v[12:13], 3, v[20:21]
	v_mov_b32_e32 v16, s17
	v_add_co_u32_e64 v20, s[6:7], s16, v12
	v_addc_co_u32_e64 v21, s[8:9], v16, v13, s[6:7]
	global_load_dwordx2 v[28:29], v[18:19], off
	global_load_dwordx2 v[30:31], v[20:21], off
	s_mov_b64 s[42:43], -1
	s_waitcnt vmcnt(0)
	v_cmp_eq_u64_e64 s[8:9], v[28:29], v[30:31]
	s_and_saveexec_b64 s[36:37], s[8:9]
	s_cbranch_execz .LBB589_112
; %bb.106:
	v_mov_b32_e32 v12, s17
	v_addc_co_u32_e64 v13, s[6:7], v13, v12, s[6:7]
	v_add_co_u32_e64 v12, s[6:7], 8, v20
	v_mov_b32_e32 v16, s17
	v_addc_co_u32_e64 v13, s[6:7], 0, v13, s[6:7]
	v_addc_co_u32_e32 v17, vcc, v17, v16, vcc
	v_add_co_u32_e32 v16, vcc, 8, v18
	s_add_u32 s6, s26, -1
	v_addc_co_u32_e32 v17, vcc, 0, v17, vcc
	s_addc_u32 s7, s27, -1
	s_mov_b64 s[8:9], 0
	s_mov_b64 s[44:45], 0
                                        ; implicit-def: $sgpr42_sgpr43
	s_branch .LBB589_109
.LBB589_107:                            ;   in Loop: Header=BB589_109 Depth=1
	global_load_dwordx2 v[18:19], v[16:17], off
	global_load_dwordx2 v[20:21], v[12:13], off
	v_add_co_u32_e32 v12, vcc, 8, v12
	v_addc_co_u32_e32 v13, vcc, 0, v13, vcc
	v_add_co_u32_e32 v16, vcc, 8, v16
	v_addc_co_u32_e32 v17, vcc, 0, v17, vcc
	s_add_u32 s44, s44, 1
	s_addc_u32 s45, s45, 0
	s_andn2_b64 s[42:43], s[42:43], exec
	s_waitcnt vmcnt(0)
	v_cmp_ne_u64_e32 vcc, v[18:19], v[20:21]
	s_and_b64 s[46:47], vcc, exec
	s_or_b64 s[42:43], s[42:43], s[46:47]
.LBB589_108:                            ;   in Loop: Header=BB589_109 Depth=1
	s_and_b64 s[46:47], exec, s[42:43]
	s_or_b64 s[8:9], s[46:47], s[8:9]
	v_pk_mov_b32 v[18:19], s[44:45], s[44:45] op_sel:[0,1]
	s_andn2_b64 exec, exec, s[8:9]
	s_cbranch_execz .LBB589_111
.LBB589_109:                            ; =>This Inner Loop Header: Depth=1
	s_or_b64 s[42:43], s[42:43], exec
	s_cmp_eq_u64 s[6:7], s[44:45]
	s_cbranch_scc0 .LBB589_107
; %bb.110:                              ;   in Loop: Header=BB589_109 Depth=1
                                        ; implicit-def: $vgpr12_vgpr13
                                        ; implicit-def: $vgpr16_vgpr17
	s_mov_b64 s[44:45], s[26:27]
	s_branch .LBB589_108
.LBB589_111:
	s_or_b64 exec, exec, s[8:9]
	v_cmp_gt_i64_e32 vcc, s[26:27], v[18:19]
	s_orn2_b64 s[42:43], vcc, exec
.LBB589_112:
	s_or_b64 exec, exec, s[36:37]
.LBB589_113:
	s_and_b64 s[36:37], s[42:43], exec
.LBB589_114:
	s_or_b64 exec, exec, s[40:41]
	s_waitcnt lgkmcnt(0)
	s_barrier
	s_and_saveexec_b64 s[6:7], s[2:3]
	s_cbranch_execz .LBB589_116
; %bb.115:
	v_add_u32_e32 v12, -8, v27
	s_waitcnt vmcnt(0)
	ds_read_b64 v[14:15], v12
.LBB589_116:
	s_or_b64 exec, exec, s[6:7]
	v_cndmask_b32_e64 v13, 0, 1, s[14:15]
	v_cndmask_b32_e64 v12, 0, 1, s[38:39]
	;; [unrolled: 1-line block ×3, first 2 shown]
	v_lshlrev_b16_e32 v13, 8, v13
	v_cmp_gt_u32_e32 vcc, s48, v1
	v_lshlrev_b16_e32 v20, 8, v16
	v_or_b32_sdwa v21, v12, v13 dst_sel:WORD_1 dst_unused:UNUSED_PAD src0_sel:DWORD src1_sel:DWORD
	s_mov_b64 s[36:37], 0
	s_and_saveexec_b64 s[8:9], vcc
	s_cbranch_execz .LBB589_127
; %bb.117:
	s_and_b64 vcc, exec, s[4:5]
	s_cbranch_vccnz .LBB589_126
; %bb.118:
	s_waitcnt vmcnt(0) lgkmcnt(0)
	v_mul_lo_u32 v15, v15, s26
	v_mul_lo_u32 v16, v14, s27
	v_mad_u64_u32 v[12:13], s[4:5], v14, s26, 0
	v_add3_u32 v13, v13, v16, v15
	v_mul_lo_u32 v14, v7, s26
	v_mul_lo_u32 v15, v6, s27
	v_mad_u64_u32 v[18:19], s[4:5], v6, s26, 0
	v_add3_u32 v19, v19, v15, v14
	v_lshlrev_b64 v[14:15], 3, v[12:13]
	v_mov_b32_e32 v12, s17
	v_add_co_u32_e32 v16, vcc, s16, v14
	v_addc_co_u32_e64 v17, s[4:5], v12, v15, vcc
	v_lshlrev_b64 v[12:13], 3, v[18:19]
	v_mov_b32_e32 v14, s17
	v_add_co_u32_e64 v18, s[4:5], s16, v12
	v_addc_co_u32_e64 v19, s[6:7], v14, v13, s[4:5]
	global_load_dwordx2 v[28:29], v[16:17], off
	global_load_dwordx2 v[30:31], v[18:19], off
	s_mov_b64 s[36:37], -1
	s_waitcnt vmcnt(0)
	v_cmp_eq_u64_e64 s[6:7], v[28:29], v[30:31]
	s_and_saveexec_b64 s[14:15], s[6:7]
	s_cbranch_execz .LBB589_125
; %bb.119:
	v_mov_b32_e32 v12, s17
	v_addc_co_u32_e64 v13, s[4:5], v13, v12, s[4:5]
	v_add_co_u32_e64 v12, s[4:5], 8, v18
	v_mov_b32_e32 v14, s17
	v_addc_co_u32_e64 v13, s[4:5], 0, v13, s[4:5]
	v_addc_co_u32_e32 v15, vcc, v15, v14, vcc
	v_add_co_u32_e32 v14, vcc, 8, v16
	s_add_u32 s4, s26, -1
	v_addc_co_u32_e32 v15, vcc, 0, v15, vcc
	s_addc_u32 s5, s27, -1
	s_mov_b64 s[6:7], 0
	s_mov_b64 s[38:39], 0
                                        ; implicit-def: $sgpr36_sgpr37
	s_branch .LBB589_122
.LBB589_120:                            ;   in Loop: Header=BB589_122 Depth=1
	global_load_dwordx2 v[16:17], v[14:15], off
	global_load_dwordx2 v[18:19], v[12:13], off
	v_add_co_u32_e32 v12, vcc, 8, v12
	v_addc_co_u32_e32 v13, vcc, 0, v13, vcc
	v_add_co_u32_e32 v14, vcc, 8, v14
	v_addc_co_u32_e32 v15, vcc, 0, v15, vcc
	s_add_u32 s38, s38, 1
	s_addc_u32 s39, s39, 0
	s_andn2_b64 s[36:37], s[36:37], exec
	s_waitcnt vmcnt(0)
	v_cmp_ne_u64_e32 vcc, v[16:17], v[18:19]
	s_and_b64 s[40:41], vcc, exec
	s_or_b64 s[36:37], s[36:37], s[40:41]
.LBB589_121:                            ;   in Loop: Header=BB589_122 Depth=1
	s_and_b64 s[40:41], exec, s[36:37]
	s_or_b64 s[6:7], s[40:41], s[6:7]
	v_pk_mov_b32 v[16:17], s[38:39], s[38:39] op_sel:[0,1]
	s_andn2_b64 exec, exec, s[6:7]
	s_cbranch_execz .LBB589_124
.LBB589_122:                            ; =>This Inner Loop Header: Depth=1
	s_or_b64 s[36:37], s[36:37], exec
	s_cmp_eq_u64 s[4:5], s[38:39]
	s_cbranch_scc0 .LBB589_120
; %bb.123:                              ;   in Loop: Header=BB589_122 Depth=1
                                        ; implicit-def: $vgpr12_vgpr13
                                        ; implicit-def: $vgpr14_vgpr15
	s_mov_b64 s[38:39], s[26:27]
	s_branch .LBB589_121
.LBB589_124:
	s_or_b64 exec, exec, s[6:7]
	v_cmp_gt_i64_e32 vcc, s[26:27], v[16:17]
	s_orn2_b64 s[36:37], vcc, exec
.LBB589_125:
	s_or_b64 exec, exec, s[14:15]
.LBB589_126:
	s_and_b64 s[36:37], s[36:37], exec
.LBB589_127:
	s_or_b64 exec, exec, s[8:9]
	v_cndmask_b32_e64 v13, 0, 1, s[10:11]
	v_or_b32_e32 v16, v20, v21
.LBB589_128:
	s_mov_b64 s[14:15], -1
	s_cbranch_execnz .LBB589_237
.LBB589_129:
	v_lshlrev_b32_e32 v12, 5, v0
	v_sub_u32_e32 v26, v26, v12
	s_mov_b64 s[36:37], 0
	v_cmp_gt_i64_e64 s[10:11], s[26:27], 0
	s_and_b64 vcc, exec, s[30:31]
	ds_write_b64 v26, v[10:11]
	s_cbranch_vccz .LBB589_137
; %bb.130:
	s_waitcnt vmcnt(0) lgkmcnt(1)
	v_mul_lo_u32 v14, v5, s26
	v_mul_lo_u32 v15, v4, s27
	v_mad_u64_u32 v[12:13], s[4:5], v4, s26, 0
	v_add3_u32 v13, v13, v15, v14
	v_cndmask_b32_e64 v14, 0, 1, s[10:11]
	v_cmp_ne_u32_e64 s[4:5], 1, v14
	s_andn2_b64 vcc, exec, s[10:11]
	v_lshlrev_b64 v[12:13], 3, v[12:13]
	s_cbranch_vccnz .LBB589_140
; %bb.131:
	v_mul_lo_u32 v16, v11, s26
	v_mul_lo_u32 v17, v10, s27
	v_mad_u64_u32 v[14:15], s[6:7], v10, s26, 0
	v_add3_u32 v15, v15, v17, v16
	v_mov_b32_e32 v17, s17
	v_add_co_u32_e32 v16, vcc, s16, v12
	v_addc_co_u32_e64 v17, s[6:7], v17, v13, vcc
	v_lshlrev_b64 v[14:15], 3, v[14:15]
	v_mov_b32_e32 v19, s17
	v_add_co_u32_e64 v18, s[6:7], s16, v14
	v_addc_co_u32_e64 v19, s[8:9], v19, v15, s[6:7]
	global_load_dwordx2 v[20:21], v[16:17], off
	global_load_dwordx2 v[28:29], v[18:19], off
	s_mov_b64 s[36:37], -1
	s_waitcnt vmcnt(0)
	v_cmp_eq_u64_e64 s[8:9], v[20:21], v[28:29]
	s_and_saveexec_b64 s[38:39], s[8:9]
	s_cbranch_execz .LBB589_139
; %bb.132:
	v_mov_b32_e32 v14, s17
	v_addc_co_u32_e64 v15, s[6:7], v15, v14, s[6:7]
	v_add_co_u32_e64 v14, s[6:7], 8, v18
	v_mov_b32_e32 v17, s17
	v_addc_co_u32_e64 v15, s[6:7], 0, v15, s[6:7]
	v_addc_co_u32_e32 v17, vcc, v13, v17, vcc
	v_add_co_u32_e32 v16, vcc, 8, v16
	s_add_u32 s6, s26, -1
	v_addc_co_u32_e32 v17, vcc, 0, v17, vcc
	s_addc_u32 s7, s27, -1
	s_mov_b64 s[8:9], 0
	s_mov_b64 s[40:41], 0
                                        ; implicit-def: $sgpr36_sgpr37
	s_branch .LBB589_135
.LBB589_133:                            ;   in Loop: Header=BB589_135 Depth=1
	global_load_dwordx2 v[18:19], v[16:17], off
	global_load_dwordx2 v[20:21], v[14:15], off
	v_add_co_u32_e32 v14, vcc, 8, v14
	v_addc_co_u32_e32 v15, vcc, 0, v15, vcc
	v_add_co_u32_e32 v16, vcc, 8, v16
	v_addc_co_u32_e32 v17, vcc, 0, v17, vcc
	s_add_u32 s40, s40, 1
	s_addc_u32 s41, s41, 0
	s_andn2_b64 s[36:37], s[36:37], exec
	s_waitcnt vmcnt(0)
	v_cmp_ne_u64_e32 vcc, v[18:19], v[20:21]
	s_and_b64 s[42:43], vcc, exec
	s_or_b64 s[36:37], s[36:37], s[42:43]
.LBB589_134:                            ;   in Loop: Header=BB589_135 Depth=1
	s_and_b64 s[42:43], exec, s[36:37]
	s_or_b64 s[8:9], s[42:43], s[8:9]
	v_pk_mov_b32 v[18:19], s[40:41], s[40:41] op_sel:[0,1]
	s_andn2_b64 exec, exec, s[8:9]
	s_cbranch_execz .LBB589_138
.LBB589_135:                            ; =>This Inner Loop Header: Depth=1
	s_or_b64 s[36:37], s[36:37], exec
	s_cmp_eq_u64 s[6:7], s[40:41]
	s_cbranch_scc0 .LBB589_133
; %bb.136:                              ;   in Loop: Header=BB589_135 Depth=1
                                        ; implicit-def: $vgpr14_vgpr15
                                        ; implicit-def: $vgpr16_vgpr17
	s_mov_b64 s[40:41], s[26:27]
	s_branch .LBB589_134
.LBB589_137:
                                        ; implicit-def: $sgpr36_sgpr37
                                        ; implicit-def: $vgpr13
                                        ; implicit-def: $vgpr16
	s_cbranch_execnz .LBB589_179
	s_branch .LBB589_237
.LBB589_138:
	s_or_b64 exec, exec, s[8:9]
	v_cmp_gt_i64_e32 vcc, s[26:27], v[18:19]
	s_orn2_b64 s[36:37], vcc, exec
.LBB589_139:
	s_or_b64 exec, exec, s[38:39]
.LBB589_140:
	v_mul_lo_u32 v16, v3, s26
	v_mul_lo_u32 v17, v2, s27
	v_mad_u64_u32 v[14:15], s[6:7], v2, s26, 0
	v_add3_u32 v15, v15, v17, v16
	s_mov_b64 s[38:39], 0
	s_and_b64 vcc, exec, s[4:5]
	v_lshlrev_b64 v[14:15], 3, v[14:15]
	s_mov_b64 s[40:41], 0
	s_cbranch_vccnz .LBB589_149
; %bb.141:
	v_mov_b32_e32 v17, s17
	v_add_co_u32_e32 v16, vcc, s16, v14
	v_addc_co_u32_e64 v17, s[6:7], v17, v15, vcc
	v_mov_b32_e32 v19, s17
	v_add_co_u32_e64 v18, s[6:7], s16, v12
	v_addc_co_u32_e64 v19, s[8:9], v19, v13, s[6:7]
	global_load_dwordx2 v[20:21], v[16:17], off
	global_load_dwordx2 v[28:29], v[18:19], off
	s_mov_b64 s[40:41], -1
	s_waitcnt vmcnt(0)
	v_cmp_eq_u64_e64 s[8:9], v[20:21], v[28:29]
	s_and_saveexec_b64 s[42:43], s[8:9]
	s_cbranch_execz .LBB589_148
; %bb.142:
	v_mov_b32_e32 v12, s17
	v_addc_co_u32_e64 v13, s[6:7], v13, v12, s[6:7]
	v_add_co_u32_e64 v12, s[6:7], 8, v18
	v_mov_b32_e32 v17, s17
	v_addc_co_u32_e64 v13, s[6:7], 0, v13, s[6:7]
	v_addc_co_u32_e32 v17, vcc, v15, v17, vcc
	v_add_co_u32_e32 v16, vcc, 8, v16
	s_add_u32 s6, s26, -1
	v_addc_co_u32_e32 v17, vcc, 0, v17, vcc
	s_addc_u32 s7, s27, -1
	s_mov_b64 s[8:9], 0
	s_mov_b64 s[44:45], 0
                                        ; implicit-def: $sgpr40_sgpr41
	s_branch .LBB589_145
.LBB589_143:                            ;   in Loop: Header=BB589_145 Depth=1
	global_load_dwordx2 v[18:19], v[16:17], off
	global_load_dwordx2 v[20:21], v[12:13], off
	v_add_co_u32_e32 v12, vcc, 8, v12
	v_addc_co_u32_e32 v13, vcc, 0, v13, vcc
	v_add_co_u32_e32 v16, vcc, 8, v16
	v_addc_co_u32_e32 v17, vcc, 0, v17, vcc
	s_add_u32 s44, s44, 1
	s_addc_u32 s45, s45, 0
	s_andn2_b64 s[40:41], s[40:41], exec
	s_waitcnt vmcnt(0)
	v_cmp_ne_u64_e32 vcc, v[18:19], v[20:21]
	s_and_b64 s[46:47], vcc, exec
	s_or_b64 s[40:41], s[40:41], s[46:47]
.LBB589_144:                            ;   in Loop: Header=BB589_145 Depth=1
	s_and_b64 s[46:47], exec, s[40:41]
	s_or_b64 s[8:9], s[46:47], s[8:9]
	v_pk_mov_b32 v[18:19], s[44:45], s[44:45] op_sel:[0,1]
	s_andn2_b64 exec, exec, s[8:9]
	s_cbranch_execz .LBB589_147
.LBB589_145:                            ; =>This Inner Loop Header: Depth=1
	s_or_b64 s[40:41], s[40:41], exec
	s_cmp_eq_u64 s[6:7], s[44:45]
	s_cbranch_scc0 .LBB589_143
; %bb.146:                              ;   in Loop: Header=BB589_145 Depth=1
                                        ; implicit-def: $vgpr12_vgpr13
                                        ; implicit-def: $vgpr16_vgpr17
	s_mov_b64 s[44:45], s[26:27]
	s_branch .LBB589_144
.LBB589_147:
	s_or_b64 exec, exec, s[8:9]
	v_cmp_gt_i64_e32 vcc, s[26:27], v[18:19]
	s_orn2_b64 s[40:41], vcc, exec
.LBB589_148:
	s_or_b64 exec, exec, s[42:43]
.LBB589_149:
	v_mul_lo_u32 v16, v9, s26
	v_mul_lo_u32 v17, v8, s27
	v_mad_u64_u32 v[12:13], s[6:7], v8, s26, 0
	v_add3_u32 v13, v13, v17, v16
	s_and_b64 vcc, exec, s[4:5]
	v_lshlrev_b64 v[12:13], 3, v[12:13]
	s_cbranch_vccnz .LBB589_158
; %bb.150:
	v_mov_b32_e32 v17, s17
	v_add_co_u32_e32 v16, vcc, s16, v12
	v_addc_co_u32_e64 v17, s[6:7], v17, v13, vcc
	v_mov_b32_e32 v19, s17
	v_add_co_u32_e64 v18, s[6:7], s16, v14
	v_addc_co_u32_e64 v19, s[8:9], v19, v15, s[6:7]
	global_load_dwordx2 v[20:21], v[16:17], off
	global_load_dwordx2 v[28:29], v[18:19], off
	s_mov_b64 s[38:39], -1
	s_waitcnt vmcnt(0)
	v_cmp_eq_u64_e64 s[8:9], v[20:21], v[28:29]
	s_and_saveexec_b64 s[42:43], s[8:9]
	s_cbranch_execz .LBB589_157
; %bb.151:
	v_mov_b32_e32 v14, s17
	v_addc_co_u32_e64 v15, s[6:7], v15, v14, s[6:7]
	v_add_co_u32_e64 v14, s[6:7], 8, v18
	v_mov_b32_e32 v17, s17
	v_addc_co_u32_e64 v15, s[6:7], 0, v15, s[6:7]
	v_addc_co_u32_e32 v17, vcc, v13, v17, vcc
	v_add_co_u32_e32 v16, vcc, 8, v16
	s_add_u32 s6, s26, -1
	v_addc_co_u32_e32 v17, vcc, 0, v17, vcc
	s_addc_u32 s7, s27, -1
	s_mov_b64 s[8:9], 0
	s_mov_b64 s[44:45], 0
                                        ; implicit-def: $sgpr38_sgpr39
	s_branch .LBB589_154
.LBB589_152:                            ;   in Loop: Header=BB589_154 Depth=1
	global_load_dwordx2 v[18:19], v[16:17], off
	global_load_dwordx2 v[20:21], v[14:15], off
	v_add_co_u32_e32 v14, vcc, 8, v14
	v_addc_co_u32_e32 v15, vcc, 0, v15, vcc
	v_add_co_u32_e32 v16, vcc, 8, v16
	v_addc_co_u32_e32 v17, vcc, 0, v17, vcc
	s_add_u32 s44, s44, 1
	s_addc_u32 s45, s45, 0
	s_andn2_b64 s[38:39], s[38:39], exec
	s_waitcnt vmcnt(0)
	v_cmp_ne_u64_e32 vcc, v[18:19], v[20:21]
	s_and_b64 s[46:47], vcc, exec
	s_or_b64 s[38:39], s[38:39], s[46:47]
.LBB589_153:                            ;   in Loop: Header=BB589_154 Depth=1
	s_and_b64 s[46:47], exec, s[38:39]
	s_or_b64 s[8:9], s[46:47], s[8:9]
	v_pk_mov_b32 v[18:19], s[44:45], s[44:45] op_sel:[0,1]
	s_andn2_b64 exec, exec, s[8:9]
	s_cbranch_execz .LBB589_156
.LBB589_154:                            ; =>This Inner Loop Header: Depth=1
	s_or_b64 s[38:39], s[38:39], exec
	s_cmp_eq_u64 s[6:7], s[44:45]
	s_cbranch_scc0 .LBB589_152
; %bb.155:                              ;   in Loop: Header=BB589_154 Depth=1
                                        ; implicit-def: $vgpr14_vgpr15
                                        ; implicit-def: $vgpr16_vgpr17
	s_mov_b64 s[44:45], s[26:27]
	s_branch .LBB589_153
.LBB589_156:
	s_or_b64 exec, exec, s[8:9]
	v_cmp_gt_i64_e32 vcc, s[26:27], v[18:19]
	s_orn2_b64 s[38:39], vcc, exec
.LBB589_157:
	s_or_b64 exec, exec, s[42:43]
.LBB589_158:
	v_mul_lo_u32 v16, v7, s26
	v_mul_lo_u32 v17, v6, s27
	v_mad_u64_u32 v[14:15], s[6:7], v6, s26, 0
	v_add3_u32 v15, v15, v17, v16
	s_and_b64 vcc, exec, s[4:5]
	s_mov_b64 s[44:45], 0
	s_cbranch_vccnz .LBB589_167
; %bb.159:
	v_lshlrev_b64 v[16:17], 3, v[14:15]
	v_mov_b32_e32 v19, s17
	v_add_co_u32_e32 v18, vcc, s16, v16
	v_addc_co_u32_e64 v19, s[6:7], v19, v17, vcc
	v_mov_b32_e32 v16, s17
	v_add_co_u32_e64 v20, s[6:7], s16, v12
	v_addc_co_u32_e64 v21, s[8:9], v16, v13, s[6:7]
	global_load_dwordx2 v[28:29], v[18:19], off
	global_load_dwordx2 v[30:31], v[20:21], off
	s_mov_b64 s[44:45], -1
	s_waitcnt vmcnt(0)
	v_cmp_eq_u64_e64 s[8:9], v[28:29], v[30:31]
	s_and_saveexec_b64 s[42:43], s[8:9]
	s_cbranch_execz .LBB589_166
; %bb.160:
	v_mov_b32_e32 v12, s17
	v_addc_co_u32_e64 v13, s[6:7], v13, v12, s[6:7]
	v_add_co_u32_e64 v12, s[6:7], 8, v20
	v_mov_b32_e32 v16, s17
	v_addc_co_u32_e64 v13, s[6:7], 0, v13, s[6:7]
	v_addc_co_u32_e32 v17, vcc, v17, v16, vcc
	v_add_co_u32_e32 v16, vcc, 8, v18
	s_add_u32 s6, s26, -1
	v_addc_co_u32_e32 v17, vcc, 0, v17, vcc
	s_addc_u32 s7, s27, -1
	s_mov_b64 s[8:9], 0
	s_mov_b64 s[46:47], 0
                                        ; implicit-def: $sgpr44_sgpr45
	s_branch .LBB589_163
.LBB589_161:                            ;   in Loop: Header=BB589_163 Depth=1
	global_load_dwordx2 v[18:19], v[16:17], off
	global_load_dwordx2 v[20:21], v[12:13], off
	v_add_co_u32_e32 v12, vcc, 8, v12
	v_addc_co_u32_e32 v13, vcc, 0, v13, vcc
	v_add_co_u32_e32 v16, vcc, 8, v16
	v_addc_co_u32_e32 v17, vcc, 0, v17, vcc
	s_add_u32 s46, s46, 1
	s_addc_u32 s47, s47, 0
	s_andn2_b64 s[44:45], s[44:45], exec
	s_waitcnt vmcnt(0)
	v_cmp_ne_u64_e32 vcc, v[18:19], v[20:21]
	s_and_b64 s[50:51], vcc, exec
	s_or_b64 s[44:45], s[44:45], s[50:51]
.LBB589_162:                            ;   in Loop: Header=BB589_163 Depth=1
	s_and_b64 s[50:51], exec, s[44:45]
	s_or_b64 s[8:9], s[50:51], s[8:9]
	v_pk_mov_b32 v[18:19], s[46:47], s[46:47] op_sel:[0,1]
	s_andn2_b64 exec, exec, s[8:9]
	s_cbranch_execz .LBB589_165
.LBB589_163:                            ; =>This Inner Loop Header: Depth=1
	s_or_b64 s[44:45], s[44:45], exec
	s_cmp_eq_u64 s[6:7], s[46:47]
	s_cbranch_scc0 .LBB589_161
; %bb.164:                              ;   in Loop: Header=BB589_163 Depth=1
                                        ; implicit-def: $vgpr12_vgpr13
                                        ; implicit-def: $vgpr16_vgpr17
	s_mov_b64 s[46:47], s[26:27]
	s_branch .LBB589_162
.LBB589_165:
	s_or_b64 exec, exec, s[8:9]
	v_cmp_gt_i64_e32 vcc, s[26:27], v[18:19]
	s_orn2_b64 s[44:45], vcc, exec
.LBB589_166:
	s_or_b64 exec, exec, s[42:43]
.LBB589_167:
	v_cndmask_b32_e64 v13, 0, 1, s[40:41]
	v_cndmask_b32_e64 v16, 0, 1, s[44:45]
	;; [unrolled: 1-line block ×3, first 2 shown]
	v_lshlrev_b16_e32 v16, 8, v16
	v_lshlrev_b16_e32 v13, 8, v13
	v_or_b32_e32 v16, 1, v16
	v_or_b32_sdwa v12, v12, v13 dst_sel:WORD_1 dst_unused:UNUSED_PAD src0_sel:DWORD src1_sel:DWORD
	v_or_b32_sdwa v12, v16, v12 dst_sel:DWORD dst_unused:UNUSED_PAD src0_sel:WORD_0 src1_sel:DWORD
	v_cndmask_b32_e64 v13, 0, 1, s[36:37]
	s_waitcnt lgkmcnt(0)
	s_barrier
	s_waitcnt lgkmcnt(0)
                                        ; implicit-def: $sgpr36_sgpr37
                                        ; implicit-def: $vgpr16
	s_and_saveexec_b64 s[6:7], s[2:3]
	s_xor_b64 s[8:9], exec, s[6:7]
	s_cbranch_execz .LBB589_178
; %bb.168:
	s_mov_b32 s42, 0x3020104
	s_and_b64 vcc, exec, s[4:5]
	s_mov_b64 s[38:39], 0
	s_cbranch_vccnz .LBB589_177
; %bb.169:
	v_add_u32_e32 v16, -8, v26
	ds_read_b64 v[16:17], v16
	v_mov_b32_e32 v19, s17
	v_lshlrev_b64 v[14:15], 3, v[14:15]
	s_mov_b64 s[38:39], -1
	s_waitcnt lgkmcnt(0)
	v_mul_lo_u32 v18, v17, s26
	v_mul_lo_u32 v20, v16, s27
	v_mad_u64_u32 v[16:17], s[4:5], v16, s26, 0
	v_add3_u32 v17, v17, v20, v18
	v_lshlrev_b64 v[16:17], 3, v[16:17]
	v_add_co_u32_e32 v18, vcc, s16, v16
	v_addc_co_u32_e64 v19, s[4:5], v19, v17, vcc
	v_mov_b32_e32 v16, s17
	v_add_co_u32_e64 v20, s[4:5], s16, v14
	v_addc_co_u32_e64 v21, s[6:7], v16, v15, s[4:5]
	global_load_dwordx2 v[28:29], v[18:19], off
	global_load_dwordx2 v[30:31], v[20:21], off
	s_waitcnt vmcnt(0)
	v_cmp_eq_u64_e64 s[6:7], v[28:29], v[30:31]
	s_and_saveexec_b64 s[36:37], s[6:7]
	s_cbranch_execz .LBB589_176
; %bb.170:
	v_mov_b32_e32 v14, s17
	v_addc_co_u32_e64 v15, s[4:5], v15, v14, s[4:5]
	v_add_co_u32_e64 v14, s[4:5], 8, v20
	v_mov_b32_e32 v16, s17
	v_addc_co_u32_e64 v15, s[4:5], 0, v15, s[4:5]
	v_addc_co_u32_e32 v17, vcc, v17, v16, vcc
	v_add_co_u32_e32 v16, vcc, 8, v18
	s_add_u32 s4, s26, -1
	v_addc_co_u32_e32 v17, vcc, 0, v17, vcc
	s_addc_u32 s5, s27, -1
	s_mov_b64 s[6:7], 0
	s_mov_b64 s[40:41], 0
                                        ; implicit-def: $sgpr38_sgpr39
	s_branch .LBB589_173
.LBB589_171:                            ;   in Loop: Header=BB589_173 Depth=1
	global_load_dwordx2 v[18:19], v[16:17], off
	global_load_dwordx2 v[20:21], v[14:15], off
	v_add_co_u32_e32 v14, vcc, 8, v14
	v_addc_co_u32_e32 v15, vcc, 0, v15, vcc
	v_add_co_u32_e32 v16, vcc, 8, v16
	v_addc_co_u32_e32 v17, vcc, 0, v17, vcc
	s_add_u32 s40, s40, 1
	s_addc_u32 s41, s41, 0
	s_andn2_b64 s[38:39], s[38:39], exec
	s_waitcnt vmcnt(0)
	v_cmp_ne_u64_e32 vcc, v[18:19], v[20:21]
	s_and_b64 s[44:45], vcc, exec
	s_or_b64 s[38:39], s[38:39], s[44:45]
.LBB589_172:                            ;   in Loop: Header=BB589_173 Depth=1
	s_and_b64 s[44:45], exec, s[38:39]
	s_or_b64 s[6:7], s[44:45], s[6:7]
	v_pk_mov_b32 v[18:19], s[40:41], s[40:41] op_sel:[0,1]
	s_andn2_b64 exec, exec, s[6:7]
	s_cbranch_execz .LBB589_175
.LBB589_173:                            ; =>This Inner Loop Header: Depth=1
	s_or_b64 s[38:39], s[38:39], exec
	s_cmp_eq_u64 s[4:5], s[40:41]
	s_cbranch_scc0 .LBB589_171
; %bb.174:                              ;   in Loop: Header=BB589_173 Depth=1
                                        ; implicit-def: $vgpr14_vgpr15
                                        ; implicit-def: $vgpr16_vgpr17
	s_mov_b64 s[40:41], s[26:27]
	s_branch .LBB589_172
.LBB589_175:
	s_or_b64 exec, exec, s[6:7]
	v_cmp_gt_i64_e32 vcc, s[26:27], v[18:19]
	s_orn2_b64 s[38:39], vcc, exec
.LBB589_176:
	s_or_b64 exec, exec, s[36:37]
.LBB589_177:
	v_perm_b32 v16, v12, v12, s42
	s_and_b64 s[36:37], s[38:39], exec
	s_or_b64 s[14:15], s[14:15], exec
.LBB589_178:
	s_or_b64 exec, exec, s[8:9]
	s_branch .LBB589_237
.LBB589_179:
	v_cmp_gt_u32_e32 vcc, s48, v23
	s_mov_b64 s[36:37], 0
	s_mov_b64 s[8:9], 0
	s_and_saveexec_b64 s[38:39], vcc
	s_cbranch_execz .LBB589_190
; %bb.180:
	s_andn2_b64 vcc, exec, s[10:11]
	s_mov_b64 s[40:41], 0
	s_cbranch_vccnz .LBB589_189
; %bb.181:
	s_waitcnt vmcnt(0) lgkmcnt(1)
	v_mul_lo_u32 v14, v5, s26
	v_mul_lo_u32 v15, v4, s27
	v_mad_u64_u32 v[12:13], s[4:5], v4, s26, 0
	v_add3_u32 v13, v13, v15, v14
	v_mul_lo_u32 v14, v11, s26
	v_mul_lo_u32 v15, v10, s27
	v_mad_u64_u32 v[18:19], s[4:5], v10, s26, 0
	v_add3_u32 v19, v19, v15, v14
	v_lshlrev_b64 v[14:15], 3, v[12:13]
	v_mov_b32_e32 v12, s17
	v_add_co_u32_e32 v16, vcc, s16, v14
	v_addc_co_u32_e64 v17, s[4:5], v12, v15, vcc
	v_lshlrev_b64 v[12:13], 3, v[18:19]
	v_mov_b32_e32 v14, s17
	v_add_co_u32_e64 v18, s[4:5], s16, v12
	v_addc_co_u32_e64 v19, s[6:7], v14, v13, s[4:5]
	global_load_dwordx2 v[20:21], v[16:17], off
	global_load_dwordx2 v[28:29], v[18:19], off
	s_mov_b64 s[40:41], -1
	s_waitcnt vmcnt(0)
	v_cmp_eq_u64_e64 s[6:7], v[20:21], v[28:29]
	s_and_saveexec_b64 s[8:9], s[6:7]
	s_cbranch_execz .LBB589_188
; %bb.182:
	v_mov_b32_e32 v12, s17
	v_addc_co_u32_e64 v13, s[4:5], v13, v12, s[4:5]
	v_add_co_u32_e64 v12, s[4:5], 8, v18
	v_mov_b32_e32 v14, s17
	v_addc_co_u32_e64 v13, s[4:5], 0, v13, s[4:5]
	v_addc_co_u32_e32 v15, vcc, v15, v14, vcc
	v_add_co_u32_e32 v14, vcc, 8, v16
	s_add_u32 s4, s26, -1
	v_addc_co_u32_e32 v15, vcc, 0, v15, vcc
	s_addc_u32 s5, s27, -1
	s_mov_b64 s[6:7], 0
	s_mov_b64 s[42:43], 0
                                        ; implicit-def: $sgpr40_sgpr41
	s_branch .LBB589_185
.LBB589_183:                            ;   in Loop: Header=BB589_185 Depth=1
	global_load_dwordx2 v[16:17], v[14:15], off
	global_load_dwordx2 v[18:19], v[12:13], off
	v_add_co_u32_e32 v12, vcc, 8, v12
	v_addc_co_u32_e32 v13, vcc, 0, v13, vcc
	v_add_co_u32_e32 v14, vcc, 8, v14
	v_addc_co_u32_e32 v15, vcc, 0, v15, vcc
	s_add_u32 s42, s42, 1
	s_addc_u32 s43, s43, 0
	s_andn2_b64 s[40:41], s[40:41], exec
	s_waitcnt vmcnt(0)
	v_cmp_ne_u64_e32 vcc, v[16:17], v[18:19]
	s_and_b64 s[44:45], vcc, exec
	s_or_b64 s[40:41], s[40:41], s[44:45]
.LBB589_184:                            ;   in Loop: Header=BB589_185 Depth=1
	s_and_b64 s[44:45], exec, s[40:41]
	s_or_b64 s[6:7], s[44:45], s[6:7]
	v_pk_mov_b32 v[16:17], s[42:43], s[42:43] op_sel:[0,1]
	s_andn2_b64 exec, exec, s[6:7]
	s_cbranch_execz .LBB589_187
.LBB589_185:                            ; =>This Inner Loop Header: Depth=1
	s_or_b64 s[40:41], s[40:41], exec
	s_cmp_eq_u64 s[4:5], s[42:43]
	s_cbranch_scc0 .LBB589_183
; %bb.186:                              ;   in Loop: Header=BB589_185 Depth=1
                                        ; implicit-def: $vgpr12_vgpr13
                                        ; implicit-def: $vgpr14_vgpr15
	s_mov_b64 s[42:43], s[26:27]
	s_branch .LBB589_184
.LBB589_187:
	s_or_b64 exec, exec, s[6:7]
	v_cmp_gt_i64_e32 vcc, s[26:27], v[16:17]
	s_orn2_b64 s[40:41], vcc, exec
.LBB589_188:
	s_or_b64 exec, exec, s[8:9]
.LBB589_189:
	s_and_b64 s[8:9], s[40:41], exec
.LBB589_190:
	s_or_b64 exec, exec, s[38:39]
	v_cmp_gt_u32_e32 vcc, s48, v25
	s_and_saveexec_b64 s[38:39], vcc
	s_cbranch_execz .LBB589_201
; %bb.191:
	s_andn2_b64 vcc, exec, s[10:11]
	s_mov_b64 s[40:41], 0
	s_cbranch_vccnz .LBB589_200
; %bb.192:
	s_waitcnt vmcnt(0) lgkmcnt(1)
	v_mul_lo_u32 v14, v3, s26
	v_mul_lo_u32 v15, v2, s27
	v_mad_u64_u32 v[12:13], s[4:5], v2, s26, 0
	v_add3_u32 v13, v13, v15, v14
	v_mul_lo_u32 v14, v5, s26
	v_mul_lo_u32 v15, v4, s27
	v_mad_u64_u32 v[18:19], s[4:5], v4, s26, 0
	v_add3_u32 v19, v19, v15, v14
	v_lshlrev_b64 v[14:15], 3, v[12:13]
	v_mov_b32_e32 v12, s17
	v_add_co_u32_e32 v16, vcc, s16, v14
	v_addc_co_u32_e64 v17, s[4:5], v12, v15, vcc
	v_lshlrev_b64 v[12:13], 3, v[18:19]
	v_mov_b32_e32 v14, s17
	v_add_co_u32_e64 v18, s[4:5], s16, v12
	v_addc_co_u32_e64 v19, s[6:7], v14, v13, s[4:5]
	global_load_dwordx2 v[20:21], v[16:17], off
	global_load_dwordx2 v[28:29], v[18:19], off
	s_mov_b64 s[40:41], -1
	s_waitcnt vmcnt(0)
	v_cmp_eq_u64_e64 s[6:7], v[20:21], v[28:29]
	s_and_saveexec_b64 s[36:37], s[6:7]
	s_cbranch_execz .LBB589_199
; %bb.193:
	v_mov_b32_e32 v12, s17
	v_addc_co_u32_e64 v13, s[4:5], v13, v12, s[4:5]
	v_add_co_u32_e64 v12, s[4:5], 8, v18
	v_mov_b32_e32 v14, s17
	v_addc_co_u32_e64 v13, s[4:5], 0, v13, s[4:5]
	v_addc_co_u32_e32 v15, vcc, v15, v14, vcc
	v_add_co_u32_e32 v14, vcc, 8, v16
	s_add_u32 s4, s26, -1
	v_addc_co_u32_e32 v15, vcc, 0, v15, vcc
	s_addc_u32 s5, s27, -1
	s_mov_b64 s[6:7], 0
	s_mov_b64 s[42:43], 0
                                        ; implicit-def: $sgpr40_sgpr41
	s_branch .LBB589_196
.LBB589_194:                            ;   in Loop: Header=BB589_196 Depth=1
	global_load_dwordx2 v[16:17], v[14:15], off
	global_load_dwordx2 v[18:19], v[12:13], off
	v_add_co_u32_e32 v12, vcc, 8, v12
	v_addc_co_u32_e32 v13, vcc, 0, v13, vcc
	v_add_co_u32_e32 v14, vcc, 8, v14
	v_addc_co_u32_e32 v15, vcc, 0, v15, vcc
	s_add_u32 s42, s42, 1
	s_addc_u32 s43, s43, 0
	s_andn2_b64 s[40:41], s[40:41], exec
	s_waitcnt vmcnt(0)
	v_cmp_ne_u64_e32 vcc, v[16:17], v[18:19]
	s_and_b64 s[44:45], vcc, exec
	s_or_b64 s[40:41], s[40:41], s[44:45]
.LBB589_195:                            ;   in Loop: Header=BB589_196 Depth=1
	s_and_b64 s[44:45], exec, s[40:41]
	s_or_b64 s[6:7], s[44:45], s[6:7]
	v_pk_mov_b32 v[16:17], s[42:43], s[42:43] op_sel:[0,1]
	s_andn2_b64 exec, exec, s[6:7]
	s_cbranch_execz .LBB589_198
.LBB589_196:                            ; =>This Inner Loop Header: Depth=1
	s_or_b64 s[40:41], s[40:41], exec
	s_cmp_eq_u64 s[4:5], s[42:43]
	s_cbranch_scc0 .LBB589_194
; %bb.197:                              ;   in Loop: Header=BB589_196 Depth=1
                                        ; implicit-def: $vgpr12_vgpr13
                                        ; implicit-def: $vgpr14_vgpr15
	s_mov_b64 s[42:43], s[26:27]
	s_branch .LBB589_195
.LBB589_198:
	s_or_b64 exec, exec, s[6:7]
	v_cmp_gt_i64_e32 vcc, s[26:27], v[16:17]
	s_orn2_b64 s[40:41], vcc, exec
.LBB589_199:
	s_or_b64 exec, exec, s[36:37]
.LBB589_200:
	s_and_b64 s[36:37], s[40:41], exec
.LBB589_201:
	s_or_b64 exec, exec, s[38:39]
	v_cmp_gt_u32_e32 vcc, s48, v22
	s_mov_b64 s[38:39], 0
	s_mov_b64 s[40:41], 0
	s_and_saveexec_b64 s[42:43], vcc
	s_cbranch_execz .LBB589_212
; %bb.202:
	s_andn2_b64 vcc, exec, s[10:11]
	s_mov_b64 s[44:45], 0
	s_cbranch_vccnz .LBB589_211
; %bb.203:
	s_waitcnt vmcnt(0) lgkmcnt(1)
	v_mul_lo_u32 v14, v9, s26
	v_mul_lo_u32 v15, v8, s27
	v_mad_u64_u32 v[12:13], s[4:5], v8, s26, 0
	v_add3_u32 v13, v13, v15, v14
	v_mul_lo_u32 v14, v3, s26
	v_mul_lo_u32 v15, v2, s27
	v_mad_u64_u32 v[18:19], s[4:5], v2, s26, 0
	v_add3_u32 v19, v19, v15, v14
	v_lshlrev_b64 v[14:15], 3, v[12:13]
	v_mov_b32_e32 v12, s17
	v_add_co_u32_e32 v16, vcc, s16, v14
	v_addc_co_u32_e64 v17, s[4:5], v12, v15, vcc
	v_lshlrev_b64 v[12:13], 3, v[18:19]
	v_mov_b32_e32 v14, s17
	v_add_co_u32_e64 v18, s[4:5], s16, v12
	v_addc_co_u32_e64 v19, s[6:7], v14, v13, s[4:5]
	global_load_dwordx2 v[20:21], v[16:17], off
	global_load_dwordx2 v[28:29], v[18:19], off
	s_mov_b64 s[44:45], -1
	s_waitcnt vmcnt(0)
	v_cmp_eq_u64_e64 s[6:7], v[20:21], v[28:29]
	s_and_saveexec_b64 s[40:41], s[6:7]
	s_cbranch_execz .LBB589_210
; %bb.204:
	v_mov_b32_e32 v12, s17
	v_addc_co_u32_e64 v13, s[4:5], v13, v12, s[4:5]
	v_add_co_u32_e64 v12, s[4:5], 8, v18
	v_mov_b32_e32 v14, s17
	v_addc_co_u32_e64 v13, s[4:5], 0, v13, s[4:5]
	v_addc_co_u32_e32 v15, vcc, v15, v14, vcc
	v_add_co_u32_e32 v14, vcc, 8, v16
	s_add_u32 s4, s26, -1
	v_addc_co_u32_e32 v15, vcc, 0, v15, vcc
	s_addc_u32 s5, s27, -1
	s_mov_b64 s[6:7], 0
	s_mov_b64 s[46:47], 0
                                        ; implicit-def: $sgpr44_sgpr45
	s_branch .LBB589_207
.LBB589_205:                            ;   in Loop: Header=BB589_207 Depth=1
	global_load_dwordx2 v[16:17], v[14:15], off
	global_load_dwordx2 v[18:19], v[12:13], off
	v_add_co_u32_e32 v12, vcc, 8, v12
	v_addc_co_u32_e32 v13, vcc, 0, v13, vcc
	v_add_co_u32_e32 v14, vcc, 8, v14
	v_addc_co_u32_e32 v15, vcc, 0, v15, vcc
	s_add_u32 s46, s46, 1
	s_addc_u32 s47, s47, 0
	s_andn2_b64 s[44:45], s[44:45], exec
	s_waitcnt vmcnt(0)
	v_cmp_ne_u64_e32 vcc, v[16:17], v[18:19]
	s_and_b64 s[50:51], vcc, exec
	s_or_b64 s[44:45], s[44:45], s[50:51]
.LBB589_206:                            ;   in Loop: Header=BB589_207 Depth=1
	s_and_b64 s[50:51], exec, s[44:45]
	s_or_b64 s[6:7], s[50:51], s[6:7]
	v_pk_mov_b32 v[16:17], s[46:47], s[46:47] op_sel:[0,1]
	s_andn2_b64 exec, exec, s[6:7]
	s_cbranch_execz .LBB589_209
.LBB589_207:                            ; =>This Inner Loop Header: Depth=1
	s_or_b64 s[44:45], s[44:45], exec
	s_cmp_eq_u64 s[4:5], s[46:47]
	s_cbranch_scc0 .LBB589_205
; %bb.208:                              ;   in Loop: Header=BB589_207 Depth=1
                                        ; implicit-def: $vgpr12_vgpr13
                                        ; implicit-def: $vgpr14_vgpr15
	s_mov_b64 s[46:47], s[26:27]
	s_branch .LBB589_206
.LBB589_209:
	s_or_b64 exec, exec, s[6:7]
	v_cmp_gt_i64_e32 vcc, s[26:27], v[16:17]
	s_orn2_b64 s[44:45], vcc, exec
.LBB589_210:
	s_or_b64 exec, exec, s[40:41]
.LBB589_211:
	s_and_b64 s[40:41], s[44:45], exec
.LBB589_212:
	s_or_b64 exec, exec, s[42:43]
	v_cmp_gt_u32_e32 vcc, s48, v24
	s_and_saveexec_b64 s[42:43], vcc
	s_cbranch_execz .LBB589_223
; %bb.213:
	s_andn2_b64 vcc, exec, s[10:11]
	s_mov_b64 s[44:45], 0
	s_cbranch_vccnz .LBB589_222
; %bb.214:
	s_waitcnt vmcnt(0) lgkmcnt(1)
	v_mul_lo_u32 v14, v7, s26
	v_mul_lo_u32 v15, v6, s27
	v_mad_u64_u32 v[12:13], s[4:5], v6, s26, 0
	v_add3_u32 v13, v13, v15, v14
	v_mul_lo_u32 v14, v9, s26
	v_mul_lo_u32 v15, v8, s27
	v_mad_u64_u32 v[18:19], s[4:5], v8, s26, 0
	v_add3_u32 v19, v19, v15, v14
	v_lshlrev_b64 v[14:15], 3, v[12:13]
	v_mov_b32_e32 v12, s17
	v_add_co_u32_e32 v16, vcc, s16, v14
	v_addc_co_u32_e64 v17, s[4:5], v12, v15, vcc
	v_lshlrev_b64 v[12:13], 3, v[18:19]
	v_mov_b32_e32 v14, s17
	v_add_co_u32_e64 v18, s[4:5], s16, v12
	v_addc_co_u32_e64 v19, s[6:7], v14, v13, s[4:5]
	global_load_dwordx2 v[20:21], v[16:17], off
	global_load_dwordx2 v[28:29], v[18:19], off
	s_mov_b64 s[44:45], -1
	s_waitcnt vmcnt(0)
	v_cmp_eq_u64_e64 s[6:7], v[20:21], v[28:29]
	s_and_saveexec_b64 s[38:39], s[6:7]
	s_cbranch_execz .LBB589_221
; %bb.215:
	v_mov_b32_e32 v12, s17
	v_addc_co_u32_e64 v13, s[4:5], v13, v12, s[4:5]
	v_add_co_u32_e64 v12, s[4:5], 8, v18
	v_mov_b32_e32 v14, s17
	v_addc_co_u32_e64 v13, s[4:5], 0, v13, s[4:5]
	v_addc_co_u32_e32 v15, vcc, v15, v14, vcc
	v_add_co_u32_e32 v14, vcc, 8, v16
	s_add_u32 s4, s26, -1
	v_addc_co_u32_e32 v15, vcc, 0, v15, vcc
	s_addc_u32 s5, s27, -1
	s_mov_b64 s[6:7], 0
	s_mov_b64 s[46:47], 0
                                        ; implicit-def: $sgpr44_sgpr45
	s_branch .LBB589_218
.LBB589_216:                            ;   in Loop: Header=BB589_218 Depth=1
	global_load_dwordx2 v[16:17], v[14:15], off
	global_load_dwordx2 v[18:19], v[12:13], off
	v_add_co_u32_e32 v12, vcc, 8, v12
	v_addc_co_u32_e32 v13, vcc, 0, v13, vcc
	v_add_co_u32_e32 v14, vcc, 8, v14
	v_addc_co_u32_e32 v15, vcc, 0, v15, vcc
	s_add_u32 s46, s46, 1
	s_addc_u32 s47, s47, 0
	s_andn2_b64 s[44:45], s[44:45], exec
	s_waitcnt vmcnt(0)
	v_cmp_ne_u64_e32 vcc, v[16:17], v[18:19]
	s_and_b64 s[50:51], vcc, exec
	s_or_b64 s[44:45], s[44:45], s[50:51]
.LBB589_217:                            ;   in Loop: Header=BB589_218 Depth=1
	s_and_b64 s[50:51], exec, s[44:45]
	s_or_b64 s[6:7], s[50:51], s[6:7]
	v_pk_mov_b32 v[16:17], s[46:47], s[46:47] op_sel:[0,1]
	s_andn2_b64 exec, exec, s[6:7]
	s_cbranch_execz .LBB589_220
.LBB589_218:                            ; =>This Inner Loop Header: Depth=1
	s_or_b64 s[44:45], s[44:45], exec
	s_cmp_eq_u64 s[4:5], s[46:47]
	s_cbranch_scc0 .LBB589_216
; %bb.219:                              ;   in Loop: Header=BB589_218 Depth=1
                                        ; implicit-def: $vgpr12_vgpr13
                                        ; implicit-def: $vgpr14_vgpr15
	s_mov_b64 s[46:47], s[26:27]
	s_branch .LBB589_217
.LBB589_220:
	s_or_b64 exec, exec, s[6:7]
	v_cmp_gt_i64_e32 vcc, s[26:27], v[16:17]
	s_orn2_b64 s[44:45], vcc, exec
.LBB589_221:
	s_or_b64 exec, exec, s[38:39]
.LBB589_222:
	s_and_b64 s[38:39], s[44:45], exec
.LBB589_223:
	s_or_b64 exec, exec, s[42:43]
	v_cndmask_b32_e64 v13, 0, 1, s[36:37]
	s_waitcnt vmcnt(0) lgkmcnt(1)
	v_cndmask_b32_e64 v14, 0, 1, s[38:39]
	v_cndmask_b32_e64 v12, 0, 1, s[40:41]
	v_lshlrev_b16_e32 v14, 8, v14
	v_lshlrev_b16_e32 v13, 8, v13
	v_or_b32_e32 v14, 1, v14
	v_or_b32_sdwa v12, v12, v13 dst_sel:WORD_1 dst_unused:UNUSED_PAD src0_sel:DWORD src1_sel:DWORD
	v_or_b32_sdwa v12, v14, v12 dst_sel:DWORD dst_unused:UNUSED_PAD src0_sel:WORD_0 src1_sel:DWORD
	v_cndmask_b32_e64 v13, 0, 1, s[8:9]
	s_waitcnt lgkmcnt(0)
	s_barrier
	s_waitcnt lgkmcnt(0)
                                        ; implicit-def: $sgpr36_sgpr37
                                        ; implicit-def: $vgpr16
	s_and_saveexec_b64 s[6:7], s[2:3]
	s_cbranch_execz .LBB589_236
; %bb.224:
	v_cmp_gt_u32_e32 vcc, s48, v1
	s_mov_b32 s38, 0x3020104
	s_mov_b64 s[2:3], 0
	s_and_saveexec_b64 s[8:9], vcc
	s_cbranch_execz .LBB589_235
; %bb.225:
	s_andn2_b64 vcc, exec, s[10:11]
	s_mov_b64 s[36:37], 0
	s_cbranch_vccnz .LBB589_234
; %bb.226:
	v_add_u32_e32 v14, -8, v26
	ds_read_b64 v[14:15], v14
	v_mul_lo_u32 v16, v7, s26
	v_mad_u64_u32 v[20:21], s[2:3], v6, s26, 0
	s_mov_b64 s[36:37], -1
	s_waitcnt lgkmcnt(0)
	v_mul_lo_u32 v17, v15, s26
	v_mul_lo_u32 v18, v14, s27
	v_mad_u64_u32 v[14:15], s[2:3], v14, s26, 0
	v_add3_u32 v15, v15, v18, v17
	v_mul_lo_u32 v17, v6, s27
	v_add3_u32 v21, v21, v17, v16
	v_lshlrev_b64 v[16:17], 3, v[14:15]
	v_mov_b32_e32 v14, s17
	v_add_co_u32_e32 v18, vcc, s16, v16
	v_addc_co_u32_e64 v19, s[2:3], v14, v17, vcc
	v_lshlrev_b64 v[14:15], 3, v[20:21]
	v_mov_b32_e32 v16, s17
	v_add_co_u32_e64 v20, s[2:3], s16, v14
	v_addc_co_u32_e64 v21, s[4:5], v16, v15, s[2:3]
	global_load_dwordx2 v[26:27], v[18:19], off
	global_load_dwordx2 v[28:29], v[20:21], off
	s_waitcnt vmcnt(0)
	v_cmp_eq_u64_e64 s[4:5], v[26:27], v[28:29]
	s_and_saveexec_b64 s[10:11], s[4:5]
	s_cbranch_execz .LBB589_233
; %bb.227:
	v_mov_b32_e32 v14, s17
	v_addc_co_u32_e64 v15, s[2:3], v15, v14, s[2:3]
	v_add_co_u32_e64 v14, s[2:3], 8, v20
	v_mov_b32_e32 v16, s17
	v_addc_co_u32_e64 v15, s[2:3], 0, v15, s[2:3]
	v_addc_co_u32_e32 v17, vcc, v17, v16, vcc
	v_add_co_u32_e32 v16, vcc, 8, v18
	s_add_u32 s2, s26, -1
	v_addc_co_u32_e32 v17, vcc, 0, v17, vcc
	s_addc_u32 s3, s27, -1
	s_mov_b64 s[4:5], 0
	s_mov_b64 s[36:37], 0
                                        ; implicit-def: $sgpr16_sgpr17
	s_branch .LBB589_230
.LBB589_228:                            ;   in Loop: Header=BB589_230 Depth=1
	global_load_dwordx2 v[18:19], v[16:17], off
	global_load_dwordx2 v[20:21], v[14:15], off
	v_add_co_u32_e32 v14, vcc, 8, v14
	v_addc_co_u32_e32 v15, vcc, 0, v15, vcc
	v_add_co_u32_e32 v16, vcc, 8, v16
	v_addc_co_u32_e32 v17, vcc, 0, v17, vcc
	s_add_u32 s36, s36, 1
	s_addc_u32 s37, s37, 0
	s_andn2_b64 s[16:17], s[16:17], exec
	s_waitcnt vmcnt(0)
	v_cmp_ne_u64_e32 vcc, v[18:19], v[20:21]
	s_and_b64 s[40:41], vcc, exec
	s_or_b64 s[16:17], s[16:17], s[40:41]
.LBB589_229:                            ;   in Loop: Header=BB589_230 Depth=1
	s_and_b64 s[40:41], exec, s[16:17]
	s_or_b64 s[4:5], s[40:41], s[4:5]
	v_pk_mov_b32 v[18:19], s[36:37], s[36:37] op_sel:[0,1]
	s_andn2_b64 exec, exec, s[4:5]
	s_cbranch_execz .LBB589_232
.LBB589_230:                            ; =>This Inner Loop Header: Depth=1
	s_or_b64 s[16:17], s[16:17], exec
	s_cmp_eq_u64 s[2:3], s[36:37]
	s_cbranch_scc0 .LBB589_228
; %bb.231:                              ;   in Loop: Header=BB589_230 Depth=1
                                        ; implicit-def: $vgpr14_vgpr15
                                        ; implicit-def: $vgpr16_vgpr17
	s_mov_b64 s[36:37], s[26:27]
	s_branch .LBB589_229
.LBB589_232:
	s_or_b64 exec, exec, s[4:5]
	v_cmp_gt_i64_e32 vcc, s[26:27], v[18:19]
	s_orn2_b64 s[36:37], vcc, exec
.LBB589_233:
	s_or_b64 exec, exec, s[10:11]
.LBB589_234:
	s_and_b64 s[2:3], s[36:37], exec
.LBB589_235:
	s_or_b64 exec, exec, s[8:9]
	v_perm_b32 v16, v12, v12, s38
	s_and_b64 s[36:37], s[2:3], exec
	s_or_b64 s[14:15], s[14:15], exec
.LBB589_236:
	s_or_b64 exec, exec, s[6:7]
.LBB589_237:
	s_and_saveexec_b64 s[2:3], s[14:15]
	s_cbranch_execz .LBB589_239
; %bb.238:
	s_waitcnt vmcnt(0) lgkmcnt(0)
	v_lshrrev_b32_e32 v14, 24, v16
	s_movk_i32 s4, 0xff
	v_lshlrev_b16_e32 v14, 8, v14
	v_and_b32_sdwa v15, v16, s4 dst_sel:DWORD dst_unused:UNUSED_PAD src0_sel:WORD_1 src1_sel:DWORD
	v_or_b32_sdwa v14, v15, v14 dst_sel:WORD_1 dst_unused:UNUSED_PAD src0_sel:DWORD src1_sel:DWORD
	v_mov_b32_e32 v15, 8
	v_cndmask_b32_e64 v12, 0, 1, s[36:37]
	v_lshrrev_b32_sdwa v15, v15, v16 dst_sel:BYTE_1 dst_unused:UNUSED_PAD src0_sel:DWORD src1_sel:DWORD
	v_or_b32_e32 v12, v12, v15
	s_mov_b32 s4, 0xffff
	v_or_b32_sdwa v12, v12, v14 dst_sel:DWORD dst_unused:UNUSED_PAD src0_sel:WORD_0 src1_sel:DWORD
	v_and_b32_sdwa v13, s4, v13 dst_sel:DWORD dst_unused:UNUSED_PAD src0_sel:DWORD src1_sel:BYTE_0
.LBB589_239:
	s_or_b64 exec, exec, s[2:3]
	s_andn2_b64 vcc, exec, s[12:13]
	s_cbranch_vccnz .LBB589_241
; %bb.240:
	v_cmp_gt_u32_e32 vcc, s48, v1
	v_cndmask_b32_e32 v1, 0, v12, vcc
	v_and_b32_e32 v1, 0xffff00ff, v1
	v_cmp_gt_u32_e64 s[2:3], s48, v24
	v_cndmask_b32_e64 v1, v1, v12, s[2:3]
	s_waitcnt vmcnt(0) lgkmcnt(0)
	v_lshrrev_b32_e32 v14, 24, v1
	s_mov_b32 s4, 0x40c0100
	v_perm_b32 v1, v14, v1, s4
	v_cmp_gt_u32_e64 s[4:5], s48, v22
	v_cmp_gt_u32_e64 s[6:7], s48, v25
	v_cndmask_b32_e64 v1, v1, v12, s[4:5]
	s_or_b64 s[4:5], s[6:7], s[4:5]
	s_or_b64 s[2:3], s[4:5], s[2:3]
	s_or_b64 vcc, s[2:3], vcc
	v_and_b32_e32 v1, 0xffffff, v1
	v_cndmask_b32_e32 v14, 0, v13, vcc
	v_cndmask_b32_e64 v1, v1, v12, s[6:7]
	v_and_b32_e32 v14, 0xffffff00, v14
	v_cmp_gt_u32_e32 vcc, s48, v23
	v_cndmask_b32_e32 v1, v1, v12, vcc
	v_cndmask_b32_e32 v12, v14, v13, vcc
	s_mov_b32 s2, 0x3020104
	v_and_b32_e32 v13, 0xff, v12
	v_perm_b32 v12, v1, v1, s2
.LBB589_241:
	v_and_b32_e32 v1, 0xff, v12
	v_bfe_u32 v25, v12, 8, 8
	v_bfe_u32 v27, v12, 16, 8
	s_waitcnt vmcnt(0) lgkmcnt(0)
	v_alignbit_b32 v14, v13, v12, 24
	v_and_b32_e32 v28, 0xff, v14
	v_and_b32_e32 v14, 0xff, v13
	v_add3_u32 v15, v25, v1, v27
	v_add3_u32 v31, v15, v28, v14
	v_mbcnt_lo_u32_b32 v14, -1, 0
	v_mbcnt_hi_u32_b32 v29, -1, v14
	v_and_b32_e32 v14, 15, v29
	v_cmp_eq_u32_e64 s[14:15], 0, v14
	v_cmp_lt_u32_e64 s[12:13], 1, v14
	v_cmp_lt_u32_e64 s[10:11], 3, v14
	;; [unrolled: 1-line block ×3, first 2 shown]
	v_and_b32_e32 v14, 16, v29
	v_cmp_eq_u32_e64 s[6:7], 0, v14
	v_or_b32_e32 v14, 63, v0
	v_cmp_lt_u32_e64 s[2:3], 31, v29
	v_lshrrev_b32_e32 v30, 6, v0
	v_cmp_eq_u32_e64 s[4:5], v14, v0
	s_and_b64 vcc, exec, s[34:35]
	s_barrier
	s_cbranch_vccz .LBB589_268
; %bb.242:
	v_mov_b32_dpp v14, v31 row_shr:1 row_mask:0xf bank_mask:0xf
	v_cndmask_b32_e64 v14, v14, 0, s[14:15]
	v_add_u32_e32 v14, v14, v31
	s_nop 1
	v_mov_b32_dpp v15, v14 row_shr:2 row_mask:0xf bank_mask:0xf
	v_cndmask_b32_e64 v15, 0, v15, s[12:13]
	v_add_u32_e32 v14, v14, v15
	s_nop 1
	;; [unrolled: 4-line block ×4, first 2 shown]
	v_mov_b32_dpp v15, v14 row_bcast:15 row_mask:0xf bank_mask:0xf
	v_cndmask_b32_e64 v15, v15, 0, s[6:7]
	v_add_u32_e32 v14, v14, v15
	s_nop 1
	v_mov_b32_dpp v15, v14 row_bcast:31 row_mask:0xf bank_mask:0xf
	v_cndmask_b32_e64 v15, 0, v15, s[2:3]
	v_add_u32_e32 v14, v14, v15
	s_and_saveexec_b64 s[16:17], s[4:5]
	s_cbranch_execz .LBB589_244
; %bb.243:
	v_lshlrev_b32_e32 v15, 2, v30
	ds_write_b32 v15, v14
.LBB589_244:
	s_or_b64 exec, exec, s[16:17]
	v_cmp_gt_u32_e32 vcc, 4, v0
	s_waitcnt lgkmcnt(0)
	s_barrier
	s_and_saveexec_b64 s[16:17], vcc
	s_cbranch_execz .LBB589_246
; %bb.245:
	v_lshlrev_b32_e32 v15, 2, v0
	ds_read_b32 v16, v15
	v_and_b32_e32 v17, 3, v29
	v_cmp_ne_u32_e32 vcc, 0, v17
	s_waitcnt lgkmcnt(0)
	v_mov_b32_dpp v18, v16 row_shr:1 row_mask:0xf bank_mask:0xf
	v_cndmask_b32_e32 v18, 0, v18, vcc
	v_add_u32_e32 v16, v18, v16
	v_cmp_lt_u32_e32 vcc, 1, v17
	s_nop 0
	v_mov_b32_dpp v18, v16 row_shr:2 row_mask:0xf bank_mask:0xf
	v_cndmask_b32_e32 v17, 0, v18, vcc
	v_add_u32_e32 v16, v16, v17
	ds_write_b32 v15, v16
.LBB589_246:
	s_or_b64 exec, exec, s[16:17]
	v_cmp_gt_u32_e32 vcc, 64, v0
	v_cmp_lt_u32_e64 s[16:17], 63, v0
	s_waitcnt lgkmcnt(0)
	s_barrier
	s_waitcnt lgkmcnt(0)
                                        ; implicit-def: $vgpr24
	s_and_saveexec_b64 s[26:27], s[16:17]
	s_cbranch_execz .LBB589_248
; %bb.247:
	v_lshl_add_u32 v15, v30, 2, -4
	ds_read_b32 v24, v15
	s_waitcnt lgkmcnt(0)
	v_add_u32_e32 v14, v24, v14
.LBB589_248:
	s_or_b64 exec, exec, s[26:27]
	v_add_u32_e32 v15, -1, v29
	v_and_b32_e32 v16, 64, v29
	v_cmp_lt_i32_e64 s[16:17], v15, v16
	v_cndmask_b32_e64 v15, v15, v29, s[16:17]
	v_lshlrev_b32_e32 v15, 2, v15
	ds_bpermute_b32 v26, v15, v14
	v_cmp_eq_u32_e64 s[16:17], 0, v29
	s_and_saveexec_b64 s[26:27], vcc
	s_cbranch_execz .LBB589_267
; %bb.249:
	v_mov_b32_e32 v21, 0
	ds_read_b32 v14, v21 offset:12
	s_and_saveexec_b64 s[34:35], s[16:17]
	s_cbranch_execz .LBB589_251
; %bb.250:
	s_add_i32 s36, s33, 64
	s_mov_b32 s37, 0
	s_lshl_b64 s[36:37], s[36:37], 3
	s_add_u32 s36, s18, s36
	v_mov_b32_e32 v15, 1
	s_addc_u32 s37, s19, s37
	s_waitcnt lgkmcnt(0)
	global_store_dwordx2 v21, v[14:15], s[36:37]
.LBB589_251:
	s_or_b64 exec, exec, s[34:35]
	v_xad_u32 v16, v29, -1, s33
	v_add_u32_e32 v20, 64, v16
	v_lshlrev_b64 v[18:19], 3, v[20:21]
	v_mov_b32_e32 v15, s19
	v_add_co_u32_e32 v22, vcc, s18, v18
	v_addc_co_u32_e32 v23, vcc, v15, v19, vcc
	global_load_dwordx2 v[18:19], v[22:23], off glc
	s_waitcnt vmcnt(0)
	v_cmp_eq_u16_sdwa s[36:37], v19, v21 src0_sel:BYTE_0 src1_sel:DWORD
	s_and_saveexec_b64 s[34:35], s[36:37]
	s_cbranch_execz .LBB589_255
; %bb.252:
	s_mov_b64 s[36:37], 0
	v_mov_b32_e32 v15, 0
.LBB589_253:                            ; =>This Inner Loop Header: Depth=1
	global_load_dwordx2 v[18:19], v[22:23], off glc
	s_waitcnt vmcnt(0)
	v_cmp_ne_u16_sdwa s[38:39], v19, v15 src0_sel:BYTE_0 src1_sel:DWORD
	s_or_b64 s[36:37], s[38:39], s[36:37]
	s_andn2_b64 exec, exec, s[36:37]
	s_cbranch_execnz .LBB589_253
; %bb.254:
	s_or_b64 exec, exec, s[36:37]
.LBB589_255:
	s_or_b64 exec, exec, s[34:35]
	v_and_b32_e32 v32, 63, v29
	v_mov_b32_e32 v15, 2
	v_cmp_ne_u32_e32 vcc, 63, v32
	v_cmp_eq_u16_sdwa s[34:35], v19, v15 src0_sel:BYTE_0 src1_sel:DWORD
	v_lshlrev_b64 v[20:21], v29, -1
	v_addc_co_u32_e32 v23, vcc, 0, v29, vcc
	v_and_b32_e32 v17, s35, v21
	v_lshlrev_b32_e32 v33, 2, v23
	v_or_b32_e32 v17, 0x80000000, v17
	ds_bpermute_b32 v23, v33, v18
	v_and_b32_e32 v22, s34, v20
	v_ffbl_b32_e32 v17, v17
	v_add_u32_e32 v17, 32, v17
	v_ffbl_b32_e32 v22, v22
	v_min_u32_e32 v17, v22, v17
	v_cmp_lt_u32_e32 vcc, v32, v17
	s_waitcnt lgkmcnt(0)
	v_cndmask_b32_e32 v22, 0, v23, vcc
	v_cmp_gt_u32_e32 vcc, 62, v32
	v_add_u32_e32 v18, v22, v18
	v_cndmask_b32_e64 v22, 0, 1, vcc
	v_lshlrev_b32_e32 v22, 1, v22
	v_add_lshl_u32 v34, v22, v29, 2
	ds_bpermute_b32 v22, v34, v18
	v_add_u32_e32 v35, 2, v32
	v_cmp_le_u32_e32 vcc, v35, v17
	v_add_u32_e32 v37, 4, v32
	v_add_u32_e32 v39, 8, v32
	s_waitcnt lgkmcnt(0)
	v_cndmask_b32_e32 v22, 0, v22, vcc
	v_cmp_gt_u32_e32 vcc, 60, v32
	v_add_u32_e32 v18, v18, v22
	v_cndmask_b32_e64 v22, 0, 1, vcc
	v_lshlrev_b32_e32 v22, 2, v22
	v_add_lshl_u32 v36, v22, v29, 2
	ds_bpermute_b32 v22, v36, v18
	v_cmp_le_u32_e32 vcc, v37, v17
	v_add_u32_e32 v42, 16, v32
	v_add_u32_e32 v44, 32, v32
	s_waitcnt lgkmcnt(0)
	v_cndmask_b32_e32 v22, 0, v22, vcc
	v_cmp_gt_u32_e32 vcc, 56, v32
	v_add_u32_e32 v18, v18, v22
	v_cndmask_b32_e64 v22, 0, 1, vcc
	v_lshlrev_b32_e32 v22, 3, v22
	v_add_lshl_u32 v38, v22, v29, 2
	ds_bpermute_b32 v22, v38, v18
	v_cmp_le_u32_e32 vcc, v39, v17
	s_waitcnt lgkmcnt(0)
	v_cndmask_b32_e32 v22, 0, v22, vcc
	v_cmp_gt_u32_e32 vcc, 48, v32
	v_add_u32_e32 v18, v18, v22
	v_cndmask_b32_e64 v22, 0, 1, vcc
	v_lshlrev_b32_e32 v22, 4, v22
	v_add_lshl_u32 v41, v22, v29, 2
	ds_bpermute_b32 v22, v41, v18
	v_cmp_le_u32_e32 vcc, v42, v17
	;; [unrolled: 9-line block ×3, first 2 shown]
	s_waitcnt lgkmcnt(0)
	v_cndmask_b32_e32 v17, 0, v22, vcc
	v_add_u32_e32 v18, v18, v17
	v_mov_b32_e32 v17, 0
	s_branch .LBB589_257
.LBB589_256:                            ;   in Loop: Header=BB589_257 Depth=1
	s_or_b64 exec, exec, s[34:35]
	v_cmp_eq_u16_sdwa s[34:35], v19, v15 src0_sel:BYTE_0 src1_sel:DWORD
	v_and_b32_e32 v22, s35, v21
	v_or_b32_e32 v22, 0x80000000, v22
	ds_bpermute_b32 v45, v33, v18
	v_and_b32_e32 v23, s34, v20
	v_ffbl_b32_e32 v22, v22
	v_add_u32_e32 v22, 32, v22
	v_ffbl_b32_e32 v23, v23
	v_min_u32_e32 v22, v23, v22
	v_cmp_lt_u32_e32 vcc, v32, v22
	s_waitcnt lgkmcnt(0)
	v_cndmask_b32_e32 v23, 0, v45, vcc
	v_add_u32_e32 v18, v23, v18
	ds_bpermute_b32 v23, v34, v18
	v_cmp_le_u32_e32 vcc, v35, v22
	v_subrev_u32_e32 v16, 64, v16
	s_waitcnt lgkmcnt(0)
	v_cndmask_b32_e32 v23, 0, v23, vcc
	v_add_u32_e32 v18, v18, v23
	ds_bpermute_b32 v23, v36, v18
	v_cmp_le_u32_e32 vcc, v37, v22
	s_waitcnt lgkmcnt(0)
	v_cndmask_b32_e32 v23, 0, v23, vcc
	v_add_u32_e32 v18, v18, v23
	ds_bpermute_b32 v23, v38, v18
	v_cmp_le_u32_e32 vcc, v39, v22
	;; [unrolled: 5-line block ×4, first 2 shown]
	s_waitcnt lgkmcnt(0)
	v_cndmask_b32_e32 v22, 0, v23, vcc
	v_add3_u32 v18, v22, v40, v18
.LBB589_257:                            ; =>This Loop Header: Depth=1
                                        ;     Child Loop BB589_260 Depth 2
	v_cmp_ne_u16_sdwa s[34:35], v19, v15 src0_sel:BYTE_0 src1_sel:DWORD
	v_cndmask_b32_e64 v19, 0, 1, s[34:35]
	;;#ASMSTART
	;;#ASMEND
	v_cmp_ne_u32_e32 vcc, 0, v19
	s_cmp_lg_u64 vcc, exec
	v_mov_b32_e32 v40, v18
	s_cbranch_scc1 .LBB589_262
; %bb.258:                              ;   in Loop: Header=BB589_257 Depth=1
	v_lshlrev_b64 v[18:19], 3, v[16:17]
	v_mov_b32_e32 v23, s19
	v_add_co_u32_e32 v22, vcc, s18, v18
	v_addc_co_u32_e32 v23, vcc, v23, v19, vcc
	global_load_dwordx2 v[18:19], v[22:23], off glc
	s_waitcnt vmcnt(0)
	v_cmp_eq_u16_sdwa s[36:37], v19, v17 src0_sel:BYTE_0 src1_sel:DWORD
	s_and_saveexec_b64 s[34:35], s[36:37]
	s_cbranch_execz .LBB589_256
; %bb.259:                              ;   in Loop: Header=BB589_257 Depth=1
	s_mov_b64 s[36:37], 0
.LBB589_260:                            ;   Parent Loop BB589_257 Depth=1
                                        ; =>  This Inner Loop Header: Depth=2
	global_load_dwordx2 v[18:19], v[22:23], off glc
	s_waitcnt vmcnt(0)
	v_cmp_ne_u16_sdwa s[38:39], v19, v17 src0_sel:BYTE_0 src1_sel:DWORD
	s_or_b64 s[36:37], s[38:39], s[36:37]
	s_andn2_b64 exec, exec, s[36:37]
	s_cbranch_execnz .LBB589_260
; %bb.261:                              ;   in Loop: Header=BB589_257 Depth=1
	s_or_b64 exec, exec, s[36:37]
	s_branch .LBB589_256
.LBB589_262:                            ;   in Loop: Header=BB589_257 Depth=1
                                        ; implicit-def: $vgpr18
                                        ; implicit-def: $vgpr19
	s_cbranch_execz .LBB589_257
; %bb.263:
	s_and_saveexec_b64 s[34:35], s[16:17]
	s_cbranch_execz .LBB589_265
; %bb.264:
	s_add_i32 s36, s33, 64
	s_mov_b32 s37, 0
	s_lshl_b64 s[36:37], s[36:37], 3
	s_add_u32 s36, s18, s36
	v_add_u32_e32 v16, v40, v14
	v_mov_b32_e32 v17, 2
	s_addc_u32 s37, s19, s37
	v_mov_b32_e32 v15, 0
	s_movk_i32 s33, 0x2800
	global_store_dwordx2 v15, v[16:17], s[36:37]
	v_add_u32_e64 v15, s33, 0
	ds_write2_b32 v15, v14, v40 offset1:2
.LBB589_265:
	s_or_b64 exec, exec, s[34:35]
	s_and_b64 exec, exec, s[0:1]
	s_cbranch_execz .LBB589_267
; %bb.266:
	v_mov_b32_e32 v14, 0
	ds_write_b32 v14, v40 offset:12
.LBB589_267:
	s_or_b64 exec, exec, s[26:27]
	v_mov_b32_e32 v14, 0
	s_waitcnt lgkmcnt(0)
	s_barrier
	ds_read_b32 v14, v14 offset:12
	v_cndmask_b32_e64 v15, v26, v24, s[16:17]
	v_cndmask_b32_e64 v15, v15, 0, s[0:1]
	s_movk_i32 s16, 0x2800
	s_waitcnt lgkmcnt(0)
	v_add_u32_e32 v26, v14, v15
	v_add_u32_e64 v14, s16, 0
	s_barrier
	ds_read2_b32 v[14:15], v14 offset1:2
	v_add_u32_e32 v24, v26, v1
	v_add_u32_e32 v22, v24, v25
	;; [unrolled: 1-line block ×4, first 2 shown]
	v_lshrrev_b64 v[16:17], 24, v[12:13]
	s_branch .LBB589_278
.LBB589_268:
                                        ; implicit-def: $vgpr18
                                        ; implicit-def: $vgpr20
                                        ; implicit-def: $vgpr22
                                        ; implicit-def: $vgpr24
                                        ; implicit-def: $vgpr26
                                        ; implicit-def: $vgpr15
	v_lshrrev_b64 v[16:17], 24, v[12:13]
	s_cbranch_execz .LBB589_278
; %bb.269:
	s_waitcnt lgkmcnt(0)
	v_mov_b32_dpp v14, v31 row_shr:1 row_mask:0xf bank_mask:0xf
	v_cndmask_b32_e64 v14, v14, 0, s[14:15]
	v_add_u32_e32 v14, v14, v31
	s_nop 1
	v_mov_b32_dpp v15, v14 row_shr:2 row_mask:0xf bank_mask:0xf
	v_cndmask_b32_e64 v15, 0, v15, s[12:13]
	v_add_u32_e32 v14, v14, v15
	s_nop 1
	;; [unrolled: 4-line block ×4, first 2 shown]
	v_mov_b32_dpp v15, v14 row_bcast:15 row_mask:0xf bank_mask:0xf
	v_cndmask_b32_e64 v15, v15, 0, s[6:7]
	v_add_u32_e32 v14, v14, v15
	s_nop 1
	v_mov_b32_dpp v15, v14 row_bcast:31 row_mask:0xf bank_mask:0xf
	v_cndmask_b32_e64 v15, 0, v15, s[2:3]
	v_add_u32_e32 v14, v14, v15
	s_and_saveexec_b64 s[2:3], s[4:5]
	s_cbranch_execz .LBB589_271
; %bb.270:
	v_lshlrev_b32_e32 v15, 2, v30
	ds_write_b32 v15, v14
.LBB589_271:
	s_or_b64 exec, exec, s[2:3]
	v_cmp_gt_u32_e32 vcc, 4, v0
	s_waitcnt lgkmcnt(0)
	s_barrier
	s_and_saveexec_b64 s[2:3], vcc
	s_cbranch_execz .LBB589_273
; %bb.272:
	v_lshlrev_b32_e32 v15, 2, v0
	ds_read_b32 v17, v15
	v_and_b32_e32 v18, 3, v29
	v_cmp_ne_u32_e32 vcc, 0, v18
	s_waitcnt lgkmcnt(0)
	v_mov_b32_dpp v19, v17 row_shr:1 row_mask:0xf bank_mask:0xf
	v_cndmask_b32_e32 v19, 0, v19, vcc
	v_add_u32_e32 v17, v19, v17
	v_cmp_lt_u32_e32 vcc, 1, v18
	s_nop 0
	v_mov_b32_dpp v19, v17 row_shr:2 row_mask:0xf bank_mask:0xf
	v_cndmask_b32_e32 v18, 0, v19, vcc
	v_add_u32_e32 v17, v17, v18
	ds_write_b32 v15, v17
.LBB589_273:
	s_or_b64 exec, exec, s[2:3]
	v_cmp_lt_u32_e32 vcc, 63, v0
	v_mov_b32_e32 v15, 0
	v_mov_b32_e32 v17, 0
	s_waitcnt lgkmcnt(0)
	s_barrier
	s_and_saveexec_b64 s[2:3], vcc
	s_cbranch_execz .LBB589_275
; %bb.274:
	v_lshl_add_u32 v17, v30, 2, -4
	ds_read_b32 v17, v17
.LBB589_275:
	s_or_b64 exec, exec, s[2:3]
	v_add_u32_e32 v18, -1, v29
	v_and_b32_e32 v19, 64, v29
	v_cmp_lt_i32_e32 vcc, v18, v19
	v_cndmask_b32_e32 v18, v18, v29, vcc
	s_waitcnt lgkmcnt(0)
	v_add_u32_e32 v14, v17, v14
	v_lshlrev_b32_e32 v18, 2, v18
	ds_bpermute_b32 v18, v18, v14
	ds_read_b32 v14, v15 offset:12
	s_and_saveexec_b64 s[2:3], s[0:1]
	s_cbranch_execz .LBB589_277
; %bb.276:
	v_mov_b32_e32 v19, 0
	v_mov_b32_e32 v15, 2
	s_waitcnt lgkmcnt(0)
	global_store_dwordx2 v19, v[14:15], s[18:19] offset:512
.LBB589_277:
	s_or_b64 exec, exec, s[2:3]
	v_cmp_eq_u32_e32 vcc, 0, v29
	s_waitcnt lgkmcnt(1)
	v_cndmask_b32_e32 v17, v18, v17, vcc
	v_cndmask_b32_e64 v26, v17, 0, s[0:1]
	v_add_u32_e32 v24, v26, v1
	v_add_u32_e32 v22, v24, v25
	;; [unrolled: 1-line block ×3, first 2 shown]
	v_mov_b32_e32 v15, 0
	v_add_u32_e32 v18, v20, v28
	s_waitcnt lgkmcnt(0)
	s_barrier
.LBB589_278:
	s_movk_i32 s2, 0x101
	s_waitcnt lgkmcnt(0)
	v_cmp_gt_u32_e32 vcc, s2, v14
	v_lshrrev_b32_e32 v1, 8, v12
	s_mov_b64 s[2:3], -1
	s_cbranch_vccnz .LBB589_282
; %bb.279:
	s_and_b64 vcc, exec, s[2:3]
	s_cbranch_vccnz .LBB589_298
.LBB589_280:
	s_and_b64 s[0:1], s[0:1], s[24:25]
	s_and_saveexec_b64 s[2:3], s[0:1]
	s_cbranch_execnz .LBB589_312
.LBB589_281:
	s_endpgm
.LBB589_282:
	v_add_u32_e32 v17, v15, v14
	v_cmp_lt_u32_e32 vcc, v26, v17
	s_or_b64 s[4:5], s[30:31], vcc
	s_and_saveexec_b64 s[2:3], s[4:5]
	s_cbranch_execz .LBB589_285
; %bb.283:
	v_and_b32_e32 v19, 1, v12
	v_cmp_eq_u32_e32 vcc, 1, v19
	s_and_b64 exec, exec, vcc
	s_cbranch_execz .LBB589_285
; %bb.284:
	s_lshl_b64 s[4:5], s[22:23], 3
	s_add_u32 s4, s28, s4
	v_mov_b32_e32 v27, 0
	s_addc_u32 s5, s29, s5
	v_lshlrev_b64 v[28:29], 3, v[26:27]
	v_mov_b32_e32 v19, s5
	v_add_co_u32_e32 v28, vcc, s4, v28
	v_addc_co_u32_e32 v29, vcc, v19, v29, vcc
	global_store_dwordx2 v[28:29], v[6:7], off
.LBB589_285:
	s_or_b64 exec, exec, s[2:3]
	v_cmp_lt_u32_e32 vcc, v24, v17
	s_or_b64 s[4:5], s[30:31], vcc
	s_and_saveexec_b64 s[2:3], s[4:5]
	s_cbranch_execz .LBB589_288
; %bb.286:
	v_and_b32_e32 v19, 1, v1
	v_cmp_eq_u32_e32 vcc, 1, v19
	s_and_b64 exec, exec, vcc
	s_cbranch_execz .LBB589_288
; %bb.287:
	s_lshl_b64 s[4:5], s[22:23], 3
	s_add_u32 s4, s28, s4
	v_mov_b32_e32 v25, 0
	s_addc_u32 s5, s29, s5
	v_lshlrev_b64 v[28:29], 3, v[24:25]
	v_mov_b32_e32 v19, s5
	v_add_co_u32_e32 v28, vcc, s4, v28
	v_addc_co_u32_e32 v29, vcc, v19, v29, vcc
	global_store_dwordx2 v[28:29], v[8:9], off
.LBB589_288:
	s_or_b64 exec, exec, s[2:3]
	v_cmp_lt_u32_e32 vcc, v22, v17
	s_or_b64 s[4:5], s[30:31], vcc
	s_and_saveexec_b64 s[2:3], s[4:5]
	s_cbranch_execz .LBB589_291
; %bb.289:
	v_mov_b32_e32 v19, 1
	v_and_b32_sdwa v19, v19, v12 dst_sel:DWORD dst_unused:UNUSED_PAD src0_sel:DWORD src1_sel:WORD_1
	v_cmp_eq_u32_e32 vcc, 1, v19
	s_and_b64 exec, exec, vcc
	s_cbranch_execz .LBB589_291
; %bb.290:
	s_lshl_b64 s[4:5], s[22:23], 3
	s_add_u32 s4, s28, s4
	v_mov_b32_e32 v23, 0
	s_addc_u32 s5, s29, s5
	v_lshlrev_b64 v[28:29], 3, v[22:23]
	v_mov_b32_e32 v19, s5
	v_add_co_u32_e32 v28, vcc, s4, v28
	v_addc_co_u32_e32 v29, vcc, v19, v29, vcc
	global_store_dwordx2 v[28:29], v[2:3], off
.LBB589_291:
	s_or_b64 exec, exec, s[2:3]
	v_cmp_lt_u32_e32 vcc, v20, v17
	s_or_b64 s[4:5], s[30:31], vcc
	s_and_saveexec_b64 s[2:3], s[4:5]
	s_cbranch_execz .LBB589_294
; %bb.292:
	v_and_b32_e32 v19, 1, v16
	v_cmp_eq_u32_e32 vcc, 1, v19
	s_and_b64 exec, exec, vcc
	s_cbranch_execz .LBB589_294
; %bb.293:
	s_lshl_b64 s[4:5], s[22:23], 3
	s_add_u32 s4, s28, s4
	v_mov_b32_e32 v21, 0
	s_addc_u32 s5, s29, s5
	v_lshlrev_b64 v[28:29], 3, v[20:21]
	v_mov_b32_e32 v19, s5
	v_add_co_u32_e32 v28, vcc, s4, v28
	v_addc_co_u32_e32 v29, vcc, v19, v29, vcc
	global_store_dwordx2 v[28:29], v[4:5], off
.LBB589_294:
	s_or_b64 exec, exec, s[2:3]
	v_cmp_lt_u32_e32 vcc, v18, v17
	s_or_b64 s[4:5], s[30:31], vcc
	s_and_saveexec_b64 s[2:3], s[4:5]
	s_cbranch_execz .LBB589_297
; %bb.295:
	v_and_b32_e32 v17, 1, v13
	v_cmp_eq_u32_e32 vcc, 1, v17
	s_and_b64 exec, exec, vcc
	s_cbranch_execz .LBB589_297
; %bb.296:
	s_lshl_b64 s[4:5], s[22:23], 3
	s_add_u32 s4, s28, s4
	v_mov_b32_e32 v19, 0
	s_addc_u32 s5, s29, s5
	v_lshlrev_b64 v[28:29], 3, v[18:19]
	v_mov_b32_e32 v17, s5
	v_add_co_u32_e32 v28, vcc, s4, v28
	v_addc_co_u32_e32 v29, vcc, v17, v29, vcc
	global_store_dwordx2 v[28:29], v[10:11], off
.LBB589_297:
	s_or_b64 exec, exec, s[2:3]
	s_branch .LBB589_280
.LBB589_298:
	v_and_b32_e32 v17, 1, v12
	v_cmp_eq_u32_e32 vcc, 1, v17
	s_and_saveexec_b64 s[2:3], vcc
	s_cbranch_execz .LBB589_300
; %bb.299:
	v_sub_u32_e32 v17, v26, v15
	v_lshlrev_b32_e32 v17, 3, v17
	ds_write_b64 v17, v[6:7]
.LBB589_300:
	s_or_b64 exec, exec, s[2:3]
	v_and_b32_e32 v1, 1, v1
	v_cmp_eq_u32_e32 vcc, 1, v1
	s_and_saveexec_b64 s[2:3], vcc
	s_cbranch_execz .LBB589_302
; %bb.301:
	v_sub_u32_e32 v1, v24, v15
	v_lshlrev_b32_e32 v1, 3, v1
	ds_write_b64 v1, v[8:9]
.LBB589_302:
	s_or_b64 exec, exec, s[2:3]
	v_mov_b32_e32 v1, 1
	v_and_b32_sdwa v1, v1, v12 dst_sel:DWORD dst_unused:UNUSED_PAD src0_sel:DWORD src1_sel:WORD_1
	v_cmp_eq_u32_e32 vcc, 1, v1
	s_and_saveexec_b64 s[2:3], vcc
	s_cbranch_execz .LBB589_304
; %bb.303:
	v_sub_u32_e32 v1, v22, v15
	v_lshlrev_b32_e32 v1, 3, v1
	ds_write_b64 v1, v[2:3]
.LBB589_304:
	s_or_b64 exec, exec, s[2:3]
	v_and_b32_e32 v1, 1, v16
	v_cmp_eq_u32_e32 vcc, 1, v1
	s_and_saveexec_b64 s[2:3], vcc
	s_cbranch_execz .LBB589_306
; %bb.305:
	v_sub_u32_e32 v1, v20, v15
	v_lshlrev_b32_e32 v1, 3, v1
	ds_write_b64 v1, v[4:5]
.LBB589_306:
	s_or_b64 exec, exec, s[2:3]
	v_and_b32_e32 v1, 1, v13
	v_cmp_eq_u32_e32 vcc, 1, v1
	s_and_saveexec_b64 s[2:3], vcc
	s_cbranch_execz .LBB589_308
; %bb.307:
	v_sub_u32_e32 v1, v18, v15
	v_lshlrev_b32_e32 v1, 3, v1
	ds_write_b64 v1, v[10:11]
.LBB589_308:
	s_or_b64 exec, exec, s[2:3]
	v_cmp_lt_u32_e32 vcc, v0, v14
	s_waitcnt lgkmcnt(0)
	s_barrier
	s_and_saveexec_b64 s[2:3], vcc
	s_cbranch_execz .LBB589_311
; %bb.309:
	v_mov_b32_e32 v1, 0
	v_mov_b32_e32 v2, v15
	;; [unrolled: 1-line block ×3, first 2 shown]
	v_lshlrev_b64 v[2:3], 3, v[2:3]
	v_mov_b32_e32 v4, s29
	v_add_co_u32_e32 v2, vcc, s28, v2
	v_addc_co_u32_e32 v3, vcc, v4, v3, vcc
	s_lshl_b64 s[4:5], s[22:23], 3
	v_mov_b32_e32 v4, s5
	v_add_co_u32_e32 v2, vcc, s4, v2
	v_addc_co_u32_e32 v3, vcc, v3, v4, vcc
	v_lshlrev_b32_e32 v4, 3, v0
	s_mov_b64 s[4:5], 0
.LBB589_310:                            ; =>This Inner Loop Header: Depth=1
	ds_read_b64 v[6:7], v4
	v_lshlrev_b64 v[8:9], 3, v[0:1]
	v_add_co_u32_e32 v8, vcc, v2, v8
	v_add_u32_e32 v0, 0x100, v0
	v_addc_co_u32_e32 v9, vcc, v3, v9, vcc
	v_cmp_ge_u32_e32 vcc, v0, v14
	v_add_u32_e32 v4, 0x800, v4
	s_or_b64 s[4:5], vcc, s[4:5]
	s_waitcnt lgkmcnt(0)
	global_store_dwordx2 v[8:9], v[6:7], off
	s_andn2_b64 exec, exec, s[4:5]
	s_cbranch_execnz .LBB589_310
.LBB589_311:
	s_or_b64 exec, exec, s[2:3]
	s_and_b64 s[0:1], s[0:1], s[24:25]
	s_and_saveexec_b64 s[2:3], s[0:1]
	s_cbranch_execz .LBB589_281
.LBB589_312:
	v_mov_b32_e32 v0, s23
	v_add_co_u32_e32 v1, vcc, s22, v14
	v_addc_co_u32_e32 v3, vcc, 0, v0, vcc
	v_add_co_u32_e32 v0, vcc, v1, v15
	v_mov_b32_e32 v2, 0
	v_addc_co_u32_e32 v1, vcc, 0, v3, vcc
	global_store_dwordx2 v2, v[0:1], s[20:21]
	s_endpgm
	.section	.rodata,"a",@progbits
	.p2align	6, 0x0
	.amdhsa_kernel _ZN7rocprim17ROCPRIM_400000_NS6detail17trampoline_kernelINS0_14default_configENS1_25partition_config_selectorILNS1_17partition_subalgoE8ElNS0_10empty_typeEbEEZZNS1_14partition_implILS5_8ELb0ES3_jPlPS6_PKS6_NS0_5tupleIJS9_S6_EEENSD_IJSA_SA_EEENS0_18inequality_wrapperIZN2at6native12_GLOBAL__N_124unique_dim_cuda_templateIlEESt5tupleIJNSH_6TensorESM_SM_EERKSM_lbbbEUlllE0_EEPmJS6_EEE10hipError_tPvRmT3_T4_T5_T6_T7_T9_mT8_P12ihipStream_tbDpT10_ENKUlT_T0_E_clISt17integral_constantIbLb0EES1B_IbLb1EEEEDaS17_S18_EUlS17_E_NS1_11comp_targetILNS1_3genE4ELNS1_11target_archE910ELNS1_3gpuE8ELNS1_3repE0EEENS1_30default_config_static_selectorELNS0_4arch9wavefront6targetE1EEEvT1_
		.amdhsa_group_segment_fixed_size 10252
		.amdhsa_private_segment_fixed_size 0
		.amdhsa_kernarg_size 136
		.amdhsa_user_sgpr_count 6
		.amdhsa_user_sgpr_private_segment_buffer 1
		.amdhsa_user_sgpr_dispatch_ptr 0
		.amdhsa_user_sgpr_queue_ptr 0
		.amdhsa_user_sgpr_kernarg_segment_ptr 1
		.amdhsa_user_sgpr_dispatch_id 0
		.amdhsa_user_sgpr_flat_scratch_init 0
		.amdhsa_user_sgpr_kernarg_preload_length 0
		.amdhsa_user_sgpr_kernarg_preload_offset 0
		.amdhsa_user_sgpr_private_segment_size 0
		.amdhsa_uses_dynamic_stack 0
		.amdhsa_system_sgpr_private_segment_wavefront_offset 0
		.amdhsa_system_sgpr_workgroup_id_x 1
		.amdhsa_system_sgpr_workgroup_id_y 0
		.amdhsa_system_sgpr_workgroup_id_z 0
		.amdhsa_system_sgpr_workgroup_info 0
		.amdhsa_system_vgpr_workitem_id 0
		.amdhsa_next_free_vgpr 46
		.amdhsa_next_free_sgpr 52
		.amdhsa_accum_offset 48
		.amdhsa_reserve_vcc 1
		.amdhsa_reserve_flat_scratch 0
		.amdhsa_float_round_mode_32 0
		.amdhsa_float_round_mode_16_64 0
		.amdhsa_float_denorm_mode_32 3
		.amdhsa_float_denorm_mode_16_64 3
		.amdhsa_dx10_clamp 1
		.amdhsa_ieee_mode 1
		.amdhsa_fp16_overflow 0
		.amdhsa_tg_split 0
		.amdhsa_exception_fp_ieee_invalid_op 0
		.amdhsa_exception_fp_denorm_src 0
		.amdhsa_exception_fp_ieee_div_zero 0
		.amdhsa_exception_fp_ieee_overflow 0
		.amdhsa_exception_fp_ieee_underflow 0
		.amdhsa_exception_fp_ieee_inexact 0
		.amdhsa_exception_int_div_zero 0
	.end_amdhsa_kernel
	.section	.text._ZN7rocprim17ROCPRIM_400000_NS6detail17trampoline_kernelINS0_14default_configENS1_25partition_config_selectorILNS1_17partition_subalgoE8ElNS0_10empty_typeEbEEZZNS1_14partition_implILS5_8ELb0ES3_jPlPS6_PKS6_NS0_5tupleIJS9_S6_EEENSD_IJSA_SA_EEENS0_18inequality_wrapperIZN2at6native12_GLOBAL__N_124unique_dim_cuda_templateIlEESt5tupleIJNSH_6TensorESM_SM_EERKSM_lbbbEUlllE0_EEPmJS6_EEE10hipError_tPvRmT3_T4_T5_T6_T7_T9_mT8_P12ihipStream_tbDpT10_ENKUlT_T0_E_clISt17integral_constantIbLb0EES1B_IbLb1EEEEDaS17_S18_EUlS17_E_NS1_11comp_targetILNS1_3genE4ELNS1_11target_archE910ELNS1_3gpuE8ELNS1_3repE0EEENS1_30default_config_static_selectorELNS0_4arch9wavefront6targetE1EEEvT1_,"axG",@progbits,_ZN7rocprim17ROCPRIM_400000_NS6detail17trampoline_kernelINS0_14default_configENS1_25partition_config_selectorILNS1_17partition_subalgoE8ElNS0_10empty_typeEbEEZZNS1_14partition_implILS5_8ELb0ES3_jPlPS6_PKS6_NS0_5tupleIJS9_S6_EEENSD_IJSA_SA_EEENS0_18inequality_wrapperIZN2at6native12_GLOBAL__N_124unique_dim_cuda_templateIlEESt5tupleIJNSH_6TensorESM_SM_EERKSM_lbbbEUlllE0_EEPmJS6_EEE10hipError_tPvRmT3_T4_T5_T6_T7_T9_mT8_P12ihipStream_tbDpT10_ENKUlT_T0_E_clISt17integral_constantIbLb0EES1B_IbLb1EEEEDaS17_S18_EUlS17_E_NS1_11comp_targetILNS1_3genE4ELNS1_11target_archE910ELNS1_3gpuE8ELNS1_3repE0EEENS1_30default_config_static_selectorELNS0_4arch9wavefront6targetE1EEEvT1_,comdat
.Lfunc_end589:
	.size	_ZN7rocprim17ROCPRIM_400000_NS6detail17trampoline_kernelINS0_14default_configENS1_25partition_config_selectorILNS1_17partition_subalgoE8ElNS0_10empty_typeEbEEZZNS1_14partition_implILS5_8ELb0ES3_jPlPS6_PKS6_NS0_5tupleIJS9_S6_EEENSD_IJSA_SA_EEENS0_18inequality_wrapperIZN2at6native12_GLOBAL__N_124unique_dim_cuda_templateIlEESt5tupleIJNSH_6TensorESM_SM_EERKSM_lbbbEUlllE0_EEPmJS6_EEE10hipError_tPvRmT3_T4_T5_T6_T7_T9_mT8_P12ihipStream_tbDpT10_ENKUlT_T0_E_clISt17integral_constantIbLb0EES1B_IbLb1EEEEDaS17_S18_EUlS17_E_NS1_11comp_targetILNS1_3genE4ELNS1_11target_archE910ELNS1_3gpuE8ELNS1_3repE0EEENS1_30default_config_static_selectorELNS0_4arch9wavefront6targetE1EEEvT1_, .Lfunc_end589-_ZN7rocprim17ROCPRIM_400000_NS6detail17trampoline_kernelINS0_14default_configENS1_25partition_config_selectorILNS1_17partition_subalgoE8ElNS0_10empty_typeEbEEZZNS1_14partition_implILS5_8ELb0ES3_jPlPS6_PKS6_NS0_5tupleIJS9_S6_EEENSD_IJSA_SA_EEENS0_18inequality_wrapperIZN2at6native12_GLOBAL__N_124unique_dim_cuda_templateIlEESt5tupleIJNSH_6TensorESM_SM_EERKSM_lbbbEUlllE0_EEPmJS6_EEE10hipError_tPvRmT3_T4_T5_T6_T7_T9_mT8_P12ihipStream_tbDpT10_ENKUlT_T0_E_clISt17integral_constantIbLb0EES1B_IbLb1EEEEDaS17_S18_EUlS17_E_NS1_11comp_targetILNS1_3genE4ELNS1_11target_archE910ELNS1_3gpuE8ELNS1_3repE0EEENS1_30default_config_static_selectorELNS0_4arch9wavefront6targetE1EEEvT1_
                                        ; -- End function
	.section	.AMDGPU.csdata,"",@progbits
; Kernel info:
; codeLenInByte = 11572
; NumSgprs: 56
; NumVgprs: 46
; NumAgprs: 0
; TotalNumVgprs: 46
; ScratchSize: 0
; MemoryBound: 1
; FloatMode: 240
; IeeeMode: 1
; LDSByteSize: 10252 bytes/workgroup (compile time only)
; SGPRBlocks: 6
; VGPRBlocks: 5
; NumSGPRsForWavesPerEU: 56
; NumVGPRsForWavesPerEU: 46
; AccumOffset: 48
; Occupancy: 6
; WaveLimiterHint : 1
; COMPUTE_PGM_RSRC2:SCRATCH_EN: 0
; COMPUTE_PGM_RSRC2:USER_SGPR: 6
; COMPUTE_PGM_RSRC2:TRAP_HANDLER: 0
; COMPUTE_PGM_RSRC2:TGID_X_EN: 1
; COMPUTE_PGM_RSRC2:TGID_Y_EN: 0
; COMPUTE_PGM_RSRC2:TGID_Z_EN: 0
; COMPUTE_PGM_RSRC2:TIDIG_COMP_CNT: 0
; COMPUTE_PGM_RSRC3_GFX90A:ACCUM_OFFSET: 11
; COMPUTE_PGM_RSRC3_GFX90A:TG_SPLIT: 0
	.section	.text._ZN7rocprim17ROCPRIM_400000_NS6detail17trampoline_kernelINS0_14default_configENS1_25partition_config_selectorILNS1_17partition_subalgoE8ElNS0_10empty_typeEbEEZZNS1_14partition_implILS5_8ELb0ES3_jPlPS6_PKS6_NS0_5tupleIJS9_S6_EEENSD_IJSA_SA_EEENS0_18inequality_wrapperIZN2at6native12_GLOBAL__N_124unique_dim_cuda_templateIlEESt5tupleIJNSH_6TensorESM_SM_EERKSM_lbbbEUlllE0_EEPmJS6_EEE10hipError_tPvRmT3_T4_T5_T6_T7_T9_mT8_P12ihipStream_tbDpT10_ENKUlT_T0_E_clISt17integral_constantIbLb0EES1B_IbLb1EEEEDaS17_S18_EUlS17_E_NS1_11comp_targetILNS1_3genE3ELNS1_11target_archE908ELNS1_3gpuE7ELNS1_3repE0EEENS1_30default_config_static_selectorELNS0_4arch9wavefront6targetE1EEEvT1_,"axG",@progbits,_ZN7rocprim17ROCPRIM_400000_NS6detail17trampoline_kernelINS0_14default_configENS1_25partition_config_selectorILNS1_17partition_subalgoE8ElNS0_10empty_typeEbEEZZNS1_14partition_implILS5_8ELb0ES3_jPlPS6_PKS6_NS0_5tupleIJS9_S6_EEENSD_IJSA_SA_EEENS0_18inequality_wrapperIZN2at6native12_GLOBAL__N_124unique_dim_cuda_templateIlEESt5tupleIJNSH_6TensorESM_SM_EERKSM_lbbbEUlllE0_EEPmJS6_EEE10hipError_tPvRmT3_T4_T5_T6_T7_T9_mT8_P12ihipStream_tbDpT10_ENKUlT_T0_E_clISt17integral_constantIbLb0EES1B_IbLb1EEEEDaS17_S18_EUlS17_E_NS1_11comp_targetILNS1_3genE3ELNS1_11target_archE908ELNS1_3gpuE7ELNS1_3repE0EEENS1_30default_config_static_selectorELNS0_4arch9wavefront6targetE1EEEvT1_,comdat
	.globl	_ZN7rocprim17ROCPRIM_400000_NS6detail17trampoline_kernelINS0_14default_configENS1_25partition_config_selectorILNS1_17partition_subalgoE8ElNS0_10empty_typeEbEEZZNS1_14partition_implILS5_8ELb0ES3_jPlPS6_PKS6_NS0_5tupleIJS9_S6_EEENSD_IJSA_SA_EEENS0_18inequality_wrapperIZN2at6native12_GLOBAL__N_124unique_dim_cuda_templateIlEESt5tupleIJNSH_6TensorESM_SM_EERKSM_lbbbEUlllE0_EEPmJS6_EEE10hipError_tPvRmT3_T4_T5_T6_T7_T9_mT8_P12ihipStream_tbDpT10_ENKUlT_T0_E_clISt17integral_constantIbLb0EES1B_IbLb1EEEEDaS17_S18_EUlS17_E_NS1_11comp_targetILNS1_3genE3ELNS1_11target_archE908ELNS1_3gpuE7ELNS1_3repE0EEENS1_30default_config_static_selectorELNS0_4arch9wavefront6targetE1EEEvT1_ ; -- Begin function _ZN7rocprim17ROCPRIM_400000_NS6detail17trampoline_kernelINS0_14default_configENS1_25partition_config_selectorILNS1_17partition_subalgoE8ElNS0_10empty_typeEbEEZZNS1_14partition_implILS5_8ELb0ES3_jPlPS6_PKS6_NS0_5tupleIJS9_S6_EEENSD_IJSA_SA_EEENS0_18inequality_wrapperIZN2at6native12_GLOBAL__N_124unique_dim_cuda_templateIlEESt5tupleIJNSH_6TensorESM_SM_EERKSM_lbbbEUlllE0_EEPmJS6_EEE10hipError_tPvRmT3_T4_T5_T6_T7_T9_mT8_P12ihipStream_tbDpT10_ENKUlT_T0_E_clISt17integral_constantIbLb0EES1B_IbLb1EEEEDaS17_S18_EUlS17_E_NS1_11comp_targetILNS1_3genE3ELNS1_11target_archE908ELNS1_3gpuE7ELNS1_3repE0EEENS1_30default_config_static_selectorELNS0_4arch9wavefront6targetE1EEEvT1_
	.p2align	8
	.type	_ZN7rocprim17ROCPRIM_400000_NS6detail17trampoline_kernelINS0_14default_configENS1_25partition_config_selectorILNS1_17partition_subalgoE8ElNS0_10empty_typeEbEEZZNS1_14partition_implILS5_8ELb0ES3_jPlPS6_PKS6_NS0_5tupleIJS9_S6_EEENSD_IJSA_SA_EEENS0_18inequality_wrapperIZN2at6native12_GLOBAL__N_124unique_dim_cuda_templateIlEESt5tupleIJNSH_6TensorESM_SM_EERKSM_lbbbEUlllE0_EEPmJS6_EEE10hipError_tPvRmT3_T4_T5_T6_T7_T9_mT8_P12ihipStream_tbDpT10_ENKUlT_T0_E_clISt17integral_constantIbLb0EES1B_IbLb1EEEEDaS17_S18_EUlS17_E_NS1_11comp_targetILNS1_3genE3ELNS1_11target_archE908ELNS1_3gpuE7ELNS1_3repE0EEENS1_30default_config_static_selectorELNS0_4arch9wavefront6targetE1EEEvT1_,@function
_ZN7rocprim17ROCPRIM_400000_NS6detail17trampoline_kernelINS0_14default_configENS1_25partition_config_selectorILNS1_17partition_subalgoE8ElNS0_10empty_typeEbEEZZNS1_14partition_implILS5_8ELb0ES3_jPlPS6_PKS6_NS0_5tupleIJS9_S6_EEENSD_IJSA_SA_EEENS0_18inequality_wrapperIZN2at6native12_GLOBAL__N_124unique_dim_cuda_templateIlEESt5tupleIJNSH_6TensorESM_SM_EERKSM_lbbbEUlllE0_EEPmJS6_EEE10hipError_tPvRmT3_T4_T5_T6_T7_T9_mT8_P12ihipStream_tbDpT10_ENKUlT_T0_E_clISt17integral_constantIbLb0EES1B_IbLb1EEEEDaS17_S18_EUlS17_E_NS1_11comp_targetILNS1_3genE3ELNS1_11target_archE908ELNS1_3gpuE7ELNS1_3repE0EEENS1_30default_config_static_selectorELNS0_4arch9wavefront6targetE1EEEvT1_: ; @_ZN7rocprim17ROCPRIM_400000_NS6detail17trampoline_kernelINS0_14default_configENS1_25partition_config_selectorILNS1_17partition_subalgoE8ElNS0_10empty_typeEbEEZZNS1_14partition_implILS5_8ELb0ES3_jPlPS6_PKS6_NS0_5tupleIJS9_S6_EEENSD_IJSA_SA_EEENS0_18inequality_wrapperIZN2at6native12_GLOBAL__N_124unique_dim_cuda_templateIlEESt5tupleIJNSH_6TensorESM_SM_EERKSM_lbbbEUlllE0_EEPmJS6_EEE10hipError_tPvRmT3_T4_T5_T6_T7_T9_mT8_P12ihipStream_tbDpT10_ENKUlT_T0_E_clISt17integral_constantIbLb0EES1B_IbLb1EEEEDaS17_S18_EUlS17_E_NS1_11comp_targetILNS1_3genE3ELNS1_11target_archE908ELNS1_3gpuE7ELNS1_3repE0EEENS1_30default_config_static_selectorELNS0_4arch9wavefront6targetE1EEEvT1_
; %bb.0:
	.section	.rodata,"a",@progbits
	.p2align	6, 0x0
	.amdhsa_kernel _ZN7rocprim17ROCPRIM_400000_NS6detail17trampoline_kernelINS0_14default_configENS1_25partition_config_selectorILNS1_17partition_subalgoE8ElNS0_10empty_typeEbEEZZNS1_14partition_implILS5_8ELb0ES3_jPlPS6_PKS6_NS0_5tupleIJS9_S6_EEENSD_IJSA_SA_EEENS0_18inequality_wrapperIZN2at6native12_GLOBAL__N_124unique_dim_cuda_templateIlEESt5tupleIJNSH_6TensorESM_SM_EERKSM_lbbbEUlllE0_EEPmJS6_EEE10hipError_tPvRmT3_T4_T5_T6_T7_T9_mT8_P12ihipStream_tbDpT10_ENKUlT_T0_E_clISt17integral_constantIbLb0EES1B_IbLb1EEEEDaS17_S18_EUlS17_E_NS1_11comp_targetILNS1_3genE3ELNS1_11target_archE908ELNS1_3gpuE7ELNS1_3repE0EEENS1_30default_config_static_selectorELNS0_4arch9wavefront6targetE1EEEvT1_
		.amdhsa_group_segment_fixed_size 0
		.amdhsa_private_segment_fixed_size 0
		.amdhsa_kernarg_size 136
		.amdhsa_user_sgpr_count 6
		.amdhsa_user_sgpr_private_segment_buffer 1
		.amdhsa_user_sgpr_dispatch_ptr 0
		.amdhsa_user_sgpr_queue_ptr 0
		.amdhsa_user_sgpr_kernarg_segment_ptr 1
		.amdhsa_user_sgpr_dispatch_id 0
		.amdhsa_user_sgpr_flat_scratch_init 0
		.amdhsa_user_sgpr_kernarg_preload_length 0
		.amdhsa_user_sgpr_kernarg_preload_offset 0
		.amdhsa_user_sgpr_private_segment_size 0
		.amdhsa_uses_dynamic_stack 0
		.amdhsa_system_sgpr_private_segment_wavefront_offset 0
		.amdhsa_system_sgpr_workgroup_id_x 1
		.amdhsa_system_sgpr_workgroup_id_y 0
		.amdhsa_system_sgpr_workgroup_id_z 0
		.amdhsa_system_sgpr_workgroup_info 0
		.amdhsa_system_vgpr_workitem_id 0
		.amdhsa_next_free_vgpr 1
		.amdhsa_next_free_sgpr 0
		.amdhsa_accum_offset 4
		.amdhsa_reserve_vcc 0
		.amdhsa_reserve_flat_scratch 0
		.amdhsa_float_round_mode_32 0
		.amdhsa_float_round_mode_16_64 0
		.amdhsa_float_denorm_mode_32 3
		.amdhsa_float_denorm_mode_16_64 3
		.amdhsa_dx10_clamp 1
		.amdhsa_ieee_mode 1
		.amdhsa_fp16_overflow 0
		.amdhsa_tg_split 0
		.amdhsa_exception_fp_ieee_invalid_op 0
		.amdhsa_exception_fp_denorm_src 0
		.amdhsa_exception_fp_ieee_div_zero 0
		.amdhsa_exception_fp_ieee_overflow 0
		.amdhsa_exception_fp_ieee_underflow 0
		.amdhsa_exception_fp_ieee_inexact 0
		.amdhsa_exception_int_div_zero 0
	.end_amdhsa_kernel
	.section	.text._ZN7rocprim17ROCPRIM_400000_NS6detail17trampoline_kernelINS0_14default_configENS1_25partition_config_selectorILNS1_17partition_subalgoE8ElNS0_10empty_typeEbEEZZNS1_14partition_implILS5_8ELb0ES3_jPlPS6_PKS6_NS0_5tupleIJS9_S6_EEENSD_IJSA_SA_EEENS0_18inequality_wrapperIZN2at6native12_GLOBAL__N_124unique_dim_cuda_templateIlEESt5tupleIJNSH_6TensorESM_SM_EERKSM_lbbbEUlllE0_EEPmJS6_EEE10hipError_tPvRmT3_T4_T5_T6_T7_T9_mT8_P12ihipStream_tbDpT10_ENKUlT_T0_E_clISt17integral_constantIbLb0EES1B_IbLb1EEEEDaS17_S18_EUlS17_E_NS1_11comp_targetILNS1_3genE3ELNS1_11target_archE908ELNS1_3gpuE7ELNS1_3repE0EEENS1_30default_config_static_selectorELNS0_4arch9wavefront6targetE1EEEvT1_,"axG",@progbits,_ZN7rocprim17ROCPRIM_400000_NS6detail17trampoline_kernelINS0_14default_configENS1_25partition_config_selectorILNS1_17partition_subalgoE8ElNS0_10empty_typeEbEEZZNS1_14partition_implILS5_8ELb0ES3_jPlPS6_PKS6_NS0_5tupleIJS9_S6_EEENSD_IJSA_SA_EEENS0_18inequality_wrapperIZN2at6native12_GLOBAL__N_124unique_dim_cuda_templateIlEESt5tupleIJNSH_6TensorESM_SM_EERKSM_lbbbEUlllE0_EEPmJS6_EEE10hipError_tPvRmT3_T4_T5_T6_T7_T9_mT8_P12ihipStream_tbDpT10_ENKUlT_T0_E_clISt17integral_constantIbLb0EES1B_IbLb1EEEEDaS17_S18_EUlS17_E_NS1_11comp_targetILNS1_3genE3ELNS1_11target_archE908ELNS1_3gpuE7ELNS1_3repE0EEENS1_30default_config_static_selectorELNS0_4arch9wavefront6targetE1EEEvT1_,comdat
.Lfunc_end590:
	.size	_ZN7rocprim17ROCPRIM_400000_NS6detail17trampoline_kernelINS0_14default_configENS1_25partition_config_selectorILNS1_17partition_subalgoE8ElNS0_10empty_typeEbEEZZNS1_14partition_implILS5_8ELb0ES3_jPlPS6_PKS6_NS0_5tupleIJS9_S6_EEENSD_IJSA_SA_EEENS0_18inequality_wrapperIZN2at6native12_GLOBAL__N_124unique_dim_cuda_templateIlEESt5tupleIJNSH_6TensorESM_SM_EERKSM_lbbbEUlllE0_EEPmJS6_EEE10hipError_tPvRmT3_T4_T5_T6_T7_T9_mT8_P12ihipStream_tbDpT10_ENKUlT_T0_E_clISt17integral_constantIbLb0EES1B_IbLb1EEEEDaS17_S18_EUlS17_E_NS1_11comp_targetILNS1_3genE3ELNS1_11target_archE908ELNS1_3gpuE7ELNS1_3repE0EEENS1_30default_config_static_selectorELNS0_4arch9wavefront6targetE1EEEvT1_, .Lfunc_end590-_ZN7rocprim17ROCPRIM_400000_NS6detail17trampoline_kernelINS0_14default_configENS1_25partition_config_selectorILNS1_17partition_subalgoE8ElNS0_10empty_typeEbEEZZNS1_14partition_implILS5_8ELb0ES3_jPlPS6_PKS6_NS0_5tupleIJS9_S6_EEENSD_IJSA_SA_EEENS0_18inequality_wrapperIZN2at6native12_GLOBAL__N_124unique_dim_cuda_templateIlEESt5tupleIJNSH_6TensorESM_SM_EERKSM_lbbbEUlllE0_EEPmJS6_EEE10hipError_tPvRmT3_T4_T5_T6_T7_T9_mT8_P12ihipStream_tbDpT10_ENKUlT_T0_E_clISt17integral_constantIbLb0EES1B_IbLb1EEEEDaS17_S18_EUlS17_E_NS1_11comp_targetILNS1_3genE3ELNS1_11target_archE908ELNS1_3gpuE7ELNS1_3repE0EEENS1_30default_config_static_selectorELNS0_4arch9wavefront6targetE1EEEvT1_
                                        ; -- End function
	.section	.AMDGPU.csdata,"",@progbits
; Kernel info:
; codeLenInByte = 0
; NumSgprs: 4
; NumVgprs: 0
; NumAgprs: 0
; TotalNumVgprs: 0
; ScratchSize: 0
; MemoryBound: 0
; FloatMode: 240
; IeeeMode: 1
; LDSByteSize: 0 bytes/workgroup (compile time only)
; SGPRBlocks: 0
; VGPRBlocks: 0
; NumSGPRsForWavesPerEU: 4
; NumVGPRsForWavesPerEU: 1
; AccumOffset: 4
; Occupancy: 8
; WaveLimiterHint : 0
; COMPUTE_PGM_RSRC2:SCRATCH_EN: 0
; COMPUTE_PGM_RSRC2:USER_SGPR: 6
; COMPUTE_PGM_RSRC2:TRAP_HANDLER: 0
; COMPUTE_PGM_RSRC2:TGID_X_EN: 1
; COMPUTE_PGM_RSRC2:TGID_Y_EN: 0
; COMPUTE_PGM_RSRC2:TGID_Z_EN: 0
; COMPUTE_PGM_RSRC2:TIDIG_COMP_CNT: 0
; COMPUTE_PGM_RSRC3_GFX90A:ACCUM_OFFSET: 0
; COMPUTE_PGM_RSRC3_GFX90A:TG_SPLIT: 0
	.section	.text._ZN7rocprim17ROCPRIM_400000_NS6detail17trampoline_kernelINS0_14default_configENS1_25partition_config_selectorILNS1_17partition_subalgoE8ElNS0_10empty_typeEbEEZZNS1_14partition_implILS5_8ELb0ES3_jPlPS6_PKS6_NS0_5tupleIJS9_S6_EEENSD_IJSA_SA_EEENS0_18inequality_wrapperIZN2at6native12_GLOBAL__N_124unique_dim_cuda_templateIlEESt5tupleIJNSH_6TensorESM_SM_EERKSM_lbbbEUlllE0_EEPmJS6_EEE10hipError_tPvRmT3_T4_T5_T6_T7_T9_mT8_P12ihipStream_tbDpT10_ENKUlT_T0_E_clISt17integral_constantIbLb0EES1B_IbLb1EEEEDaS17_S18_EUlS17_E_NS1_11comp_targetILNS1_3genE2ELNS1_11target_archE906ELNS1_3gpuE6ELNS1_3repE0EEENS1_30default_config_static_selectorELNS0_4arch9wavefront6targetE1EEEvT1_,"axG",@progbits,_ZN7rocprim17ROCPRIM_400000_NS6detail17trampoline_kernelINS0_14default_configENS1_25partition_config_selectorILNS1_17partition_subalgoE8ElNS0_10empty_typeEbEEZZNS1_14partition_implILS5_8ELb0ES3_jPlPS6_PKS6_NS0_5tupleIJS9_S6_EEENSD_IJSA_SA_EEENS0_18inequality_wrapperIZN2at6native12_GLOBAL__N_124unique_dim_cuda_templateIlEESt5tupleIJNSH_6TensorESM_SM_EERKSM_lbbbEUlllE0_EEPmJS6_EEE10hipError_tPvRmT3_T4_T5_T6_T7_T9_mT8_P12ihipStream_tbDpT10_ENKUlT_T0_E_clISt17integral_constantIbLb0EES1B_IbLb1EEEEDaS17_S18_EUlS17_E_NS1_11comp_targetILNS1_3genE2ELNS1_11target_archE906ELNS1_3gpuE6ELNS1_3repE0EEENS1_30default_config_static_selectorELNS0_4arch9wavefront6targetE1EEEvT1_,comdat
	.globl	_ZN7rocprim17ROCPRIM_400000_NS6detail17trampoline_kernelINS0_14default_configENS1_25partition_config_selectorILNS1_17partition_subalgoE8ElNS0_10empty_typeEbEEZZNS1_14partition_implILS5_8ELb0ES3_jPlPS6_PKS6_NS0_5tupleIJS9_S6_EEENSD_IJSA_SA_EEENS0_18inequality_wrapperIZN2at6native12_GLOBAL__N_124unique_dim_cuda_templateIlEESt5tupleIJNSH_6TensorESM_SM_EERKSM_lbbbEUlllE0_EEPmJS6_EEE10hipError_tPvRmT3_T4_T5_T6_T7_T9_mT8_P12ihipStream_tbDpT10_ENKUlT_T0_E_clISt17integral_constantIbLb0EES1B_IbLb1EEEEDaS17_S18_EUlS17_E_NS1_11comp_targetILNS1_3genE2ELNS1_11target_archE906ELNS1_3gpuE6ELNS1_3repE0EEENS1_30default_config_static_selectorELNS0_4arch9wavefront6targetE1EEEvT1_ ; -- Begin function _ZN7rocprim17ROCPRIM_400000_NS6detail17trampoline_kernelINS0_14default_configENS1_25partition_config_selectorILNS1_17partition_subalgoE8ElNS0_10empty_typeEbEEZZNS1_14partition_implILS5_8ELb0ES3_jPlPS6_PKS6_NS0_5tupleIJS9_S6_EEENSD_IJSA_SA_EEENS0_18inequality_wrapperIZN2at6native12_GLOBAL__N_124unique_dim_cuda_templateIlEESt5tupleIJNSH_6TensorESM_SM_EERKSM_lbbbEUlllE0_EEPmJS6_EEE10hipError_tPvRmT3_T4_T5_T6_T7_T9_mT8_P12ihipStream_tbDpT10_ENKUlT_T0_E_clISt17integral_constantIbLb0EES1B_IbLb1EEEEDaS17_S18_EUlS17_E_NS1_11comp_targetILNS1_3genE2ELNS1_11target_archE906ELNS1_3gpuE6ELNS1_3repE0EEENS1_30default_config_static_selectorELNS0_4arch9wavefront6targetE1EEEvT1_
	.p2align	8
	.type	_ZN7rocprim17ROCPRIM_400000_NS6detail17trampoline_kernelINS0_14default_configENS1_25partition_config_selectorILNS1_17partition_subalgoE8ElNS0_10empty_typeEbEEZZNS1_14partition_implILS5_8ELb0ES3_jPlPS6_PKS6_NS0_5tupleIJS9_S6_EEENSD_IJSA_SA_EEENS0_18inequality_wrapperIZN2at6native12_GLOBAL__N_124unique_dim_cuda_templateIlEESt5tupleIJNSH_6TensorESM_SM_EERKSM_lbbbEUlllE0_EEPmJS6_EEE10hipError_tPvRmT3_T4_T5_T6_T7_T9_mT8_P12ihipStream_tbDpT10_ENKUlT_T0_E_clISt17integral_constantIbLb0EES1B_IbLb1EEEEDaS17_S18_EUlS17_E_NS1_11comp_targetILNS1_3genE2ELNS1_11target_archE906ELNS1_3gpuE6ELNS1_3repE0EEENS1_30default_config_static_selectorELNS0_4arch9wavefront6targetE1EEEvT1_,@function
_ZN7rocprim17ROCPRIM_400000_NS6detail17trampoline_kernelINS0_14default_configENS1_25partition_config_selectorILNS1_17partition_subalgoE8ElNS0_10empty_typeEbEEZZNS1_14partition_implILS5_8ELb0ES3_jPlPS6_PKS6_NS0_5tupleIJS9_S6_EEENSD_IJSA_SA_EEENS0_18inequality_wrapperIZN2at6native12_GLOBAL__N_124unique_dim_cuda_templateIlEESt5tupleIJNSH_6TensorESM_SM_EERKSM_lbbbEUlllE0_EEPmJS6_EEE10hipError_tPvRmT3_T4_T5_T6_T7_T9_mT8_P12ihipStream_tbDpT10_ENKUlT_T0_E_clISt17integral_constantIbLb0EES1B_IbLb1EEEEDaS17_S18_EUlS17_E_NS1_11comp_targetILNS1_3genE2ELNS1_11target_archE906ELNS1_3gpuE6ELNS1_3repE0EEENS1_30default_config_static_selectorELNS0_4arch9wavefront6targetE1EEEvT1_: ; @_ZN7rocprim17ROCPRIM_400000_NS6detail17trampoline_kernelINS0_14default_configENS1_25partition_config_selectorILNS1_17partition_subalgoE8ElNS0_10empty_typeEbEEZZNS1_14partition_implILS5_8ELb0ES3_jPlPS6_PKS6_NS0_5tupleIJS9_S6_EEENSD_IJSA_SA_EEENS0_18inequality_wrapperIZN2at6native12_GLOBAL__N_124unique_dim_cuda_templateIlEESt5tupleIJNSH_6TensorESM_SM_EERKSM_lbbbEUlllE0_EEPmJS6_EEE10hipError_tPvRmT3_T4_T5_T6_T7_T9_mT8_P12ihipStream_tbDpT10_ENKUlT_T0_E_clISt17integral_constantIbLb0EES1B_IbLb1EEEEDaS17_S18_EUlS17_E_NS1_11comp_targetILNS1_3genE2ELNS1_11target_archE906ELNS1_3gpuE6ELNS1_3repE0EEENS1_30default_config_static_selectorELNS0_4arch9wavefront6targetE1EEEvT1_
; %bb.0:
	.section	.rodata,"a",@progbits
	.p2align	6, 0x0
	.amdhsa_kernel _ZN7rocprim17ROCPRIM_400000_NS6detail17trampoline_kernelINS0_14default_configENS1_25partition_config_selectorILNS1_17partition_subalgoE8ElNS0_10empty_typeEbEEZZNS1_14partition_implILS5_8ELb0ES3_jPlPS6_PKS6_NS0_5tupleIJS9_S6_EEENSD_IJSA_SA_EEENS0_18inequality_wrapperIZN2at6native12_GLOBAL__N_124unique_dim_cuda_templateIlEESt5tupleIJNSH_6TensorESM_SM_EERKSM_lbbbEUlllE0_EEPmJS6_EEE10hipError_tPvRmT3_T4_T5_T6_T7_T9_mT8_P12ihipStream_tbDpT10_ENKUlT_T0_E_clISt17integral_constantIbLb0EES1B_IbLb1EEEEDaS17_S18_EUlS17_E_NS1_11comp_targetILNS1_3genE2ELNS1_11target_archE906ELNS1_3gpuE6ELNS1_3repE0EEENS1_30default_config_static_selectorELNS0_4arch9wavefront6targetE1EEEvT1_
		.amdhsa_group_segment_fixed_size 0
		.amdhsa_private_segment_fixed_size 0
		.amdhsa_kernarg_size 136
		.amdhsa_user_sgpr_count 6
		.amdhsa_user_sgpr_private_segment_buffer 1
		.amdhsa_user_sgpr_dispatch_ptr 0
		.amdhsa_user_sgpr_queue_ptr 0
		.amdhsa_user_sgpr_kernarg_segment_ptr 1
		.amdhsa_user_sgpr_dispatch_id 0
		.amdhsa_user_sgpr_flat_scratch_init 0
		.amdhsa_user_sgpr_kernarg_preload_length 0
		.amdhsa_user_sgpr_kernarg_preload_offset 0
		.amdhsa_user_sgpr_private_segment_size 0
		.amdhsa_uses_dynamic_stack 0
		.amdhsa_system_sgpr_private_segment_wavefront_offset 0
		.amdhsa_system_sgpr_workgroup_id_x 1
		.amdhsa_system_sgpr_workgroup_id_y 0
		.amdhsa_system_sgpr_workgroup_id_z 0
		.amdhsa_system_sgpr_workgroup_info 0
		.amdhsa_system_vgpr_workitem_id 0
		.amdhsa_next_free_vgpr 1
		.amdhsa_next_free_sgpr 0
		.amdhsa_accum_offset 4
		.amdhsa_reserve_vcc 0
		.amdhsa_reserve_flat_scratch 0
		.amdhsa_float_round_mode_32 0
		.amdhsa_float_round_mode_16_64 0
		.amdhsa_float_denorm_mode_32 3
		.amdhsa_float_denorm_mode_16_64 3
		.amdhsa_dx10_clamp 1
		.amdhsa_ieee_mode 1
		.amdhsa_fp16_overflow 0
		.amdhsa_tg_split 0
		.amdhsa_exception_fp_ieee_invalid_op 0
		.amdhsa_exception_fp_denorm_src 0
		.amdhsa_exception_fp_ieee_div_zero 0
		.amdhsa_exception_fp_ieee_overflow 0
		.amdhsa_exception_fp_ieee_underflow 0
		.amdhsa_exception_fp_ieee_inexact 0
		.amdhsa_exception_int_div_zero 0
	.end_amdhsa_kernel
	.section	.text._ZN7rocprim17ROCPRIM_400000_NS6detail17trampoline_kernelINS0_14default_configENS1_25partition_config_selectorILNS1_17partition_subalgoE8ElNS0_10empty_typeEbEEZZNS1_14partition_implILS5_8ELb0ES3_jPlPS6_PKS6_NS0_5tupleIJS9_S6_EEENSD_IJSA_SA_EEENS0_18inequality_wrapperIZN2at6native12_GLOBAL__N_124unique_dim_cuda_templateIlEESt5tupleIJNSH_6TensorESM_SM_EERKSM_lbbbEUlllE0_EEPmJS6_EEE10hipError_tPvRmT3_T4_T5_T6_T7_T9_mT8_P12ihipStream_tbDpT10_ENKUlT_T0_E_clISt17integral_constantIbLb0EES1B_IbLb1EEEEDaS17_S18_EUlS17_E_NS1_11comp_targetILNS1_3genE2ELNS1_11target_archE906ELNS1_3gpuE6ELNS1_3repE0EEENS1_30default_config_static_selectorELNS0_4arch9wavefront6targetE1EEEvT1_,"axG",@progbits,_ZN7rocprim17ROCPRIM_400000_NS6detail17trampoline_kernelINS0_14default_configENS1_25partition_config_selectorILNS1_17partition_subalgoE8ElNS0_10empty_typeEbEEZZNS1_14partition_implILS5_8ELb0ES3_jPlPS6_PKS6_NS0_5tupleIJS9_S6_EEENSD_IJSA_SA_EEENS0_18inequality_wrapperIZN2at6native12_GLOBAL__N_124unique_dim_cuda_templateIlEESt5tupleIJNSH_6TensorESM_SM_EERKSM_lbbbEUlllE0_EEPmJS6_EEE10hipError_tPvRmT3_T4_T5_T6_T7_T9_mT8_P12ihipStream_tbDpT10_ENKUlT_T0_E_clISt17integral_constantIbLb0EES1B_IbLb1EEEEDaS17_S18_EUlS17_E_NS1_11comp_targetILNS1_3genE2ELNS1_11target_archE906ELNS1_3gpuE6ELNS1_3repE0EEENS1_30default_config_static_selectorELNS0_4arch9wavefront6targetE1EEEvT1_,comdat
.Lfunc_end591:
	.size	_ZN7rocprim17ROCPRIM_400000_NS6detail17trampoline_kernelINS0_14default_configENS1_25partition_config_selectorILNS1_17partition_subalgoE8ElNS0_10empty_typeEbEEZZNS1_14partition_implILS5_8ELb0ES3_jPlPS6_PKS6_NS0_5tupleIJS9_S6_EEENSD_IJSA_SA_EEENS0_18inequality_wrapperIZN2at6native12_GLOBAL__N_124unique_dim_cuda_templateIlEESt5tupleIJNSH_6TensorESM_SM_EERKSM_lbbbEUlllE0_EEPmJS6_EEE10hipError_tPvRmT3_T4_T5_T6_T7_T9_mT8_P12ihipStream_tbDpT10_ENKUlT_T0_E_clISt17integral_constantIbLb0EES1B_IbLb1EEEEDaS17_S18_EUlS17_E_NS1_11comp_targetILNS1_3genE2ELNS1_11target_archE906ELNS1_3gpuE6ELNS1_3repE0EEENS1_30default_config_static_selectorELNS0_4arch9wavefront6targetE1EEEvT1_, .Lfunc_end591-_ZN7rocprim17ROCPRIM_400000_NS6detail17trampoline_kernelINS0_14default_configENS1_25partition_config_selectorILNS1_17partition_subalgoE8ElNS0_10empty_typeEbEEZZNS1_14partition_implILS5_8ELb0ES3_jPlPS6_PKS6_NS0_5tupleIJS9_S6_EEENSD_IJSA_SA_EEENS0_18inequality_wrapperIZN2at6native12_GLOBAL__N_124unique_dim_cuda_templateIlEESt5tupleIJNSH_6TensorESM_SM_EERKSM_lbbbEUlllE0_EEPmJS6_EEE10hipError_tPvRmT3_T4_T5_T6_T7_T9_mT8_P12ihipStream_tbDpT10_ENKUlT_T0_E_clISt17integral_constantIbLb0EES1B_IbLb1EEEEDaS17_S18_EUlS17_E_NS1_11comp_targetILNS1_3genE2ELNS1_11target_archE906ELNS1_3gpuE6ELNS1_3repE0EEENS1_30default_config_static_selectorELNS0_4arch9wavefront6targetE1EEEvT1_
                                        ; -- End function
	.section	.AMDGPU.csdata,"",@progbits
; Kernel info:
; codeLenInByte = 0
; NumSgprs: 4
; NumVgprs: 0
; NumAgprs: 0
; TotalNumVgprs: 0
; ScratchSize: 0
; MemoryBound: 0
; FloatMode: 240
; IeeeMode: 1
; LDSByteSize: 0 bytes/workgroup (compile time only)
; SGPRBlocks: 0
; VGPRBlocks: 0
; NumSGPRsForWavesPerEU: 4
; NumVGPRsForWavesPerEU: 1
; AccumOffset: 4
; Occupancy: 8
; WaveLimiterHint : 0
; COMPUTE_PGM_RSRC2:SCRATCH_EN: 0
; COMPUTE_PGM_RSRC2:USER_SGPR: 6
; COMPUTE_PGM_RSRC2:TRAP_HANDLER: 0
; COMPUTE_PGM_RSRC2:TGID_X_EN: 1
; COMPUTE_PGM_RSRC2:TGID_Y_EN: 0
; COMPUTE_PGM_RSRC2:TGID_Z_EN: 0
; COMPUTE_PGM_RSRC2:TIDIG_COMP_CNT: 0
; COMPUTE_PGM_RSRC3_GFX90A:ACCUM_OFFSET: 0
; COMPUTE_PGM_RSRC3_GFX90A:TG_SPLIT: 0
	.section	.text._ZN7rocprim17ROCPRIM_400000_NS6detail17trampoline_kernelINS0_14default_configENS1_25partition_config_selectorILNS1_17partition_subalgoE8ElNS0_10empty_typeEbEEZZNS1_14partition_implILS5_8ELb0ES3_jPlPS6_PKS6_NS0_5tupleIJS9_S6_EEENSD_IJSA_SA_EEENS0_18inequality_wrapperIZN2at6native12_GLOBAL__N_124unique_dim_cuda_templateIlEESt5tupleIJNSH_6TensorESM_SM_EERKSM_lbbbEUlllE0_EEPmJS6_EEE10hipError_tPvRmT3_T4_T5_T6_T7_T9_mT8_P12ihipStream_tbDpT10_ENKUlT_T0_E_clISt17integral_constantIbLb0EES1B_IbLb1EEEEDaS17_S18_EUlS17_E_NS1_11comp_targetILNS1_3genE10ELNS1_11target_archE1200ELNS1_3gpuE4ELNS1_3repE0EEENS1_30default_config_static_selectorELNS0_4arch9wavefront6targetE1EEEvT1_,"axG",@progbits,_ZN7rocprim17ROCPRIM_400000_NS6detail17trampoline_kernelINS0_14default_configENS1_25partition_config_selectorILNS1_17partition_subalgoE8ElNS0_10empty_typeEbEEZZNS1_14partition_implILS5_8ELb0ES3_jPlPS6_PKS6_NS0_5tupleIJS9_S6_EEENSD_IJSA_SA_EEENS0_18inequality_wrapperIZN2at6native12_GLOBAL__N_124unique_dim_cuda_templateIlEESt5tupleIJNSH_6TensorESM_SM_EERKSM_lbbbEUlllE0_EEPmJS6_EEE10hipError_tPvRmT3_T4_T5_T6_T7_T9_mT8_P12ihipStream_tbDpT10_ENKUlT_T0_E_clISt17integral_constantIbLb0EES1B_IbLb1EEEEDaS17_S18_EUlS17_E_NS1_11comp_targetILNS1_3genE10ELNS1_11target_archE1200ELNS1_3gpuE4ELNS1_3repE0EEENS1_30default_config_static_selectorELNS0_4arch9wavefront6targetE1EEEvT1_,comdat
	.globl	_ZN7rocprim17ROCPRIM_400000_NS6detail17trampoline_kernelINS0_14default_configENS1_25partition_config_selectorILNS1_17partition_subalgoE8ElNS0_10empty_typeEbEEZZNS1_14partition_implILS5_8ELb0ES3_jPlPS6_PKS6_NS0_5tupleIJS9_S6_EEENSD_IJSA_SA_EEENS0_18inequality_wrapperIZN2at6native12_GLOBAL__N_124unique_dim_cuda_templateIlEESt5tupleIJNSH_6TensorESM_SM_EERKSM_lbbbEUlllE0_EEPmJS6_EEE10hipError_tPvRmT3_T4_T5_T6_T7_T9_mT8_P12ihipStream_tbDpT10_ENKUlT_T0_E_clISt17integral_constantIbLb0EES1B_IbLb1EEEEDaS17_S18_EUlS17_E_NS1_11comp_targetILNS1_3genE10ELNS1_11target_archE1200ELNS1_3gpuE4ELNS1_3repE0EEENS1_30default_config_static_selectorELNS0_4arch9wavefront6targetE1EEEvT1_ ; -- Begin function _ZN7rocprim17ROCPRIM_400000_NS6detail17trampoline_kernelINS0_14default_configENS1_25partition_config_selectorILNS1_17partition_subalgoE8ElNS0_10empty_typeEbEEZZNS1_14partition_implILS5_8ELb0ES3_jPlPS6_PKS6_NS0_5tupleIJS9_S6_EEENSD_IJSA_SA_EEENS0_18inequality_wrapperIZN2at6native12_GLOBAL__N_124unique_dim_cuda_templateIlEESt5tupleIJNSH_6TensorESM_SM_EERKSM_lbbbEUlllE0_EEPmJS6_EEE10hipError_tPvRmT3_T4_T5_T6_T7_T9_mT8_P12ihipStream_tbDpT10_ENKUlT_T0_E_clISt17integral_constantIbLb0EES1B_IbLb1EEEEDaS17_S18_EUlS17_E_NS1_11comp_targetILNS1_3genE10ELNS1_11target_archE1200ELNS1_3gpuE4ELNS1_3repE0EEENS1_30default_config_static_selectorELNS0_4arch9wavefront6targetE1EEEvT1_
	.p2align	8
	.type	_ZN7rocprim17ROCPRIM_400000_NS6detail17trampoline_kernelINS0_14default_configENS1_25partition_config_selectorILNS1_17partition_subalgoE8ElNS0_10empty_typeEbEEZZNS1_14partition_implILS5_8ELb0ES3_jPlPS6_PKS6_NS0_5tupleIJS9_S6_EEENSD_IJSA_SA_EEENS0_18inequality_wrapperIZN2at6native12_GLOBAL__N_124unique_dim_cuda_templateIlEESt5tupleIJNSH_6TensorESM_SM_EERKSM_lbbbEUlllE0_EEPmJS6_EEE10hipError_tPvRmT3_T4_T5_T6_T7_T9_mT8_P12ihipStream_tbDpT10_ENKUlT_T0_E_clISt17integral_constantIbLb0EES1B_IbLb1EEEEDaS17_S18_EUlS17_E_NS1_11comp_targetILNS1_3genE10ELNS1_11target_archE1200ELNS1_3gpuE4ELNS1_3repE0EEENS1_30default_config_static_selectorELNS0_4arch9wavefront6targetE1EEEvT1_,@function
_ZN7rocprim17ROCPRIM_400000_NS6detail17trampoline_kernelINS0_14default_configENS1_25partition_config_selectorILNS1_17partition_subalgoE8ElNS0_10empty_typeEbEEZZNS1_14partition_implILS5_8ELb0ES3_jPlPS6_PKS6_NS0_5tupleIJS9_S6_EEENSD_IJSA_SA_EEENS0_18inequality_wrapperIZN2at6native12_GLOBAL__N_124unique_dim_cuda_templateIlEESt5tupleIJNSH_6TensorESM_SM_EERKSM_lbbbEUlllE0_EEPmJS6_EEE10hipError_tPvRmT3_T4_T5_T6_T7_T9_mT8_P12ihipStream_tbDpT10_ENKUlT_T0_E_clISt17integral_constantIbLb0EES1B_IbLb1EEEEDaS17_S18_EUlS17_E_NS1_11comp_targetILNS1_3genE10ELNS1_11target_archE1200ELNS1_3gpuE4ELNS1_3repE0EEENS1_30default_config_static_selectorELNS0_4arch9wavefront6targetE1EEEvT1_: ; @_ZN7rocprim17ROCPRIM_400000_NS6detail17trampoline_kernelINS0_14default_configENS1_25partition_config_selectorILNS1_17partition_subalgoE8ElNS0_10empty_typeEbEEZZNS1_14partition_implILS5_8ELb0ES3_jPlPS6_PKS6_NS0_5tupleIJS9_S6_EEENSD_IJSA_SA_EEENS0_18inequality_wrapperIZN2at6native12_GLOBAL__N_124unique_dim_cuda_templateIlEESt5tupleIJNSH_6TensorESM_SM_EERKSM_lbbbEUlllE0_EEPmJS6_EEE10hipError_tPvRmT3_T4_T5_T6_T7_T9_mT8_P12ihipStream_tbDpT10_ENKUlT_T0_E_clISt17integral_constantIbLb0EES1B_IbLb1EEEEDaS17_S18_EUlS17_E_NS1_11comp_targetILNS1_3genE10ELNS1_11target_archE1200ELNS1_3gpuE4ELNS1_3repE0EEENS1_30default_config_static_selectorELNS0_4arch9wavefront6targetE1EEEvT1_
; %bb.0:
	.section	.rodata,"a",@progbits
	.p2align	6, 0x0
	.amdhsa_kernel _ZN7rocprim17ROCPRIM_400000_NS6detail17trampoline_kernelINS0_14default_configENS1_25partition_config_selectorILNS1_17partition_subalgoE8ElNS0_10empty_typeEbEEZZNS1_14partition_implILS5_8ELb0ES3_jPlPS6_PKS6_NS0_5tupleIJS9_S6_EEENSD_IJSA_SA_EEENS0_18inequality_wrapperIZN2at6native12_GLOBAL__N_124unique_dim_cuda_templateIlEESt5tupleIJNSH_6TensorESM_SM_EERKSM_lbbbEUlllE0_EEPmJS6_EEE10hipError_tPvRmT3_T4_T5_T6_T7_T9_mT8_P12ihipStream_tbDpT10_ENKUlT_T0_E_clISt17integral_constantIbLb0EES1B_IbLb1EEEEDaS17_S18_EUlS17_E_NS1_11comp_targetILNS1_3genE10ELNS1_11target_archE1200ELNS1_3gpuE4ELNS1_3repE0EEENS1_30default_config_static_selectorELNS0_4arch9wavefront6targetE1EEEvT1_
		.amdhsa_group_segment_fixed_size 0
		.amdhsa_private_segment_fixed_size 0
		.amdhsa_kernarg_size 136
		.amdhsa_user_sgpr_count 6
		.amdhsa_user_sgpr_private_segment_buffer 1
		.amdhsa_user_sgpr_dispatch_ptr 0
		.amdhsa_user_sgpr_queue_ptr 0
		.amdhsa_user_sgpr_kernarg_segment_ptr 1
		.amdhsa_user_sgpr_dispatch_id 0
		.amdhsa_user_sgpr_flat_scratch_init 0
		.amdhsa_user_sgpr_kernarg_preload_length 0
		.amdhsa_user_sgpr_kernarg_preload_offset 0
		.amdhsa_user_sgpr_private_segment_size 0
		.amdhsa_uses_dynamic_stack 0
		.amdhsa_system_sgpr_private_segment_wavefront_offset 0
		.amdhsa_system_sgpr_workgroup_id_x 1
		.amdhsa_system_sgpr_workgroup_id_y 0
		.amdhsa_system_sgpr_workgroup_id_z 0
		.amdhsa_system_sgpr_workgroup_info 0
		.amdhsa_system_vgpr_workitem_id 0
		.amdhsa_next_free_vgpr 1
		.amdhsa_next_free_sgpr 0
		.amdhsa_accum_offset 4
		.amdhsa_reserve_vcc 0
		.amdhsa_reserve_flat_scratch 0
		.amdhsa_float_round_mode_32 0
		.amdhsa_float_round_mode_16_64 0
		.amdhsa_float_denorm_mode_32 3
		.amdhsa_float_denorm_mode_16_64 3
		.amdhsa_dx10_clamp 1
		.amdhsa_ieee_mode 1
		.amdhsa_fp16_overflow 0
		.amdhsa_tg_split 0
		.amdhsa_exception_fp_ieee_invalid_op 0
		.amdhsa_exception_fp_denorm_src 0
		.amdhsa_exception_fp_ieee_div_zero 0
		.amdhsa_exception_fp_ieee_overflow 0
		.amdhsa_exception_fp_ieee_underflow 0
		.amdhsa_exception_fp_ieee_inexact 0
		.amdhsa_exception_int_div_zero 0
	.end_amdhsa_kernel
	.section	.text._ZN7rocprim17ROCPRIM_400000_NS6detail17trampoline_kernelINS0_14default_configENS1_25partition_config_selectorILNS1_17partition_subalgoE8ElNS0_10empty_typeEbEEZZNS1_14partition_implILS5_8ELb0ES3_jPlPS6_PKS6_NS0_5tupleIJS9_S6_EEENSD_IJSA_SA_EEENS0_18inequality_wrapperIZN2at6native12_GLOBAL__N_124unique_dim_cuda_templateIlEESt5tupleIJNSH_6TensorESM_SM_EERKSM_lbbbEUlllE0_EEPmJS6_EEE10hipError_tPvRmT3_T4_T5_T6_T7_T9_mT8_P12ihipStream_tbDpT10_ENKUlT_T0_E_clISt17integral_constantIbLb0EES1B_IbLb1EEEEDaS17_S18_EUlS17_E_NS1_11comp_targetILNS1_3genE10ELNS1_11target_archE1200ELNS1_3gpuE4ELNS1_3repE0EEENS1_30default_config_static_selectorELNS0_4arch9wavefront6targetE1EEEvT1_,"axG",@progbits,_ZN7rocprim17ROCPRIM_400000_NS6detail17trampoline_kernelINS0_14default_configENS1_25partition_config_selectorILNS1_17partition_subalgoE8ElNS0_10empty_typeEbEEZZNS1_14partition_implILS5_8ELb0ES3_jPlPS6_PKS6_NS0_5tupleIJS9_S6_EEENSD_IJSA_SA_EEENS0_18inequality_wrapperIZN2at6native12_GLOBAL__N_124unique_dim_cuda_templateIlEESt5tupleIJNSH_6TensorESM_SM_EERKSM_lbbbEUlllE0_EEPmJS6_EEE10hipError_tPvRmT3_T4_T5_T6_T7_T9_mT8_P12ihipStream_tbDpT10_ENKUlT_T0_E_clISt17integral_constantIbLb0EES1B_IbLb1EEEEDaS17_S18_EUlS17_E_NS1_11comp_targetILNS1_3genE10ELNS1_11target_archE1200ELNS1_3gpuE4ELNS1_3repE0EEENS1_30default_config_static_selectorELNS0_4arch9wavefront6targetE1EEEvT1_,comdat
.Lfunc_end592:
	.size	_ZN7rocprim17ROCPRIM_400000_NS6detail17trampoline_kernelINS0_14default_configENS1_25partition_config_selectorILNS1_17partition_subalgoE8ElNS0_10empty_typeEbEEZZNS1_14partition_implILS5_8ELb0ES3_jPlPS6_PKS6_NS0_5tupleIJS9_S6_EEENSD_IJSA_SA_EEENS0_18inequality_wrapperIZN2at6native12_GLOBAL__N_124unique_dim_cuda_templateIlEESt5tupleIJNSH_6TensorESM_SM_EERKSM_lbbbEUlllE0_EEPmJS6_EEE10hipError_tPvRmT3_T4_T5_T6_T7_T9_mT8_P12ihipStream_tbDpT10_ENKUlT_T0_E_clISt17integral_constantIbLb0EES1B_IbLb1EEEEDaS17_S18_EUlS17_E_NS1_11comp_targetILNS1_3genE10ELNS1_11target_archE1200ELNS1_3gpuE4ELNS1_3repE0EEENS1_30default_config_static_selectorELNS0_4arch9wavefront6targetE1EEEvT1_, .Lfunc_end592-_ZN7rocprim17ROCPRIM_400000_NS6detail17trampoline_kernelINS0_14default_configENS1_25partition_config_selectorILNS1_17partition_subalgoE8ElNS0_10empty_typeEbEEZZNS1_14partition_implILS5_8ELb0ES3_jPlPS6_PKS6_NS0_5tupleIJS9_S6_EEENSD_IJSA_SA_EEENS0_18inequality_wrapperIZN2at6native12_GLOBAL__N_124unique_dim_cuda_templateIlEESt5tupleIJNSH_6TensorESM_SM_EERKSM_lbbbEUlllE0_EEPmJS6_EEE10hipError_tPvRmT3_T4_T5_T6_T7_T9_mT8_P12ihipStream_tbDpT10_ENKUlT_T0_E_clISt17integral_constantIbLb0EES1B_IbLb1EEEEDaS17_S18_EUlS17_E_NS1_11comp_targetILNS1_3genE10ELNS1_11target_archE1200ELNS1_3gpuE4ELNS1_3repE0EEENS1_30default_config_static_selectorELNS0_4arch9wavefront6targetE1EEEvT1_
                                        ; -- End function
	.section	.AMDGPU.csdata,"",@progbits
; Kernel info:
; codeLenInByte = 0
; NumSgprs: 4
; NumVgprs: 0
; NumAgprs: 0
; TotalNumVgprs: 0
; ScratchSize: 0
; MemoryBound: 0
; FloatMode: 240
; IeeeMode: 1
; LDSByteSize: 0 bytes/workgroup (compile time only)
; SGPRBlocks: 0
; VGPRBlocks: 0
; NumSGPRsForWavesPerEU: 4
; NumVGPRsForWavesPerEU: 1
; AccumOffset: 4
; Occupancy: 8
; WaveLimiterHint : 0
; COMPUTE_PGM_RSRC2:SCRATCH_EN: 0
; COMPUTE_PGM_RSRC2:USER_SGPR: 6
; COMPUTE_PGM_RSRC2:TRAP_HANDLER: 0
; COMPUTE_PGM_RSRC2:TGID_X_EN: 1
; COMPUTE_PGM_RSRC2:TGID_Y_EN: 0
; COMPUTE_PGM_RSRC2:TGID_Z_EN: 0
; COMPUTE_PGM_RSRC2:TIDIG_COMP_CNT: 0
; COMPUTE_PGM_RSRC3_GFX90A:ACCUM_OFFSET: 0
; COMPUTE_PGM_RSRC3_GFX90A:TG_SPLIT: 0
	.section	.text._ZN7rocprim17ROCPRIM_400000_NS6detail17trampoline_kernelINS0_14default_configENS1_25partition_config_selectorILNS1_17partition_subalgoE8ElNS0_10empty_typeEbEEZZNS1_14partition_implILS5_8ELb0ES3_jPlPS6_PKS6_NS0_5tupleIJS9_S6_EEENSD_IJSA_SA_EEENS0_18inequality_wrapperIZN2at6native12_GLOBAL__N_124unique_dim_cuda_templateIlEESt5tupleIJNSH_6TensorESM_SM_EERKSM_lbbbEUlllE0_EEPmJS6_EEE10hipError_tPvRmT3_T4_T5_T6_T7_T9_mT8_P12ihipStream_tbDpT10_ENKUlT_T0_E_clISt17integral_constantIbLb0EES1B_IbLb1EEEEDaS17_S18_EUlS17_E_NS1_11comp_targetILNS1_3genE9ELNS1_11target_archE1100ELNS1_3gpuE3ELNS1_3repE0EEENS1_30default_config_static_selectorELNS0_4arch9wavefront6targetE1EEEvT1_,"axG",@progbits,_ZN7rocprim17ROCPRIM_400000_NS6detail17trampoline_kernelINS0_14default_configENS1_25partition_config_selectorILNS1_17partition_subalgoE8ElNS0_10empty_typeEbEEZZNS1_14partition_implILS5_8ELb0ES3_jPlPS6_PKS6_NS0_5tupleIJS9_S6_EEENSD_IJSA_SA_EEENS0_18inequality_wrapperIZN2at6native12_GLOBAL__N_124unique_dim_cuda_templateIlEESt5tupleIJNSH_6TensorESM_SM_EERKSM_lbbbEUlllE0_EEPmJS6_EEE10hipError_tPvRmT3_T4_T5_T6_T7_T9_mT8_P12ihipStream_tbDpT10_ENKUlT_T0_E_clISt17integral_constantIbLb0EES1B_IbLb1EEEEDaS17_S18_EUlS17_E_NS1_11comp_targetILNS1_3genE9ELNS1_11target_archE1100ELNS1_3gpuE3ELNS1_3repE0EEENS1_30default_config_static_selectorELNS0_4arch9wavefront6targetE1EEEvT1_,comdat
	.globl	_ZN7rocprim17ROCPRIM_400000_NS6detail17trampoline_kernelINS0_14default_configENS1_25partition_config_selectorILNS1_17partition_subalgoE8ElNS0_10empty_typeEbEEZZNS1_14partition_implILS5_8ELb0ES3_jPlPS6_PKS6_NS0_5tupleIJS9_S6_EEENSD_IJSA_SA_EEENS0_18inequality_wrapperIZN2at6native12_GLOBAL__N_124unique_dim_cuda_templateIlEESt5tupleIJNSH_6TensorESM_SM_EERKSM_lbbbEUlllE0_EEPmJS6_EEE10hipError_tPvRmT3_T4_T5_T6_T7_T9_mT8_P12ihipStream_tbDpT10_ENKUlT_T0_E_clISt17integral_constantIbLb0EES1B_IbLb1EEEEDaS17_S18_EUlS17_E_NS1_11comp_targetILNS1_3genE9ELNS1_11target_archE1100ELNS1_3gpuE3ELNS1_3repE0EEENS1_30default_config_static_selectorELNS0_4arch9wavefront6targetE1EEEvT1_ ; -- Begin function _ZN7rocprim17ROCPRIM_400000_NS6detail17trampoline_kernelINS0_14default_configENS1_25partition_config_selectorILNS1_17partition_subalgoE8ElNS0_10empty_typeEbEEZZNS1_14partition_implILS5_8ELb0ES3_jPlPS6_PKS6_NS0_5tupleIJS9_S6_EEENSD_IJSA_SA_EEENS0_18inequality_wrapperIZN2at6native12_GLOBAL__N_124unique_dim_cuda_templateIlEESt5tupleIJNSH_6TensorESM_SM_EERKSM_lbbbEUlllE0_EEPmJS6_EEE10hipError_tPvRmT3_T4_T5_T6_T7_T9_mT8_P12ihipStream_tbDpT10_ENKUlT_T0_E_clISt17integral_constantIbLb0EES1B_IbLb1EEEEDaS17_S18_EUlS17_E_NS1_11comp_targetILNS1_3genE9ELNS1_11target_archE1100ELNS1_3gpuE3ELNS1_3repE0EEENS1_30default_config_static_selectorELNS0_4arch9wavefront6targetE1EEEvT1_
	.p2align	8
	.type	_ZN7rocprim17ROCPRIM_400000_NS6detail17trampoline_kernelINS0_14default_configENS1_25partition_config_selectorILNS1_17partition_subalgoE8ElNS0_10empty_typeEbEEZZNS1_14partition_implILS5_8ELb0ES3_jPlPS6_PKS6_NS0_5tupleIJS9_S6_EEENSD_IJSA_SA_EEENS0_18inequality_wrapperIZN2at6native12_GLOBAL__N_124unique_dim_cuda_templateIlEESt5tupleIJNSH_6TensorESM_SM_EERKSM_lbbbEUlllE0_EEPmJS6_EEE10hipError_tPvRmT3_T4_T5_T6_T7_T9_mT8_P12ihipStream_tbDpT10_ENKUlT_T0_E_clISt17integral_constantIbLb0EES1B_IbLb1EEEEDaS17_S18_EUlS17_E_NS1_11comp_targetILNS1_3genE9ELNS1_11target_archE1100ELNS1_3gpuE3ELNS1_3repE0EEENS1_30default_config_static_selectorELNS0_4arch9wavefront6targetE1EEEvT1_,@function
_ZN7rocprim17ROCPRIM_400000_NS6detail17trampoline_kernelINS0_14default_configENS1_25partition_config_selectorILNS1_17partition_subalgoE8ElNS0_10empty_typeEbEEZZNS1_14partition_implILS5_8ELb0ES3_jPlPS6_PKS6_NS0_5tupleIJS9_S6_EEENSD_IJSA_SA_EEENS0_18inequality_wrapperIZN2at6native12_GLOBAL__N_124unique_dim_cuda_templateIlEESt5tupleIJNSH_6TensorESM_SM_EERKSM_lbbbEUlllE0_EEPmJS6_EEE10hipError_tPvRmT3_T4_T5_T6_T7_T9_mT8_P12ihipStream_tbDpT10_ENKUlT_T0_E_clISt17integral_constantIbLb0EES1B_IbLb1EEEEDaS17_S18_EUlS17_E_NS1_11comp_targetILNS1_3genE9ELNS1_11target_archE1100ELNS1_3gpuE3ELNS1_3repE0EEENS1_30default_config_static_selectorELNS0_4arch9wavefront6targetE1EEEvT1_: ; @_ZN7rocprim17ROCPRIM_400000_NS6detail17trampoline_kernelINS0_14default_configENS1_25partition_config_selectorILNS1_17partition_subalgoE8ElNS0_10empty_typeEbEEZZNS1_14partition_implILS5_8ELb0ES3_jPlPS6_PKS6_NS0_5tupleIJS9_S6_EEENSD_IJSA_SA_EEENS0_18inequality_wrapperIZN2at6native12_GLOBAL__N_124unique_dim_cuda_templateIlEESt5tupleIJNSH_6TensorESM_SM_EERKSM_lbbbEUlllE0_EEPmJS6_EEE10hipError_tPvRmT3_T4_T5_T6_T7_T9_mT8_P12ihipStream_tbDpT10_ENKUlT_T0_E_clISt17integral_constantIbLb0EES1B_IbLb1EEEEDaS17_S18_EUlS17_E_NS1_11comp_targetILNS1_3genE9ELNS1_11target_archE1100ELNS1_3gpuE3ELNS1_3repE0EEENS1_30default_config_static_selectorELNS0_4arch9wavefront6targetE1EEEvT1_
; %bb.0:
	.section	.rodata,"a",@progbits
	.p2align	6, 0x0
	.amdhsa_kernel _ZN7rocprim17ROCPRIM_400000_NS6detail17trampoline_kernelINS0_14default_configENS1_25partition_config_selectorILNS1_17partition_subalgoE8ElNS0_10empty_typeEbEEZZNS1_14partition_implILS5_8ELb0ES3_jPlPS6_PKS6_NS0_5tupleIJS9_S6_EEENSD_IJSA_SA_EEENS0_18inequality_wrapperIZN2at6native12_GLOBAL__N_124unique_dim_cuda_templateIlEESt5tupleIJNSH_6TensorESM_SM_EERKSM_lbbbEUlllE0_EEPmJS6_EEE10hipError_tPvRmT3_T4_T5_T6_T7_T9_mT8_P12ihipStream_tbDpT10_ENKUlT_T0_E_clISt17integral_constantIbLb0EES1B_IbLb1EEEEDaS17_S18_EUlS17_E_NS1_11comp_targetILNS1_3genE9ELNS1_11target_archE1100ELNS1_3gpuE3ELNS1_3repE0EEENS1_30default_config_static_selectorELNS0_4arch9wavefront6targetE1EEEvT1_
		.amdhsa_group_segment_fixed_size 0
		.amdhsa_private_segment_fixed_size 0
		.amdhsa_kernarg_size 136
		.amdhsa_user_sgpr_count 6
		.amdhsa_user_sgpr_private_segment_buffer 1
		.amdhsa_user_sgpr_dispatch_ptr 0
		.amdhsa_user_sgpr_queue_ptr 0
		.amdhsa_user_sgpr_kernarg_segment_ptr 1
		.amdhsa_user_sgpr_dispatch_id 0
		.amdhsa_user_sgpr_flat_scratch_init 0
		.amdhsa_user_sgpr_kernarg_preload_length 0
		.amdhsa_user_sgpr_kernarg_preload_offset 0
		.amdhsa_user_sgpr_private_segment_size 0
		.amdhsa_uses_dynamic_stack 0
		.amdhsa_system_sgpr_private_segment_wavefront_offset 0
		.amdhsa_system_sgpr_workgroup_id_x 1
		.amdhsa_system_sgpr_workgroup_id_y 0
		.amdhsa_system_sgpr_workgroup_id_z 0
		.amdhsa_system_sgpr_workgroup_info 0
		.amdhsa_system_vgpr_workitem_id 0
		.amdhsa_next_free_vgpr 1
		.amdhsa_next_free_sgpr 0
		.amdhsa_accum_offset 4
		.amdhsa_reserve_vcc 0
		.amdhsa_reserve_flat_scratch 0
		.amdhsa_float_round_mode_32 0
		.amdhsa_float_round_mode_16_64 0
		.amdhsa_float_denorm_mode_32 3
		.amdhsa_float_denorm_mode_16_64 3
		.amdhsa_dx10_clamp 1
		.amdhsa_ieee_mode 1
		.amdhsa_fp16_overflow 0
		.amdhsa_tg_split 0
		.amdhsa_exception_fp_ieee_invalid_op 0
		.amdhsa_exception_fp_denorm_src 0
		.amdhsa_exception_fp_ieee_div_zero 0
		.amdhsa_exception_fp_ieee_overflow 0
		.amdhsa_exception_fp_ieee_underflow 0
		.amdhsa_exception_fp_ieee_inexact 0
		.amdhsa_exception_int_div_zero 0
	.end_amdhsa_kernel
	.section	.text._ZN7rocprim17ROCPRIM_400000_NS6detail17trampoline_kernelINS0_14default_configENS1_25partition_config_selectorILNS1_17partition_subalgoE8ElNS0_10empty_typeEbEEZZNS1_14partition_implILS5_8ELb0ES3_jPlPS6_PKS6_NS0_5tupleIJS9_S6_EEENSD_IJSA_SA_EEENS0_18inequality_wrapperIZN2at6native12_GLOBAL__N_124unique_dim_cuda_templateIlEESt5tupleIJNSH_6TensorESM_SM_EERKSM_lbbbEUlllE0_EEPmJS6_EEE10hipError_tPvRmT3_T4_T5_T6_T7_T9_mT8_P12ihipStream_tbDpT10_ENKUlT_T0_E_clISt17integral_constantIbLb0EES1B_IbLb1EEEEDaS17_S18_EUlS17_E_NS1_11comp_targetILNS1_3genE9ELNS1_11target_archE1100ELNS1_3gpuE3ELNS1_3repE0EEENS1_30default_config_static_selectorELNS0_4arch9wavefront6targetE1EEEvT1_,"axG",@progbits,_ZN7rocprim17ROCPRIM_400000_NS6detail17trampoline_kernelINS0_14default_configENS1_25partition_config_selectorILNS1_17partition_subalgoE8ElNS0_10empty_typeEbEEZZNS1_14partition_implILS5_8ELb0ES3_jPlPS6_PKS6_NS0_5tupleIJS9_S6_EEENSD_IJSA_SA_EEENS0_18inequality_wrapperIZN2at6native12_GLOBAL__N_124unique_dim_cuda_templateIlEESt5tupleIJNSH_6TensorESM_SM_EERKSM_lbbbEUlllE0_EEPmJS6_EEE10hipError_tPvRmT3_T4_T5_T6_T7_T9_mT8_P12ihipStream_tbDpT10_ENKUlT_T0_E_clISt17integral_constantIbLb0EES1B_IbLb1EEEEDaS17_S18_EUlS17_E_NS1_11comp_targetILNS1_3genE9ELNS1_11target_archE1100ELNS1_3gpuE3ELNS1_3repE0EEENS1_30default_config_static_selectorELNS0_4arch9wavefront6targetE1EEEvT1_,comdat
.Lfunc_end593:
	.size	_ZN7rocprim17ROCPRIM_400000_NS6detail17trampoline_kernelINS0_14default_configENS1_25partition_config_selectorILNS1_17partition_subalgoE8ElNS0_10empty_typeEbEEZZNS1_14partition_implILS5_8ELb0ES3_jPlPS6_PKS6_NS0_5tupleIJS9_S6_EEENSD_IJSA_SA_EEENS0_18inequality_wrapperIZN2at6native12_GLOBAL__N_124unique_dim_cuda_templateIlEESt5tupleIJNSH_6TensorESM_SM_EERKSM_lbbbEUlllE0_EEPmJS6_EEE10hipError_tPvRmT3_T4_T5_T6_T7_T9_mT8_P12ihipStream_tbDpT10_ENKUlT_T0_E_clISt17integral_constantIbLb0EES1B_IbLb1EEEEDaS17_S18_EUlS17_E_NS1_11comp_targetILNS1_3genE9ELNS1_11target_archE1100ELNS1_3gpuE3ELNS1_3repE0EEENS1_30default_config_static_selectorELNS0_4arch9wavefront6targetE1EEEvT1_, .Lfunc_end593-_ZN7rocprim17ROCPRIM_400000_NS6detail17trampoline_kernelINS0_14default_configENS1_25partition_config_selectorILNS1_17partition_subalgoE8ElNS0_10empty_typeEbEEZZNS1_14partition_implILS5_8ELb0ES3_jPlPS6_PKS6_NS0_5tupleIJS9_S6_EEENSD_IJSA_SA_EEENS0_18inequality_wrapperIZN2at6native12_GLOBAL__N_124unique_dim_cuda_templateIlEESt5tupleIJNSH_6TensorESM_SM_EERKSM_lbbbEUlllE0_EEPmJS6_EEE10hipError_tPvRmT3_T4_T5_T6_T7_T9_mT8_P12ihipStream_tbDpT10_ENKUlT_T0_E_clISt17integral_constantIbLb0EES1B_IbLb1EEEEDaS17_S18_EUlS17_E_NS1_11comp_targetILNS1_3genE9ELNS1_11target_archE1100ELNS1_3gpuE3ELNS1_3repE0EEENS1_30default_config_static_selectorELNS0_4arch9wavefront6targetE1EEEvT1_
                                        ; -- End function
	.section	.AMDGPU.csdata,"",@progbits
; Kernel info:
; codeLenInByte = 0
; NumSgprs: 4
; NumVgprs: 0
; NumAgprs: 0
; TotalNumVgprs: 0
; ScratchSize: 0
; MemoryBound: 0
; FloatMode: 240
; IeeeMode: 1
; LDSByteSize: 0 bytes/workgroup (compile time only)
; SGPRBlocks: 0
; VGPRBlocks: 0
; NumSGPRsForWavesPerEU: 4
; NumVGPRsForWavesPerEU: 1
; AccumOffset: 4
; Occupancy: 8
; WaveLimiterHint : 0
; COMPUTE_PGM_RSRC2:SCRATCH_EN: 0
; COMPUTE_PGM_RSRC2:USER_SGPR: 6
; COMPUTE_PGM_RSRC2:TRAP_HANDLER: 0
; COMPUTE_PGM_RSRC2:TGID_X_EN: 1
; COMPUTE_PGM_RSRC2:TGID_Y_EN: 0
; COMPUTE_PGM_RSRC2:TGID_Z_EN: 0
; COMPUTE_PGM_RSRC2:TIDIG_COMP_CNT: 0
; COMPUTE_PGM_RSRC3_GFX90A:ACCUM_OFFSET: 0
; COMPUTE_PGM_RSRC3_GFX90A:TG_SPLIT: 0
	.section	.text._ZN7rocprim17ROCPRIM_400000_NS6detail17trampoline_kernelINS0_14default_configENS1_25partition_config_selectorILNS1_17partition_subalgoE8ElNS0_10empty_typeEbEEZZNS1_14partition_implILS5_8ELb0ES3_jPlPS6_PKS6_NS0_5tupleIJS9_S6_EEENSD_IJSA_SA_EEENS0_18inequality_wrapperIZN2at6native12_GLOBAL__N_124unique_dim_cuda_templateIlEESt5tupleIJNSH_6TensorESM_SM_EERKSM_lbbbEUlllE0_EEPmJS6_EEE10hipError_tPvRmT3_T4_T5_T6_T7_T9_mT8_P12ihipStream_tbDpT10_ENKUlT_T0_E_clISt17integral_constantIbLb0EES1B_IbLb1EEEEDaS17_S18_EUlS17_E_NS1_11comp_targetILNS1_3genE8ELNS1_11target_archE1030ELNS1_3gpuE2ELNS1_3repE0EEENS1_30default_config_static_selectorELNS0_4arch9wavefront6targetE1EEEvT1_,"axG",@progbits,_ZN7rocprim17ROCPRIM_400000_NS6detail17trampoline_kernelINS0_14default_configENS1_25partition_config_selectorILNS1_17partition_subalgoE8ElNS0_10empty_typeEbEEZZNS1_14partition_implILS5_8ELb0ES3_jPlPS6_PKS6_NS0_5tupleIJS9_S6_EEENSD_IJSA_SA_EEENS0_18inequality_wrapperIZN2at6native12_GLOBAL__N_124unique_dim_cuda_templateIlEESt5tupleIJNSH_6TensorESM_SM_EERKSM_lbbbEUlllE0_EEPmJS6_EEE10hipError_tPvRmT3_T4_T5_T6_T7_T9_mT8_P12ihipStream_tbDpT10_ENKUlT_T0_E_clISt17integral_constantIbLb0EES1B_IbLb1EEEEDaS17_S18_EUlS17_E_NS1_11comp_targetILNS1_3genE8ELNS1_11target_archE1030ELNS1_3gpuE2ELNS1_3repE0EEENS1_30default_config_static_selectorELNS0_4arch9wavefront6targetE1EEEvT1_,comdat
	.globl	_ZN7rocprim17ROCPRIM_400000_NS6detail17trampoline_kernelINS0_14default_configENS1_25partition_config_selectorILNS1_17partition_subalgoE8ElNS0_10empty_typeEbEEZZNS1_14partition_implILS5_8ELb0ES3_jPlPS6_PKS6_NS0_5tupleIJS9_S6_EEENSD_IJSA_SA_EEENS0_18inequality_wrapperIZN2at6native12_GLOBAL__N_124unique_dim_cuda_templateIlEESt5tupleIJNSH_6TensorESM_SM_EERKSM_lbbbEUlllE0_EEPmJS6_EEE10hipError_tPvRmT3_T4_T5_T6_T7_T9_mT8_P12ihipStream_tbDpT10_ENKUlT_T0_E_clISt17integral_constantIbLb0EES1B_IbLb1EEEEDaS17_S18_EUlS17_E_NS1_11comp_targetILNS1_3genE8ELNS1_11target_archE1030ELNS1_3gpuE2ELNS1_3repE0EEENS1_30default_config_static_selectorELNS0_4arch9wavefront6targetE1EEEvT1_ ; -- Begin function _ZN7rocprim17ROCPRIM_400000_NS6detail17trampoline_kernelINS0_14default_configENS1_25partition_config_selectorILNS1_17partition_subalgoE8ElNS0_10empty_typeEbEEZZNS1_14partition_implILS5_8ELb0ES3_jPlPS6_PKS6_NS0_5tupleIJS9_S6_EEENSD_IJSA_SA_EEENS0_18inequality_wrapperIZN2at6native12_GLOBAL__N_124unique_dim_cuda_templateIlEESt5tupleIJNSH_6TensorESM_SM_EERKSM_lbbbEUlllE0_EEPmJS6_EEE10hipError_tPvRmT3_T4_T5_T6_T7_T9_mT8_P12ihipStream_tbDpT10_ENKUlT_T0_E_clISt17integral_constantIbLb0EES1B_IbLb1EEEEDaS17_S18_EUlS17_E_NS1_11comp_targetILNS1_3genE8ELNS1_11target_archE1030ELNS1_3gpuE2ELNS1_3repE0EEENS1_30default_config_static_selectorELNS0_4arch9wavefront6targetE1EEEvT1_
	.p2align	8
	.type	_ZN7rocprim17ROCPRIM_400000_NS6detail17trampoline_kernelINS0_14default_configENS1_25partition_config_selectorILNS1_17partition_subalgoE8ElNS0_10empty_typeEbEEZZNS1_14partition_implILS5_8ELb0ES3_jPlPS6_PKS6_NS0_5tupleIJS9_S6_EEENSD_IJSA_SA_EEENS0_18inequality_wrapperIZN2at6native12_GLOBAL__N_124unique_dim_cuda_templateIlEESt5tupleIJNSH_6TensorESM_SM_EERKSM_lbbbEUlllE0_EEPmJS6_EEE10hipError_tPvRmT3_T4_T5_T6_T7_T9_mT8_P12ihipStream_tbDpT10_ENKUlT_T0_E_clISt17integral_constantIbLb0EES1B_IbLb1EEEEDaS17_S18_EUlS17_E_NS1_11comp_targetILNS1_3genE8ELNS1_11target_archE1030ELNS1_3gpuE2ELNS1_3repE0EEENS1_30default_config_static_selectorELNS0_4arch9wavefront6targetE1EEEvT1_,@function
_ZN7rocprim17ROCPRIM_400000_NS6detail17trampoline_kernelINS0_14default_configENS1_25partition_config_selectorILNS1_17partition_subalgoE8ElNS0_10empty_typeEbEEZZNS1_14partition_implILS5_8ELb0ES3_jPlPS6_PKS6_NS0_5tupleIJS9_S6_EEENSD_IJSA_SA_EEENS0_18inequality_wrapperIZN2at6native12_GLOBAL__N_124unique_dim_cuda_templateIlEESt5tupleIJNSH_6TensorESM_SM_EERKSM_lbbbEUlllE0_EEPmJS6_EEE10hipError_tPvRmT3_T4_T5_T6_T7_T9_mT8_P12ihipStream_tbDpT10_ENKUlT_T0_E_clISt17integral_constantIbLb0EES1B_IbLb1EEEEDaS17_S18_EUlS17_E_NS1_11comp_targetILNS1_3genE8ELNS1_11target_archE1030ELNS1_3gpuE2ELNS1_3repE0EEENS1_30default_config_static_selectorELNS0_4arch9wavefront6targetE1EEEvT1_: ; @_ZN7rocprim17ROCPRIM_400000_NS6detail17trampoline_kernelINS0_14default_configENS1_25partition_config_selectorILNS1_17partition_subalgoE8ElNS0_10empty_typeEbEEZZNS1_14partition_implILS5_8ELb0ES3_jPlPS6_PKS6_NS0_5tupleIJS9_S6_EEENSD_IJSA_SA_EEENS0_18inequality_wrapperIZN2at6native12_GLOBAL__N_124unique_dim_cuda_templateIlEESt5tupleIJNSH_6TensorESM_SM_EERKSM_lbbbEUlllE0_EEPmJS6_EEE10hipError_tPvRmT3_T4_T5_T6_T7_T9_mT8_P12ihipStream_tbDpT10_ENKUlT_T0_E_clISt17integral_constantIbLb0EES1B_IbLb1EEEEDaS17_S18_EUlS17_E_NS1_11comp_targetILNS1_3genE8ELNS1_11target_archE1030ELNS1_3gpuE2ELNS1_3repE0EEENS1_30default_config_static_selectorELNS0_4arch9wavefront6targetE1EEEvT1_
; %bb.0:
	.section	.rodata,"a",@progbits
	.p2align	6, 0x0
	.amdhsa_kernel _ZN7rocprim17ROCPRIM_400000_NS6detail17trampoline_kernelINS0_14default_configENS1_25partition_config_selectorILNS1_17partition_subalgoE8ElNS0_10empty_typeEbEEZZNS1_14partition_implILS5_8ELb0ES3_jPlPS6_PKS6_NS0_5tupleIJS9_S6_EEENSD_IJSA_SA_EEENS0_18inequality_wrapperIZN2at6native12_GLOBAL__N_124unique_dim_cuda_templateIlEESt5tupleIJNSH_6TensorESM_SM_EERKSM_lbbbEUlllE0_EEPmJS6_EEE10hipError_tPvRmT3_T4_T5_T6_T7_T9_mT8_P12ihipStream_tbDpT10_ENKUlT_T0_E_clISt17integral_constantIbLb0EES1B_IbLb1EEEEDaS17_S18_EUlS17_E_NS1_11comp_targetILNS1_3genE8ELNS1_11target_archE1030ELNS1_3gpuE2ELNS1_3repE0EEENS1_30default_config_static_selectorELNS0_4arch9wavefront6targetE1EEEvT1_
		.amdhsa_group_segment_fixed_size 0
		.amdhsa_private_segment_fixed_size 0
		.amdhsa_kernarg_size 136
		.amdhsa_user_sgpr_count 6
		.amdhsa_user_sgpr_private_segment_buffer 1
		.amdhsa_user_sgpr_dispatch_ptr 0
		.amdhsa_user_sgpr_queue_ptr 0
		.amdhsa_user_sgpr_kernarg_segment_ptr 1
		.amdhsa_user_sgpr_dispatch_id 0
		.amdhsa_user_sgpr_flat_scratch_init 0
		.amdhsa_user_sgpr_kernarg_preload_length 0
		.amdhsa_user_sgpr_kernarg_preload_offset 0
		.amdhsa_user_sgpr_private_segment_size 0
		.amdhsa_uses_dynamic_stack 0
		.amdhsa_system_sgpr_private_segment_wavefront_offset 0
		.amdhsa_system_sgpr_workgroup_id_x 1
		.amdhsa_system_sgpr_workgroup_id_y 0
		.amdhsa_system_sgpr_workgroup_id_z 0
		.amdhsa_system_sgpr_workgroup_info 0
		.amdhsa_system_vgpr_workitem_id 0
		.amdhsa_next_free_vgpr 1
		.amdhsa_next_free_sgpr 0
		.amdhsa_accum_offset 4
		.amdhsa_reserve_vcc 0
		.amdhsa_reserve_flat_scratch 0
		.amdhsa_float_round_mode_32 0
		.amdhsa_float_round_mode_16_64 0
		.amdhsa_float_denorm_mode_32 3
		.amdhsa_float_denorm_mode_16_64 3
		.amdhsa_dx10_clamp 1
		.amdhsa_ieee_mode 1
		.amdhsa_fp16_overflow 0
		.amdhsa_tg_split 0
		.amdhsa_exception_fp_ieee_invalid_op 0
		.amdhsa_exception_fp_denorm_src 0
		.amdhsa_exception_fp_ieee_div_zero 0
		.amdhsa_exception_fp_ieee_overflow 0
		.amdhsa_exception_fp_ieee_underflow 0
		.amdhsa_exception_fp_ieee_inexact 0
		.amdhsa_exception_int_div_zero 0
	.end_amdhsa_kernel
	.section	.text._ZN7rocprim17ROCPRIM_400000_NS6detail17trampoline_kernelINS0_14default_configENS1_25partition_config_selectorILNS1_17partition_subalgoE8ElNS0_10empty_typeEbEEZZNS1_14partition_implILS5_8ELb0ES3_jPlPS6_PKS6_NS0_5tupleIJS9_S6_EEENSD_IJSA_SA_EEENS0_18inequality_wrapperIZN2at6native12_GLOBAL__N_124unique_dim_cuda_templateIlEESt5tupleIJNSH_6TensorESM_SM_EERKSM_lbbbEUlllE0_EEPmJS6_EEE10hipError_tPvRmT3_T4_T5_T6_T7_T9_mT8_P12ihipStream_tbDpT10_ENKUlT_T0_E_clISt17integral_constantIbLb0EES1B_IbLb1EEEEDaS17_S18_EUlS17_E_NS1_11comp_targetILNS1_3genE8ELNS1_11target_archE1030ELNS1_3gpuE2ELNS1_3repE0EEENS1_30default_config_static_selectorELNS0_4arch9wavefront6targetE1EEEvT1_,"axG",@progbits,_ZN7rocprim17ROCPRIM_400000_NS6detail17trampoline_kernelINS0_14default_configENS1_25partition_config_selectorILNS1_17partition_subalgoE8ElNS0_10empty_typeEbEEZZNS1_14partition_implILS5_8ELb0ES3_jPlPS6_PKS6_NS0_5tupleIJS9_S6_EEENSD_IJSA_SA_EEENS0_18inequality_wrapperIZN2at6native12_GLOBAL__N_124unique_dim_cuda_templateIlEESt5tupleIJNSH_6TensorESM_SM_EERKSM_lbbbEUlllE0_EEPmJS6_EEE10hipError_tPvRmT3_T4_T5_T6_T7_T9_mT8_P12ihipStream_tbDpT10_ENKUlT_T0_E_clISt17integral_constantIbLb0EES1B_IbLb1EEEEDaS17_S18_EUlS17_E_NS1_11comp_targetILNS1_3genE8ELNS1_11target_archE1030ELNS1_3gpuE2ELNS1_3repE0EEENS1_30default_config_static_selectorELNS0_4arch9wavefront6targetE1EEEvT1_,comdat
.Lfunc_end594:
	.size	_ZN7rocprim17ROCPRIM_400000_NS6detail17trampoline_kernelINS0_14default_configENS1_25partition_config_selectorILNS1_17partition_subalgoE8ElNS0_10empty_typeEbEEZZNS1_14partition_implILS5_8ELb0ES3_jPlPS6_PKS6_NS0_5tupleIJS9_S6_EEENSD_IJSA_SA_EEENS0_18inequality_wrapperIZN2at6native12_GLOBAL__N_124unique_dim_cuda_templateIlEESt5tupleIJNSH_6TensorESM_SM_EERKSM_lbbbEUlllE0_EEPmJS6_EEE10hipError_tPvRmT3_T4_T5_T6_T7_T9_mT8_P12ihipStream_tbDpT10_ENKUlT_T0_E_clISt17integral_constantIbLb0EES1B_IbLb1EEEEDaS17_S18_EUlS17_E_NS1_11comp_targetILNS1_3genE8ELNS1_11target_archE1030ELNS1_3gpuE2ELNS1_3repE0EEENS1_30default_config_static_selectorELNS0_4arch9wavefront6targetE1EEEvT1_, .Lfunc_end594-_ZN7rocprim17ROCPRIM_400000_NS6detail17trampoline_kernelINS0_14default_configENS1_25partition_config_selectorILNS1_17partition_subalgoE8ElNS0_10empty_typeEbEEZZNS1_14partition_implILS5_8ELb0ES3_jPlPS6_PKS6_NS0_5tupleIJS9_S6_EEENSD_IJSA_SA_EEENS0_18inequality_wrapperIZN2at6native12_GLOBAL__N_124unique_dim_cuda_templateIlEESt5tupleIJNSH_6TensorESM_SM_EERKSM_lbbbEUlllE0_EEPmJS6_EEE10hipError_tPvRmT3_T4_T5_T6_T7_T9_mT8_P12ihipStream_tbDpT10_ENKUlT_T0_E_clISt17integral_constantIbLb0EES1B_IbLb1EEEEDaS17_S18_EUlS17_E_NS1_11comp_targetILNS1_3genE8ELNS1_11target_archE1030ELNS1_3gpuE2ELNS1_3repE0EEENS1_30default_config_static_selectorELNS0_4arch9wavefront6targetE1EEEvT1_
                                        ; -- End function
	.section	.AMDGPU.csdata,"",@progbits
; Kernel info:
; codeLenInByte = 0
; NumSgprs: 4
; NumVgprs: 0
; NumAgprs: 0
; TotalNumVgprs: 0
; ScratchSize: 0
; MemoryBound: 0
; FloatMode: 240
; IeeeMode: 1
; LDSByteSize: 0 bytes/workgroup (compile time only)
; SGPRBlocks: 0
; VGPRBlocks: 0
; NumSGPRsForWavesPerEU: 4
; NumVGPRsForWavesPerEU: 1
; AccumOffset: 4
; Occupancy: 8
; WaveLimiterHint : 0
; COMPUTE_PGM_RSRC2:SCRATCH_EN: 0
; COMPUTE_PGM_RSRC2:USER_SGPR: 6
; COMPUTE_PGM_RSRC2:TRAP_HANDLER: 0
; COMPUTE_PGM_RSRC2:TGID_X_EN: 1
; COMPUTE_PGM_RSRC2:TGID_Y_EN: 0
; COMPUTE_PGM_RSRC2:TGID_Z_EN: 0
; COMPUTE_PGM_RSRC2:TIDIG_COMP_CNT: 0
; COMPUTE_PGM_RSRC3_GFX90A:ACCUM_OFFSET: 0
; COMPUTE_PGM_RSRC3_GFX90A:TG_SPLIT: 0
	.section	.text._ZN7rocprim17ROCPRIM_400000_NS6detail17trampoline_kernelINS0_14default_configENS1_25partition_config_selectorILNS1_17partition_subalgoE9EllbEEZZNS1_14partition_implILS5_9ELb0ES3_jPlS8_PNS0_10empty_typeENS0_5tupleIJS8_S9_EEENSB_IJS8_SA_EEENS0_18inequality_wrapperIZN2at6native12_GLOBAL__N_124unique_dim_cuda_templateIlEESt5tupleIJNSF_6TensorESK_SK_EERKSK_lbbbEUlllE0_EEPmJS9_EEE10hipError_tPvRmT3_T4_T5_T6_T7_T9_mT8_P12ihipStream_tbDpT10_ENKUlT_T0_E_clISt17integral_constantIbLb0EES1A_EEDaS15_S16_EUlS15_E_NS1_11comp_targetILNS1_3genE0ELNS1_11target_archE4294967295ELNS1_3gpuE0ELNS1_3repE0EEENS1_30default_config_static_selectorELNS0_4arch9wavefront6targetE1EEEvT1_,"axG",@progbits,_ZN7rocprim17ROCPRIM_400000_NS6detail17trampoline_kernelINS0_14default_configENS1_25partition_config_selectorILNS1_17partition_subalgoE9EllbEEZZNS1_14partition_implILS5_9ELb0ES3_jPlS8_PNS0_10empty_typeENS0_5tupleIJS8_S9_EEENSB_IJS8_SA_EEENS0_18inequality_wrapperIZN2at6native12_GLOBAL__N_124unique_dim_cuda_templateIlEESt5tupleIJNSF_6TensorESK_SK_EERKSK_lbbbEUlllE0_EEPmJS9_EEE10hipError_tPvRmT3_T4_T5_T6_T7_T9_mT8_P12ihipStream_tbDpT10_ENKUlT_T0_E_clISt17integral_constantIbLb0EES1A_EEDaS15_S16_EUlS15_E_NS1_11comp_targetILNS1_3genE0ELNS1_11target_archE4294967295ELNS1_3gpuE0ELNS1_3repE0EEENS1_30default_config_static_selectorELNS0_4arch9wavefront6targetE1EEEvT1_,comdat
	.globl	_ZN7rocprim17ROCPRIM_400000_NS6detail17trampoline_kernelINS0_14default_configENS1_25partition_config_selectorILNS1_17partition_subalgoE9EllbEEZZNS1_14partition_implILS5_9ELb0ES3_jPlS8_PNS0_10empty_typeENS0_5tupleIJS8_S9_EEENSB_IJS8_SA_EEENS0_18inequality_wrapperIZN2at6native12_GLOBAL__N_124unique_dim_cuda_templateIlEESt5tupleIJNSF_6TensorESK_SK_EERKSK_lbbbEUlllE0_EEPmJS9_EEE10hipError_tPvRmT3_T4_T5_T6_T7_T9_mT8_P12ihipStream_tbDpT10_ENKUlT_T0_E_clISt17integral_constantIbLb0EES1A_EEDaS15_S16_EUlS15_E_NS1_11comp_targetILNS1_3genE0ELNS1_11target_archE4294967295ELNS1_3gpuE0ELNS1_3repE0EEENS1_30default_config_static_selectorELNS0_4arch9wavefront6targetE1EEEvT1_ ; -- Begin function _ZN7rocprim17ROCPRIM_400000_NS6detail17trampoline_kernelINS0_14default_configENS1_25partition_config_selectorILNS1_17partition_subalgoE9EllbEEZZNS1_14partition_implILS5_9ELb0ES3_jPlS8_PNS0_10empty_typeENS0_5tupleIJS8_S9_EEENSB_IJS8_SA_EEENS0_18inequality_wrapperIZN2at6native12_GLOBAL__N_124unique_dim_cuda_templateIlEESt5tupleIJNSF_6TensorESK_SK_EERKSK_lbbbEUlllE0_EEPmJS9_EEE10hipError_tPvRmT3_T4_T5_T6_T7_T9_mT8_P12ihipStream_tbDpT10_ENKUlT_T0_E_clISt17integral_constantIbLb0EES1A_EEDaS15_S16_EUlS15_E_NS1_11comp_targetILNS1_3genE0ELNS1_11target_archE4294967295ELNS1_3gpuE0ELNS1_3repE0EEENS1_30default_config_static_selectorELNS0_4arch9wavefront6targetE1EEEvT1_
	.p2align	8
	.type	_ZN7rocprim17ROCPRIM_400000_NS6detail17trampoline_kernelINS0_14default_configENS1_25partition_config_selectorILNS1_17partition_subalgoE9EllbEEZZNS1_14partition_implILS5_9ELb0ES3_jPlS8_PNS0_10empty_typeENS0_5tupleIJS8_S9_EEENSB_IJS8_SA_EEENS0_18inequality_wrapperIZN2at6native12_GLOBAL__N_124unique_dim_cuda_templateIlEESt5tupleIJNSF_6TensorESK_SK_EERKSK_lbbbEUlllE0_EEPmJS9_EEE10hipError_tPvRmT3_T4_T5_T6_T7_T9_mT8_P12ihipStream_tbDpT10_ENKUlT_T0_E_clISt17integral_constantIbLb0EES1A_EEDaS15_S16_EUlS15_E_NS1_11comp_targetILNS1_3genE0ELNS1_11target_archE4294967295ELNS1_3gpuE0ELNS1_3repE0EEENS1_30default_config_static_selectorELNS0_4arch9wavefront6targetE1EEEvT1_,@function
_ZN7rocprim17ROCPRIM_400000_NS6detail17trampoline_kernelINS0_14default_configENS1_25partition_config_selectorILNS1_17partition_subalgoE9EllbEEZZNS1_14partition_implILS5_9ELb0ES3_jPlS8_PNS0_10empty_typeENS0_5tupleIJS8_S9_EEENSB_IJS8_SA_EEENS0_18inequality_wrapperIZN2at6native12_GLOBAL__N_124unique_dim_cuda_templateIlEESt5tupleIJNSF_6TensorESK_SK_EERKSK_lbbbEUlllE0_EEPmJS9_EEE10hipError_tPvRmT3_T4_T5_T6_T7_T9_mT8_P12ihipStream_tbDpT10_ENKUlT_T0_E_clISt17integral_constantIbLb0EES1A_EEDaS15_S16_EUlS15_E_NS1_11comp_targetILNS1_3genE0ELNS1_11target_archE4294967295ELNS1_3gpuE0ELNS1_3repE0EEENS1_30default_config_static_selectorELNS0_4arch9wavefront6targetE1EEEvT1_: ; @_ZN7rocprim17ROCPRIM_400000_NS6detail17trampoline_kernelINS0_14default_configENS1_25partition_config_selectorILNS1_17partition_subalgoE9EllbEEZZNS1_14partition_implILS5_9ELb0ES3_jPlS8_PNS0_10empty_typeENS0_5tupleIJS8_S9_EEENSB_IJS8_SA_EEENS0_18inequality_wrapperIZN2at6native12_GLOBAL__N_124unique_dim_cuda_templateIlEESt5tupleIJNSF_6TensorESK_SK_EERKSK_lbbbEUlllE0_EEPmJS9_EEE10hipError_tPvRmT3_T4_T5_T6_T7_T9_mT8_P12ihipStream_tbDpT10_ENKUlT_T0_E_clISt17integral_constantIbLb0EES1A_EEDaS15_S16_EUlS15_E_NS1_11comp_targetILNS1_3genE0ELNS1_11target_archE4294967295ELNS1_3gpuE0ELNS1_3repE0EEENS1_30default_config_static_selectorELNS0_4arch9wavefront6targetE1EEEvT1_
; %bb.0:
	.section	.rodata,"a",@progbits
	.p2align	6, 0x0
	.amdhsa_kernel _ZN7rocprim17ROCPRIM_400000_NS6detail17trampoline_kernelINS0_14default_configENS1_25partition_config_selectorILNS1_17partition_subalgoE9EllbEEZZNS1_14partition_implILS5_9ELb0ES3_jPlS8_PNS0_10empty_typeENS0_5tupleIJS8_S9_EEENSB_IJS8_SA_EEENS0_18inequality_wrapperIZN2at6native12_GLOBAL__N_124unique_dim_cuda_templateIlEESt5tupleIJNSF_6TensorESK_SK_EERKSK_lbbbEUlllE0_EEPmJS9_EEE10hipError_tPvRmT3_T4_T5_T6_T7_T9_mT8_P12ihipStream_tbDpT10_ENKUlT_T0_E_clISt17integral_constantIbLb0EES1A_EEDaS15_S16_EUlS15_E_NS1_11comp_targetILNS1_3genE0ELNS1_11target_archE4294967295ELNS1_3gpuE0ELNS1_3repE0EEENS1_30default_config_static_selectorELNS0_4arch9wavefront6targetE1EEEvT1_
		.amdhsa_group_segment_fixed_size 0
		.amdhsa_private_segment_fixed_size 0
		.amdhsa_kernarg_size 120
		.amdhsa_user_sgpr_count 6
		.amdhsa_user_sgpr_private_segment_buffer 1
		.amdhsa_user_sgpr_dispatch_ptr 0
		.amdhsa_user_sgpr_queue_ptr 0
		.amdhsa_user_sgpr_kernarg_segment_ptr 1
		.amdhsa_user_sgpr_dispatch_id 0
		.amdhsa_user_sgpr_flat_scratch_init 0
		.amdhsa_user_sgpr_kernarg_preload_length 0
		.amdhsa_user_sgpr_kernarg_preload_offset 0
		.amdhsa_user_sgpr_private_segment_size 0
		.amdhsa_uses_dynamic_stack 0
		.amdhsa_system_sgpr_private_segment_wavefront_offset 0
		.amdhsa_system_sgpr_workgroup_id_x 1
		.amdhsa_system_sgpr_workgroup_id_y 0
		.amdhsa_system_sgpr_workgroup_id_z 0
		.amdhsa_system_sgpr_workgroup_info 0
		.amdhsa_system_vgpr_workitem_id 0
		.amdhsa_next_free_vgpr 1
		.amdhsa_next_free_sgpr 0
		.amdhsa_accum_offset 4
		.amdhsa_reserve_vcc 0
		.amdhsa_reserve_flat_scratch 0
		.amdhsa_float_round_mode_32 0
		.amdhsa_float_round_mode_16_64 0
		.amdhsa_float_denorm_mode_32 3
		.amdhsa_float_denorm_mode_16_64 3
		.amdhsa_dx10_clamp 1
		.amdhsa_ieee_mode 1
		.amdhsa_fp16_overflow 0
		.amdhsa_tg_split 0
		.amdhsa_exception_fp_ieee_invalid_op 0
		.amdhsa_exception_fp_denorm_src 0
		.amdhsa_exception_fp_ieee_div_zero 0
		.amdhsa_exception_fp_ieee_overflow 0
		.amdhsa_exception_fp_ieee_underflow 0
		.amdhsa_exception_fp_ieee_inexact 0
		.amdhsa_exception_int_div_zero 0
	.end_amdhsa_kernel
	.section	.text._ZN7rocprim17ROCPRIM_400000_NS6detail17trampoline_kernelINS0_14default_configENS1_25partition_config_selectorILNS1_17partition_subalgoE9EllbEEZZNS1_14partition_implILS5_9ELb0ES3_jPlS8_PNS0_10empty_typeENS0_5tupleIJS8_S9_EEENSB_IJS8_SA_EEENS0_18inequality_wrapperIZN2at6native12_GLOBAL__N_124unique_dim_cuda_templateIlEESt5tupleIJNSF_6TensorESK_SK_EERKSK_lbbbEUlllE0_EEPmJS9_EEE10hipError_tPvRmT3_T4_T5_T6_T7_T9_mT8_P12ihipStream_tbDpT10_ENKUlT_T0_E_clISt17integral_constantIbLb0EES1A_EEDaS15_S16_EUlS15_E_NS1_11comp_targetILNS1_3genE0ELNS1_11target_archE4294967295ELNS1_3gpuE0ELNS1_3repE0EEENS1_30default_config_static_selectorELNS0_4arch9wavefront6targetE1EEEvT1_,"axG",@progbits,_ZN7rocprim17ROCPRIM_400000_NS6detail17trampoline_kernelINS0_14default_configENS1_25partition_config_selectorILNS1_17partition_subalgoE9EllbEEZZNS1_14partition_implILS5_9ELb0ES3_jPlS8_PNS0_10empty_typeENS0_5tupleIJS8_S9_EEENSB_IJS8_SA_EEENS0_18inequality_wrapperIZN2at6native12_GLOBAL__N_124unique_dim_cuda_templateIlEESt5tupleIJNSF_6TensorESK_SK_EERKSK_lbbbEUlllE0_EEPmJS9_EEE10hipError_tPvRmT3_T4_T5_T6_T7_T9_mT8_P12ihipStream_tbDpT10_ENKUlT_T0_E_clISt17integral_constantIbLb0EES1A_EEDaS15_S16_EUlS15_E_NS1_11comp_targetILNS1_3genE0ELNS1_11target_archE4294967295ELNS1_3gpuE0ELNS1_3repE0EEENS1_30default_config_static_selectorELNS0_4arch9wavefront6targetE1EEEvT1_,comdat
.Lfunc_end595:
	.size	_ZN7rocprim17ROCPRIM_400000_NS6detail17trampoline_kernelINS0_14default_configENS1_25partition_config_selectorILNS1_17partition_subalgoE9EllbEEZZNS1_14partition_implILS5_9ELb0ES3_jPlS8_PNS0_10empty_typeENS0_5tupleIJS8_S9_EEENSB_IJS8_SA_EEENS0_18inequality_wrapperIZN2at6native12_GLOBAL__N_124unique_dim_cuda_templateIlEESt5tupleIJNSF_6TensorESK_SK_EERKSK_lbbbEUlllE0_EEPmJS9_EEE10hipError_tPvRmT3_T4_T5_T6_T7_T9_mT8_P12ihipStream_tbDpT10_ENKUlT_T0_E_clISt17integral_constantIbLb0EES1A_EEDaS15_S16_EUlS15_E_NS1_11comp_targetILNS1_3genE0ELNS1_11target_archE4294967295ELNS1_3gpuE0ELNS1_3repE0EEENS1_30default_config_static_selectorELNS0_4arch9wavefront6targetE1EEEvT1_, .Lfunc_end595-_ZN7rocprim17ROCPRIM_400000_NS6detail17trampoline_kernelINS0_14default_configENS1_25partition_config_selectorILNS1_17partition_subalgoE9EllbEEZZNS1_14partition_implILS5_9ELb0ES3_jPlS8_PNS0_10empty_typeENS0_5tupleIJS8_S9_EEENSB_IJS8_SA_EEENS0_18inequality_wrapperIZN2at6native12_GLOBAL__N_124unique_dim_cuda_templateIlEESt5tupleIJNSF_6TensorESK_SK_EERKSK_lbbbEUlllE0_EEPmJS9_EEE10hipError_tPvRmT3_T4_T5_T6_T7_T9_mT8_P12ihipStream_tbDpT10_ENKUlT_T0_E_clISt17integral_constantIbLb0EES1A_EEDaS15_S16_EUlS15_E_NS1_11comp_targetILNS1_3genE0ELNS1_11target_archE4294967295ELNS1_3gpuE0ELNS1_3repE0EEENS1_30default_config_static_selectorELNS0_4arch9wavefront6targetE1EEEvT1_
                                        ; -- End function
	.section	.AMDGPU.csdata,"",@progbits
; Kernel info:
; codeLenInByte = 0
; NumSgprs: 4
; NumVgprs: 0
; NumAgprs: 0
; TotalNumVgprs: 0
; ScratchSize: 0
; MemoryBound: 0
; FloatMode: 240
; IeeeMode: 1
; LDSByteSize: 0 bytes/workgroup (compile time only)
; SGPRBlocks: 0
; VGPRBlocks: 0
; NumSGPRsForWavesPerEU: 4
; NumVGPRsForWavesPerEU: 1
; AccumOffset: 4
; Occupancy: 8
; WaveLimiterHint : 0
; COMPUTE_PGM_RSRC2:SCRATCH_EN: 0
; COMPUTE_PGM_RSRC2:USER_SGPR: 6
; COMPUTE_PGM_RSRC2:TRAP_HANDLER: 0
; COMPUTE_PGM_RSRC2:TGID_X_EN: 1
; COMPUTE_PGM_RSRC2:TGID_Y_EN: 0
; COMPUTE_PGM_RSRC2:TGID_Z_EN: 0
; COMPUTE_PGM_RSRC2:TIDIG_COMP_CNT: 0
; COMPUTE_PGM_RSRC3_GFX90A:ACCUM_OFFSET: 0
; COMPUTE_PGM_RSRC3_GFX90A:TG_SPLIT: 0
	.section	.text._ZN7rocprim17ROCPRIM_400000_NS6detail17trampoline_kernelINS0_14default_configENS1_25partition_config_selectorILNS1_17partition_subalgoE9EllbEEZZNS1_14partition_implILS5_9ELb0ES3_jPlS8_PNS0_10empty_typeENS0_5tupleIJS8_S9_EEENSB_IJS8_SA_EEENS0_18inequality_wrapperIZN2at6native12_GLOBAL__N_124unique_dim_cuda_templateIlEESt5tupleIJNSF_6TensorESK_SK_EERKSK_lbbbEUlllE0_EEPmJS9_EEE10hipError_tPvRmT3_T4_T5_T6_T7_T9_mT8_P12ihipStream_tbDpT10_ENKUlT_T0_E_clISt17integral_constantIbLb0EES1A_EEDaS15_S16_EUlS15_E_NS1_11comp_targetILNS1_3genE5ELNS1_11target_archE942ELNS1_3gpuE9ELNS1_3repE0EEENS1_30default_config_static_selectorELNS0_4arch9wavefront6targetE1EEEvT1_,"axG",@progbits,_ZN7rocprim17ROCPRIM_400000_NS6detail17trampoline_kernelINS0_14default_configENS1_25partition_config_selectorILNS1_17partition_subalgoE9EllbEEZZNS1_14partition_implILS5_9ELb0ES3_jPlS8_PNS0_10empty_typeENS0_5tupleIJS8_S9_EEENSB_IJS8_SA_EEENS0_18inequality_wrapperIZN2at6native12_GLOBAL__N_124unique_dim_cuda_templateIlEESt5tupleIJNSF_6TensorESK_SK_EERKSK_lbbbEUlllE0_EEPmJS9_EEE10hipError_tPvRmT3_T4_T5_T6_T7_T9_mT8_P12ihipStream_tbDpT10_ENKUlT_T0_E_clISt17integral_constantIbLb0EES1A_EEDaS15_S16_EUlS15_E_NS1_11comp_targetILNS1_3genE5ELNS1_11target_archE942ELNS1_3gpuE9ELNS1_3repE0EEENS1_30default_config_static_selectorELNS0_4arch9wavefront6targetE1EEEvT1_,comdat
	.globl	_ZN7rocprim17ROCPRIM_400000_NS6detail17trampoline_kernelINS0_14default_configENS1_25partition_config_selectorILNS1_17partition_subalgoE9EllbEEZZNS1_14partition_implILS5_9ELb0ES3_jPlS8_PNS0_10empty_typeENS0_5tupleIJS8_S9_EEENSB_IJS8_SA_EEENS0_18inequality_wrapperIZN2at6native12_GLOBAL__N_124unique_dim_cuda_templateIlEESt5tupleIJNSF_6TensorESK_SK_EERKSK_lbbbEUlllE0_EEPmJS9_EEE10hipError_tPvRmT3_T4_T5_T6_T7_T9_mT8_P12ihipStream_tbDpT10_ENKUlT_T0_E_clISt17integral_constantIbLb0EES1A_EEDaS15_S16_EUlS15_E_NS1_11comp_targetILNS1_3genE5ELNS1_11target_archE942ELNS1_3gpuE9ELNS1_3repE0EEENS1_30default_config_static_selectorELNS0_4arch9wavefront6targetE1EEEvT1_ ; -- Begin function _ZN7rocprim17ROCPRIM_400000_NS6detail17trampoline_kernelINS0_14default_configENS1_25partition_config_selectorILNS1_17partition_subalgoE9EllbEEZZNS1_14partition_implILS5_9ELb0ES3_jPlS8_PNS0_10empty_typeENS0_5tupleIJS8_S9_EEENSB_IJS8_SA_EEENS0_18inequality_wrapperIZN2at6native12_GLOBAL__N_124unique_dim_cuda_templateIlEESt5tupleIJNSF_6TensorESK_SK_EERKSK_lbbbEUlllE0_EEPmJS9_EEE10hipError_tPvRmT3_T4_T5_T6_T7_T9_mT8_P12ihipStream_tbDpT10_ENKUlT_T0_E_clISt17integral_constantIbLb0EES1A_EEDaS15_S16_EUlS15_E_NS1_11comp_targetILNS1_3genE5ELNS1_11target_archE942ELNS1_3gpuE9ELNS1_3repE0EEENS1_30default_config_static_selectorELNS0_4arch9wavefront6targetE1EEEvT1_
	.p2align	8
	.type	_ZN7rocprim17ROCPRIM_400000_NS6detail17trampoline_kernelINS0_14default_configENS1_25partition_config_selectorILNS1_17partition_subalgoE9EllbEEZZNS1_14partition_implILS5_9ELb0ES3_jPlS8_PNS0_10empty_typeENS0_5tupleIJS8_S9_EEENSB_IJS8_SA_EEENS0_18inequality_wrapperIZN2at6native12_GLOBAL__N_124unique_dim_cuda_templateIlEESt5tupleIJNSF_6TensorESK_SK_EERKSK_lbbbEUlllE0_EEPmJS9_EEE10hipError_tPvRmT3_T4_T5_T6_T7_T9_mT8_P12ihipStream_tbDpT10_ENKUlT_T0_E_clISt17integral_constantIbLb0EES1A_EEDaS15_S16_EUlS15_E_NS1_11comp_targetILNS1_3genE5ELNS1_11target_archE942ELNS1_3gpuE9ELNS1_3repE0EEENS1_30default_config_static_selectorELNS0_4arch9wavefront6targetE1EEEvT1_,@function
_ZN7rocprim17ROCPRIM_400000_NS6detail17trampoline_kernelINS0_14default_configENS1_25partition_config_selectorILNS1_17partition_subalgoE9EllbEEZZNS1_14partition_implILS5_9ELb0ES3_jPlS8_PNS0_10empty_typeENS0_5tupleIJS8_S9_EEENSB_IJS8_SA_EEENS0_18inequality_wrapperIZN2at6native12_GLOBAL__N_124unique_dim_cuda_templateIlEESt5tupleIJNSF_6TensorESK_SK_EERKSK_lbbbEUlllE0_EEPmJS9_EEE10hipError_tPvRmT3_T4_T5_T6_T7_T9_mT8_P12ihipStream_tbDpT10_ENKUlT_T0_E_clISt17integral_constantIbLb0EES1A_EEDaS15_S16_EUlS15_E_NS1_11comp_targetILNS1_3genE5ELNS1_11target_archE942ELNS1_3gpuE9ELNS1_3repE0EEENS1_30default_config_static_selectorELNS0_4arch9wavefront6targetE1EEEvT1_: ; @_ZN7rocprim17ROCPRIM_400000_NS6detail17trampoline_kernelINS0_14default_configENS1_25partition_config_selectorILNS1_17partition_subalgoE9EllbEEZZNS1_14partition_implILS5_9ELb0ES3_jPlS8_PNS0_10empty_typeENS0_5tupleIJS8_S9_EEENSB_IJS8_SA_EEENS0_18inequality_wrapperIZN2at6native12_GLOBAL__N_124unique_dim_cuda_templateIlEESt5tupleIJNSF_6TensorESK_SK_EERKSK_lbbbEUlllE0_EEPmJS9_EEE10hipError_tPvRmT3_T4_T5_T6_T7_T9_mT8_P12ihipStream_tbDpT10_ENKUlT_T0_E_clISt17integral_constantIbLb0EES1A_EEDaS15_S16_EUlS15_E_NS1_11comp_targetILNS1_3genE5ELNS1_11target_archE942ELNS1_3gpuE9ELNS1_3repE0EEENS1_30default_config_static_selectorELNS0_4arch9wavefront6targetE1EEEvT1_
; %bb.0:
	.section	.rodata,"a",@progbits
	.p2align	6, 0x0
	.amdhsa_kernel _ZN7rocprim17ROCPRIM_400000_NS6detail17trampoline_kernelINS0_14default_configENS1_25partition_config_selectorILNS1_17partition_subalgoE9EllbEEZZNS1_14partition_implILS5_9ELb0ES3_jPlS8_PNS0_10empty_typeENS0_5tupleIJS8_S9_EEENSB_IJS8_SA_EEENS0_18inequality_wrapperIZN2at6native12_GLOBAL__N_124unique_dim_cuda_templateIlEESt5tupleIJNSF_6TensorESK_SK_EERKSK_lbbbEUlllE0_EEPmJS9_EEE10hipError_tPvRmT3_T4_T5_T6_T7_T9_mT8_P12ihipStream_tbDpT10_ENKUlT_T0_E_clISt17integral_constantIbLb0EES1A_EEDaS15_S16_EUlS15_E_NS1_11comp_targetILNS1_3genE5ELNS1_11target_archE942ELNS1_3gpuE9ELNS1_3repE0EEENS1_30default_config_static_selectorELNS0_4arch9wavefront6targetE1EEEvT1_
		.amdhsa_group_segment_fixed_size 0
		.amdhsa_private_segment_fixed_size 0
		.amdhsa_kernarg_size 120
		.amdhsa_user_sgpr_count 6
		.amdhsa_user_sgpr_private_segment_buffer 1
		.amdhsa_user_sgpr_dispatch_ptr 0
		.amdhsa_user_sgpr_queue_ptr 0
		.amdhsa_user_sgpr_kernarg_segment_ptr 1
		.amdhsa_user_sgpr_dispatch_id 0
		.amdhsa_user_sgpr_flat_scratch_init 0
		.amdhsa_user_sgpr_kernarg_preload_length 0
		.amdhsa_user_sgpr_kernarg_preload_offset 0
		.amdhsa_user_sgpr_private_segment_size 0
		.amdhsa_uses_dynamic_stack 0
		.amdhsa_system_sgpr_private_segment_wavefront_offset 0
		.amdhsa_system_sgpr_workgroup_id_x 1
		.amdhsa_system_sgpr_workgroup_id_y 0
		.amdhsa_system_sgpr_workgroup_id_z 0
		.amdhsa_system_sgpr_workgroup_info 0
		.amdhsa_system_vgpr_workitem_id 0
		.amdhsa_next_free_vgpr 1
		.amdhsa_next_free_sgpr 0
		.amdhsa_accum_offset 4
		.amdhsa_reserve_vcc 0
		.amdhsa_reserve_flat_scratch 0
		.amdhsa_float_round_mode_32 0
		.amdhsa_float_round_mode_16_64 0
		.amdhsa_float_denorm_mode_32 3
		.amdhsa_float_denorm_mode_16_64 3
		.amdhsa_dx10_clamp 1
		.amdhsa_ieee_mode 1
		.amdhsa_fp16_overflow 0
		.amdhsa_tg_split 0
		.amdhsa_exception_fp_ieee_invalid_op 0
		.amdhsa_exception_fp_denorm_src 0
		.amdhsa_exception_fp_ieee_div_zero 0
		.amdhsa_exception_fp_ieee_overflow 0
		.amdhsa_exception_fp_ieee_underflow 0
		.amdhsa_exception_fp_ieee_inexact 0
		.amdhsa_exception_int_div_zero 0
	.end_amdhsa_kernel
	.section	.text._ZN7rocprim17ROCPRIM_400000_NS6detail17trampoline_kernelINS0_14default_configENS1_25partition_config_selectorILNS1_17partition_subalgoE9EllbEEZZNS1_14partition_implILS5_9ELb0ES3_jPlS8_PNS0_10empty_typeENS0_5tupleIJS8_S9_EEENSB_IJS8_SA_EEENS0_18inequality_wrapperIZN2at6native12_GLOBAL__N_124unique_dim_cuda_templateIlEESt5tupleIJNSF_6TensorESK_SK_EERKSK_lbbbEUlllE0_EEPmJS9_EEE10hipError_tPvRmT3_T4_T5_T6_T7_T9_mT8_P12ihipStream_tbDpT10_ENKUlT_T0_E_clISt17integral_constantIbLb0EES1A_EEDaS15_S16_EUlS15_E_NS1_11comp_targetILNS1_3genE5ELNS1_11target_archE942ELNS1_3gpuE9ELNS1_3repE0EEENS1_30default_config_static_selectorELNS0_4arch9wavefront6targetE1EEEvT1_,"axG",@progbits,_ZN7rocprim17ROCPRIM_400000_NS6detail17trampoline_kernelINS0_14default_configENS1_25partition_config_selectorILNS1_17partition_subalgoE9EllbEEZZNS1_14partition_implILS5_9ELb0ES3_jPlS8_PNS0_10empty_typeENS0_5tupleIJS8_S9_EEENSB_IJS8_SA_EEENS0_18inequality_wrapperIZN2at6native12_GLOBAL__N_124unique_dim_cuda_templateIlEESt5tupleIJNSF_6TensorESK_SK_EERKSK_lbbbEUlllE0_EEPmJS9_EEE10hipError_tPvRmT3_T4_T5_T6_T7_T9_mT8_P12ihipStream_tbDpT10_ENKUlT_T0_E_clISt17integral_constantIbLb0EES1A_EEDaS15_S16_EUlS15_E_NS1_11comp_targetILNS1_3genE5ELNS1_11target_archE942ELNS1_3gpuE9ELNS1_3repE0EEENS1_30default_config_static_selectorELNS0_4arch9wavefront6targetE1EEEvT1_,comdat
.Lfunc_end596:
	.size	_ZN7rocprim17ROCPRIM_400000_NS6detail17trampoline_kernelINS0_14default_configENS1_25partition_config_selectorILNS1_17partition_subalgoE9EllbEEZZNS1_14partition_implILS5_9ELb0ES3_jPlS8_PNS0_10empty_typeENS0_5tupleIJS8_S9_EEENSB_IJS8_SA_EEENS0_18inequality_wrapperIZN2at6native12_GLOBAL__N_124unique_dim_cuda_templateIlEESt5tupleIJNSF_6TensorESK_SK_EERKSK_lbbbEUlllE0_EEPmJS9_EEE10hipError_tPvRmT3_T4_T5_T6_T7_T9_mT8_P12ihipStream_tbDpT10_ENKUlT_T0_E_clISt17integral_constantIbLb0EES1A_EEDaS15_S16_EUlS15_E_NS1_11comp_targetILNS1_3genE5ELNS1_11target_archE942ELNS1_3gpuE9ELNS1_3repE0EEENS1_30default_config_static_selectorELNS0_4arch9wavefront6targetE1EEEvT1_, .Lfunc_end596-_ZN7rocprim17ROCPRIM_400000_NS6detail17trampoline_kernelINS0_14default_configENS1_25partition_config_selectorILNS1_17partition_subalgoE9EllbEEZZNS1_14partition_implILS5_9ELb0ES3_jPlS8_PNS0_10empty_typeENS0_5tupleIJS8_S9_EEENSB_IJS8_SA_EEENS0_18inequality_wrapperIZN2at6native12_GLOBAL__N_124unique_dim_cuda_templateIlEESt5tupleIJNSF_6TensorESK_SK_EERKSK_lbbbEUlllE0_EEPmJS9_EEE10hipError_tPvRmT3_T4_T5_T6_T7_T9_mT8_P12ihipStream_tbDpT10_ENKUlT_T0_E_clISt17integral_constantIbLb0EES1A_EEDaS15_S16_EUlS15_E_NS1_11comp_targetILNS1_3genE5ELNS1_11target_archE942ELNS1_3gpuE9ELNS1_3repE0EEENS1_30default_config_static_selectorELNS0_4arch9wavefront6targetE1EEEvT1_
                                        ; -- End function
	.section	.AMDGPU.csdata,"",@progbits
; Kernel info:
; codeLenInByte = 0
; NumSgprs: 4
; NumVgprs: 0
; NumAgprs: 0
; TotalNumVgprs: 0
; ScratchSize: 0
; MemoryBound: 0
; FloatMode: 240
; IeeeMode: 1
; LDSByteSize: 0 bytes/workgroup (compile time only)
; SGPRBlocks: 0
; VGPRBlocks: 0
; NumSGPRsForWavesPerEU: 4
; NumVGPRsForWavesPerEU: 1
; AccumOffset: 4
; Occupancy: 8
; WaveLimiterHint : 0
; COMPUTE_PGM_RSRC2:SCRATCH_EN: 0
; COMPUTE_PGM_RSRC2:USER_SGPR: 6
; COMPUTE_PGM_RSRC2:TRAP_HANDLER: 0
; COMPUTE_PGM_RSRC2:TGID_X_EN: 1
; COMPUTE_PGM_RSRC2:TGID_Y_EN: 0
; COMPUTE_PGM_RSRC2:TGID_Z_EN: 0
; COMPUTE_PGM_RSRC2:TIDIG_COMP_CNT: 0
; COMPUTE_PGM_RSRC3_GFX90A:ACCUM_OFFSET: 0
; COMPUTE_PGM_RSRC3_GFX90A:TG_SPLIT: 0
	.section	.text._ZN7rocprim17ROCPRIM_400000_NS6detail17trampoline_kernelINS0_14default_configENS1_25partition_config_selectorILNS1_17partition_subalgoE9EllbEEZZNS1_14partition_implILS5_9ELb0ES3_jPlS8_PNS0_10empty_typeENS0_5tupleIJS8_S9_EEENSB_IJS8_SA_EEENS0_18inequality_wrapperIZN2at6native12_GLOBAL__N_124unique_dim_cuda_templateIlEESt5tupleIJNSF_6TensorESK_SK_EERKSK_lbbbEUlllE0_EEPmJS9_EEE10hipError_tPvRmT3_T4_T5_T6_T7_T9_mT8_P12ihipStream_tbDpT10_ENKUlT_T0_E_clISt17integral_constantIbLb0EES1A_EEDaS15_S16_EUlS15_E_NS1_11comp_targetILNS1_3genE4ELNS1_11target_archE910ELNS1_3gpuE8ELNS1_3repE0EEENS1_30default_config_static_selectorELNS0_4arch9wavefront6targetE1EEEvT1_,"axG",@progbits,_ZN7rocprim17ROCPRIM_400000_NS6detail17trampoline_kernelINS0_14default_configENS1_25partition_config_selectorILNS1_17partition_subalgoE9EllbEEZZNS1_14partition_implILS5_9ELb0ES3_jPlS8_PNS0_10empty_typeENS0_5tupleIJS8_S9_EEENSB_IJS8_SA_EEENS0_18inequality_wrapperIZN2at6native12_GLOBAL__N_124unique_dim_cuda_templateIlEESt5tupleIJNSF_6TensorESK_SK_EERKSK_lbbbEUlllE0_EEPmJS9_EEE10hipError_tPvRmT3_T4_T5_T6_T7_T9_mT8_P12ihipStream_tbDpT10_ENKUlT_T0_E_clISt17integral_constantIbLb0EES1A_EEDaS15_S16_EUlS15_E_NS1_11comp_targetILNS1_3genE4ELNS1_11target_archE910ELNS1_3gpuE8ELNS1_3repE0EEENS1_30default_config_static_selectorELNS0_4arch9wavefront6targetE1EEEvT1_,comdat
	.globl	_ZN7rocprim17ROCPRIM_400000_NS6detail17trampoline_kernelINS0_14default_configENS1_25partition_config_selectorILNS1_17partition_subalgoE9EllbEEZZNS1_14partition_implILS5_9ELb0ES3_jPlS8_PNS0_10empty_typeENS0_5tupleIJS8_S9_EEENSB_IJS8_SA_EEENS0_18inequality_wrapperIZN2at6native12_GLOBAL__N_124unique_dim_cuda_templateIlEESt5tupleIJNSF_6TensorESK_SK_EERKSK_lbbbEUlllE0_EEPmJS9_EEE10hipError_tPvRmT3_T4_T5_T6_T7_T9_mT8_P12ihipStream_tbDpT10_ENKUlT_T0_E_clISt17integral_constantIbLb0EES1A_EEDaS15_S16_EUlS15_E_NS1_11comp_targetILNS1_3genE4ELNS1_11target_archE910ELNS1_3gpuE8ELNS1_3repE0EEENS1_30default_config_static_selectorELNS0_4arch9wavefront6targetE1EEEvT1_ ; -- Begin function _ZN7rocprim17ROCPRIM_400000_NS6detail17trampoline_kernelINS0_14default_configENS1_25partition_config_selectorILNS1_17partition_subalgoE9EllbEEZZNS1_14partition_implILS5_9ELb0ES3_jPlS8_PNS0_10empty_typeENS0_5tupleIJS8_S9_EEENSB_IJS8_SA_EEENS0_18inequality_wrapperIZN2at6native12_GLOBAL__N_124unique_dim_cuda_templateIlEESt5tupleIJNSF_6TensorESK_SK_EERKSK_lbbbEUlllE0_EEPmJS9_EEE10hipError_tPvRmT3_T4_T5_T6_T7_T9_mT8_P12ihipStream_tbDpT10_ENKUlT_T0_E_clISt17integral_constantIbLb0EES1A_EEDaS15_S16_EUlS15_E_NS1_11comp_targetILNS1_3genE4ELNS1_11target_archE910ELNS1_3gpuE8ELNS1_3repE0EEENS1_30default_config_static_selectorELNS0_4arch9wavefront6targetE1EEEvT1_
	.p2align	8
	.type	_ZN7rocprim17ROCPRIM_400000_NS6detail17trampoline_kernelINS0_14default_configENS1_25partition_config_selectorILNS1_17partition_subalgoE9EllbEEZZNS1_14partition_implILS5_9ELb0ES3_jPlS8_PNS0_10empty_typeENS0_5tupleIJS8_S9_EEENSB_IJS8_SA_EEENS0_18inequality_wrapperIZN2at6native12_GLOBAL__N_124unique_dim_cuda_templateIlEESt5tupleIJNSF_6TensorESK_SK_EERKSK_lbbbEUlllE0_EEPmJS9_EEE10hipError_tPvRmT3_T4_T5_T6_T7_T9_mT8_P12ihipStream_tbDpT10_ENKUlT_T0_E_clISt17integral_constantIbLb0EES1A_EEDaS15_S16_EUlS15_E_NS1_11comp_targetILNS1_3genE4ELNS1_11target_archE910ELNS1_3gpuE8ELNS1_3repE0EEENS1_30default_config_static_selectorELNS0_4arch9wavefront6targetE1EEEvT1_,@function
_ZN7rocprim17ROCPRIM_400000_NS6detail17trampoline_kernelINS0_14default_configENS1_25partition_config_selectorILNS1_17partition_subalgoE9EllbEEZZNS1_14partition_implILS5_9ELb0ES3_jPlS8_PNS0_10empty_typeENS0_5tupleIJS8_S9_EEENSB_IJS8_SA_EEENS0_18inequality_wrapperIZN2at6native12_GLOBAL__N_124unique_dim_cuda_templateIlEESt5tupleIJNSF_6TensorESK_SK_EERKSK_lbbbEUlllE0_EEPmJS9_EEE10hipError_tPvRmT3_T4_T5_T6_T7_T9_mT8_P12ihipStream_tbDpT10_ENKUlT_T0_E_clISt17integral_constantIbLb0EES1A_EEDaS15_S16_EUlS15_E_NS1_11comp_targetILNS1_3genE4ELNS1_11target_archE910ELNS1_3gpuE8ELNS1_3repE0EEENS1_30default_config_static_selectorELNS0_4arch9wavefront6targetE1EEEvT1_: ; @_ZN7rocprim17ROCPRIM_400000_NS6detail17trampoline_kernelINS0_14default_configENS1_25partition_config_selectorILNS1_17partition_subalgoE9EllbEEZZNS1_14partition_implILS5_9ELb0ES3_jPlS8_PNS0_10empty_typeENS0_5tupleIJS8_S9_EEENSB_IJS8_SA_EEENS0_18inequality_wrapperIZN2at6native12_GLOBAL__N_124unique_dim_cuda_templateIlEESt5tupleIJNSF_6TensorESK_SK_EERKSK_lbbbEUlllE0_EEPmJS9_EEE10hipError_tPvRmT3_T4_T5_T6_T7_T9_mT8_P12ihipStream_tbDpT10_ENKUlT_T0_E_clISt17integral_constantIbLb0EES1A_EEDaS15_S16_EUlS15_E_NS1_11comp_targetILNS1_3genE4ELNS1_11target_archE910ELNS1_3gpuE8ELNS1_3repE0EEENS1_30default_config_static_selectorELNS0_4arch9wavefront6targetE1EEEvT1_
; %bb.0:
	s_load_dwordx8 s[20:27], s[4:5], 0x40
	s_load_dwordx4 s[0:3], s[4:5], 0x8
	s_load_dwordx2 s[12:13], s[4:5], 0x18
	s_load_dword s9, s[4:5], 0x70
	v_lshrrev_b32_e32 v18, 2, v0
	s_waitcnt lgkmcnt(0)
	v_mov_b32_e32 v2, s24
	s_lshl_b64 s[14:15], s[2:3], 3
	s_add_u32 s18, s0, s14
	s_addc_u32 s19, s1, s15
	s_add_i32 s10, s9, -1
	s_lshl_b32 s0, s10, 9
	s_add_i32 s0, s2, s0
	s_lshl_b32 s8, s6, 9
	s_sub_i32 s7, s24, s0
	s_lshl_b32 s0, s9, 9
	s_add_u32 s0, s2, s0
	s_addc_u32 s1, s3, 0
	v_mov_b32_e32 v3, s25
	s_cmp_eq_u32 s6, s10
	s_load_dwordx2 s[22:23], s[22:23], 0x0
	v_cmp_ge_u64_e32 vcc, s[0:1], v[2:3]
	s_cselect_b64 s[24:25], -1, 0
	s_mov_b32 s9, 0
	s_and_b64 s[10:11], s[24:25], vcc
	s_xor_b64 s[34:35], s[10:11], -1
	s_lshl_b64 s[16:17], s[8:9], 3
	s_add_u32 s8, s18, s16
	s_mov_b64 s[0:1], -1
	s_addc_u32 s9, s19, s17
	s_and_b64 vcc, exec, s[34:35]
	s_cbranch_vccz .LBB597_2
; %bb.1:
	v_lshlrev_b32_e32 v1, 3, v0
	global_load_dwordx2 v[2:3], v1, s[8:9]
	global_load_dwordx2 v[4:5], v1, s[8:9] offset:1024
	global_load_dwordx2 v[6:7], v1, s[8:9] offset:2048
	;; [unrolled: 1-line block ×3, first 2 shown]
	v_or_b32_e32 v11, 0x80, v0
	v_or_b32_e32 v12, 0x100, v0
	;; [unrolled: 1-line block ×3, first 2 shown]
	v_and_b32_e32 v10, 24, v18
	v_lshrrev_b32_e32 v11, 2, v11
	v_lshrrev_b32_e32 v12, 2, v12
	;; [unrolled: 1-line block ×3, first 2 shown]
	v_add_u32_e32 v10, v10, v1
	v_and_b32_e32 v11, 56, v11
	v_and_b32_e32 v12, 0x58, v12
	;; [unrolled: 1-line block ×3, first 2 shown]
	v_add_u32_e32 v11, v11, v1
	v_add_u32_e32 v12, v12, v1
	;; [unrolled: 1-line block ×3, first 2 shown]
	s_mov_b64 s[0:1], 0
	s_waitcnt vmcnt(3)
	ds_write_b64 v10, v[2:3]
	s_waitcnt vmcnt(2)
	ds_write_b64 v11, v[4:5] offset:1024
	s_waitcnt vmcnt(1)
	ds_write_b64 v12, v[6:7] offset:2048
	;; [unrolled: 2-line block ×3, first 2 shown]
	s_waitcnt lgkmcnt(0)
	s_barrier
.LBB597_2:
	s_load_dwordx4 s[28:31], s[4:5], 0x60
	s_andn2_b64 vcc, exec, s[0:1]
	v_cmp_gt_u32_e64 s[0:1], s7, v0
	s_cbranch_vccnz .LBB597_12
; %bb.3:
                                        ; implicit-def: $vgpr2_vgpr3_vgpr4_vgpr5_vgpr6_vgpr7_vgpr8_vgpr9
	s_and_saveexec_b64 s[18:19], s[0:1]
	s_cbranch_execz .LBB597_5
; %bb.4:
	v_lshlrev_b32_e32 v1, 3, v0
	global_load_dwordx2 v[2:3], v1, s[8:9]
.LBB597_5:
	s_or_b64 exec, exec, s[18:19]
	v_or_b32_e32 v1, 0x80, v0
	v_cmp_gt_u32_e32 vcc, s7, v1
	s_and_saveexec_b64 s[0:1], vcc
	s_cbranch_execz .LBB597_7
; %bb.6:
	v_lshlrev_b32_e32 v4, 3, v0
	global_load_dwordx2 v[4:5], v4, s[8:9] offset:1024
.LBB597_7:
	s_or_b64 exec, exec, s[0:1]
	v_or_b32_e32 v10, 0x100, v0
	v_cmp_gt_u32_e32 vcc, s7, v10
	s_and_saveexec_b64 s[0:1], vcc
	s_cbranch_execz .LBB597_9
; %bb.8:
	v_lshlrev_b32_e32 v6, 3, v0
	global_load_dwordx2 v[6:7], v6, s[8:9] offset:2048
.LBB597_9:
	s_or_b64 exec, exec, s[0:1]
	v_or_b32_e32 v11, 0x180, v0
	v_cmp_gt_u32_e32 vcc, s7, v11
	s_and_saveexec_b64 s[0:1], vcc
	s_cbranch_execz .LBB597_11
; %bb.10:
	v_lshlrev_b32_e32 v8, 3, v0
	global_load_dwordx2 v[8:9], v8, s[8:9] offset:3072
.LBB597_11:
	s_or_b64 exec, exec, s[0:1]
	v_lshrrev_b32_e32 v1, 2, v1
	v_lshlrev_b32_e32 v13, 3, v0
	v_and_b32_e32 v1, 56, v1
	v_add_u32_e32 v1, v1, v13
	s_waitcnt vmcnt(0)
	ds_write_b64 v1, v[4:5] offset:1024
	v_lshrrev_b32_e32 v1, 2, v10
	v_and_b32_e32 v1, 0x78, v1
	v_add_u32_e32 v1, v1, v13
	ds_write_b64 v1, v[6:7] offset:2048
	v_lshrrev_b32_e32 v1, 2, v11
	v_and_b32_e32 v12, 24, v18
	v_and_b32_e32 v1, 0x78, v1
	v_add_u32_e32 v12, v12, v13
	v_add_u32_e32 v1, v1, v13
	ds_write_b64 v12, v[2:3]
	ds_write_b64 v1, v[8:9] offset:3072
	s_waitcnt lgkmcnt(0)
	s_barrier
.LBB597_12:
	v_lshlrev_b32_e32 v1, 2, v0
	v_lshrrev_b32_e32 v2, 3, v0
	v_add_lshl_u32 v19, v2, v1, 3
	s_waitcnt lgkmcnt(0)
	ds_read2_b64 v[14:17], v19 offset1:1
	ds_read2_b64 v[10:13], v19 offset0:2 offset1:3
	s_add_u32 s0, s12, s14
	s_addc_u32 s1, s13, s15
	s_add_u32 s0, s0, s16
	s_addc_u32 s1, s1, s17
	s_mov_b64 s[12:13], -1
	s_and_b64 vcc, exec, s[34:35]
	s_waitcnt lgkmcnt(0)
	s_barrier
	s_cbranch_vccz .LBB597_14
; %bb.13:
	v_lshlrev_b32_e32 v20, 3, v0
	global_load_dwordx2 v[2:3], v20, s[0:1]
	global_load_dwordx2 v[4:5], v20, s[0:1] offset:1024
	global_load_dwordx2 v[6:7], v20, s[0:1] offset:2048
	;; [unrolled: 1-line block ×3, first 2 shown]
	v_or_b32_e32 v22, 0x80, v0
	v_or_b32_e32 v23, 0x100, v0
	;; [unrolled: 1-line block ×3, first 2 shown]
	v_and_b32_e32 v21, 24, v18
	v_lshrrev_b32_e32 v22, 2, v22
	v_lshrrev_b32_e32 v23, 2, v23
	v_lshrrev_b32_e32 v24, 2, v24
	v_add_u32_e32 v21, v21, v20
	v_and_b32_e32 v22, 56, v22
	v_and_b32_e32 v23, 0x58, v23
	;; [unrolled: 1-line block ×3, first 2 shown]
	v_add_u32_e32 v22, v22, v20
	v_add_u32_e32 v23, v23, v20
	;; [unrolled: 1-line block ×3, first 2 shown]
	s_mov_b64 s[12:13], 0
	s_waitcnt vmcnt(3)
	ds_write_b64 v21, v[2:3]
	s_waitcnt vmcnt(2)
	ds_write_b64 v22, v[4:5] offset:1024
	s_waitcnt vmcnt(1)
	ds_write_b64 v23, v[6:7] offset:2048
	;; [unrolled: 2-line block ×3, first 2 shown]
	s_waitcnt lgkmcnt(0)
	s_barrier
.LBB597_14:
	s_andn2_b64 vcc, exec, s[12:13]
	s_cbranch_vccnz .LBB597_24
; %bb.15:
	v_cmp_gt_u32_e32 vcc, s7, v0
                                        ; implicit-def: $vgpr2_vgpr3
	s_and_saveexec_b64 s[12:13], vcc
	s_cbranch_execz .LBB597_17
; %bb.16:
	v_lshlrev_b32_e32 v2, 3, v0
	global_load_dwordx2 v[2:3], v2, s[0:1]
.LBB597_17:
	s_or_b64 exec, exec, s[12:13]
	v_or_b32_e32 v20, 0x80, v0
	v_cmp_gt_u32_e32 vcc, s7, v20
                                        ; implicit-def: $vgpr4_vgpr5
	s_and_saveexec_b64 s[12:13], vcc
	s_cbranch_execz .LBB597_19
; %bb.18:
	v_lshlrev_b32_e32 v4, 3, v0
	global_load_dwordx2 v[4:5], v4, s[0:1] offset:1024
.LBB597_19:
	s_or_b64 exec, exec, s[12:13]
	v_or_b32_e32 v21, 0x100, v0
	v_cmp_gt_u32_e32 vcc, s7, v21
                                        ; implicit-def: $vgpr6_vgpr7
	s_and_saveexec_b64 s[12:13], vcc
	s_cbranch_execz .LBB597_21
; %bb.20:
	v_lshlrev_b32_e32 v6, 3, v0
	global_load_dwordx2 v[6:7], v6, s[0:1] offset:2048
.LBB597_21:
	s_or_b64 exec, exec, s[12:13]
	v_or_b32_e32 v22, 0x180, v0
	v_cmp_gt_u32_e32 vcc, s7, v22
                                        ; implicit-def: $vgpr8_vgpr9
	s_and_saveexec_b64 s[12:13], vcc
	s_cbranch_execz .LBB597_23
; %bb.22:
	v_lshlrev_b32_e32 v8, 3, v0
	global_load_dwordx2 v[8:9], v8, s[0:1] offset:3072
.LBB597_23:
	s_or_b64 exec, exec, s[12:13]
	v_and_b32_e32 v18, 24, v18
	v_lshlrev_b32_e32 v23, 3, v0
	v_add_u32_e32 v18, v18, v23
	s_waitcnt vmcnt(0)
	ds_write_b64 v18, v[2:3]
	v_lshrrev_b32_e32 v2, 2, v20
	v_and_b32_e32 v2, 56, v2
	v_add_u32_e32 v2, v2, v23
	ds_write_b64 v2, v[4:5] offset:1024
	v_lshrrev_b32_e32 v2, 2, v21
	v_and_b32_e32 v2, 0x78, v2
	v_add_u32_e32 v2, v2, v23
	ds_write_b64 v2, v[6:7] offset:2048
	;; [unrolled: 4-line block ×3, first 2 shown]
	s_waitcnt lgkmcnt(0)
	s_barrier
.LBB597_24:
	ds_read2_b64 v[6:9], v19 offset1:1
	ds_read2_b64 v[2:5], v19 offset0:2 offset1:3
	s_cmp_lg_u32 s6, 0
	s_cselect_b64 s[16:17], -1, 0
	s_cmp_lg_u64 s[2:3], 0
	s_cselect_b64 s[0:1], -1, 0
	s_or_b64 s[0:1], s[16:17], s[0:1]
	s_mov_b64 s[12:13], 0
	s_and_b64 vcc, exec, s[0:1]
	v_cmp_gt_i64_e64 s[0:1], s[26:27], 0
	s_waitcnt lgkmcnt(0)
	s_barrier
	s_cbranch_vccz .LBB597_33
; %bb.25:
	s_add_u32 s2, s8, -8
	s_addc_u32 s3, s9, -1
	s_load_dwordx2 s[12:13], s[2:3], 0x0
	v_cndmask_b32_e64 v18, 0, 1, s[0:1]
	v_lshlrev_b32_e32 v26, 3, v0
	s_mov_b64 s[14:15], 0
	s_and_b64 vcc, exec, s[34:35]
	v_cmp_ne_u32_e64 s[0:1], 1, v18
	ds_write_b64 v26, v[12:13]
	s_cbranch_vccz .LBB597_34
; %bb.26:
	v_mul_lo_u32 v20, v11, s26
	v_mul_lo_u32 v21, v10, s27
	v_mad_u64_u32 v[18:19], s[2:3], v10, s26, 0
	v_add3_u32 v19, v19, v21, v20
	s_and_b64 vcc, exec, s[0:1]
	v_lshlrev_b64 v[18:19], 3, v[18:19]
	s_cbranch_vccnz .LBB597_37
; %bb.27:
	v_mul_lo_u32 v22, v13, s26
	v_mul_lo_u32 v23, v12, s27
	v_mad_u64_u32 v[20:21], s[2:3], v12, s26, 0
	v_add3_u32 v21, v21, v23, v22
	v_mov_b32_e32 v23, s29
	v_add_co_u32_e32 v22, vcc, s28, v18
	v_addc_co_u32_e64 v23, s[2:3], v23, v19, vcc
	v_lshlrev_b64 v[20:21], 3, v[20:21]
	v_mov_b32_e32 v25, s29
	v_add_co_u32_e64 v24, s[2:3], s28, v20
	v_addc_co_u32_e64 v25, s[8:9], v25, v21, s[2:3]
	global_load_dwordx2 v[28:29], v[22:23], off
	global_load_dwordx2 v[30:31], v[24:25], off
	s_mov_b64 s[14:15], -1
	s_waitcnt vmcnt(0)
	v_cmp_eq_u64_e64 s[8:9], v[28:29], v[30:31]
	s_and_saveexec_b64 s[18:19], s[8:9]
	s_cbranch_execz .LBB597_36
; %bb.28:
	v_mov_b32_e32 v20, s29
	v_addc_co_u32_e64 v21, s[2:3], v21, v20, s[2:3]
	v_add_co_u32_e64 v20, s[2:3], 8, v24
	v_mov_b32_e32 v23, s29
	v_addc_co_u32_e64 v21, s[2:3], 0, v21, s[2:3]
	v_addc_co_u32_e32 v23, vcc, v19, v23, vcc
	v_add_co_u32_e32 v22, vcc, 8, v22
	s_add_u32 s2, s26, -1
	v_addc_co_u32_e32 v23, vcc, 0, v23, vcc
	s_addc_u32 s3, s27, -1
	s_mov_b64 s[8:9], 0
	s_mov_b64 s[36:37], 0
                                        ; implicit-def: $sgpr14_sgpr15
	s_branch .LBB597_31
.LBB597_29:                             ;   in Loop: Header=BB597_31 Depth=1
	global_load_dwordx2 v[24:25], v[22:23], off
	global_load_dwordx2 v[28:29], v[20:21], off
	v_add_co_u32_e32 v20, vcc, 8, v20
	v_addc_co_u32_e32 v21, vcc, 0, v21, vcc
	v_add_co_u32_e32 v22, vcc, 8, v22
	v_addc_co_u32_e32 v23, vcc, 0, v23, vcc
	s_add_u32 s36, s36, 1
	s_addc_u32 s37, s37, 0
	s_andn2_b64 s[14:15], s[14:15], exec
	s_waitcnt vmcnt(0)
	v_cmp_ne_u64_e32 vcc, v[24:25], v[28:29]
	s_and_b64 s[38:39], vcc, exec
	s_or_b64 s[14:15], s[14:15], s[38:39]
.LBB597_30:                             ;   in Loop: Header=BB597_31 Depth=1
	s_and_b64 s[38:39], exec, s[14:15]
	s_or_b64 s[8:9], s[38:39], s[8:9]
	v_pk_mov_b32 v[24:25], s[36:37], s[36:37] op_sel:[0,1]
	s_andn2_b64 exec, exec, s[8:9]
	s_cbranch_execz .LBB597_35
.LBB597_31:                             ; =>This Inner Loop Header: Depth=1
	s_or_b64 s[14:15], s[14:15], exec
	s_cmp_eq_u64 s[2:3], s[36:37]
	s_cbranch_scc0 .LBB597_29
; %bb.32:                               ;   in Loop: Header=BB597_31 Depth=1
                                        ; implicit-def: $vgpr20_vgpr21
                                        ; implicit-def: $vgpr22_vgpr23
	s_mov_b64 s[36:37], s[26:27]
	s_branch .LBB597_30
.LBB597_33:
                                        ; implicit-def: $sgpr18_sgpr19
                                        ; implicit-def: $vgpr28
	s_branch .LBB597_115
.LBB597_34:
                                        ; implicit-def: $sgpr18_sgpr19
                                        ; implicit-def: $vgpr28
	s_cbranch_execnz .LBB597_67
	s_branch .LBB597_114
.LBB597_35:
	s_or_b64 exec, exec, s[8:9]
	v_cmp_gt_i64_e32 vcc, s[26:27], v[24:25]
	s_orn2_b64 s[14:15], vcc, exec
.LBB597_36:
	s_or_b64 exec, exec, s[18:19]
.LBB597_37:
	v_mul_lo_u32 v22, v17, s26
	v_mul_lo_u32 v23, v16, s27
	v_mad_u64_u32 v[20:21], s[2:3], v16, s26, 0
	v_add3_u32 v21, v21, v23, v22
	s_mov_b64 s[18:19], 0
	s_and_b64 vcc, exec, s[0:1]
	v_lshlrev_b64 v[20:21], 3, v[20:21]
	s_mov_b64 s[36:37], 0
	s_cbranch_vccnz .LBB597_46
; %bb.38:
	v_mov_b32_e32 v23, s29
	v_add_co_u32_e32 v22, vcc, s28, v20
	v_addc_co_u32_e64 v23, s[2:3], v23, v21, vcc
	v_mov_b32_e32 v25, s29
	v_add_co_u32_e64 v24, s[2:3], s28, v18
	v_addc_co_u32_e64 v25, s[8:9], v25, v19, s[2:3]
	global_load_dwordx2 v[28:29], v[22:23], off
	global_load_dwordx2 v[30:31], v[24:25], off
	s_mov_b64 s[36:37], -1
	s_waitcnt vmcnt(0)
	v_cmp_eq_u64_e64 s[8:9], v[28:29], v[30:31]
	s_and_saveexec_b64 s[38:39], s[8:9]
	s_cbranch_execz .LBB597_45
; %bb.39:
	v_mov_b32_e32 v18, s29
	v_addc_co_u32_e64 v19, s[2:3], v19, v18, s[2:3]
	v_add_co_u32_e64 v18, s[2:3], 8, v24
	v_mov_b32_e32 v23, s29
	v_addc_co_u32_e64 v19, s[2:3], 0, v19, s[2:3]
	v_addc_co_u32_e32 v23, vcc, v21, v23, vcc
	v_add_co_u32_e32 v22, vcc, 8, v22
	s_add_u32 s2, s26, -1
	v_addc_co_u32_e32 v23, vcc, 0, v23, vcc
	s_addc_u32 s3, s27, -1
	s_mov_b64 s[8:9], 0
	s_mov_b64 s[40:41], 0
                                        ; implicit-def: $sgpr36_sgpr37
	s_branch .LBB597_42
.LBB597_40:                             ;   in Loop: Header=BB597_42 Depth=1
	global_load_dwordx2 v[24:25], v[22:23], off
	global_load_dwordx2 v[28:29], v[18:19], off
	v_add_co_u32_e32 v18, vcc, 8, v18
	v_addc_co_u32_e32 v19, vcc, 0, v19, vcc
	v_add_co_u32_e32 v22, vcc, 8, v22
	v_addc_co_u32_e32 v23, vcc, 0, v23, vcc
	s_add_u32 s40, s40, 1
	s_addc_u32 s41, s41, 0
	s_andn2_b64 s[36:37], s[36:37], exec
	s_waitcnt vmcnt(0)
	v_cmp_ne_u64_e32 vcc, v[24:25], v[28:29]
	s_and_b64 s[42:43], vcc, exec
	s_or_b64 s[36:37], s[36:37], s[42:43]
.LBB597_41:                             ;   in Loop: Header=BB597_42 Depth=1
	s_and_b64 s[42:43], exec, s[36:37]
	s_or_b64 s[8:9], s[42:43], s[8:9]
	v_pk_mov_b32 v[24:25], s[40:41], s[40:41] op_sel:[0,1]
	s_andn2_b64 exec, exec, s[8:9]
	s_cbranch_execz .LBB597_44
.LBB597_42:                             ; =>This Inner Loop Header: Depth=1
	s_or_b64 s[36:37], s[36:37], exec
	s_cmp_eq_u64 s[2:3], s[40:41]
	s_cbranch_scc0 .LBB597_40
; %bb.43:                               ;   in Loop: Header=BB597_42 Depth=1
                                        ; implicit-def: $vgpr18_vgpr19
                                        ; implicit-def: $vgpr22_vgpr23
	s_mov_b64 s[40:41], s[26:27]
	s_branch .LBB597_41
.LBB597_44:
	s_or_b64 exec, exec, s[8:9]
	v_cmp_gt_i64_e32 vcc, s[26:27], v[24:25]
	s_orn2_b64 s[36:37], vcc, exec
.LBB597_45:
	s_or_b64 exec, exec, s[38:39]
.LBB597_46:
	v_mul_lo_u32 v22, v15, s26
	v_mul_lo_u32 v23, v14, s27
	v_mad_u64_u32 v[18:19], s[2:3], v14, s26, 0
	v_add3_u32 v19, v19, v23, v22
	s_and_b64 vcc, exec, s[0:1]
	v_lshlrev_b64 v[18:19], 3, v[18:19]
	s_cbranch_vccnz .LBB597_55
; %bb.47:
	v_mov_b32_e32 v23, s29
	v_add_co_u32_e32 v22, vcc, s28, v18
	v_addc_co_u32_e64 v23, s[2:3], v23, v19, vcc
	v_mov_b32_e32 v25, s29
	v_add_co_u32_e64 v24, s[2:3], s28, v20
	v_addc_co_u32_e64 v25, s[8:9], v25, v21, s[2:3]
	global_load_dwordx2 v[28:29], v[22:23], off
	global_load_dwordx2 v[30:31], v[24:25], off
	s_mov_b64 s[18:19], -1
	s_waitcnt vmcnt(0)
	v_cmp_eq_u64_e64 s[8:9], v[28:29], v[30:31]
	s_and_saveexec_b64 s[38:39], s[8:9]
	s_cbranch_execz .LBB597_54
; %bb.48:
	v_mov_b32_e32 v20, s29
	v_addc_co_u32_e64 v21, s[2:3], v21, v20, s[2:3]
	v_add_co_u32_e64 v20, s[2:3], 8, v24
	v_mov_b32_e32 v23, s29
	v_addc_co_u32_e64 v21, s[2:3], 0, v21, s[2:3]
	v_addc_co_u32_e32 v23, vcc, v19, v23, vcc
	v_add_co_u32_e32 v22, vcc, 8, v22
	s_add_u32 s2, s26, -1
	v_addc_co_u32_e32 v23, vcc, 0, v23, vcc
	s_addc_u32 s3, s27, -1
	s_mov_b64 s[8:9], 0
	s_mov_b64 s[40:41], 0
                                        ; implicit-def: $sgpr18_sgpr19
	s_branch .LBB597_51
.LBB597_49:                             ;   in Loop: Header=BB597_51 Depth=1
	global_load_dwordx2 v[24:25], v[22:23], off
	global_load_dwordx2 v[28:29], v[20:21], off
	v_add_co_u32_e32 v20, vcc, 8, v20
	v_addc_co_u32_e32 v21, vcc, 0, v21, vcc
	v_add_co_u32_e32 v22, vcc, 8, v22
	v_addc_co_u32_e32 v23, vcc, 0, v23, vcc
	s_add_u32 s40, s40, 1
	s_addc_u32 s41, s41, 0
	s_andn2_b64 s[18:19], s[18:19], exec
	s_waitcnt vmcnt(0)
	v_cmp_ne_u64_e32 vcc, v[24:25], v[28:29]
	s_and_b64 s[42:43], vcc, exec
	s_or_b64 s[18:19], s[18:19], s[42:43]
.LBB597_50:                             ;   in Loop: Header=BB597_51 Depth=1
	s_and_b64 s[42:43], exec, s[18:19]
	s_or_b64 s[8:9], s[42:43], s[8:9]
	v_pk_mov_b32 v[24:25], s[40:41], s[40:41] op_sel:[0,1]
	s_andn2_b64 exec, exec, s[8:9]
	s_cbranch_execz .LBB597_53
.LBB597_51:                             ; =>This Inner Loop Header: Depth=1
	s_or_b64 s[18:19], s[18:19], exec
	s_cmp_eq_u64 s[2:3], s[40:41]
	s_cbranch_scc0 .LBB597_49
; %bb.52:                               ;   in Loop: Header=BB597_51 Depth=1
                                        ; implicit-def: $vgpr20_vgpr21
                                        ; implicit-def: $vgpr22_vgpr23
	s_mov_b64 s[40:41], s[26:27]
	s_branch .LBB597_50
.LBB597_53:
	s_or_b64 exec, exec, s[8:9]
	v_cmp_gt_i64_e32 vcc, s[26:27], v[24:25]
	s_orn2_b64 s[18:19], vcc, exec
.LBB597_54:
	s_or_b64 exec, exec, s[38:39]
.LBB597_55:
	v_cmp_ne_u32_e32 vcc, 0, v0
	s_waitcnt lgkmcnt(0)
	v_pk_mov_b32 v[20:21], s[12:13], s[12:13] op_sel:[0,1]
	s_barrier
	s_and_saveexec_b64 s[2:3], vcc
	s_cbranch_execz .LBB597_57
; %bb.56:
	v_add_u32_e32 v20, -8, v26
	ds_read_b64 v[20:21], v20
.LBB597_57:
	s_or_b64 exec, exec, s[2:3]
	v_cndmask_b32_e64 v23, 0, 1, s[14:15]
	v_cndmask_b32_e64 v22, 0, 1, s[36:37]
	;; [unrolled: 1-line block ×3, first 2 shown]
	v_lshlrev_b16_e32 v23, 8, v23
	v_lshlrev_b16_e32 v27, 8, v24
	v_or_b32_sdwa v28, v22, v23 dst_sel:WORD_1 dst_unused:UNUSED_PAD src0_sel:DWORD src1_sel:DWORD
	s_mov_b64 s[14:15], 0
	s_and_b64 vcc, exec, s[0:1]
	s_mov_b64 s[18:19], 0
	s_cbranch_vccnz .LBB597_66
; %bb.58:
	s_waitcnt lgkmcnt(0)
	v_mul_lo_u32 v22, v21, s26
	v_mul_lo_u32 v23, v20, s27
	v_mad_u64_u32 v[20:21], s[2:3], v20, s26, 0
	v_add3_u32 v21, v21, v23, v22
	v_lshlrev_b64 v[20:21], 3, v[20:21]
	v_mov_b32_e32 v23, s29
	v_add_co_u32_e32 v22, vcc, s28, v20
	v_addc_co_u32_e64 v23, s[2:3], v23, v21, vcc
	v_mov_b32_e32 v20, s29
	v_add_co_u32_e64 v24, s[2:3], s28, v18
	v_addc_co_u32_e64 v25, s[8:9], v20, v19, s[2:3]
	global_load_dwordx2 v[30:31], v[22:23], off
	global_load_dwordx2 v[32:33], v[24:25], off
	s_mov_b64 s[18:19], -1
	s_waitcnt vmcnt(0)
	v_cmp_eq_u64_e64 s[8:9], v[30:31], v[32:33]
	s_and_saveexec_b64 s[36:37], s[8:9]
	s_cbranch_execz .LBB597_65
; %bb.59:
	v_mov_b32_e32 v18, s29
	v_addc_co_u32_e64 v19, s[2:3], v19, v18, s[2:3]
	v_add_co_u32_e64 v18, s[2:3], 8, v24
	v_mov_b32_e32 v20, s29
	v_addc_co_u32_e64 v19, s[2:3], 0, v19, s[2:3]
	v_addc_co_u32_e32 v21, vcc, v21, v20, vcc
	v_add_co_u32_e32 v20, vcc, 8, v22
	s_add_u32 s2, s26, -1
	v_addc_co_u32_e32 v21, vcc, 0, v21, vcc
	s_addc_u32 s3, s27, -1
	s_mov_b64 s[8:9], 0
	s_mov_b64 s[38:39], 0
                                        ; implicit-def: $sgpr18_sgpr19
	s_branch .LBB597_62
.LBB597_60:                             ;   in Loop: Header=BB597_62 Depth=1
	global_load_dwordx2 v[22:23], v[20:21], off
	global_load_dwordx2 v[24:25], v[18:19], off
	v_add_co_u32_e32 v18, vcc, 8, v18
	v_addc_co_u32_e32 v19, vcc, 0, v19, vcc
	v_add_co_u32_e32 v20, vcc, 8, v20
	v_addc_co_u32_e32 v21, vcc, 0, v21, vcc
	s_add_u32 s38, s38, 1
	s_addc_u32 s39, s39, 0
	s_andn2_b64 s[18:19], s[18:19], exec
	s_waitcnt vmcnt(0)
	v_cmp_ne_u64_e32 vcc, v[22:23], v[24:25]
	s_and_b64 s[40:41], vcc, exec
	s_or_b64 s[18:19], s[18:19], s[40:41]
.LBB597_61:                             ;   in Loop: Header=BB597_62 Depth=1
	s_and_b64 s[40:41], exec, s[18:19]
	s_or_b64 s[8:9], s[40:41], s[8:9]
	v_pk_mov_b32 v[22:23], s[38:39], s[38:39] op_sel:[0,1]
	s_andn2_b64 exec, exec, s[8:9]
	s_cbranch_execz .LBB597_64
.LBB597_62:                             ; =>This Inner Loop Header: Depth=1
	s_or_b64 s[18:19], s[18:19], exec
	s_cmp_eq_u64 s[2:3], s[38:39]
	s_cbranch_scc0 .LBB597_60
; %bb.63:                               ;   in Loop: Header=BB597_62 Depth=1
                                        ; implicit-def: $vgpr18_vgpr19
                                        ; implicit-def: $vgpr20_vgpr21
	s_mov_b64 s[38:39], s[26:27]
	s_branch .LBB597_61
.LBB597_64:
	s_or_b64 exec, exec, s[8:9]
	v_cmp_gt_i64_e32 vcc, s[26:27], v[22:23]
	s_orn2_b64 s[18:19], vcc, exec
.LBB597_65:
	s_or_b64 exec, exec, s[36:37]
.LBB597_66:
	v_or_b32_e32 v28, v27, v28
	s_and_b64 vcc, exec, s[14:15]
	s_cbranch_vccz .LBB597_114
.LBB597_67:
	v_or_b32_e32 v18, 3, v1
	v_cmp_gt_u32_e32 vcc, s7, v18
	s_mov_b64 s[18:19], 0
	s_mov_b64 s[14:15], 0
	s_and_saveexec_b64 s[36:37], vcc
	s_cbranch_execz .LBB597_78
; %bb.68:
	s_and_b64 vcc, exec, s[0:1]
	s_mov_b64 s[38:39], 0
	s_cbranch_vccnz .LBB597_77
; %bb.69:
	s_waitcnt lgkmcnt(0)
	v_mul_lo_u32 v20, v11, s26
	v_mul_lo_u32 v21, v10, s27
	v_mad_u64_u32 v[18:19], s[2:3], v10, s26, 0
	v_add3_u32 v19, v19, v21, v20
	v_mul_lo_u32 v20, v13, s26
	v_mul_lo_u32 v21, v12, s27
	v_mad_u64_u32 v[24:25], s[2:3], v12, s26, 0
	v_add3_u32 v25, v25, v21, v20
	v_lshlrev_b64 v[20:21], 3, v[18:19]
	v_mov_b32_e32 v18, s29
	v_add_co_u32_e32 v22, vcc, s28, v20
	v_addc_co_u32_e64 v23, s[2:3], v18, v21, vcc
	v_lshlrev_b64 v[18:19], 3, v[24:25]
	v_mov_b32_e32 v20, s29
	v_add_co_u32_e64 v24, s[2:3], s28, v18
	v_addc_co_u32_e64 v25, s[8:9], v20, v19, s[2:3]
	global_load_dwordx2 v[28:29], v[22:23], off
	global_load_dwordx2 v[30:31], v[24:25], off
	s_mov_b64 s[38:39], -1
	s_waitcnt vmcnt(0)
	v_cmp_eq_u64_e64 s[8:9], v[28:29], v[30:31]
	s_and_saveexec_b64 s[14:15], s[8:9]
	s_cbranch_execz .LBB597_76
; %bb.70:
	v_mov_b32_e32 v18, s29
	v_addc_co_u32_e64 v19, s[2:3], v19, v18, s[2:3]
	v_add_co_u32_e64 v18, s[2:3], 8, v24
	v_mov_b32_e32 v20, s29
	v_addc_co_u32_e64 v19, s[2:3], 0, v19, s[2:3]
	v_addc_co_u32_e32 v21, vcc, v21, v20, vcc
	v_add_co_u32_e32 v20, vcc, 8, v22
	s_add_u32 s2, s26, -1
	v_addc_co_u32_e32 v21, vcc, 0, v21, vcc
	s_addc_u32 s3, s27, -1
	s_mov_b64 s[8:9], 0
	s_mov_b64 s[40:41], 0
                                        ; implicit-def: $sgpr38_sgpr39
	s_branch .LBB597_73
.LBB597_71:                             ;   in Loop: Header=BB597_73 Depth=1
	global_load_dwordx2 v[22:23], v[20:21], off
	global_load_dwordx2 v[24:25], v[18:19], off
	v_add_co_u32_e32 v18, vcc, 8, v18
	v_addc_co_u32_e32 v19, vcc, 0, v19, vcc
	v_add_co_u32_e32 v20, vcc, 8, v20
	v_addc_co_u32_e32 v21, vcc, 0, v21, vcc
	s_add_u32 s40, s40, 1
	s_addc_u32 s41, s41, 0
	s_andn2_b64 s[38:39], s[38:39], exec
	s_waitcnt vmcnt(0)
	v_cmp_ne_u64_e32 vcc, v[22:23], v[24:25]
	s_and_b64 s[42:43], vcc, exec
	s_or_b64 s[38:39], s[38:39], s[42:43]
.LBB597_72:                             ;   in Loop: Header=BB597_73 Depth=1
	s_and_b64 s[42:43], exec, s[38:39]
	s_or_b64 s[8:9], s[42:43], s[8:9]
	v_pk_mov_b32 v[22:23], s[40:41], s[40:41] op_sel:[0,1]
	s_andn2_b64 exec, exec, s[8:9]
	s_cbranch_execz .LBB597_75
.LBB597_73:                             ; =>This Inner Loop Header: Depth=1
	s_or_b64 s[38:39], s[38:39], exec
	s_cmp_eq_u64 s[2:3], s[40:41]
	s_cbranch_scc0 .LBB597_71
; %bb.74:                               ;   in Loop: Header=BB597_73 Depth=1
                                        ; implicit-def: $vgpr18_vgpr19
                                        ; implicit-def: $vgpr20_vgpr21
	s_mov_b64 s[40:41], s[26:27]
	s_branch .LBB597_72
.LBB597_75:
	s_or_b64 exec, exec, s[8:9]
	v_cmp_gt_i64_e32 vcc, s[26:27], v[22:23]
	s_orn2_b64 s[38:39], vcc, exec
.LBB597_76:
	s_or_b64 exec, exec, s[14:15]
.LBB597_77:
	s_and_b64 s[14:15], s[38:39], exec
.LBB597_78:
	s_or_b64 exec, exec, s[36:37]
	v_or_b32_e32 v18, 2, v1
	v_cmp_gt_u32_e32 vcc, s7, v18
	s_and_saveexec_b64 s[36:37], vcc
	s_cbranch_execz .LBB597_89
; %bb.79:
	s_and_b64 vcc, exec, s[0:1]
	s_mov_b64 s[38:39], 0
	s_cbranch_vccnz .LBB597_88
; %bb.80:
	s_waitcnt lgkmcnt(0)
	v_mul_lo_u32 v20, v17, s26
	v_mul_lo_u32 v21, v16, s27
	v_mad_u64_u32 v[18:19], s[2:3], v16, s26, 0
	v_add3_u32 v19, v19, v21, v20
	v_mul_lo_u32 v20, v11, s26
	v_mul_lo_u32 v21, v10, s27
	v_mad_u64_u32 v[24:25], s[2:3], v10, s26, 0
	v_add3_u32 v25, v25, v21, v20
	v_lshlrev_b64 v[20:21], 3, v[18:19]
	v_mov_b32_e32 v18, s29
	v_add_co_u32_e32 v22, vcc, s28, v20
	v_addc_co_u32_e64 v23, s[2:3], v18, v21, vcc
	v_lshlrev_b64 v[18:19], 3, v[24:25]
	v_mov_b32_e32 v20, s29
	v_add_co_u32_e64 v24, s[2:3], s28, v18
	v_addc_co_u32_e64 v25, s[8:9], v20, v19, s[2:3]
	global_load_dwordx2 v[28:29], v[22:23], off
	global_load_dwordx2 v[30:31], v[24:25], off
	s_mov_b64 s[38:39], -1
	s_waitcnt vmcnt(0)
	v_cmp_eq_u64_e64 s[8:9], v[28:29], v[30:31]
	s_and_saveexec_b64 s[18:19], s[8:9]
	s_cbranch_execz .LBB597_87
; %bb.81:
	v_mov_b32_e32 v18, s29
	v_addc_co_u32_e64 v19, s[2:3], v19, v18, s[2:3]
	v_add_co_u32_e64 v18, s[2:3], 8, v24
	v_mov_b32_e32 v20, s29
	v_addc_co_u32_e64 v19, s[2:3], 0, v19, s[2:3]
	v_addc_co_u32_e32 v21, vcc, v21, v20, vcc
	v_add_co_u32_e32 v20, vcc, 8, v22
	s_add_u32 s2, s26, -1
	v_addc_co_u32_e32 v21, vcc, 0, v21, vcc
	s_addc_u32 s3, s27, -1
	s_mov_b64 s[8:9], 0
	s_mov_b64 s[40:41], 0
                                        ; implicit-def: $sgpr38_sgpr39
	s_branch .LBB597_84
.LBB597_82:                             ;   in Loop: Header=BB597_84 Depth=1
	global_load_dwordx2 v[22:23], v[20:21], off
	global_load_dwordx2 v[24:25], v[18:19], off
	v_add_co_u32_e32 v18, vcc, 8, v18
	v_addc_co_u32_e32 v19, vcc, 0, v19, vcc
	v_add_co_u32_e32 v20, vcc, 8, v20
	v_addc_co_u32_e32 v21, vcc, 0, v21, vcc
	s_add_u32 s40, s40, 1
	s_addc_u32 s41, s41, 0
	s_andn2_b64 s[38:39], s[38:39], exec
	s_waitcnt vmcnt(0)
	v_cmp_ne_u64_e32 vcc, v[22:23], v[24:25]
	s_and_b64 s[42:43], vcc, exec
	s_or_b64 s[38:39], s[38:39], s[42:43]
.LBB597_83:                             ;   in Loop: Header=BB597_84 Depth=1
	s_and_b64 s[42:43], exec, s[38:39]
	s_or_b64 s[8:9], s[42:43], s[8:9]
	v_pk_mov_b32 v[22:23], s[40:41], s[40:41] op_sel:[0,1]
	s_andn2_b64 exec, exec, s[8:9]
	s_cbranch_execz .LBB597_86
.LBB597_84:                             ; =>This Inner Loop Header: Depth=1
	s_or_b64 s[38:39], s[38:39], exec
	s_cmp_eq_u64 s[2:3], s[40:41]
	s_cbranch_scc0 .LBB597_82
; %bb.85:                               ;   in Loop: Header=BB597_84 Depth=1
                                        ; implicit-def: $vgpr18_vgpr19
                                        ; implicit-def: $vgpr20_vgpr21
	s_mov_b64 s[40:41], s[26:27]
	s_branch .LBB597_83
.LBB597_86:
	s_or_b64 exec, exec, s[8:9]
	v_cmp_gt_i64_e32 vcc, s[26:27], v[22:23]
	s_orn2_b64 s[38:39], vcc, exec
.LBB597_87:
	s_or_b64 exec, exec, s[18:19]
.LBB597_88:
	s_and_b64 s[18:19], s[38:39], exec
.LBB597_89:
	s_or_b64 exec, exec, s[36:37]
	v_or_b32_e32 v18, 1, v1
	v_cmp_gt_u32_e32 vcc, s7, v18
	s_mov_b64 s[2:3], 0
	s_and_saveexec_b64 s[36:37], vcc
	s_cbranch_execz .LBB597_100
; %bb.90:
	s_and_b64 vcc, exec, s[0:1]
	s_mov_b64 s[40:41], 0
	s_cbranch_vccnz .LBB597_99
; %bb.91:
	s_waitcnt lgkmcnt(0)
	v_mul_lo_u32 v20, v15, s26
	v_mul_lo_u32 v21, v14, s27
	v_mad_u64_u32 v[18:19], s[2:3], v14, s26, 0
	v_add3_u32 v19, v19, v21, v20
	v_mul_lo_u32 v20, v17, s26
	v_mul_lo_u32 v21, v16, s27
	v_mad_u64_u32 v[24:25], s[2:3], v16, s26, 0
	v_add3_u32 v25, v25, v21, v20
	v_lshlrev_b64 v[20:21], 3, v[18:19]
	v_mov_b32_e32 v18, s29
	v_add_co_u32_e32 v22, vcc, s28, v20
	v_addc_co_u32_e64 v23, s[2:3], v18, v21, vcc
	v_lshlrev_b64 v[18:19], 3, v[24:25]
	v_mov_b32_e32 v20, s29
	v_add_co_u32_e64 v24, s[2:3], s28, v18
	v_addc_co_u32_e64 v25, s[8:9], v20, v19, s[2:3]
	global_load_dwordx2 v[28:29], v[22:23], off
	global_load_dwordx2 v[30:31], v[24:25], off
	s_mov_b64 s[40:41], -1
	s_waitcnt vmcnt(0)
	v_cmp_eq_u64_e64 s[8:9], v[28:29], v[30:31]
	s_and_saveexec_b64 s[38:39], s[8:9]
	s_cbranch_execz .LBB597_98
; %bb.92:
	v_mov_b32_e32 v18, s29
	v_addc_co_u32_e64 v19, s[2:3], v19, v18, s[2:3]
	v_add_co_u32_e64 v18, s[2:3], 8, v24
	v_mov_b32_e32 v20, s29
	v_addc_co_u32_e64 v19, s[2:3], 0, v19, s[2:3]
	v_addc_co_u32_e32 v21, vcc, v21, v20, vcc
	v_add_co_u32_e32 v20, vcc, 8, v22
	s_add_u32 s2, s26, -1
	v_addc_co_u32_e32 v21, vcc, 0, v21, vcc
	s_addc_u32 s3, s27, -1
	s_mov_b64 s[8:9], 0
	s_mov_b64 s[42:43], 0
                                        ; implicit-def: $sgpr40_sgpr41
	s_branch .LBB597_95
.LBB597_93:                             ;   in Loop: Header=BB597_95 Depth=1
	global_load_dwordx2 v[22:23], v[20:21], off
	global_load_dwordx2 v[24:25], v[18:19], off
	v_add_co_u32_e32 v18, vcc, 8, v18
	v_addc_co_u32_e32 v19, vcc, 0, v19, vcc
	v_add_co_u32_e32 v20, vcc, 8, v20
	v_addc_co_u32_e32 v21, vcc, 0, v21, vcc
	s_add_u32 s42, s42, 1
	s_addc_u32 s43, s43, 0
	s_andn2_b64 s[40:41], s[40:41], exec
	s_waitcnt vmcnt(0)
	v_cmp_ne_u64_e32 vcc, v[22:23], v[24:25]
	s_and_b64 s[44:45], vcc, exec
	s_or_b64 s[40:41], s[40:41], s[44:45]
.LBB597_94:                             ;   in Loop: Header=BB597_95 Depth=1
	s_and_b64 s[44:45], exec, s[40:41]
	s_or_b64 s[8:9], s[44:45], s[8:9]
	v_pk_mov_b32 v[22:23], s[42:43], s[42:43] op_sel:[0,1]
	s_andn2_b64 exec, exec, s[8:9]
	s_cbranch_execz .LBB597_97
.LBB597_95:                             ; =>This Inner Loop Header: Depth=1
	s_or_b64 s[40:41], s[40:41], exec
	s_cmp_eq_u64 s[2:3], s[42:43]
	s_cbranch_scc0 .LBB597_93
; %bb.96:                               ;   in Loop: Header=BB597_95 Depth=1
                                        ; implicit-def: $vgpr18_vgpr19
                                        ; implicit-def: $vgpr20_vgpr21
	s_mov_b64 s[42:43], s[26:27]
	s_branch .LBB597_94
.LBB597_97:
	s_or_b64 exec, exec, s[8:9]
	v_cmp_gt_i64_e32 vcc, s[26:27], v[22:23]
	s_orn2_b64 s[40:41], vcc, exec
.LBB597_98:
	s_or_b64 exec, exec, s[38:39]
.LBB597_99:
	s_and_b64 s[2:3], s[40:41], exec
.LBB597_100:
	s_or_b64 exec, exec, s[36:37]
	v_cmp_ne_u32_e32 vcc, 0, v0
	s_waitcnt lgkmcnt(0)
	v_pk_mov_b32 v[18:19], s[12:13], s[12:13] op_sel:[0,1]
	s_barrier
	s_and_saveexec_b64 s[8:9], vcc
	s_cbranch_execz .LBB597_102
; %bb.101:
	v_add_u32_e32 v18, -8, v26
	ds_read_b64 v[18:19], v18
.LBB597_102:
	s_or_b64 exec, exec, s[8:9]
	v_cndmask_b32_e64 v21, 0, 1, s[14:15]
	v_cndmask_b32_e64 v20, 0, 1, s[18:19]
	v_cndmask_b32_e64 v22, 0, 1, s[2:3]
	v_lshlrev_b16_e32 v21, 8, v21
	v_lshlrev_b16_e32 v26, 8, v22
	v_or_b32_sdwa v27, v20, v21 dst_sel:WORD_1 dst_unused:UNUSED_PAD src0_sel:DWORD src1_sel:DWORD
	v_cmp_gt_u32_e32 vcc, s7, v1
	s_mov_b64 s[18:19], 0
	s_and_saveexec_b64 s[8:9], vcc
	s_cbranch_execz .LBB597_113
; %bb.103:
	s_and_b64 vcc, exec, s[0:1]
	s_mov_b64 s[14:15], 0
	s_cbranch_vccnz .LBB597_112
; %bb.104:
	s_waitcnt lgkmcnt(0)
	v_mul_lo_u32 v20, v19, s26
	v_mul_lo_u32 v21, v18, s27
	v_mad_u64_u32 v[18:19], s[0:1], v18, s26, 0
	v_add3_u32 v19, v19, v21, v20
	v_mul_lo_u32 v20, v15, s26
	v_mul_lo_u32 v21, v14, s27
	v_mad_u64_u32 v[24:25], s[0:1], v14, s26, 0
	v_add3_u32 v25, v25, v21, v20
	v_lshlrev_b64 v[20:21], 3, v[18:19]
	v_mov_b32_e32 v18, s29
	v_add_co_u32_e32 v22, vcc, s28, v20
	v_addc_co_u32_e64 v23, s[0:1], v18, v21, vcc
	v_lshlrev_b64 v[18:19], 3, v[24:25]
	v_mov_b32_e32 v20, s29
	v_add_co_u32_e64 v24, s[0:1], s28, v18
	v_addc_co_u32_e64 v25, s[2:3], v20, v19, s[0:1]
	global_load_dwordx2 v[28:29], v[22:23], off
	global_load_dwordx2 v[30:31], v[24:25], off
	s_mov_b64 s[14:15], -1
	s_waitcnt vmcnt(0)
	v_cmp_eq_u64_e64 s[2:3], v[28:29], v[30:31]
	s_and_saveexec_b64 s[12:13], s[2:3]
	s_cbranch_execz .LBB597_111
; %bb.105:
	v_mov_b32_e32 v18, s29
	v_addc_co_u32_e64 v19, s[0:1], v19, v18, s[0:1]
	v_add_co_u32_e64 v18, s[0:1], 8, v24
	v_mov_b32_e32 v20, s29
	v_addc_co_u32_e64 v19, s[0:1], 0, v19, s[0:1]
	v_addc_co_u32_e32 v21, vcc, v21, v20, vcc
	v_add_co_u32_e32 v20, vcc, 8, v22
	s_add_u32 s0, s26, -1
	v_addc_co_u32_e32 v21, vcc, 0, v21, vcc
	s_addc_u32 s1, s27, -1
	s_mov_b64 s[2:3], 0
                                        ; implicit-def: $sgpr14_sgpr15
	s_branch .LBB597_108
.LBB597_106:                            ;   in Loop: Header=BB597_108 Depth=1
	global_load_dwordx2 v[22:23], v[20:21], off
	global_load_dwordx2 v[24:25], v[18:19], off
	v_add_co_u32_e32 v18, vcc, 8, v18
	v_addc_co_u32_e32 v19, vcc, 0, v19, vcc
	v_add_co_u32_e32 v20, vcc, 8, v20
	v_addc_co_u32_e32 v21, vcc, 0, v21, vcc
	s_add_u32 s18, s18, 1
	s_addc_u32 s19, s19, 0
	s_andn2_b64 s[14:15], s[14:15], exec
	s_waitcnt vmcnt(0)
	v_cmp_ne_u64_e32 vcc, v[22:23], v[24:25]
	s_and_b64 s[36:37], vcc, exec
	s_or_b64 s[14:15], s[14:15], s[36:37]
.LBB597_107:                            ;   in Loop: Header=BB597_108 Depth=1
	s_and_b64 s[36:37], exec, s[14:15]
	s_or_b64 s[2:3], s[36:37], s[2:3]
	v_pk_mov_b32 v[22:23], s[18:19], s[18:19] op_sel:[0,1]
	s_andn2_b64 exec, exec, s[2:3]
	s_cbranch_execz .LBB597_110
.LBB597_108:                            ; =>This Inner Loop Header: Depth=1
	s_or_b64 s[14:15], s[14:15], exec
	s_cmp_eq_u64 s[0:1], s[18:19]
	s_cbranch_scc0 .LBB597_106
; %bb.109:                              ;   in Loop: Header=BB597_108 Depth=1
                                        ; implicit-def: $vgpr18_vgpr19
                                        ; implicit-def: $vgpr20_vgpr21
	s_mov_b64 s[18:19], s[26:27]
	s_branch .LBB597_107
.LBB597_110:
	s_or_b64 exec, exec, s[2:3]
	v_cmp_gt_i64_e32 vcc, s[26:27], v[22:23]
	s_orn2_b64 s[14:15], vcc, exec
.LBB597_111:
	s_or_b64 exec, exec, s[12:13]
.LBB597_112:
	s_and_b64 s[18:19], s[14:15], exec
.LBB597_113:
	s_or_b64 exec, exec, s[8:9]
	v_or_b32_e32 v28, v26, v27
.LBB597_114:
	s_waitcnt lgkmcnt(0)
	s_mov_b64 s[12:13], -1
	s_cbranch_execnz .LBB597_203
.LBB597_115:
	v_lshlrev_b32_e32 v29, 3, v0
	s_mov_b64 s[18:19], 0
	v_cmp_gt_i64_e64 s[14:15], s[26:27], 0
	s_and_b64 vcc, exec, s[34:35]
	ds_write_b64 v29, v[12:13]
	s_cbranch_vccz .LBB597_123
; %bb.116:
	v_mul_lo_u32 v20, v11, s26
	v_mul_lo_u32 v21, v10, s27
	v_mad_u64_u32 v[18:19], s[0:1], v10, s26, 0
	v_add3_u32 v19, v19, v21, v20
	v_cndmask_b32_e64 v20, 0, 1, s[14:15]
	v_cmp_ne_u32_e64 s[0:1], 1, v20
	s_andn2_b64 vcc, exec, s[14:15]
	v_lshlrev_b64 v[18:19], 3, v[18:19]
	s_cbranch_vccnz .LBB597_126
; %bb.117:
	v_mul_lo_u32 v22, v13, s26
	v_mul_lo_u32 v23, v12, s27
	v_mad_u64_u32 v[20:21], s[2:3], v12, s26, 0
	v_add3_u32 v21, v21, v23, v22
	v_mov_b32_e32 v23, s29
	v_add_co_u32_e32 v22, vcc, s28, v18
	v_addc_co_u32_e64 v23, s[2:3], v23, v19, vcc
	v_lshlrev_b64 v[20:21], 3, v[20:21]
	v_mov_b32_e32 v25, s29
	v_add_co_u32_e64 v24, s[2:3], s28, v20
	v_addc_co_u32_e64 v25, s[8:9], v25, v21, s[2:3]
	global_load_dwordx2 v[26:27], v[22:23], off
	global_load_dwordx2 v[30:31], v[24:25], off
	s_mov_b64 s[18:19], -1
	s_waitcnt vmcnt(0)
	v_cmp_eq_u64_e64 s[8:9], v[26:27], v[30:31]
	s_and_saveexec_b64 s[36:37], s[8:9]
	s_cbranch_execz .LBB597_125
; %bb.118:
	v_mov_b32_e32 v20, s29
	v_addc_co_u32_e64 v21, s[2:3], v21, v20, s[2:3]
	v_add_co_u32_e64 v20, s[2:3], 8, v24
	v_mov_b32_e32 v23, s29
	v_addc_co_u32_e64 v21, s[2:3], 0, v21, s[2:3]
	v_addc_co_u32_e32 v23, vcc, v19, v23, vcc
	v_add_co_u32_e32 v22, vcc, 8, v22
	s_add_u32 s2, s26, -1
	v_addc_co_u32_e32 v23, vcc, 0, v23, vcc
	s_addc_u32 s3, s27, -1
	s_mov_b64 s[8:9], 0
	s_mov_b64 s[38:39], 0
                                        ; implicit-def: $sgpr18_sgpr19
	s_branch .LBB597_121
.LBB597_119:                            ;   in Loop: Header=BB597_121 Depth=1
	global_load_dwordx2 v[24:25], v[22:23], off
	global_load_dwordx2 v[26:27], v[20:21], off
	v_add_co_u32_e32 v20, vcc, 8, v20
	v_addc_co_u32_e32 v21, vcc, 0, v21, vcc
	v_add_co_u32_e32 v22, vcc, 8, v22
	v_addc_co_u32_e32 v23, vcc, 0, v23, vcc
	s_add_u32 s38, s38, 1
	s_addc_u32 s39, s39, 0
	s_andn2_b64 s[18:19], s[18:19], exec
	s_waitcnt vmcnt(0)
	v_cmp_ne_u64_e32 vcc, v[24:25], v[26:27]
	s_and_b64 s[40:41], vcc, exec
	s_or_b64 s[18:19], s[18:19], s[40:41]
.LBB597_120:                            ;   in Loop: Header=BB597_121 Depth=1
	s_and_b64 s[40:41], exec, s[18:19]
	s_or_b64 s[8:9], s[40:41], s[8:9]
	v_pk_mov_b32 v[24:25], s[38:39], s[38:39] op_sel:[0,1]
	s_andn2_b64 exec, exec, s[8:9]
	s_cbranch_execz .LBB597_124
.LBB597_121:                            ; =>This Inner Loop Header: Depth=1
	s_or_b64 s[18:19], s[18:19], exec
	s_cmp_eq_u64 s[2:3], s[38:39]
	s_cbranch_scc0 .LBB597_119
; %bb.122:                              ;   in Loop: Header=BB597_121 Depth=1
                                        ; implicit-def: $vgpr20_vgpr21
                                        ; implicit-def: $vgpr22_vgpr23
	s_mov_b64 s[38:39], s[26:27]
	s_branch .LBB597_120
.LBB597_123:
                                        ; implicit-def: $sgpr18_sgpr19
                                        ; implicit-def: $vgpr28
	s_cbranch_execnz .LBB597_156
	s_branch .LBB597_203
.LBB597_124:
	s_or_b64 exec, exec, s[8:9]
	v_cmp_gt_i64_e32 vcc, s[26:27], v[24:25]
	s_orn2_b64 s[18:19], vcc, exec
.LBB597_125:
	s_or_b64 exec, exec, s[36:37]
.LBB597_126:
	v_mul_lo_u32 v22, v17, s26
	v_mul_lo_u32 v23, v16, s27
	v_mad_u64_u32 v[20:21], s[2:3], v16, s26, 0
	v_add3_u32 v21, v21, v23, v22
	s_mov_b64 s[36:37], 0
	s_and_b64 vcc, exec, s[0:1]
	v_lshlrev_b64 v[20:21], 3, v[20:21]
	s_mov_b64 s[38:39], 0
	s_cbranch_vccnz .LBB597_135
; %bb.127:
	v_mov_b32_e32 v23, s29
	v_add_co_u32_e32 v22, vcc, s28, v20
	v_addc_co_u32_e64 v23, s[2:3], v23, v21, vcc
	v_mov_b32_e32 v25, s29
	v_add_co_u32_e64 v24, s[2:3], s28, v18
	v_addc_co_u32_e64 v25, s[8:9], v25, v19, s[2:3]
	global_load_dwordx2 v[26:27], v[22:23], off
	global_load_dwordx2 v[30:31], v[24:25], off
	s_mov_b64 s[38:39], -1
	s_waitcnt vmcnt(0)
	v_cmp_eq_u64_e64 s[8:9], v[26:27], v[30:31]
	s_and_saveexec_b64 s[40:41], s[8:9]
	s_cbranch_execz .LBB597_134
; %bb.128:
	v_mov_b32_e32 v18, s29
	v_addc_co_u32_e64 v19, s[2:3], v19, v18, s[2:3]
	v_add_co_u32_e64 v18, s[2:3], 8, v24
	v_mov_b32_e32 v23, s29
	v_addc_co_u32_e64 v19, s[2:3], 0, v19, s[2:3]
	v_addc_co_u32_e32 v23, vcc, v21, v23, vcc
	v_add_co_u32_e32 v22, vcc, 8, v22
	s_add_u32 s2, s26, -1
	v_addc_co_u32_e32 v23, vcc, 0, v23, vcc
	s_addc_u32 s3, s27, -1
	s_mov_b64 s[8:9], 0
	s_mov_b64 s[42:43], 0
                                        ; implicit-def: $sgpr38_sgpr39
	s_branch .LBB597_131
.LBB597_129:                            ;   in Loop: Header=BB597_131 Depth=1
	global_load_dwordx2 v[24:25], v[22:23], off
	global_load_dwordx2 v[26:27], v[18:19], off
	v_add_co_u32_e32 v18, vcc, 8, v18
	v_addc_co_u32_e32 v19, vcc, 0, v19, vcc
	v_add_co_u32_e32 v22, vcc, 8, v22
	v_addc_co_u32_e32 v23, vcc, 0, v23, vcc
	s_add_u32 s42, s42, 1
	s_addc_u32 s43, s43, 0
	s_andn2_b64 s[38:39], s[38:39], exec
	s_waitcnt vmcnt(0)
	v_cmp_ne_u64_e32 vcc, v[24:25], v[26:27]
	s_and_b64 s[44:45], vcc, exec
	s_or_b64 s[38:39], s[38:39], s[44:45]
.LBB597_130:                            ;   in Loop: Header=BB597_131 Depth=1
	s_and_b64 s[44:45], exec, s[38:39]
	s_or_b64 s[8:9], s[44:45], s[8:9]
	v_pk_mov_b32 v[24:25], s[42:43], s[42:43] op_sel:[0,1]
	s_andn2_b64 exec, exec, s[8:9]
	s_cbranch_execz .LBB597_133
.LBB597_131:                            ; =>This Inner Loop Header: Depth=1
	s_or_b64 s[38:39], s[38:39], exec
	s_cmp_eq_u64 s[2:3], s[42:43]
	s_cbranch_scc0 .LBB597_129
; %bb.132:                              ;   in Loop: Header=BB597_131 Depth=1
                                        ; implicit-def: $vgpr18_vgpr19
                                        ; implicit-def: $vgpr22_vgpr23
	s_mov_b64 s[42:43], s[26:27]
	s_branch .LBB597_130
.LBB597_133:
	s_or_b64 exec, exec, s[8:9]
	v_cmp_gt_i64_e32 vcc, s[26:27], v[24:25]
	s_orn2_b64 s[38:39], vcc, exec
.LBB597_134:
	s_or_b64 exec, exec, s[40:41]
.LBB597_135:
	v_mul_lo_u32 v22, v15, s26
	v_mul_lo_u32 v23, v14, s27
	v_mad_u64_u32 v[18:19], s[2:3], v14, s26, 0
	s_and_b64 vcc, exec, s[0:1]
	v_add3_u32 v19, v19, v23, v22
	s_cbranch_vccnz .LBB597_144
; %bb.136:
	v_lshlrev_b64 v[22:23], 3, v[18:19]
	v_mov_b32_e32 v25, s29
	v_add_co_u32_e32 v24, vcc, s28, v22
	v_addc_co_u32_e64 v25, s[2:3], v25, v23, vcc
	v_mov_b32_e32 v22, s29
	v_add_co_u32_e64 v26, s[2:3], s28, v20
	v_addc_co_u32_e64 v27, s[8:9], v22, v21, s[2:3]
	global_load_dwordx2 v[30:31], v[24:25], off
	global_load_dwordx2 v[32:33], v[26:27], off
	s_mov_b64 s[36:37], -1
	s_waitcnt vmcnt(0)
	v_cmp_eq_u64_e64 s[8:9], v[30:31], v[32:33]
	s_and_saveexec_b64 s[40:41], s[8:9]
	s_cbranch_execz .LBB597_143
; %bb.137:
	v_mov_b32_e32 v20, s29
	v_addc_co_u32_e64 v21, s[2:3], v21, v20, s[2:3]
	v_add_co_u32_e64 v20, s[2:3], 8, v26
	v_mov_b32_e32 v22, s29
	v_addc_co_u32_e64 v21, s[2:3], 0, v21, s[2:3]
	v_addc_co_u32_e32 v23, vcc, v23, v22, vcc
	v_add_co_u32_e32 v22, vcc, 8, v24
	s_add_u32 s2, s26, -1
	v_addc_co_u32_e32 v23, vcc, 0, v23, vcc
	s_addc_u32 s3, s27, -1
	s_mov_b64 s[8:9], 0
	s_mov_b64 s[42:43], 0
                                        ; implicit-def: $sgpr36_sgpr37
	s_branch .LBB597_140
.LBB597_138:                            ;   in Loop: Header=BB597_140 Depth=1
	global_load_dwordx2 v[24:25], v[22:23], off
	global_load_dwordx2 v[26:27], v[20:21], off
	v_add_co_u32_e32 v20, vcc, 8, v20
	v_addc_co_u32_e32 v21, vcc, 0, v21, vcc
	v_add_co_u32_e32 v22, vcc, 8, v22
	v_addc_co_u32_e32 v23, vcc, 0, v23, vcc
	s_add_u32 s42, s42, 1
	s_addc_u32 s43, s43, 0
	s_andn2_b64 s[36:37], s[36:37], exec
	s_waitcnt vmcnt(0)
	v_cmp_ne_u64_e32 vcc, v[24:25], v[26:27]
	s_and_b64 s[44:45], vcc, exec
	s_or_b64 s[36:37], s[36:37], s[44:45]
.LBB597_139:                            ;   in Loop: Header=BB597_140 Depth=1
	s_and_b64 s[44:45], exec, s[36:37]
	s_or_b64 s[8:9], s[44:45], s[8:9]
	v_pk_mov_b32 v[24:25], s[42:43], s[42:43] op_sel:[0,1]
	s_andn2_b64 exec, exec, s[8:9]
	s_cbranch_execz .LBB597_142
.LBB597_140:                            ; =>This Inner Loop Header: Depth=1
	s_or_b64 s[36:37], s[36:37], exec
	s_cmp_eq_u64 s[2:3], s[42:43]
	s_cbranch_scc0 .LBB597_138
; %bb.141:                              ;   in Loop: Header=BB597_140 Depth=1
                                        ; implicit-def: $vgpr20_vgpr21
                                        ; implicit-def: $vgpr22_vgpr23
	s_mov_b64 s[42:43], s[26:27]
	s_branch .LBB597_139
.LBB597_142:
	s_or_b64 exec, exec, s[8:9]
	v_cmp_gt_i64_e32 vcc, s[26:27], v[24:25]
	s_orn2_b64 s[36:37], vcc, exec
.LBB597_143:
	s_or_b64 exec, exec, s[40:41]
.LBB597_144:
	v_cndmask_b32_e64 v21, 0, 1, s[18:19]
	v_cndmask_b32_e64 v22, 0, 1, s[36:37]
	;; [unrolled: 1-line block ×3, first 2 shown]
	v_lshlrev_b16_e32 v22, 8, v22
	v_lshlrev_b16_e32 v21, 8, v21
	v_or_b32_e32 v22, 1, v22
	v_or_b32_sdwa v20, v20, v21 dst_sel:WORD_1 dst_unused:UNUSED_PAD src0_sel:DWORD src1_sel:DWORD
	v_or_b32_sdwa v28, v22, v20 dst_sel:DWORD dst_unused:UNUSED_PAD src0_sel:WORD_0 src1_sel:DWORD
	v_cmp_ne_u32_e32 vcc, 0, v0
	s_waitcnt lgkmcnt(0)
	s_barrier
	s_waitcnt lgkmcnt(0)
                                        ; implicit-def: $sgpr18_sgpr19
	s_and_saveexec_b64 s[2:3], vcc
	s_xor_b64 s[8:9], exec, s[2:3]
	s_cbranch_execz .LBB597_155
; %bb.145:
	s_and_b64 vcc, exec, s[0:1]
	s_mov_b64 s[36:37], 0
	s_cbranch_vccnz .LBB597_154
; %bb.146:
	v_add_u32_e32 v20, -8, v29
	ds_read_b64 v[20:21], v20
	v_mov_b32_e32 v23, s29
	v_lshlrev_b64 v[18:19], 3, v[18:19]
	s_mov_b64 s[36:37], -1
	s_waitcnt lgkmcnt(0)
	v_mul_lo_u32 v22, v21, s26
	v_mul_lo_u32 v24, v20, s27
	v_mad_u64_u32 v[20:21], s[0:1], v20, s26, 0
	v_add3_u32 v21, v21, v24, v22
	v_lshlrev_b64 v[20:21], 3, v[20:21]
	v_add_co_u32_e32 v22, vcc, s28, v20
	v_addc_co_u32_e64 v23, s[0:1], v23, v21, vcc
	v_mov_b32_e32 v20, s29
	v_add_co_u32_e64 v24, s[0:1], s28, v18
	v_addc_co_u32_e64 v25, s[2:3], v20, v19, s[0:1]
	global_load_dwordx2 v[26:27], v[22:23], off
	global_load_dwordx2 v[30:31], v[24:25], off
	s_waitcnt vmcnt(0)
	v_cmp_eq_u64_e64 s[2:3], v[26:27], v[30:31]
	s_and_saveexec_b64 s[18:19], s[2:3]
	s_cbranch_execz .LBB597_153
; %bb.147:
	v_mov_b32_e32 v18, s29
	v_addc_co_u32_e64 v19, s[0:1], v19, v18, s[0:1]
	v_add_co_u32_e64 v18, s[0:1], 8, v24
	v_mov_b32_e32 v20, s29
	v_addc_co_u32_e64 v19, s[0:1], 0, v19, s[0:1]
	v_addc_co_u32_e32 v21, vcc, v21, v20, vcc
	v_add_co_u32_e32 v20, vcc, 8, v22
	s_add_u32 s0, s26, -1
	v_addc_co_u32_e32 v21, vcc, 0, v21, vcc
	s_addc_u32 s1, s27, -1
	s_mov_b64 s[2:3], 0
	s_mov_b64 s[38:39], 0
                                        ; implicit-def: $sgpr36_sgpr37
	s_branch .LBB597_150
.LBB597_148:                            ;   in Loop: Header=BB597_150 Depth=1
	global_load_dwordx2 v[22:23], v[20:21], off
	global_load_dwordx2 v[24:25], v[18:19], off
	v_add_co_u32_e32 v18, vcc, 8, v18
	v_addc_co_u32_e32 v19, vcc, 0, v19, vcc
	v_add_co_u32_e32 v20, vcc, 8, v20
	v_addc_co_u32_e32 v21, vcc, 0, v21, vcc
	s_add_u32 s38, s38, 1
	s_addc_u32 s39, s39, 0
	s_andn2_b64 s[36:37], s[36:37], exec
	s_waitcnt vmcnt(0)
	v_cmp_ne_u64_e32 vcc, v[22:23], v[24:25]
	s_and_b64 s[40:41], vcc, exec
	s_or_b64 s[36:37], s[36:37], s[40:41]
.LBB597_149:                            ;   in Loop: Header=BB597_150 Depth=1
	s_and_b64 s[40:41], exec, s[36:37]
	s_or_b64 s[2:3], s[40:41], s[2:3]
	v_pk_mov_b32 v[22:23], s[38:39], s[38:39] op_sel:[0,1]
	s_andn2_b64 exec, exec, s[2:3]
	s_cbranch_execz .LBB597_152
.LBB597_150:                            ; =>This Inner Loop Header: Depth=1
	s_or_b64 s[36:37], s[36:37], exec
	s_cmp_eq_u64 s[0:1], s[38:39]
	s_cbranch_scc0 .LBB597_148
; %bb.151:                              ;   in Loop: Header=BB597_150 Depth=1
                                        ; implicit-def: $vgpr18_vgpr19
                                        ; implicit-def: $vgpr20_vgpr21
	s_mov_b64 s[38:39], s[26:27]
	s_branch .LBB597_149
.LBB597_152:
	s_or_b64 exec, exec, s[2:3]
	v_cmp_gt_i64_e32 vcc, s[26:27], v[22:23]
	s_orn2_b64 s[36:37], vcc, exec
.LBB597_153:
	s_or_b64 exec, exec, s[18:19]
.LBB597_154:
	s_and_b64 s[18:19], s[36:37], exec
	s_or_b64 s[12:13], s[12:13], exec
.LBB597_155:
	s_or_b64 exec, exec, s[8:9]
	s_branch .LBB597_203
.LBB597_156:
	v_or_b32_e32 v18, 3, v1
	v_cmp_gt_u32_e32 vcc, s7, v18
	s_mov_b64 s[18:19], 0
	s_mov_b64 s[8:9], 0
	s_and_saveexec_b64 s[36:37], vcc
	s_cbranch_execz .LBB597_167
; %bb.157:
	s_andn2_b64 vcc, exec, s[14:15]
	s_mov_b64 s[38:39], 0
	s_cbranch_vccnz .LBB597_166
; %bb.158:
	v_mul_lo_u32 v20, v11, s26
	v_mul_lo_u32 v21, v10, s27
	v_mad_u64_u32 v[18:19], s[0:1], v10, s26, 0
	v_add3_u32 v19, v19, v21, v20
	v_mul_lo_u32 v20, v13, s26
	v_mul_lo_u32 v21, v12, s27
	v_mad_u64_u32 v[24:25], s[0:1], v12, s26, 0
	v_add3_u32 v25, v25, v21, v20
	v_lshlrev_b64 v[20:21], 3, v[18:19]
	v_mov_b32_e32 v18, s29
	v_add_co_u32_e32 v22, vcc, s28, v20
	v_addc_co_u32_e64 v23, s[0:1], v18, v21, vcc
	v_lshlrev_b64 v[18:19], 3, v[24:25]
	v_mov_b32_e32 v20, s29
	v_add_co_u32_e64 v24, s[0:1], s28, v18
	v_addc_co_u32_e64 v25, s[2:3], v20, v19, s[0:1]
	global_load_dwordx2 v[26:27], v[22:23], off
	global_load_dwordx2 v[30:31], v[24:25], off
	s_mov_b64 s[38:39], -1
	s_waitcnt vmcnt(0)
	v_cmp_eq_u64_e64 s[2:3], v[26:27], v[30:31]
	s_and_saveexec_b64 s[8:9], s[2:3]
	s_cbranch_execz .LBB597_165
; %bb.159:
	v_mov_b32_e32 v18, s29
	v_addc_co_u32_e64 v19, s[0:1], v19, v18, s[0:1]
	v_add_co_u32_e64 v18, s[0:1], 8, v24
	v_mov_b32_e32 v20, s29
	v_addc_co_u32_e64 v19, s[0:1], 0, v19, s[0:1]
	v_addc_co_u32_e32 v21, vcc, v21, v20, vcc
	v_add_co_u32_e32 v20, vcc, 8, v22
	s_add_u32 s0, s26, -1
	v_addc_co_u32_e32 v21, vcc, 0, v21, vcc
	s_addc_u32 s1, s27, -1
	s_mov_b64 s[2:3], 0
	s_mov_b64 s[40:41], 0
                                        ; implicit-def: $sgpr38_sgpr39
	s_branch .LBB597_162
.LBB597_160:                            ;   in Loop: Header=BB597_162 Depth=1
	global_load_dwordx2 v[22:23], v[20:21], off
	global_load_dwordx2 v[24:25], v[18:19], off
	v_add_co_u32_e32 v18, vcc, 8, v18
	v_addc_co_u32_e32 v19, vcc, 0, v19, vcc
	v_add_co_u32_e32 v20, vcc, 8, v20
	v_addc_co_u32_e32 v21, vcc, 0, v21, vcc
	s_add_u32 s40, s40, 1
	s_addc_u32 s41, s41, 0
	s_andn2_b64 s[38:39], s[38:39], exec
	s_waitcnt vmcnt(0)
	v_cmp_ne_u64_e32 vcc, v[22:23], v[24:25]
	s_and_b64 s[42:43], vcc, exec
	s_or_b64 s[38:39], s[38:39], s[42:43]
.LBB597_161:                            ;   in Loop: Header=BB597_162 Depth=1
	s_and_b64 s[42:43], exec, s[38:39]
	s_or_b64 s[2:3], s[42:43], s[2:3]
	v_pk_mov_b32 v[22:23], s[40:41], s[40:41] op_sel:[0,1]
	s_andn2_b64 exec, exec, s[2:3]
	s_cbranch_execz .LBB597_164
.LBB597_162:                            ; =>This Inner Loop Header: Depth=1
	s_or_b64 s[38:39], s[38:39], exec
	s_cmp_eq_u64 s[0:1], s[40:41]
	s_cbranch_scc0 .LBB597_160
; %bb.163:                              ;   in Loop: Header=BB597_162 Depth=1
                                        ; implicit-def: $vgpr18_vgpr19
                                        ; implicit-def: $vgpr20_vgpr21
	s_mov_b64 s[40:41], s[26:27]
	s_branch .LBB597_161
.LBB597_164:
	s_or_b64 exec, exec, s[2:3]
	v_cmp_gt_i64_e32 vcc, s[26:27], v[22:23]
	s_orn2_b64 s[38:39], vcc, exec
.LBB597_165:
	s_or_b64 exec, exec, s[8:9]
.LBB597_166:
	s_and_b64 s[8:9], s[38:39], exec
.LBB597_167:
	s_or_b64 exec, exec, s[36:37]
	v_or_b32_e32 v18, 2, v1
	v_cmp_gt_u32_e32 vcc, s7, v18
	s_and_saveexec_b64 s[36:37], vcc
	s_cbranch_execz .LBB597_178
; %bb.168:
	s_andn2_b64 vcc, exec, s[14:15]
	s_mov_b64 s[38:39], 0
	s_cbranch_vccnz .LBB597_177
; %bb.169:
	v_mul_lo_u32 v20, v17, s26
	v_mul_lo_u32 v21, v16, s27
	v_mad_u64_u32 v[18:19], s[0:1], v16, s26, 0
	v_add3_u32 v19, v19, v21, v20
	v_mul_lo_u32 v20, v11, s26
	v_mul_lo_u32 v21, v10, s27
	v_mad_u64_u32 v[24:25], s[0:1], v10, s26, 0
	v_add3_u32 v25, v25, v21, v20
	v_lshlrev_b64 v[20:21], 3, v[18:19]
	v_mov_b32_e32 v18, s29
	v_add_co_u32_e32 v22, vcc, s28, v20
	v_addc_co_u32_e64 v23, s[0:1], v18, v21, vcc
	v_lshlrev_b64 v[18:19], 3, v[24:25]
	v_mov_b32_e32 v20, s29
	v_add_co_u32_e64 v24, s[0:1], s28, v18
	v_addc_co_u32_e64 v25, s[2:3], v20, v19, s[0:1]
	global_load_dwordx2 v[26:27], v[22:23], off
	global_load_dwordx2 v[30:31], v[24:25], off
	s_mov_b64 s[38:39], -1
	s_waitcnt vmcnt(0)
	v_cmp_eq_u64_e64 s[2:3], v[26:27], v[30:31]
	s_and_saveexec_b64 s[18:19], s[2:3]
	s_cbranch_execz .LBB597_176
; %bb.170:
	v_mov_b32_e32 v18, s29
	v_addc_co_u32_e64 v19, s[0:1], v19, v18, s[0:1]
	v_add_co_u32_e64 v18, s[0:1], 8, v24
	v_mov_b32_e32 v20, s29
	v_addc_co_u32_e64 v19, s[0:1], 0, v19, s[0:1]
	v_addc_co_u32_e32 v21, vcc, v21, v20, vcc
	v_add_co_u32_e32 v20, vcc, 8, v22
	s_add_u32 s0, s26, -1
	v_addc_co_u32_e32 v21, vcc, 0, v21, vcc
	s_addc_u32 s1, s27, -1
	s_mov_b64 s[2:3], 0
	s_mov_b64 s[40:41], 0
                                        ; implicit-def: $sgpr38_sgpr39
	s_branch .LBB597_173
.LBB597_171:                            ;   in Loop: Header=BB597_173 Depth=1
	global_load_dwordx2 v[22:23], v[20:21], off
	global_load_dwordx2 v[24:25], v[18:19], off
	v_add_co_u32_e32 v18, vcc, 8, v18
	v_addc_co_u32_e32 v19, vcc, 0, v19, vcc
	v_add_co_u32_e32 v20, vcc, 8, v20
	v_addc_co_u32_e32 v21, vcc, 0, v21, vcc
	s_add_u32 s40, s40, 1
	s_addc_u32 s41, s41, 0
	s_andn2_b64 s[38:39], s[38:39], exec
	s_waitcnt vmcnt(0)
	v_cmp_ne_u64_e32 vcc, v[22:23], v[24:25]
	s_and_b64 s[42:43], vcc, exec
	s_or_b64 s[38:39], s[38:39], s[42:43]
.LBB597_172:                            ;   in Loop: Header=BB597_173 Depth=1
	s_and_b64 s[42:43], exec, s[38:39]
	s_or_b64 s[2:3], s[42:43], s[2:3]
	v_pk_mov_b32 v[22:23], s[40:41], s[40:41] op_sel:[0,1]
	s_andn2_b64 exec, exec, s[2:3]
	s_cbranch_execz .LBB597_175
.LBB597_173:                            ; =>This Inner Loop Header: Depth=1
	s_or_b64 s[38:39], s[38:39], exec
	s_cmp_eq_u64 s[0:1], s[40:41]
	s_cbranch_scc0 .LBB597_171
; %bb.174:                              ;   in Loop: Header=BB597_173 Depth=1
                                        ; implicit-def: $vgpr18_vgpr19
                                        ; implicit-def: $vgpr20_vgpr21
	s_mov_b64 s[40:41], s[26:27]
	s_branch .LBB597_172
.LBB597_175:
	s_or_b64 exec, exec, s[2:3]
	v_cmp_gt_i64_e32 vcc, s[26:27], v[22:23]
	s_orn2_b64 s[38:39], vcc, exec
.LBB597_176:
	s_or_b64 exec, exec, s[18:19]
.LBB597_177:
	s_and_b64 s[18:19], s[38:39], exec
.LBB597_178:
	s_or_b64 exec, exec, s[36:37]
	v_or_b32_e32 v18, 1, v1
	v_cmp_gt_u32_e32 vcc, s7, v18
	s_mov_b64 s[0:1], 0
	s_and_saveexec_b64 s[36:37], vcc
	s_cbranch_execz .LBB597_189
; %bb.179:
	s_andn2_b64 vcc, exec, s[14:15]
	s_mov_b64 s[40:41], 0
	s_cbranch_vccnz .LBB597_188
; %bb.180:
	v_mul_lo_u32 v20, v15, s26
	v_mul_lo_u32 v21, v14, s27
	v_mad_u64_u32 v[18:19], s[0:1], v14, s26, 0
	v_add3_u32 v19, v19, v21, v20
	v_mul_lo_u32 v20, v17, s26
	v_mul_lo_u32 v21, v16, s27
	v_mad_u64_u32 v[24:25], s[0:1], v16, s26, 0
	v_add3_u32 v25, v25, v21, v20
	v_lshlrev_b64 v[20:21], 3, v[18:19]
	v_mov_b32_e32 v18, s29
	v_add_co_u32_e32 v22, vcc, s28, v20
	v_addc_co_u32_e64 v23, s[0:1], v18, v21, vcc
	v_lshlrev_b64 v[18:19], 3, v[24:25]
	v_mov_b32_e32 v20, s29
	v_add_co_u32_e64 v24, s[0:1], s28, v18
	v_addc_co_u32_e64 v25, s[2:3], v20, v19, s[0:1]
	global_load_dwordx2 v[26:27], v[22:23], off
	global_load_dwordx2 v[30:31], v[24:25], off
	s_mov_b64 s[40:41], -1
	s_waitcnt vmcnt(0)
	v_cmp_eq_u64_e64 s[2:3], v[26:27], v[30:31]
	s_and_saveexec_b64 s[38:39], s[2:3]
	s_cbranch_execz .LBB597_187
; %bb.181:
	v_mov_b32_e32 v18, s29
	v_addc_co_u32_e64 v19, s[0:1], v19, v18, s[0:1]
	v_add_co_u32_e64 v18, s[0:1], 8, v24
	v_mov_b32_e32 v20, s29
	v_addc_co_u32_e64 v19, s[0:1], 0, v19, s[0:1]
	v_addc_co_u32_e32 v21, vcc, v21, v20, vcc
	v_add_co_u32_e32 v20, vcc, 8, v22
	s_add_u32 s0, s26, -1
	v_addc_co_u32_e32 v21, vcc, 0, v21, vcc
	s_addc_u32 s1, s27, -1
	s_mov_b64 s[2:3], 0
	s_mov_b64 s[42:43], 0
                                        ; implicit-def: $sgpr40_sgpr41
	s_branch .LBB597_184
.LBB597_182:                            ;   in Loop: Header=BB597_184 Depth=1
	global_load_dwordx2 v[22:23], v[20:21], off
	global_load_dwordx2 v[24:25], v[18:19], off
	v_add_co_u32_e32 v18, vcc, 8, v18
	v_addc_co_u32_e32 v19, vcc, 0, v19, vcc
	v_add_co_u32_e32 v20, vcc, 8, v20
	v_addc_co_u32_e32 v21, vcc, 0, v21, vcc
	s_add_u32 s42, s42, 1
	s_addc_u32 s43, s43, 0
	s_andn2_b64 s[40:41], s[40:41], exec
	s_waitcnt vmcnt(0)
	v_cmp_ne_u64_e32 vcc, v[22:23], v[24:25]
	s_and_b64 s[44:45], vcc, exec
	s_or_b64 s[40:41], s[40:41], s[44:45]
.LBB597_183:                            ;   in Loop: Header=BB597_184 Depth=1
	s_and_b64 s[44:45], exec, s[40:41]
	s_or_b64 s[2:3], s[44:45], s[2:3]
	v_pk_mov_b32 v[22:23], s[42:43], s[42:43] op_sel:[0,1]
	s_andn2_b64 exec, exec, s[2:3]
	s_cbranch_execz .LBB597_186
.LBB597_184:                            ; =>This Inner Loop Header: Depth=1
	s_or_b64 s[40:41], s[40:41], exec
	s_cmp_eq_u64 s[0:1], s[42:43]
	s_cbranch_scc0 .LBB597_182
; %bb.185:                              ;   in Loop: Header=BB597_184 Depth=1
                                        ; implicit-def: $vgpr18_vgpr19
                                        ; implicit-def: $vgpr20_vgpr21
	s_mov_b64 s[42:43], s[26:27]
	s_branch .LBB597_183
.LBB597_186:
	s_or_b64 exec, exec, s[2:3]
	v_cmp_gt_i64_e32 vcc, s[26:27], v[22:23]
	s_orn2_b64 s[40:41], vcc, exec
.LBB597_187:
	s_or_b64 exec, exec, s[38:39]
.LBB597_188:
	s_and_b64 s[0:1], s[40:41], exec
.LBB597_189:
	s_or_b64 exec, exec, s[36:37]
	v_cndmask_b32_e64 v19, 0, 1, s[8:9]
	v_cndmask_b32_e64 v20, 0, 1, s[0:1]
	;; [unrolled: 1-line block ×3, first 2 shown]
	v_lshlrev_b16_e32 v20, 8, v20
	v_lshlrev_b16_e32 v19, 8, v19
	v_or_b32_e32 v20, 1, v20
	v_or_b32_sdwa v18, v18, v19 dst_sel:WORD_1 dst_unused:UNUSED_PAD src0_sel:DWORD src1_sel:DWORD
	v_or_b32_sdwa v28, v20, v18 dst_sel:DWORD dst_unused:UNUSED_PAD src0_sel:WORD_0 src1_sel:DWORD
	v_cmp_ne_u32_e32 vcc, 0, v0
	s_waitcnt lgkmcnt(0)
	s_barrier
	s_waitcnt lgkmcnt(0)
                                        ; implicit-def: $sgpr18_sgpr19
	s_and_saveexec_b64 s[8:9], vcc
	s_cbranch_execz .LBB597_202
; %bb.190:
	v_cmp_gt_u32_e32 vcc, s7, v1
	s_mov_b64 s[0:1], 0
	s_and_saveexec_b64 s[18:19], vcc
	s_cbranch_execz .LBB597_201
; %bb.191:
	s_andn2_b64 vcc, exec, s[14:15]
	s_mov_b64 s[36:37], 0
	s_cbranch_vccnz .LBB597_200
; %bb.192:
	v_add_u32_e32 v18, -8, v29
	ds_read_b64 v[18:19], v18
	v_mul_lo_u32 v20, v15, s26
	v_mad_u64_u32 v[24:25], s[0:1], v14, s26, 0
	s_mov_b64 s[36:37], -1
	s_waitcnt lgkmcnt(0)
	v_mul_lo_u32 v21, v19, s26
	v_mul_lo_u32 v22, v18, s27
	v_mad_u64_u32 v[18:19], s[0:1], v18, s26, 0
	v_add3_u32 v19, v19, v22, v21
	v_mul_lo_u32 v21, v14, s27
	v_add3_u32 v25, v25, v21, v20
	v_lshlrev_b64 v[20:21], 3, v[18:19]
	v_mov_b32_e32 v18, s29
	v_add_co_u32_e32 v22, vcc, s28, v20
	v_addc_co_u32_e64 v23, s[0:1], v18, v21, vcc
	v_lshlrev_b64 v[18:19], 3, v[24:25]
	v_mov_b32_e32 v20, s29
	v_add_co_u32_e64 v24, s[0:1], s28, v18
	v_addc_co_u32_e64 v25, s[2:3], v20, v19, s[0:1]
	global_load_dwordx2 v[26:27], v[22:23], off
	global_load_dwordx2 v[30:31], v[24:25], off
	s_waitcnt vmcnt(0)
	v_cmp_eq_u64_e64 s[2:3], v[26:27], v[30:31]
	s_and_saveexec_b64 s[14:15], s[2:3]
	s_cbranch_execz .LBB597_199
; %bb.193:
	v_mov_b32_e32 v18, s29
	v_addc_co_u32_e64 v19, s[0:1], v19, v18, s[0:1]
	v_add_co_u32_e64 v18, s[0:1], 8, v24
	v_mov_b32_e32 v20, s29
	v_addc_co_u32_e64 v19, s[0:1], 0, v19, s[0:1]
	v_addc_co_u32_e32 v21, vcc, v21, v20, vcc
	v_add_co_u32_e32 v20, vcc, 8, v22
	s_add_u32 s0, s26, -1
	v_addc_co_u32_e32 v21, vcc, 0, v21, vcc
	s_addc_u32 s1, s27, -1
	s_mov_b64 s[2:3], 0
	s_mov_b64 s[36:37], 0
                                        ; implicit-def: $sgpr28_sgpr29
	s_branch .LBB597_196
.LBB597_194:                            ;   in Loop: Header=BB597_196 Depth=1
	global_load_dwordx2 v[22:23], v[20:21], off
	global_load_dwordx2 v[24:25], v[18:19], off
	v_add_co_u32_e32 v18, vcc, 8, v18
	v_addc_co_u32_e32 v19, vcc, 0, v19, vcc
	v_add_co_u32_e32 v20, vcc, 8, v20
	v_addc_co_u32_e32 v21, vcc, 0, v21, vcc
	s_add_u32 s36, s36, 1
	s_addc_u32 s37, s37, 0
	s_andn2_b64 s[28:29], s[28:29], exec
	s_waitcnt vmcnt(0)
	v_cmp_ne_u64_e32 vcc, v[22:23], v[24:25]
	s_and_b64 s[38:39], vcc, exec
	s_or_b64 s[28:29], s[28:29], s[38:39]
.LBB597_195:                            ;   in Loop: Header=BB597_196 Depth=1
	s_and_b64 s[38:39], exec, s[28:29]
	s_or_b64 s[2:3], s[38:39], s[2:3]
	v_pk_mov_b32 v[22:23], s[36:37], s[36:37] op_sel:[0,1]
	s_andn2_b64 exec, exec, s[2:3]
	s_cbranch_execz .LBB597_198
.LBB597_196:                            ; =>This Inner Loop Header: Depth=1
	s_or_b64 s[28:29], s[28:29], exec
	s_cmp_eq_u64 s[0:1], s[36:37]
	s_cbranch_scc0 .LBB597_194
; %bb.197:                              ;   in Loop: Header=BB597_196 Depth=1
                                        ; implicit-def: $vgpr18_vgpr19
                                        ; implicit-def: $vgpr20_vgpr21
	s_mov_b64 s[36:37], s[26:27]
	s_branch .LBB597_195
.LBB597_198:
	s_or_b64 exec, exec, s[2:3]
	v_cmp_gt_i64_e32 vcc, s[26:27], v[22:23]
	s_orn2_b64 s[36:37], vcc, exec
.LBB597_199:
	s_or_b64 exec, exec, s[14:15]
.LBB597_200:
	s_and_b64 s[0:1], s[36:37], exec
.LBB597_201:
	s_or_b64 exec, exec, s[18:19]
	s_and_b64 s[18:19], s[0:1], exec
	s_or_b64 s[12:13], s[12:13], exec
.LBB597_202:
	s_or_b64 exec, exec, s[8:9]
.LBB597_203:
	s_and_saveexec_b64 s[0:1], s[12:13]
; %bb.204:
	v_and_b32_e32 v18, 0xffffff00, v28
	v_cndmask_b32_e64 v19, 0, 1, s[18:19]
	v_or_b32_e32 v18, v19, v18
	v_and_b32_e32 v18, 0xffff, v18
	s_mov_b32 s2, 0xffff0000
	v_and_or_b32 v28, v28, s2, v18
; %bb.205:
	s_or_b64 exec, exec, s[0:1]
	s_andn2_b64 vcc, exec, s[10:11]
	s_cbranch_vccnz .LBB597_207
; %bb.206:
	v_cmp_gt_u32_e32 vcc, s7, v1
	v_cndmask_b32_e32 v18, 0, v28, vcc
	v_or_b32_e32 v19, 1, v1
	v_and_b32_e32 v18, 0xff, v18
	v_cmp_gt_u32_e32 vcc, s7, v19
	v_cndmask_b32_e32 v18, v18, v28, vcc
	v_or_b32_e32 v19, 2, v1
	v_and_b32_e32 v18, 0xffff, v18
	;; [unrolled: 4-line block ×3, first 2 shown]
	v_cmp_gt_u32_e32 vcc, s7, v19
	v_cndmask_b32_e32 v28, v18, v28, vcc
.LBB597_207:
	v_bfe_u32 v30, v28, 16, 8
	v_lshrrev_b32_e32 v29, 24, v28
	v_add_u32_sdwa v18, v28, v28 dst_sel:DWORD dst_unused:UNUSED_PAD src0_sel:BYTE_1 src1_sel:BYTE_0
	v_add3_u32 v33, v18, v30, v29
	v_mbcnt_lo_u32_b32 v18, -1, 0
	v_mbcnt_hi_u32_b32 v31, -1, v18
	v_and_b32_e32 v18, 15, v31
	v_cmp_eq_u32_e64 s[14:15], 0, v18
	v_cmp_lt_u32_e64 s[12:13], 1, v18
	v_cmp_lt_u32_e64 s[10:11], 3, v18
	;; [unrolled: 1-line block ×3, first 2 shown]
	v_and_b32_e32 v18, 16, v31
	v_cmp_eq_u32_e64 s[18:19], 0, v18
	v_or_b32_e32 v18, 63, v0
	v_cmp_lt_u32_e64 s[0:1], 31, v31
	v_lshrrev_b32_e32 v32, 6, v0
	v_cmp_eq_u32_e64 s[2:3], v18, v0
	s_and_b64 vcc, exec, s[16:17]
	s_waitcnt lgkmcnt(0)
	s_barrier
	s_cbranch_vccz .LBB597_234
; %bb.208:
	v_mov_b32_dpp v18, v33 row_shr:1 row_mask:0xf bank_mask:0xf
	v_cndmask_b32_e64 v18, v18, 0, s[14:15]
	v_add_u32_e32 v18, v18, v33
	s_nop 1
	v_mov_b32_dpp v19, v18 row_shr:2 row_mask:0xf bank_mask:0xf
	v_cndmask_b32_e64 v19, 0, v19, s[12:13]
	v_add_u32_e32 v18, v18, v19
	s_nop 1
	;; [unrolled: 4-line block ×4, first 2 shown]
	v_mov_b32_dpp v19, v18 row_bcast:15 row_mask:0xf bank_mask:0xf
	v_cndmask_b32_e64 v19, v19, 0, s[18:19]
	v_add_u32_e32 v18, v18, v19
	s_nop 1
	v_mov_b32_dpp v19, v18 row_bcast:31 row_mask:0xf bank_mask:0xf
	v_cndmask_b32_e64 v19, 0, v19, s[0:1]
	v_add_u32_e32 v18, v18, v19
	s_and_saveexec_b64 s[16:17], s[2:3]
	s_cbranch_execz .LBB597_210
; %bb.209:
	v_lshlrev_b32_e32 v19, 2, v32
	ds_write_b32 v19, v18
.LBB597_210:
	s_or_b64 exec, exec, s[16:17]
	v_cmp_gt_u32_e32 vcc, 2, v0
	s_waitcnt lgkmcnt(0)
	s_barrier
	s_and_saveexec_b64 s[16:17], vcc
	s_cbranch_execz .LBB597_212
; %bb.211:
	ds_read_b32 v19, v1
	v_bfe_i32 v20, v31, 0, 1
	s_waitcnt lgkmcnt(0)
	v_mov_b32_dpp v21, v19 row_shr:1 row_mask:0xf bank_mask:0xf
	v_and_b32_e32 v20, v20, v21
	v_add_u32_e32 v19, v20, v19
	ds_write_b32 v1, v19
.LBB597_212:
	s_or_b64 exec, exec, s[16:17]
	v_cmp_gt_u32_e32 vcc, 64, v0
	v_cmp_lt_u32_e64 s[16:17], 63, v0
	s_waitcnt lgkmcnt(0)
	s_barrier
	s_waitcnt lgkmcnt(0)
                                        ; implicit-def: $vgpr34
	s_and_saveexec_b64 s[26:27], s[16:17]
	s_cbranch_execz .LBB597_214
; %bb.213:
	v_lshl_add_u32 v19, v32, 2, -4
	ds_read_b32 v34, v19
	s_waitcnt lgkmcnt(0)
	v_add_u32_e32 v18, v34, v18
.LBB597_214:
	s_or_b64 exec, exec, s[26:27]
	v_add_u32_e32 v19, -1, v31
	v_and_b32_e32 v20, 64, v31
	v_cmp_lt_i32_e64 s[16:17], v19, v20
	v_cndmask_b32_e64 v19, v19, v31, s[16:17]
	v_lshlrev_b32_e32 v19, 2, v19
	ds_bpermute_b32 v35, v19, v18
	v_cmp_eq_u32_e64 s[16:17], 0, v31
	s_and_saveexec_b64 s[26:27], vcc
	s_cbranch_execz .LBB597_233
; %bb.215:
	v_mov_b32_e32 v25, 0
	ds_read_b32 v18, v25 offset:4
	s_and_saveexec_b64 s[28:29], s[16:17]
	s_cbranch_execz .LBB597_217
; %bb.216:
	s_add_i32 s36, s6, 64
	s_mov_b32 s37, 0
	s_lshl_b64 s[36:37], s[36:37], 3
	s_add_u32 s36, s30, s36
	v_mov_b32_e32 v19, 1
	s_addc_u32 s37, s31, s37
	s_waitcnt lgkmcnt(0)
	global_store_dwordx2 v25, v[18:19], s[36:37]
.LBB597_217:
	s_or_b64 exec, exec, s[28:29]
	v_xad_u32 v20, v31, -1, s6
	v_add_u32_e32 v24, 64, v20
	v_lshlrev_b64 v[22:23], 3, v[24:25]
	v_mov_b32_e32 v19, s31
	v_add_co_u32_e32 v26, vcc, s30, v22
	v_addc_co_u32_e32 v27, vcc, v19, v23, vcc
	global_load_dwordx2 v[22:23], v[26:27], off glc
	s_waitcnt vmcnt(0)
	v_cmp_eq_u16_sdwa s[36:37], v23, v25 src0_sel:BYTE_0 src1_sel:DWORD
	s_and_saveexec_b64 s[28:29], s[36:37]
	s_cbranch_execz .LBB597_221
; %bb.218:
	s_mov_b64 s[36:37], 0
	v_mov_b32_e32 v19, 0
.LBB597_219:                            ; =>This Inner Loop Header: Depth=1
	global_load_dwordx2 v[22:23], v[26:27], off glc
	s_waitcnt vmcnt(0)
	v_cmp_ne_u16_sdwa s[38:39], v23, v19 src0_sel:BYTE_0 src1_sel:DWORD
	s_or_b64 s[36:37], s[38:39], s[36:37]
	s_andn2_b64 exec, exec, s[36:37]
	s_cbranch_execnz .LBB597_219
; %bb.220:
	s_or_b64 exec, exec, s[36:37]
.LBB597_221:
	s_or_b64 exec, exec, s[28:29]
	v_and_b32_e32 v36, 63, v31
	v_mov_b32_e32 v19, 2
	v_cmp_ne_u32_e32 vcc, 63, v36
	v_cmp_eq_u16_sdwa s[28:29], v23, v19 src0_sel:BYTE_0 src1_sel:DWORD
	v_lshlrev_b64 v[24:25], v31, -1
	v_addc_co_u32_e32 v27, vcc, 0, v31, vcc
	v_and_b32_e32 v21, s29, v25
	v_lshlrev_b32_e32 v37, 2, v27
	v_or_b32_e32 v21, 0x80000000, v21
	ds_bpermute_b32 v27, v37, v22
	v_and_b32_e32 v26, s28, v24
	v_ffbl_b32_e32 v21, v21
	v_add_u32_e32 v21, 32, v21
	v_ffbl_b32_e32 v26, v26
	v_min_u32_e32 v21, v26, v21
	v_cmp_lt_u32_e32 vcc, v36, v21
	s_waitcnt lgkmcnt(0)
	v_cndmask_b32_e32 v26, 0, v27, vcc
	v_cmp_gt_u32_e32 vcc, 62, v36
	v_add_u32_e32 v22, v26, v22
	v_cndmask_b32_e64 v26, 0, 1, vcc
	v_lshlrev_b32_e32 v26, 1, v26
	v_add_lshl_u32 v38, v26, v31, 2
	ds_bpermute_b32 v26, v38, v22
	v_add_u32_e32 v39, 2, v36
	v_cmp_le_u32_e32 vcc, v39, v21
	v_add_u32_e32 v41, 4, v36
	v_add_u32_e32 v43, 8, v36
	s_waitcnt lgkmcnt(0)
	v_cndmask_b32_e32 v26, 0, v26, vcc
	v_cmp_gt_u32_e32 vcc, 60, v36
	v_add_u32_e32 v22, v22, v26
	v_cndmask_b32_e64 v26, 0, 1, vcc
	v_lshlrev_b32_e32 v26, 2, v26
	v_add_lshl_u32 v40, v26, v31, 2
	ds_bpermute_b32 v26, v40, v22
	v_cmp_le_u32_e32 vcc, v41, v21
	v_add_u32_e32 v46, 16, v36
	v_add_u32_e32 v48, 32, v36
	s_waitcnt lgkmcnt(0)
	v_cndmask_b32_e32 v26, 0, v26, vcc
	v_cmp_gt_u32_e32 vcc, 56, v36
	v_add_u32_e32 v22, v22, v26
	v_cndmask_b32_e64 v26, 0, 1, vcc
	v_lshlrev_b32_e32 v26, 3, v26
	v_add_lshl_u32 v42, v26, v31, 2
	ds_bpermute_b32 v26, v42, v22
	v_cmp_le_u32_e32 vcc, v43, v21
	s_waitcnt lgkmcnt(0)
	v_cndmask_b32_e32 v26, 0, v26, vcc
	v_cmp_gt_u32_e32 vcc, 48, v36
	v_add_u32_e32 v22, v22, v26
	v_cndmask_b32_e64 v26, 0, 1, vcc
	v_lshlrev_b32_e32 v26, 4, v26
	v_add_lshl_u32 v45, v26, v31, 2
	ds_bpermute_b32 v26, v45, v22
	v_cmp_le_u32_e32 vcc, v46, v21
	;; [unrolled: 9-line block ×3, first 2 shown]
	s_waitcnt lgkmcnt(0)
	v_cndmask_b32_e32 v21, 0, v26, vcc
	v_add_u32_e32 v22, v22, v21
	v_mov_b32_e32 v21, 0
	s_branch .LBB597_223
.LBB597_222:                            ;   in Loop: Header=BB597_223 Depth=1
	s_or_b64 exec, exec, s[28:29]
	v_cmp_eq_u16_sdwa s[28:29], v23, v19 src0_sel:BYTE_0 src1_sel:DWORD
	v_and_b32_e32 v26, s29, v25
	v_or_b32_e32 v26, 0x80000000, v26
	ds_bpermute_b32 v49, v37, v22
	v_and_b32_e32 v27, s28, v24
	v_ffbl_b32_e32 v26, v26
	v_add_u32_e32 v26, 32, v26
	v_ffbl_b32_e32 v27, v27
	v_min_u32_e32 v26, v27, v26
	v_cmp_lt_u32_e32 vcc, v36, v26
	s_waitcnt lgkmcnt(0)
	v_cndmask_b32_e32 v27, 0, v49, vcc
	v_add_u32_e32 v22, v27, v22
	ds_bpermute_b32 v27, v38, v22
	v_cmp_le_u32_e32 vcc, v39, v26
	v_subrev_u32_e32 v20, 64, v20
	s_waitcnt lgkmcnt(0)
	v_cndmask_b32_e32 v27, 0, v27, vcc
	v_add_u32_e32 v22, v22, v27
	ds_bpermute_b32 v27, v40, v22
	v_cmp_le_u32_e32 vcc, v41, v26
	s_waitcnt lgkmcnt(0)
	v_cndmask_b32_e32 v27, 0, v27, vcc
	v_add_u32_e32 v22, v22, v27
	ds_bpermute_b32 v27, v42, v22
	v_cmp_le_u32_e32 vcc, v43, v26
	;; [unrolled: 5-line block ×4, first 2 shown]
	s_waitcnt lgkmcnt(0)
	v_cndmask_b32_e32 v26, 0, v27, vcc
	v_add3_u32 v22, v26, v44, v22
.LBB597_223:                            ; =>This Loop Header: Depth=1
                                        ;     Child Loop BB597_226 Depth 2
	v_cmp_ne_u16_sdwa s[28:29], v23, v19 src0_sel:BYTE_0 src1_sel:DWORD
	v_cndmask_b32_e64 v23, 0, 1, s[28:29]
	;;#ASMSTART
	;;#ASMEND
	v_cmp_ne_u32_e32 vcc, 0, v23
	s_cmp_lg_u64 vcc, exec
	v_mov_b32_e32 v44, v22
	s_cbranch_scc1 .LBB597_228
; %bb.224:                              ;   in Loop: Header=BB597_223 Depth=1
	v_lshlrev_b64 v[22:23], 3, v[20:21]
	v_mov_b32_e32 v27, s31
	v_add_co_u32_e32 v26, vcc, s30, v22
	v_addc_co_u32_e32 v27, vcc, v27, v23, vcc
	global_load_dwordx2 v[22:23], v[26:27], off glc
	s_waitcnt vmcnt(0)
	v_cmp_eq_u16_sdwa s[36:37], v23, v21 src0_sel:BYTE_0 src1_sel:DWORD
	s_and_saveexec_b64 s[28:29], s[36:37]
	s_cbranch_execz .LBB597_222
; %bb.225:                              ;   in Loop: Header=BB597_223 Depth=1
	s_mov_b64 s[36:37], 0
.LBB597_226:                            ;   Parent Loop BB597_223 Depth=1
                                        ; =>  This Inner Loop Header: Depth=2
	global_load_dwordx2 v[22:23], v[26:27], off glc
	s_waitcnt vmcnt(0)
	v_cmp_ne_u16_sdwa s[38:39], v23, v21 src0_sel:BYTE_0 src1_sel:DWORD
	s_or_b64 s[36:37], s[38:39], s[36:37]
	s_andn2_b64 exec, exec, s[36:37]
	s_cbranch_execnz .LBB597_226
; %bb.227:                              ;   in Loop: Header=BB597_223 Depth=1
	s_or_b64 exec, exec, s[36:37]
	s_branch .LBB597_222
.LBB597_228:                            ;   in Loop: Header=BB597_223 Depth=1
                                        ; implicit-def: $vgpr22
                                        ; implicit-def: $vgpr23
	s_cbranch_execz .LBB597_223
; %bb.229:
	s_and_saveexec_b64 s[28:29], s[16:17]
	s_cbranch_execz .LBB597_231
; %bb.230:
	s_add_i32 s6, s6, 64
	s_mov_b32 s7, 0
	s_lshl_b64 s[6:7], s[6:7], 3
	s_add_u32 s6, s30, s6
	v_add_u32_e32 v20, v44, v18
	v_mov_b32_e32 v21, 2
	s_addc_u32 s7, s31, s7
	v_mov_b32_e32 v19, 0
	global_store_dwordx2 v19, v[20:21], s[6:7]
	s_movk_i32 s6, 0x1000
	v_add_u32_e64 v19, s6, 0
	ds_write2_b32 v19, v18, v44 offset0:32 offset1:34
.LBB597_231:
	s_or_b64 exec, exec, s[28:29]
	v_cmp_eq_u32_e32 vcc, 0, v0
	s_and_b64 exec, exec, vcc
	s_cbranch_execz .LBB597_233
; %bb.232:
	v_mov_b32_e32 v18, 0
	ds_write_b32 v18, v44 offset:4
.LBB597_233:
	s_or_b64 exec, exec, s[26:27]
	v_mov_b32_e32 v19, 0
	s_waitcnt lgkmcnt(0)
	s_barrier
	ds_read_b32 v19, v19 offset:4
	s_movk_i32 s6, 0x1000
	v_add_u32_e64 v20, s6, 0
	v_cndmask_b32_e64 v18, v35, v34, s[16:17]
	v_cmp_ne_u32_e32 vcc, 0, v0
	s_waitcnt lgkmcnt(0)
	s_barrier
	ds_read2_b32 v[26:27], v20 offset0:32 offset1:34
	v_cndmask_b32_e32 v18, 0, v18, vcc
	v_add_u32_e32 v24, v19, v18
	v_add_u32_sdwa v22, v24, v28 dst_sel:DWORD dst_unused:UNUSED_PAD src0_sel:DWORD src1_sel:BYTE_0
	v_add_u32_sdwa v20, v22, v28 dst_sel:DWORD dst_unused:UNUSED_PAD src0_sel:DWORD src1_sel:BYTE_1
	v_add_u32_e32 v18, v20, v30
	s_waitcnt lgkmcnt(0)
	v_readfirstlane_b32 s26, v26
	v_readfirstlane_b32 s16, v27
	s_branch .LBB597_244
.LBB597_234:
                                        ; implicit-def: $vgpr18
                                        ; implicit-def: $vgpr20
                                        ; implicit-def: $vgpr22
                                        ; implicit-def: $vgpr24
                                        ; implicit-def: $sgpr16
                                        ; implicit-def: $sgpr26
	s_cbranch_execz .LBB597_244
; %bb.235:
	s_nop 0
	v_mov_b32_dpp v18, v33 row_shr:1 row_mask:0xf bank_mask:0xf
	v_cndmask_b32_e64 v18, v18, 0, s[14:15]
	v_add_u32_e32 v18, v18, v33
	s_nop 1
	v_mov_b32_dpp v19, v18 row_shr:2 row_mask:0xf bank_mask:0xf
	v_cndmask_b32_e64 v19, 0, v19, s[12:13]
	v_add_u32_e32 v18, v18, v19
	;; [unrolled: 4-line block ×4, first 2 shown]
	s_nop 1
	v_mov_b32_dpp v19, v18 row_bcast:15 row_mask:0xf bank_mask:0xf
	v_cndmask_b32_e64 v19, v19, 0, s[18:19]
	v_add_u32_e32 v18, v18, v19
	s_nop 1
	v_mov_b32_dpp v19, v18 row_bcast:31 row_mask:0xf bank_mask:0xf
	v_cndmask_b32_e64 v19, 0, v19, s[0:1]
	v_add_u32_e32 v18, v18, v19
	s_and_saveexec_b64 s[0:1], s[2:3]
	s_cbranch_execz .LBB597_237
; %bb.236:
	v_lshlrev_b32_e32 v19, 2, v32
	ds_write_b32 v19, v18
.LBB597_237:
	s_or_b64 exec, exec, s[0:1]
	v_cmp_gt_u32_e32 vcc, 2, v0
	s_waitcnt lgkmcnt(0)
	s_barrier
	s_and_saveexec_b64 s[0:1], vcc
	s_cbranch_execz .LBB597_239
; %bb.238:
	ds_read_b32 v19, v1
	v_bfe_i32 v20, v31, 0, 1
	s_waitcnt lgkmcnt(0)
	v_mov_b32_dpp v21, v19 row_shr:1 row_mask:0xf bank_mask:0xf
	v_and_b32_e32 v20, v20, v21
	v_add_u32_e32 v19, v20, v19
	ds_write_b32 v1, v19
.LBB597_239:
	s_or_b64 exec, exec, s[0:1]
	v_cmp_lt_u32_e32 vcc, 63, v0
	v_mov_b32_e32 v19, 0
	v_mov_b32_e32 v1, 0
	s_waitcnt lgkmcnt(0)
	s_barrier
	s_and_saveexec_b64 s[0:1], vcc
	s_cbranch_execz .LBB597_241
; %bb.240:
	v_lshl_add_u32 v1, v32, 2, -4
	ds_read_b32 v1, v1
.LBB597_241:
	s_or_b64 exec, exec, s[0:1]
	v_add_u32_e32 v20, -1, v31
	v_and_b32_e32 v21, 64, v31
	v_cmp_lt_i32_e32 vcc, v20, v21
	v_cndmask_b32_e32 v20, v20, v31, vcc
	s_waitcnt lgkmcnt(0)
	v_add_u32_e32 v18, v1, v18
	v_lshlrev_b32_e32 v20, 2, v20
	ds_read_b32 v19, v19 offset:4
	ds_bpermute_b32 v18, v20, v18
	s_mov_b32 s16, 0
	v_cmp_eq_u32_e32 vcc, 0, v0
	s_waitcnt lgkmcnt(1)
	v_readfirstlane_b32 s26, v19
	s_and_saveexec_b64 s[0:1], vcc
	s_cbranch_execz .LBB597_243
; %bb.242:
	v_mov_b32_e32 v19, 0
	v_mov_b32_e32 v20, s26
	;; [unrolled: 1-line block ×3, first 2 shown]
	global_store_dwordx2 v19, v[20:21], s[30:31] offset:512
.LBB597_243:
	s_or_b64 exec, exec, s[0:1]
	v_cmp_eq_u32_e64 s[0:1], 0, v31
	s_waitcnt lgkmcnt(0)
	v_cndmask_b32_e64 v1, v18, v1, s[0:1]
	v_cndmask_b32_e64 v24, v1, 0, vcc
	v_add_u32_sdwa v22, v24, v28 dst_sel:DWORD dst_unused:UNUSED_PAD src0_sel:DWORD src1_sel:BYTE_0
	v_add_u32_sdwa v20, v22, v28 dst_sel:DWORD dst_unused:UNUSED_PAD src0_sel:DWORD src1_sel:BYTE_1
	v_add_u32_e32 v18, v20, v30
	s_barrier
.LBB597_244:
	s_load_dwordx4 s[4:7], s[4:5], 0x28
	s_cmpk_lt_u32 s26, 0x81
	s_cselect_b64 s[2:3], -1, 0
	v_lshrrev_b32_e32 v1, 8, v28
	s_mov_b64 s[0:1], -1
	s_and_b64 vcc, exec, s[2:3]
	s_cbranch_vccz .LBB597_258
; %bb.245:
	s_add_i32 s8, s16, s26
	v_cmp_gt_u32_e32 vcc, s8, v24
	s_or_b64 s[10:11], s[34:35], vcc
	s_and_saveexec_b64 s[0:1], s[10:11]
	s_cbranch_execz .LBB597_248
; %bb.246:
	v_and_b32_e32 v19, 1, v28
	v_cmp_eq_u32_e32 vcc, 1, v19
	s_and_b64 exec, exec, vcc
	s_cbranch_execz .LBB597_248
; %bb.247:
	s_lshl_b64 s[10:11], s[22:23], 3
	s_waitcnt lgkmcnt(0)
	s_add_u32 s9, s4, s10
	v_mov_b32_e32 v25, 0
	s_addc_u32 s10, s5, s11
	v_lshlrev_b64 v[26:27], 3, v[24:25]
	v_mov_b32_e32 v19, s10
	v_add_co_u32_e32 v26, vcc, s9, v26
	v_addc_co_u32_e32 v27, vcc, v19, v27, vcc
	global_store_dwordx2 v[26:27], v[14:15], off
.LBB597_248:
	s_or_b64 exec, exec, s[0:1]
	v_cmp_gt_u32_e32 vcc, s8, v22
	s_or_b64 s[10:11], s[34:35], vcc
	s_and_saveexec_b64 s[0:1], s[10:11]
	s_cbranch_execz .LBB597_251
; %bb.249:
	v_and_b32_e32 v19, 1, v1
	v_cmp_eq_u32_e32 vcc, 1, v19
	s_and_b64 exec, exec, vcc
	s_cbranch_execz .LBB597_251
; %bb.250:
	s_lshl_b64 s[10:11], s[22:23], 3
	s_waitcnt lgkmcnt(0)
	s_add_u32 s9, s4, s10
	v_mov_b32_e32 v23, 0
	s_addc_u32 s10, s5, s11
	v_lshlrev_b64 v[26:27], 3, v[22:23]
	v_mov_b32_e32 v19, s10
	v_add_co_u32_e32 v26, vcc, s9, v26
	v_addc_co_u32_e32 v27, vcc, v19, v27, vcc
	global_store_dwordx2 v[26:27], v[16:17], off
.LBB597_251:
	s_or_b64 exec, exec, s[0:1]
	v_cmp_gt_u32_e32 vcc, s8, v20
	s_or_b64 s[10:11], s[34:35], vcc
	s_and_saveexec_b64 s[0:1], s[10:11]
	s_cbranch_execz .LBB597_254
; %bb.252:
	v_mov_b32_e32 v19, 1
	v_and_b32_sdwa v19, v19, v28 dst_sel:DWORD dst_unused:UNUSED_PAD src0_sel:DWORD src1_sel:WORD_1
	v_cmp_eq_u32_e32 vcc, 1, v19
	s_and_b64 exec, exec, vcc
	s_cbranch_execz .LBB597_254
; %bb.253:
	s_lshl_b64 s[10:11], s[22:23], 3
	s_waitcnt lgkmcnt(0)
	s_add_u32 s9, s4, s10
	v_mov_b32_e32 v21, 0
	s_addc_u32 s10, s5, s11
	v_lshlrev_b64 v[26:27], 3, v[20:21]
	v_mov_b32_e32 v19, s10
	v_add_co_u32_e32 v26, vcc, s9, v26
	v_addc_co_u32_e32 v27, vcc, v19, v27, vcc
	global_store_dwordx2 v[26:27], v[10:11], off
.LBB597_254:
	s_or_b64 exec, exec, s[0:1]
	v_cmp_gt_u32_e32 vcc, s8, v18
	s_or_b64 s[8:9], s[34:35], vcc
	s_and_saveexec_b64 s[0:1], s[8:9]
	s_cbranch_execz .LBB597_257
; %bb.255:
	v_and_b32_e32 v19, 1, v29
	v_cmp_eq_u32_e32 vcc, 1, v19
	s_and_b64 exec, exec, vcc
	s_cbranch_execz .LBB597_257
; %bb.256:
	s_lshl_b64 s[8:9], s[22:23], 3
	s_waitcnt lgkmcnt(0)
	s_add_u32 s8, s4, s8
	v_mov_b32_e32 v19, 0
	s_addc_u32 s9, s5, s9
	v_lshlrev_b64 v[26:27], 3, v[18:19]
	v_mov_b32_e32 v19, s9
	v_add_co_u32_e32 v26, vcc, s8, v26
	v_addc_co_u32_e32 v27, vcc, v19, v27, vcc
	global_store_dwordx2 v[26:27], v[12:13], off
.LBB597_257:
	s_or_b64 exec, exec, s[0:1]
	s_mov_b64 s[0:1], 0
.LBB597_258:
	v_and_b32_e32 v26, 1, v28
	s_and_b64 vcc, exec, s[0:1]
	v_cmp_eq_u32_e64 s[0:1], 1, v26
	s_cbranch_vccz .LBB597_271
; %bb.259:
	s_and_saveexec_b64 s[8:9], s[0:1]
	s_cbranch_execz .LBB597_261
; %bb.260:
	v_subrev_u32_e32 v19, s16, v24
	v_lshlrev_b32_e32 v19, 3, v19
	ds_write_b64 v19, v[14:15]
.LBB597_261:
	s_or_b64 exec, exec, s[8:9]
	v_and_b32_e32 v14, 1, v1
	v_cmp_eq_u32_e32 vcc, 1, v14
	s_and_saveexec_b64 s[0:1], vcc
	s_cbranch_execz .LBB597_263
; %bb.262:
	v_subrev_u32_e32 v14, s16, v22
	v_lshlrev_b32_e32 v14, 3, v14
	ds_write_b64 v14, v[16:17]
.LBB597_263:
	s_or_b64 exec, exec, s[0:1]
	v_mov_b32_e32 v14, 1
	v_and_b32_sdwa v14, v14, v28 dst_sel:DWORD dst_unused:UNUSED_PAD src0_sel:DWORD src1_sel:WORD_1
	v_cmp_eq_u32_e32 vcc, 1, v14
	s_and_saveexec_b64 s[0:1], vcc
	s_cbranch_execz .LBB597_265
; %bb.264:
	v_subrev_u32_e32 v14, s16, v20
	v_lshlrev_b32_e32 v14, 3, v14
	ds_write_b64 v14, v[10:11]
.LBB597_265:
	s_or_b64 exec, exec, s[0:1]
	v_and_b32_e32 v10, 1, v29
	v_cmp_eq_u32_e32 vcc, 1, v10
	s_and_saveexec_b64 s[0:1], vcc
	s_cbranch_execz .LBB597_267
; %bb.266:
	v_subrev_u32_e32 v10, s16, v18
	v_lshlrev_b32_e32 v10, 3, v10
	ds_write_b64 v10, v[12:13]
.LBB597_267:
	s_or_b64 exec, exec, s[0:1]
	v_cmp_gt_u32_e32 vcc, s26, v0
	s_waitcnt lgkmcnt(0)
	s_barrier
	s_and_saveexec_b64 s[0:1], vcc
	s_cbranch_execz .LBB597_270
; %bb.268:
	s_mov_b32 s17, 0
	s_lshl_b64 s[8:9], s[16:17], 3
	s_add_u32 s8, s4, s8
	s_addc_u32 s9, s5, s9
	s_lshl_b64 s[4:5], s[22:23], 3
	s_add_u32 s8, s8, s4
	s_addc_u32 s9, s9, s5
	v_lshlrev_b32_e32 v12, 3, v0
	s_mov_b64 s[4:5], 0
	v_mov_b32_e32 v11, 0
	v_mov_b32_e32 v13, s9
	;; [unrolled: 1-line block ×3, first 2 shown]
.LBB597_269:                            ; =>This Inner Loop Header: Depth=1
	ds_read_b64 v[14:15], v12
	v_lshlrev_b64 v[16:17], 3, v[10:11]
	v_add_co_u32_e32 v16, vcc, s8, v16
	v_add_u32_e32 v10, 0x80, v10
	v_addc_co_u32_e32 v17, vcc, v13, v17, vcc
	v_cmp_le_u32_e32 vcc, s26, v10
	v_add_u32_e32 v12, 0x400, v12
	s_or_b64 s[4:5], vcc, s[4:5]
	s_waitcnt lgkmcnt(0)
	global_store_dwordx2 v[16:17], v[14:15], off
	s_andn2_b64 exec, exec, s[4:5]
	s_cbranch_execnz .LBB597_269
.LBB597_270:
	s_or_b64 exec, exec, s[0:1]
.LBB597_271:
	s_mov_b64 s[0:1], -1
	s_and_b64 vcc, exec, s[2:3]
	s_waitcnt lgkmcnt(0)
	s_barrier
	s_cbranch_vccnz .LBB597_275
; %bb.272:
	s_and_b64 vcc, exec, s[0:1]
	s_cbranch_vccnz .LBB597_288
.LBB597_273:
	v_cmp_eq_u32_e32 vcc, 0, v0
	s_and_b64 s[0:1], vcc, s[24:25]
	s_and_saveexec_b64 s[2:3], s[0:1]
	s_cbranch_execnz .LBB597_300
.LBB597_274:
	s_endpgm
.LBB597_275:
	s_add_i32 s2, s16, s26
	v_cmp_gt_u32_e32 vcc, s2, v24
	s_or_b64 s[4:5], s[34:35], vcc
	s_and_saveexec_b64 s[0:1], s[4:5]
	s_cbranch_execz .LBB597_278
; %bb.276:
	v_cmp_eq_u32_e32 vcc, 1, v26
	s_and_b64 exec, exec, vcc
	s_cbranch_execz .LBB597_278
; %bb.277:
	s_lshl_b64 s[4:5], s[22:23], 3
	s_add_u32 s3, s6, s4
	v_mov_b32_e32 v25, 0
	s_addc_u32 s4, s7, s5
	v_lshlrev_b64 v[10:11], 3, v[24:25]
	v_mov_b32_e32 v12, s4
	v_add_co_u32_e32 v10, vcc, s3, v10
	v_addc_co_u32_e32 v11, vcc, v12, v11, vcc
	global_store_dwordx2 v[10:11], v[6:7], off
.LBB597_278:
	s_or_b64 exec, exec, s[0:1]
	v_cmp_gt_u32_e32 vcc, s2, v22
	s_or_b64 s[4:5], s[34:35], vcc
	s_and_saveexec_b64 s[0:1], s[4:5]
	s_cbranch_execz .LBB597_281
; %bb.279:
	v_and_b32_e32 v10, 1, v1
	v_cmp_eq_u32_e32 vcc, 1, v10
	s_and_b64 exec, exec, vcc
	s_cbranch_execz .LBB597_281
; %bb.280:
	s_lshl_b64 s[4:5], s[22:23], 3
	s_add_u32 s3, s6, s4
	v_mov_b32_e32 v23, 0
	s_addc_u32 s4, s7, s5
	v_lshlrev_b64 v[10:11], 3, v[22:23]
	v_mov_b32_e32 v12, s4
	v_add_co_u32_e32 v10, vcc, s3, v10
	v_addc_co_u32_e32 v11, vcc, v12, v11, vcc
	global_store_dwordx2 v[10:11], v[8:9], off
.LBB597_281:
	s_or_b64 exec, exec, s[0:1]
	v_cmp_gt_u32_e32 vcc, s2, v20
	s_or_b64 s[4:5], s[34:35], vcc
	s_and_saveexec_b64 s[0:1], s[4:5]
	s_cbranch_execz .LBB597_284
; %bb.282:
	v_mov_b32_e32 v10, 1
	v_and_b32_sdwa v10, v10, v28 dst_sel:DWORD dst_unused:UNUSED_PAD src0_sel:DWORD src1_sel:WORD_1
	v_cmp_eq_u32_e32 vcc, 1, v10
	s_and_b64 exec, exec, vcc
	s_cbranch_execz .LBB597_284
; %bb.283:
	s_lshl_b64 s[4:5], s[22:23], 3
	s_add_u32 s3, s6, s4
	v_mov_b32_e32 v21, 0
	s_addc_u32 s4, s7, s5
	v_lshlrev_b64 v[10:11], 3, v[20:21]
	v_mov_b32_e32 v12, s4
	v_add_co_u32_e32 v10, vcc, s3, v10
	v_addc_co_u32_e32 v11, vcc, v12, v11, vcc
	global_store_dwordx2 v[10:11], v[2:3], off
.LBB597_284:
	s_or_b64 exec, exec, s[0:1]
	v_cmp_gt_u32_e32 vcc, s2, v18
	s_or_b64 s[2:3], s[34:35], vcc
	s_and_saveexec_b64 s[0:1], s[2:3]
	s_cbranch_execz .LBB597_287
; %bb.285:
	v_and_b32_e32 v10, 1, v29
	v_cmp_eq_u32_e32 vcc, 1, v10
	s_and_b64 exec, exec, vcc
	s_cbranch_execz .LBB597_287
; %bb.286:
	s_lshl_b64 s[2:3], s[22:23], 3
	s_add_u32 s2, s6, s2
	v_mov_b32_e32 v19, 0
	s_addc_u32 s3, s7, s3
	v_lshlrev_b64 v[10:11], 3, v[18:19]
	v_mov_b32_e32 v12, s3
	v_add_co_u32_e32 v10, vcc, s2, v10
	v_addc_co_u32_e32 v11, vcc, v12, v11, vcc
	global_store_dwordx2 v[10:11], v[4:5], off
.LBB597_287:
	s_or_b64 exec, exec, s[0:1]
	s_branch .LBB597_273
.LBB597_288:
	v_cmp_eq_u32_e32 vcc, 1, v26
	s_and_saveexec_b64 s[0:1], vcc
	s_cbranch_execz .LBB597_290
; %bb.289:
	v_subrev_u32_e32 v10, s16, v24
	v_lshlrev_b32_e32 v10, 3, v10
	ds_write_b64 v10, v[6:7]
.LBB597_290:
	s_or_b64 exec, exec, s[0:1]
	v_and_b32_e32 v1, 1, v1
	v_cmp_eq_u32_e32 vcc, 1, v1
	s_and_saveexec_b64 s[0:1], vcc
	s_cbranch_execz .LBB597_292
; %bb.291:
	v_subrev_u32_e32 v1, s16, v22
	v_lshlrev_b32_e32 v1, 3, v1
	ds_write_b64 v1, v[8:9]
.LBB597_292:
	s_or_b64 exec, exec, s[0:1]
	v_mov_b32_e32 v1, 1
	v_and_b32_sdwa v1, v1, v28 dst_sel:DWORD dst_unused:UNUSED_PAD src0_sel:DWORD src1_sel:WORD_1
	v_cmp_eq_u32_e32 vcc, 1, v1
	s_and_saveexec_b64 s[0:1], vcc
	s_cbranch_execz .LBB597_294
; %bb.293:
	v_subrev_u32_e32 v1, s16, v20
	v_lshlrev_b32_e32 v1, 3, v1
	ds_write_b64 v1, v[2:3]
.LBB597_294:
	s_or_b64 exec, exec, s[0:1]
	v_and_b32_e32 v1, 1, v29
	v_cmp_eq_u32_e32 vcc, 1, v1
	s_and_saveexec_b64 s[0:1], vcc
	s_cbranch_execz .LBB597_296
; %bb.295:
	v_subrev_u32_e32 v1, s16, v18
	v_lshlrev_b32_e32 v1, 3, v1
	ds_write_b64 v1, v[4:5]
.LBB597_296:
	s_or_b64 exec, exec, s[0:1]
	v_cmp_gt_u32_e32 vcc, s26, v0
	s_waitcnt lgkmcnt(0)
	s_barrier
	s_and_saveexec_b64 s[0:1], vcc
	s_cbranch_execz .LBB597_299
; %bb.297:
	s_mov_b32 s17, 0
	s_lshl_b64 s[2:3], s[16:17], 3
	s_add_u32 s4, s6, s2
	s_addc_u32 s5, s7, s3
	s_lshl_b64 s[2:3], s[22:23], 3
	s_add_u32 s4, s4, s2
	s_addc_u32 s5, s5, s3
	v_lshlrev_b32_e32 v1, 3, v0
	s_mov_b64 s[2:3], 0
	v_mov_b32_e32 v3, 0
	v_mov_b32_e32 v4, s5
	;; [unrolled: 1-line block ×3, first 2 shown]
.LBB597_298:                            ; =>This Inner Loop Header: Depth=1
	ds_read_b64 v[6:7], v1
	v_lshlrev_b64 v[8:9], 3, v[2:3]
	v_add_co_u32_e32 v8, vcc, s4, v8
	v_add_u32_e32 v2, 0x80, v2
	v_addc_co_u32_e32 v9, vcc, v4, v9, vcc
	v_cmp_le_u32_e32 vcc, s26, v2
	v_add_u32_e32 v1, 0x400, v1
	s_or_b64 s[2:3], vcc, s[2:3]
	s_waitcnt lgkmcnt(0)
	global_store_dwordx2 v[8:9], v[6:7], off
	s_andn2_b64 exec, exec, s[2:3]
	s_cbranch_execnz .LBB597_298
.LBB597_299:
	s_or_b64 exec, exec, s[0:1]
	v_cmp_eq_u32_e32 vcc, 0, v0
	s_and_b64 s[0:1], vcc, s[24:25]
	s_and_saveexec_b64 s[2:3], s[0:1]
	s_cbranch_execz .LBB597_274
.LBB597_300:
	s_add_u32 s0, s22, s26
	s_addc_u32 s1, s23, 0
	s_add_u32 s0, s0, s16
	s_addc_u32 s1, s1, 0
	v_mov_b32_e32 v2, 0
	v_pk_mov_b32 v[0:1], s[0:1], s[0:1] op_sel:[0,1]
	global_store_dwordx2 v2, v[0:1], s[20:21]
	s_endpgm
	.section	.rodata,"a",@progbits
	.p2align	6, 0x0
	.amdhsa_kernel _ZN7rocprim17ROCPRIM_400000_NS6detail17trampoline_kernelINS0_14default_configENS1_25partition_config_selectorILNS1_17partition_subalgoE9EllbEEZZNS1_14partition_implILS5_9ELb0ES3_jPlS8_PNS0_10empty_typeENS0_5tupleIJS8_S9_EEENSB_IJS8_SA_EEENS0_18inequality_wrapperIZN2at6native12_GLOBAL__N_124unique_dim_cuda_templateIlEESt5tupleIJNSF_6TensorESK_SK_EERKSK_lbbbEUlllE0_EEPmJS9_EEE10hipError_tPvRmT3_T4_T5_T6_T7_T9_mT8_P12ihipStream_tbDpT10_ENKUlT_T0_E_clISt17integral_constantIbLb0EES1A_EEDaS15_S16_EUlS15_E_NS1_11comp_targetILNS1_3genE4ELNS1_11target_archE910ELNS1_3gpuE8ELNS1_3repE0EEENS1_30default_config_static_selectorELNS0_4arch9wavefront6targetE1EEEvT1_
		.amdhsa_group_segment_fixed_size 4236
		.amdhsa_private_segment_fixed_size 0
		.amdhsa_kernarg_size 120
		.amdhsa_user_sgpr_count 6
		.amdhsa_user_sgpr_private_segment_buffer 1
		.amdhsa_user_sgpr_dispatch_ptr 0
		.amdhsa_user_sgpr_queue_ptr 0
		.amdhsa_user_sgpr_kernarg_segment_ptr 1
		.amdhsa_user_sgpr_dispatch_id 0
		.amdhsa_user_sgpr_flat_scratch_init 0
		.amdhsa_user_sgpr_kernarg_preload_length 0
		.amdhsa_user_sgpr_kernarg_preload_offset 0
		.amdhsa_user_sgpr_private_segment_size 0
		.amdhsa_uses_dynamic_stack 0
		.amdhsa_system_sgpr_private_segment_wavefront_offset 0
		.amdhsa_system_sgpr_workgroup_id_x 1
		.amdhsa_system_sgpr_workgroup_id_y 0
		.amdhsa_system_sgpr_workgroup_id_z 0
		.amdhsa_system_sgpr_workgroup_info 0
		.amdhsa_system_vgpr_workitem_id 0
		.amdhsa_next_free_vgpr 50
		.amdhsa_next_free_sgpr 46
		.amdhsa_accum_offset 52
		.amdhsa_reserve_vcc 1
		.amdhsa_reserve_flat_scratch 0
		.amdhsa_float_round_mode_32 0
		.amdhsa_float_round_mode_16_64 0
		.amdhsa_float_denorm_mode_32 3
		.amdhsa_float_denorm_mode_16_64 3
		.amdhsa_dx10_clamp 1
		.amdhsa_ieee_mode 1
		.amdhsa_fp16_overflow 0
		.amdhsa_tg_split 0
		.amdhsa_exception_fp_ieee_invalid_op 0
		.amdhsa_exception_fp_denorm_src 0
		.amdhsa_exception_fp_ieee_div_zero 0
		.amdhsa_exception_fp_ieee_overflow 0
		.amdhsa_exception_fp_ieee_underflow 0
		.amdhsa_exception_fp_ieee_inexact 0
		.amdhsa_exception_int_div_zero 0
	.end_amdhsa_kernel
	.section	.text._ZN7rocprim17ROCPRIM_400000_NS6detail17trampoline_kernelINS0_14default_configENS1_25partition_config_selectorILNS1_17partition_subalgoE9EllbEEZZNS1_14partition_implILS5_9ELb0ES3_jPlS8_PNS0_10empty_typeENS0_5tupleIJS8_S9_EEENSB_IJS8_SA_EEENS0_18inequality_wrapperIZN2at6native12_GLOBAL__N_124unique_dim_cuda_templateIlEESt5tupleIJNSF_6TensorESK_SK_EERKSK_lbbbEUlllE0_EEPmJS9_EEE10hipError_tPvRmT3_T4_T5_T6_T7_T9_mT8_P12ihipStream_tbDpT10_ENKUlT_T0_E_clISt17integral_constantIbLb0EES1A_EEDaS15_S16_EUlS15_E_NS1_11comp_targetILNS1_3genE4ELNS1_11target_archE910ELNS1_3gpuE8ELNS1_3repE0EEENS1_30default_config_static_selectorELNS0_4arch9wavefront6targetE1EEEvT1_,"axG",@progbits,_ZN7rocprim17ROCPRIM_400000_NS6detail17trampoline_kernelINS0_14default_configENS1_25partition_config_selectorILNS1_17partition_subalgoE9EllbEEZZNS1_14partition_implILS5_9ELb0ES3_jPlS8_PNS0_10empty_typeENS0_5tupleIJS8_S9_EEENSB_IJS8_SA_EEENS0_18inequality_wrapperIZN2at6native12_GLOBAL__N_124unique_dim_cuda_templateIlEESt5tupleIJNSF_6TensorESK_SK_EERKSK_lbbbEUlllE0_EEPmJS9_EEE10hipError_tPvRmT3_T4_T5_T6_T7_T9_mT8_P12ihipStream_tbDpT10_ENKUlT_T0_E_clISt17integral_constantIbLb0EES1A_EEDaS15_S16_EUlS15_E_NS1_11comp_targetILNS1_3genE4ELNS1_11target_archE910ELNS1_3gpuE8ELNS1_3repE0EEENS1_30default_config_static_selectorELNS0_4arch9wavefront6targetE1EEEvT1_,comdat
.Lfunc_end597:
	.size	_ZN7rocprim17ROCPRIM_400000_NS6detail17trampoline_kernelINS0_14default_configENS1_25partition_config_selectorILNS1_17partition_subalgoE9EllbEEZZNS1_14partition_implILS5_9ELb0ES3_jPlS8_PNS0_10empty_typeENS0_5tupleIJS8_S9_EEENSB_IJS8_SA_EEENS0_18inequality_wrapperIZN2at6native12_GLOBAL__N_124unique_dim_cuda_templateIlEESt5tupleIJNSF_6TensorESK_SK_EERKSK_lbbbEUlllE0_EEPmJS9_EEE10hipError_tPvRmT3_T4_T5_T6_T7_T9_mT8_P12ihipStream_tbDpT10_ENKUlT_T0_E_clISt17integral_constantIbLb0EES1A_EEDaS15_S16_EUlS15_E_NS1_11comp_targetILNS1_3genE4ELNS1_11target_archE910ELNS1_3gpuE8ELNS1_3repE0EEENS1_30default_config_static_selectorELNS0_4arch9wavefront6targetE1EEEvT1_, .Lfunc_end597-_ZN7rocprim17ROCPRIM_400000_NS6detail17trampoline_kernelINS0_14default_configENS1_25partition_config_selectorILNS1_17partition_subalgoE9EllbEEZZNS1_14partition_implILS5_9ELb0ES3_jPlS8_PNS0_10empty_typeENS0_5tupleIJS8_S9_EEENSB_IJS8_SA_EEENS0_18inequality_wrapperIZN2at6native12_GLOBAL__N_124unique_dim_cuda_templateIlEESt5tupleIJNSF_6TensorESK_SK_EERKSK_lbbbEUlllE0_EEPmJS9_EEE10hipError_tPvRmT3_T4_T5_T6_T7_T9_mT8_P12ihipStream_tbDpT10_ENKUlT_T0_E_clISt17integral_constantIbLb0EES1A_EEDaS15_S16_EUlS15_E_NS1_11comp_targetILNS1_3genE4ELNS1_11target_archE910ELNS1_3gpuE8ELNS1_3repE0EEENS1_30default_config_static_selectorELNS0_4arch9wavefront6targetE1EEEvT1_
                                        ; -- End function
	.section	.AMDGPU.csdata,"",@progbits
; Kernel info:
; codeLenInByte = 10796
; NumSgprs: 50
; NumVgprs: 50
; NumAgprs: 0
; TotalNumVgprs: 50
; ScratchSize: 0
; MemoryBound: 1
; FloatMode: 240
; IeeeMode: 1
; LDSByteSize: 4236 bytes/workgroup (compile time only)
; SGPRBlocks: 6
; VGPRBlocks: 6
; NumSGPRsForWavesPerEU: 50
; NumVGPRsForWavesPerEU: 50
; AccumOffset: 52
; Occupancy: 8
; WaveLimiterHint : 1
; COMPUTE_PGM_RSRC2:SCRATCH_EN: 0
; COMPUTE_PGM_RSRC2:USER_SGPR: 6
; COMPUTE_PGM_RSRC2:TRAP_HANDLER: 0
; COMPUTE_PGM_RSRC2:TGID_X_EN: 1
; COMPUTE_PGM_RSRC2:TGID_Y_EN: 0
; COMPUTE_PGM_RSRC2:TGID_Z_EN: 0
; COMPUTE_PGM_RSRC2:TIDIG_COMP_CNT: 0
; COMPUTE_PGM_RSRC3_GFX90A:ACCUM_OFFSET: 12
; COMPUTE_PGM_RSRC3_GFX90A:TG_SPLIT: 0
	.section	.text._ZN7rocprim17ROCPRIM_400000_NS6detail17trampoline_kernelINS0_14default_configENS1_25partition_config_selectorILNS1_17partition_subalgoE9EllbEEZZNS1_14partition_implILS5_9ELb0ES3_jPlS8_PNS0_10empty_typeENS0_5tupleIJS8_S9_EEENSB_IJS8_SA_EEENS0_18inequality_wrapperIZN2at6native12_GLOBAL__N_124unique_dim_cuda_templateIlEESt5tupleIJNSF_6TensorESK_SK_EERKSK_lbbbEUlllE0_EEPmJS9_EEE10hipError_tPvRmT3_T4_T5_T6_T7_T9_mT8_P12ihipStream_tbDpT10_ENKUlT_T0_E_clISt17integral_constantIbLb0EES1A_EEDaS15_S16_EUlS15_E_NS1_11comp_targetILNS1_3genE3ELNS1_11target_archE908ELNS1_3gpuE7ELNS1_3repE0EEENS1_30default_config_static_selectorELNS0_4arch9wavefront6targetE1EEEvT1_,"axG",@progbits,_ZN7rocprim17ROCPRIM_400000_NS6detail17trampoline_kernelINS0_14default_configENS1_25partition_config_selectorILNS1_17partition_subalgoE9EllbEEZZNS1_14partition_implILS5_9ELb0ES3_jPlS8_PNS0_10empty_typeENS0_5tupleIJS8_S9_EEENSB_IJS8_SA_EEENS0_18inequality_wrapperIZN2at6native12_GLOBAL__N_124unique_dim_cuda_templateIlEESt5tupleIJNSF_6TensorESK_SK_EERKSK_lbbbEUlllE0_EEPmJS9_EEE10hipError_tPvRmT3_T4_T5_T6_T7_T9_mT8_P12ihipStream_tbDpT10_ENKUlT_T0_E_clISt17integral_constantIbLb0EES1A_EEDaS15_S16_EUlS15_E_NS1_11comp_targetILNS1_3genE3ELNS1_11target_archE908ELNS1_3gpuE7ELNS1_3repE0EEENS1_30default_config_static_selectorELNS0_4arch9wavefront6targetE1EEEvT1_,comdat
	.globl	_ZN7rocprim17ROCPRIM_400000_NS6detail17trampoline_kernelINS0_14default_configENS1_25partition_config_selectorILNS1_17partition_subalgoE9EllbEEZZNS1_14partition_implILS5_9ELb0ES3_jPlS8_PNS0_10empty_typeENS0_5tupleIJS8_S9_EEENSB_IJS8_SA_EEENS0_18inequality_wrapperIZN2at6native12_GLOBAL__N_124unique_dim_cuda_templateIlEESt5tupleIJNSF_6TensorESK_SK_EERKSK_lbbbEUlllE0_EEPmJS9_EEE10hipError_tPvRmT3_T4_T5_T6_T7_T9_mT8_P12ihipStream_tbDpT10_ENKUlT_T0_E_clISt17integral_constantIbLb0EES1A_EEDaS15_S16_EUlS15_E_NS1_11comp_targetILNS1_3genE3ELNS1_11target_archE908ELNS1_3gpuE7ELNS1_3repE0EEENS1_30default_config_static_selectorELNS0_4arch9wavefront6targetE1EEEvT1_ ; -- Begin function _ZN7rocprim17ROCPRIM_400000_NS6detail17trampoline_kernelINS0_14default_configENS1_25partition_config_selectorILNS1_17partition_subalgoE9EllbEEZZNS1_14partition_implILS5_9ELb0ES3_jPlS8_PNS0_10empty_typeENS0_5tupleIJS8_S9_EEENSB_IJS8_SA_EEENS0_18inequality_wrapperIZN2at6native12_GLOBAL__N_124unique_dim_cuda_templateIlEESt5tupleIJNSF_6TensorESK_SK_EERKSK_lbbbEUlllE0_EEPmJS9_EEE10hipError_tPvRmT3_T4_T5_T6_T7_T9_mT8_P12ihipStream_tbDpT10_ENKUlT_T0_E_clISt17integral_constantIbLb0EES1A_EEDaS15_S16_EUlS15_E_NS1_11comp_targetILNS1_3genE3ELNS1_11target_archE908ELNS1_3gpuE7ELNS1_3repE0EEENS1_30default_config_static_selectorELNS0_4arch9wavefront6targetE1EEEvT1_
	.p2align	8
	.type	_ZN7rocprim17ROCPRIM_400000_NS6detail17trampoline_kernelINS0_14default_configENS1_25partition_config_selectorILNS1_17partition_subalgoE9EllbEEZZNS1_14partition_implILS5_9ELb0ES3_jPlS8_PNS0_10empty_typeENS0_5tupleIJS8_S9_EEENSB_IJS8_SA_EEENS0_18inequality_wrapperIZN2at6native12_GLOBAL__N_124unique_dim_cuda_templateIlEESt5tupleIJNSF_6TensorESK_SK_EERKSK_lbbbEUlllE0_EEPmJS9_EEE10hipError_tPvRmT3_T4_T5_T6_T7_T9_mT8_P12ihipStream_tbDpT10_ENKUlT_T0_E_clISt17integral_constantIbLb0EES1A_EEDaS15_S16_EUlS15_E_NS1_11comp_targetILNS1_3genE3ELNS1_11target_archE908ELNS1_3gpuE7ELNS1_3repE0EEENS1_30default_config_static_selectorELNS0_4arch9wavefront6targetE1EEEvT1_,@function
_ZN7rocprim17ROCPRIM_400000_NS6detail17trampoline_kernelINS0_14default_configENS1_25partition_config_selectorILNS1_17partition_subalgoE9EllbEEZZNS1_14partition_implILS5_9ELb0ES3_jPlS8_PNS0_10empty_typeENS0_5tupleIJS8_S9_EEENSB_IJS8_SA_EEENS0_18inequality_wrapperIZN2at6native12_GLOBAL__N_124unique_dim_cuda_templateIlEESt5tupleIJNSF_6TensorESK_SK_EERKSK_lbbbEUlllE0_EEPmJS9_EEE10hipError_tPvRmT3_T4_T5_T6_T7_T9_mT8_P12ihipStream_tbDpT10_ENKUlT_T0_E_clISt17integral_constantIbLb0EES1A_EEDaS15_S16_EUlS15_E_NS1_11comp_targetILNS1_3genE3ELNS1_11target_archE908ELNS1_3gpuE7ELNS1_3repE0EEENS1_30default_config_static_selectorELNS0_4arch9wavefront6targetE1EEEvT1_: ; @_ZN7rocprim17ROCPRIM_400000_NS6detail17trampoline_kernelINS0_14default_configENS1_25partition_config_selectorILNS1_17partition_subalgoE9EllbEEZZNS1_14partition_implILS5_9ELb0ES3_jPlS8_PNS0_10empty_typeENS0_5tupleIJS8_S9_EEENSB_IJS8_SA_EEENS0_18inequality_wrapperIZN2at6native12_GLOBAL__N_124unique_dim_cuda_templateIlEESt5tupleIJNSF_6TensorESK_SK_EERKSK_lbbbEUlllE0_EEPmJS9_EEE10hipError_tPvRmT3_T4_T5_T6_T7_T9_mT8_P12ihipStream_tbDpT10_ENKUlT_T0_E_clISt17integral_constantIbLb0EES1A_EEDaS15_S16_EUlS15_E_NS1_11comp_targetILNS1_3genE3ELNS1_11target_archE908ELNS1_3gpuE7ELNS1_3repE0EEENS1_30default_config_static_selectorELNS0_4arch9wavefront6targetE1EEEvT1_
; %bb.0:
	.section	.rodata,"a",@progbits
	.p2align	6, 0x0
	.amdhsa_kernel _ZN7rocprim17ROCPRIM_400000_NS6detail17trampoline_kernelINS0_14default_configENS1_25partition_config_selectorILNS1_17partition_subalgoE9EllbEEZZNS1_14partition_implILS5_9ELb0ES3_jPlS8_PNS0_10empty_typeENS0_5tupleIJS8_S9_EEENSB_IJS8_SA_EEENS0_18inequality_wrapperIZN2at6native12_GLOBAL__N_124unique_dim_cuda_templateIlEESt5tupleIJNSF_6TensorESK_SK_EERKSK_lbbbEUlllE0_EEPmJS9_EEE10hipError_tPvRmT3_T4_T5_T6_T7_T9_mT8_P12ihipStream_tbDpT10_ENKUlT_T0_E_clISt17integral_constantIbLb0EES1A_EEDaS15_S16_EUlS15_E_NS1_11comp_targetILNS1_3genE3ELNS1_11target_archE908ELNS1_3gpuE7ELNS1_3repE0EEENS1_30default_config_static_selectorELNS0_4arch9wavefront6targetE1EEEvT1_
		.amdhsa_group_segment_fixed_size 0
		.amdhsa_private_segment_fixed_size 0
		.amdhsa_kernarg_size 120
		.amdhsa_user_sgpr_count 6
		.amdhsa_user_sgpr_private_segment_buffer 1
		.amdhsa_user_sgpr_dispatch_ptr 0
		.amdhsa_user_sgpr_queue_ptr 0
		.amdhsa_user_sgpr_kernarg_segment_ptr 1
		.amdhsa_user_sgpr_dispatch_id 0
		.amdhsa_user_sgpr_flat_scratch_init 0
		.amdhsa_user_sgpr_kernarg_preload_length 0
		.amdhsa_user_sgpr_kernarg_preload_offset 0
		.amdhsa_user_sgpr_private_segment_size 0
		.amdhsa_uses_dynamic_stack 0
		.amdhsa_system_sgpr_private_segment_wavefront_offset 0
		.amdhsa_system_sgpr_workgroup_id_x 1
		.amdhsa_system_sgpr_workgroup_id_y 0
		.amdhsa_system_sgpr_workgroup_id_z 0
		.amdhsa_system_sgpr_workgroup_info 0
		.amdhsa_system_vgpr_workitem_id 0
		.amdhsa_next_free_vgpr 1
		.amdhsa_next_free_sgpr 0
		.amdhsa_accum_offset 4
		.amdhsa_reserve_vcc 0
		.amdhsa_reserve_flat_scratch 0
		.amdhsa_float_round_mode_32 0
		.amdhsa_float_round_mode_16_64 0
		.amdhsa_float_denorm_mode_32 3
		.amdhsa_float_denorm_mode_16_64 3
		.amdhsa_dx10_clamp 1
		.amdhsa_ieee_mode 1
		.amdhsa_fp16_overflow 0
		.amdhsa_tg_split 0
		.amdhsa_exception_fp_ieee_invalid_op 0
		.amdhsa_exception_fp_denorm_src 0
		.amdhsa_exception_fp_ieee_div_zero 0
		.amdhsa_exception_fp_ieee_overflow 0
		.amdhsa_exception_fp_ieee_underflow 0
		.amdhsa_exception_fp_ieee_inexact 0
		.amdhsa_exception_int_div_zero 0
	.end_amdhsa_kernel
	.section	.text._ZN7rocprim17ROCPRIM_400000_NS6detail17trampoline_kernelINS0_14default_configENS1_25partition_config_selectorILNS1_17partition_subalgoE9EllbEEZZNS1_14partition_implILS5_9ELb0ES3_jPlS8_PNS0_10empty_typeENS0_5tupleIJS8_S9_EEENSB_IJS8_SA_EEENS0_18inequality_wrapperIZN2at6native12_GLOBAL__N_124unique_dim_cuda_templateIlEESt5tupleIJNSF_6TensorESK_SK_EERKSK_lbbbEUlllE0_EEPmJS9_EEE10hipError_tPvRmT3_T4_T5_T6_T7_T9_mT8_P12ihipStream_tbDpT10_ENKUlT_T0_E_clISt17integral_constantIbLb0EES1A_EEDaS15_S16_EUlS15_E_NS1_11comp_targetILNS1_3genE3ELNS1_11target_archE908ELNS1_3gpuE7ELNS1_3repE0EEENS1_30default_config_static_selectorELNS0_4arch9wavefront6targetE1EEEvT1_,"axG",@progbits,_ZN7rocprim17ROCPRIM_400000_NS6detail17trampoline_kernelINS0_14default_configENS1_25partition_config_selectorILNS1_17partition_subalgoE9EllbEEZZNS1_14partition_implILS5_9ELb0ES3_jPlS8_PNS0_10empty_typeENS0_5tupleIJS8_S9_EEENSB_IJS8_SA_EEENS0_18inequality_wrapperIZN2at6native12_GLOBAL__N_124unique_dim_cuda_templateIlEESt5tupleIJNSF_6TensorESK_SK_EERKSK_lbbbEUlllE0_EEPmJS9_EEE10hipError_tPvRmT3_T4_T5_T6_T7_T9_mT8_P12ihipStream_tbDpT10_ENKUlT_T0_E_clISt17integral_constantIbLb0EES1A_EEDaS15_S16_EUlS15_E_NS1_11comp_targetILNS1_3genE3ELNS1_11target_archE908ELNS1_3gpuE7ELNS1_3repE0EEENS1_30default_config_static_selectorELNS0_4arch9wavefront6targetE1EEEvT1_,comdat
.Lfunc_end598:
	.size	_ZN7rocprim17ROCPRIM_400000_NS6detail17trampoline_kernelINS0_14default_configENS1_25partition_config_selectorILNS1_17partition_subalgoE9EllbEEZZNS1_14partition_implILS5_9ELb0ES3_jPlS8_PNS0_10empty_typeENS0_5tupleIJS8_S9_EEENSB_IJS8_SA_EEENS0_18inequality_wrapperIZN2at6native12_GLOBAL__N_124unique_dim_cuda_templateIlEESt5tupleIJNSF_6TensorESK_SK_EERKSK_lbbbEUlllE0_EEPmJS9_EEE10hipError_tPvRmT3_T4_T5_T6_T7_T9_mT8_P12ihipStream_tbDpT10_ENKUlT_T0_E_clISt17integral_constantIbLb0EES1A_EEDaS15_S16_EUlS15_E_NS1_11comp_targetILNS1_3genE3ELNS1_11target_archE908ELNS1_3gpuE7ELNS1_3repE0EEENS1_30default_config_static_selectorELNS0_4arch9wavefront6targetE1EEEvT1_, .Lfunc_end598-_ZN7rocprim17ROCPRIM_400000_NS6detail17trampoline_kernelINS0_14default_configENS1_25partition_config_selectorILNS1_17partition_subalgoE9EllbEEZZNS1_14partition_implILS5_9ELb0ES3_jPlS8_PNS0_10empty_typeENS0_5tupleIJS8_S9_EEENSB_IJS8_SA_EEENS0_18inequality_wrapperIZN2at6native12_GLOBAL__N_124unique_dim_cuda_templateIlEESt5tupleIJNSF_6TensorESK_SK_EERKSK_lbbbEUlllE0_EEPmJS9_EEE10hipError_tPvRmT3_T4_T5_T6_T7_T9_mT8_P12ihipStream_tbDpT10_ENKUlT_T0_E_clISt17integral_constantIbLb0EES1A_EEDaS15_S16_EUlS15_E_NS1_11comp_targetILNS1_3genE3ELNS1_11target_archE908ELNS1_3gpuE7ELNS1_3repE0EEENS1_30default_config_static_selectorELNS0_4arch9wavefront6targetE1EEEvT1_
                                        ; -- End function
	.section	.AMDGPU.csdata,"",@progbits
; Kernel info:
; codeLenInByte = 0
; NumSgprs: 4
; NumVgprs: 0
; NumAgprs: 0
; TotalNumVgprs: 0
; ScratchSize: 0
; MemoryBound: 0
; FloatMode: 240
; IeeeMode: 1
; LDSByteSize: 0 bytes/workgroup (compile time only)
; SGPRBlocks: 0
; VGPRBlocks: 0
; NumSGPRsForWavesPerEU: 4
; NumVGPRsForWavesPerEU: 1
; AccumOffset: 4
; Occupancy: 8
; WaveLimiterHint : 0
; COMPUTE_PGM_RSRC2:SCRATCH_EN: 0
; COMPUTE_PGM_RSRC2:USER_SGPR: 6
; COMPUTE_PGM_RSRC2:TRAP_HANDLER: 0
; COMPUTE_PGM_RSRC2:TGID_X_EN: 1
; COMPUTE_PGM_RSRC2:TGID_Y_EN: 0
; COMPUTE_PGM_RSRC2:TGID_Z_EN: 0
; COMPUTE_PGM_RSRC2:TIDIG_COMP_CNT: 0
; COMPUTE_PGM_RSRC3_GFX90A:ACCUM_OFFSET: 0
; COMPUTE_PGM_RSRC3_GFX90A:TG_SPLIT: 0
	.section	.text._ZN7rocprim17ROCPRIM_400000_NS6detail17trampoline_kernelINS0_14default_configENS1_25partition_config_selectorILNS1_17partition_subalgoE9EllbEEZZNS1_14partition_implILS5_9ELb0ES3_jPlS8_PNS0_10empty_typeENS0_5tupleIJS8_S9_EEENSB_IJS8_SA_EEENS0_18inequality_wrapperIZN2at6native12_GLOBAL__N_124unique_dim_cuda_templateIlEESt5tupleIJNSF_6TensorESK_SK_EERKSK_lbbbEUlllE0_EEPmJS9_EEE10hipError_tPvRmT3_T4_T5_T6_T7_T9_mT8_P12ihipStream_tbDpT10_ENKUlT_T0_E_clISt17integral_constantIbLb0EES1A_EEDaS15_S16_EUlS15_E_NS1_11comp_targetILNS1_3genE2ELNS1_11target_archE906ELNS1_3gpuE6ELNS1_3repE0EEENS1_30default_config_static_selectorELNS0_4arch9wavefront6targetE1EEEvT1_,"axG",@progbits,_ZN7rocprim17ROCPRIM_400000_NS6detail17trampoline_kernelINS0_14default_configENS1_25partition_config_selectorILNS1_17partition_subalgoE9EllbEEZZNS1_14partition_implILS5_9ELb0ES3_jPlS8_PNS0_10empty_typeENS0_5tupleIJS8_S9_EEENSB_IJS8_SA_EEENS0_18inequality_wrapperIZN2at6native12_GLOBAL__N_124unique_dim_cuda_templateIlEESt5tupleIJNSF_6TensorESK_SK_EERKSK_lbbbEUlllE0_EEPmJS9_EEE10hipError_tPvRmT3_T4_T5_T6_T7_T9_mT8_P12ihipStream_tbDpT10_ENKUlT_T0_E_clISt17integral_constantIbLb0EES1A_EEDaS15_S16_EUlS15_E_NS1_11comp_targetILNS1_3genE2ELNS1_11target_archE906ELNS1_3gpuE6ELNS1_3repE0EEENS1_30default_config_static_selectorELNS0_4arch9wavefront6targetE1EEEvT1_,comdat
	.globl	_ZN7rocprim17ROCPRIM_400000_NS6detail17trampoline_kernelINS0_14default_configENS1_25partition_config_selectorILNS1_17partition_subalgoE9EllbEEZZNS1_14partition_implILS5_9ELb0ES3_jPlS8_PNS0_10empty_typeENS0_5tupleIJS8_S9_EEENSB_IJS8_SA_EEENS0_18inequality_wrapperIZN2at6native12_GLOBAL__N_124unique_dim_cuda_templateIlEESt5tupleIJNSF_6TensorESK_SK_EERKSK_lbbbEUlllE0_EEPmJS9_EEE10hipError_tPvRmT3_T4_T5_T6_T7_T9_mT8_P12ihipStream_tbDpT10_ENKUlT_T0_E_clISt17integral_constantIbLb0EES1A_EEDaS15_S16_EUlS15_E_NS1_11comp_targetILNS1_3genE2ELNS1_11target_archE906ELNS1_3gpuE6ELNS1_3repE0EEENS1_30default_config_static_selectorELNS0_4arch9wavefront6targetE1EEEvT1_ ; -- Begin function _ZN7rocprim17ROCPRIM_400000_NS6detail17trampoline_kernelINS0_14default_configENS1_25partition_config_selectorILNS1_17partition_subalgoE9EllbEEZZNS1_14partition_implILS5_9ELb0ES3_jPlS8_PNS0_10empty_typeENS0_5tupleIJS8_S9_EEENSB_IJS8_SA_EEENS0_18inequality_wrapperIZN2at6native12_GLOBAL__N_124unique_dim_cuda_templateIlEESt5tupleIJNSF_6TensorESK_SK_EERKSK_lbbbEUlllE0_EEPmJS9_EEE10hipError_tPvRmT3_T4_T5_T6_T7_T9_mT8_P12ihipStream_tbDpT10_ENKUlT_T0_E_clISt17integral_constantIbLb0EES1A_EEDaS15_S16_EUlS15_E_NS1_11comp_targetILNS1_3genE2ELNS1_11target_archE906ELNS1_3gpuE6ELNS1_3repE0EEENS1_30default_config_static_selectorELNS0_4arch9wavefront6targetE1EEEvT1_
	.p2align	8
	.type	_ZN7rocprim17ROCPRIM_400000_NS6detail17trampoline_kernelINS0_14default_configENS1_25partition_config_selectorILNS1_17partition_subalgoE9EllbEEZZNS1_14partition_implILS5_9ELb0ES3_jPlS8_PNS0_10empty_typeENS0_5tupleIJS8_S9_EEENSB_IJS8_SA_EEENS0_18inequality_wrapperIZN2at6native12_GLOBAL__N_124unique_dim_cuda_templateIlEESt5tupleIJNSF_6TensorESK_SK_EERKSK_lbbbEUlllE0_EEPmJS9_EEE10hipError_tPvRmT3_T4_T5_T6_T7_T9_mT8_P12ihipStream_tbDpT10_ENKUlT_T0_E_clISt17integral_constantIbLb0EES1A_EEDaS15_S16_EUlS15_E_NS1_11comp_targetILNS1_3genE2ELNS1_11target_archE906ELNS1_3gpuE6ELNS1_3repE0EEENS1_30default_config_static_selectorELNS0_4arch9wavefront6targetE1EEEvT1_,@function
_ZN7rocprim17ROCPRIM_400000_NS6detail17trampoline_kernelINS0_14default_configENS1_25partition_config_selectorILNS1_17partition_subalgoE9EllbEEZZNS1_14partition_implILS5_9ELb0ES3_jPlS8_PNS0_10empty_typeENS0_5tupleIJS8_S9_EEENSB_IJS8_SA_EEENS0_18inequality_wrapperIZN2at6native12_GLOBAL__N_124unique_dim_cuda_templateIlEESt5tupleIJNSF_6TensorESK_SK_EERKSK_lbbbEUlllE0_EEPmJS9_EEE10hipError_tPvRmT3_T4_T5_T6_T7_T9_mT8_P12ihipStream_tbDpT10_ENKUlT_T0_E_clISt17integral_constantIbLb0EES1A_EEDaS15_S16_EUlS15_E_NS1_11comp_targetILNS1_3genE2ELNS1_11target_archE906ELNS1_3gpuE6ELNS1_3repE0EEENS1_30default_config_static_selectorELNS0_4arch9wavefront6targetE1EEEvT1_: ; @_ZN7rocprim17ROCPRIM_400000_NS6detail17trampoline_kernelINS0_14default_configENS1_25partition_config_selectorILNS1_17partition_subalgoE9EllbEEZZNS1_14partition_implILS5_9ELb0ES3_jPlS8_PNS0_10empty_typeENS0_5tupleIJS8_S9_EEENSB_IJS8_SA_EEENS0_18inequality_wrapperIZN2at6native12_GLOBAL__N_124unique_dim_cuda_templateIlEESt5tupleIJNSF_6TensorESK_SK_EERKSK_lbbbEUlllE0_EEPmJS9_EEE10hipError_tPvRmT3_T4_T5_T6_T7_T9_mT8_P12ihipStream_tbDpT10_ENKUlT_T0_E_clISt17integral_constantIbLb0EES1A_EEDaS15_S16_EUlS15_E_NS1_11comp_targetILNS1_3genE2ELNS1_11target_archE906ELNS1_3gpuE6ELNS1_3repE0EEENS1_30default_config_static_selectorELNS0_4arch9wavefront6targetE1EEEvT1_
; %bb.0:
	.section	.rodata,"a",@progbits
	.p2align	6, 0x0
	.amdhsa_kernel _ZN7rocprim17ROCPRIM_400000_NS6detail17trampoline_kernelINS0_14default_configENS1_25partition_config_selectorILNS1_17partition_subalgoE9EllbEEZZNS1_14partition_implILS5_9ELb0ES3_jPlS8_PNS0_10empty_typeENS0_5tupleIJS8_S9_EEENSB_IJS8_SA_EEENS0_18inequality_wrapperIZN2at6native12_GLOBAL__N_124unique_dim_cuda_templateIlEESt5tupleIJNSF_6TensorESK_SK_EERKSK_lbbbEUlllE0_EEPmJS9_EEE10hipError_tPvRmT3_T4_T5_T6_T7_T9_mT8_P12ihipStream_tbDpT10_ENKUlT_T0_E_clISt17integral_constantIbLb0EES1A_EEDaS15_S16_EUlS15_E_NS1_11comp_targetILNS1_3genE2ELNS1_11target_archE906ELNS1_3gpuE6ELNS1_3repE0EEENS1_30default_config_static_selectorELNS0_4arch9wavefront6targetE1EEEvT1_
		.amdhsa_group_segment_fixed_size 0
		.amdhsa_private_segment_fixed_size 0
		.amdhsa_kernarg_size 120
		.amdhsa_user_sgpr_count 6
		.amdhsa_user_sgpr_private_segment_buffer 1
		.amdhsa_user_sgpr_dispatch_ptr 0
		.amdhsa_user_sgpr_queue_ptr 0
		.amdhsa_user_sgpr_kernarg_segment_ptr 1
		.amdhsa_user_sgpr_dispatch_id 0
		.amdhsa_user_sgpr_flat_scratch_init 0
		.amdhsa_user_sgpr_kernarg_preload_length 0
		.amdhsa_user_sgpr_kernarg_preload_offset 0
		.amdhsa_user_sgpr_private_segment_size 0
		.amdhsa_uses_dynamic_stack 0
		.amdhsa_system_sgpr_private_segment_wavefront_offset 0
		.amdhsa_system_sgpr_workgroup_id_x 1
		.amdhsa_system_sgpr_workgroup_id_y 0
		.amdhsa_system_sgpr_workgroup_id_z 0
		.amdhsa_system_sgpr_workgroup_info 0
		.amdhsa_system_vgpr_workitem_id 0
		.amdhsa_next_free_vgpr 1
		.amdhsa_next_free_sgpr 0
		.amdhsa_accum_offset 4
		.amdhsa_reserve_vcc 0
		.amdhsa_reserve_flat_scratch 0
		.amdhsa_float_round_mode_32 0
		.amdhsa_float_round_mode_16_64 0
		.amdhsa_float_denorm_mode_32 3
		.amdhsa_float_denorm_mode_16_64 3
		.amdhsa_dx10_clamp 1
		.amdhsa_ieee_mode 1
		.amdhsa_fp16_overflow 0
		.amdhsa_tg_split 0
		.amdhsa_exception_fp_ieee_invalid_op 0
		.amdhsa_exception_fp_denorm_src 0
		.amdhsa_exception_fp_ieee_div_zero 0
		.amdhsa_exception_fp_ieee_overflow 0
		.amdhsa_exception_fp_ieee_underflow 0
		.amdhsa_exception_fp_ieee_inexact 0
		.amdhsa_exception_int_div_zero 0
	.end_amdhsa_kernel
	.section	.text._ZN7rocprim17ROCPRIM_400000_NS6detail17trampoline_kernelINS0_14default_configENS1_25partition_config_selectorILNS1_17partition_subalgoE9EllbEEZZNS1_14partition_implILS5_9ELb0ES3_jPlS8_PNS0_10empty_typeENS0_5tupleIJS8_S9_EEENSB_IJS8_SA_EEENS0_18inequality_wrapperIZN2at6native12_GLOBAL__N_124unique_dim_cuda_templateIlEESt5tupleIJNSF_6TensorESK_SK_EERKSK_lbbbEUlllE0_EEPmJS9_EEE10hipError_tPvRmT3_T4_T5_T6_T7_T9_mT8_P12ihipStream_tbDpT10_ENKUlT_T0_E_clISt17integral_constantIbLb0EES1A_EEDaS15_S16_EUlS15_E_NS1_11comp_targetILNS1_3genE2ELNS1_11target_archE906ELNS1_3gpuE6ELNS1_3repE0EEENS1_30default_config_static_selectorELNS0_4arch9wavefront6targetE1EEEvT1_,"axG",@progbits,_ZN7rocprim17ROCPRIM_400000_NS6detail17trampoline_kernelINS0_14default_configENS1_25partition_config_selectorILNS1_17partition_subalgoE9EllbEEZZNS1_14partition_implILS5_9ELb0ES3_jPlS8_PNS0_10empty_typeENS0_5tupleIJS8_S9_EEENSB_IJS8_SA_EEENS0_18inequality_wrapperIZN2at6native12_GLOBAL__N_124unique_dim_cuda_templateIlEESt5tupleIJNSF_6TensorESK_SK_EERKSK_lbbbEUlllE0_EEPmJS9_EEE10hipError_tPvRmT3_T4_T5_T6_T7_T9_mT8_P12ihipStream_tbDpT10_ENKUlT_T0_E_clISt17integral_constantIbLb0EES1A_EEDaS15_S16_EUlS15_E_NS1_11comp_targetILNS1_3genE2ELNS1_11target_archE906ELNS1_3gpuE6ELNS1_3repE0EEENS1_30default_config_static_selectorELNS0_4arch9wavefront6targetE1EEEvT1_,comdat
.Lfunc_end599:
	.size	_ZN7rocprim17ROCPRIM_400000_NS6detail17trampoline_kernelINS0_14default_configENS1_25partition_config_selectorILNS1_17partition_subalgoE9EllbEEZZNS1_14partition_implILS5_9ELb0ES3_jPlS8_PNS0_10empty_typeENS0_5tupleIJS8_S9_EEENSB_IJS8_SA_EEENS0_18inequality_wrapperIZN2at6native12_GLOBAL__N_124unique_dim_cuda_templateIlEESt5tupleIJNSF_6TensorESK_SK_EERKSK_lbbbEUlllE0_EEPmJS9_EEE10hipError_tPvRmT3_T4_T5_T6_T7_T9_mT8_P12ihipStream_tbDpT10_ENKUlT_T0_E_clISt17integral_constantIbLb0EES1A_EEDaS15_S16_EUlS15_E_NS1_11comp_targetILNS1_3genE2ELNS1_11target_archE906ELNS1_3gpuE6ELNS1_3repE0EEENS1_30default_config_static_selectorELNS0_4arch9wavefront6targetE1EEEvT1_, .Lfunc_end599-_ZN7rocprim17ROCPRIM_400000_NS6detail17trampoline_kernelINS0_14default_configENS1_25partition_config_selectorILNS1_17partition_subalgoE9EllbEEZZNS1_14partition_implILS5_9ELb0ES3_jPlS8_PNS0_10empty_typeENS0_5tupleIJS8_S9_EEENSB_IJS8_SA_EEENS0_18inequality_wrapperIZN2at6native12_GLOBAL__N_124unique_dim_cuda_templateIlEESt5tupleIJNSF_6TensorESK_SK_EERKSK_lbbbEUlllE0_EEPmJS9_EEE10hipError_tPvRmT3_T4_T5_T6_T7_T9_mT8_P12ihipStream_tbDpT10_ENKUlT_T0_E_clISt17integral_constantIbLb0EES1A_EEDaS15_S16_EUlS15_E_NS1_11comp_targetILNS1_3genE2ELNS1_11target_archE906ELNS1_3gpuE6ELNS1_3repE0EEENS1_30default_config_static_selectorELNS0_4arch9wavefront6targetE1EEEvT1_
                                        ; -- End function
	.section	.AMDGPU.csdata,"",@progbits
; Kernel info:
; codeLenInByte = 0
; NumSgprs: 4
; NumVgprs: 0
; NumAgprs: 0
; TotalNumVgprs: 0
; ScratchSize: 0
; MemoryBound: 0
; FloatMode: 240
; IeeeMode: 1
; LDSByteSize: 0 bytes/workgroup (compile time only)
; SGPRBlocks: 0
; VGPRBlocks: 0
; NumSGPRsForWavesPerEU: 4
; NumVGPRsForWavesPerEU: 1
; AccumOffset: 4
; Occupancy: 8
; WaveLimiterHint : 0
; COMPUTE_PGM_RSRC2:SCRATCH_EN: 0
; COMPUTE_PGM_RSRC2:USER_SGPR: 6
; COMPUTE_PGM_RSRC2:TRAP_HANDLER: 0
; COMPUTE_PGM_RSRC2:TGID_X_EN: 1
; COMPUTE_PGM_RSRC2:TGID_Y_EN: 0
; COMPUTE_PGM_RSRC2:TGID_Z_EN: 0
; COMPUTE_PGM_RSRC2:TIDIG_COMP_CNT: 0
; COMPUTE_PGM_RSRC3_GFX90A:ACCUM_OFFSET: 0
; COMPUTE_PGM_RSRC3_GFX90A:TG_SPLIT: 0
	.section	.text._ZN7rocprim17ROCPRIM_400000_NS6detail17trampoline_kernelINS0_14default_configENS1_25partition_config_selectorILNS1_17partition_subalgoE9EllbEEZZNS1_14partition_implILS5_9ELb0ES3_jPlS8_PNS0_10empty_typeENS0_5tupleIJS8_S9_EEENSB_IJS8_SA_EEENS0_18inequality_wrapperIZN2at6native12_GLOBAL__N_124unique_dim_cuda_templateIlEESt5tupleIJNSF_6TensorESK_SK_EERKSK_lbbbEUlllE0_EEPmJS9_EEE10hipError_tPvRmT3_T4_T5_T6_T7_T9_mT8_P12ihipStream_tbDpT10_ENKUlT_T0_E_clISt17integral_constantIbLb0EES1A_EEDaS15_S16_EUlS15_E_NS1_11comp_targetILNS1_3genE10ELNS1_11target_archE1200ELNS1_3gpuE4ELNS1_3repE0EEENS1_30default_config_static_selectorELNS0_4arch9wavefront6targetE1EEEvT1_,"axG",@progbits,_ZN7rocprim17ROCPRIM_400000_NS6detail17trampoline_kernelINS0_14default_configENS1_25partition_config_selectorILNS1_17partition_subalgoE9EllbEEZZNS1_14partition_implILS5_9ELb0ES3_jPlS8_PNS0_10empty_typeENS0_5tupleIJS8_S9_EEENSB_IJS8_SA_EEENS0_18inequality_wrapperIZN2at6native12_GLOBAL__N_124unique_dim_cuda_templateIlEESt5tupleIJNSF_6TensorESK_SK_EERKSK_lbbbEUlllE0_EEPmJS9_EEE10hipError_tPvRmT3_T4_T5_T6_T7_T9_mT8_P12ihipStream_tbDpT10_ENKUlT_T0_E_clISt17integral_constantIbLb0EES1A_EEDaS15_S16_EUlS15_E_NS1_11comp_targetILNS1_3genE10ELNS1_11target_archE1200ELNS1_3gpuE4ELNS1_3repE0EEENS1_30default_config_static_selectorELNS0_4arch9wavefront6targetE1EEEvT1_,comdat
	.globl	_ZN7rocprim17ROCPRIM_400000_NS6detail17trampoline_kernelINS0_14default_configENS1_25partition_config_selectorILNS1_17partition_subalgoE9EllbEEZZNS1_14partition_implILS5_9ELb0ES3_jPlS8_PNS0_10empty_typeENS0_5tupleIJS8_S9_EEENSB_IJS8_SA_EEENS0_18inequality_wrapperIZN2at6native12_GLOBAL__N_124unique_dim_cuda_templateIlEESt5tupleIJNSF_6TensorESK_SK_EERKSK_lbbbEUlllE0_EEPmJS9_EEE10hipError_tPvRmT3_T4_T5_T6_T7_T9_mT8_P12ihipStream_tbDpT10_ENKUlT_T0_E_clISt17integral_constantIbLb0EES1A_EEDaS15_S16_EUlS15_E_NS1_11comp_targetILNS1_3genE10ELNS1_11target_archE1200ELNS1_3gpuE4ELNS1_3repE0EEENS1_30default_config_static_selectorELNS0_4arch9wavefront6targetE1EEEvT1_ ; -- Begin function _ZN7rocprim17ROCPRIM_400000_NS6detail17trampoline_kernelINS0_14default_configENS1_25partition_config_selectorILNS1_17partition_subalgoE9EllbEEZZNS1_14partition_implILS5_9ELb0ES3_jPlS8_PNS0_10empty_typeENS0_5tupleIJS8_S9_EEENSB_IJS8_SA_EEENS0_18inequality_wrapperIZN2at6native12_GLOBAL__N_124unique_dim_cuda_templateIlEESt5tupleIJNSF_6TensorESK_SK_EERKSK_lbbbEUlllE0_EEPmJS9_EEE10hipError_tPvRmT3_T4_T5_T6_T7_T9_mT8_P12ihipStream_tbDpT10_ENKUlT_T0_E_clISt17integral_constantIbLb0EES1A_EEDaS15_S16_EUlS15_E_NS1_11comp_targetILNS1_3genE10ELNS1_11target_archE1200ELNS1_3gpuE4ELNS1_3repE0EEENS1_30default_config_static_selectorELNS0_4arch9wavefront6targetE1EEEvT1_
	.p2align	8
	.type	_ZN7rocprim17ROCPRIM_400000_NS6detail17trampoline_kernelINS0_14default_configENS1_25partition_config_selectorILNS1_17partition_subalgoE9EllbEEZZNS1_14partition_implILS5_9ELb0ES3_jPlS8_PNS0_10empty_typeENS0_5tupleIJS8_S9_EEENSB_IJS8_SA_EEENS0_18inequality_wrapperIZN2at6native12_GLOBAL__N_124unique_dim_cuda_templateIlEESt5tupleIJNSF_6TensorESK_SK_EERKSK_lbbbEUlllE0_EEPmJS9_EEE10hipError_tPvRmT3_T4_T5_T6_T7_T9_mT8_P12ihipStream_tbDpT10_ENKUlT_T0_E_clISt17integral_constantIbLb0EES1A_EEDaS15_S16_EUlS15_E_NS1_11comp_targetILNS1_3genE10ELNS1_11target_archE1200ELNS1_3gpuE4ELNS1_3repE0EEENS1_30default_config_static_selectorELNS0_4arch9wavefront6targetE1EEEvT1_,@function
_ZN7rocprim17ROCPRIM_400000_NS6detail17trampoline_kernelINS0_14default_configENS1_25partition_config_selectorILNS1_17partition_subalgoE9EllbEEZZNS1_14partition_implILS5_9ELb0ES3_jPlS8_PNS0_10empty_typeENS0_5tupleIJS8_S9_EEENSB_IJS8_SA_EEENS0_18inequality_wrapperIZN2at6native12_GLOBAL__N_124unique_dim_cuda_templateIlEESt5tupleIJNSF_6TensorESK_SK_EERKSK_lbbbEUlllE0_EEPmJS9_EEE10hipError_tPvRmT3_T4_T5_T6_T7_T9_mT8_P12ihipStream_tbDpT10_ENKUlT_T0_E_clISt17integral_constantIbLb0EES1A_EEDaS15_S16_EUlS15_E_NS1_11comp_targetILNS1_3genE10ELNS1_11target_archE1200ELNS1_3gpuE4ELNS1_3repE0EEENS1_30default_config_static_selectorELNS0_4arch9wavefront6targetE1EEEvT1_: ; @_ZN7rocprim17ROCPRIM_400000_NS6detail17trampoline_kernelINS0_14default_configENS1_25partition_config_selectorILNS1_17partition_subalgoE9EllbEEZZNS1_14partition_implILS5_9ELb0ES3_jPlS8_PNS0_10empty_typeENS0_5tupleIJS8_S9_EEENSB_IJS8_SA_EEENS0_18inequality_wrapperIZN2at6native12_GLOBAL__N_124unique_dim_cuda_templateIlEESt5tupleIJNSF_6TensorESK_SK_EERKSK_lbbbEUlllE0_EEPmJS9_EEE10hipError_tPvRmT3_T4_T5_T6_T7_T9_mT8_P12ihipStream_tbDpT10_ENKUlT_T0_E_clISt17integral_constantIbLb0EES1A_EEDaS15_S16_EUlS15_E_NS1_11comp_targetILNS1_3genE10ELNS1_11target_archE1200ELNS1_3gpuE4ELNS1_3repE0EEENS1_30default_config_static_selectorELNS0_4arch9wavefront6targetE1EEEvT1_
; %bb.0:
	.section	.rodata,"a",@progbits
	.p2align	6, 0x0
	.amdhsa_kernel _ZN7rocprim17ROCPRIM_400000_NS6detail17trampoline_kernelINS0_14default_configENS1_25partition_config_selectorILNS1_17partition_subalgoE9EllbEEZZNS1_14partition_implILS5_9ELb0ES3_jPlS8_PNS0_10empty_typeENS0_5tupleIJS8_S9_EEENSB_IJS8_SA_EEENS0_18inequality_wrapperIZN2at6native12_GLOBAL__N_124unique_dim_cuda_templateIlEESt5tupleIJNSF_6TensorESK_SK_EERKSK_lbbbEUlllE0_EEPmJS9_EEE10hipError_tPvRmT3_T4_T5_T6_T7_T9_mT8_P12ihipStream_tbDpT10_ENKUlT_T0_E_clISt17integral_constantIbLb0EES1A_EEDaS15_S16_EUlS15_E_NS1_11comp_targetILNS1_3genE10ELNS1_11target_archE1200ELNS1_3gpuE4ELNS1_3repE0EEENS1_30default_config_static_selectorELNS0_4arch9wavefront6targetE1EEEvT1_
		.amdhsa_group_segment_fixed_size 0
		.amdhsa_private_segment_fixed_size 0
		.amdhsa_kernarg_size 120
		.amdhsa_user_sgpr_count 6
		.amdhsa_user_sgpr_private_segment_buffer 1
		.amdhsa_user_sgpr_dispatch_ptr 0
		.amdhsa_user_sgpr_queue_ptr 0
		.amdhsa_user_sgpr_kernarg_segment_ptr 1
		.amdhsa_user_sgpr_dispatch_id 0
		.amdhsa_user_sgpr_flat_scratch_init 0
		.amdhsa_user_sgpr_kernarg_preload_length 0
		.amdhsa_user_sgpr_kernarg_preload_offset 0
		.amdhsa_user_sgpr_private_segment_size 0
		.amdhsa_uses_dynamic_stack 0
		.amdhsa_system_sgpr_private_segment_wavefront_offset 0
		.amdhsa_system_sgpr_workgroup_id_x 1
		.amdhsa_system_sgpr_workgroup_id_y 0
		.amdhsa_system_sgpr_workgroup_id_z 0
		.amdhsa_system_sgpr_workgroup_info 0
		.amdhsa_system_vgpr_workitem_id 0
		.amdhsa_next_free_vgpr 1
		.amdhsa_next_free_sgpr 0
		.amdhsa_accum_offset 4
		.amdhsa_reserve_vcc 0
		.amdhsa_reserve_flat_scratch 0
		.amdhsa_float_round_mode_32 0
		.amdhsa_float_round_mode_16_64 0
		.amdhsa_float_denorm_mode_32 3
		.amdhsa_float_denorm_mode_16_64 3
		.amdhsa_dx10_clamp 1
		.amdhsa_ieee_mode 1
		.amdhsa_fp16_overflow 0
		.amdhsa_tg_split 0
		.amdhsa_exception_fp_ieee_invalid_op 0
		.amdhsa_exception_fp_denorm_src 0
		.amdhsa_exception_fp_ieee_div_zero 0
		.amdhsa_exception_fp_ieee_overflow 0
		.amdhsa_exception_fp_ieee_underflow 0
		.amdhsa_exception_fp_ieee_inexact 0
		.amdhsa_exception_int_div_zero 0
	.end_amdhsa_kernel
	.section	.text._ZN7rocprim17ROCPRIM_400000_NS6detail17trampoline_kernelINS0_14default_configENS1_25partition_config_selectorILNS1_17partition_subalgoE9EllbEEZZNS1_14partition_implILS5_9ELb0ES3_jPlS8_PNS0_10empty_typeENS0_5tupleIJS8_S9_EEENSB_IJS8_SA_EEENS0_18inequality_wrapperIZN2at6native12_GLOBAL__N_124unique_dim_cuda_templateIlEESt5tupleIJNSF_6TensorESK_SK_EERKSK_lbbbEUlllE0_EEPmJS9_EEE10hipError_tPvRmT3_T4_T5_T6_T7_T9_mT8_P12ihipStream_tbDpT10_ENKUlT_T0_E_clISt17integral_constantIbLb0EES1A_EEDaS15_S16_EUlS15_E_NS1_11comp_targetILNS1_3genE10ELNS1_11target_archE1200ELNS1_3gpuE4ELNS1_3repE0EEENS1_30default_config_static_selectorELNS0_4arch9wavefront6targetE1EEEvT1_,"axG",@progbits,_ZN7rocprim17ROCPRIM_400000_NS6detail17trampoline_kernelINS0_14default_configENS1_25partition_config_selectorILNS1_17partition_subalgoE9EllbEEZZNS1_14partition_implILS5_9ELb0ES3_jPlS8_PNS0_10empty_typeENS0_5tupleIJS8_S9_EEENSB_IJS8_SA_EEENS0_18inequality_wrapperIZN2at6native12_GLOBAL__N_124unique_dim_cuda_templateIlEESt5tupleIJNSF_6TensorESK_SK_EERKSK_lbbbEUlllE0_EEPmJS9_EEE10hipError_tPvRmT3_T4_T5_T6_T7_T9_mT8_P12ihipStream_tbDpT10_ENKUlT_T0_E_clISt17integral_constantIbLb0EES1A_EEDaS15_S16_EUlS15_E_NS1_11comp_targetILNS1_3genE10ELNS1_11target_archE1200ELNS1_3gpuE4ELNS1_3repE0EEENS1_30default_config_static_selectorELNS0_4arch9wavefront6targetE1EEEvT1_,comdat
.Lfunc_end600:
	.size	_ZN7rocprim17ROCPRIM_400000_NS6detail17trampoline_kernelINS0_14default_configENS1_25partition_config_selectorILNS1_17partition_subalgoE9EllbEEZZNS1_14partition_implILS5_9ELb0ES3_jPlS8_PNS0_10empty_typeENS0_5tupleIJS8_S9_EEENSB_IJS8_SA_EEENS0_18inequality_wrapperIZN2at6native12_GLOBAL__N_124unique_dim_cuda_templateIlEESt5tupleIJNSF_6TensorESK_SK_EERKSK_lbbbEUlllE0_EEPmJS9_EEE10hipError_tPvRmT3_T4_T5_T6_T7_T9_mT8_P12ihipStream_tbDpT10_ENKUlT_T0_E_clISt17integral_constantIbLb0EES1A_EEDaS15_S16_EUlS15_E_NS1_11comp_targetILNS1_3genE10ELNS1_11target_archE1200ELNS1_3gpuE4ELNS1_3repE0EEENS1_30default_config_static_selectorELNS0_4arch9wavefront6targetE1EEEvT1_, .Lfunc_end600-_ZN7rocprim17ROCPRIM_400000_NS6detail17trampoline_kernelINS0_14default_configENS1_25partition_config_selectorILNS1_17partition_subalgoE9EllbEEZZNS1_14partition_implILS5_9ELb0ES3_jPlS8_PNS0_10empty_typeENS0_5tupleIJS8_S9_EEENSB_IJS8_SA_EEENS0_18inequality_wrapperIZN2at6native12_GLOBAL__N_124unique_dim_cuda_templateIlEESt5tupleIJNSF_6TensorESK_SK_EERKSK_lbbbEUlllE0_EEPmJS9_EEE10hipError_tPvRmT3_T4_T5_T6_T7_T9_mT8_P12ihipStream_tbDpT10_ENKUlT_T0_E_clISt17integral_constantIbLb0EES1A_EEDaS15_S16_EUlS15_E_NS1_11comp_targetILNS1_3genE10ELNS1_11target_archE1200ELNS1_3gpuE4ELNS1_3repE0EEENS1_30default_config_static_selectorELNS0_4arch9wavefront6targetE1EEEvT1_
                                        ; -- End function
	.section	.AMDGPU.csdata,"",@progbits
; Kernel info:
; codeLenInByte = 0
; NumSgprs: 4
; NumVgprs: 0
; NumAgprs: 0
; TotalNumVgprs: 0
; ScratchSize: 0
; MemoryBound: 0
; FloatMode: 240
; IeeeMode: 1
; LDSByteSize: 0 bytes/workgroup (compile time only)
; SGPRBlocks: 0
; VGPRBlocks: 0
; NumSGPRsForWavesPerEU: 4
; NumVGPRsForWavesPerEU: 1
; AccumOffset: 4
; Occupancy: 8
; WaveLimiterHint : 0
; COMPUTE_PGM_RSRC2:SCRATCH_EN: 0
; COMPUTE_PGM_RSRC2:USER_SGPR: 6
; COMPUTE_PGM_RSRC2:TRAP_HANDLER: 0
; COMPUTE_PGM_RSRC2:TGID_X_EN: 1
; COMPUTE_PGM_RSRC2:TGID_Y_EN: 0
; COMPUTE_PGM_RSRC2:TGID_Z_EN: 0
; COMPUTE_PGM_RSRC2:TIDIG_COMP_CNT: 0
; COMPUTE_PGM_RSRC3_GFX90A:ACCUM_OFFSET: 0
; COMPUTE_PGM_RSRC3_GFX90A:TG_SPLIT: 0
	.section	.text._ZN7rocprim17ROCPRIM_400000_NS6detail17trampoline_kernelINS0_14default_configENS1_25partition_config_selectorILNS1_17partition_subalgoE9EllbEEZZNS1_14partition_implILS5_9ELb0ES3_jPlS8_PNS0_10empty_typeENS0_5tupleIJS8_S9_EEENSB_IJS8_SA_EEENS0_18inequality_wrapperIZN2at6native12_GLOBAL__N_124unique_dim_cuda_templateIlEESt5tupleIJNSF_6TensorESK_SK_EERKSK_lbbbEUlllE0_EEPmJS9_EEE10hipError_tPvRmT3_T4_T5_T6_T7_T9_mT8_P12ihipStream_tbDpT10_ENKUlT_T0_E_clISt17integral_constantIbLb0EES1A_EEDaS15_S16_EUlS15_E_NS1_11comp_targetILNS1_3genE9ELNS1_11target_archE1100ELNS1_3gpuE3ELNS1_3repE0EEENS1_30default_config_static_selectorELNS0_4arch9wavefront6targetE1EEEvT1_,"axG",@progbits,_ZN7rocprim17ROCPRIM_400000_NS6detail17trampoline_kernelINS0_14default_configENS1_25partition_config_selectorILNS1_17partition_subalgoE9EllbEEZZNS1_14partition_implILS5_9ELb0ES3_jPlS8_PNS0_10empty_typeENS0_5tupleIJS8_S9_EEENSB_IJS8_SA_EEENS0_18inequality_wrapperIZN2at6native12_GLOBAL__N_124unique_dim_cuda_templateIlEESt5tupleIJNSF_6TensorESK_SK_EERKSK_lbbbEUlllE0_EEPmJS9_EEE10hipError_tPvRmT3_T4_T5_T6_T7_T9_mT8_P12ihipStream_tbDpT10_ENKUlT_T0_E_clISt17integral_constantIbLb0EES1A_EEDaS15_S16_EUlS15_E_NS1_11comp_targetILNS1_3genE9ELNS1_11target_archE1100ELNS1_3gpuE3ELNS1_3repE0EEENS1_30default_config_static_selectorELNS0_4arch9wavefront6targetE1EEEvT1_,comdat
	.globl	_ZN7rocprim17ROCPRIM_400000_NS6detail17trampoline_kernelINS0_14default_configENS1_25partition_config_selectorILNS1_17partition_subalgoE9EllbEEZZNS1_14partition_implILS5_9ELb0ES3_jPlS8_PNS0_10empty_typeENS0_5tupleIJS8_S9_EEENSB_IJS8_SA_EEENS0_18inequality_wrapperIZN2at6native12_GLOBAL__N_124unique_dim_cuda_templateIlEESt5tupleIJNSF_6TensorESK_SK_EERKSK_lbbbEUlllE0_EEPmJS9_EEE10hipError_tPvRmT3_T4_T5_T6_T7_T9_mT8_P12ihipStream_tbDpT10_ENKUlT_T0_E_clISt17integral_constantIbLb0EES1A_EEDaS15_S16_EUlS15_E_NS1_11comp_targetILNS1_3genE9ELNS1_11target_archE1100ELNS1_3gpuE3ELNS1_3repE0EEENS1_30default_config_static_selectorELNS0_4arch9wavefront6targetE1EEEvT1_ ; -- Begin function _ZN7rocprim17ROCPRIM_400000_NS6detail17trampoline_kernelINS0_14default_configENS1_25partition_config_selectorILNS1_17partition_subalgoE9EllbEEZZNS1_14partition_implILS5_9ELb0ES3_jPlS8_PNS0_10empty_typeENS0_5tupleIJS8_S9_EEENSB_IJS8_SA_EEENS0_18inequality_wrapperIZN2at6native12_GLOBAL__N_124unique_dim_cuda_templateIlEESt5tupleIJNSF_6TensorESK_SK_EERKSK_lbbbEUlllE0_EEPmJS9_EEE10hipError_tPvRmT3_T4_T5_T6_T7_T9_mT8_P12ihipStream_tbDpT10_ENKUlT_T0_E_clISt17integral_constantIbLb0EES1A_EEDaS15_S16_EUlS15_E_NS1_11comp_targetILNS1_3genE9ELNS1_11target_archE1100ELNS1_3gpuE3ELNS1_3repE0EEENS1_30default_config_static_selectorELNS0_4arch9wavefront6targetE1EEEvT1_
	.p2align	8
	.type	_ZN7rocprim17ROCPRIM_400000_NS6detail17trampoline_kernelINS0_14default_configENS1_25partition_config_selectorILNS1_17partition_subalgoE9EllbEEZZNS1_14partition_implILS5_9ELb0ES3_jPlS8_PNS0_10empty_typeENS0_5tupleIJS8_S9_EEENSB_IJS8_SA_EEENS0_18inequality_wrapperIZN2at6native12_GLOBAL__N_124unique_dim_cuda_templateIlEESt5tupleIJNSF_6TensorESK_SK_EERKSK_lbbbEUlllE0_EEPmJS9_EEE10hipError_tPvRmT3_T4_T5_T6_T7_T9_mT8_P12ihipStream_tbDpT10_ENKUlT_T0_E_clISt17integral_constantIbLb0EES1A_EEDaS15_S16_EUlS15_E_NS1_11comp_targetILNS1_3genE9ELNS1_11target_archE1100ELNS1_3gpuE3ELNS1_3repE0EEENS1_30default_config_static_selectorELNS0_4arch9wavefront6targetE1EEEvT1_,@function
_ZN7rocprim17ROCPRIM_400000_NS6detail17trampoline_kernelINS0_14default_configENS1_25partition_config_selectorILNS1_17partition_subalgoE9EllbEEZZNS1_14partition_implILS5_9ELb0ES3_jPlS8_PNS0_10empty_typeENS0_5tupleIJS8_S9_EEENSB_IJS8_SA_EEENS0_18inequality_wrapperIZN2at6native12_GLOBAL__N_124unique_dim_cuda_templateIlEESt5tupleIJNSF_6TensorESK_SK_EERKSK_lbbbEUlllE0_EEPmJS9_EEE10hipError_tPvRmT3_T4_T5_T6_T7_T9_mT8_P12ihipStream_tbDpT10_ENKUlT_T0_E_clISt17integral_constantIbLb0EES1A_EEDaS15_S16_EUlS15_E_NS1_11comp_targetILNS1_3genE9ELNS1_11target_archE1100ELNS1_3gpuE3ELNS1_3repE0EEENS1_30default_config_static_selectorELNS0_4arch9wavefront6targetE1EEEvT1_: ; @_ZN7rocprim17ROCPRIM_400000_NS6detail17trampoline_kernelINS0_14default_configENS1_25partition_config_selectorILNS1_17partition_subalgoE9EllbEEZZNS1_14partition_implILS5_9ELb0ES3_jPlS8_PNS0_10empty_typeENS0_5tupleIJS8_S9_EEENSB_IJS8_SA_EEENS0_18inequality_wrapperIZN2at6native12_GLOBAL__N_124unique_dim_cuda_templateIlEESt5tupleIJNSF_6TensorESK_SK_EERKSK_lbbbEUlllE0_EEPmJS9_EEE10hipError_tPvRmT3_T4_T5_T6_T7_T9_mT8_P12ihipStream_tbDpT10_ENKUlT_T0_E_clISt17integral_constantIbLb0EES1A_EEDaS15_S16_EUlS15_E_NS1_11comp_targetILNS1_3genE9ELNS1_11target_archE1100ELNS1_3gpuE3ELNS1_3repE0EEENS1_30default_config_static_selectorELNS0_4arch9wavefront6targetE1EEEvT1_
; %bb.0:
	.section	.rodata,"a",@progbits
	.p2align	6, 0x0
	.amdhsa_kernel _ZN7rocprim17ROCPRIM_400000_NS6detail17trampoline_kernelINS0_14default_configENS1_25partition_config_selectorILNS1_17partition_subalgoE9EllbEEZZNS1_14partition_implILS5_9ELb0ES3_jPlS8_PNS0_10empty_typeENS0_5tupleIJS8_S9_EEENSB_IJS8_SA_EEENS0_18inequality_wrapperIZN2at6native12_GLOBAL__N_124unique_dim_cuda_templateIlEESt5tupleIJNSF_6TensorESK_SK_EERKSK_lbbbEUlllE0_EEPmJS9_EEE10hipError_tPvRmT3_T4_T5_T6_T7_T9_mT8_P12ihipStream_tbDpT10_ENKUlT_T0_E_clISt17integral_constantIbLb0EES1A_EEDaS15_S16_EUlS15_E_NS1_11comp_targetILNS1_3genE9ELNS1_11target_archE1100ELNS1_3gpuE3ELNS1_3repE0EEENS1_30default_config_static_selectorELNS0_4arch9wavefront6targetE1EEEvT1_
		.amdhsa_group_segment_fixed_size 0
		.amdhsa_private_segment_fixed_size 0
		.amdhsa_kernarg_size 120
		.amdhsa_user_sgpr_count 6
		.amdhsa_user_sgpr_private_segment_buffer 1
		.amdhsa_user_sgpr_dispatch_ptr 0
		.amdhsa_user_sgpr_queue_ptr 0
		.amdhsa_user_sgpr_kernarg_segment_ptr 1
		.amdhsa_user_sgpr_dispatch_id 0
		.amdhsa_user_sgpr_flat_scratch_init 0
		.amdhsa_user_sgpr_kernarg_preload_length 0
		.amdhsa_user_sgpr_kernarg_preload_offset 0
		.amdhsa_user_sgpr_private_segment_size 0
		.amdhsa_uses_dynamic_stack 0
		.amdhsa_system_sgpr_private_segment_wavefront_offset 0
		.amdhsa_system_sgpr_workgroup_id_x 1
		.amdhsa_system_sgpr_workgroup_id_y 0
		.amdhsa_system_sgpr_workgroup_id_z 0
		.amdhsa_system_sgpr_workgroup_info 0
		.amdhsa_system_vgpr_workitem_id 0
		.amdhsa_next_free_vgpr 1
		.amdhsa_next_free_sgpr 0
		.amdhsa_accum_offset 4
		.amdhsa_reserve_vcc 0
		.amdhsa_reserve_flat_scratch 0
		.amdhsa_float_round_mode_32 0
		.amdhsa_float_round_mode_16_64 0
		.amdhsa_float_denorm_mode_32 3
		.amdhsa_float_denorm_mode_16_64 3
		.amdhsa_dx10_clamp 1
		.amdhsa_ieee_mode 1
		.amdhsa_fp16_overflow 0
		.amdhsa_tg_split 0
		.amdhsa_exception_fp_ieee_invalid_op 0
		.amdhsa_exception_fp_denorm_src 0
		.amdhsa_exception_fp_ieee_div_zero 0
		.amdhsa_exception_fp_ieee_overflow 0
		.amdhsa_exception_fp_ieee_underflow 0
		.amdhsa_exception_fp_ieee_inexact 0
		.amdhsa_exception_int_div_zero 0
	.end_amdhsa_kernel
	.section	.text._ZN7rocprim17ROCPRIM_400000_NS6detail17trampoline_kernelINS0_14default_configENS1_25partition_config_selectorILNS1_17partition_subalgoE9EllbEEZZNS1_14partition_implILS5_9ELb0ES3_jPlS8_PNS0_10empty_typeENS0_5tupleIJS8_S9_EEENSB_IJS8_SA_EEENS0_18inequality_wrapperIZN2at6native12_GLOBAL__N_124unique_dim_cuda_templateIlEESt5tupleIJNSF_6TensorESK_SK_EERKSK_lbbbEUlllE0_EEPmJS9_EEE10hipError_tPvRmT3_T4_T5_T6_T7_T9_mT8_P12ihipStream_tbDpT10_ENKUlT_T0_E_clISt17integral_constantIbLb0EES1A_EEDaS15_S16_EUlS15_E_NS1_11comp_targetILNS1_3genE9ELNS1_11target_archE1100ELNS1_3gpuE3ELNS1_3repE0EEENS1_30default_config_static_selectorELNS0_4arch9wavefront6targetE1EEEvT1_,"axG",@progbits,_ZN7rocprim17ROCPRIM_400000_NS6detail17trampoline_kernelINS0_14default_configENS1_25partition_config_selectorILNS1_17partition_subalgoE9EllbEEZZNS1_14partition_implILS5_9ELb0ES3_jPlS8_PNS0_10empty_typeENS0_5tupleIJS8_S9_EEENSB_IJS8_SA_EEENS0_18inequality_wrapperIZN2at6native12_GLOBAL__N_124unique_dim_cuda_templateIlEESt5tupleIJNSF_6TensorESK_SK_EERKSK_lbbbEUlllE0_EEPmJS9_EEE10hipError_tPvRmT3_T4_T5_T6_T7_T9_mT8_P12ihipStream_tbDpT10_ENKUlT_T0_E_clISt17integral_constantIbLb0EES1A_EEDaS15_S16_EUlS15_E_NS1_11comp_targetILNS1_3genE9ELNS1_11target_archE1100ELNS1_3gpuE3ELNS1_3repE0EEENS1_30default_config_static_selectorELNS0_4arch9wavefront6targetE1EEEvT1_,comdat
.Lfunc_end601:
	.size	_ZN7rocprim17ROCPRIM_400000_NS6detail17trampoline_kernelINS0_14default_configENS1_25partition_config_selectorILNS1_17partition_subalgoE9EllbEEZZNS1_14partition_implILS5_9ELb0ES3_jPlS8_PNS0_10empty_typeENS0_5tupleIJS8_S9_EEENSB_IJS8_SA_EEENS0_18inequality_wrapperIZN2at6native12_GLOBAL__N_124unique_dim_cuda_templateIlEESt5tupleIJNSF_6TensorESK_SK_EERKSK_lbbbEUlllE0_EEPmJS9_EEE10hipError_tPvRmT3_T4_T5_T6_T7_T9_mT8_P12ihipStream_tbDpT10_ENKUlT_T0_E_clISt17integral_constantIbLb0EES1A_EEDaS15_S16_EUlS15_E_NS1_11comp_targetILNS1_3genE9ELNS1_11target_archE1100ELNS1_3gpuE3ELNS1_3repE0EEENS1_30default_config_static_selectorELNS0_4arch9wavefront6targetE1EEEvT1_, .Lfunc_end601-_ZN7rocprim17ROCPRIM_400000_NS6detail17trampoline_kernelINS0_14default_configENS1_25partition_config_selectorILNS1_17partition_subalgoE9EllbEEZZNS1_14partition_implILS5_9ELb0ES3_jPlS8_PNS0_10empty_typeENS0_5tupleIJS8_S9_EEENSB_IJS8_SA_EEENS0_18inequality_wrapperIZN2at6native12_GLOBAL__N_124unique_dim_cuda_templateIlEESt5tupleIJNSF_6TensorESK_SK_EERKSK_lbbbEUlllE0_EEPmJS9_EEE10hipError_tPvRmT3_T4_T5_T6_T7_T9_mT8_P12ihipStream_tbDpT10_ENKUlT_T0_E_clISt17integral_constantIbLb0EES1A_EEDaS15_S16_EUlS15_E_NS1_11comp_targetILNS1_3genE9ELNS1_11target_archE1100ELNS1_3gpuE3ELNS1_3repE0EEENS1_30default_config_static_selectorELNS0_4arch9wavefront6targetE1EEEvT1_
                                        ; -- End function
	.section	.AMDGPU.csdata,"",@progbits
; Kernel info:
; codeLenInByte = 0
; NumSgprs: 4
; NumVgprs: 0
; NumAgprs: 0
; TotalNumVgprs: 0
; ScratchSize: 0
; MemoryBound: 0
; FloatMode: 240
; IeeeMode: 1
; LDSByteSize: 0 bytes/workgroup (compile time only)
; SGPRBlocks: 0
; VGPRBlocks: 0
; NumSGPRsForWavesPerEU: 4
; NumVGPRsForWavesPerEU: 1
; AccumOffset: 4
; Occupancy: 8
; WaveLimiterHint : 0
; COMPUTE_PGM_RSRC2:SCRATCH_EN: 0
; COMPUTE_PGM_RSRC2:USER_SGPR: 6
; COMPUTE_PGM_RSRC2:TRAP_HANDLER: 0
; COMPUTE_PGM_RSRC2:TGID_X_EN: 1
; COMPUTE_PGM_RSRC2:TGID_Y_EN: 0
; COMPUTE_PGM_RSRC2:TGID_Z_EN: 0
; COMPUTE_PGM_RSRC2:TIDIG_COMP_CNT: 0
; COMPUTE_PGM_RSRC3_GFX90A:ACCUM_OFFSET: 0
; COMPUTE_PGM_RSRC3_GFX90A:TG_SPLIT: 0
	.section	.text._ZN7rocprim17ROCPRIM_400000_NS6detail17trampoline_kernelINS0_14default_configENS1_25partition_config_selectorILNS1_17partition_subalgoE9EllbEEZZNS1_14partition_implILS5_9ELb0ES3_jPlS8_PNS0_10empty_typeENS0_5tupleIJS8_S9_EEENSB_IJS8_SA_EEENS0_18inequality_wrapperIZN2at6native12_GLOBAL__N_124unique_dim_cuda_templateIlEESt5tupleIJNSF_6TensorESK_SK_EERKSK_lbbbEUlllE0_EEPmJS9_EEE10hipError_tPvRmT3_T4_T5_T6_T7_T9_mT8_P12ihipStream_tbDpT10_ENKUlT_T0_E_clISt17integral_constantIbLb0EES1A_EEDaS15_S16_EUlS15_E_NS1_11comp_targetILNS1_3genE8ELNS1_11target_archE1030ELNS1_3gpuE2ELNS1_3repE0EEENS1_30default_config_static_selectorELNS0_4arch9wavefront6targetE1EEEvT1_,"axG",@progbits,_ZN7rocprim17ROCPRIM_400000_NS6detail17trampoline_kernelINS0_14default_configENS1_25partition_config_selectorILNS1_17partition_subalgoE9EllbEEZZNS1_14partition_implILS5_9ELb0ES3_jPlS8_PNS0_10empty_typeENS0_5tupleIJS8_S9_EEENSB_IJS8_SA_EEENS0_18inequality_wrapperIZN2at6native12_GLOBAL__N_124unique_dim_cuda_templateIlEESt5tupleIJNSF_6TensorESK_SK_EERKSK_lbbbEUlllE0_EEPmJS9_EEE10hipError_tPvRmT3_T4_T5_T6_T7_T9_mT8_P12ihipStream_tbDpT10_ENKUlT_T0_E_clISt17integral_constantIbLb0EES1A_EEDaS15_S16_EUlS15_E_NS1_11comp_targetILNS1_3genE8ELNS1_11target_archE1030ELNS1_3gpuE2ELNS1_3repE0EEENS1_30default_config_static_selectorELNS0_4arch9wavefront6targetE1EEEvT1_,comdat
	.globl	_ZN7rocprim17ROCPRIM_400000_NS6detail17trampoline_kernelINS0_14default_configENS1_25partition_config_selectorILNS1_17partition_subalgoE9EllbEEZZNS1_14partition_implILS5_9ELb0ES3_jPlS8_PNS0_10empty_typeENS0_5tupleIJS8_S9_EEENSB_IJS8_SA_EEENS0_18inequality_wrapperIZN2at6native12_GLOBAL__N_124unique_dim_cuda_templateIlEESt5tupleIJNSF_6TensorESK_SK_EERKSK_lbbbEUlllE0_EEPmJS9_EEE10hipError_tPvRmT3_T4_T5_T6_T7_T9_mT8_P12ihipStream_tbDpT10_ENKUlT_T0_E_clISt17integral_constantIbLb0EES1A_EEDaS15_S16_EUlS15_E_NS1_11comp_targetILNS1_3genE8ELNS1_11target_archE1030ELNS1_3gpuE2ELNS1_3repE0EEENS1_30default_config_static_selectorELNS0_4arch9wavefront6targetE1EEEvT1_ ; -- Begin function _ZN7rocprim17ROCPRIM_400000_NS6detail17trampoline_kernelINS0_14default_configENS1_25partition_config_selectorILNS1_17partition_subalgoE9EllbEEZZNS1_14partition_implILS5_9ELb0ES3_jPlS8_PNS0_10empty_typeENS0_5tupleIJS8_S9_EEENSB_IJS8_SA_EEENS0_18inequality_wrapperIZN2at6native12_GLOBAL__N_124unique_dim_cuda_templateIlEESt5tupleIJNSF_6TensorESK_SK_EERKSK_lbbbEUlllE0_EEPmJS9_EEE10hipError_tPvRmT3_T4_T5_T6_T7_T9_mT8_P12ihipStream_tbDpT10_ENKUlT_T0_E_clISt17integral_constantIbLb0EES1A_EEDaS15_S16_EUlS15_E_NS1_11comp_targetILNS1_3genE8ELNS1_11target_archE1030ELNS1_3gpuE2ELNS1_3repE0EEENS1_30default_config_static_selectorELNS0_4arch9wavefront6targetE1EEEvT1_
	.p2align	8
	.type	_ZN7rocprim17ROCPRIM_400000_NS6detail17trampoline_kernelINS0_14default_configENS1_25partition_config_selectorILNS1_17partition_subalgoE9EllbEEZZNS1_14partition_implILS5_9ELb0ES3_jPlS8_PNS0_10empty_typeENS0_5tupleIJS8_S9_EEENSB_IJS8_SA_EEENS0_18inequality_wrapperIZN2at6native12_GLOBAL__N_124unique_dim_cuda_templateIlEESt5tupleIJNSF_6TensorESK_SK_EERKSK_lbbbEUlllE0_EEPmJS9_EEE10hipError_tPvRmT3_T4_T5_T6_T7_T9_mT8_P12ihipStream_tbDpT10_ENKUlT_T0_E_clISt17integral_constantIbLb0EES1A_EEDaS15_S16_EUlS15_E_NS1_11comp_targetILNS1_3genE8ELNS1_11target_archE1030ELNS1_3gpuE2ELNS1_3repE0EEENS1_30default_config_static_selectorELNS0_4arch9wavefront6targetE1EEEvT1_,@function
_ZN7rocprim17ROCPRIM_400000_NS6detail17trampoline_kernelINS0_14default_configENS1_25partition_config_selectorILNS1_17partition_subalgoE9EllbEEZZNS1_14partition_implILS5_9ELb0ES3_jPlS8_PNS0_10empty_typeENS0_5tupleIJS8_S9_EEENSB_IJS8_SA_EEENS0_18inequality_wrapperIZN2at6native12_GLOBAL__N_124unique_dim_cuda_templateIlEESt5tupleIJNSF_6TensorESK_SK_EERKSK_lbbbEUlllE0_EEPmJS9_EEE10hipError_tPvRmT3_T4_T5_T6_T7_T9_mT8_P12ihipStream_tbDpT10_ENKUlT_T0_E_clISt17integral_constantIbLb0EES1A_EEDaS15_S16_EUlS15_E_NS1_11comp_targetILNS1_3genE8ELNS1_11target_archE1030ELNS1_3gpuE2ELNS1_3repE0EEENS1_30default_config_static_selectorELNS0_4arch9wavefront6targetE1EEEvT1_: ; @_ZN7rocprim17ROCPRIM_400000_NS6detail17trampoline_kernelINS0_14default_configENS1_25partition_config_selectorILNS1_17partition_subalgoE9EllbEEZZNS1_14partition_implILS5_9ELb0ES3_jPlS8_PNS0_10empty_typeENS0_5tupleIJS8_S9_EEENSB_IJS8_SA_EEENS0_18inequality_wrapperIZN2at6native12_GLOBAL__N_124unique_dim_cuda_templateIlEESt5tupleIJNSF_6TensorESK_SK_EERKSK_lbbbEUlllE0_EEPmJS9_EEE10hipError_tPvRmT3_T4_T5_T6_T7_T9_mT8_P12ihipStream_tbDpT10_ENKUlT_T0_E_clISt17integral_constantIbLb0EES1A_EEDaS15_S16_EUlS15_E_NS1_11comp_targetILNS1_3genE8ELNS1_11target_archE1030ELNS1_3gpuE2ELNS1_3repE0EEENS1_30default_config_static_selectorELNS0_4arch9wavefront6targetE1EEEvT1_
; %bb.0:
	.section	.rodata,"a",@progbits
	.p2align	6, 0x0
	.amdhsa_kernel _ZN7rocprim17ROCPRIM_400000_NS6detail17trampoline_kernelINS0_14default_configENS1_25partition_config_selectorILNS1_17partition_subalgoE9EllbEEZZNS1_14partition_implILS5_9ELb0ES3_jPlS8_PNS0_10empty_typeENS0_5tupleIJS8_S9_EEENSB_IJS8_SA_EEENS0_18inequality_wrapperIZN2at6native12_GLOBAL__N_124unique_dim_cuda_templateIlEESt5tupleIJNSF_6TensorESK_SK_EERKSK_lbbbEUlllE0_EEPmJS9_EEE10hipError_tPvRmT3_T4_T5_T6_T7_T9_mT8_P12ihipStream_tbDpT10_ENKUlT_T0_E_clISt17integral_constantIbLb0EES1A_EEDaS15_S16_EUlS15_E_NS1_11comp_targetILNS1_3genE8ELNS1_11target_archE1030ELNS1_3gpuE2ELNS1_3repE0EEENS1_30default_config_static_selectorELNS0_4arch9wavefront6targetE1EEEvT1_
		.amdhsa_group_segment_fixed_size 0
		.amdhsa_private_segment_fixed_size 0
		.amdhsa_kernarg_size 120
		.amdhsa_user_sgpr_count 6
		.amdhsa_user_sgpr_private_segment_buffer 1
		.amdhsa_user_sgpr_dispatch_ptr 0
		.amdhsa_user_sgpr_queue_ptr 0
		.amdhsa_user_sgpr_kernarg_segment_ptr 1
		.amdhsa_user_sgpr_dispatch_id 0
		.amdhsa_user_sgpr_flat_scratch_init 0
		.amdhsa_user_sgpr_kernarg_preload_length 0
		.amdhsa_user_sgpr_kernarg_preload_offset 0
		.amdhsa_user_sgpr_private_segment_size 0
		.amdhsa_uses_dynamic_stack 0
		.amdhsa_system_sgpr_private_segment_wavefront_offset 0
		.amdhsa_system_sgpr_workgroup_id_x 1
		.amdhsa_system_sgpr_workgroup_id_y 0
		.amdhsa_system_sgpr_workgroup_id_z 0
		.amdhsa_system_sgpr_workgroup_info 0
		.amdhsa_system_vgpr_workitem_id 0
		.amdhsa_next_free_vgpr 1
		.amdhsa_next_free_sgpr 0
		.amdhsa_accum_offset 4
		.amdhsa_reserve_vcc 0
		.amdhsa_reserve_flat_scratch 0
		.amdhsa_float_round_mode_32 0
		.amdhsa_float_round_mode_16_64 0
		.amdhsa_float_denorm_mode_32 3
		.amdhsa_float_denorm_mode_16_64 3
		.amdhsa_dx10_clamp 1
		.amdhsa_ieee_mode 1
		.amdhsa_fp16_overflow 0
		.amdhsa_tg_split 0
		.amdhsa_exception_fp_ieee_invalid_op 0
		.amdhsa_exception_fp_denorm_src 0
		.amdhsa_exception_fp_ieee_div_zero 0
		.amdhsa_exception_fp_ieee_overflow 0
		.amdhsa_exception_fp_ieee_underflow 0
		.amdhsa_exception_fp_ieee_inexact 0
		.amdhsa_exception_int_div_zero 0
	.end_amdhsa_kernel
	.section	.text._ZN7rocprim17ROCPRIM_400000_NS6detail17trampoline_kernelINS0_14default_configENS1_25partition_config_selectorILNS1_17partition_subalgoE9EllbEEZZNS1_14partition_implILS5_9ELb0ES3_jPlS8_PNS0_10empty_typeENS0_5tupleIJS8_S9_EEENSB_IJS8_SA_EEENS0_18inequality_wrapperIZN2at6native12_GLOBAL__N_124unique_dim_cuda_templateIlEESt5tupleIJNSF_6TensorESK_SK_EERKSK_lbbbEUlllE0_EEPmJS9_EEE10hipError_tPvRmT3_T4_T5_T6_T7_T9_mT8_P12ihipStream_tbDpT10_ENKUlT_T0_E_clISt17integral_constantIbLb0EES1A_EEDaS15_S16_EUlS15_E_NS1_11comp_targetILNS1_3genE8ELNS1_11target_archE1030ELNS1_3gpuE2ELNS1_3repE0EEENS1_30default_config_static_selectorELNS0_4arch9wavefront6targetE1EEEvT1_,"axG",@progbits,_ZN7rocprim17ROCPRIM_400000_NS6detail17trampoline_kernelINS0_14default_configENS1_25partition_config_selectorILNS1_17partition_subalgoE9EllbEEZZNS1_14partition_implILS5_9ELb0ES3_jPlS8_PNS0_10empty_typeENS0_5tupleIJS8_S9_EEENSB_IJS8_SA_EEENS0_18inequality_wrapperIZN2at6native12_GLOBAL__N_124unique_dim_cuda_templateIlEESt5tupleIJNSF_6TensorESK_SK_EERKSK_lbbbEUlllE0_EEPmJS9_EEE10hipError_tPvRmT3_T4_T5_T6_T7_T9_mT8_P12ihipStream_tbDpT10_ENKUlT_T0_E_clISt17integral_constantIbLb0EES1A_EEDaS15_S16_EUlS15_E_NS1_11comp_targetILNS1_3genE8ELNS1_11target_archE1030ELNS1_3gpuE2ELNS1_3repE0EEENS1_30default_config_static_selectorELNS0_4arch9wavefront6targetE1EEEvT1_,comdat
.Lfunc_end602:
	.size	_ZN7rocprim17ROCPRIM_400000_NS6detail17trampoline_kernelINS0_14default_configENS1_25partition_config_selectorILNS1_17partition_subalgoE9EllbEEZZNS1_14partition_implILS5_9ELb0ES3_jPlS8_PNS0_10empty_typeENS0_5tupleIJS8_S9_EEENSB_IJS8_SA_EEENS0_18inequality_wrapperIZN2at6native12_GLOBAL__N_124unique_dim_cuda_templateIlEESt5tupleIJNSF_6TensorESK_SK_EERKSK_lbbbEUlllE0_EEPmJS9_EEE10hipError_tPvRmT3_T4_T5_T6_T7_T9_mT8_P12ihipStream_tbDpT10_ENKUlT_T0_E_clISt17integral_constantIbLb0EES1A_EEDaS15_S16_EUlS15_E_NS1_11comp_targetILNS1_3genE8ELNS1_11target_archE1030ELNS1_3gpuE2ELNS1_3repE0EEENS1_30default_config_static_selectorELNS0_4arch9wavefront6targetE1EEEvT1_, .Lfunc_end602-_ZN7rocprim17ROCPRIM_400000_NS6detail17trampoline_kernelINS0_14default_configENS1_25partition_config_selectorILNS1_17partition_subalgoE9EllbEEZZNS1_14partition_implILS5_9ELb0ES3_jPlS8_PNS0_10empty_typeENS0_5tupleIJS8_S9_EEENSB_IJS8_SA_EEENS0_18inequality_wrapperIZN2at6native12_GLOBAL__N_124unique_dim_cuda_templateIlEESt5tupleIJNSF_6TensorESK_SK_EERKSK_lbbbEUlllE0_EEPmJS9_EEE10hipError_tPvRmT3_T4_T5_T6_T7_T9_mT8_P12ihipStream_tbDpT10_ENKUlT_T0_E_clISt17integral_constantIbLb0EES1A_EEDaS15_S16_EUlS15_E_NS1_11comp_targetILNS1_3genE8ELNS1_11target_archE1030ELNS1_3gpuE2ELNS1_3repE0EEENS1_30default_config_static_selectorELNS0_4arch9wavefront6targetE1EEEvT1_
                                        ; -- End function
	.section	.AMDGPU.csdata,"",@progbits
; Kernel info:
; codeLenInByte = 0
; NumSgprs: 4
; NumVgprs: 0
; NumAgprs: 0
; TotalNumVgprs: 0
; ScratchSize: 0
; MemoryBound: 0
; FloatMode: 240
; IeeeMode: 1
; LDSByteSize: 0 bytes/workgroup (compile time only)
; SGPRBlocks: 0
; VGPRBlocks: 0
; NumSGPRsForWavesPerEU: 4
; NumVGPRsForWavesPerEU: 1
; AccumOffset: 4
; Occupancy: 8
; WaveLimiterHint : 0
; COMPUTE_PGM_RSRC2:SCRATCH_EN: 0
; COMPUTE_PGM_RSRC2:USER_SGPR: 6
; COMPUTE_PGM_RSRC2:TRAP_HANDLER: 0
; COMPUTE_PGM_RSRC2:TGID_X_EN: 1
; COMPUTE_PGM_RSRC2:TGID_Y_EN: 0
; COMPUTE_PGM_RSRC2:TGID_Z_EN: 0
; COMPUTE_PGM_RSRC2:TIDIG_COMP_CNT: 0
; COMPUTE_PGM_RSRC3_GFX90A:ACCUM_OFFSET: 0
; COMPUTE_PGM_RSRC3_GFX90A:TG_SPLIT: 0
	.section	.text._ZN7rocprim17ROCPRIM_400000_NS6detail17trampoline_kernelINS0_14default_configENS1_25partition_config_selectorILNS1_17partition_subalgoE9EllbEEZZNS1_14partition_implILS5_9ELb0ES3_jPlS8_PNS0_10empty_typeENS0_5tupleIJS8_S9_EEENSB_IJS8_SA_EEENS0_18inequality_wrapperIZN2at6native12_GLOBAL__N_124unique_dim_cuda_templateIlEESt5tupleIJNSF_6TensorESK_SK_EERKSK_lbbbEUlllE0_EEPmJS9_EEE10hipError_tPvRmT3_T4_T5_T6_T7_T9_mT8_P12ihipStream_tbDpT10_ENKUlT_T0_E_clISt17integral_constantIbLb1EES1A_EEDaS15_S16_EUlS15_E_NS1_11comp_targetILNS1_3genE0ELNS1_11target_archE4294967295ELNS1_3gpuE0ELNS1_3repE0EEENS1_30default_config_static_selectorELNS0_4arch9wavefront6targetE1EEEvT1_,"axG",@progbits,_ZN7rocprim17ROCPRIM_400000_NS6detail17trampoline_kernelINS0_14default_configENS1_25partition_config_selectorILNS1_17partition_subalgoE9EllbEEZZNS1_14partition_implILS5_9ELb0ES3_jPlS8_PNS0_10empty_typeENS0_5tupleIJS8_S9_EEENSB_IJS8_SA_EEENS0_18inequality_wrapperIZN2at6native12_GLOBAL__N_124unique_dim_cuda_templateIlEESt5tupleIJNSF_6TensorESK_SK_EERKSK_lbbbEUlllE0_EEPmJS9_EEE10hipError_tPvRmT3_T4_T5_T6_T7_T9_mT8_P12ihipStream_tbDpT10_ENKUlT_T0_E_clISt17integral_constantIbLb1EES1A_EEDaS15_S16_EUlS15_E_NS1_11comp_targetILNS1_3genE0ELNS1_11target_archE4294967295ELNS1_3gpuE0ELNS1_3repE0EEENS1_30default_config_static_selectorELNS0_4arch9wavefront6targetE1EEEvT1_,comdat
	.globl	_ZN7rocprim17ROCPRIM_400000_NS6detail17trampoline_kernelINS0_14default_configENS1_25partition_config_selectorILNS1_17partition_subalgoE9EllbEEZZNS1_14partition_implILS5_9ELb0ES3_jPlS8_PNS0_10empty_typeENS0_5tupleIJS8_S9_EEENSB_IJS8_SA_EEENS0_18inequality_wrapperIZN2at6native12_GLOBAL__N_124unique_dim_cuda_templateIlEESt5tupleIJNSF_6TensorESK_SK_EERKSK_lbbbEUlllE0_EEPmJS9_EEE10hipError_tPvRmT3_T4_T5_T6_T7_T9_mT8_P12ihipStream_tbDpT10_ENKUlT_T0_E_clISt17integral_constantIbLb1EES1A_EEDaS15_S16_EUlS15_E_NS1_11comp_targetILNS1_3genE0ELNS1_11target_archE4294967295ELNS1_3gpuE0ELNS1_3repE0EEENS1_30default_config_static_selectorELNS0_4arch9wavefront6targetE1EEEvT1_ ; -- Begin function _ZN7rocprim17ROCPRIM_400000_NS6detail17trampoline_kernelINS0_14default_configENS1_25partition_config_selectorILNS1_17partition_subalgoE9EllbEEZZNS1_14partition_implILS5_9ELb0ES3_jPlS8_PNS0_10empty_typeENS0_5tupleIJS8_S9_EEENSB_IJS8_SA_EEENS0_18inequality_wrapperIZN2at6native12_GLOBAL__N_124unique_dim_cuda_templateIlEESt5tupleIJNSF_6TensorESK_SK_EERKSK_lbbbEUlllE0_EEPmJS9_EEE10hipError_tPvRmT3_T4_T5_T6_T7_T9_mT8_P12ihipStream_tbDpT10_ENKUlT_T0_E_clISt17integral_constantIbLb1EES1A_EEDaS15_S16_EUlS15_E_NS1_11comp_targetILNS1_3genE0ELNS1_11target_archE4294967295ELNS1_3gpuE0ELNS1_3repE0EEENS1_30default_config_static_selectorELNS0_4arch9wavefront6targetE1EEEvT1_
	.p2align	8
	.type	_ZN7rocprim17ROCPRIM_400000_NS6detail17trampoline_kernelINS0_14default_configENS1_25partition_config_selectorILNS1_17partition_subalgoE9EllbEEZZNS1_14partition_implILS5_9ELb0ES3_jPlS8_PNS0_10empty_typeENS0_5tupleIJS8_S9_EEENSB_IJS8_SA_EEENS0_18inequality_wrapperIZN2at6native12_GLOBAL__N_124unique_dim_cuda_templateIlEESt5tupleIJNSF_6TensorESK_SK_EERKSK_lbbbEUlllE0_EEPmJS9_EEE10hipError_tPvRmT3_T4_T5_T6_T7_T9_mT8_P12ihipStream_tbDpT10_ENKUlT_T0_E_clISt17integral_constantIbLb1EES1A_EEDaS15_S16_EUlS15_E_NS1_11comp_targetILNS1_3genE0ELNS1_11target_archE4294967295ELNS1_3gpuE0ELNS1_3repE0EEENS1_30default_config_static_selectorELNS0_4arch9wavefront6targetE1EEEvT1_,@function
_ZN7rocprim17ROCPRIM_400000_NS6detail17trampoline_kernelINS0_14default_configENS1_25partition_config_selectorILNS1_17partition_subalgoE9EllbEEZZNS1_14partition_implILS5_9ELb0ES3_jPlS8_PNS0_10empty_typeENS0_5tupleIJS8_S9_EEENSB_IJS8_SA_EEENS0_18inequality_wrapperIZN2at6native12_GLOBAL__N_124unique_dim_cuda_templateIlEESt5tupleIJNSF_6TensorESK_SK_EERKSK_lbbbEUlllE0_EEPmJS9_EEE10hipError_tPvRmT3_T4_T5_T6_T7_T9_mT8_P12ihipStream_tbDpT10_ENKUlT_T0_E_clISt17integral_constantIbLb1EES1A_EEDaS15_S16_EUlS15_E_NS1_11comp_targetILNS1_3genE0ELNS1_11target_archE4294967295ELNS1_3gpuE0ELNS1_3repE0EEENS1_30default_config_static_selectorELNS0_4arch9wavefront6targetE1EEEvT1_: ; @_ZN7rocprim17ROCPRIM_400000_NS6detail17trampoline_kernelINS0_14default_configENS1_25partition_config_selectorILNS1_17partition_subalgoE9EllbEEZZNS1_14partition_implILS5_9ELb0ES3_jPlS8_PNS0_10empty_typeENS0_5tupleIJS8_S9_EEENSB_IJS8_SA_EEENS0_18inequality_wrapperIZN2at6native12_GLOBAL__N_124unique_dim_cuda_templateIlEESt5tupleIJNSF_6TensorESK_SK_EERKSK_lbbbEUlllE0_EEPmJS9_EEE10hipError_tPvRmT3_T4_T5_T6_T7_T9_mT8_P12ihipStream_tbDpT10_ENKUlT_T0_E_clISt17integral_constantIbLb1EES1A_EEDaS15_S16_EUlS15_E_NS1_11comp_targetILNS1_3genE0ELNS1_11target_archE4294967295ELNS1_3gpuE0ELNS1_3repE0EEENS1_30default_config_static_selectorELNS0_4arch9wavefront6targetE1EEEvT1_
; %bb.0:
	.section	.rodata,"a",@progbits
	.p2align	6, 0x0
	.amdhsa_kernel _ZN7rocprim17ROCPRIM_400000_NS6detail17trampoline_kernelINS0_14default_configENS1_25partition_config_selectorILNS1_17partition_subalgoE9EllbEEZZNS1_14partition_implILS5_9ELb0ES3_jPlS8_PNS0_10empty_typeENS0_5tupleIJS8_S9_EEENSB_IJS8_SA_EEENS0_18inequality_wrapperIZN2at6native12_GLOBAL__N_124unique_dim_cuda_templateIlEESt5tupleIJNSF_6TensorESK_SK_EERKSK_lbbbEUlllE0_EEPmJS9_EEE10hipError_tPvRmT3_T4_T5_T6_T7_T9_mT8_P12ihipStream_tbDpT10_ENKUlT_T0_E_clISt17integral_constantIbLb1EES1A_EEDaS15_S16_EUlS15_E_NS1_11comp_targetILNS1_3genE0ELNS1_11target_archE4294967295ELNS1_3gpuE0ELNS1_3repE0EEENS1_30default_config_static_selectorELNS0_4arch9wavefront6targetE1EEEvT1_
		.amdhsa_group_segment_fixed_size 0
		.amdhsa_private_segment_fixed_size 0
		.amdhsa_kernarg_size 136
		.amdhsa_user_sgpr_count 6
		.amdhsa_user_sgpr_private_segment_buffer 1
		.amdhsa_user_sgpr_dispatch_ptr 0
		.amdhsa_user_sgpr_queue_ptr 0
		.amdhsa_user_sgpr_kernarg_segment_ptr 1
		.amdhsa_user_sgpr_dispatch_id 0
		.amdhsa_user_sgpr_flat_scratch_init 0
		.amdhsa_user_sgpr_kernarg_preload_length 0
		.amdhsa_user_sgpr_kernarg_preload_offset 0
		.amdhsa_user_sgpr_private_segment_size 0
		.amdhsa_uses_dynamic_stack 0
		.amdhsa_system_sgpr_private_segment_wavefront_offset 0
		.amdhsa_system_sgpr_workgroup_id_x 1
		.amdhsa_system_sgpr_workgroup_id_y 0
		.amdhsa_system_sgpr_workgroup_id_z 0
		.amdhsa_system_sgpr_workgroup_info 0
		.amdhsa_system_vgpr_workitem_id 0
		.amdhsa_next_free_vgpr 1
		.amdhsa_next_free_sgpr 0
		.amdhsa_accum_offset 4
		.amdhsa_reserve_vcc 0
		.amdhsa_reserve_flat_scratch 0
		.amdhsa_float_round_mode_32 0
		.amdhsa_float_round_mode_16_64 0
		.amdhsa_float_denorm_mode_32 3
		.amdhsa_float_denorm_mode_16_64 3
		.amdhsa_dx10_clamp 1
		.amdhsa_ieee_mode 1
		.amdhsa_fp16_overflow 0
		.amdhsa_tg_split 0
		.amdhsa_exception_fp_ieee_invalid_op 0
		.amdhsa_exception_fp_denorm_src 0
		.amdhsa_exception_fp_ieee_div_zero 0
		.amdhsa_exception_fp_ieee_overflow 0
		.amdhsa_exception_fp_ieee_underflow 0
		.amdhsa_exception_fp_ieee_inexact 0
		.amdhsa_exception_int_div_zero 0
	.end_amdhsa_kernel
	.section	.text._ZN7rocprim17ROCPRIM_400000_NS6detail17trampoline_kernelINS0_14default_configENS1_25partition_config_selectorILNS1_17partition_subalgoE9EllbEEZZNS1_14partition_implILS5_9ELb0ES3_jPlS8_PNS0_10empty_typeENS0_5tupleIJS8_S9_EEENSB_IJS8_SA_EEENS0_18inequality_wrapperIZN2at6native12_GLOBAL__N_124unique_dim_cuda_templateIlEESt5tupleIJNSF_6TensorESK_SK_EERKSK_lbbbEUlllE0_EEPmJS9_EEE10hipError_tPvRmT3_T4_T5_T6_T7_T9_mT8_P12ihipStream_tbDpT10_ENKUlT_T0_E_clISt17integral_constantIbLb1EES1A_EEDaS15_S16_EUlS15_E_NS1_11comp_targetILNS1_3genE0ELNS1_11target_archE4294967295ELNS1_3gpuE0ELNS1_3repE0EEENS1_30default_config_static_selectorELNS0_4arch9wavefront6targetE1EEEvT1_,"axG",@progbits,_ZN7rocprim17ROCPRIM_400000_NS6detail17trampoline_kernelINS0_14default_configENS1_25partition_config_selectorILNS1_17partition_subalgoE9EllbEEZZNS1_14partition_implILS5_9ELb0ES3_jPlS8_PNS0_10empty_typeENS0_5tupleIJS8_S9_EEENSB_IJS8_SA_EEENS0_18inequality_wrapperIZN2at6native12_GLOBAL__N_124unique_dim_cuda_templateIlEESt5tupleIJNSF_6TensorESK_SK_EERKSK_lbbbEUlllE0_EEPmJS9_EEE10hipError_tPvRmT3_T4_T5_T6_T7_T9_mT8_P12ihipStream_tbDpT10_ENKUlT_T0_E_clISt17integral_constantIbLb1EES1A_EEDaS15_S16_EUlS15_E_NS1_11comp_targetILNS1_3genE0ELNS1_11target_archE4294967295ELNS1_3gpuE0ELNS1_3repE0EEENS1_30default_config_static_selectorELNS0_4arch9wavefront6targetE1EEEvT1_,comdat
.Lfunc_end603:
	.size	_ZN7rocprim17ROCPRIM_400000_NS6detail17trampoline_kernelINS0_14default_configENS1_25partition_config_selectorILNS1_17partition_subalgoE9EllbEEZZNS1_14partition_implILS5_9ELb0ES3_jPlS8_PNS0_10empty_typeENS0_5tupleIJS8_S9_EEENSB_IJS8_SA_EEENS0_18inequality_wrapperIZN2at6native12_GLOBAL__N_124unique_dim_cuda_templateIlEESt5tupleIJNSF_6TensorESK_SK_EERKSK_lbbbEUlllE0_EEPmJS9_EEE10hipError_tPvRmT3_T4_T5_T6_T7_T9_mT8_P12ihipStream_tbDpT10_ENKUlT_T0_E_clISt17integral_constantIbLb1EES1A_EEDaS15_S16_EUlS15_E_NS1_11comp_targetILNS1_3genE0ELNS1_11target_archE4294967295ELNS1_3gpuE0ELNS1_3repE0EEENS1_30default_config_static_selectorELNS0_4arch9wavefront6targetE1EEEvT1_, .Lfunc_end603-_ZN7rocprim17ROCPRIM_400000_NS6detail17trampoline_kernelINS0_14default_configENS1_25partition_config_selectorILNS1_17partition_subalgoE9EllbEEZZNS1_14partition_implILS5_9ELb0ES3_jPlS8_PNS0_10empty_typeENS0_5tupleIJS8_S9_EEENSB_IJS8_SA_EEENS0_18inequality_wrapperIZN2at6native12_GLOBAL__N_124unique_dim_cuda_templateIlEESt5tupleIJNSF_6TensorESK_SK_EERKSK_lbbbEUlllE0_EEPmJS9_EEE10hipError_tPvRmT3_T4_T5_T6_T7_T9_mT8_P12ihipStream_tbDpT10_ENKUlT_T0_E_clISt17integral_constantIbLb1EES1A_EEDaS15_S16_EUlS15_E_NS1_11comp_targetILNS1_3genE0ELNS1_11target_archE4294967295ELNS1_3gpuE0ELNS1_3repE0EEENS1_30default_config_static_selectorELNS0_4arch9wavefront6targetE1EEEvT1_
                                        ; -- End function
	.section	.AMDGPU.csdata,"",@progbits
; Kernel info:
; codeLenInByte = 0
; NumSgprs: 4
; NumVgprs: 0
; NumAgprs: 0
; TotalNumVgprs: 0
; ScratchSize: 0
; MemoryBound: 0
; FloatMode: 240
; IeeeMode: 1
; LDSByteSize: 0 bytes/workgroup (compile time only)
; SGPRBlocks: 0
; VGPRBlocks: 0
; NumSGPRsForWavesPerEU: 4
; NumVGPRsForWavesPerEU: 1
; AccumOffset: 4
; Occupancy: 8
; WaveLimiterHint : 0
; COMPUTE_PGM_RSRC2:SCRATCH_EN: 0
; COMPUTE_PGM_RSRC2:USER_SGPR: 6
; COMPUTE_PGM_RSRC2:TRAP_HANDLER: 0
; COMPUTE_PGM_RSRC2:TGID_X_EN: 1
; COMPUTE_PGM_RSRC2:TGID_Y_EN: 0
; COMPUTE_PGM_RSRC2:TGID_Z_EN: 0
; COMPUTE_PGM_RSRC2:TIDIG_COMP_CNT: 0
; COMPUTE_PGM_RSRC3_GFX90A:ACCUM_OFFSET: 0
; COMPUTE_PGM_RSRC3_GFX90A:TG_SPLIT: 0
	.section	.text._ZN7rocprim17ROCPRIM_400000_NS6detail17trampoline_kernelINS0_14default_configENS1_25partition_config_selectorILNS1_17partition_subalgoE9EllbEEZZNS1_14partition_implILS5_9ELb0ES3_jPlS8_PNS0_10empty_typeENS0_5tupleIJS8_S9_EEENSB_IJS8_SA_EEENS0_18inequality_wrapperIZN2at6native12_GLOBAL__N_124unique_dim_cuda_templateIlEESt5tupleIJNSF_6TensorESK_SK_EERKSK_lbbbEUlllE0_EEPmJS9_EEE10hipError_tPvRmT3_T4_T5_T6_T7_T9_mT8_P12ihipStream_tbDpT10_ENKUlT_T0_E_clISt17integral_constantIbLb1EES1A_EEDaS15_S16_EUlS15_E_NS1_11comp_targetILNS1_3genE5ELNS1_11target_archE942ELNS1_3gpuE9ELNS1_3repE0EEENS1_30default_config_static_selectorELNS0_4arch9wavefront6targetE1EEEvT1_,"axG",@progbits,_ZN7rocprim17ROCPRIM_400000_NS6detail17trampoline_kernelINS0_14default_configENS1_25partition_config_selectorILNS1_17partition_subalgoE9EllbEEZZNS1_14partition_implILS5_9ELb0ES3_jPlS8_PNS0_10empty_typeENS0_5tupleIJS8_S9_EEENSB_IJS8_SA_EEENS0_18inequality_wrapperIZN2at6native12_GLOBAL__N_124unique_dim_cuda_templateIlEESt5tupleIJNSF_6TensorESK_SK_EERKSK_lbbbEUlllE0_EEPmJS9_EEE10hipError_tPvRmT3_T4_T5_T6_T7_T9_mT8_P12ihipStream_tbDpT10_ENKUlT_T0_E_clISt17integral_constantIbLb1EES1A_EEDaS15_S16_EUlS15_E_NS1_11comp_targetILNS1_3genE5ELNS1_11target_archE942ELNS1_3gpuE9ELNS1_3repE0EEENS1_30default_config_static_selectorELNS0_4arch9wavefront6targetE1EEEvT1_,comdat
	.globl	_ZN7rocprim17ROCPRIM_400000_NS6detail17trampoline_kernelINS0_14default_configENS1_25partition_config_selectorILNS1_17partition_subalgoE9EllbEEZZNS1_14partition_implILS5_9ELb0ES3_jPlS8_PNS0_10empty_typeENS0_5tupleIJS8_S9_EEENSB_IJS8_SA_EEENS0_18inequality_wrapperIZN2at6native12_GLOBAL__N_124unique_dim_cuda_templateIlEESt5tupleIJNSF_6TensorESK_SK_EERKSK_lbbbEUlllE0_EEPmJS9_EEE10hipError_tPvRmT3_T4_T5_T6_T7_T9_mT8_P12ihipStream_tbDpT10_ENKUlT_T0_E_clISt17integral_constantIbLb1EES1A_EEDaS15_S16_EUlS15_E_NS1_11comp_targetILNS1_3genE5ELNS1_11target_archE942ELNS1_3gpuE9ELNS1_3repE0EEENS1_30default_config_static_selectorELNS0_4arch9wavefront6targetE1EEEvT1_ ; -- Begin function _ZN7rocprim17ROCPRIM_400000_NS6detail17trampoline_kernelINS0_14default_configENS1_25partition_config_selectorILNS1_17partition_subalgoE9EllbEEZZNS1_14partition_implILS5_9ELb0ES3_jPlS8_PNS0_10empty_typeENS0_5tupleIJS8_S9_EEENSB_IJS8_SA_EEENS0_18inequality_wrapperIZN2at6native12_GLOBAL__N_124unique_dim_cuda_templateIlEESt5tupleIJNSF_6TensorESK_SK_EERKSK_lbbbEUlllE0_EEPmJS9_EEE10hipError_tPvRmT3_T4_T5_T6_T7_T9_mT8_P12ihipStream_tbDpT10_ENKUlT_T0_E_clISt17integral_constantIbLb1EES1A_EEDaS15_S16_EUlS15_E_NS1_11comp_targetILNS1_3genE5ELNS1_11target_archE942ELNS1_3gpuE9ELNS1_3repE0EEENS1_30default_config_static_selectorELNS0_4arch9wavefront6targetE1EEEvT1_
	.p2align	8
	.type	_ZN7rocprim17ROCPRIM_400000_NS6detail17trampoline_kernelINS0_14default_configENS1_25partition_config_selectorILNS1_17partition_subalgoE9EllbEEZZNS1_14partition_implILS5_9ELb0ES3_jPlS8_PNS0_10empty_typeENS0_5tupleIJS8_S9_EEENSB_IJS8_SA_EEENS0_18inequality_wrapperIZN2at6native12_GLOBAL__N_124unique_dim_cuda_templateIlEESt5tupleIJNSF_6TensorESK_SK_EERKSK_lbbbEUlllE0_EEPmJS9_EEE10hipError_tPvRmT3_T4_T5_T6_T7_T9_mT8_P12ihipStream_tbDpT10_ENKUlT_T0_E_clISt17integral_constantIbLb1EES1A_EEDaS15_S16_EUlS15_E_NS1_11comp_targetILNS1_3genE5ELNS1_11target_archE942ELNS1_3gpuE9ELNS1_3repE0EEENS1_30default_config_static_selectorELNS0_4arch9wavefront6targetE1EEEvT1_,@function
_ZN7rocprim17ROCPRIM_400000_NS6detail17trampoline_kernelINS0_14default_configENS1_25partition_config_selectorILNS1_17partition_subalgoE9EllbEEZZNS1_14partition_implILS5_9ELb0ES3_jPlS8_PNS0_10empty_typeENS0_5tupleIJS8_S9_EEENSB_IJS8_SA_EEENS0_18inequality_wrapperIZN2at6native12_GLOBAL__N_124unique_dim_cuda_templateIlEESt5tupleIJNSF_6TensorESK_SK_EERKSK_lbbbEUlllE0_EEPmJS9_EEE10hipError_tPvRmT3_T4_T5_T6_T7_T9_mT8_P12ihipStream_tbDpT10_ENKUlT_T0_E_clISt17integral_constantIbLb1EES1A_EEDaS15_S16_EUlS15_E_NS1_11comp_targetILNS1_3genE5ELNS1_11target_archE942ELNS1_3gpuE9ELNS1_3repE0EEENS1_30default_config_static_selectorELNS0_4arch9wavefront6targetE1EEEvT1_: ; @_ZN7rocprim17ROCPRIM_400000_NS6detail17trampoline_kernelINS0_14default_configENS1_25partition_config_selectorILNS1_17partition_subalgoE9EllbEEZZNS1_14partition_implILS5_9ELb0ES3_jPlS8_PNS0_10empty_typeENS0_5tupleIJS8_S9_EEENSB_IJS8_SA_EEENS0_18inequality_wrapperIZN2at6native12_GLOBAL__N_124unique_dim_cuda_templateIlEESt5tupleIJNSF_6TensorESK_SK_EERKSK_lbbbEUlllE0_EEPmJS9_EEE10hipError_tPvRmT3_T4_T5_T6_T7_T9_mT8_P12ihipStream_tbDpT10_ENKUlT_T0_E_clISt17integral_constantIbLb1EES1A_EEDaS15_S16_EUlS15_E_NS1_11comp_targetILNS1_3genE5ELNS1_11target_archE942ELNS1_3gpuE9ELNS1_3repE0EEENS1_30default_config_static_selectorELNS0_4arch9wavefront6targetE1EEEvT1_
; %bb.0:
	.section	.rodata,"a",@progbits
	.p2align	6, 0x0
	.amdhsa_kernel _ZN7rocprim17ROCPRIM_400000_NS6detail17trampoline_kernelINS0_14default_configENS1_25partition_config_selectorILNS1_17partition_subalgoE9EllbEEZZNS1_14partition_implILS5_9ELb0ES3_jPlS8_PNS0_10empty_typeENS0_5tupleIJS8_S9_EEENSB_IJS8_SA_EEENS0_18inequality_wrapperIZN2at6native12_GLOBAL__N_124unique_dim_cuda_templateIlEESt5tupleIJNSF_6TensorESK_SK_EERKSK_lbbbEUlllE0_EEPmJS9_EEE10hipError_tPvRmT3_T4_T5_T6_T7_T9_mT8_P12ihipStream_tbDpT10_ENKUlT_T0_E_clISt17integral_constantIbLb1EES1A_EEDaS15_S16_EUlS15_E_NS1_11comp_targetILNS1_3genE5ELNS1_11target_archE942ELNS1_3gpuE9ELNS1_3repE0EEENS1_30default_config_static_selectorELNS0_4arch9wavefront6targetE1EEEvT1_
		.amdhsa_group_segment_fixed_size 0
		.amdhsa_private_segment_fixed_size 0
		.amdhsa_kernarg_size 136
		.amdhsa_user_sgpr_count 6
		.amdhsa_user_sgpr_private_segment_buffer 1
		.amdhsa_user_sgpr_dispatch_ptr 0
		.amdhsa_user_sgpr_queue_ptr 0
		.amdhsa_user_sgpr_kernarg_segment_ptr 1
		.amdhsa_user_sgpr_dispatch_id 0
		.amdhsa_user_sgpr_flat_scratch_init 0
		.amdhsa_user_sgpr_kernarg_preload_length 0
		.amdhsa_user_sgpr_kernarg_preload_offset 0
		.amdhsa_user_sgpr_private_segment_size 0
		.amdhsa_uses_dynamic_stack 0
		.amdhsa_system_sgpr_private_segment_wavefront_offset 0
		.amdhsa_system_sgpr_workgroup_id_x 1
		.amdhsa_system_sgpr_workgroup_id_y 0
		.amdhsa_system_sgpr_workgroup_id_z 0
		.amdhsa_system_sgpr_workgroup_info 0
		.amdhsa_system_vgpr_workitem_id 0
		.amdhsa_next_free_vgpr 1
		.amdhsa_next_free_sgpr 0
		.amdhsa_accum_offset 4
		.amdhsa_reserve_vcc 0
		.amdhsa_reserve_flat_scratch 0
		.amdhsa_float_round_mode_32 0
		.amdhsa_float_round_mode_16_64 0
		.amdhsa_float_denorm_mode_32 3
		.amdhsa_float_denorm_mode_16_64 3
		.amdhsa_dx10_clamp 1
		.amdhsa_ieee_mode 1
		.amdhsa_fp16_overflow 0
		.amdhsa_tg_split 0
		.amdhsa_exception_fp_ieee_invalid_op 0
		.amdhsa_exception_fp_denorm_src 0
		.amdhsa_exception_fp_ieee_div_zero 0
		.amdhsa_exception_fp_ieee_overflow 0
		.amdhsa_exception_fp_ieee_underflow 0
		.amdhsa_exception_fp_ieee_inexact 0
		.amdhsa_exception_int_div_zero 0
	.end_amdhsa_kernel
	.section	.text._ZN7rocprim17ROCPRIM_400000_NS6detail17trampoline_kernelINS0_14default_configENS1_25partition_config_selectorILNS1_17partition_subalgoE9EllbEEZZNS1_14partition_implILS5_9ELb0ES3_jPlS8_PNS0_10empty_typeENS0_5tupleIJS8_S9_EEENSB_IJS8_SA_EEENS0_18inequality_wrapperIZN2at6native12_GLOBAL__N_124unique_dim_cuda_templateIlEESt5tupleIJNSF_6TensorESK_SK_EERKSK_lbbbEUlllE0_EEPmJS9_EEE10hipError_tPvRmT3_T4_T5_T6_T7_T9_mT8_P12ihipStream_tbDpT10_ENKUlT_T0_E_clISt17integral_constantIbLb1EES1A_EEDaS15_S16_EUlS15_E_NS1_11comp_targetILNS1_3genE5ELNS1_11target_archE942ELNS1_3gpuE9ELNS1_3repE0EEENS1_30default_config_static_selectorELNS0_4arch9wavefront6targetE1EEEvT1_,"axG",@progbits,_ZN7rocprim17ROCPRIM_400000_NS6detail17trampoline_kernelINS0_14default_configENS1_25partition_config_selectorILNS1_17partition_subalgoE9EllbEEZZNS1_14partition_implILS5_9ELb0ES3_jPlS8_PNS0_10empty_typeENS0_5tupleIJS8_S9_EEENSB_IJS8_SA_EEENS0_18inequality_wrapperIZN2at6native12_GLOBAL__N_124unique_dim_cuda_templateIlEESt5tupleIJNSF_6TensorESK_SK_EERKSK_lbbbEUlllE0_EEPmJS9_EEE10hipError_tPvRmT3_T4_T5_T6_T7_T9_mT8_P12ihipStream_tbDpT10_ENKUlT_T0_E_clISt17integral_constantIbLb1EES1A_EEDaS15_S16_EUlS15_E_NS1_11comp_targetILNS1_3genE5ELNS1_11target_archE942ELNS1_3gpuE9ELNS1_3repE0EEENS1_30default_config_static_selectorELNS0_4arch9wavefront6targetE1EEEvT1_,comdat
.Lfunc_end604:
	.size	_ZN7rocprim17ROCPRIM_400000_NS6detail17trampoline_kernelINS0_14default_configENS1_25partition_config_selectorILNS1_17partition_subalgoE9EllbEEZZNS1_14partition_implILS5_9ELb0ES3_jPlS8_PNS0_10empty_typeENS0_5tupleIJS8_S9_EEENSB_IJS8_SA_EEENS0_18inequality_wrapperIZN2at6native12_GLOBAL__N_124unique_dim_cuda_templateIlEESt5tupleIJNSF_6TensorESK_SK_EERKSK_lbbbEUlllE0_EEPmJS9_EEE10hipError_tPvRmT3_T4_T5_T6_T7_T9_mT8_P12ihipStream_tbDpT10_ENKUlT_T0_E_clISt17integral_constantIbLb1EES1A_EEDaS15_S16_EUlS15_E_NS1_11comp_targetILNS1_3genE5ELNS1_11target_archE942ELNS1_3gpuE9ELNS1_3repE0EEENS1_30default_config_static_selectorELNS0_4arch9wavefront6targetE1EEEvT1_, .Lfunc_end604-_ZN7rocprim17ROCPRIM_400000_NS6detail17trampoline_kernelINS0_14default_configENS1_25partition_config_selectorILNS1_17partition_subalgoE9EllbEEZZNS1_14partition_implILS5_9ELb0ES3_jPlS8_PNS0_10empty_typeENS0_5tupleIJS8_S9_EEENSB_IJS8_SA_EEENS0_18inequality_wrapperIZN2at6native12_GLOBAL__N_124unique_dim_cuda_templateIlEESt5tupleIJNSF_6TensorESK_SK_EERKSK_lbbbEUlllE0_EEPmJS9_EEE10hipError_tPvRmT3_T4_T5_T6_T7_T9_mT8_P12ihipStream_tbDpT10_ENKUlT_T0_E_clISt17integral_constantIbLb1EES1A_EEDaS15_S16_EUlS15_E_NS1_11comp_targetILNS1_3genE5ELNS1_11target_archE942ELNS1_3gpuE9ELNS1_3repE0EEENS1_30default_config_static_selectorELNS0_4arch9wavefront6targetE1EEEvT1_
                                        ; -- End function
	.section	.AMDGPU.csdata,"",@progbits
; Kernel info:
; codeLenInByte = 0
; NumSgprs: 4
; NumVgprs: 0
; NumAgprs: 0
; TotalNumVgprs: 0
; ScratchSize: 0
; MemoryBound: 0
; FloatMode: 240
; IeeeMode: 1
; LDSByteSize: 0 bytes/workgroup (compile time only)
; SGPRBlocks: 0
; VGPRBlocks: 0
; NumSGPRsForWavesPerEU: 4
; NumVGPRsForWavesPerEU: 1
; AccumOffset: 4
; Occupancy: 8
; WaveLimiterHint : 0
; COMPUTE_PGM_RSRC2:SCRATCH_EN: 0
; COMPUTE_PGM_RSRC2:USER_SGPR: 6
; COMPUTE_PGM_RSRC2:TRAP_HANDLER: 0
; COMPUTE_PGM_RSRC2:TGID_X_EN: 1
; COMPUTE_PGM_RSRC2:TGID_Y_EN: 0
; COMPUTE_PGM_RSRC2:TGID_Z_EN: 0
; COMPUTE_PGM_RSRC2:TIDIG_COMP_CNT: 0
; COMPUTE_PGM_RSRC3_GFX90A:ACCUM_OFFSET: 0
; COMPUTE_PGM_RSRC3_GFX90A:TG_SPLIT: 0
	.section	.text._ZN7rocprim17ROCPRIM_400000_NS6detail17trampoline_kernelINS0_14default_configENS1_25partition_config_selectorILNS1_17partition_subalgoE9EllbEEZZNS1_14partition_implILS5_9ELb0ES3_jPlS8_PNS0_10empty_typeENS0_5tupleIJS8_S9_EEENSB_IJS8_SA_EEENS0_18inequality_wrapperIZN2at6native12_GLOBAL__N_124unique_dim_cuda_templateIlEESt5tupleIJNSF_6TensorESK_SK_EERKSK_lbbbEUlllE0_EEPmJS9_EEE10hipError_tPvRmT3_T4_T5_T6_T7_T9_mT8_P12ihipStream_tbDpT10_ENKUlT_T0_E_clISt17integral_constantIbLb1EES1A_EEDaS15_S16_EUlS15_E_NS1_11comp_targetILNS1_3genE4ELNS1_11target_archE910ELNS1_3gpuE8ELNS1_3repE0EEENS1_30default_config_static_selectorELNS0_4arch9wavefront6targetE1EEEvT1_,"axG",@progbits,_ZN7rocprim17ROCPRIM_400000_NS6detail17trampoline_kernelINS0_14default_configENS1_25partition_config_selectorILNS1_17partition_subalgoE9EllbEEZZNS1_14partition_implILS5_9ELb0ES3_jPlS8_PNS0_10empty_typeENS0_5tupleIJS8_S9_EEENSB_IJS8_SA_EEENS0_18inequality_wrapperIZN2at6native12_GLOBAL__N_124unique_dim_cuda_templateIlEESt5tupleIJNSF_6TensorESK_SK_EERKSK_lbbbEUlllE0_EEPmJS9_EEE10hipError_tPvRmT3_T4_T5_T6_T7_T9_mT8_P12ihipStream_tbDpT10_ENKUlT_T0_E_clISt17integral_constantIbLb1EES1A_EEDaS15_S16_EUlS15_E_NS1_11comp_targetILNS1_3genE4ELNS1_11target_archE910ELNS1_3gpuE8ELNS1_3repE0EEENS1_30default_config_static_selectorELNS0_4arch9wavefront6targetE1EEEvT1_,comdat
	.globl	_ZN7rocprim17ROCPRIM_400000_NS6detail17trampoline_kernelINS0_14default_configENS1_25partition_config_selectorILNS1_17partition_subalgoE9EllbEEZZNS1_14partition_implILS5_9ELb0ES3_jPlS8_PNS0_10empty_typeENS0_5tupleIJS8_S9_EEENSB_IJS8_SA_EEENS0_18inequality_wrapperIZN2at6native12_GLOBAL__N_124unique_dim_cuda_templateIlEESt5tupleIJNSF_6TensorESK_SK_EERKSK_lbbbEUlllE0_EEPmJS9_EEE10hipError_tPvRmT3_T4_T5_T6_T7_T9_mT8_P12ihipStream_tbDpT10_ENKUlT_T0_E_clISt17integral_constantIbLb1EES1A_EEDaS15_S16_EUlS15_E_NS1_11comp_targetILNS1_3genE4ELNS1_11target_archE910ELNS1_3gpuE8ELNS1_3repE0EEENS1_30default_config_static_selectorELNS0_4arch9wavefront6targetE1EEEvT1_ ; -- Begin function _ZN7rocprim17ROCPRIM_400000_NS6detail17trampoline_kernelINS0_14default_configENS1_25partition_config_selectorILNS1_17partition_subalgoE9EllbEEZZNS1_14partition_implILS5_9ELb0ES3_jPlS8_PNS0_10empty_typeENS0_5tupleIJS8_S9_EEENSB_IJS8_SA_EEENS0_18inequality_wrapperIZN2at6native12_GLOBAL__N_124unique_dim_cuda_templateIlEESt5tupleIJNSF_6TensorESK_SK_EERKSK_lbbbEUlllE0_EEPmJS9_EEE10hipError_tPvRmT3_T4_T5_T6_T7_T9_mT8_P12ihipStream_tbDpT10_ENKUlT_T0_E_clISt17integral_constantIbLb1EES1A_EEDaS15_S16_EUlS15_E_NS1_11comp_targetILNS1_3genE4ELNS1_11target_archE910ELNS1_3gpuE8ELNS1_3repE0EEENS1_30default_config_static_selectorELNS0_4arch9wavefront6targetE1EEEvT1_
	.p2align	8
	.type	_ZN7rocprim17ROCPRIM_400000_NS6detail17trampoline_kernelINS0_14default_configENS1_25partition_config_selectorILNS1_17partition_subalgoE9EllbEEZZNS1_14partition_implILS5_9ELb0ES3_jPlS8_PNS0_10empty_typeENS0_5tupleIJS8_S9_EEENSB_IJS8_SA_EEENS0_18inequality_wrapperIZN2at6native12_GLOBAL__N_124unique_dim_cuda_templateIlEESt5tupleIJNSF_6TensorESK_SK_EERKSK_lbbbEUlllE0_EEPmJS9_EEE10hipError_tPvRmT3_T4_T5_T6_T7_T9_mT8_P12ihipStream_tbDpT10_ENKUlT_T0_E_clISt17integral_constantIbLb1EES1A_EEDaS15_S16_EUlS15_E_NS1_11comp_targetILNS1_3genE4ELNS1_11target_archE910ELNS1_3gpuE8ELNS1_3repE0EEENS1_30default_config_static_selectorELNS0_4arch9wavefront6targetE1EEEvT1_,@function
_ZN7rocprim17ROCPRIM_400000_NS6detail17trampoline_kernelINS0_14default_configENS1_25partition_config_selectorILNS1_17partition_subalgoE9EllbEEZZNS1_14partition_implILS5_9ELb0ES3_jPlS8_PNS0_10empty_typeENS0_5tupleIJS8_S9_EEENSB_IJS8_SA_EEENS0_18inequality_wrapperIZN2at6native12_GLOBAL__N_124unique_dim_cuda_templateIlEESt5tupleIJNSF_6TensorESK_SK_EERKSK_lbbbEUlllE0_EEPmJS9_EEE10hipError_tPvRmT3_T4_T5_T6_T7_T9_mT8_P12ihipStream_tbDpT10_ENKUlT_T0_E_clISt17integral_constantIbLb1EES1A_EEDaS15_S16_EUlS15_E_NS1_11comp_targetILNS1_3genE4ELNS1_11target_archE910ELNS1_3gpuE8ELNS1_3repE0EEENS1_30default_config_static_selectorELNS0_4arch9wavefront6targetE1EEEvT1_: ; @_ZN7rocprim17ROCPRIM_400000_NS6detail17trampoline_kernelINS0_14default_configENS1_25partition_config_selectorILNS1_17partition_subalgoE9EllbEEZZNS1_14partition_implILS5_9ELb0ES3_jPlS8_PNS0_10empty_typeENS0_5tupleIJS8_S9_EEENSB_IJS8_SA_EEENS0_18inequality_wrapperIZN2at6native12_GLOBAL__N_124unique_dim_cuda_templateIlEESt5tupleIJNSF_6TensorESK_SK_EERKSK_lbbbEUlllE0_EEPmJS9_EEE10hipError_tPvRmT3_T4_T5_T6_T7_T9_mT8_P12ihipStream_tbDpT10_ENKUlT_T0_E_clISt17integral_constantIbLb1EES1A_EEDaS15_S16_EUlS15_E_NS1_11comp_targetILNS1_3genE4ELNS1_11target_archE910ELNS1_3gpuE8ELNS1_3repE0EEENS1_30default_config_static_selectorELNS0_4arch9wavefront6targetE1EEEvT1_
; %bb.0:
	s_load_dwordx4 s[8:11], s[4:5], 0x8
	s_load_dwordx2 s[14:15], s[4:5], 0x18
	s_load_dwordx8 s[20:27], s[4:5], 0x40
	s_load_dwordx4 s[16:19], s[4:5], 0x60
	v_cmp_ne_u32_e64 s[2:3], 0, v0
	v_cmp_eq_u32_e64 s[0:1], 0, v0
	s_and_saveexec_b64 s[6:7], s[0:1]
	s_cbranch_execz .LBB605_4
; %bb.1:
	s_mov_b64 s[28:29], exec
	v_mbcnt_lo_u32_b32 v1, s28, 0
	v_mbcnt_hi_u32_b32 v1, s29, v1
	v_cmp_eq_u32_e32 vcc, 0, v1
                                        ; implicit-def: $vgpr2
	s_and_saveexec_b64 s[12:13], vcc
	s_cbranch_execz .LBB605_3
; %bb.2:
	s_load_dwordx2 s[30:31], s[4:5], 0x78
	s_bcnt1_i32_b64 s28, s[28:29]
	v_mov_b32_e32 v2, 0
	v_mov_b32_e32 v3, s28
	s_waitcnt lgkmcnt(0)
	global_atomic_add v2, v2, v3, s[30:31] glc
.LBB605_3:
	s_or_b64 exec, exec, s[12:13]
	s_waitcnt vmcnt(0)
	v_readfirstlane_b32 s12, v2
	v_add_u32_e32 v1, s12, v1
	v_mov_b32_e32 v2, 0
	ds_write_b32 v2, v1
.LBB605_4:
	s_or_b64 exec, exec, s[6:7]
	v_mov_b32_e32 v1, 0
	s_load_dwordx4 s[28:31], s[4:5], 0x28
	s_load_dword s6, s[4:5], 0x70
	s_waitcnt lgkmcnt(0)
	s_barrier
	ds_read_b32 v6, v1
	s_waitcnt lgkmcnt(0)
	s_barrier
	global_load_dwordx2 v[2:3], v1, s[22:23]
	s_lshl_b64 s[36:37], s[10:11], 3
	s_add_u32 s22, s8, s36
	s_addc_u32 s23, s9, s37
	s_add_i32 s12, s6, -1
	s_lshl_b32 s8, s6, 9
	s_lshl_b32 s6, s12, 9
	s_add_i32 s6, s10, s6
	v_readfirstlane_b32 s33, v6
	s_sub_i32 s48, s24, s6
	s_lshl_b32 s6, s33, 9
	s_add_u32 s8, s10, s8
	s_addc_u32 s9, s11, 0
	v_mov_b32_e32 v4, s24
	v_mov_b32_e32 v5, s25
	s_cmp_eq_u32 s33, s12
	v_cmp_ge_u64_e32 vcc, s[8:9], v[4:5]
	s_cselect_b64 s[24:25], -1, 0
	s_mov_b32 s7, 0
	s_and_b64 s[12:13], vcc, s[24:25]
	s_lshl_b64 s[8:9], s[6:7], 3
	s_xor_b64 s[34:35], s[12:13], -1
	s_add_u32 s6, s22, s8
	s_mov_b64 s[4:5], -1
	v_lshrrev_b32_e32 v18, 2, v0
	s_addc_u32 s7, s23, s9
	s_and_b64 vcc, exec, s[34:35]
	s_waitcnt vmcnt(0)
	v_readfirstlane_b32 s22, v2
	v_readfirstlane_b32 s23, v3
	s_cbranch_vccz .LBB605_6
; %bb.5:
	v_lshlrev_b32_e32 v1, 3, v0
	global_load_dwordx2 v[2:3], v1, s[6:7]
	global_load_dwordx2 v[4:5], v1, s[6:7] offset:1024
	global_load_dwordx2 v[6:7], v1, s[6:7] offset:2048
	;; [unrolled: 1-line block ×3, first 2 shown]
	v_or_b32_e32 v11, 0x80, v0
	v_or_b32_e32 v12, 0x100, v0
	;; [unrolled: 1-line block ×3, first 2 shown]
	v_and_b32_e32 v10, 24, v18
	v_lshrrev_b32_e32 v11, 2, v11
	v_lshrrev_b32_e32 v12, 2, v12
	;; [unrolled: 1-line block ×3, first 2 shown]
	v_add_u32_e32 v10, v10, v1
	v_and_b32_e32 v11, 56, v11
	v_and_b32_e32 v12, 0x58, v12
	;; [unrolled: 1-line block ×3, first 2 shown]
	v_add_u32_e32 v11, v11, v1
	v_add_u32_e32 v12, v12, v1
	;; [unrolled: 1-line block ×3, first 2 shown]
	s_mov_b64 s[4:5], 0
	s_waitcnt vmcnt(3)
	ds_write_b64 v10, v[2:3]
	s_waitcnt vmcnt(2)
	ds_write_b64 v11, v[4:5] offset:1024
	s_waitcnt vmcnt(1)
	ds_write_b64 v12, v[6:7] offset:2048
	;; [unrolled: 2-line block ×3, first 2 shown]
	s_waitcnt lgkmcnt(0)
	s_barrier
.LBB605_6:
	s_andn2_b64 vcc, exec, s[4:5]
	v_cmp_gt_u32_e64 s[4:5], s48, v0
	s_cbranch_vccnz .LBB605_16
; %bb.7:
                                        ; implicit-def: $vgpr2_vgpr3_vgpr4_vgpr5_vgpr6_vgpr7_vgpr8_vgpr9
	s_and_saveexec_b64 s[38:39], s[4:5]
	s_cbranch_execz .LBB605_9
; %bb.8:
	v_lshlrev_b32_e32 v1, 3, v0
	global_load_dwordx2 v[2:3], v1, s[6:7]
.LBB605_9:
	s_or_b64 exec, exec, s[38:39]
	v_or_b32_e32 v1, 0x80, v0
	v_cmp_gt_u32_e32 vcc, s48, v1
	s_and_saveexec_b64 s[4:5], vcc
	s_cbranch_execz .LBB605_11
; %bb.10:
	v_lshlrev_b32_e32 v4, 3, v0
	global_load_dwordx2 v[4:5], v4, s[6:7] offset:1024
.LBB605_11:
	s_or_b64 exec, exec, s[4:5]
	v_or_b32_e32 v10, 0x100, v0
	v_cmp_gt_u32_e32 vcc, s48, v10
	s_and_saveexec_b64 s[4:5], vcc
	s_cbranch_execz .LBB605_13
; %bb.12:
	v_lshlrev_b32_e32 v6, 3, v0
	global_load_dwordx2 v[6:7], v6, s[6:7] offset:2048
.LBB605_13:
	;; [unrolled: 9-line block ×3, first 2 shown]
	s_or_b64 exec, exec, s[4:5]
	v_lshrrev_b32_e32 v1, 2, v1
	v_lshlrev_b32_e32 v13, 3, v0
	v_and_b32_e32 v1, 56, v1
	v_add_u32_e32 v1, v1, v13
	s_waitcnt vmcnt(0)
	ds_write_b64 v1, v[4:5] offset:1024
	v_lshrrev_b32_e32 v1, 2, v10
	v_and_b32_e32 v1, 0x78, v1
	v_add_u32_e32 v1, v1, v13
	ds_write_b64 v1, v[6:7] offset:2048
	v_lshrrev_b32_e32 v1, 2, v11
	v_and_b32_e32 v12, 24, v18
	v_and_b32_e32 v1, 0x78, v1
	v_add_u32_e32 v12, v12, v13
	v_add_u32_e32 v1, v1, v13
	ds_write_b64 v12, v[2:3]
	ds_write_b64 v1, v[8:9] offset:3072
	s_waitcnt lgkmcnt(0)
	s_barrier
.LBB605_16:
	v_lshlrev_b32_e32 v1, 2, v0
	v_lshrrev_b32_e32 v2, 3, v0
	v_add_lshl_u32 v19, v2, v1, 3
	ds_read2_b64 v[14:17], v19 offset1:1
	ds_read2_b64 v[10:13], v19 offset0:2 offset1:3
	s_add_u32 s4, s14, s36
	s_addc_u32 s5, s15, s37
	s_add_u32 s4, s4, s8
	s_addc_u32 s5, s5, s9
	s_mov_b64 s[8:9], -1
	s_and_b64 vcc, exec, s[34:35]
	s_waitcnt lgkmcnt(0)
	s_barrier
	s_cbranch_vccz .LBB605_18
; %bb.17:
	v_lshlrev_b32_e32 v20, 3, v0
	global_load_dwordx2 v[2:3], v20, s[4:5]
	global_load_dwordx2 v[4:5], v20, s[4:5] offset:1024
	global_load_dwordx2 v[6:7], v20, s[4:5] offset:2048
	global_load_dwordx2 v[8:9], v20, s[4:5] offset:3072
	v_or_b32_e32 v22, 0x80, v0
	v_or_b32_e32 v23, 0x100, v0
	v_or_b32_e32 v24, 0x180, v0
	v_and_b32_e32 v21, 24, v18
	v_lshrrev_b32_e32 v22, 2, v22
	v_lshrrev_b32_e32 v23, 2, v23
	;; [unrolled: 1-line block ×3, first 2 shown]
	v_add_u32_e32 v21, v21, v20
	v_and_b32_e32 v22, 56, v22
	v_and_b32_e32 v23, 0x58, v23
	;; [unrolled: 1-line block ×3, first 2 shown]
	v_add_u32_e32 v22, v22, v20
	v_add_u32_e32 v23, v23, v20
	;; [unrolled: 1-line block ×3, first 2 shown]
	s_mov_b64 s[8:9], 0
	s_waitcnt vmcnt(3)
	ds_write_b64 v21, v[2:3]
	s_waitcnt vmcnt(2)
	ds_write_b64 v22, v[4:5] offset:1024
	s_waitcnt vmcnt(1)
	ds_write_b64 v23, v[6:7] offset:2048
	;; [unrolled: 2-line block ×3, first 2 shown]
	s_waitcnt lgkmcnt(0)
	s_barrier
.LBB605_18:
	s_andn2_b64 vcc, exec, s[8:9]
	s_cbranch_vccnz .LBB605_28
; %bb.19:
	v_cmp_gt_u32_e32 vcc, s48, v0
                                        ; implicit-def: $vgpr2_vgpr3
	s_and_saveexec_b64 s[8:9], vcc
	s_cbranch_execz .LBB605_21
; %bb.20:
	v_lshlrev_b32_e32 v2, 3, v0
	global_load_dwordx2 v[2:3], v2, s[4:5]
.LBB605_21:
	s_or_b64 exec, exec, s[8:9]
	v_or_b32_e32 v20, 0x80, v0
	v_cmp_gt_u32_e32 vcc, s48, v20
                                        ; implicit-def: $vgpr4_vgpr5
	s_and_saveexec_b64 s[8:9], vcc
	s_cbranch_execz .LBB605_23
; %bb.22:
	v_lshlrev_b32_e32 v4, 3, v0
	global_load_dwordx2 v[4:5], v4, s[4:5] offset:1024
.LBB605_23:
	s_or_b64 exec, exec, s[8:9]
	v_or_b32_e32 v21, 0x100, v0
	v_cmp_gt_u32_e32 vcc, s48, v21
                                        ; implicit-def: $vgpr6_vgpr7
	s_and_saveexec_b64 s[8:9], vcc
	s_cbranch_execz .LBB605_25
; %bb.24:
	v_lshlrev_b32_e32 v6, 3, v0
	global_load_dwordx2 v[6:7], v6, s[4:5] offset:2048
.LBB605_25:
	s_or_b64 exec, exec, s[8:9]
	v_or_b32_e32 v22, 0x180, v0
	v_cmp_gt_u32_e32 vcc, s48, v22
                                        ; implicit-def: $vgpr8_vgpr9
	s_and_saveexec_b64 s[8:9], vcc
	s_cbranch_execz .LBB605_27
; %bb.26:
	v_lshlrev_b32_e32 v8, 3, v0
	global_load_dwordx2 v[8:9], v8, s[4:5] offset:3072
.LBB605_27:
	s_or_b64 exec, exec, s[8:9]
	v_and_b32_e32 v18, 24, v18
	v_lshlrev_b32_e32 v23, 3, v0
	v_add_u32_e32 v18, v18, v23
	s_waitcnt vmcnt(0)
	ds_write_b64 v18, v[2:3]
	v_lshrrev_b32_e32 v2, 2, v20
	v_and_b32_e32 v2, 56, v2
	v_add_u32_e32 v2, v2, v23
	ds_write_b64 v2, v[4:5] offset:1024
	v_lshrrev_b32_e32 v2, 2, v21
	v_and_b32_e32 v2, 0x78, v2
	v_add_u32_e32 v2, v2, v23
	ds_write_b64 v2, v[6:7] offset:2048
	;; [unrolled: 4-line block ×3, first 2 shown]
	s_waitcnt lgkmcnt(0)
	s_barrier
.LBB605_28:
	ds_read2_b64 v[6:9], v19 offset1:1
	ds_read2_b64 v[2:5], v19 offset0:2 offset1:3
	s_cmp_lg_u32 s33, 0
	s_cselect_b64 s[36:37], -1, 0
	s_cmp_lg_u64 s[10:11], 0
	s_cselect_b64 s[4:5], -1, 0
	s_or_b64 s[4:5], s[4:5], s[36:37]
	s_mov_b64 s[14:15], 0
	s_and_b64 vcc, exec, s[4:5]
	v_cmp_gt_i64_e64 s[4:5], s[26:27], 0
	s_waitcnt lgkmcnt(0)
	s_barrier
	s_cbranch_vccz .LBB605_37
; %bb.29:
	v_mov_b32_e32 v18, 0
	global_load_dwordx2 v[18:19], v18, s[6:7] offset:-8
	v_cndmask_b32_e64 v20, 0, 1, s[4:5]
	v_lshlrev_b32_e32 v29, 3, v0
	s_mov_b64 s[10:11], 0
	s_and_b64 vcc, exec, s[34:35]
	v_cmp_ne_u32_e64 s[4:5], 1, v20
	ds_write_b64 v29, v[12:13]
	s_cbranch_vccz .LBB605_38
; %bb.30:
	v_mul_lo_u32 v22, v11, s26
	v_mul_lo_u32 v23, v10, s27
	v_mad_u64_u32 v[20:21], s[6:7], v10, s26, 0
	v_add3_u32 v21, v21, v23, v22
	s_and_b64 vcc, exec, s[4:5]
	v_lshlrev_b64 v[20:21], 3, v[20:21]
	s_cbranch_vccnz .LBB605_41
; %bb.31:
	v_mul_lo_u32 v24, v13, s26
	v_mul_lo_u32 v25, v12, s27
	v_mad_u64_u32 v[22:23], s[6:7], v12, s26, 0
	v_add3_u32 v23, v23, v25, v24
	v_mov_b32_e32 v25, s17
	v_add_co_u32_e32 v24, vcc, s16, v20
	v_addc_co_u32_e64 v25, s[6:7], v25, v21, vcc
	v_lshlrev_b64 v[22:23], 3, v[22:23]
	v_mov_b32_e32 v27, s17
	v_add_co_u32_e64 v26, s[6:7], s16, v22
	v_addc_co_u32_e64 v27, s[8:9], v27, v23, s[6:7]
	global_load_dwordx2 v[30:31], v[24:25], off
	global_load_dwordx2 v[32:33], v[26:27], off
	s_mov_b64 s[10:11], -1
	s_waitcnt vmcnt(0)
	v_cmp_eq_u64_e64 s[8:9], v[30:31], v[32:33]
	s_and_saveexec_b64 s[14:15], s[8:9]
	s_cbranch_execz .LBB605_40
; %bb.32:
	v_mov_b32_e32 v22, s17
	v_addc_co_u32_e64 v23, s[6:7], v23, v22, s[6:7]
	v_add_co_u32_e64 v22, s[6:7], 8, v26
	v_mov_b32_e32 v25, s17
	v_addc_co_u32_e64 v23, s[6:7], 0, v23, s[6:7]
	v_addc_co_u32_e32 v25, vcc, v21, v25, vcc
	v_add_co_u32_e32 v24, vcc, 8, v24
	s_add_u32 s6, s26, -1
	v_addc_co_u32_e32 v25, vcc, 0, v25, vcc
	s_addc_u32 s7, s27, -1
	s_mov_b64 s[8:9], 0
	s_mov_b64 s[38:39], 0
                                        ; implicit-def: $sgpr10_sgpr11
	s_branch .LBB605_35
.LBB605_33:                             ;   in Loop: Header=BB605_35 Depth=1
	global_load_dwordx2 v[26:27], v[24:25], off
	global_load_dwordx2 v[30:31], v[22:23], off
	v_add_co_u32_e32 v22, vcc, 8, v22
	v_addc_co_u32_e32 v23, vcc, 0, v23, vcc
	v_add_co_u32_e32 v24, vcc, 8, v24
	v_addc_co_u32_e32 v25, vcc, 0, v25, vcc
	s_add_u32 s38, s38, 1
	s_addc_u32 s39, s39, 0
	s_andn2_b64 s[10:11], s[10:11], exec
	s_waitcnt vmcnt(0)
	v_cmp_ne_u64_e32 vcc, v[26:27], v[30:31]
	s_and_b64 s[40:41], vcc, exec
	s_or_b64 s[10:11], s[10:11], s[40:41]
.LBB605_34:                             ;   in Loop: Header=BB605_35 Depth=1
	s_and_b64 s[40:41], exec, s[10:11]
	s_or_b64 s[8:9], s[40:41], s[8:9]
	v_pk_mov_b32 v[26:27], s[38:39], s[38:39] op_sel:[0,1]
	s_andn2_b64 exec, exec, s[8:9]
	s_cbranch_execz .LBB605_39
.LBB605_35:                             ; =>This Inner Loop Header: Depth=1
	s_or_b64 s[10:11], s[10:11], exec
	s_cmp_eq_u64 s[6:7], s[38:39]
	s_cbranch_scc0 .LBB605_33
; %bb.36:                               ;   in Loop: Header=BB605_35 Depth=1
                                        ; implicit-def: $vgpr22_vgpr23
                                        ; implicit-def: $vgpr24_vgpr25
	s_mov_b64 s[38:39], s[26:27]
	s_branch .LBB605_34
.LBB605_37:
                                        ; implicit-def: $sgpr38_sgpr39
                                        ; implicit-def: $vgpr28
	s_branch .LBB605_119
.LBB605_38:
                                        ; implicit-def: $sgpr38_sgpr39
                                        ; implicit-def: $vgpr28
	s_cbranch_execnz .LBB605_71
	s_branch .LBB605_118
.LBB605_39:
	s_or_b64 exec, exec, s[8:9]
	v_cmp_gt_i64_e32 vcc, s[26:27], v[26:27]
	s_orn2_b64 s[10:11], vcc, exec
.LBB605_40:
	s_or_b64 exec, exec, s[14:15]
.LBB605_41:
	v_mul_lo_u32 v24, v17, s26
	v_mul_lo_u32 v25, v16, s27
	v_mad_u64_u32 v[22:23], s[6:7], v16, s26, 0
	v_add3_u32 v23, v23, v25, v24
	s_mov_b64 s[14:15], 0
	s_and_b64 vcc, exec, s[4:5]
	v_lshlrev_b64 v[22:23], 3, v[22:23]
	s_mov_b64 s[38:39], 0
	s_cbranch_vccnz .LBB605_50
; %bb.42:
	v_mov_b32_e32 v25, s17
	v_add_co_u32_e32 v24, vcc, s16, v22
	v_addc_co_u32_e64 v25, s[6:7], v25, v23, vcc
	v_mov_b32_e32 v27, s17
	v_add_co_u32_e64 v26, s[6:7], s16, v20
	v_addc_co_u32_e64 v27, s[8:9], v27, v21, s[6:7]
	global_load_dwordx2 v[30:31], v[24:25], off
	global_load_dwordx2 v[32:33], v[26:27], off
	s_mov_b64 s[38:39], -1
	s_waitcnt vmcnt(0)
	v_cmp_eq_u64_e64 s[8:9], v[30:31], v[32:33]
	s_and_saveexec_b64 s[40:41], s[8:9]
	s_cbranch_execz .LBB605_49
; %bb.43:
	v_mov_b32_e32 v20, s17
	v_addc_co_u32_e64 v21, s[6:7], v21, v20, s[6:7]
	v_add_co_u32_e64 v20, s[6:7], 8, v26
	v_mov_b32_e32 v25, s17
	v_addc_co_u32_e64 v21, s[6:7], 0, v21, s[6:7]
	v_addc_co_u32_e32 v25, vcc, v23, v25, vcc
	v_add_co_u32_e32 v24, vcc, 8, v24
	s_add_u32 s6, s26, -1
	v_addc_co_u32_e32 v25, vcc, 0, v25, vcc
	s_addc_u32 s7, s27, -1
	s_mov_b64 s[8:9], 0
	s_mov_b64 s[42:43], 0
                                        ; implicit-def: $sgpr38_sgpr39
	s_branch .LBB605_46
.LBB605_44:                             ;   in Loop: Header=BB605_46 Depth=1
	global_load_dwordx2 v[26:27], v[24:25], off
	global_load_dwordx2 v[30:31], v[20:21], off
	v_add_co_u32_e32 v20, vcc, 8, v20
	v_addc_co_u32_e32 v21, vcc, 0, v21, vcc
	v_add_co_u32_e32 v24, vcc, 8, v24
	v_addc_co_u32_e32 v25, vcc, 0, v25, vcc
	s_add_u32 s42, s42, 1
	s_addc_u32 s43, s43, 0
	s_andn2_b64 s[38:39], s[38:39], exec
	s_waitcnt vmcnt(0)
	v_cmp_ne_u64_e32 vcc, v[26:27], v[30:31]
	s_and_b64 s[44:45], vcc, exec
	s_or_b64 s[38:39], s[38:39], s[44:45]
.LBB605_45:                             ;   in Loop: Header=BB605_46 Depth=1
	s_and_b64 s[44:45], exec, s[38:39]
	s_or_b64 s[8:9], s[44:45], s[8:9]
	v_pk_mov_b32 v[26:27], s[42:43], s[42:43] op_sel:[0,1]
	s_andn2_b64 exec, exec, s[8:9]
	s_cbranch_execz .LBB605_48
.LBB605_46:                             ; =>This Inner Loop Header: Depth=1
	s_or_b64 s[38:39], s[38:39], exec
	s_cmp_eq_u64 s[6:7], s[42:43]
	s_cbranch_scc0 .LBB605_44
; %bb.47:                               ;   in Loop: Header=BB605_46 Depth=1
                                        ; implicit-def: $vgpr20_vgpr21
                                        ; implicit-def: $vgpr24_vgpr25
	s_mov_b64 s[42:43], s[26:27]
	s_branch .LBB605_45
.LBB605_48:
	s_or_b64 exec, exec, s[8:9]
	v_cmp_gt_i64_e32 vcc, s[26:27], v[26:27]
	s_orn2_b64 s[38:39], vcc, exec
.LBB605_49:
	s_or_b64 exec, exec, s[40:41]
.LBB605_50:
	v_mul_lo_u32 v24, v15, s26
	v_mul_lo_u32 v25, v14, s27
	v_mad_u64_u32 v[20:21], s[6:7], v14, s26, 0
	v_add3_u32 v21, v21, v25, v24
	s_and_b64 vcc, exec, s[4:5]
	v_lshlrev_b64 v[20:21], 3, v[20:21]
	s_cbranch_vccnz .LBB605_59
; %bb.51:
	v_mov_b32_e32 v25, s17
	v_add_co_u32_e32 v24, vcc, s16, v20
	v_addc_co_u32_e64 v25, s[6:7], v25, v21, vcc
	v_mov_b32_e32 v27, s17
	v_add_co_u32_e64 v26, s[6:7], s16, v22
	v_addc_co_u32_e64 v27, s[8:9], v27, v23, s[6:7]
	global_load_dwordx2 v[30:31], v[24:25], off
	global_load_dwordx2 v[32:33], v[26:27], off
	s_mov_b64 s[14:15], -1
	s_waitcnt vmcnt(0)
	v_cmp_eq_u64_e64 s[8:9], v[30:31], v[32:33]
	s_and_saveexec_b64 s[40:41], s[8:9]
	s_cbranch_execz .LBB605_58
; %bb.52:
	v_mov_b32_e32 v22, s17
	v_addc_co_u32_e64 v23, s[6:7], v23, v22, s[6:7]
	v_add_co_u32_e64 v22, s[6:7], 8, v26
	v_mov_b32_e32 v25, s17
	v_addc_co_u32_e64 v23, s[6:7], 0, v23, s[6:7]
	v_addc_co_u32_e32 v25, vcc, v21, v25, vcc
	v_add_co_u32_e32 v24, vcc, 8, v24
	s_add_u32 s6, s26, -1
	v_addc_co_u32_e32 v25, vcc, 0, v25, vcc
	s_addc_u32 s7, s27, -1
	s_mov_b64 s[8:9], 0
	s_mov_b64 s[42:43], 0
                                        ; implicit-def: $sgpr14_sgpr15
	s_branch .LBB605_55
.LBB605_53:                             ;   in Loop: Header=BB605_55 Depth=1
	global_load_dwordx2 v[26:27], v[24:25], off
	global_load_dwordx2 v[30:31], v[22:23], off
	v_add_co_u32_e32 v22, vcc, 8, v22
	v_addc_co_u32_e32 v23, vcc, 0, v23, vcc
	v_add_co_u32_e32 v24, vcc, 8, v24
	v_addc_co_u32_e32 v25, vcc, 0, v25, vcc
	s_add_u32 s42, s42, 1
	s_addc_u32 s43, s43, 0
	s_andn2_b64 s[14:15], s[14:15], exec
	s_waitcnt vmcnt(0)
	v_cmp_ne_u64_e32 vcc, v[26:27], v[30:31]
	s_and_b64 s[44:45], vcc, exec
	s_or_b64 s[14:15], s[14:15], s[44:45]
.LBB605_54:                             ;   in Loop: Header=BB605_55 Depth=1
	s_and_b64 s[44:45], exec, s[14:15]
	s_or_b64 s[8:9], s[44:45], s[8:9]
	v_pk_mov_b32 v[26:27], s[42:43], s[42:43] op_sel:[0,1]
	s_andn2_b64 exec, exec, s[8:9]
	s_cbranch_execz .LBB605_57
.LBB605_55:                             ; =>This Inner Loop Header: Depth=1
	s_or_b64 s[14:15], s[14:15], exec
	s_cmp_eq_u64 s[6:7], s[42:43]
	s_cbranch_scc0 .LBB605_53
; %bb.56:                               ;   in Loop: Header=BB605_55 Depth=1
                                        ; implicit-def: $vgpr22_vgpr23
                                        ; implicit-def: $vgpr24_vgpr25
	s_mov_b64 s[42:43], s[26:27]
	s_branch .LBB605_54
.LBB605_57:
	s_or_b64 exec, exec, s[8:9]
	v_cmp_gt_i64_e32 vcc, s[26:27], v[26:27]
	s_orn2_b64 s[14:15], vcc, exec
.LBB605_58:
	s_or_b64 exec, exec, s[40:41]
.LBB605_59:
	s_waitcnt vmcnt(0)
	v_pk_mov_b32 v[22:23], v[18:19], v[18:19] op_sel:[0,1]
	s_waitcnt lgkmcnt(0)
	s_barrier
	s_and_saveexec_b64 s[6:7], s[2:3]
	s_cbranch_execz .LBB605_61
; %bb.60:
	v_add_u32_e32 v22, -8, v29
	ds_read_b64 v[22:23], v22
.LBB605_61:
	s_or_b64 exec, exec, s[6:7]
	v_cndmask_b32_e64 v25, 0, 1, s[10:11]
	v_cndmask_b32_e64 v24, 0, 1, s[38:39]
	v_cndmask_b32_e64 v26, 0, 1, s[14:15]
	v_lshlrev_b16_e32 v25, 8, v25
	v_lshlrev_b16_e32 v28, 8, v26
	v_or_b32_sdwa v30, v24, v25 dst_sel:WORD_1 dst_unused:UNUSED_PAD src0_sel:DWORD src1_sel:DWORD
	s_mov_b64 s[10:11], 0
	s_and_b64 vcc, exec, s[4:5]
	s_mov_b64 s[38:39], 0
	s_cbranch_vccnz .LBB605_70
; %bb.62:
	s_waitcnt lgkmcnt(0)
	v_mul_lo_u32 v24, v23, s26
	v_mul_lo_u32 v25, v22, s27
	v_mad_u64_u32 v[22:23], s[6:7], v22, s26, 0
	v_add3_u32 v23, v23, v25, v24
	v_lshlrev_b64 v[22:23], 3, v[22:23]
	v_mov_b32_e32 v25, s17
	v_add_co_u32_e32 v24, vcc, s16, v22
	v_addc_co_u32_e64 v25, s[6:7], v25, v23, vcc
	v_mov_b32_e32 v22, s17
	v_add_co_u32_e64 v26, s[6:7], s16, v20
	v_addc_co_u32_e64 v27, s[8:9], v22, v21, s[6:7]
	global_load_dwordx2 v[32:33], v[24:25], off
	global_load_dwordx2 v[34:35], v[26:27], off
	s_mov_b64 s[38:39], -1
	s_waitcnt vmcnt(0)
	v_cmp_eq_u64_e64 s[8:9], v[32:33], v[34:35]
	s_and_saveexec_b64 s[14:15], s[8:9]
	s_cbranch_execz .LBB605_69
; %bb.63:
	v_mov_b32_e32 v20, s17
	v_addc_co_u32_e64 v21, s[6:7], v21, v20, s[6:7]
	v_add_co_u32_e64 v20, s[6:7], 8, v26
	v_mov_b32_e32 v22, s17
	v_addc_co_u32_e64 v21, s[6:7], 0, v21, s[6:7]
	v_addc_co_u32_e32 v23, vcc, v23, v22, vcc
	v_add_co_u32_e32 v22, vcc, 8, v24
	s_add_u32 s6, s26, -1
	v_addc_co_u32_e32 v23, vcc, 0, v23, vcc
	s_addc_u32 s7, s27, -1
	s_mov_b64 s[8:9], 0
	s_mov_b64 s[40:41], 0
                                        ; implicit-def: $sgpr38_sgpr39
	s_branch .LBB605_66
.LBB605_64:                             ;   in Loop: Header=BB605_66 Depth=1
	global_load_dwordx2 v[24:25], v[22:23], off
	global_load_dwordx2 v[26:27], v[20:21], off
	v_add_co_u32_e32 v20, vcc, 8, v20
	v_addc_co_u32_e32 v21, vcc, 0, v21, vcc
	v_add_co_u32_e32 v22, vcc, 8, v22
	v_addc_co_u32_e32 v23, vcc, 0, v23, vcc
	s_add_u32 s40, s40, 1
	s_addc_u32 s41, s41, 0
	s_andn2_b64 s[38:39], s[38:39], exec
	s_waitcnt vmcnt(0)
	v_cmp_ne_u64_e32 vcc, v[24:25], v[26:27]
	s_and_b64 s[42:43], vcc, exec
	s_or_b64 s[38:39], s[38:39], s[42:43]
.LBB605_65:                             ;   in Loop: Header=BB605_66 Depth=1
	s_and_b64 s[42:43], exec, s[38:39]
	s_or_b64 s[8:9], s[42:43], s[8:9]
	v_pk_mov_b32 v[24:25], s[40:41], s[40:41] op_sel:[0,1]
	s_andn2_b64 exec, exec, s[8:9]
	s_cbranch_execz .LBB605_68
.LBB605_66:                             ; =>This Inner Loop Header: Depth=1
	s_or_b64 s[38:39], s[38:39], exec
	s_cmp_eq_u64 s[6:7], s[40:41]
	s_cbranch_scc0 .LBB605_64
; %bb.67:                               ;   in Loop: Header=BB605_66 Depth=1
                                        ; implicit-def: $vgpr20_vgpr21
                                        ; implicit-def: $vgpr22_vgpr23
	s_mov_b64 s[40:41], s[26:27]
	s_branch .LBB605_65
.LBB605_68:
	s_or_b64 exec, exec, s[8:9]
	v_cmp_gt_i64_e32 vcc, s[26:27], v[24:25]
	s_orn2_b64 s[38:39], vcc, exec
.LBB605_69:
	s_or_b64 exec, exec, s[14:15]
.LBB605_70:
	v_or_b32_e32 v28, v28, v30
	s_and_b64 vcc, exec, s[10:11]
	s_cbranch_vccz .LBB605_118
.LBB605_71:
	v_or_b32_e32 v20, 3, v1
	v_cmp_gt_u32_e32 vcc, s48, v20
	s_mov_b64 s[14:15], 0
	s_mov_b64 s[10:11], 0
	s_and_saveexec_b64 s[38:39], vcc
	s_cbranch_execz .LBB605_82
; %bb.72:
	s_and_b64 vcc, exec, s[4:5]
	s_mov_b64 s[40:41], 0
	s_cbranch_vccnz .LBB605_81
; %bb.73:
	s_waitcnt lgkmcnt(0)
	v_mul_lo_u32 v22, v11, s26
	v_mul_lo_u32 v23, v10, s27
	v_mad_u64_u32 v[20:21], s[6:7], v10, s26, 0
	v_add3_u32 v21, v21, v23, v22
	v_mul_lo_u32 v22, v13, s26
	v_mul_lo_u32 v23, v12, s27
	v_mad_u64_u32 v[26:27], s[6:7], v12, s26, 0
	v_add3_u32 v27, v27, v23, v22
	v_lshlrev_b64 v[22:23], 3, v[20:21]
	v_mov_b32_e32 v20, s17
	v_add_co_u32_e32 v24, vcc, s16, v22
	v_addc_co_u32_e64 v25, s[6:7], v20, v23, vcc
	v_lshlrev_b64 v[20:21], 3, v[26:27]
	v_mov_b32_e32 v22, s17
	v_add_co_u32_e64 v26, s[6:7], s16, v20
	v_addc_co_u32_e64 v27, s[8:9], v22, v21, s[6:7]
	global_load_dwordx2 v[30:31], v[24:25], off
	global_load_dwordx2 v[32:33], v[26:27], off
	s_mov_b64 s[40:41], -1
	s_waitcnt vmcnt(0)
	v_cmp_eq_u64_e64 s[8:9], v[30:31], v[32:33]
	s_and_saveexec_b64 s[10:11], s[8:9]
	s_cbranch_execz .LBB605_80
; %bb.74:
	v_mov_b32_e32 v20, s17
	v_addc_co_u32_e64 v21, s[6:7], v21, v20, s[6:7]
	v_add_co_u32_e64 v20, s[6:7], 8, v26
	v_mov_b32_e32 v22, s17
	v_addc_co_u32_e64 v21, s[6:7], 0, v21, s[6:7]
	v_addc_co_u32_e32 v23, vcc, v23, v22, vcc
	v_add_co_u32_e32 v22, vcc, 8, v24
	s_add_u32 s6, s26, -1
	v_addc_co_u32_e32 v23, vcc, 0, v23, vcc
	s_addc_u32 s7, s27, -1
	s_mov_b64 s[8:9], 0
	s_mov_b64 s[42:43], 0
                                        ; implicit-def: $sgpr40_sgpr41
	s_branch .LBB605_77
.LBB605_75:                             ;   in Loop: Header=BB605_77 Depth=1
	global_load_dwordx2 v[24:25], v[22:23], off
	global_load_dwordx2 v[26:27], v[20:21], off
	v_add_co_u32_e32 v20, vcc, 8, v20
	v_addc_co_u32_e32 v21, vcc, 0, v21, vcc
	v_add_co_u32_e32 v22, vcc, 8, v22
	v_addc_co_u32_e32 v23, vcc, 0, v23, vcc
	s_add_u32 s42, s42, 1
	s_addc_u32 s43, s43, 0
	s_andn2_b64 s[40:41], s[40:41], exec
	s_waitcnt vmcnt(0)
	v_cmp_ne_u64_e32 vcc, v[24:25], v[26:27]
	s_and_b64 s[44:45], vcc, exec
	s_or_b64 s[40:41], s[40:41], s[44:45]
.LBB605_76:                             ;   in Loop: Header=BB605_77 Depth=1
	s_and_b64 s[44:45], exec, s[40:41]
	s_or_b64 s[8:9], s[44:45], s[8:9]
	v_pk_mov_b32 v[24:25], s[42:43], s[42:43] op_sel:[0,1]
	s_andn2_b64 exec, exec, s[8:9]
	s_cbranch_execz .LBB605_79
.LBB605_77:                             ; =>This Inner Loop Header: Depth=1
	s_or_b64 s[40:41], s[40:41], exec
	s_cmp_eq_u64 s[6:7], s[42:43]
	s_cbranch_scc0 .LBB605_75
; %bb.78:                               ;   in Loop: Header=BB605_77 Depth=1
                                        ; implicit-def: $vgpr20_vgpr21
                                        ; implicit-def: $vgpr22_vgpr23
	s_mov_b64 s[42:43], s[26:27]
	s_branch .LBB605_76
.LBB605_79:
	s_or_b64 exec, exec, s[8:9]
	v_cmp_gt_i64_e32 vcc, s[26:27], v[24:25]
	s_orn2_b64 s[40:41], vcc, exec
.LBB605_80:
	s_or_b64 exec, exec, s[10:11]
.LBB605_81:
	s_and_b64 s[10:11], s[40:41], exec
.LBB605_82:
	s_or_b64 exec, exec, s[38:39]
	v_or_b32_e32 v20, 2, v1
	v_cmp_gt_u32_e32 vcc, s48, v20
	s_and_saveexec_b64 s[38:39], vcc
	s_cbranch_execz .LBB605_93
; %bb.83:
	s_and_b64 vcc, exec, s[4:5]
	s_mov_b64 s[40:41], 0
	s_cbranch_vccnz .LBB605_92
; %bb.84:
	s_waitcnt lgkmcnt(0)
	v_mul_lo_u32 v22, v17, s26
	v_mul_lo_u32 v23, v16, s27
	v_mad_u64_u32 v[20:21], s[6:7], v16, s26, 0
	v_add3_u32 v21, v21, v23, v22
	v_mul_lo_u32 v22, v11, s26
	v_mul_lo_u32 v23, v10, s27
	v_mad_u64_u32 v[26:27], s[6:7], v10, s26, 0
	v_add3_u32 v27, v27, v23, v22
	v_lshlrev_b64 v[22:23], 3, v[20:21]
	v_mov_b32_e32 v20, s17
	v_add_co_u32_e32 v24, vcc, s16, v22
	v_addc_co_u32_e64 v25, s[6:7], v20, v23, vcc
	v_lshlrev_b64 v[20:21], 3, v[26:27]
	v_mov_b32_e32 v22, s17
	v_add_co_u32_e64 v26, s[6:7], s16, v20
	v_addc_co_u32_e64 v27, s[8:9], v22, v21, s[6:7]
	global_load_dwordx2 v[30:31], v[24:25], off
	global_load_dwordx2 v[32:33], v[26:27], off
	s_mov_b64 s[40:41], -1
	s_waitcnt vmcnt(0)
	v_cmp_eq_u64_e64 s[8:9], v[30:31], v[32:33]
	s_and_saveexec_b64 s[14:15], s[8:9]
	s_cbranch_execz .LBB605_91
; %bb.85:
	v_mov_b32_e32 v20, s17
	v_addc_co_u32_e64 v21, s[6:7], v21, v20, s[6:7]
	v_add_co_u32_e64 v20, s[6:7], 8, v26
	v_mov_b32_e32 v22, s17
	v_addc_co_u32_e64 v21, s[6:7], 0, v21, s[6:7]
	v_addc_co_u32_e32 v23, vcc, v23, v22, vcc
	v_add_co_u32_e32 v22, vcc, 8, v24
	s_add_u32 s6, s26, -1
	v_addc_co_u32_e32 v23, vcc, 0, v23, vcc
	s_addc_u32 s7, s27, -1
	s_mov_b64 s[8:9], 0
	s_mov_b64 s[42:43], 0
                                        ; implicit-def: $sgpr40_sgpr41
	s_branch .LBB605_88
.LBB605_86:                             ;   in Loop: Header=BB605_88 Depth=1
	global_load_dwordx2 v[24:25], v[22:23], off
	global_load_dwordx2 v[26:27], v[20:21], off
	v_add_co_u32_e32 v20, vcc, 8, v20
	v_addc_co_u32_e32 v21, vcc, 0, v21, vcc
	v_add_co_u32_e32 v22, vcc, 8, v22
	v_addc_co_u32_e32 v23, vcc, 0, v23, vcc
	s_add_u32 s42, s42, 1
	s_addc_u32 s43, s43, 0
	s_andn2_b64 s[40:41], s[40:41], exec
	s_waitcnt vmcnt(0)
	v_cmp_ne_u64_e32 vcc, v[24:25], v[26:27]
	s_and_b64 s[44:45], vcc, exec
	s_or_b64 s[40:41], s[40:41], s[44:45]
.LBB605_87:                             ;   in Loop: Header=BB605_88 Depth=1
	s_and_b64 s[44:45], exec, s[40:41]
	s_or_b64 s[8:9], s[44:45], s[8:9]
	v_pk_mov_b32 v[24:25], s[42:43], s[42:43] op_sel:[0,1]
	s_andn2_b64 exec, exec, s[8:9]
	s_cbranch_execz .LBB605_90
.LBB605_88:                             ; =>This Inner Loop Header: Depth=1
	s_or_b64 s[40:41], s[40:41], exec
	s_cmp_eq_u64 s[6:7], s[42:43]
	s_cbranch_scc0 .LBB605_86
; %bb.89:                               ;   in Loop: Header=BB605_88 Depth=1
                                        ; implicit-def: $vgpr20_vgpr21
                                        ; implicit-def: $vgpr22_vgpr23
	s_mov_b64 s[42:43], s[26:27]
	s_branch .LBB605_87
.LBB605_90:
	s_or_b64 exec, exec, s[8:9]
	v_cmp_gt_i64_e32 vcc, s[26:27], v[24:25]
	s_orn2_b64 s[40:41], vcc, exec
.LBB605_91:
	s_or_b64 exec, exec, s[14:15]
.LBB605_92:
	s_and_b64 s[14:15], s[40:41], exec
.LBB605_93:
	s_or_b64 exec, exec, s[38:39]
	v_or_b32_e32 v20, 1, v1
	v_cmp_gt_u32_e32 vcc, s48, v20
	s_mov_b64 s[6:7], 0
	s_and_saveexec_b64 s[38:39], vcc
	s_cbranch_execz .LBB605_104
; %bb.94:
	s_and_b64 vcc, exec, s[4:5]
	s_mov_b64 s[42:43], 0
	s_cbranch_vccnz .LBB605_103
; %bb.95:
	s_waitcnt lgkmcnt(0)
	v_mul_lo_u32 v22, v15, s26
	v_mul_lo_u32 v23, v14, s27
	v_mad_u64_u32 v[20:21], s[6:7], v14, s26, 0
	v_add3_u32 v21, v21, v23, v22
	v_mul_lo_u32 v22, v17, s26
	v_mul_lo_u32 v23, v16, s27
	v_mad_u64_u32 v[26:27], s[6:7], v16, s26, 0
	v_add3_u32 v27, v27, v23, v22
	v_lshlrev_b64 v[22:23], 3, v[20:21]
	v_mov_b32_e32 v20, s17
	v_add_co_u32_e32 v24, vcc, s16, v22
	v_addc_co_u32_e64 v25, s[6:7], v20, v23, vcc
	v_lshlrev_b64 v[20:21], 3, v[26:27]
	v_mov_b32_e32 v22, s17
	v_add_co_u32_e64 v26, s[6:7], s16, v20
	v_addc_co_u32_e64 v27, s[8:9], v22, v21, s[6:7]
	global_load_dwordx2 v[30:31], v[24:25], off
	global_load_dwordx2 v[32:33], v[26:27], off
	s_mov_b64 s[42:43], -1
	s_waitcnt vmcnt(0)
	v_cmp_eq_u64_e64 s[8:9], v[30:31], v[32:33]
	s_and_saveexec_b64 s[40:41], s[8:9]
	s_cbranch_execz .LBB605_102
; %bb.96:
	v_mov_b32_e32 v20, s17
	v_addc_co_u32_e64 v21, s[6:7], v21, v20, s[6:7]
	v_add_co_u32_e64 v20, s[6:7], 8, v26
	v_mov_b32_e32 v22, s17
	v_addc_co_u32_e64 v21, s[6:7], 0, v21, s[6:7]
	v_addc_co_u32_e32 v23, vcc, v23, v22, vcc
	v_add_co_u32_e32 v22, vcc, 8, v24
	s_add_u32 s6, s26, -1
	v_addc_co_u32_e32 v23, vcc, 0, v23, vcc
	s_addc_u32 s7, s27, -1
	s_mov_b64 s[8:9], 0
	s_mov_b64 s[44:45], 0
                                        ; implicit-def: $sgpr42_sgpr43
	s_branch .LBB605_99
.LBB605_97:                             ;   in Loop: Header=BB605_99 Depth=1
	global_load_dwordx2 v[24:25], v[22:23], off
	global_load_dwordx2 v[26:27], v[20:21], off
	v_add_co_u32_e32 v20, vcc, 8, v20
	v_addc_co_u32_e32 v21, vcc, 0, v21, vcc
	v_add_co_u32_e32 v22, vcc, 8, v22
	v_addc_co_u32_e32 v23, vcc, 0, v23, vcc
	s_add_u32 s44, s44, 1
	s_addc_u32 s45, s45, 0
	s_andn2_b64 s[42:43], s[42:43], exec
	s_waitcnt vmcnt(0)
	v_cmp_ne_u64_e32 vcc, v[24:25], v[26:27]
	s_and_b64 s[46:47], vcc, exec
	s_or_b64 s[42:43], s[42:43], s[46:47]
.LBB605_98:                             ;   in Loop: Header=BB605_99 Depth=1
	s_and_b64 s[46:47], exec, s[42:43]
	s_or_b64 s[8:9], s[46:47], s[8:9]
	v_pk_mov_b32 v[24:25], s[44:45], s[44:45] op_sel:[0,1]
	s_andn2_b64 exec, exec, s[8:9]
	s_cbranch_execz .LBB605_101
.LBB605_99:                             ; =>This Inner Loop Header: Depth=1
	s_or_b64 s[42:43], s[42:43], exec
	s_cmp_eq_u64 s[6:7], s[44:45]
	s_cbranch_scc0 .LBB605_97
; %bb.100:                              ;   in Loop: Header=BB605_99 Depth=1
                                        ; implicit-def: $vgpr20_vgpr21
                                        ; implicit-def: $vgpr22_vgpr23
	s_mov_b64 s[44:45], s[26:27]
	s_branch .LBB605_98
.LBB605_101:
	s_or_b64 exec, exec, s[8:9]
	v_cmp_gt_i64_e32 vcc, s[26:27], v[24:25]
	s_orn2_b64 s[42:43], vcc, exec
.LBB605_102:
	s_or_b64 exec, exec, s[40:41]
.LBB605_103:
	s_and_b64 s[6:7], s[42:43], exec
.LBB605_104:
	s_or_b64 exec, exec, s[38:39]
	s_waitcnt lgkmcnt(0)
	s_barrier
	s_and_saveexec_b64 s[8:9], s[2:3]
	s_cbranch_execz .LBB605_106
; %bb.105:
	s_waitcnt vmcnt(0)
	v_add_u32_e32 v18, -8, v29
	ds_read_b64 v[18:19], v18
.LBB605_106:
	s_or_b64 exec, exec, s[8:9]
	v_cndmask_b32_e64 v21, 0, 1, s[10:11]
	v_cndmask_b32_e64 v20, 0, 1, s[14:15]
	;; [unrolled: 1-line block ×3, first 2 shown]
	v_lshlrev_b16_e32 v21, 8, v21
	v_lshlrev_b16_e32 v26, 8, v22
	v_or_b32_sdwa v27, v20, v21 dst_sel:WORD_1 dst_unused:UNUSED_PAD src0_sel:DWORD src1_sel:DWORD
	v_cmp_gt_u32_e32 vcc, s48, v1
	s_mov_b64 s[38:39], 0
	s_and_saveexec_b64 s[8:9], vcc
	s_cbranch_execz .LBB605_117
; %bb.107:
	s_and_b64 vcc, exec, s[4:5]
	s_mov_b64 s[14:15], 0
	s_cbranch_vccnz .LBB605_116
; %bb.108:
	s_waitcnt vmcnt(0) lgkmcnt(0)
	v_mul_lo_u32 v20, v19, s26
	v_mul_lo_u32 v21, v18, s27
	v_mad_u64_u32 v[18:19], s[4:5], v18, s26, 0
	v_add3_u32 v19, v19, v21, v20
	v_mul_lo_u32 v20, v15, s26
	v_mul_lo_u32 v21, v14, s27
	v_mad_u64_u32 v[24:25], s[4:5], v14, s26, 0
	v_add3_u32 v25, v25, v21, v20
	v_lshlrev_b64 v[20:21], 3, v[18:19]
	v_mov_b32_e32 v18, s17
	v_add_co_u32_e32 v22, vcc, s16, v20
	v_addc_co_u32_e64 v23, s[4:5], v18, v21, vcc
	v_lshlrev_b64 v[18:19], 3, v[24:25]
	v_mov_b32_e32 v20, s17
	v_add_co_u32_e64 v24, s[4:5], s16, v18
	v_addc_co_u32_e64 v25, s[6:7], v20, v19, s[4:5]
	global_load_dwordx2 v[28:29], v[22:23], off
	global_load_dwordx2 v[30:31], v[24:25], off
	s_mov_b64 s[14:15], -1
	s_waitcnt vmcnt(0)
	v_cmp_eq_u64_e64 s[6:7], v[28:29], v[30:31]
	s_and_saveexec_b64 s[10:11], s[6:7]
	s_cbranch_execz .LBB605_115
; %bb.109:
	v_mov_b32_e32 v18, s17
	v_addc_co_u32_e64 v19, s[4:5], v19, v18, s[4:5]
	v_add_co_u32_e64 v18, s[4:5], 8, v24
	v_mov_b32_e32 v20, s17
	v_addc_co_u32_e64 v19, s[4:5], 0, v19, s[4:5]
	v_addc_co_u32_e32 v21, vcc, v21, v20, vcc
	v_add_co_u32_e32 v20, vcc, 8, v22
	s_add_u32 s4, s26, -1
	v_addc_co_u32_e32 v21, vcc, 0, v21, vcc
	s_addc_u32 s5, s27, -1
	s_mov_b64 s[6:7], 0
                                        ; implicit-def: $sgpr14_sgpr15
	s_branch .LBB605_112
.LBB605_110:                            ;   in Loop: Header=BB605_112 Depth=1
	global_load_dwordx2 v[22:23], v[20:21], off
	global_load_dwordx2 v[24:25], v[18:19], off
	v_add_co_u32_e32 v18, vcc, 8, v18
	v_addc_co_u32_e32 v19, vcc, 0, v19, vcc
	v_add_co_u32_e32 v20, vcc, 8, v20
	v_addc_co_u32_e32 v21, vcc, 0, v21, vcc
	s_add_u32 s38, s38, 1
	s_addc_u32 s39, s39, 0
	s_andn2_b64 s[14:15], s[14:15], exec
	s_waitcnt vmcnt(0)
	v_cmp_ne_u64_e32 vcc, v[22:23], v[24:25]
	s_and_b64 s[40:41], vcc, exec
	s_or_b64 s[14:15], s[14:15], s[40:41]
.LBB605_111:                            ;   in Loop: Header=BB605_112 Depth=1
	s_and_b64 s[40:41], exec, s[14:15]
	s_or_b64 s[6:7], s[40:41], s[6:7]
	v_pk_mov_b32 v[22:23], s[38:39], s[38:39] op_sel:[0,1]
	s_andn2_b64 exec, exec, s[6:7]
	s_cbranch_execz .LBB605_114
.LBB605_112:                            ; =>This Inner Loop Header: Depth=1
	s_or_b64 s[14:15], s[14:15], exec
	s_cmp_eq_u64 s[4:5], s[38:39]
	s_cbranch_scc0 .LBB605_110
; %bb.113:                              ;   in Loop: Header=BB605_112 Depth=1
                                        ; implicit-def: $vgpr18_vgpr19
                                        ; implicit-def: $vgpr20_vgpr21
	s_mov_b64 s[38:39], s[26:27]
	s_branch .LBB605_111
.LBB605_114:
	s_or_b64 exec, exec, s[6:7]
	v_cmp_gt_i64_e32 vcc, s[26:27], v[22:23]
	s_orn2_b64 s[14:15], vcc, exec
.LBB605_115:
	s_or_b64 exec, exec, s[10:11]
.LBB605_116:
	s_and_b64 s[38:39], s[14:15], exec
.LBB605_117:
	s_or_b64 exec, exec, s[8:9]
	v_or_b32_e32 v28, v26, v27
.LBB605_118:
	s_mov_b64 s[14:15], -1
	s_cbranch_execnz .LBB605_207
.LBB605_119:
	v_lshlrev_b32_e32 v29, 3, v0
	s_mov_b64 s[38:39], 0
	v_cmp_gt_i64_e64 s[10:11], s[26:27], 0
	s_and_b64 vcc, exec, s[34:35]
	ds_write_b64 v29, v[12:13]
	s_cbranch_vccz .LBB605_127
; %bb.120:
	v_mul_lo_u32 v20, v11, s26
	v_mul_lo_u32 v21, v10, s27
	s_waitcnt vmcnt(0) lgkmcnt(1)
	v_mad_u64_u32 v[18:19], s[4:5], v10, s26, 0
	v_add3_u32 v19, v19, v21, v20
	v_cndmask_b32_e64 v20, 0, 1, s[10:11]
	v_cmp_ne_u32_e64 s[4:5], 1, v20
	s_andn2_b64 vcc, exec, s[10:11]
	v_lshlrev_b64 v[18:19], 3, v[18:19]
	s_cbranch_vccnz .LBB605_130
; %bb.121:
	v_mul_lo_u32 v22, v13, s26
	v_mul_lo_u32 v23, v12, s27
	v_mad_u64_u32 v[20:21], s[6:7], v12, s26, 0
	v_add3_u32 v21, v21, v23, v22
	v_mov_b32_e32 v23, s17
	v_add_co_u32_e32 v22, vcc, s16, v18
	v_addc_co_u32_e64 v23, s[6:7], v23, v19, vcc
	v_lshlrev_b64 v[20:21], 3, v[20:21]
	v_mov_b32_e32 v25, s17
	v_add_co_u32_e64 v24, s[6:7], s16, v20
	v_addc_co_u32_e64 v25, s[8:9], v25, v21, s[6:7]
	global_load_dwordx2 v[26:27], v[22:23], off
	global_load_dwordx2 v[30:31], v[24:25], off
	s_mov_b64 s[38:39], -1
	s_waitcnt vmcnt(0)
	v_cmp_eq_u64_e64 s[8:9], v[26:27], v[30:31]
	s_and_saveexec_b64 s[40:41], s[8:9]
	s_cbranch_execz .LBB605_129
; %bb.122:
	v_mov_b32_e32 v20, s17
	v_addc_co_u32_e64 v21, s[6:7], v21, v20, s[6:7]
	v_add_co_u32_e64 v20, s[6:7], 8, v24
	v_mov_b32_e32 v23, s17
	v_addc_co_u32_e64 v21, s[6:7], 0, v21, s[6:7]
	v_addc_co_u32_e32 v23, vcc, v19, v23, vcc
	v_add_co_u32_e32 v22, vcc, 8, v22
	s_add_u32 s6, s26, -1
	v_addc_co_u32_e32 v23, vcc, 0, v23, vcc
	s_addc_u32 s7, s27, -1
	s_mov_b64 s[8:9], 0
	s_mov_b64 s[42:43], 0
                                        ; implicit-def: $sgpr38_sgpr39
	s_branch .LBB605_125
.LBB605_123:                            ;   in Loop: Header=BB605_125 Depth=1
	global_load_dwordx2 v[24:25], v[22:23], off
	global_load_dwordx2 v[26:27], v[20:21], off
	v_add_co_u32_e32 v20, vcc, 8, v20
	v_addc_co_u32_e32 v21, vcc, 0, v21, vcc
	v_add_co_u32_e32 v22, vcc, 8, v22
	v_addc_co_u32_e32 v23, vcc, 0, v23, vcc
	s_add_u32 s42, s42, 1
	s_addc_u32 s43, s43, 0
	s_andn2_b64 s[38:39], s[38:39], exec
	s_waitcnt vmcnt(0)
	v_cmp_ne_u64_e32 vcc, v[24:25], v[26:27]
	s_and_b64 s[44:45], vcc, exec
	s_or_b64 s[38:39], s[38:39], s[44:45]
.LBB605_124:                            ;   in Loop: Header=BB605_125 Depth=1
	s_and_b64 s[44:45], exec, s[38:39]
	s_or_b64 s[8:9], s[44:45], s[8:9]
	v_pk_mov_b32 v[24:25], s[42:43], s[42:43] op_sel:[0,1]
	s_andn2_b64 exec, exec, s[8:9]
	s_cbranch_execz .LBB605_128
.LBB605_125:                            ; =>This Inner Loop Header: Depth=1
	s_or_b64 s[38:39], s[38:39], exec
	s_cmp_eq_u64 s[6:7], s[42:43]
	s_cbranch_scc0 .LBB605_123
; %bb.126:                              ;   in Loop: Header=BB605_125 Depth=1
                                        ; implicit-def: $vgpr20_vgpr21
                                        ; implicit-def: $vgpr22_vgpr23
	s_mov_b64 s[42:43], s[26:27]
	s_branch .LBB605_124
.LBB605_127:
                                        ; implicit-def: $sgpr38_sgpr39
                                        ; implicit-def: $vgpr28
	s_cbranch_execnz .LBB605_160
	s_branch .LBB605_207
.LBB605_128:
	s_or_b64 exec, exec, s[8:9]
	v_cmp_gt_i64_e32 vcc, s[26:27], v[24:25]
	s_orn2_b64 s[38:39], vcc, exec
.LBB605_129:
	s_or_b64 exec, exec, s[40:41]
.LBB605_130:
	v_mul_lo_u32 v22, v17, s26
	v_mul_lo_u32 v23, v16, s27
	v_mad_u64_u32 v[20:21], s[6:7], v16, s26, 0
	v_add3_u32 v21, v21, v23, v22
	s_mov_b64 s[40:41], 0
	s_and_b64 vcc, exec, s[4:5]
	v_lshlrev_b64 v[20:21], 3, v[20:21]
	s_mov_b64 s[42:43], 0
	s_cbranch_vccnz .LBB605_139
; %bb.131:
	v_mov_b32_e32 v23, s17
	v_add_co_u32_e32 v22, vcc, s16, v20
	v_addc_co_u32_e64 v23, s[6:7], v23, v21, vcc
	v_mov_b32_e32 v25, s17
	v_add_co_u32_e64 v24, s[6:7], s16, v18
	v_addc_co_u32_e64 v25, s[8:9], v25, v19, s[6:7]
	global_load_dwordx2 v[26:27], v[22:23], off
	global_load_dwordx2 v[30:31], v[24:25], off
	s_mov_b64 s[42:43], -1
	s_waitcnt vmcnt(0)
	v_cmp_eq_u64_e64 s[8:9], v[26:27], v[30:31]
	s_and_saveexec_b64 s[44:45], s[8:9]
	s_cbranch_execz .LBB605_138
; %bb.132:
	v_mov_b32_e32 v18, s17
	v_addc_co_u32_e64 v19, s[6:7], v19, v18, s[6:7]
	v_add_co_u32_e64 v18, s[6:7], 8, v24
	v_mov_b32_e32 v23, s17
	v_addc_co_u32_e64 v19, s[6:7], 0, v19, s[6:7]
	v_addc_co_u32_e32 v23, vcc, v21, v23, vcc
	v_add_co_u32_e32 v22, vcc, 8, v22
	s_add_u32 s6, s26, -1
	v_addc_co_u32_e32 v23, vcc, 0, v23, vcc
	s_addc_u32 s7, s27, -1
	s_mov_b64 s[8:9], 0
	s_mov_b64 s[46:47], 0
                                        ; implicit-def: $sgpr42_sgpr43
	s_branch .LBB605_135
.LBB605_133:                            ;   in Loop: Header=BB605_135 Depth=1
	global_load_dwordx2 v[24:25], v[22:23], off
	global_load_dwordx2 v[26:27], v[18:19], off
	v_add_co_u32_e32 v18, vcc, 8, v18
	v_addc_co_u32_e32 v19, vcc, 0, v19, vcc
	v_add_co_u32_e32 v22, vcc, 8, v22
	v_addc_co_u32_e32 v23, vcc, 0, v23, vcc
	s_add_u32 s46, s46, 1
	s_addc_u32 s47, s47, 0
	s_andn2_b64 s[42:43], s[42:43], exec
	s_waitcnt vmcnt(0)
	v_cmp_ne_u64_e32 vcc, v[24:25], v[26:27]
	s_and_b64 s[50:51], vcc, exec
	s_or_b64 s[42:43], s[42:43], s[50:51]
.LBB605_134:                            ;   in Loop: Header=BB605_135 Depth=1
	s_and_b64 s[50:51], exec, s[42:43]
	s_or_b64 s[8:9], s[50:51], s[8:9]
	v_pk_mov_b32 v[24:25], s[46:47], s[46:47] op_sel:[0,1]
	s_andn2_b64 exec, exec, s[8:9]
	s_cbranch_execz .LBB605_137
.LBB605_135:                            ; =>This Inner Loop Header: Depth=1
	s_or_b64 s[42:43], s[42:43], exec
	s_cmp_eq_u64 s[6:7], s[46:47]
	s_cbranch_scc0 .LBB605_133
; %bb.136:                              ;   in Loop: Header=BB605_135 Depth=1
                                        ; implicit-def: $vgpr18_vgpr19
                                        ; implicit-def: $vgpr22_vgpr23
	s_mov_b64 s[46:47], s[26:27]
	s_branch .LBB605_134
.LBB605_137:
	s_or_b64 exec, exec, s[8:9]
	v_cmp_gt_i64_e32 vcc, s[26:27], v[24:25]
	s_orn2_b64 s[42:43], vcc, exec
.LBB605_138:
	s_or_b64 exec, exec, s[44:45]
.LBB605_139:
	v_mul_lo_u32 v22, v15, s26
	v_mul_lo_u32 v23, v14, s27
	v_mad_u64_u32 v[18:19], s[6:7], v14, s26, 0
	s_and_b64 vcc, exec, s[4:5]
	v_add3_u32 v19, v19, v23, v22
	s_cbranch_vccnz .LBB605_148
; %bb.140:
	v_lshlrev_b64 v[22:23], 3, v[18:19]
	v_mov_b32_e32 v25, s17
	v_add_co_u32_e32 v24, vcc, s16, v22
	v_addc_co_u32_e64 v25, s[6:7], v25, v23, vcc
	v_mov_b32_e32 v22, s17
	v_add_co_u32_e64 v26, s[6:7], s16, v20
	v_addc_co_u32_e64 v27, s[8:9], v22, v21, s[6:7]
	global_load_dwordx2 v[30:31], v[24:25], off
	global_load_dwordx2 v[32:33], v[26:27], off
	s_mov_b64 s[40:41], -1
	s_waitcnt vmcnt(0)
	v_cmp_eq_u64_e64 s[8:9], v[30:31], v[32:33]
	s_and_saveexec_b64 s[44:45], s[8:9]
	s_cbranch_execz .LBB605_147
; %bb.141:
	v_mov_b32_e32 v20, s17
	v_addc_co_u32_e64 v21, s[6:7], v21, v20, s[6:7]
	v_add_co_u32_e64 v20, s[6:7], 8, v26
	v_mov_b32_e32 v22, s17
	v_addc_co_u32_e64 v21, s[6:7], 0, v21, s[6:7]
	v_addc_co_u32_e32 v23, vcc, v23, v22, vcc
	v_add_co_u32_e32 v22, vcc, 8, v24
	s_add_u32 s6, s26, -1
	v_addc_co_u32_e32 v23, vcc, 0, v23, vcc
	s_addc_u32 s7, s27, -1
	s_mov_b64 s[8:9], 0
	s_mov_b64 s[46:47], 0
                                        ; implicit-def: $sgpr40_sgpr41
	s_branch .LBB605_144
.LBB605_142:                            ;   in Loop: Header=BB605_144 Depth=1
	global_load_dwordx2 v[24:25], v[22:23], off
	global_load_dwordx2 v[26:27], v[20:21], off
	v_add_co_u32_e32 v20, vcc, 8, v20
	v_addc_co_u32_e32 v21, vcc, 0, v21, vcc
	v_add_co_u32_e32 v22, vcc, 8, v22
	v_addc_co_u32_e32 v23, vcc, 0, v23, vcc
	s_add_u32 s46, s46, 1
	s_addc_u32 s47, s47, 0
	s_andn2_b64 s[40:41], s[40:41], exec
	s_waitcnt vmcnt(0)
	v_cmp_ne_u64_e32 vcc, v[24:25], v[26:27]
	s_and_b64 s[50:51], vcc, exec
	s_or_b64 s[40:41], s[40:41], s[50:51]
.LBB605_143:                            ;   in Loop: Header=BB605_144 Depth=1
	s_and_b64 s[50:51], exec, s[40:41]
	s_or_b64 s[8:9], s[50:51], s[8:9]
	v_pk_mov_b32 v[24:25], s[46:47], s[46:47] op_sel:[0,1]
	s_andn2_b64 exec, exec, s[8:9]
	s_cbranch_execz .LBB605_146
.LBB605_144:                            ; =>This Inner Loop Header: Depth=1
	s_or_b64 s[40:41], s[40:41], exec
	s_cmp_eq_u64 s[6:7], s[46:47]
	s_cbranch_scc0 .LBB605_142
; %bb.145:                              ;   in Loop: Header=BB605_144 Depth=1
                                        ; implicit-def: $vgpr20_vgpr21
                                        ; implicit-def: $vgpr22_vgpr23
	s_mov_b64 s[46:47], s[26:27]
	s_branch .LBB605_143
.LBB605_146:
	s_or_b64 exec, exec, s[8:9]
	v_cmp_gt_i64_e32 vcc, s[26:27], v[24:25]
	s_orn2_b64 s[40:41], vcc, exec
.LBB605_147:
	s_or_b64 exec, exec, s[44:45]
.LBB605_148:
	v_cndmask_b32_e64 v21, 0, 1, s[38:39]
	v_cndmask_b32_e64 v22, 0, 1, s[40:41]
	;; [unrolled: 1-line block ×3, first 2 shown]
	v_lshlrev_b16_e32 v22, 8, v22
	v_lshlrev_b16_e32 v21, 8, v21
	v_or_b32_e32 v22, 1, v22
	v_or_b32_sdwa v20, v20, v21 dst_sel:WORD_1 dst_unused:UNUSED_PAD src0_sel:DWORD src1_sel:DWORD
	v_or_b32_sdwa v28, v22, v20 dst_sel:DWORD dst_unused:UNUSED_PAD src0_sel:WORD_0 src1_sel:DWORD
	s_waitcnt lgkmcnt(0)
	s_barrier
	s_waitcnt lgkmcnt(0)
                                        ; implicit-def: $sgpr38_sgpr39
	s_and_saveexec_b64 s[6:7], s[2:3]
	s_xor_b64 s[8:9], exec, s[6:7]
	s_cbranch_execz .LBB605_159
; %bb.149:
	s_and_b64 vcc, exec, s[4:5]
	s_mov_b64 s[40:41], 0
	s_cbranch_vccnz .LBB605_158
; %bb.150:
	v_add_u32_e32 v20, -8, v29
	ds_read_b64 v[20:21], v20
	v_mov_b32_e32 v23, s17
	v_lshlrev_b64 v[18:19], 3, v[18:19]
	s_mov_b64 s[40:41], -1
	s_waitcnt lgkmcnt(0)
	v_mul_lo_u32 v22, v21, s26
	v_mul_lo_u32 v24, v20, s27
	v_mad_u64_u32 v[20:21], s[4:5], v20, s26, 0
	v_add3_u32 v21, v21, v24, v22
	v_lshlrev_b64 v[20:21], 3, v[20:21]
	v_add_co_u32_e32 v22, vcc, s16, v20
	v_addc_co_u32_e64 v23, s[4:5], v23, v21, vcc
	v_mov_b32_e32 v20, s17
	v_add_co_u32_e64 v24, s[4:5], s16, v18
	v_addc_co_u32_e64 v25, s[6:7], v20, v19, s[4:5]
	global_load_dwordx2 v[26:27], v[22:23], off
	global_load_dwordx2 v[30:31], v[24:25], off
	s_waitcnt vmcnt(0)
	v_cmp_eq_u64_e64 s[6:7], v[26:27], v[30:31]
	s_and_saveexec_b64 s[38:39], s[6:7]
	s_cbranch_execz .LBB605_157
; %bb.151:
	v_mov_b32_e32 v18, s17
	v_addc_co_u32_e64 v19, s[4:5], v19, v18, s[4:5]
	v_add_co_u32_e64 v18, s[4:5], 8, v24
	v_mov_b32_e32 v20, s17
	v_addc_co_u32_e64 v19, s[4:5], 0, v19, s[4:5]
	v_addc_co_u32_e32 v21, vcc, v21, v20, vcc
	v_add_co_u32_e32 v20, vcc, 8, v22
	s_add_u32 s4, s26, -1
	v_addc_co_u32_e32 v21, vcc, 0, v21, vcc
	s_addc_u32 s5, s27, -1
	s_mov_b64 s[6:7], 0
	s_mov_b64 s[42:43], 0
                                        ; implicit-def: $sgpr40_sgpr41
	s_branch .LBB605_154
.LBB605_152:                            ;   in Loop: Header=BB605_154 Depth=1
	global_load_dwordx2 v[22:23], v[20:21], off
	global_load_dwordx2 v[24:25], v[18:19], off
	v_add_co_u32_e32 v18, vcc, 8, v18
	v_addc_co_u32_e32 v19, vcc, 0, v19, vcc
	v_add_co_u32_e32 v20, vcc, 8, v20
	v_addc_co_u32_e32 v21, vcc, 0, v21, vcc
	s_add_u32 s42, s42, 1
	s_addc_u32 s43, s43, 0
	s_andn2_b64 s[40:41], s[40:41], exec
	s_waitcnt vmcnt(0)
	v_cmp_ne_u64_e32 vcc, v[22:23], v[24:25]
	s_and_b64 s[44:45], vcc, exec
	s_or_b64 s[40:41], s[40:41], s[44:45]
.LBB605_153:                            ;   in Loop: Header=BB605_154 Depth=1
	s_and_b64 s[44:45], exec, s[40:41]
	s_or_b64 s[6:7], s[44:45], s[6:7]
	v_pk_mov_b32 v[22:23], s[42:43], s[42:43] op_sel:[0,1]
	s_andn2_b64 exec, exec, s[6:7]
	s_cbranch_execz .LBB605_156
.LBB605_154:                            ; =>This Inner Loop Header: Depth=1
	s_or_b64 s[40:41], s[40:41], exec
	s_cmp_eq_u64 s[4:5], s[42:43]
	s_cbranch_scc0 .LBB605_152
; %bb.155:                              ;   in Loop: Header=BB605_154 Depth=1
                                        ; implicit-def: $vgpr18_vgpr19
                                        ; implicit-def: $vgpr20_vgpr21
	s_mov_b64 s[42:43], s[26:27]
	s_branch .LBB605_153
.LBB605_156:
	s_or_b64 exec, exec, s[6:7]
	v_cmp_gt_i64_e32 vcc, s[26:27], v[22:23]
	s_orn2_b64 s[40:41], vcc, exec
.LBB605_157:
	s_or_b64 exec, exec, s[38:39]
.LBB605_158:
	s_and_b64 s[38:39], s[40:41], exec
	s_or_b64 s[14:15], s[14:15], exec
.LBB605_159:
	s_or_b64 exec, exec, s[8:9]
	s_branch .LBB605_207
.LBB605_160:
	s_waitcnt vmcnt(0) lgkmcnt(1)
	v_or_b32_e32 v18, 3, v1
	v_cmp_gt_u32_e32 vcc, s48, v18
	s_mov_b64 s[38:39], 0
	s_mov_b64 s[8:9], 0
	s_and_saveexec_b64 s[40:41], vcc
	s_cbranch_execz .LBB605_171
; %bb.161:
	s_andn2_b64 vcc, exec, s[10:11]
	s_mov_b64 s[42:43], 0
	s_cbranch_vccnz .LBB605_170
; %bb.162:
	v_mul_lo_u32 v20, v11, s26
	v_mul_lo_u32 v21, v10, s27
	v_mad_u64_u32 v[18:19], s[4:5], v10, s26, 0
	v_add3_u32 v19, v19, v21, v20
	v_mul_lo_u32 v20, v13, s26
	v_mul_lo_u32 v21, v12, s27
	v_mad_u64_u32 v[24:25], s[4:5], v12, s26, 0
	v_add3_u32 v25, v25, v21, v20
	v_lshlrev_b64 v[20:21], 3, v[18:19]
	v_mov_b32_e32 v18, s17
	v_add_co_u32_e32 v22, vcc, s16, v20
	v_addc_co_u32_e64 v23, s[4:5], v18, v21, vcc
	v_lshlrev_b64 v[18:19], 3, v[24:25]
	v_mov_b32_e32 v20, s17
	v_add_co_u32_e64 v24, s[4:5], s16, v18
	v_addc_co_u32_e64 v25, s[6:7], v20, v19, s[4:5]
	global_load_dwordx2 v[26:27], v[22:23], off
	global_load_dwordx2 v[30:31], v[24:25], off
	s_mov_b64 s[42:43], -1
	s_waitcnt vmcnt(0)
	v_cmp_eq_u64_e64 s[6:7], v[26:27], v[30:31]
	s_and_saveexec_b64 s[8:9], s[6:7]
	s_cbranch_execz .LBB605_169
; %bb.163:
	v_mov_b32_e32 v18, s17
	v_addc_co_u32_e64 v19, s[4:5], v19, v18, s[4:5]
	v_add_co_u32_e64 v18, s[4:5], 8, v24
	v_mov_b32_e32 v20, s17
	v_addc_co_u32_e64 v19, s[4:5], 0, v19, s[4:5]
	v_addc_co_u32_e32 v21, vcc, v21, v20, vcc
	v_add_co_u32_e32 v20, vcc, 8, v22
	s_add_u32 s4, s26, -1
	v_addc_co_u32_e32 v21, vcc, 0, v21, vcc
	s_addc_u32 s5, s27, -1
	s_mov_b64 s[6:7], 0
	s_mov_b64 s[44:45], 0
                                        ; implicit-def: $sgpr42_sgpr43
	s_branch .LBB605_166
.LBB605_164:                            ;   in Loop: Header=BB605_166 Depth=1
	global_load_dwordx2 v[22:23], v[20:21], off
	global_load_dwordx2 v[24:25], v[18:19], off
	v_add_co_u32_e32 v18, vcc, 8, v18
	v_addc_co_u32_e32 v19, vcc, 0, v19, vcc
	v_add_co_u32_e32 v20, vcc, 8, v20
	v_addc_co_u32_e32 v21, vcc, 0, v21, vcc
	s_add_u32 s44, s44, 1
	s_addc_u32 s45, s45, 0
	s_andn2_b64 s[42:43], s[42:43], exec
	s_waitcnt vmcnt(0)
	v_cmp_ne_u64_e32 vcc, v[22:23], v[24:25]
	s_and_b64 s[46:47], vcc, exec
	s_or_b64 s[42:43], s[42:43], s[46:47]
.LBB605_165:                            ;   in Loop: Header=BB605_166 Depth=1
	s_and_b64 s[46:47], exec, s[42:43]
	s_or_b64 s[6:7], s[46:47], s[6:7]
	v_pk_mov_b32 v[22:23], s[44:45], s[44:45] op_sel:[0,1]
	s_andn2_b64 exec, exec, s[6:7]
	s_cbranch_execz .LBB605_168
.LBB605_166:                            ; =>This Inner Loop Header: Depth=1
	s_or_b64 s[42:43], s[42:43], exec
	s_cmp_eq_u64 s[4:5], s[44:45]
	s_cbranch_scc0 .LBB605_164
; %bb.167:                              ;   in Loop: Header=BB605_166 Depth=1
                                        ; implicit-def: $vgpr18_vgpr19
                                        ; implicit-def: $vgpr20_vgpr21
	s_mov_b64 s[44:45], s[26:27]
	s_branch .LBB605_165
.LBB605_168:
	s_or_b64 exec, exec, s[6:7]
	v_cmp_gt_i64_e32 vcc, s[26:27], v[22:23]
	s_orn2_b64 s[42:43], vcc, exec
.LBB605_169:
	s_or_b64 exec, exec, s[8:9]
.LBB605_170:
	s_and_b64 s[8:9], s[42:43], exec
.LBB605_171:
	s_or_b64 exec, exec, s[40:41]
	v_or_b32_e32 v18, 2, v1
	v_cmp_gt_u32_e32 vcc, s48, v18
	s_and_saveexec_b64 s[40:41], vcc
	s_cbranch_execz .LBB605_182
; %bb.172:
	s_andn2_b64 vcc, exec, s[10:11]
	s_mov_b64 s[42:43], 0
	s_cbranch_vccnz .LBB605_181
; %bb.173:
	v_mul_lo_u32 v20, v17, s26
	v_mul_lo_u32 v21, v16, s27
	v_mad_u64_u32 v[18:19], s[4:5], v16, s26, 0
	v_add3_u32 v19, v19, v21, v20
	v_mul_lo_u32 v20, v11, s26
	v_mul_lo_u32 v21, v10, s27
	v_mad_u64_u32 v[24:25], s[4:5], v10, s26, 0
	v_add3_u32 v25, v25, v21, v20
	v_lshlrev_b64 v[20:21], 3, v[18:19]
	v_mov_b32_e32 v18, s17
	v_add_co_u32_e32 v22, vcc, s16, v20
	v_addc_co_u32_e64 v23, s[4:5], v18, v21, vcc
	v_lshlrev_b64 v[18:19], 3, v[24:25]
	v_mov_b32_e32 v20, s17
	v_add_co_u32_e64 v24, s[4:5], s16, v18
	v_addc_co_u32_e64 v25, s[6:7], v20, v19, s[4:5]
	global_load_dwordx2 v[26:27], v[22:23], off
	global_load_dwordx2 v[30:31], v[24:25], off
	s_mov_b64 s[42:43], -1
	s_waitcnt vmcnt(0)
	v_cmp_eq_u64_e64 s[6:7], v[26:27], v[30:31]
	s_and_saveexec_b64 s[38:39], s[6:7]
	s_cbranch_execz .LBB605_180
; %bb.174:
	v_mov_b32_e32 v18, s17
	v_addc_co_u32_e64 v19, s[4:5], v19, v18, s[4:5]
	v_add_co_u32_e64 v18, s[4:5], 8, v24
	v_mov_b32_e32 v20, s17
	v_addc_co_u32_e64 v19, s[4:5], 0, v19, s[4:5]
	v_addc_co_u32_e32 v21, vcc, v21, v20, vcc
	v_add_co_u32_e32 v20, vcc, 8, v22
	s_add_u32 s4, s26, -1
	v_addc_co_u32_e32 v21, vcc, 0, v21, vcc
	s_addc_u32 s5, s27, -1
	s_mov_b64 s[6:7], 0
	s_mov_b64 s[44:45], 0
                                        ; implicit-def: $sgpr42_sgpr43
	s_branch .LBB605_177
.LBB605_175:                            ;   in Loop: Header=BB605_177 Depth=1
	global_load_dwordx2 v[22:23], v[20:21], off
	global_load_dwordx2 v[24:25], v[18:19], off
	v_add_co_u32_e32 v18, vcc, 8, v18
	v_addc_co_u32_e32 v19, vcc, 0, v19, vcc
	v_add_co_u32_e32 v20, vcc, 8, v20
	v_addc_co_u32_e32 v21, vcc, 0, v21, vcc
	s_add_u32 s44, s44, 1
	s_addc_u32 s45, s45, 0
	s_andn2_b64 s[42:43], s[42:43], exec
	s_waitcnt vmcnt(0)
	v_cmp_ne_u64_e32 vcc, v[22:23], v[24:25]
	s_and_b64 s[46:47], vcc, exec
	s_or_b64 s[42:43], s[42:43], s[46:47]
.LBB605_176:                            ;   in Loop: Header=BB605_177 Depth=1
	s_and_b64 s[46:47], exec, s[42:43]
	s_or_b64 s[6:7], s[46:47], s[6:7]
	v_pk_mov_b32 v[22:23], s[44:45], s[44:45] op_sel:[0,1]
	s_andn2_b64 exec, exec, s[6:7]
	s_cbranch_execz .LBB605_179
.LBB605_177:                            ; =>This Inner Loop Header: Depth=1
	s_or_b64 s[42:43], s[42:43], exec
	s_cmp_eq_u64 s[4:5], s[44:45]
	s_cbranch_scc0 .LBB605_175
; %bb.178:                              ;   in Loop: Header=BB605_177 Depth=1
                                        ; implicit-def: $vgpr18_vgpr19
                                        ; implicit-def: $vgpr20_vgpr21
	s_mov_b64 s[44:45], s[26:27]
	s_branch .LBB605_176
.LBB605_179:
	s_or_b64 exec, exec, s[6:7]
	v_cmp_gt_i64_e32 vcc, s[26:27], v[22:23]
	s_orn2_b64 s[42:43], vcc, exec
.LBB605_180:
	s_or_b64 exec, exec, s[38:39]
.LBB605_181:
	s_and_b64 s[38:39], s[42:43], exec
.LBB605_182:
	s_or_b64 exec, exec, s[40:41]
	v_or_b32_e32 v18, 1, v1
	v_cmp_gt_u32_e32 vcc, s48, v18
	s_mov_b64 s[4:5], 0
	s_and_saveexec_b64 s[40:41], vcc
	s_cbranch_execz .LBB605_193
; %bb.183:
	s_andn2_b64 vcc, exec, s[10:11]
	s_mov_b64 s[44:45], 0
	s_cbranch_vccnz .LBB605_192
; %bb.184:
	v_mul_lo_u32 v20, v15, s26
	v_mul_lo_u32 v21, v14, s27
	v_mad_u64_u32 v[18:19], s[4:5], v14, s26, 0
	v_add3_u32 v19, v19, v21, v20
	v_mul_lo_u32 v20, v17, s26
	v_mul_lo_u32 v21, v16, s27
	v_mad_u64_u32 v[24:25], s[4:5], v16, s26, 0
	v_add3_u32 v25, v25, v21, v20
	v_lshlrev_b64 v[20:21], 3, v[18:19]
	v_mov_b32_e32 v18, s17
	v_add_co_u32_e32 v22, vcc, s16, v20
	v_addc_co_u32_e64 v23, s[4:5], v18, v21, vcc
	v_lshlrev_b64 v[18:19], 3, v[24:25]
	v_mov_b32_e32 v20, s17
	v_add_co_u32_e64 v24, s[4:5], s16, v18
	v_addc_co_u32_e64 v25, s[6:7], v20, v19, s[4:5]
	global_load_dwordx2 v[26:27], v[22:23], off
	global_load_dwordx2 v[30:31], v[24:25], off
	s_mov_b64 s[44:45], -1
	s_waitcnt vmcnt(0)
	v_cmp_eq_u64_e64 s[6:7], v[26:27], v[30:31]
	s_and_saveexec_b64 s[42:43], s[6:7]
	s_cbranch_execz .LBB605_191
; %bb.185:
	v_mov_b32_e32 v18, s17
	v_addc_co_u32_e64 v19, s[4:5], v19, v18, s[4:5]
	v_add_co_u32_e64 v18, s[4:5], 8, v24
	v_mov_b32_e32 v20, s17
	v_addc_co_u32_e64 v19, s[4:5], 0, v19, s[4:5]
	v_addc_co_u32_e32 v21, vcc, v21, v20, vcc
	v_add_co_u32_e32 v20, vcc, 8, v22
	s_add_u32 s4, s26, -1
	v_addc_co_u32_e32 v21, vcc, 0, v21, vcc
	s_addc_u32 s5, s27, -1
	s_mov_b64 s[6:7], 0
	s_mov_b64 s[46:47], 0
                                        ; implicit-def: $sgpr44_sgpr45
	s_branch .LBB605_188
.LBB605_186:                            ;   in Loop: Header=BB605_188 Depth=1
	global_load_dwordx2 v[22:23], v[20:21], off
	global_load_dwordx2 v[24:25], v[18:19], off
	v_add_co_u32_e32 v18, vcc, 8, v18
	v_addc_co_u32_e32 v19, vcc, 0, v19, vcc
	v_add_co_u32_e32 v20, vcc, 8, v20
	v_addc_co_u32_e32 v21, vcc, 0, v21, vcc
	s_add_u32 s46, s46, 1
	s_addc_u32 s47, s47, 0
	s_andn2_b64 s[44:45], s[44:45], exec
	s_waitcnt vmcnt(0)
	v_cmp_ne_u64_e32 vcc, v[22:23], v[24:25]
	s_and_b64 s[50:51], vcc, exec
	s_or_b64 s[44:45], s[44:45], s[50:51]
.LBB605_187:                            ;   in Loop: Header=BB605_188 Depth=1
	s_and_b64 s[50:51], exec, s[44:45]
	s_or_b64 s[6:7], s[50:51], s[6:7]
	v_pk_mov_b32 v[22:23], s[46:47], s[46:47] op_sel:[0,1]
	s_andn2_b64 exec, exec, s[6:7]
	s_cbranch_execz .LBB605_190
.LBB605_188:                            ; =>This Inner Loop Header: Depth=1
	s_or_b64 s[44:45], s[44:45], exec
	s_cmp_eq_u64 s[4:5], s[46:47]
	s_cbranch_scc0 .LBB605_186
; %bb.189:                              ;   in Loop: Header=BB605_188 Depth=1
                                        ; implicit-def: $vgpr18_vgpr19
                                        ; implicit-def: $vgpr20_vgpr21
	s_mov_b64 s[46:47], s[26:27]
	s_branch .LBB605_187
.LBB605_190:
	s_or_b64 exec, exec, s[6:7]
	v_cmp_gt_i64_e32 vcc, s[26:27], v[22:23]
	s_orn2_b64 s[44:45], vcc, exec
.LBB605_191:
	s_or_b64 exec, exec, s[42:43]
.LBB605_192:
	s_and_b64 s[4:5], s[44:45], exec
.LBB605_193:
	s_or_b64 exec, exec, s[40:41]
	v_cndmask_b32_e64 v19, 0, 1, s[8:9]
	v_cndmask_b32_e64 v20, 0, 1, s[4:5]
	;; [unrolled: 1-line block ×3, first 2 shown]
	v_lshlrev_b16_e32 v20, 8, v20
	v_lshlrev_b16_e32 v19, 8, v19
	v_or_b32_e32 v20, 1, v20
	v_or_b32_sdwa v18, v18, v19 dst_sel:WORD_1 dst_unused:UNUSED_PAD src0_sel:DWORD src1_sel:DWORD
	v_or_b32_sdwa v28, v20, v18 dst_sel:DWORD dst_unused:UNUSED_PAD src0_sel:WORD_0 src1_sel:DWORD
	s_waitcnt lgkmcnt(0)
	s_barrier
	s_waitcnt lgkmcnt(0)
                                        ; implicit-def: $sgpr38_sgpr39
	s_and_saveexec_b64 s[6:7], s[2:3]
	s_cbranch_execz .LBB605_206
; %bb.194:
	v_cmp_gt_u32_e32 vcc, s48, v1
	s_mov_b64 s[2:3], 0
	s_and_saveexec_b64 s[8:9], vcc
	s_cbranch_execz .LBB605_205
; %bb.195:
	s_andn2_b64 vcc, exec, s[10:11]
	s_mov_b64 s[38:39], 0
	s_cbranch_vccnz .LBB605_204
; %bb.196:
	v_add_u32_e32 v18, -8, v29
	ds_read_b64 v[18:19], v18
	v_mul_lo_u32 v20, v15, s26
	v_mad_u64_u32 v[24:25], s[2:3], v14, s26, 0
	s_mov_b64 s[38:39], -1
	s_waitcnt lgkmcnt(0)
	v_mul_lo_u32 v21, v19, s26
	v_mul_lo_u32 v22, v18, s27
	v_mad_u64_u32 v[18:19], s[2:3], v18, s26, 0
	v_add3_u32 v19, v19, v22, v21
	v_mul_lo_u32 v21, v14, s27
	v_add3_u32 v25, v25, v21, v20
	v_lshlrev_b64 v[20:21], 3, v[18:19]
	v_mov_b32_e32 v18, s17
	v_add_co_u32_e32 v22, vcc, s16, v20
	v_addc_co_u32_e64 v23, s[2:3], v18, v21, vcc
	v_lshlrev_b64 v[18:19], 3, v[24:25]
	v_mov_b32_e32 v20, s17
	v_add_co_u32_e64 v24, s[2:3], s16, v18
	v_addc_co_u32_e64 v25, s[4:5], v20, v19, s[2:3]
	global_load_dwordx2 v[26:27], v[22:23], off
	global_load_dwordx2 v[30:31], v[24:25], off
	s_waitcnt vmcnt(0)
	v_cmp_eq_u64_e64 s[4:5], v[26:27], v[30:31]
	s_and_saveexec_b64 s[10:11], s[4:5]
	s_cbranch_execz .LBB605_203
; %bb.197:
	v_mov_b32_e32 v18, s17
	v_addc_co_u32_e64 v19, s[2:3], v19, v18, s[2:3]
	v_add_co_u32_e64 v18, s[2:3], 8, v24
	v_mov_b32_e32 v20, s17
	v_addc_co_u32_e64 v19, s[2:3], 0, v19, s[2:3]
	v_addc_co_u32_e32 v21, vcc, v21, v20, vcc
	v_add_co_u32_e32 v20, vcc, 8, v22
	s_add_u32 s2, s26, -1
	v_addc_co_u32_e32 v21, vcc, 0, v21, vcc
	s_addc_u32 s3, s27, -1
	s_mov_b64 s[4:5], 0
	s_mov_b64 s[38:39], 0
                                        ; implicit-def: $sgpr16_sgpr17
	s_branch .LBB605_200
.LBB605_198:                            ;   in Loop: Header=BB605_200 Depth=1
	global_load_dwordx2 v[22:23], v[20:21], off
	global_load_dwordx2 v[24:25], v[18:19], off
	v_add_co_u32_e32 v18, vcc, 8, v18
	v_addc_co_u32_e32 v19, vcc, 0, v19, vcc
	v_add_co_u32_e32 v20, vcc, 8, v20
	v_addc_co_u32_e32 v21, vcc, 0, v21, vcc
	s_add_u32 s38, s38, 1
	s_addc_u32 s39, s39, 0
	s_andn2_b64 s[16:17], s[16:17], exec
	s_waitcnt vmcnt(0)
	v_cmp_ne_u64_e32 vcc, v[22:23], v[24:25]
	s_and_b64 s[40:41], vcc, exec
	s_or_b64 s[16:17], s[16:17], s[40:41]
.LBB605_199:                            ;   in Loop: Header=BB605_200 Depth=1
	s_and_b64 s[40:41], exec, s[16:17]
	s_or_b64 s[4:5], s[40:41], s[4:5]
	v_pk_mov_b32 v[22:23], s[38:39], s[38:39] op_sel:[0,1]
	s_andn2_b64 exec, exec, s[4:5]
	s_cbranch_execz .LBB605_202
.LBB605_200:                            ; =>This Inner Loop Header: Depth=1
	s_or_b64 s[16:17], s[16:17], exec
	s_cmp_eq_u64 s[2:3], s[38:39]
	s_cbranch_scc0 .LBB605_198
; %bb.201:                              ;   in Loop: Header=BB605_200 Depth=1
                                        ; implicit-def: $vgpr18_vgpr19
                                        ; implicit-def: $vgpr20_vgpr21
	s_mov_b64 s[38:39], s[26:27]
	s_branch .LBB605_199
.LBB605_202:
	s_or_b64 exec, exec, s[4:5]
	v_cmp_gt_i64_e32 vcc, s[26:27], v[22:23]
	s_orn2_b64 s[38:39], vcc, exec
.LBB605_203:
	s_or_b64 exec, exec, s[10:11]
.LBB605_204:
	s_and_b64 s[2:3], s[38:39], exec
.LBB605_205:
	s_or_b64 exec, exec, s[8:9]
	s_and_b64 s[38:39], s[2:3], exec
	s_or_b64 s[14:15], s[14:15], exec
.LBB605_206:
	s_or_b64 exec, exec, s[6:7]
.LBB605_207:
	s_and_saveexec_b64 s[2:3], s[14:15]
	s_cbranch_execz .LBB605_209
; %bb.208:
	s_waitcnt vmcnt(0) lgkmcnt(0)
	v_and_b32_e32 v18, 0xffffff00, v28
	v_cndmask_b32_e64 v19, 0, 1, s[38:39]
	v_or_b32_e32 v18, v19, v18
	v_and_b32_e32 v18, 0xffff, v18
	s_mov_b32 s4, 0xffff0000
	v_and_or_b32 v28, v28, s4, v18
.LBB605_209:
	s_or_b64 exec, exec, s[2:3]
	s_andn2_b64 vcc, exec, s[12:13]
	s_cbranch_vccnz .LBB605_211
; %bb.210:
	v_cmp_gt_u32_e32 vcc, s48, v1
	s_waitcnt vmcnt(0) lgkmcnt(0)
	v_cndmask_b32_e32 v18, 0, v28, vcc
	v_or_b32_e32 v19, 1, v1
	v_and_b32_e32 v18, 0xff, v18
	v_cmp_gt_u32_e32 vcc, s48, v19
	v_cndmask_b32_e32 v18, v18, v28, vcc
	v_or_b32_e32 v19, 2, v1
	v_and_b32_e32 v18, 0xffff, v18
	v_cmp_gt_u32_e32 vcc, s48, v19
	v_cndmask_b32_e32 v18, v18, v28, vcc
	v_or_b32_e32 v19, 3, v1
	v_and_b32_e32 v18, 0xffffff, v18
	v_cmp_gt_u32_e32 vcc, s48, v19
	v_cndmask_b32_e32 v28, v18, v28, vcc
.LBB605_211:
	v_bfe_u32 v30, v28, 16, 8
	v_lshrrev_b32_e32 v29, 24, v28
	s_waitcnt vmcnt(0) lgkmcnt(0)
	v_add_u32_sdwa v18, v28, v28 dst_sel:DWORD dst_unused:UNUSED_PAD src0_sel:BYTE_1 src1_sel:BYTE_0
	v_add3_u32 v33, v18, v30, v29
	v_mbcnt_lo_u32_b32 v18, -1, 0
	v_mbcnt_hi_u32_b32 v31, -1, v18
	v_and_b32_e32 v18, 15, v31
	v_cmp_eq_u32_e64 s[14:15], 0, v18
	v_cmp_lt_u32_e64 s[12:13], 1, v18
	v_cmp_lt_u32_e64 s[10:11], 3, v18
	;; [unrolled: 1-line block ×3, first 2 shown]
	v_and_b32_e32 v18, 16, v31
	v_cmp_eq_u32_e64 s[6:7], 0, v18
	v_or_b32_e32 v18, 63, v0
	v_cmp_lt_u32_e64 s[2:3], 31, v31
	v_lshrrev_b32_e32 v32, 6, v0
	v_cmp_eq_u32_e64 s[4:5], v18, v0
	s_and_b64 vcc, exec, s[36:37]
	s_barrier
	s_cbranch_vccz .LBB605_242
; %bb.212:
	v_mov_b32_dpp v18, v33 row_shr:1 row_mask:0xf bank_mask:0xf
	v_cndmask_b32_e64 v18, v18, 0, s[14:15]
	v_add_u32_e32 v18, v18, v33
	s_nop 1
	v_mov_b32_dpp v19, v18 row_shr:2 row_mask:0xf bank_mask:0xf
	v_cndmask_b32_e64 v19, 0, v19, s[12:13]
	v_add_u32_e32 v18, v18, v19
	s_nop 1
	;; [unrolled: 4-line block ×4, first 2 shown]
	v_mov_b32_dpp v19, v18 row_bcast:15 row_mask:0xf bank_mask:0xf
	v_cndmask_b32_e64 v19, v19, 0, s[6:7]
	v_add_u32_e32 v18, v18, v19
	s_nop 1
	v_mov_b32_dpp v19, v18 row_bcast:31 row_mask:0xf bank_mask:0xf
	v_cndmask_b32_e64 v19, 0, v19, s[2:3]
	v_add_u32_e32 v18, v18, v19
	s_and_saveexec_b64 s[16:17], s[4:5]
	s_cbranch_execz .LBB605_214
; %bb.213:
	v_lshlrev_b32_e32 v19, 2, v32
	ds_write_b32 v19, v18
.LBB605_214:
	s_or_b64 exec, exec, s[16:17]
	v_cmp_gt_u32_e32 vcc, 2, v0
	s_waitcnt lgkmcnt(0)
	s_barrier
	s_and_saveexec_b64 s[16:17], vcc
	s_cbranch_execz .LBB605_216
; %bb.215:
	ds_read_b32 v19, v1
	v_bfe_i32 v20, v31, 0, 1
	s_waitcnt lgkmcnt(0)
	v_mov_b32_dpp v21, v19 row_shr:1 row_mask:0xf bank_mask:0xf
	v_and_b32_e32 v20, v20, v21
	v_add_u32_e32 v19, v20, v19
	ds_write_b32 v1, v19
.LBB605_216:
	s_or_b64 exec, exec, s[16:17]
	v_cmp_gt_u32_e32 vcc, 64, v0
	v_cmp_lt_u32_e64 s[16:17], 63, v0
	s_waitcnt lgkmcnt(0)
	s_barrier
	s_waitcnt lgkmcnt(0)
                                        ; implicit-def: $vgpr34
	s_and_saveexec_b64 s[26:27], s[16:17]
	s_cbranch_execz .LBB605_218
; %bb.217:
	v_lshl_add_u32 v19, v32, 2, -4
	ds_read_b32 v34, v19
	s_waitcnt lgkmcnt(0)
	v_add_u32_e32 v18, v34, v18
.LBB605_218:
	s_or_b64 exec, exec, s[26:27]
	v_add_u32_e32 v19, -1, v31
	v_and_b32_e32 v20, 64, v31
	v_cmp_lt_i32_e64 s[16:17], v19, v20
	v_cndmask_b32_e64 v19, v19, v31, s[16:17]
	v_lshlrev_b32_e32 v19, 2, v19
	ds_bpermute_b32 v35, v19, v18
	v_cmp_eq_u32_e64 s[16:17], 0, v31
	s_and_saveexec_b64 s[26:27], vcc
	s_cbranch_execz .LBB605_241
; %bb.219:
	v_mov_b32_e32 v27, 0
	ds_read_b32 v18, v27 offset:4
	s_and_saveexec_b64 s[36:37], s[16:17]
	s_cbranch_execz .LBB605_221
; %bb.220:
	s_add_i32 s38, s33, 64
	s_mov_b32 s39, 0
	s_lshl_b64 s[38:39], s[38:39], 3
	s_add_u32 s38, s18, s38
	v_mov_b32_e32 v19, 1
	s_addc_u32 s39, s19, s39
	s_waitcnt lgkmcnt(0)
	global_store_dwordx2 v27, v[18:19], s[38:39]
.LBB605_221:
	s_or_b64 exec, exec, s[36:37]
	v_xad_u32 v20, v31, -1, s33
	v_add_u32_e32 v26, 64, v20
	v_lshlrev_b64 v[22:23], 3, v[26:27]
	v_mov_b32_e32 v19, s19
	v_add_co_u32_e32 v22, vcc, s18, v22
	v_addc_co_u32_e32 v23, vcc, v19, v23, vcc
	global_load_dwordx2 v[24:25], v[22:23], off glc
	s_waitcnt vmcnt(0)
	v_cmp_eq_u16_sdwa s[38:39], v25, v27 src0_sel:BYTE_0 src1_sel:DWORD
	s_and_saveexec_b64 s[36:37], s[38:39]
	s_cbranch_execz .LBB605_227
; %bb.222:
	s_mov_b32 s40, 1
	s_mov_b64 s[38:39], 0
	v_mov_b32_e32 v19, 0
.LBB605_223:                            ; =>This Loop Header: Depth=1
                                        ;     Child Loop BB605_224 Depth 2
	s_max_u32 s41, s40, 1
.LBB605_224:                            ;   Parent Loop BB605_223 Depth=1
                                        ; =>  This Inner Loop Header: Depth=2
	s_add_i32 s41, s41, -1
	s_cmp_eq_u32 s41, 0
	s_sleep 1
	s_cbranch_scc0 .LBB605_224
; %bb.225:                              ;   in Loop: Header=BB605_223 Depth=1
	global_load_dwordx2 v[24:25], v[22:23], off glc
	s_cmp_lt_u32 s40, 32
	s_cselect_b64 s[42:43], -1, 0
	s_cmp_lg_u64 s[42:43], 0
	s_addc_u32 s40, s40, 0
	s_waitcnt vmcnt(0)
	v_cmp_ne_u16_sdwa s[42:43], v25, v19 src0_sel:BYTE_0 src1_sel:DWORD
	s_or_b64 s[38:39], s[42:43], s[38:39]
	s_andn2_b64 exec, exec, s[38:39]
	s_cbranch_execnz .LBB605_223
; %bb.226:
	s_or_b64 exec, exec, s[38:39]
.LBB605_227:
	s_or_b64 exec, exec, s[36:37]
	v_and_b32_e32 v36, 63, v31
	v_mov_b32_e32 v19, 2
	v_cmp_ne_u32_e32 vcc, 63, v36
	v_cmp_eq_u16_sdwa s[36:37], v25, v19 src0_sel:BYTE_0 src1_sel:DWORD
	v_lshlrev_b64 v[22:23], v31, -1
	v_addc_co_u32_e32 v27, vcc, 0, v31, vcc
	v_and_b32_e32 v21, s37, v23
	v_lshlrev_b32_e32 v37, 2, v27
	v_or_b32_e32 v21, 0x80000000, v21
	ds_bpermute_b32 v27, v37, v24
	v_and_b32_e32 v26, s36, v22
	v_ffbl_b32_e32 v21, v21
	v_add_u32_e32 v21, 32, v21
	v_ffbl_b32_e32 v26, v26
	v_min_u32_e32 v21, v26, v21
	v_cmp_lt_u32_e32 vcc, v36, v21
	s_waitcnt lgkmcnt(0)
	v_cndmask_b32_e32 v26, 0, v27, vcc
	v_cmp_gt_u32_e32 vcc, 62, v36
	v_add_u32_e32 v24, v26, v24
	v_cndmask_b32_e64 v26, 0, 1, vcc
	v_lshlrev_b32_e32 v26, 1, v26
	v_add_lshl_u32 v38, v26, v31, 2
	ds_bpermute_b32 v26, v38, v24
	v_add_u32_e32 v39, 2, v36
	v_cmp_le_u32_e32 vcc, v39, v21
	v_add_u32_e32 v41, 4, v36
	v_add_u32_e32 v43, 8, v36
	s_waitcnt lgkmcnt(0)
	v_cndmask_b32_e32 v26, 0, v26, vcc
	v_cmp_gt_u32_e32 vcc, 60, v36
	v_add_u32_e32 v24, v24, v26
	v_cndmask_b32_e64 v26, 0, 1, vcc
	v_lshlrev_b32_e32 v26, 2, v26
	v_add_lshl_u32 v40, v26, v31, 2
	ds_bpermute_b32 v26, v40, v24
	v_cmp_le_u32_e32 vcc, v41, v21
	v_add_u32_e32 v46, 16, v36
	v_add_u32_e32 v48, 32, v36
	s_waitcnt lgkmcnt(0)
	v_cndmask_b32_e32 v26, 0, v26, vcc
	v_cmp_gt_u32_e32 vcc, 56, v36
	v_add_u32_e32 v24, v24, v26
	v_cndmask_b32_e64 v26, 0, 1, vcc
	v_lshlrev_b32_e32 v26, 3, v26
	v_add_lshl_u32 v42, v26, v31, 2
	ds_bpermute_b32 v26, v42, v24
	v_cmp_le_u32_e32 vcc, v43, v21
	s_waitcnt lgkmcnt(0)
	v_cndmask_b32_e32 v26, 0, v26, vcc
	v_cmp_gt_u32_e32 vcc, 48, v36
	v_add_u32_e32 v24, v24, v26
	v_cndmask_b32_e64 v26, 0, 1, vcc
	v_lshlrev_b32_e32 v26, 4, v26
	v_add_lshl_u32 v45, v26, v31, 2
	ds_bpermute_b32 v26, v45, v24
	v_cmp_le_u32_e32 vcc, v46, v21
	;; [unrolled: 9-line block ×3, first 2 shown]
	s_waitcnt lgkmcnt(0)
	v_cndmask_b32_e32 v21, 0, v26, vcc
	v_add_u32_e32 v24, v24, v21
	v_mov_b32_e32 v21, 0
	s_branch .LBB605_229
.LBB605_228:                            ;   in Loop: Header=BB605_229 Depth=1
	s_or_b64 exec, exec, s[36:37]
	v_cmp_eq_u16_sdwa s[36:37], v25, v19 src0_sel:BYTE_0 src1_sel:DWORD
	v_and_b32_e32 v26, s37, v23
	v_or_b32_e32 v26, 0x80000000, v26
	ds_bpermute_b32 v49, v37, v24
	v_and_b32_e32 v27, s36, v22
	v_ffbl_b32_e32 v26, v26
	v_add_u32_e32 v26, 32, v26
	v_ffbl_b32_e32 v27, v27
	v_min_u32_e32 v26, v27, v26
	v_cmp_lt_u32_e32 vcc, v36, v26
	s_waitcnt lgkmcnt(0)
	v_cndmask_b32_e32 v27, 0, v49, vcc
	v_add_u32_e32 v24, v27, v24
	ds_bpermute_b32 v27, v38, v24
	v_cmp_le_u32_e32 vcc, v39, v26
	v_subrev_u32_e32 v20, 64, v20
	s_waitcnt lgkmcnt(0)
	v_cndmask_b32_e32 v27, 0, v27, vcc
	v_add_u32_e32 v24, v24, v27
	ds_bpermute_b32 v27, v40, v24
	v_cmp_le_u32_e32 vcc, v41, v26
	s_waitcnt lgkmcnt(0)
	v_cndmask_b32_e32 v27, 0, v27, vcc
	v_add_u32_e32 v24, v24, v27
	ds_bpermute_b32 v27, v42, v24
	v_cmp_le_u32_e32 vcc, v43, v26
	;; [unrolled: 5-line block ×4, first 2 shown]
	s_waitcnt lgkmcnt(0)
	v_cndmask_b32_e32 v26, 0, v27, vcc
	v_add3_u32 v24, v26, v44, v24
.LBB605_229:                            ; =>This Loop Header: Depth=1
                                        ;     Child Loop BB605_232 Depth 2
                                        ;       Child Loop BB605_233 Depth 3
	v_cmp_ne_u16_sdwa s[36:37], v25, v19 src0_sel:BYTE_0 src1_sel:DWORD
	v_cndmask_b32_e64 v25, 0, 1, s[36:37]
	;;#ASMSTART
	;;#ASMEND
	v_cmp_ne_u32_e32 vcc, 0, v25
	s_cmp_lg_u64 vcc, exec
	v_mov_b32_e32 v44, v24
	s_cbranch_scc1 .LBB605_236
; %bb.230:                              ;   in Loop: Header=BB605_229 Depth=1
	v_lshlrev_b64 v[24:25], 3, v[20:21]
	v_mov_b32_e32 v27, s19
	v_add_co_u32_e32 v26, vcc, s18, v24
	v_addc_co_u32_e32 v27, vcc, v27, v25, vcc
	global_load_dwordx2 v[24:25], v[26:27], off glc
	s_waitcnt vmcnt(0)
	v_cmp_eq_u16_sdwa s[38:39], v25, v21 src0_sel:BYTE_0 src1_sel:DWORD
	s_and_saveexec_b64 s[36:37], s[38:39]
	s_cbranch_execz .LBB605_228
; %bb.231:                              ;   in Loop: Header=BB605_229 Depth=1
	s_mov_b32 s40, 1
	s_mov_b64 s[38:39], 0
.LBB605_232:                            ;   Parent Loop BB605_229 Depth=1
                                        ; =>  This Loop Header: Depth=2
                                        ;       Child Loop BB605_233 Depth 3
	s_max_u32 s41, s40, 1
.LBB605_233:                            ;   Parent Loop BB605_229 Depth=1
                                        ;     Parent Loop BB605_232 Depth=2
                                        ; =>    This Inner Loop Header: Depth=3
	s_add_i32 s41, s41, -1
	s_cmp_eq_u32 s41, 0
	s_sleep 1
	s_cbranch_scc0 .LBB605_233
; %bb.234:                              ;   in Loop: Header=BB605_232 Depth=2
	global_load_dwordx2 v[24:25], v[26:27], off glc
	s_cmp_lt_u32 s40, 32
	s_cselect_b64 s[42:43], -1, 0
	s_cmp_lg_u64 s[42:43], 0
	s_addc_u32 s40, s40, 0
	s_waitcnt vmcnt(0)
	v_cmp_ne_u16_sdwa s[42:43], v25, v21 src0_sel:BYTE_0 src1_sel:DWORD
	s_or_b64 s[38:39], s[42:43], s[38:39]
	s_andn2_b64 exec, exec, s[38:39]
	s_cbranch_execnz .LBB605_232
; %bb.235:                              ;   in Loop: Header=BB605_229 Depth=1
	s_or_b64 exec, exec, s[38:39]
	s_branch .LBB605_228
.LBB605_236:                            ;   in Loop: Header=BB605_229 Depth=1
                                        ; implicit-def: $vgpr24
                                        ; implicit-def: $vgpr25
	s_cbranch_execz .LBB605_229
; %bb.237:
	s_and_saveexec_b64 s[36:37], s[16:17]
	s_cbranch_execz .LBB605_239
; %bb.238:
	s_add_i32 s38, s33, 64
	s_mov_b32 s39, 0
	s_lshl_b64 s[38:39], s[38:39], 3
	s_add_u32 s38, s18, s38
	v_add_u32_e32 v20, v44, v18
	v_mov_b32_e32 v21, 2
	s_addc_u32 s39, s19, s39
	v_mov_b32_e32 v19, 0
	s_movk_i32 s33, 0x1000
	global_store_dwordx2 v19, v[20:21], s[38:39]
	v_add_u32_e64 v19, s33, 0
	ds_write2_b32 v19, v18, v44 offset0:32 offset1:34
.LBB605_239:
	s_or_b64 exec, exec, s[36:37]
	s_and_b64 exec, exec, s[0:1]
	s_cbranch_execz .LBB605_241
; %bb.240:
	v_mov_b32_e32 v18, 0
	ds_write_b32 v18, v44 offset:4
.LBB605_241:
	s_or_b64 exec, exec, s[26:27]
	v_mov_b32_e32 v19, 0
	s_waitcnt lgkmcnt(0)
	s_barrier
	ds_read_b32 v19, v19 offset:4
	v_cndmask_b32_e64 v18, v35, v34, s[16:17]
	s_movk_i32 s16, 0x1000
	v_add_u32_e64 v20, s16, 0
	s_waitcnt lgkmcnt(0)
	s_barrier
	ds_read2_b32 v[26:27], v20 offset0:32 offset1:34
	v_cndmask_b32_e64 v18, v18, 0, s[0:1]
	v_add_u32_e32 v24, v19, v18
	v_add_u32_sdwa v22, v24, v28 dst_sel:DWORD dst_unused:UNUSED_PAD src0_sel:DWORD src1_sel:BYTE_0
	v_add_u32_sdwa v20, v22, v28 dst_sel:DWORD dst_unused:UNUSED_PAD src0_sel:DWORD src1_sel:BYTE_1
	v_add_u32_e32 v18, v20, v30
	s_waitcnt lgkmcnt(0)
	v_readfirstlane_b32 s33, v26
	v_readfirstlane_b32 s16, v27
	s_branch .LBB605_252
.LBB605_242:
                                        ; implicit-def: $vgpr18
                                        ; implicit-def: $vgpr20
                                        ; implicit-def: $vgpr22
                                        ; implicit-def: $vgpr24
                                        ; implicit-def: $sgpr16
                                        ; implicit-def: $sgpr33
	s_cbranch_execz .LBB605_252
; %bb.243:
	s_nop 0
	v_mov_b32_dpp v18, v33 row_shr:1 row_mask:0xf bank_mask:0xf
	v_cndmask_b32_e64 v18, v18, 0, s[14:15]
	v_add_u32_e32 v18, v18, v33
	s_nop 1
	v_mov_b32_dpp v19, v18 row_shr:2 row_mask:0xf bank_mask:0xf
	v_cndmask_b32_e64 v19, 0, v19, s[12:13]
	v_add_u32_e32 v18, v18, v19
	;; [unrolled: 4-line block ×4, first 2 shown]
	s_nop 1
	v_mov_b32_dpp v19, v18 row_bcast:15 row_mask:0xf bank_mask:0xf
	v_cndmask_b32_e64 v19, v19, 0, s[6:7]
	v_add_u32_e32 v18, v18, v19
	s_nop 1
	v_mov_b32_dpp v19, v18 row_bcast:31 row_mask:0xf bank_mask:0xf
	v_cndmask_b32_e64 v19, 0, v19, s[2:3]
	v_add_u32_e32 v18, v18, v19
	s_and_saveexec_b64 s[2:3], s[4:5]
	s_cbranch_execz .LBB605_245
; %bb.244:
	v_lshlrev_b32_e32 v19, 2, v32
	ds_write_b32 v19, v18
.LBB605_245:
	s_or_b64 exec, exec, s[2:3]
	v_cmp_gt_u32_e32 vcc, 2, v0
	s_waitcnt lgkmcnt(0)
	s_barrier
	s_and_saveexec_b64 s[2:3], vcc
	s_cbranch_execz .LBB605_247
; %bb.246:
	ds_read_b32 v19, v1
	v_bfe_i32 v20, v31, 0, 1
	s_waitcnt lgkmcnt(0)
	v_mov_b32_dpp v21, v19 row_shr:1 row_mask:0xf bank_mask:0xf
	v_and_b32_e32 v20, v20, v21
	v_add_u32_e32 v19, v20, v19
	ds_write_b32 v1, v19
.LBB605_247:
	s_or_b64 exec, exec, s[2:3]
	v_cmp_lt_u32_e32 vcc, 63, v0
	v_mov_b32_e32 v19, 0
	v_mov_b32_e32 v1, 0
	s_waitcnt lgkmcnt(0)
	s_barrier
	s_and_saveexec_b64 s[2:3], vcc
	s_cbranch_execz .LBB605_249
; %bb.248:
	v_lshl_add_u32 v1, v32, 2, -4
	ds_read_b32 v1, v1
.LBB605_249:
	s_or_b64 exec, exec, s[2:3]
	v_add_u32_e32 v20, -1, v31
	v_and_b32_e32 v21, 64, v31
	v_cmp_lt_i32_e32 vcc, v20, v21
	v_cndmask_b32_e32 v20, v20, v31, vcc
	s_waitcnt lgkmcnt(0)
	v_add_u32_e32 v18, v1, v18
	v_lshlrev_b32_e32 v20, 2, v20
	ds_read_b32 v19, v19 offset:4
	ds_bpermute_b32 v18, v20, v18
	s_waitcnt lgkmcnt(1)
	v_readfirstlane_b32 s33, v19
	s_and_saveexec_b64 s[2:3], s[0:1]
	s_cbranch_execz .LBB605_251
; %bb.250:
	v_mov_b32_e32 v19, 0
	v_mov_b32_e32 v20, s33
	;; [unrolled: 1-line block ×3, first 2 shown]
	global_store_dwordx2 v19, v[20:21], s[18:19] offset:512
.LBB605_251:
	s_or_b64 exec, exec, s[2:3]
	v_cmp_eq_u32_e32 vcc, 0, v31
	s_waitcnt lgkmcnt(0)
	v_cndmask_b32_e32 v1, v18, v1, vcc
	v_cndmask_b32_e64 v24, v1, 0, s[0:1]
	v_add_u32_sdwa v22, v24, v28 dst_sel:DWORD dst_unused:UNUSED_PAD src0_sel:DWORD src1_sel:BYTE_0
	v_add_u32_sdwa v20, v22, v28 dst_sel:DWORD dst_unused:UNUSED_PAD src0_sel:DWORD src1_sel:BYTE_1
	s_mov_b32 s16, 0
	v_add_u32_e32 v18, v20, v30
	s_barrier
.LBB605_252:
	s_cmpk_lt_u32 s33, 0x81
	s_cselect_b64 s[4:5], -1, 0
	v_lshrrev_b32_e32 v1, 8, v28
	s_mov_b64 s[2:3], -1
	s_and_b64 vcc, exec, s[4:5]
	s_cbranch_vccz .LBB605_266
; %bb.253:
	s_add_i32 s6, s16, s33
	v_cmp_gt_u32_e32 vcc, s6, v24
	s_or_b64 s[8:9], s[34:35], vcc
	s_and_saveexec_b64 s[2:3], s[8:9]
	s_cbranch_execz .LBB605_256
; %bb.254:
	v_and_b32_e32 v19, 1, v28
	v_cmp_eq_u32_e32 vcc, 1, v19
	s_and_b64 exec, exec, vcc
	s_cbranch_execz .LBB605_256
; %bb.255:
	s_lshl_b64 s[8:9], s[22:23], 3
	s_add_u32 s7, s28, s8
	v_mov_b32_e32 v25, 0
	s_addc_u32 s8, s29, s9
	v_lshlrev_b64 v[26:27], 3, v[24:25]
	v_mov_b32_e32 v19, s8
	v_add_co_u32_e32 v26, vcc, s7, v26
	v_addc_co_u32_e32 v27, vcc, v19, v27, vcc
	global_store_dwordx2 v[26:27], v[14:15], off
.LBB605_256:
	s_or_b64 exec, exec, s[2:3]
	v_cmp_gt_u32_e32 vcc, s6, v22
	s_or_b64 s[8:9], s[34:35], vcc
	s_and_saveexec_b64 s[2:3], s[8:9]
	s_cbranch_execz .LBB605_259
; %bb.257:
	v_and_b32_e32 v19, 1, v1
	v_cmp_eq_u32_e32 vcc, 1, v19
	s_and_b64 exec, exec, vcc
	s_cbranch_execz .LBB605_259
; %bb.258:
	s_lshl_b64 s[8:9], s[22:23], 3
	s_add_u32 s7, s28, s8
	v_mov_b32_e32 v23, 0
	s_addc_u32 s8, s29, s9
	v_lshlrev_b64 v[26:27], 3, v[22:23]
	v_mov_b32_e32 v19, s8
	v_add_co_u32_e32 v26, vcc, s7, v26
	v_addc_co_u32_e32 v27, vcc, v19, v27, vcc
	global_store_dwordx2 v[26:27], v[16:17], off
.LBB605_259:
	s_or_b64 exec, exec, s[2:3]
	v_cmp_gt_u32_e32 vcc, s6, v20
	s_or_b64 s[8:9], s[34:35], vcc
	s_and_saveexec_b64 s[2:3], s[8:9]
	s_cbranch_execz .LBB605_262
; %bb.260:
	v_mov_b32_e32 v19, 1
	v_and_b32_sdwa v19, v19, v28 dst_sel:DWORD dst_unused:UNUSED_PAD src0_sel:DWORD src1_sel:WORD_1
	v_cmp_eq_u32_e32 vcc, 1, v19
	s_and_b64 exec, exec, vcc
	s_cbranch_execz .LBB605_262
; %bb.261:
	s_lshl_b64 s[8:9], s[22:23], 3
	s_add_u32 s7, s28, s8
	v_mov_b32_e32 v21, 0
	s_addc_u32 s8, s29, s9
	v_lshlrev_b64 v[26:27], 3, v[20:21]
	v_mov_b32_e32 v19, s8
	v_add_co_u32_e32 v26, vcc, s7, v26
	v_addc_co_u32_e32 v27, vcc, v19, v27, vcc
	global_store_dwordx2 v[26:27], v[10:11], off
.LBB605_262:
	s_or_b64 exec, exec, s[2:3]
	v_cmp_gt_u32_e32 vcc, s6, v18
	s_or_b64 s[6:7], s[34:35], vcc
	s_and_saveexec_b64 s[2:3], s[6:7]
	s_cbranch_execz .LBB605_265
; %bb.263:
	v_and_b32_e32 v19, 1, v29
	v_cmp_eq_u32_e32 vcc, 1, v19
	s_and_b64 exec, exec, vcc
	s_cbranch_execz .LBB605_265
; %bb.264:
	s_lshl_b64 s[6:7], s[22:23], 3
	s_add_u32 s6, s28, s6
	v_mov_b32_e32 v19, 0
	s_addc_u32 s7, s29, s7
	v_lshlrev_b64 v[26:27], 3, v[18:19]
	v_mov_b32_e32 v19, s7
	v_add_co_u32_e32 v26, vcc, s6, v26
	v_addc_co_u32_e32 v27, vcc, v19, v27, vcc
	global_store_dwordx2 v[26:27], v[12:13], off
.LBB605_265:
	s_or_b64 exec, exec, s[2:3]
	s_mov_b64 s[2:3], 0
.LBB605_266:
	v_and_b32_e32 v26, 1, v28
	s_and_b64 vcc, exec, s[2:3]
	v_cmp_eq_u32_e64 s[2:3], 1, v26
	s_cbranch_vccz .LBB605_279
; %bb.267:
	s_and_saveexec_b64 s[6:7], s[2:3]
	s_cbranch_execz .LBB605_269
; %bb.268:
	v_subrev_u32_e32 v19, s16, v24
	v_lshlrev_b32_e32 v19, 3, v19
	ds_write_b64 v19, v[14:15]
.LBB605_269:
	s_or_b64 exec, exec, s[6:7]
	v_and_b32_e32 v14, 1, v1
	v_cmp_eq_u32_e32 vcc, 1, v14
	s_and_saveexec_b64 s[2:3], vcc
	s_cbranch_execz .LBB605_271
; %bb.270:
	v_subrev_u32_e32 v14, s16, v22
	v_lshlrev_b32_e32 v14, 3, v14
	ds_write_b64 v14, v[16:17]
.LBB605_271:
	s_or_b64 exec, exec, s[2:3]
	v_mov_b32_e32 v14, 1
	v_and_b32_sdwa v14, v14, v28 dst_sel:DWORD dst_unused:UNUSED_PAD src0_sel:DWORD src1_sel:WORD_1
	v_cmp_eq_u32_e32 vcc, 1, v14
	s_and_saveexec_b64 s[2:3], vcc
	s_cbranch_execz .LBB605_273
; %bb.272:
	v_subrev_u32_e32 v14, s16, v20
	v_lshlrev_b32_e32 v14, 3, v14
	ds_write_b64 v14, v[10:11]
.LBB605_273:
	s_or_b64 exec, exec, s[2:3]
	v_and_b32_e32 v10, 1, v29
	v_cmp_eq_u32_e32 vcc, 1, v10
	s_and_saveexec_b64 s[2:3], vcc
	s_cbranch_execz .LBB605_275
; %bb.274:
	v_subrev_u32_e32 v10, s16, v18
	v_lshlrev_b32_e32 v10, 3, v10
	ds_write_b64 v10, v[12:13]
.LBB605_275:
	s_or_b64 exec, exec, s[2:3]
	v_cmp_gt_u32_e32 vcc, s33, v0
	s_waitcnt lgkmcnt(0)
	s_barrier
	s_and_saveexec_b64 s[2:3], vcc
	s_cbranch_execz .LBB605_278
; %bb.276:
	s_mov_b32 s17, 0
	s_lshl_b64 s[6:7], s[16:17], 3
	s_add_u32 s8, s28, s6
	s_addc_u32 s9, s29, s7
	s_lshl_b64 s[6:7], s[22:23], 3
	s_add_u32 s8, s8, s6
	s_addc_u32 s9, s9, s7
	v_lshlrev_b32_e32 v12, 3, v0
	s_mov_b64 s[6:7], 0
	v_mov_b32_e32 v11, 0
	v_mov_b32_e32 v13, s9
	;; [unrolled: 1-line block ×3, first 2 shown]
.LBB605_277:                            ; =>This Inner Loop Header: Depth=1
	ds_read_b64 v[14:15], v12
	v_lshlrev_b64 v[16:17], 3, v[10:11]
	v_add_co_u32_e32 v16, vcc, s8, v16
	v_add_u32_e32 v10, 0x80, v10
	v_addc_co_u32_e32 v17, vcc, v13, v17, vcc
	v_cmp_le_u32_e32 vcc, s33, v10
	v_add_u32_e32 v12, 0x400, v12
	s_or_b64 s[6:7], vcc, s[6:7]
	s_waitcnt lgkmcnt(0)
	global_store_dwordx2 v[16:17], v[14:15], off
	s_andn2_b64 exec, exec, s[6:7]
	s_cbranch_execnz .LBB605_277
.LBB605_278:
	s_or_b64 exec, exec, s[2:3]
.LBB605_279:
	s_mov_b64 s[2:3], -1
	s_and_b64 vcc, exec, s[4:5]
	s_barrier
	s_cbranch_vccnz .LBB605_283
; %bb.280:
	s_and_b64 vcc, exec, s[2:3]
	s_cbranch_vccnz .LBB605_296
.LBB605_281:
	s_and_b64 s[0:1], s[0:1], s[24:25]
	s_and_saveexec_b64 s[2:3], s[0:1]
	s_cbranch_execnz .LBB605_308
.LBB605_282:
	s_endpgm
.LBB605_283:
	s_add_i32 s4, s16, s33
	v_cmp_gt_u32_e32 vcc, s4, v24
	s_or_b64 s[6:7], s[34:35], vcc
	s_and_saveexec_b64 s[2:3], s[6:7]
	s_cbranch_execz .LBB605_286
; %bb.284:
	v_cmp_eq_u32_e32 vcc, 1, v26
	s_and_b64 exec, exec, vcc
	s_cbranch_execz .LBB605_286
; %bb.285:
	s_lshl_b64 s[6:7], s[22:23], 3
	s_add_u32 s5, s30, s6
	v_mov_b32_e32 v25, 0
	s_addc_u32 s6, s31, s7
	v_lshlrev_b64 v[10:11], 3, v[24:25]
	v_mov_b32_e32 v12, s6
	v_add_co_u32_e32 v10, vcc, s5, v10
	v_addc_co_u32_e32 v11, vcc, v12, v11, vcc
	global_store_dwordx2 v[10:11], v[6:7], off
.LBB605_286:
	s_or_b64 exec, exec, s[2:3]
	v_cmp_gt_u32_e32 vcc, s4, v22
	s_or_b64 s[6:7], s[34:35], vcc
	s_and_saveexec_b64 s[2:3], s[6:7]
	s_cbranch_execz .LBB605_289
; %bb.287:
	v_and_b32_e32 v10, 1, v1
	v_cmp_eq_u32_e32 vcc, 1, v10
	s_and_b64 exec, exec, vcc
	s_cbranch_execz .LBB605_289
; %bb.288:
	s_lshl_b64 s[6:7], s[22:23], 3
	s_add_u32 s5, s30, s6
	v_mov_b32_e32 v23, 0
	s_addc_u32 s6, s31, s7
	v_lshlrev_b64 v[10:11], 3, v[22:23]
	v_mov_b32_e32 v12, s6
	v_add_co_u32_e32 v10, vcc, s5, v10
	v_addc_co_u32_e32 v11, vcc, v12, v11, vcc
	global_store_dwordx2 v[10:11], v[8:9], off
.LBB605_289:
	s_or_b64 exec, exec, s[2:3]
	v_cmp_gt_u32_e32 vcc, s4, v20
	s_or_b64 s[6:7], s[34:35], vcc
	s_and_saveexec_b64 s[2:3], s[6:7]
	s_cbranch_execz .LBB605_292
; %bb.290:
	v_mov_b32_e32 v10, 1
	v_and_b32_sdwa v10, v10, v28 dst_sel:DWORD dst_unused:UNUSED_PAD src0_sel:DWORD src1_sel:WORD_1
	v_cmp_eq_u32_e32 vcc, 1, v10
	s_and_b64 exec, exec, vcc
	s_cbranch_execz .LBB605_292
; %bb.291:
	s_lshl_b64 s[6:7], s[22:23], 3
	s_add_u32 s5, s30, s6
	v_mov_b32_e32 v21, 0
	s_addc_u32 s6, s31, s7
	v_lshlrev_b64 v[10:11], 3, v[20:21]
	v_mov_b32_e32 v12, s6
	v_add_co_u32_e32 v10, vcc, s5, v10
	v_addc_co_u32_e32 v11, vcc, v12, v11, vcc
	global_store_dwordx2 v[10:11], v[2:3], off
.LBB605_292:
	s_or_b64 exec, exec, s[2:3]
	v_cmp_gt_u32_e32 vcc, s4, v18
	s_or_b64 s[4:5], s[34:35], vcc
	s_and_saveexec_b64 s[2:3], s[4:5]
	s_cbranch_execz .LBB605_295
; %bb.293:
	v_and_b32_e32 v10, 1, v29
	v_cmp_eq_u32_e32 vcc, 1, v10
	s_and_b64 exec, exec, vcc
	s_cbranch_execz .LBB605_295
; %bb.294:
	s_lshl_b64 s[4:5], s[22:23], 3
	s_add_u32 s4, s30, s4
	v_mov_b32_e32 v19, 0
	s_addc_u32 s5, s31, s5
	v_lshlrev_b64 v[10:11], 3, v[18:19]
	v_mov_b32_e32 v12, s5
	v_add_co_u32_e32 v10, vcc, s4, v10
	v_addc_co_u32_e32 v11, vcc, v12, v11, vcc
	global_store_dwordx2 v[10:11], v[4:5], off
.LBB605_295:
	s_or_b64 exec, exec, s[2:3]
	s_branch .LBB605_281
.LBB605_296:
	v_cmp_eq_u32_e32 vcc, 1, v26
	s_and_saveexec_b64 s[2:3], vcc
	s_cbranch_execz .LBB605_298
; %bb.297:
	v_subrev_u32_e32 v10, s16, v24
	v_lshlrev_b32_e32 v10, 3, v10
	ds_write_b64 v10, v[6:7]
.LBB605_298:
	s_or_b64 exec, exec, s[2:3]
	v_and_b32_e32 v1, 1, v1
	v_cmp_eq_u32_e32 vcc, 1, v1
	s_and_saveexec_b64 s[2:3], vcc
	s_cbranch_execz .LBB605_300
; %bb.299:
	v_subrev_u32_e32 v1, s16, v22
	v_lshlrev_b32_e32 v1, 3, v1
	ds_write_b64 v1, v[8:9]
.LBB605_300:
	s_or_b64 exec, exec, s[2:3]
	v_mov_b32_e32 v1, 1
	v_and_b32_sdwa v1, v1, v28 dst_sel:DWORD dst_unused:UNUSED_PAD src0_sel:DWORD src1_sel:WORD_1
	v_cmp_eq_u32_e32 vcc, 1, v1
	s_and_saveexec_b64 s[2:3], vcc
	s_cbranch_execz .LBB605_302
; %bb.301:
	v_subrev_u32_e32 v1, s16, v20
	v_lshlrev_b32_e32 v1, 3, v1
	ds_write_b64 v1, v[2:3]
.LBB605_302:
	s_or_b64 exec, exec, s[2:3]
	v_and_b32_e32 v1, 1, v29
	v_cmp_eq_u32_e32 vcc, 1, v1
	s_and_saveexec_b64 s[2:3], vcc
	s_cbranch_execz .LBB605_304
; %bb.303:
	v_subrev_u32_e32 v1, s16, v18
	v_lshlrev_b32_e32 v1, 3, v1
	ds_write_b64 v1, v[4:5]
.LBB605_304:
	s_or_b64 exec, exec, s[2:3]
	v_cmp_gt_u32_e32 vcc, s33, v0
	s_waitcnt lgkmcnt(0)
	s_barrier
	s_and_saveexec_b64 s[2:3], vcc
	s_cbranch_execz .LBB605_307
; %bb.305:
	s_mov_b32 s17, 0
	s_lshl_b64 s[4:5], s[16:17], 3
	s_add_u32 s6, s30, s4
	s_addc_u32 s7, s31, s5
	s_lshl_b64 s[4:5], s[22:23], 3
	s_add_u32 s6, s6, s4
	s_addc_u32 s7, s7, s5
	v_lshlrev_b32_e32 v2, 3, v0
	s_mov_b64 s[4:5], 0
	v_mov_b32_e32 v1, 0
	v_mov_b32_e32 v3, s7
.LBB605_306:                            ; =>This Inner Loop Header: Depth=1
	ds_read_b64 v[4:5], v2
	v_lshlrev_b64 v[6:7], 3, v[0:1]
	v_add_co_u32_e32 v6, vcc, s6, v6
	v_add_u32_e32 v0, 0x80, v0
	v_addc_co_u32_e32 v7, vcc, v3, v7, vcc
	v_cmp_le_u32_e32 vcc, s33, v0
	v_add_u32_e32 v2, 0x400, v2
	s_or_b64 s[4:5], vcc, s[4:5]
	s_waitcnt lgkmcnt(0)
	global_store_dwordx2 v[6:7], v[4:5], off
	s_andn2_b64 exec, exec, s[4:5]
	s_cbranch_execnz .LBB605_306
.LBB605_307:
	s_or_b64 exec, exec, s[2:3]
	s_and_b64 s[0:1], s[0:1], s[24:25]
	s_and_saveexec_b64 s[2:3], s[0:1]
	s_cbranch_execz .LBB605_282
.LBB605_308:
	s_add_u32 s0, s22, s33
	s_addc_u32 s1, s23, 0
	s_add_u32 s0, s0, s16
	s_addc_u32 s1, s1, 0
	v_mov_b32_e32 v2, 0
	v_pk_mov_b32 v[0:1], s[0:1], s[0:1] op_sel:[0,1]
	global_store_dwordx2 v2, v[0:1], s[20:21]
	s_endpgm
	.section	.rodata,"a",@progbits
	.p2align	6, 0x0
	.amdhsa_kernel _ZN7rocprim17ROCPRIM_400000_NS6detail17trampoline_kernelINS0_14default_configENS1_25partition_config_selectorILNS1_17partition_subalgoE9EllbEEZZNS1_14partition_implILS5_9ELb0ES3_jPlS8_PNS0_10empty_typeENS0_5tupleIJS8_S9_EEENSB_IJS8_SA_EEENS0_18inequality_wrapperIZN2at6native12_GLOBAL__N_124unique_dim_cuda_templateIlEESt5tupleIJNSF_6TensorESK_SK_EERKSK_lbbbEUlllE0_EEPmJS9_EEE10hipError_tPvRmT3_T4_T5_T6_T7_T9_mT8_P12ihipStream_tbDpT10_ENKUlT_T0_E_clISt17integral_constantIbLb1EES1A_EEDaS15_S16_EUlS15_E_NS1_11comp_targetILNS1_3genE4ELNS1_11target_archE910ELNS1_3gpuE8ELNS1_3repE0EEENS1_30default_config_static_selectorELNS0_4arch9wavefront6targetE1EEEvT1_
		.amdhsa_group_segment_fixed_size 4236
		.amdhsa_private_segment_fixed_size 0
		.amdhsa_kernarg_size 136
		.amdhsa_user_sgpr_count 6
		.amdhsa_user_sgpr_private_segment_buffer 1
		.amdhsa_user_sgpr_dispatch_ptr 0
		.amdhsa_user_sgpr_queue_ptr 0
		.amdhsa_user_sgpr_kernarg_segment_ptr 1
		.amdhsa_user_sgpr_dispatch_id 0
		.amdhsa_user_sgpr_flat_scratch_init 0
		.amdhsa_user_sgpr_kernarg_preload_length 0
		.amdhsa_user_sgpr_kernarg_preload_offset 0
		.amdhsa_user_sgpr_private_segment_size 0
		.amdhsa_uses_dynamic_stack 0
		.amdhsa_system_sgpr_private_segment_wavefront_offset 0
		.amdhsa_system_sgpr_workgroup_id_x 1
		.amdhsa_system_sgpr_workgroup_id_y 0
		.amdhsa_system_sgpr_workgroup_id_z 0
		.amdhsa_system_sgpr_workgroup_info 0
		.amdhsa_system_vgpr_workitem_id 0
		.amdhsa_next_free_vgpr 50
		.amdhsa_next_free_sgpr 52
		.amdhsa_accum_offset 52
		.amdhsa_reserve_vcc 1
		.amdhsa_reserve_flat_scratch 0
		.amdhsa_float_round_mode_32 0
		.amdhsa_float_round_mode_16_64 0
		.amdhsa_float_denorm_mode_32 3
		.amdhsa_float_denorm_mode_16_64 3
		.amdhsa_dx10_clamp 1
		.amdhsa_ieee_mode 1
		.amdhsa_fp16_overflow 0
		.amdhsa_tg_split 0
		.amdhsa_exception_fp_ieee_invalid_op 0
		.amdhsa_exception_fp_denorm_src 0
		.amdhsa_exception_fp_ieee_div_zero 0
		.amdhsa_exception_fp_ieee_overflow 0
		.amdhsa_exception_fp_ieee_underflow 0
		.amdhsa_exception_fp_ieee_inexact 0
		.amdhsa_exception_int_div_zero 0
	.end_amdhsa_kernel
	.section	.text._ZN7rocprim17ROCPRIM_400000_NS6detail17trampoline_kernelINS0_14default_configENS1_25partition_config_selectorILNS1_17partition_subalgoE9EllbEEZZNS1_14partition_implILS5_9ELb0ES3_jPlS8_PNS0_10empty_typeENS0_5tupleIJS8_S9_EEENSB_IJS8_SA_EEENS0_18inequality_wrapperIZN2at6native12_GLOBAL__N_124unique_dim_cuda_templateIlEESt5tupleIJNSF_6TensorESK_SK_EERKSK_lbbbEUlllE0_EEPmJS9_EEE10hipError_tPvRmT3_T4_T5_T6_T7_T9_mT8_P12ihipStream_tbDpT10_ENKUlT_T0_E_clISt17integral_constantIbLb1EES1A_EEDaS15_S16_EUlS15_E_NS1_11comp_targetILNS1_3genE4ELNS1_11target_archE910ELNS1_3gpuE8ELNS1_3repE0EEENS1_30default_config_static_selectorELNS0_4arch9wavefront6targetE1EEEvT1_,"axG",@progbits,_ZN7rocprim17ROCPRIM_400000_NS6detail17trampoline_kernelINS0_14default_configENS1_25partition_config_selectorILNS1_17partition_subalgoE9EllbEEZZNS1_14partition_implILS5_9ELb0ES3_jPlS8_PNS0_10empty_typeENS0_5tupleIJS8_S9_EEENSB_IJS8_SA_EEENS0_18inequality_wrapperIZN2at6native12_GLOBAL__N_124unique_dim_cuda_templateIlEESt5tupleIJNSF_6TensorESK_SK_EERKSK_lbbbEUlllE0_EEPmJS9_EEE10hipError_tPvRmT3_T4_T5_T6_T7_T9_mT8_P12ihipStream_tbDpT10_ENKUlT_T0_E_clISt17integral_constantIbLb1EES1A_EEDaS15_S16_EUlS15_E_NS1_11comp_targetILNS1_3genE4ELNS1_11target_archE910ELNS1_3gpuE8ELNS1_3repE0EEENS1_30default_config_static_selectorELNS0_4arch9wavefront6targetE1EEEvT1_,comdat
.Lfunc_end605:
	.size	_ZN7rocprim17ROCPRIM_400000_NS6detail17trampoline_kernelINS0_14default_configENS1_25partition_config_selectorILNS1_17partition_subalgoE9EllbEEZZNS1_14partition_implILS5_9ELb0ES3_jPlS8_PNS0_10empty_typeENS0_5tupleIJS8_S9_EEENSB_IJS8_SA_EEENS0_18inequality_wrapperIZN2at6native12_GLOBAL__N_124unique_dim_cuda_templateIlEESt5tupleIJNSF_6TensorESK_SK_EERKSK_lbbbEUlllE0_EEPmJS9_EEE10hipError_tPvRmT3_T4_T5_T6_T7_T9_mT8_P12ihipStream_tbDpT10_ENKUlT_T0_E_clISt17integral_constantIbLb1EES1A_EEDaS15_S16_EUlS15_E_NS1_11comp_targetILNS1_3genE4ELNS1_11target_archE910ELNS1_3gpuE8ELNS1_3repE0EEENS1_30default_config_static_selectorELNS0_4arch9wavefront6targetE1EEEvT1_, .Lfunc_end605-_ZN7rocprim17ROCPRIM_400000_NS6detail17trampoline_kernelINS0_14default_configENS1_25partition_config_selectorILNS1_17partition_subalgoE9EllbEEZZNS1_14partition_implILS5_9ELb0ES3_jPlS8_PNS0_10empty_typeENS0_5tupleIJS8_S9_EEENSB_IJS8_SA_EEENS0_18inequality_wrapperIZN2at6native12_GLOBAL__N_124unique_dim_cuda_templateIlEESt5tupleIJNSF_6TensorESK_SK_EERKSK_lbbbEUlllE0_EEPmJS9_EEE10hipError_tPvRmT3_T4_T5_T6_T7_T9_mT8_P12ihipStream_tbDpT10_ENKUlT_T0_E_clISt17integral_constantIbLb1EES1A_EEDaS15_S16_EUlS15_E_NS1_11comp_targetILNS1_3genE4ELNS1_11target_archE910ELNS1_3gpuE8ELNS1_3repE0EEENS1_30default_config_static_selectorELNS0_4arch9wavefront6targetE1EEEvT1_
                                        ; -- End function
	.section	.AMDGPU.csdata,"",@progbits
; Kernel info:
; codeLenInByte = 10980
; NumSgprs: 56
; NumVgprs: 50
; NumAgprs: 0
; TotalNumVgprs: 50
; ScratchSize: 0
; MemoryBound: 1
; FloatMode: 240
; IeeeMode: 1
; LDSByteSize: 4236 bytes/workgroup (compile time only)
; SGPRBlocks: 6
; VGPRBlocks: 6
; NumSGPRsForWavesPerEU: 56
; NumVGPRsForWavesPerEU: 50
; AccumOffset: 52
; Occupancy: 8
; WaveLimiterHint : 1
; COMPUTE_PGM_RSRC2:SCRATCH_EN: 0
; COMPUTE_PGM_RSRC2:USER_SGPR: 6
; COMPUTE_PGM_RSRC2:TRAP_HANDLER: 0
; COMPUTE_PGM_RSRC2:TGID_X_EN: 1
; COMPUTE_PGM_RSRC2:TGID_Y_EN: 0
; COMPUTE_PGM_RSRC2:TGID_Z_EN: 0
; COMPUTE_PGM_RSRC2:TIDIG_COMP_CNT: 0
; COMPUTE_PGM_RSRC3_GFX90A:ACCUM_OFFSET: 12
; COMPUTE_PGM_RSRC3_GFX90A:TG_SPLIT: 0
	.section	.text._ZN7rocprim17ROCPRIM_400000_NS6detail17trampoline_kernelINS0_14default_configENS1_25partition_config_selectorILNS1_17partition_subalgoE9EllbEEZZNS1_14partition_implILS5_9ELb0ES3_jPlS8_PNS0_10empty_typeENS0_5tupleIJS8_S9_EEENSB_IJS8_SA_EEENS0_18inequality_wrapperIZN2at6native12_GLOBAL__N_124unique_dim_cuda_templateIlEESt5tupleIJNSF_6TensorESK_SK_EERKSK_lbbbEUlllE0_EEPmJS9_EEE10hipError_tPvRmT3_T4_T5_T6_T7_T9_mT8_P12ihipStream_tbDpT10_ENKUlT_T0_E_clISt17integral_constantIbLb1EES1A_EEDaS15_S16_EUlS15_E_NS1_11comp_targetILNS1_3genE3ELNS1_11target_archE908ELNS1_3gpuE7ELNS1_3repE0EEENS1_30default_config_static_selectorELNS0_4arch9wavefront6targetE1EEEvT1_,"axG",@progbits,_ZN7rocprim17ROCPRIM_400000_NS6detail17trampoline_kernelINS0_14default_configENS1_25partition_config_selectorILNS1_17partition_subalgoE9EllbEEZZNS1_14partition_implILS5_9ELb0ES3_jPlS8_PNS0_10empty_typeENS0_5tupleIJS8_S9_EEENSB_IJS8_SA_EEENS0_18inequality_wrapperIZN2at6native12_GLOBAL__N_124unique_dim_cuda_templateIlEESt5tupleIJNSF_6TensorESK_SK_EERKSK_lbbbEUlllE0_EEPmJS9_EEE10hipError_tPvRmT3_T4_T5_T6_T7_T9_mT8_P12ihipStream_tbDpT10_ENKUlT_T0_E_clISt17integral_constantIbLb1EES1A_EEDaS15_S16_EUlS15_E_NS1_11comp_targetILNS1_3genE3ELNS1_11target_archE908ELNS1_3gpuE7ELNS1_3repE0EEENS1_30default_config_static_selectorELNS0_4arch9wavefront6targetE1EEEvT1_,comdat
	.globl	_ZN7rocprim17ROCPRIM_400000_NS6detail17trampoline_kernelINS0_14default_configENS1_25partition_config_selectorILNS1_17partition_subalgoE9EllbEEZZNS1_14partition_implILS5_9ELb0ES3_jPlS8_PNS0_10empty_typeENS0_5tupleIJS8_S9_EEENSB_IJS8_SA_EEENS0_18inequality_wrapperIZN2at6native12_GLOBAL__N_124unique_dim_cuda_templateIlEESt5tupleIJNSF_6TensorESK_SK_EERKSK_lbbbEUlllE0_EEPmJS9_EEE10hipError_tPvRmT3_T4_T5_T6_T7_T9_mT8_P12ihipStream_tbDpT10_ENKUlT_T0_E_clISt17integral_constantIbLb1EES1A_EEDaS15_S16_EUlS15_E_NS1_11comp_targetILNS1_3genE3ELNS1_11target_archE908ELNS1_3gpuE7ELNS1_3repE0EEENS1_30default_config_static_selectorELNS0_4arch9wavefront6targetE1EEEvT1_ ; -- Begin function _ZN7rocprim17ROCPRIM_400000_NS6detail17trampoline_kernelINS0_14default_configENS1_25partition_config_selectorILNS1_17partition_subalgoE9EllbEEZZNS1_14partition_implILS5_9ELb0ES3_jPlS8_PNS0_10empty_typeENS0_5tupleIJS8_S9_EEENSB_IJS8_SA_EEENS0_18inequality_wrapperIZN2at6native12_GLOBAL__N_124unique_dim_cuda_templateIlEESt5tupleIJNSF_6TensorESK_SK_EERKSK_lbbbEUlllE0_EEPmJS9_EEE10hipError_tPvRmT3_T4_T5_T6_T7_T9_mT8_P12ihipStream_tbDpT10_ENKUlT_T0_E_clISt17integral_constantIbLb1EES1A_EEDaS15_S16_EUlS15_E_NS1_11comp_targetILNS1_3genE3ELNS1_11target_archE908ELNS1_3gpuE7ELNS1_3repE0EEENS1_30default_config_static_selectorELNS0_4arch9wavefront6targetE1EEEvT1_
	.p2align	8
	.type	_ZN7rocprim17ROCPRIM_400000_NS6detail17trampoline_kernelINS0_14default_configENS1_25partition_config_selectorILNS1_17partition_subalgoE9EllbEEZZNS1_14partition_implILS5_9ELb0ES3_jPlS8_PNS0_10empty_typeENS0_5tupleIJS8_S9_EEENSB_IJS8_SA_EEENS0_18inequality_wrapperIZN2at6native12_GLOBAL__N_124unique_dim_cuda_templateIlEESt5tupleIJNSF_6TensorESK_SK_EERKSK_lbbbEUlllE0_EEPmJS9_EEE10hipError_tPvRmT3_T4_T5_T6_T7_T9_mT8_P12ihipStream_tbDpT10_ENKUlT_T0_E_clISt17integral_constantIbLb1EES1A_EEDaS15_S16_EUlS15_E_NS1_11comp_targetILNS1_3genE3ELNS1_11target_archE908ELNS1_3gpuE7ELNS1_3repE0EEENS1_30default_config_static_selectorELNS0_4arch9wavefront6targetE1EEEvT1_,@function
_ZN7rocprim17ROCPRIM_400000_NS6detail17trampoline_kernelINS0_14default_configENS1_25partition_config_selectorILNS1_17partition_subalgoE9EllbEEZZNS1_14partition_implILS5_9ELb0ES3_jPlS8_PNS0_10empty_typeENS0_5tupleIJS8_S9_EEENSB_IJS8_SA_EEENS0_18inequality_wrapperIZN2at6native12_GLOBAL__N_124unique_dim_cuda_templateIlEESt5tupleIJNSF_6TensorESK_SK_EERKSK_lbbbEUlllE0_EEPmJS9_EEE10hipError_tPvRmT3_T4_T5_T6_T7_T9_mT8_P12ihipStream_tbDpT10_ENKUlT_T0_E_clISt17integral_constantIbLb1EES1A_EEDaS15_S16_EUlS15_E_NS1_11comp_targetILNS1_3genE3ELNS1_11target_archE908ELNS1_3gpuE7ELNS1_3repE0EEENS1_30default_config_static_selectorELNS0_4arch9wavefront6targetE1EEEvT1_: ; @_ZN7rocprim17ROCPRIM_400000_NS6detail17trampoline_kernelINS0_14default_configENS1_25partition_config_selectorILNS1_17partition_subalgoE9EllbEEZZNS1_14partition_implILS5_9ELb0ES3_jPlS8_PNS0_10empty_typeENS0_5tupleIJS8_S9_EEENSB_IJS8_SA_EEENS0_18inequality_wrapperIZN2at6native12_GLOBAL__N_124unique_dim_cuda_templateIlEESt5tupleIJNSF_6TensorESK_SK_EERKSK_lbbbEUlllE0_EEPmJS9_EEE10hipError_tPvRmT3_T4_T5_T6_T7_T9_mT8_P12ihipStream_tbDpT10_ENKUlT_T0_E_clISt17integral_constantIbLb1EES1A_EEDaS15_S16_EUlS15_E_NS1_11comp_targetILNS1_3genE3ELNS1_11target_archE908ELNS1_3gpuE7ELNS1_3repE0EEENS1_30default_config_static_selectorELNS0_4arch9wavefront6targetE1EEEvT1_
; %bb.0:
	.section	.rodata,"a",@progbits
	.p2align	6, 0x0
	.amdhsa_kernel _ZN7rocprim17ROCPRIM_400000_NS6detail17trampoline_kernelINS0_14default_configENS1_25partition_config_selectorILNS1_17partition_subalgoE9EllbEEZZNS1_14partition_implILS5_9ELb0ES3_jPlS8_PNS0_10empty_typeENS0_5tupleIJS8_S9_EEENSB_IJS8_SA_EEENS0_18inequality_wrapperIZN2at6native12_GLOBAL__N_124unique_dim_cuda_templateIlEESt5tupleIJNSF_6TensorESK_SK_EERKSK_lbbbEUlllE0_EEPmJS9_EEE10hipError_tPvRmT3_T4_T5_T6_T7_T9_mT8_P12ihipStream_tbDpT10_ENKUlT_T0_E_clISt17integral_constantIbLb1EES1A_EEDaS15_S16_EUlS15_E_NS1_11comp_targetILNS1_3genE3ELNS1_11target_archE908ELNS1_3gpuE7ELNS1_3repE0EEENS1_30default_config_static_selectorELNS0_4arch9wavefront6targetE1EEEvT1_
		.amdhsa_group_segment_fixed_size 0
		.amdhsa_private_segment_fixed_size 0
		.amdhsa_kernarg_size 136
		.amdhsa_user_sgpr_count 6
		.amdhsa_user_sgpr_private_segment_buffer 1
		.amdhsa_user_sgpr_dispatch_ptr 0
		.amdhsa_user_sgpr_queue_ptr 0
		.amdhsa_user_sgpr_kernarg_segment_ptr 1
		.amdhsa_user_sgpr_dispatch_id 0
		.amdhsa_user_sgpr_flat_scratch_init 0
		.amdhsa_user_sgpr_kernarg_preload_length 0
		.amdhsa_user_sgpr_kernarg_preload_offset 0
		.amdhsa_user_sgpr_private_segment_size 0
		.amdhsa_uses_dynamic_stack 0
		.amdhsa_system_sgpr_private_segment_wavefront_offset 0
		.amdhsa_system_sgpr_workgroup_id_x 1
		.amdhsa_system_sgpr_workgroup_id_y 0
		.amdhsa_system_sgpr_workgroup_id_z 0
		.amdhsa_system_sgpr_workgroup_info 0
		.amdhsa_system_vgpr_workitem_id 0
		.amdhsa_next_free_vgpr 1
		.amdhsa_next_free_sgpr 0
		.amdhsa_accum_offset 4
		.amdhsa_reserve_vcc 0
		.amdhsa_reserve_flat_scratch 0
		.amdhsa_float_round_mode_32 0
		.amdhsa_float_round_mode_16_64 0
		.amdhsa_float_denorm_mode_32 3
		.amdhsa_float_denorm_mode_16_64 3
		.amdhsa_dx10_clamp 1
		.amdhsa_ieee_mode 1
		.amdhsa_fp16_overflow 0
		.amdhsa_tg_split 0
		.amdhsa_exception_fp_ieee_invalid_op 0
		.amdhsa_exception_fp_denorm_src 0
		.amdhsa_exception_fp_ieee_div_zero 0
		.amdhsa_exception_fp_ieee_overflow 0
		.amdhsa_exception_fp_ieee_underflow 0
		.amdhsa_exception_fp_ieee_inexact 0
		.amdhsa_exception_int_div_zero 0
	.end_amdhsa_kernel
	.section	.text._ZN7rocprim17ROCPRIM_400000_NS6detail17trampoline_kernelINS0_14default_configENS1_25partition_config_selectorILNS1_17partition_subalgoE9EllbEEZZNS1_14partition_implILS5_9ELb0ES3_jPlS8_PNS0_10empty_typeENS0_5tupleIJS8_S9_EEENSB_IJS8_SA_EEENS0_18inequality_wrapperIZN2at6native12_GLOBAL__N_124unique_dim_cuda_templateIlEESt5tupleIJNSF_6TensorESK_SK_EERKSK_lbbbEUlllE0_EEPmJS9_EEE10hipError_tPvRmT3_T4_T5_T6_T7_T9_mT8_P12ihipStream_tbDpT10_ENKUlT_T0_E_clISt17integral_constantIbLb1EES1A_EEDaS15_S16_EUlS15_E_NS1_11comp_targetILNS1_3genE3ELNS1_11target_archE908ELNS1_3gpuE7ELNS1_3repE0EEENS1_30default_config_static_selectorELNS0_4arch9wavefront6targetE1EEEvT1_,"axG",@progbits,_ZN7rocprim17ROCPRIM_400000_NS6detail17trampoline_kernelINS0_14default_configENS1_25partition_config_selectorILNS1_17partition_subalgoE9EllbEEZZNS1_14partition_implILS5_9ELb0ES3_jPlS8_PNS0_10empty_typeENS0_5tupleIJS8_S9_EEENSB_IJS8_SA_EEENS0_18inequality_wrapperIZN2at6native12_GLOBAL__N_124unique_dim_cuda_templateIlEESt5tupleIJNSF_6TensorESK_SK_EERKSK_lbbbEUlllE0_EEPmJS9_EEE10hipError_tPvRmT3_T4_T5_T6_T7_T9_mT8_P12ihipStream_tbDpT10_ENKUlT_T0_E_clISt17integral_constantIbLb1EES1A_EEDaS15_S16_EUlS15_E_NS1_11comp_targetILNS1_3genE3ELNS1_11target_archE908ELNS1_3gpuE7ELNS1_3repE0EEENS1_30default_config_static_selectorELNS0_4arch9wavefront6targetE1EEEvT1_,comdat
.Lfunc_end606:
	.size	_ZN7rocprim17ROCPRIM_400000_NS6detail17trampoline_kernelINS0_14default_configENS1_25partition_config_selectorILNS1_17partition_subalgoE9EllbEEZZNS1_14partition_implILS5_9ELb0ES3_jPlS8_PNS0_10empty_typeENS0_5tupleIJS8_S9_EEENSB_IJS8_SA_EEENS0_18inequality_wrapperIZN2at6native12_GLOBAL__N_124unique_dim_cuda_templateIlEESt5tupleIJNSF_6TensorESK_SK_EERKSK_lbbbEUlllE0_EEPmJS9_EEE10hipError_tPvRmT3_T4_T5_T6_T7_T9_mT8_P12ihipStream_tbDpT10_ENKUlT_T0_E_clISt17integral_constantIbLb1EES1A_EEDaS15_S16_EUlS15_E_NS1_11comp_targetILNS1_3genE3ELNS1_11target_archE908ELNS1_3gpuE7ELNS1_3repE0EEENS1_30default_config_static_selectorELNS0_4arch9wavefront6targetE1EEEvT1_, .Lfunc_end606-_ZN7rocprim17ROCPRIM_400000_NS6detail17trampoline_kernelINS0_14default_configENS1_25partition_config_selectorILNS1_17partition_subalgoE9EllbEEZZNS1_14partition_implILS5_9ELb0ES3_jPlS8_PNS0_10empty_typeENS0_5tupleIJS8_S9_EEENSB_IJS8_SA_EEENS0_18inequality_wrapperIZN2at6native12_GLOBAL__N_124unique_dim_cuda_templateIlEESt5tupleIJNSF_6TensorESK_SK_EERKSK_lbbbEUlllE0_EEPmJS9_EEE10hipError_tPvRmT3_T4_T5_T6_T7_T9_mT8_P12ihipStream_tbDpT10_ENKUlT_T0_E_clISt17integral_constantIbLb1EES1A_EEDaS15_S16_EUlS15_E_NS1_11comp_targetILNS1_3genE3ELNS1_11target_archE908ELNS1_3gpuE7ELNS1_3repE0EEENS1_30default_config_static_selectorELNS0_4arch9wavefront6targetE1EEEvT1_
                                        ; -- End function
	.section	.AMDGPU.csdata,"",@progbits
; Kernel info:
; codeLenInByte = 0
; NumSgprs: 4
; NumVgprs: 0
; NumAgprs: 0
; TotalNumVgprs: 0
; ScratchSize: 0
; MemoryBound: 0
; FloatMode: 240
; IeeeMode: 1
; LDSByteSize: 0 bytes/workgroup (compile time only)
; SGPRBlocks: 0
; VGPRBlocks: 0
; NumSGPRsForWavesPerEU: 4
; NumVGPRsForWavesPerEU: 1
; AccumOffset: 4
; Occupancy: 8
; WaveLimiterHint : 0
; COMPUTE_PGM_RSRC2:SCRATCH_EN: 0
; COMPUTE_PGM_RSRC2:USER_SGPR: 6
; COMPUTE_PGM_RSRC2:TRAP_HANDLER: 0
; COMPUTE_PGM_RSRC2:TGID_X_EN: 1
; COMPUTE_PGM_RSRC2:TGID_Y_EN: 0
; COMPUTE_PGM_RSRC2:TGID_Z_EN: 0
; COMPUTE_PGM_RSRC2:TIDIG_COMP_CNT: 0
; COMPUTE_PGM_RSRC3_GFX90A:ACCUM_OFFSET: 0
; COMPUTE_PGM_RSRC3_GFX90A:TG_SPLIT: 0
	.section	.text._ZN7rocprim17ROCPRIM_400000_NS6detail17trampoline_kernelINS0_14default_configENS1_25partition_config_selectorILNS1_17partition_subalgoE9EllbEEZZNS1_14partition_implILS5_9ELb0ES3_jPlS8_PNS0_10empty_typeENS0_5tupleIJS8_S9_EEENSB_IJS8_SA_EEENS0_18inequality_wrapperIZN2at6native12_GLOBAL__N_124unique_dim_cuda_templateIlEESt5tupleIJNSF_6TensorESK_SK_EERKSK_lbbbEUlllE0_EEPmJS9_EEE10hipError_tPvRmT3_T4_T5_T6_T7_T9_mT8_P12ihipStream_tbDpT10_ENKUlT_T0_E_clISt17integral_constantIbLb1EES1A_EEDaS15_S16_EUlS15_E_NS1_11comp_targetILNS1_3genE2ELNS1_11target_archE906ELNS1_3gpuE6ELNS1_3repE0EEENS1_30default_config_static_selectorELNS0_4arch9wavefront6targetE1EEEvT1_,"axG",@progbits,_ZN7rocprim17ROCPRIM_400000_NS6detail17trampoline_kernelINS0_14default_configENS1_25partition_config_selectorILNS1_17partition_subalgoE9EllbEEZZNS1_14partition_implILS5_9ELb0ES3_jPlS8_PNS0_10empty_typeENS0_5tupleIJS8_S9_EEENSB_IJS8_SA_EEENS0_18inequality_wrapperIZN2at6native12_GLOBAL__N_124unique_dim_cuda_templateIlEESt5tupleIJNSF_6TensorESK_SK_EERKSK_lbbbEUlllE0_EEPmJS9_EEE10hipError_tPvRmT3_T4_T5_T6_T7_T9_mT8_P12ihipStream_tbDpT10_ENKUlT_T0_E_clISt17integral_constantIbLb1EES1A_EEDaS15_S16_EUlS15_E_NS1_11comp_targetILNS1_3genE2ELNS1_11target_archE906ELNS1_3gpuE6ELNS1_3repE0EEENS1_30default_config_static_selectorELNS0_4arch9wavefront6targetE1EEEvT1_,comdat
	.globl	_ZN7rocprim17ROCPRIM_400000_NS6detail17trampoline_kernelINS0_14default_configENS1_25partition_config_selectorILNS1_17partition_subalgoE9EllbEEZZNS1_14partition_implILS5_9ELb0ES3_jPlS8_PNS0_10empty_typeENS0_5tupleIJS8_S9_EEENSB_IJS8_SA_EEENS0_18inequality_wrapperIZN2at6native12_GLOBAL__N_124unique_dim_cuda_templateIlEESt5tupleIJNSF_6TensorESK_SK_EERKSK_lbbbEUlllE0_EEPmJS9_EEE10hipError_tPvRmT3_T4_T5_T6_T7_T9_mT8_P12ihipStream_tbDpT10_ENKUlT_T0_E_clISt17integral_constantIbLb1EES1A_EEDaS15_S16_EUlS15_E_NS1_11comp_targetILNS1_3genE2ELNS1_11target_archE906ELNS1_3gpuE6ELNS1_3repE0EEENS1_30default_config_static_selectorELNS0_4arch9wavefront6targetE1EEEvT1_ ; -- Begin function _ZN7rocprim17ROCPRIM_400000_NS6detail17trampoline_kernelINS0_14default_configENS1_25partition_config_selectorILNS1_17partition_subalgoE9EllbEEZZNS1_14partition_implILS5_9ELb0ES3_jPlS8_PNS0_10empty_typeENS0_5tupleIJS8_S9_EEENSB_IJS8_SA_EEENS0_18inequality_wrapperIZN2at6native12_GLOBAL__N_124unique_dim_cuda_templateIlEESt5tupleIJNSF_6TensorESK_SK_EERKSK_lbbbEUlllE0_EEPmJS9_EEE10hipError_tPvRmT3_T4_T5_T6_T7_T9_mT8_P12ihipStream_tbDpT10_ENKUlT_T0_E_clISt17integral_constantIbLb1EES1A_EEDaS15_S16_EUlS15_E_NS1_11comp_targetILNS1_3genE2ELNS1_11target_archE906ELNS1_3gpuE6ELNS1_3repE0EEENS1_30default_config_static_selectorELNS0_4arch9wavefront6targetE1EEEvT1_
	.p2align	8
	.type	_ZN7rocprim17ROCPRIM_400000_NS6detail17trampoline_kernelINS0_14default_configENS1_25partition_config_selectorILNS1_17partition_subalgoE9EllbEEZZNS1_14partition_implILS5_9ELb0ES3_jPlS8_PNS0_10empty_typeENS0_5tupleIJS8_S9_EEENSB_IJS8_SA_EEENS0_18inequality_wrapperIZN2at6native12_GLOBAL__N_124unique_dim_cuda_templateIlEESt5tupleIJNSF_6TensorESK_SK_EERKSK_lbbbEUlllE0_EEPmJS9_EEE10hipError_tPvRmT3_T4_T5_T6_T7_T9_mT8_P12ihipStream_tbDpT10_ENKUlT_T0_E_clISt17integral_constantIbLb1EES1A_EEDaS15_S16_EUlS15_E_NS1_11comp_targetILNS1_3genE2ELNS1_11target_archE906ELNS1_3gpuE6ELNS1_3repE0EEENS1_30default_config_static_selectorELNS0_4arch9wavefront6targetE1EEEvT1_,@function
_ZN7rocprim17ROCPRIM_400000_NS6detail17trampoline_kernelINS0_14default_configENS1_25partition_config_selectorILNS1_17partition_subalgoE9EllbEEZZNS1_14partition_implILS5_9ELb0ES3_jPlS8_PNS0_10empty_typeENS0_5tupleIJS8_S9_EEENSB_IJS8_SA_EEENS0_18inequality_wrapperIZN2at6native12_GLOBAL__N_124unique_dim_cuda_templateIlEESt5tupleIJNSF_6TensorESK_SK_EERKSK_lbbbEUlllE0_EEPmJS9_EEE10hipError_tPvRmT3_T4_T5_T6_T7_T9_mT8_P12ihipStream_tbDpT10_ENKUlT_T0_E_clISt17integral_constantIbLb1EES1A_EEDaS15_S16_EUlS15_E_NS1_11comp_targetILNS1_3genE2ELNS1_11target_archE906ELNS1_3gpuE6ELNS1_3repE0EEENS1_30default_config_static_selectorELNS0_4arch9wavefront6targetE1EEEvT1_: ; @_ZN7rocprim17ROCPRIM_400000_NS6detail17trampoline_kernelINS0_14default_configENS1_25partition_config_selectorILNS1_17partition_subalgoE9EllbEEZZNS1_14partition_implILS5_9ELb0ES3_jPlS8_PNS0_10empty_typeENS0_5tupleIJS8_S9_EEENSB_IJS8_SA_EEENS0_18inequality_wrapperIZN2at6native12_GLOBAL__N_124unique_dim_cuda_templateIlEESt5tupleIJNSF_6TensorESK_SK_EERKSK_lbbbEUlllE0_EEPmJS9_EEE10hipError_tPvRmT3_T4_T5_T6_T7_T9_mT8_P12ihipStream_tbDpT10_ENKUlT_T0_E_clISt17integral_constantIbLb1EES1A_EEDaS15_S16_EUlS15_E_NS1_11comp_targetILNS1_3genE2ELNS1_11target_archE906ELNS1_3gpuE6ELNS1_3repE0EEENS1_30default_config_static_selectorELNS0_4arch9wavefront6targetE1EEEvT1_
; %bb.0:
	.section	.rodata,"a",@progbits
	.p2align	6, 0x0
	.amdhsa_kernel _ZN7rocprim17ROCPRIM_400000_NS6detail17trampoline_kernelINS0_14default_configENS1_25partition_config_selectorILNS1_17partition_subalgoE9EllbEEZZNS1_14partition_implILS5_9ELb0ES3_jPlS8_PNS0_10empty_typeENS0_5tupleIJS8_S9_EEENSB_IJS8_SA_EEENS0_18inequality_wrapperIZN2at6native12_GLOBAL__N_124unique_dim_cuda_templateIlEESt5tupleIJNSF_6TensorESK_SK_EERKSK_lbbbEUlllE0_EEPmJS9_EEE10hipError_tPvRmT3_T4_T5_T6_T7_T9_mT8_P12ihipStream_tbDpT10_ENKUlT_T0_E_clISt17integral_constantIbLb1EES1A_EEDaS15_S16_EUlS15_E_NS1_11comp_targetILNS1_3genE2ELNS1_11target_archE906ELNS1_3gpuE6ELNS1_3repE0EEENS1_30default_config_static_selectorELNS0_4arch9wavefront6targetE1EEEvT1_
		.amdhsa_group_segment_fixed_size 0
		.amdhsa_private_segment_fixed_size 0
		.amdhsa_kernarg_size 136
		.amdhsa_user_sgpr_count 6
		.amdhsa_user_sgpr_private_segment_buffer 1
		.amdhsa_user_sgpr_dispatch_ptr 0
		.amdhsa_user_sgpr_queue_ptr 0
		.amdhsa_user_sgpr_kernarg_segment_ptr 1
		.amdhsa_user_sgpr_dispatch_id 0
		.amdhsa_user_sgpr_flat_scratch_init 0
		.amdhsa_user_sgpr_kernarg_preload_length 0
		.amdhsa_user_sgpr_kernarg_preload_offset 0
		.amdhsa_user_sgpr_private_segment_size 0
		.amdhsa_uses_dynamic_stack 0
		.amdhsa_system_sgpr_private_segment_wavefront_offset 0
		.amdhsa_system_sgpr_workgroup_id_x 1
		.amdhsa_system_sgpr_workgroup_id_y 0
		.amdhsa_system_sgpr_workgroup_id_z 0
		.amdhsa_system_sgpr_workgroup_info 0
		.amdhsa_system_vgpr_workitem_id 0
		.amdhsa_next_free_vgpr 1
		.amdhsa_next_free_sgpr 0
		.amdhsa_accum_offset 4
		.amdhsa_reserve_vcc 0
		.amdhsa_reserve_flat_scratch 0
		.amdhsa_float_round_mode_32 0
		.amdhsa_float_round_mode_16_64 0
		.amdhsa_float_denorm_mode_32 3
		.amdhsa_float_denorm_mode_16_64 3
		.amdhsa_dx10_clamp 1
		.amdhsa_ieee_mode 1
		.amdhsa_fp16_overflow 0
		.amdhsa_tg_split 0
		.amdhsa_exception_fp_ieee_invalid_op 0
		.amdhsa_exception_fp_denorm_src 0
		.amdhsa_exception_fp_ieee_div_zero 0
		.amdhsa_exception_fp_ieee_overflow 0
		.amdhsa_exception_fp_ieee_underflow 0
		.amdhsa_exception_fp_ieee_inexact 0
		.amdhsa_exception_int_div_zero 0
	.end_amdhsa_kernel
	.section	.text._ZN7rocprim17ROCPRIM_400000_NS6detail17trampoline_kernelINS0_14default_configENS1_25partition_config_selectorILNS1_17partition_subalgoE9EllbEEZZNS1_14partition_implILS5_9ELb0ES3_jPlS8_PNS0_10empty_typeENS0_5tupleIJS8_S9_EEENSB_IJS8_SA_EEENS0_18inequality_wrapperIZN2at6native12_GLOBAL__N_124unique_dim_cuda_templateIlEESt5tupleIJNSF_6TensorESK_SK_EERKSK_lbbbEUlllE0_EEPmJS9_EEE10hipError_tPvRmT3_T4_T5_T6_T7_T9_mT8_P12ihipStream_tbDpT10_ENKUlT_T0_E_clISt17integral_constantIbLb1EES1A_EEDaS15_S16_EUlS15_E_NS1_11comp_targetILNS1_3genE2ELNS1_11target_archE906ELNS1_3gpuE6ELNS1_3repE0EEENS1_30default_config_static_selectorELNS0_4arch9wavefront6targetE1EEEvT1_,"axG",@progbits,_ZN7rocprim17ROCPRIM_400000_NS6detail17trampoline_kernelINS0_14default_configENS1_25partition_config_selectorILNS1_17partition_subalgoE9EllbEEZZNS1_14partition_implILS5_9ELb0ES3_jPlS8_PNS0_10empty_typeENS0_5tupleIJS8_S9_EEENSB_IJS8_SA_EEENS0_18inequality_wrapperIZN2at6native12_GLOBAL__N_124unique_dim_cuda_templateIlEESt5tupleIJNSF_6TensorESK_SK_EERKSK_lbbbEUlllE0_EEPmJS9_EEE10hipError_tPvRmT3_T4_T5_T6_T7_T9_mT8_P12ihipStream_tbDpT10_ENKUlT_T0_E_clISt17integral_constantIbLb1EES1A_EEDaS15_S16_EUlS15_E_NS1_11comp_targetILNS1_3genE2ELNS1_11target_archE906ELNS1_3gpuE6ELNS1_3repE0EEENS1_30default_config_static_selectorELNS0_4arch9wavefront6targetE1EEEvT1_,comdat
.Lfunc_end607:
	.size	_ZN7rocprim17ROCPRIM_400000_NS6detail17trampoline_kernelINS0_14default_configENS1_25partition_config_selectorILNS1_17partition_subalgoE9EllbEEZZNS1_14partition_implILS5_9ELb0ES3_jPlS8_PNS0_10empty_typeENS0_5tupleIJS8_S9_EEENSB_IJS8_SA_EEENS0_18inequality_wrapperIZN2at6native12_GLOBAL__N_124unique_dim_cuda_templateIlEESt5tupleIJNSF_6TensorESK_SK_EERKSK_lbbbEUlllE0_EEPmJS9_EEE10hipError_tPvRmT3_T4_T5_T6_T7_T9_mT8_P12ihipStream_tbDpT10_ENKUlT_T0_E_clISt17integral_constantIbLb1EES1A_EEDaS15_S16_EUlS15_E_NS1_11comp_targetILNS1_3genE2ELNS1_11target_archE906ELNS1_3gpuE6ELNS1_3repE0EEENS1_30default_config_static_selectorELNS0_4arch9wavefront6targetE1EEEvT1_, .Lfunc_end607-_ZN7rocprim17ROCPRIM_400000_NS6detail17trampoline_kernelINS0_14default_configENS1_25partition_config_selectorILNS1_17partition_subalgoE9EllbEEZZNS1_14partition_implILS5_9ELb0ES3_jPlS8_PNS0_10empty_typeENS0_5tupleIJS8_S9_EEENSB_IJS8_SA_EEENS0_18inequality_wrapperIZN2at6native12_GLOBAL__N_124unique_dim_cuda_templateIlEESt5tupleIJNSF_6TensorESK_SK_EERKSK_lbbbEUlllE0_EEPmJS9_EEE10hipError_tPvRmT3_T4_T5_T6_T7_T9_mT8_P12ihipStream_tbDpT10_ENKUlT_T0_E_clISt17integral_constantIbLb1EES1A_EEDaS15_S16_EUlS15_E_NS1_11comp_targetILNS1_3genE2ELNS1_11target_archE906ELNS1_3gpuE6ELNS1_3repE0EEENS1_30default_config_static_selectorELNS0_4arch9wavefront6targetE1EEEvT1_
                                        ; -- End function
	.section	.AMDGPU.csdata,"",@progbits
; Kernel info:
; codeLenInByte = 0
; NumSgprs: 4
; NumVgprs: 0
; NumAgprs: 0
; TotalNumVgprs: 0
; ScratchSize: 0
; MemoryBound: 0
; FloatMode: 240
; IeeeMode: 1
; LDSByteSize: 0 bytes/workgroup (compile time only)
; SGPRBlocks: 0
; VGPRBlocks: 0
; NumSGPRsForWavesPerEU: 4
; NumVGPRsForWavesPerEU: 1
; AccumOffset: 4
; Occupancy: 8
; WaveLimiterHint : 0
; COMPUTE_PGM_RSRC2:SCRATCH_EN: 0
; COMPUTE_PGM_RSRC2:USER_SGPR: 6
; COMPUTE_PGM_RSRC2:TRAP_HANDLER: 0
; COMPUTE_PGM_RSRC2:TGID_X_EN: 1
; COMPUTE_PGM_RSRC2:TGID_Y_EN: 0
; COMPUTE_PGM_RSRC2:TGID_Z_EN: 0
; COMPUTE_PGM_RSRC2:TIDIG_COMP_CNT: 0
; COMPUTE_PGM_RSRC3_GFX90A:ACCUM_OFFSET: 0
; COMPUTE_PGM_RSRC3_GFX90A:TG_SPLIT: 0
	.section	.text._ZN7rocprim17ROCPRIM_400000_NS6detail17trampoline_kernelINS0_14default_configENS1_25partition_config_selectorILNS1_17partition_subalgoE9EllbEEZZNS1_14partition_implILS5_9ELb0ES3_jPlS8_PNS0_10empty_typeENS0_5tupleIJS8_S9_EEENSB_IJS8_SA_EEENS0_18inequality_wrapperIZN2at6native12_GLOBAL__N_124unique_dim_cuda_templateIlEESt5tupleIJNSF_6TensorESK_SK_EERKSK_lbbbEUlllE0_EEPmJS9_EEE10hipError_tPvRmT3_T4_T5_T6_T7_T9_mT8_P12ihipStream_tbDpT10_ENKUlT_T0_E_clISt17integral_constantIbLb1EES1A_EEDaS15_S16_EUlS15_E_NS1_11comp_targetILNS1_3genE10ELNS1_11target_archE1200ELNS1_3gpuE4ELNS1_3repE0EEENS1_30default_config_static_selectorELNS0_4arch9wavefront6targetE1EEEvT1_,"axG",@progbits,_ZN7rocprim17ROCPRIM_400000_NS6detail17trampoline_kernelINS0_14default_configENS1_25partition_config_selectorILNS1_17partition_subalgoE9EllbEEZZNS1_14partition_implILS5_9ELb0ES3_jPlS8_PNS0_10empty_typeENS0_5tupleIJS8_S9_EEENSB_IJS8_SA_EEENS0_18inequality_wrapperIZN2at6native12_GLOBAL__N_124unique_dim_cuda_templateIlEESt5tupleIJNSF_6TensorESK_SK_EERKSK_lbbbEUlllE0_EEPmJS9_EEE10hipError_tPvRmT3_T4_T5_T6_T7_T9_mT8_P12ihipStream_tbDpT10_ENKUlT_T0_E_clISt17integral_constantIbLb1EES1A_EEDaS15_S16_EUlS15_E_NS1_11comp_targetILNS1_3genE10ELNS1_11target_archE1200ELNS1_3gpuE4ELNS1_3repE0EEENS1_30default_config_static_selectorELNS0_4arch9wavefront6targetE1EEEvT1_,comdat
	.globl	_ZN7rocprim17ROCPRIM_400000_NS6detail17trampoline_kernelINS0_14default_configENS1_25partition_config_selectorILNS1_17partition_subalgoE9EllbEEZZNS1_14partition_implILS5_9ELb0ES3_jPlS8_PNS0_10empty_typeENS0_5tupleIJS8_S9_EEENSB_IJS8_SA_EEENS0_18inequality_wrapperIZN2at6native12_GLOBAL__N_124unique_dim_cuda_templateIlEESt5tupleIJNSF_6TensorESK_SK_EERKSK_lbbbEUlllE0_EEPmJS9_EEE10hipError_tPvRmT3_T4_T5_T6_T7_T9_mT8_P12ihipStream_tbDpT10_ENKUlT_T0_E_clISt17integral_constantIbLb1EES1A_EEDaS15_S16_EUlS15_E_NS1_11comp_targetILNS1_3genE10ELNS1_11target_archE1200ELNS1_3gpuE4ELNS1_3repE0EEENS1_30default_config_static_selectorELNS0_4arch9wavefront6targetE1EEEvT1_ ; -- Begin function _ZN7rocprim17ROCPRIM_400000_NS6detail17trampoline_kernelINS0_14default_configENS1_25partition_config_selectorILNS1_17partition_subalgoE9EllbEEZZNS1_14partition_implILS5_9ELb0ES3_jPlS8_PNS0_10empty_typeENS0_5tupleIJS8_S9_EEENSB_IJS8_SA_EEENS0_18inequality_wrapperIZN2at6native12_GLOBAL__N_124unique_dim_cuda_templateIlEESt5tupleIJNSF_6TensorESK_SK_EERKSK_lbbbEUlllE0_EEPmJS9_EEE10hipError_tPvRmT3_T4_T5_T6_T7_T9_mT8_P12ihipStream_tbDpT10_ENKUlT_T0_E_clISt17integral_constantIbLb1EES1A_EEDaS15_S16_EUlS15_E_NS1_11comp_targetILNS1_3genE10ELNS1_11target_archE1200ELNS1_3gpuE4ELNS1_3repE0EEENS1_30default_config_static_selectorELNS0_4arch9wavefront6targetE1EEEvT1_
	.p2align	8
	.type	_ZN7rocprim17ROCPRIM_400000_NS6detail17trampoline_kernelINS0_14default_configENS1_25partition_config_selectorILNS1_17partition_subalgoE9EllbEEZZNS1_14partition_implILS5_9ELb0ES3_jPlS8_PNS0_10empty_typeENS0_5tupleIJS8_S9_EEENSB_IJS8_SA_EEENS0_18inequality_wrapperIZN2at6native12_GLOBAL__N_124unique_dim_cuda_templateIlEESt5tupleIJNSF_6TensorESK_SK_EERKSK_lbbbEUlllE0_EEPmJS9_EEE10hipError_tPvRmT3_T4_T5_T6_T7_T9_mT8_P12ihipStream_tbDpT10_ENKUlT_T0_E_clISt17integral_constantIbLb1EES1A_EEDaS15_S16_EUlS15_E_NS1_11comp_targetILNS1_3genE10ELNS1_11target_archE1200ELNS1_3gpuE4ELNS1_3repE0EEENS1_30default_config_static_selectorELNS0_4arch9wavefront6targetE1EEEvT1_,@function
_ZN7rocprim17ROCPRIM_400000_NS6detail17trampoline_kernelINS0_14default_configENS1_25partition_config_selectorILNS1_17partition_subalgoE9EllbEEZZNS1_14partition_implILS5_9ELb0ES3_jPlS8_PNS0_10empty_typeENS0_5tupleIJS8_S9_EEENSB_IJS8_SA_EEENS0_18inequality_wrapperIZN2at6native12_GLOBAL__N_124unique_dim_cuda_templateIlEESt5tupleIJNSF_6TensorESK_SK_EERKSK_lbbbEUlllE0_EEPmJS9_EEE10hipError_tPvRmT3_T4_T5_T6_T7_T9_mT8_P12ihipStream_tbDpT10_ENKUlT_T0_E_clISt17integral_constantIbLb1EES1A_EEDaS15_S16_EUlS15_E_NS1_11comp_targetILNS1_3genE10ELNS1_11target_archE1200ELNS1_3gpuE4ELNS1_3repE0EEENS1_30default_config_static_selectorELNS0_4arch9wavefront6targetE1EEEvT1_: ; @_ZN7rocprim17ROCPRIM_400000_NS6detail17trampoline_kernelINS0_14default_configENS1_25partition_config_selectorILNS1_17partition_subalgoE9EllbEEZZNS1_14partition_implILS5_9ELb0ES3_jPlS8_PNS0_10empty_typeENS0_5tupleIJS8_S9_EEENSB_IJS8_SA_EEENS0_18inequality_wrapperIZN2at6native12_GLOBAL__N_124unique_dim_cuda_templateIlEESt5tupleIJNSF_6TensorESK_SK_EERKSK_lbbbEUlllE0_EEPmJS9_EEE10hipError_tPvRmT3_T4_T5_T6_T7_T9_mT8_P12ihipStream_tbDpT10_ENKUlT_T0_E_clISt17integral_constantIbLb1EES1A_EEDaS15_S16_EUlS15_E_NS1_11comp_targetILNS1_3genE10ELNS1_11target_archE1200ELNS1_3gpuE4ELNS1_3repE0EEENS1_30default_config_static_selectorELNS0_4arch9wavefront6targetE1EEEvT1_
; %bb.0:
	.section	.rodata,"a",@progbits
	.p2align	6, 0x0
	.amdhsa_kernel _ZN7rocprim17ROCPRIM_400000_NS6detail17trampoline_kernelINS0_14default_configENS1_25partition_config_selectorILNS1_17partition_subalgoE9EllbEEZZNS1_14partition_implILS5_9ELb0ES3_jPlS8_PNS0_10empty_typeENS0_5tupleIJS8_S9_EEENSB_IJS8_SA_EEENS0_18inequality_wrapperIZN2at6native12_GLOBAL__N_124unique_dim_cuda_templateIlEESt5tupleIJNSF_6TensorESK_SK_EERKSK_lbbbEUlllE0_EEPmJS9_EEE10hipError_tPvRmT3_T4_T5_T6_T7_T9_mT8_P12ihipStream_tbDpT10_ENKUlT_T0_E_clISt17integral_constantIbLb1EES1A_EEDaS15_S16_EUlS15_E_NS1_11comp_targetILNS1_3genE10ELNS1_11target_archE1200ELNS1_3gpuE4ELNS1_3repE0EEENS1_30default_config_static_selectorELNS0_4arch9wavefront6targetE1EEEvT1_
		.amdhsa_group_segment_fixed_size 0
		.amdhsa_private_segment_fixed_size 0
		.amdhsa_kernarg_size 136
		.amdhsa_user_sgpr_count 6
		.amdhsa_user_sgpr_private_segment_buffer 1
		.amdhsa_user_sgpr_dispatch_ptr 0
		.amdhsa_user_sgpr_queue_ptr 0
		.amdhsa_user_sgpr_kernarg_segment_ptr 1
		.amdhsa_user_sgpr_dispatch_id 0
		.amdhsa_user_sgpr_flat_scratch_init 0
		.amdhsa_user_sgpr_kernarg_preload_length 0
		.amdhsa_user_sgpr_kernarg_preload_offset 0
		.amdhsa_user_sgpr_private_segment_size 0
		.amdhsa_uses_dynamic_stack 0
		.amdhsa_system_sgpr_private_segment_wavefront_offset 0
		.amdhsa_system_sgpr_workgroup_id_x 1
		.amdhsa_system_sgpr_workgroup_id_y 0
		.amdhsa_system_sgpr_workgroup_id_z 0
		.amdhsa_system_sgpr_workgroup_info 0
		.amdhsa_system_vgpr_workitem_id 0
		.amdhsa_next_free_vgpr 1
		.amdhsa_next_free_sgpr 0
		.amdhsa_accum_offset 4
		.amdhsa_reserve_vcc 0
		.amdhsa_reserve_flat_scratch 0
		.amdhsa_float_round_mode_32 0
		.amdhsa_float_round_mode_16_64 0
		.amdhsa_float_denorm_mode_32 3
		.amdhsa_float_denorm_mode_16_64 3
		.amdhsa_dx10_clamp 1
		.amdhsa_ieee_mode 1
		.amdhsa_fp16_overflow 0
		.amdhsa_tg_split 0
		.amdhsa_exception_fp_ieee_invalid_op 0
		.amdhsa_exception_fp_denorm_src 0
		.amdhsa_exception_fp_ieee_div_zero 0
		.amdhsa_exception_fp_ieee_overflow 0
		.amdhsa_exception_fp_ieee_underflow 0
		.amdhsa_exception_fp_ieee_inexact 0
		.amdhsa_exception_int_div_zero 0
	.end_amdhsa_kernel
	.section	.text._ZN7rocprim17ROCPRIM_400000_NS6detail17trampoline_kernelINS0_14default_configENS1_25partition_config_selectorILNS1_17partition_subalgoE9EllbEEZZNS1_14partition_implILS5_9ELb0ES3_jPlS8_PNS0_10empty_typeENS0_5tupleIJS8_S9_EEENSB_IJS8_SA_EEENS0_18inequality_wrapperIZN2at6native12_GLOBAL__N_124unique_dim_cuda_templateIlEESt5tupleIJNSF_6TensorESK_SK_EERKSK_lbbbEUlllE0_EEPmJS9_EEE10hipError_tPvRmT3_T4_T5_T6_T7_T9_mT8_P12ihipStream_tbDpT10_ENKUlT_T0_E_clISt17integral_constantIbLb1EES1A_EEDaS15_S16_EUlS15_E_NS1_11comp_targetILNS1_3genE10ELNS1_11target_archE1200ELNS1_3gpuE4ELNS1_3repE0EEENS1_30default_config_static_selectorELNS0_4arch9wavefront6targetE1EEEvT1_,"axG",@progbits,_ZN7rocprim17ROCPRIM_400000_NS6detail17trampoline_kernelINS0_14default_configENS1_25partition_config_selectorILNS1_17partition_subalgoE9EllbEEZZNS1_14partition_implILS5_9ELb0ES3_jPlS8_PNS0_10empty_typeENS0_5tupleIJS8_S9_EEENSB_IJS8_SA_EEENS0_18inequality_wrapperIZN2at6native12_GLOBAL__N_124unique_dim_cuda_templateIlEESt5tupleIJNSF_6TensorESK_SK_EERKSK_lbbbEUlllE0_EEPmJS9_EEE10hipError_tPvRmT3_T4_T5_T6_T7_T9_mT8_P12ihipStream_tbDpT10_ENKUlT_T0_E_clISt17integral_constantIbLb1EES1A_EEDaS15_S16_EUlS15_E_NS1_11comp_targetILNS1_3genE10ELNS1_11target_archE1200ELNS1_3gpuE4ELNS1_3repE0EEENS1_30default_config_static_selectorELNS0_4arch9wavefront6targetE1EEEvT1_,comdat
.Lfunc_end608:
	.size	_ZN7rocprim17ROCPRIM_400000_NS6detail17trampoline_kernelINS0_14default_configENS1_25partition_config_selectorILNS1_17partition_subalgoE9EllbEEZZNS1_14partition_implILS5_9ELb0ES3_jPlS8_PNS0_10empty_typeENS0_5tupleIJS8_S9_EEENSB_IJS8_SA_EEENS0_18inequality_wrapperIZN2at6native12_GLOBAL__N_124unique_dim_cuda_templateIlEESt5tupleIJNSF_6TensorESK_SK_EERKSK_lbbbEUlllE0_EEPmJS9_EEE10hipError_tPvRmT3_T4_T5_T6_T7_T9_mT8_P12ihipStream_tbDpT10_ENKUlT_T0_E_clISt17integral_constantIbLb1EES1A_EEDaS15_S16_EUlS15_E_NS1_11comp_targetILNS1_3genE10ELNS1_11target_archE1200ELNS1_3gpuE4ELNS1_3repE0EEENS1_30default_config_static_selectorELNS0_4arch9wavefront6targetE1EEEvT1_, .Lfunc_end608-_ZN7rocprim17ROCPRIM_400000_NS6detail17trampoline_kernelINS0_14default_configENS1_25partition_config_selectorILNS1_17partition_subalgoE9EllbEEZZNS1_14partition_implILS5_9ELb0ES3_jPlS8_PNS0_10empty_typeENS0_5tupleIJS8_S9_EEENSB_IJS8_SA_EEENS0_18inequality_wrapperIZN2at6native12_GLOBAL__N_124unique_dim_cuda_templateIlEESt5tupleIJNSF_6TensorESK_SK_EERKSK_lbbbEUlllE0_EEPmJS9_EEE10hipError_tPvRmT3_T4_T5_T6_T7_T9_mT8_P12ihipStream_tbDpT10_ENKUlT_T0_E_clISt17integral_constantIbLb1EES1A_EEDaS15_S16_EUlS15_E_NS1_11comp_targetILNS1_3genE10ELNS1_11target_archE1200ELNS1_3gpuE4ELNS1_3repE0EEENS1_30default_config_static_selectorELNS0_4arch9wavefront6targetE1EEEvT1_
                                        ; -- End function
	.section	.AMDGPU.csdata,"",@progbits
; Kernel info:
; codeLenInByte = 0
; NumSgprs: 4
; NumVgprs: 0
; NumAgprs: 0
; TotalNumVgprs: 0
; ScratchSize: 0
; MemoryBound: 0
; FloatMode: 240
; IeeeMode: 1
; LDSByteSize: 0 bytes/workgroup (compile time only)
; SGPRBlocks: 0
; VGPRBlocks: 0
; NumSGPRsForWavesPerEU: 4
; NumVGPRsForWavesPerEU: 1
; AccumOffset: 4
; Occupancy: 8
; WaveLimiterHint : 0
; COMPUTE_PGM_RSRC2:SCRATCH_EN: 0
; COMPUTE_PGM_RSRC2:USER_SGPR: 6
; COMPUTE_PGM_RSRC2:TRAP_HANDLER: 0
; COMPUTE_PGM_RSRC2:TGID_X_EN: 1
; COMPUTE_PGM_RSRC2:TGID_Y_EN: 0
; COMPUTE_PGM_RSRC2:TGID_Z_EN: 0
; COMPUTE_PGM_RSRC2:TIDIG_COMP_CNT: 0
; COMPUTE_PGM_RSRC3_GFX90A:ACCUM_OFFSET: 0
; COMPUTE_PGM_RSRC3_GFX90A:TG_SPLIT: 0
	.section	.text._ZN7rocprim17ROCPRIM_400000_NS6detail17trampoline_kernelINS0_14default_configENS1_25partition_config_selectorILNS1_17partition_subalgoE9EllbEEZZNS1_14partition_implILS5_9ELb0ES3_jPlS8_PNS0_10empty_typeENS0_5tupleIJS8_S9_EEENSB_IJS8_SA_EEENS0_18inequality_wrapperIZN2at6native12_GLOBAL__N_124unique_dim_cuda_templateIlEESt5tupleIJNSF_6TensorESK_SK_EERKSK_lbbbEUlllE0_EEPmJS9_EEE10hipError_tPvRmT3_T4_T5_T6_T7_T9_mT8_P12ihipStream_tbDpT10_ENKUlT_T0_E_clISt17integral_constantIbLb1EES1A_EEDaS15_S16_EUlS15_E_NS1_11comp_targetILNS1_3genE9ELNS1_11target_archE1100ELNS1_3gpuE3ELNS1_3repE0EEENS1_30default_config_static_selectorELNS0_4arch9wavefront6targetE1EEEvT1_,"axG",@progbits,_ZN7rocprim17ROCPRIM_400000_NS6detail17trampoline_kernelINS0_14default_configENS1_25partition_config_selectorILNS1_17partition_subalgoE9EllbEEZZNS1_14partition_implILS5_9ELb0ES3_jPlS8_PNS0_10empty_typeENS0_5tupleIJS8_S9_EEENSB_IJS8_SA_EEENS0_18inequality_wrapperIZN2at6native12_GLOBAL__N_124unique_dim_cuda_templateIlEESt5tupleIJNSF_6TensorESK_SK_EERKSK_lbbbEUlllE0_EEPmJS9_EEE10hipError_tPvRmT3_T4_T5_T6_T7_T9_mT8_P12ihipStream_tbDpT10_ENKUlT_T0_E_clISt17integral_constantIbLb1EES1A_EEDaS15_S16_EUlS15_E_NS1_11comp_targetILNS1_3genE9ELNS1_11target_archE1100ELNS1_3gpuE3ELNS1_3repE0EEENS1_30default_config_static_selectorELNS0_4arch9wavefront6targetE1EEEvT1_,comdat
	.globl	_ZN7rocprim17ROCPRIM_400000_NS6detail17trampoline_kernelINS0_14default_configENS1_25partition_config_selectorILNS1_17partition_subalgoE9EllbEEZZNS1_14partition_implILS5_9ELb0ES3_jPlS8_PNS0_10empty_typeENS0_5tupleIJS8_S9_EEENSB_IJS8_SA_EEENS0_18inequality_wrapperIZN2at6native12_GLOBAL__N_124unique_dim_cuda_templateIlEESt5tupleIJNSF_6TensorESK_SK_EERKSK_lbbbEUlllE0_EEPmJS9_EEE10hipError_tPvRmT3_T4_T5_T6_T7_T9_mT8_P12ihipStream_tbDpT10_ENKUlT_T0_E_clISt17integral_constantIbLb1EES1A_EEDaS15_S16_EUlS15_E_NS1_11comp_targetILNS1_3genE9ELNS1_11target_archE1100ELNS1_3gpuE3ELNS1_3repE0EEENS1_30default_config_static_selectorELNS0_4arch9wavefront6targetE1EEEvT1_ ; -- Begin function _ZN7rocprim17ROCPRIM_400000_NS6detail17trampoline_kernelINS0_14default_configENS1_25partition_config_selectorILNS1_17partition_subalgoE9EllbEEZZNS1_14partition_implILS5_9ELb0ES3_jPlS8_PNS0_10empty_typeENS0_5tupleIJS8_S9_EEENSB_IJS8_SA_EEENS0_18inequality_wrapperIZN2at6native12_GLOBAL__N_124unique_dim_cuda_templateIlEESt5tupleIJNSF_6TensorESK_SK_EERKSK_lbbbEUlllE0_EEPmJS9_EEE10hipError_tPvRmT3_T4_T5_T6_T7_T9_mT8_P12ihipStream_tbDpT10_ENKUlT_T0_E_clISt17integral_constantIbLb1EES1A_EEDaS15_S16_EUlS15_E_NS1_11comp_targetILNS1_3genE9ELNS1_11target_archE1100ELNS1_3gpuE3ELNS1_3repE0EEENS1_30default_config_static_selectorELNS0_4arch9wavefront6targetE1EEEvT1_
	.p2align	8
	.type	_ZN7rocprim17ROCPRIM_400000_NS6detail17trampoline_kernelINS0_14default_configENS1_25partition_config_selectorILNS1_17partition_subalgoE9EllbEEZZNS1_14partition_implILS5_9ELb0ES3_jPlS8_PNS0_10empty_typeENS0_5tupleIJS8_S9_EEENSB_IJS8_SA_EEENS0_18inequality_wrapperIZN2at6native12_GLOBAL__N_124unique_dim_cuda_templateIlEESt5tupleIJNSF_6TensorESK_SK_EERKSK_lbbbEUlllE0_EEPmJS9_EEE10hipError_tPvRmT3_T4_T5_T6_T7_T9_mT8_P12ihipStream_tbDpT10_ENKUlT_T0_E_clISt17integral_constantIbLb1EES1A_EEDaS15_S16_EUlS15_E_NS1_11comp_targetILNS1_3genE9ELNS1_11target_archE1100ELNS1_3gpuE3ELNS1_3repE0EEENS1_30default_config_static_selectorELNS0_4arch9wavefront6targetE1EEEvT1_,@function
_ZN7rocprim17ROCPRIM_400000_NS6detail17trampoline_kernelINS0_14default_configENS1_25partition_config_selectorILNS1_17partition_subalgoE9EllbEEZZNS1_14partition_implILS5_9ELb0ES3_jPlS8_PNS0_10empty_typeENS0_5tupleIJS8_S9_EEENSB_IJS8_SA_EEENS0_18inequality_wrapperIZN2at6native12_GLOBAL__N_124unique_dim_cuda_templateIlEESt5tupleIJNSF_6TensorESK_SK_EERKSK_lbbbEUlllE0_EEPmJS9_EEE10hipError_tPvRmT3_T4_T5_T6_T7_T9_mT8_P12ihipStream_tbDpT10_ENKUlT_T0_E_clISt17integral_constantIbLb1EES1A_EEDaS15_S16_EUlS15_E_NS1_11comp_targetILNS1_3genE9ELNS1_11target_archE1100ELNS1_3gpuE3ELNS1_3repE0EEENS1_30default_config_static_selectorELNS0_4arch9wavefront6targetE1EEEvT1_: ; @_ZN7rocprim17ROCPRIM_400000_NS6detail17trampoline_kernelINS0_14default_configENS1_25partition_config_selectorILNS1_17partition_subalgoE9EllbEEZZNS1_14partition_implILS5_9ELb0ES3_jPlS8_PNS0_10empty_typeENS0_5tupleIJS8_S9_EEENSB_IJS8_SA_EEENS0_18inequality_wrapperIZN2at6native12_GLOBAL__N_124unique_dim_cuda_templateIlEESt5tupleIJNSF_6TensorESK_SK_EERKSK_lbbbEUlllE0_EEPmJS9_EEE10hipError_tPvRmT3_T4_T5_T6_T7_T9_mT8_P12ihipStream_tbDpT10_ENKUlT_T0_E_clISt17integral_constantIbLb1EES1A_EEDaS15_S16_EUlS15_E_NS1_11comp_targetILNS1_3genE9ELNS1_11target_archE1100ELNS1_3gpuE3ELNS1_3repE0EEENS1_30default_config_static_selectorELNS0_4arch9wavefront6targetE1EEEvT1_
; %bb.0:
	.section	.rodata,"a",@progbits
	.p2align	6, 0x0
	.amdhsa_kernel _ZN7rocprim17ROCPRIM_400000_NS6detail17trampoline_kernelINS0_14default_configENS1_25partition_config_selectorILNS1_17partition_subalgoE9EllbEEZZNS1_14partition_implILS5_9ELb0ES3_jPlS8_PNS0_10empty_typeENS0_5tupleIJS8_S9_EEENSB_IJS8_SA_EEENS0_18inequality_wrapperIZN2at6native12_GLOBAL__N_124unique_dim_cuda_templateIlEESt5tupleIJNSF_6TensorESK_SK_EERKSK_lbbbEUlllE0_EEPmJS9_EEE10hipError_tPvRmT3_T4_T5_T6_T7_T9_mT8_P12ihipStream_tbDpT10_ENKUlT_T0_E_clISt17integral_constantIbLb1EES1A_EEDaS15_S16_EUlS15_E_NS1_11comp_targetILNS1_3genE9ELNS1_11target_archE1100ELNS1_3gpuE3ELNS1_3repE0EEENS1_30default_config_static_selectorELNS0_4arch9wavefront6targetE1EEEvT1_
		.amdhsa_group_segment_fixed_size 0
		.amdhsa_private_segment_fixed_size 0
		.amdhsa_kernarg_size 136
		.amdhsa_user_sgpr_count 6
		.amdhsa_user_sgpr_private_segment_buffer 1
		.amdhsa_user_sgpr_dispatch_ptr 0
		.amdhsa_user_sgpr_queue_ptr 0
		.amdhsa_user_sgpr_kernarg_segment_ptr 1
		.amdhsa_user_sgpr_dispatch_id 0
		.amdhsa_user_sgpr_flat_scratch_init 0
		.amdhsa_user_sgpr_kernarg_preload_length 0
		.amdhsa_user_sgpr_kernarg_preload_offset 0
		.amdhsa_user_sgpr_private_segment_size 0
		.amdhsa_uses_dynamic_stack 0
		.amdhsa_system_sgpr_private_segment_wavefront_offset 0
		.amdhsa_system_sgpr_workgroup_id_x 1
		.amdhsa_system_sgpr_workgroup_id_y 0
		.amdhsa_system_sgpr_workgroup_id_z 0
		.amdhsa_system_sgpr_workgroup_info 0
		.amdhsa_system_vgpr_workitem_id 0
		.amdhsa_next_free_vgpr 1
		.amdhsa_next_free_sgpr 0
		.amdhsa_accum_offset 4
		.amdhsa_reserve_vcc 0
		.amdhsa_reserve_flat_scratch 0
		.amdhsa_float_round_mode_32 0
		.amdhsa_float_round_mode_16_64 0
		.amdhsa_float_denorm_mode_32 3
		.amdhsa_float_denorm_mode_16_64 3
		.amdhsa_dx10_clamp 1
		.amdhsa_ieee_mode 1
		.amdhsa_fp16_overflow 0
		.amdhsa_tg_split 0
		.amdhsa_exception_fp_ieee_invalid_op 0
		.amdhsa_exception_fp_denorm_src 0
		.amdhsa_exception_fp_ieee_div_zero 0
		.amdhsa_exception_fp_ieee_overflow 0
		.amdhsa_exception_fp_ieee_underflow 0
		.amdhsa_exception_fp_ieee_inexact 0
		.amdhsa_exception_int_div_zero 0
	.end_amdhsa_kernel
	.section	.text._ZN7rocprim17ROCPRIM_400000_NS6detail17trampoline_kernelINS0_14default_configENS1_25partition_config_selectorILNS1_17partition_subalgoE9EllbEEZZNS1_14partition_implILS5_9ELb0ES3_jPlS8_PNS0_10empty_typeENS0_5tupleIJS8_S9_EEENSB_IJS8_SA_EEENS0_18inequality_wrapperIZN2at6native12_GLOBAL__N_124unique_dim_cuda_templateIlEESt5tupleIJNSF_6TensorESK_SK_EERKSK_lbbbEUlllE0_EEPmJS9_EEE10hipError_tPvRmT3_T4_T5_T6_T7_T9_mT8_P12ihipStream_tbDpT10_ENKUlT_T0_E_clISt17integral_constantIbLb1EES1A_EEDaS15_S16_EUlS15_E_NS1_11comp_targetILNS1_3genE9ELNS1_11target_archE1100ELNS1_3gpuE3ELNS1_3repE0EEENS1_30default_config_static_selectorELNS0_4arch9wavefront6targetE1EEEvT1_,"axG",@progbits,_ZN7rocprim17ROCPRIM_400000_NS6detail17trampoline_kernelINS0_14default_configENS1_25partition_config_selectorILNS1_17partition_subalgoE9EllbEEZZNS1_14partition_implILS5_9ELb0ES3_jPlS8_PNS0_10empty_typeENS0_5tupleIJS8_S9_EEENSB_IJS8_SA_EEENS0_18inequality_wrapperIZN2at6native12_GLOBAL__N_124unique_dim_cuda_templateIlEESt5tupleIJNSF_6TensorESK_SK_EERKSK_lbbbEUlllE0_EEPmJS9_EEE10hipError_tPvRmT3_T4_T5_T6_T7_T9_mT8_P12ihipStream_tbDpT10_ENKUlT_T0_E_clISt17integral_constantIbLb1EES1A_EEDaS15_S16_EUlS15_E_NS1_11comp_targetILNS1_3genE9ELNS1_11target_archE1100ELNS1_3gpuE3ELNS1_3repE0EEENS1_30default_config_static_selectorELNS0_4arch9wavefront6targetE1EEEvT1_,comdat
.Lfunc_end609:
	.size	_ZN7rocprim17ROCPRIM_400000_NS6detail17trampoline_kernelINS0_14default_configENS1_25partition_config_selectorILNS1_17partition_subalgoE9EllbEEZZNS1_14partition_implILS5_9ELb0ES3_jPlS8_PNS0_10empty_typeENS0_5tupleIJS8_S9_EEENSB_IJS8_SA_EEENS0_18inequality_wrapperIZN2at6native12_GLOBAL__N_124unique_dim_cuda_templateIlEESt5tupleIJNSF_6TensorESK_SK_EERKSK_lbbbEUlllE0_EEPmJS9_EEE10hipError_tPvRmT3_T4_T5_T6_T7_T9_mT8_P12ihipStream_tbDpT10_ENKUlT_T0_E_clISt17integral_constantIbLb1EES1A_EEDaS15_S16_EUlS15_E_NS1_11comp_targetILNS1_3genE9ELNS1_11target_archE1100ELNS1_3gpuE3ELNS1_3repE0EEENS1_30default_config_static_selectorELNS0_4arch9wavefront6targetE1EEEvT1_, .Lfunc_end609-_ZN7rocprim17ROCPRIM_400000_NS6detail17trampoline_kernelINS0_14default_configENS1_25partition_config_selectorILNS1_17partition_subalgoE9EllbEEZZNS1_14partition_implILS5_9ELb0ES3_jPlS8_PNS0_10empty_typeENS0_5tupleIJS8_S9_EEENSB_IJS8_SA_EEENS0_18inequality_wrapperIZN2at6native12_GLOBAL__N_124unique_dim_cuda_templateIlEESt5tupleIJNSF_6TensorESK_SK_EERKSK_lbbbEUlllE0_EEPmJS9_EEE10hipError_tPvRmT3_T4_T5_T6_T7_T9_mT8_P12ihipStream_tbDpT10_ENKUlT_T0_E_clISt17integral_constantIbLb1EES1A_EEDaS15_S16_EUlS15_E_NS1_11comp_targetILNS1_3genE9ELNS1_11target_archE1100ELNS1_3gpuE3ELNS1_3repE0EEENS1_30default_config_static_selectorELNS0_4arch9wavefront6targetE1EEEvT1_
                                        ; -- End function
	.section	.AMDGPU.csdata,"",@progbits
; Kernel info:
; codeLenInByte = 0
; NumSgprs: 4
; NumVgprs: 0
; NumAgprs: 0
; TotalNumVgprs: 0
; ScratchSize: 0
; MemoryBound: 0
; FloatMode: 240
; IeeeMode: 1
; LDSByteSize: 0 bytes/workgroup (compile time only)
; SGPRBlocks: 0
; VGPRBlocks: 0
; NumSGPRsForWavesPerEU: 4
; NumVGPRsForWavesPerEU: 1
; AccumOffset: 4
; Occupancy: 8
; WaveLimiterHint : 0
; COMPUTE_PGM_RSRC2:SCRATCH_EN: 0
; COMPUTE_PGM_RSRC2:USER_SGPR: 6
; COMPUTE_PGM_RSRC2:TRAP_HANDLER: 0
; COMPUTE_PGM_RSRC2:TGID_X_EN: 1
; COMPUTE_PGM_RSRC2:TGID_Y_EN: 0
; COMPUTE_PGM_RSRC2:TGID_Z_EN: 0
; COMPUTE_PGM_RSRC2:TIDIG_COMP_CNT: 0
; COMPUTE_PGM_RSRC3_GFX90A:ACCUM_OFFSET: 0
; COMPUTE_PGM_RSRC3_GFX90A:TG_SPLIT: 0
	.section	.text._ZN7rocprim17ROCPRIM_400000_NS6detail17trampoline_kernelINS0_14default_configENS1_25partition_config_selectorILNS1_17partition_subalgoE9EllbEEZZNS1_14partition_implILS5_9ELb0ES3_jPlS8_PNS0_10empty_typeENS0_5tupleIJS8_S9_EEENSB_IJS8_SA_EEENS0_18inequality_wrapperIZN2at6native12_GLOBAL__N_124unique_dim_cuda_templateIlEESt5tupleIJNSF_6TensorESK_SK_EERKSK_lbbbEUlllE0_EEPmJS9_EEE10hipError_tPvRmT3_T4_T5_T6_T7_T9_mT8_P12ihipStream_tbDpT10_ENKUlT_T0_E_clISt17integral_constantIbLb1EES1A_EEDaS15_S16_EUlS15_E_NS1_11comp_targetILNS1_3genE8ELNS1_11target_archE1030ELNS1_3gpuE2ELNS1_3repE0EEENS1_30default_config_static_selectorELNS0_4arch9wavefront6targetE1EEEvT1_,"axG",@progbits,_ZN7rocprim17ROCPRIM_400000_NS6detail17trampoline_kernelINS0_14default_configENS1_25partition_config_selectorILNS1_17partition_subalgoE9EllbEEZZNS1_14partition_implILS5_9ELb0ES3_jPlS8_PNS0_10empty_typeENS0_5tupleIJS8_S9_EEENSB_IJS8_SA_EEENS0_18inequality_wrapperIZN2at6native12_GLOBAL__N_124unique_dim_cuda_templateIlEESt5tupleIJNSF_6TensorESK_SK_EERKSK_lbbbEUlllE0_EEPmJS9_EEE10hipError_tPvRmT3_T4_T5_T6_T7_T9_mT8_P12ihipStream_tbDpT10_ENKUlT_T0_E_clISt17integral_constantIbLb1EES1A_EEDaS15_S16_EUlS15_E_NS1_11comp_targetILNS1_3genE8ELNS1_11target_archE1030ELNS1_3gpuE2ELNS1_3repE0EEENS1_30default_config_static_selectorELNS0_4arch9wavefront6targetE1EEEvT1_,comdat
	.globl	_ZN7rocprim17ROCPRIM_400000_NS6detail17trampoline_kernelINS0_14default_configENS1_25partition_config_selectorILNS1_17partition_subalgoE9EllbEEZZNS1_14partition_implILS5_9ELb0ES3_jPlS8_PNS0_10empty_typeENS0_5tupleIJS8_S9_EEENSB_IJS8_SA_EEENS0_18inequality_wrapperIZN2at6native12_GLOBAL__N_124unique_dim_cuda_templateIlEESt5tupleIJNSF_6TensorESK_SK_EERKSK_lbbbEUlllE0_EEPmJS9_EEE10hipError_tPvRmT3_T4_T5_T6_T7_T9_mT8_P12ihipStream_tbDpT10_ENKUlT_T0_E_clISt17integral_constantIbLb1EES1A_EEDaS15_S16_EUlS15_E_NS1_11comp_targetILNS1_3genE8ELNS1_11target_archE1030ELNS1_3gpuE2ELNS1_3repE0EEENS1_30default_config_static_selectorELNS0_4arch9wavefront6targetE1EEEvT1_ ; -- Begin function _ZN7rocprim17ROCPRIM_400000_NS6detail17trampoline_kernelINS0_14default_configENS1_25partition_config_selectorILNS1_17partition_subalgoE9EllbEEZZNS1_14partition_implILS5_9ELb0ES3_jPlS8_PNS0_10empty_typeENS0_5tupleIJS8_S9_EEENSB_IJS8_SA_EEENS0_18inequality_wrapperIZN2at6native12_GLOBAL__N_124unique_dim_cuda_templateIlEESt5tupleIJNSF_6TensorESK_SK_EERKSK_lbbbEUlllE0_EEPmJS9_EEE10hipError_tPvRmT3_T4_T5_T6_T7_T9_mT8_P12ihipStream_tbDpT10_ENKUlT_T0_E_clISt17integral_constantIbLb1EES1A_EEDaS15_S16_EUlS15_E_NS1_11comp_targetILNS1_3genE8ELNS1_11target_archE1030ELNS1_3gpuE2ELNS1_3repE0EEENS1_30default_config_static_selectorELNS0_4arch9wavefront6targetE1EEEvT1_
	.p2align	8
	.type	_ZN7rocprim17ROCPRIM_400000_NS6detail17trampoline_kernelINS0_14default_configENS1_25partition_config_selectorILNS1_17partition_subalgoE9EllbEEZZNS1_14partition_implILS5_9ELb0ES3_jPlS8_PNS0_10empty_typeENS0_5tupleIJS8_S9_EEENSB_IJS8_SA_EEENS0_18inequality_wrapperIZN2at6native12_GLOBAL__N_124unique_dim_cuda_templateIlEESt5tupleIJNSF_6TensorESK_SK_EERKSK_lbbbEUlllE0_EEPmJS9_EEE10hipError_tPvRmT3_T4_T5_T6_T7_T9_mT8_P12ihipStream_tbDpT10_ENKUlT_T0_E_clISt17integral_constantIbLb1EES1A_EEDaS15_S16_EUlS15_E_NS1_11comp_targetILNS1_3genE8ELNS1_11target_archE1030ELNS1_3gpuE2ELNS1_3repE0EEENS1_30default_config_static_selectorELNS0_4arch9wavefront6targetE1EEEvT1_,@function
_ZN7rocprim17ROCPRIM_400000_NS6detail17trampoline_kernelINS0_14default_configENS1_25partition_config_selectorILNS1_17partition_subalgoE9EllbEEZZNS1_14partition_implILS5_9ELb0ES3_jPlS8_PNS0_10empty_typeENS0_5tupleIJS8_S9_EEENSB_IJS8_SA_EEENS0_18inequality_wrapperIZN2at6native12_GLOBAL__N_124unique_dim_cuda_templateIlEESt5tupleIJNSF_6TensorESK_SK_EERKSK_lbbbEUlllE0_EEPmJS9_EEE10hipError_tPvRmT3_T4_T5_T6_T7_T9_mT8_P12ihipStream_tbDpT10_ENKUlT_T0_E_clISt17integral_constantIbLb1EES1A_EEDaS15_S16_EUlS15_E_NS1_11comp_targetILNS1_3genE8ELNS1_11target_archE1030ELNS1_3gpuE2ELNS1_3repE0EEENS1_30default_config_static_selectorELNS0_4arch9wavefront6targetE1EEEvT1_: ; @_ZN7rocprim17ROCPRIM_400000_NS6detail17trampoline_kernelINS0_14default_configENS1_25partition_config_selectorILNS1_17partition_subalgoE9EllbEEZZNS1_14partition_implILS5_9ELb0ES3_jPlS8_PNS0_10empty_typeENS0_5tupleIJS8_S9_EEENSB_IJS8_SA_EEENS0_18inequality_wrapperIZN2at6native12_GLOBAL__N_124unique_dim_cuda_templateIlEESt5tupleIJNSF_6TensorESK_SK_EERKSK_lbbbEUlllE0_EEPmJS9_EEE10hipError_tPvRmT3_T4_T5_T6_T7_T9_mT8_P12ihipStream_tbDpT10_ENKUlT_T0_E_clISt17integral_constantIbLb1EES1A_EEDaS15_S16_EUlS15_E_NS1_11comp_targetILNS1_3genE8ELNS1_11target_archE1030ELNS1_3gpuE2ELNS1_3repE0EEENS1_30default_config_static_selectorELNS0_4arch9wavefront6targetE1EEEvT1_
; %bb.0:
	.section	.rodata,"a",@progbits
	.p2align	6, 0x0
	.amdhsa_kernel _ZN7rocprim17ROCPRIM_400000_NS6detail17trampoline_kernelINS0_14default_configENS1_25partition_config_selectorILNS1_17partition_subalgoE9EllbEEZZNS1_14partition_implILS5_9ELb0ES3_jPlS8_PNS0_10empty_typeENS0_5tupleIJS8_S9_EEENSB_IJS8_SA_EEENS0_18inequality_wrapperIZN2at6native12_GLOBAL__N_124unique_dim_cuda_templateIlEESt5tupleIJNSF_6TensorESK_SK_EERKSK_lbbbEUlllE0_EEPmJS9_EEE10hipError_tPvRmT3_T4_T5_T6_T7_T9_mT8_P12ihipStream_tbDpT10_ENKUlT_T0_E_clISt17integral_constantIbLb1EES1A_EEDaS15_S16_EUlS15_E_NS1_11comp_targetILNS1_3genE8ELNS1_11target_archE1030ELNS1_3gpuE2ELNS1_3repE0EEENS1_30default_config_static_selectorELNS0_4arch9wavefront6targetE1EEEvT1_
		.amdhsa_group_segment_fixed_size 0
		.amdhsa_private_segment_fixed_size 0
		.amdhsa_kernarg_size 136
		.amdhsa_user_sgpr_count 6
		.amdhsa_user_sgpr_private_segment_buffer 1
		.amdhsa_user_sgpr_dispatch_ptr 0
		.amdhsa_user_sgpr_queue_ptr 0
		.amdhsa_user_sgpr_kernarg_segment_ptr 1
		.amdhsa_user_sgpr_dispatch_id 0
		.amdhsa_user_sgpr_flat_scratch_init 0
		.amdhsa_user_sgpr_kernarg_preload_length 0
		.amdhsa_user_sgpr_kernarg_preload_offset 0
		.amdhsa_user_sgpr_private_segment_size 0
		.amdhsa_uses_dynamic_stack 0
		.amdhsa_system_sgpr_private_segment_wavefront_offset 0
		.amdhsa_system_sgpr_workgroup_id_x 1
		.amdhsa_system_sgpr_workgroup_id_y 0
		.amdhsa_system_sgpr_workgroup_id_z 0
		.amdhsa_system_sgpr_workgroup_info 0
		.amdhsa_system_vgpr_workitem_id 0
		.amdhsa_next_free_vgpr 1
		.amdhsa_next_free_sgpr 0
		.amdhsa_accum_offset 4
		.amdhsa_reserve_vcc 0
		.amdhsa_reserve_flat_scratch 0
		.amdhsa_float_round_mode_32 0
		.amdhsa_float_round_mode_16_64 0
		.amdhsa_float_denorm_mode_32 3
		.amdhsa_float_denorm_mode_16_64 3
		.amdhsa_dx10_clamp 1
		.amdhsa_ieee_mode 1
		.amdhsa_fp16_overflow 0
		.amdhsa_tg_split 0
		.amdhsa_exception_fp_ieee_invalid_op 0
		.amdhsa_exception_fp_denorm_src 0
		.amdhsa_exception_fp_ieee_div_zero 0
		.amdhsa_exception_fp_ieee_overflow 0
		.amdhsa_exception_fp_ieee_underflow 0
		.amdhsa_exception_fp_ieee_inexact 0
		.amdhsa_exception_int_div_zero 0
	.end_amdhsa_kernel
	.section	.text._ZN7rocprim17ROCPRIM_400000_NS6detail17trampoline_kernelINS0_14default_configENS1_25partition_config_selectorILNS1_17partition_subalgoE9EllbEEZZNS1_14partition_implILS5_9ELb0ES3_jPlS8_PNS0_10empty_typeENS0_5tupleIJS8_S9_EEENSB_IJS8_SA_EEENS0_18inequality_wrapperIZN2at6native12_GLOBAL__N_124unique_dim_cuda_templateIlEESt5tupleIJNSF_6TensorESK_SK_EERKSK_lbbbEUlllE0_EEPmJS9_EEE10hipError_tPvRmT3_T4_T5_T6_T7_T9_mT8_P12ihipStream_tbDpT10_ENKUlT_T0_E_clISt17integral_constantIbLb1EES1A_EEDaS15_S16_EUlS15_E_NS1_11comp_targetILNS1_3genE8ELNS1_11target_archE1030ELNS1_3gpuE2ELNS1_3repE0EEENS1_30default_config_static_selectorELNS0_4arch9wavefront6targetE1EEEvT1_,"axG",@progbits,_ZN7rocprim17ROCPRIM_400000_NS6detail17trampoline_kernelINS0_14default_configENS1_25partition_config_selectorILNS1_17partition_subalgoE9EllbEEZZNS1_14partition_implILS5_9ELb0ES3_jPlS8_PNS0_10empty_typeENS0_5tupleIJS8_S9_EEENSB_IJS8_SA_EEENS0_18inequality_wrapperIZN2at6native12_GLOBAL__N_124unique_dim_cuda_templateIlEESt5tupleIJNSF_6TensorESK_SK_EERKSK_lbbbEUlllE0_EEPmJS9_EEE10hipError_tPvRmT3_T4_T5_T6_T7_T9_mT8_P12ihipStream_tbDpT10_ENKUlT_T0_E_clISt17integral_constantIbLb1EES1A_EEDaS15_S16_EUlS15_E_NS1_11comp_targetILNS1_3genE8ELNS1_11target_archE1030ELNS1_3gpuE2ELNS1_3repE0EEENS1_30default_config_static_selectorELNS0_4arch9wavefront6targetE1EEEvT1_,comdat
.Lfunc_end610:
	.size	_ZN7rocprim17ROCPRIM_400000_NS6detail17trampoline_kernelINS0_14default_configENS1_25partition_config_selectorILNS1_17partition_subalgoE9EllbEEZZNS1_14partition_implILS5_9ELb0ES3_jPlS8_PNS0_10empty_typeENS0_5tupleIJS8_S9_EEENSB_IJS8_SA_EEENS0_18inequality_wrapperIZN2at6native12_GLOBAL__N_124unique_dim_cuda_templateIlEESt5tupleIJNSF_6TensorESK_SK_EERKSK_lbbbEUlllE0_EEPmJS9_EEE10hipError_tPvRmT3_T4_T5_T6_T7_T9_mT8_P12ihipStream_tbDpT10_ENKUlT_T0_E_clISt17integral_constantIbLb1EES1A_EEDaS15_S16_EUlS15_E_NS1_11comp_targetILNS1_3genE8ELNS1_11target_archE1030ELNS1_3gpuE2ELNS1_3repE0EEENS1_30default_config_static_selectorELNS0_4arch9wavefront6targetE1EEEvT1_, .Lfunc_end610-_ZN7rocprim17ROCPRIM_400000_NS6detail17trampoline_kernelINS0_14default_configENS1_25partition_config_selectorILNS1_17partition_subalgoE9EllbEEZZNS1_14partition_implILS5_9ELb0ES3_jPlS8_PNS0_10empty_typeENS0_5tupleIJS8_S9_EEENSB_IJS8_SA_EEENS0_18inequality_wrapperIZN2at6native12_GLOBAL__N_124unique_dim_cuda_templateIlEESt5tupleIJNSF_6TensorESK_SK_EERKSK_lbbbEUlllE0_EEPmJS9_EEE10hipError_tPvRmT3_T4_T5_T6_T7_T9_mT8_P12ihipStream_tbDpT10_ENKUlT_T0_E_clISt17integral_constantIbLb1EES1A_EEDaS15_S16_EUlS15_E_NS1_11comp_targetILNS1_3genE8ELNS1_11target_archE1030ELNS1_3gpuE2ELNS1_3repE0EEENS1_30default_config_static_selectorELNS0_4arch9wavefront6targetE1EEEvT1_
                                        ; -- End function
	.section	.AMDGPU.csdata,"",@progbits
; Kernel info:
; codeLenInByte = 0
; NumSgprs: 4
; NumVgprs: 0
; NumAgprs: 0
; TotalNumVgprs: 0
; ScratchSize: 0
; MemoryBound: 0
; FloatMode: 240
; IeeeMode: 1
; LDSByteSize: 0 bytes/workgroup (compile time only)
; SGPRBlocks: 0
; VGPRBlocks: 0
; NumSGPRsForWavesPerEU: 4
; NumVGPRsForWavesPerEU: 1
; AccumOffset: 4
; Occupancy: 8
; WaveLimiterHint : 0
; COMPUTE_PGM_RSRC2:SCRATCH_EN: 0
; COMPUTE_PGM_RSRC2:USER_SGPR: 6
; COMPUTE_PGM_RSRC2:TRAP_HANDLER: 0
; COMPUTE_PGM_RSRC2:TGID_X_EN: 1
; COMPUTE_PGM_RSRC2:TGID_Y_EN: 0
; COMPUTE_PGM_RSRC2:TGID_Z_EN: 0
; COMPUTE_PGM_RSRC2:TIDIG_COMP_CNT: 0
; COMPUTE_PGM_RSRC3_GFX90A:ACCUM_OFFSET: 0
; COMPUTE_PGM_RSRC3_GFX90A:TG_SPLIT: 0
	.section	.text._ZN7rocprim17ROCPRIM_400000_NS6detail17trampoline_kernelINS0_14default_configENS1_25partition_config_selectorILNS1_17partition_subalgoE9EllbEEZZNS1_14partition_implILS5_9ELb0ES3_jPlS8_PNS0_10empty_typeENS0_5tupleIJS8_S9_EEENSB_IJS8_SA_EEENS0_18inequality_wrapperIZN2at6native12_GLOBAL__N_124unique_dim_cuda_templateIlEESt5tupleIJNSF_6TensorESK_SK_EERKSK_lbbbEUlllE0_EEPmJS9_EEE10hipError_tPvRmT3_T4_T5_T6_T7_T9_mT8_P12ihipStream_tbDpT10_ENKUlT_T0_E_clISt17integral_constantIbLb1EES19_IbLb0EEEEDaS15_S16_EUlS15_E_NS1_11comp_targetILNS1_3genE0ELNS1_11target_archE4294967295ELNS1_3gpuE0ELNS1_3repE0EEENS1_30default_config_static_selectorELNS0_4arch9wavefront6targetE1EEEvT1_,"axG",@progbits,_ZN7rocprim17ROCPRIM_400000_NS6detail17trampoline_kernelINS0_14default_configENS1_25partition_config_selectorILNS1_17partition_subalgoE9EllbEEZZNS1_14partition_implILS5_9ELb0ES3_jPlS8_PNS0_10empty_typeENS0_5tupleIJS8_S9_EEENSB_IJS8_SA_EEENS0_18inequality_wrapperIZN2at6native12_GLOBAL__N_124unique_dim_cuda_templateIlEESt5tupleIJNSF_6TensorESK_SK_EERKSK_lbbbEUlllE0_EEPmJS9_EEE10hipError_tPvRmT3_T4_T5_T6_T7_T9_mT8_P12ihipStream_tbDpT10_ENKUlT_T0_E_clISt17integral_constantIbLb1EES19_IbLb0EEEEDaS15_S16_EUlS15_E_NS1_11comp_targetILNS1_3genE0ELNS1_11target_archE4294967295ELNS1_3gpuE0ELNS1_3repE0EEENS1_30default_config_static_selectorELNS0_4arch9wavefront6targetE1EEEvT1_,comdat
	.globl	_ZN7rocprim17ROCPRIM_400000_NS6detail17trampoline_kernelINS0_14default_configENS1_25partition_config_selectorILNS1_17partition_subalgoE9EllbEEZZNS1_14partition_implILS5_9ELb0ES3_jPlS8_PNS0_10empty_typeENS0_5tupleIJS8_S9_EEENSB_IJS8_SA_EEENS0_18inequality_wrapperIZN2at6native12_GLOBAL__N_124unique_dim_cuda_templateIlEESt5tupleIJNSF_6TensorESK_SK_EERKSK_lbbbEUlllE0_EEPmJS9_EEE10hipError_tPvRmT3_T4_T5_T6_T7_T9_mT8_P12ihipStream_tbDpT10_ENKUlT_T0_E_clISt17integral_constantIbLb1EES19_IbLb0EEEEDaS15_S16_EUlS15_E_NS1_11comp_targetILNS1_3genE0ELNS1_11target_archE4294967295ELNS1_3gpuE0ELNS1_3repE0EEENS1_30default_config_static_selectorELNS0_4arch9wavefront6targetE1EEEvT1_ ; -- Begin function _ZN7rocprim17ROCPRIM_400000_NS6detail17trampoline_kernelINS0_14default_configENS1_25partition_config_selectorILNS1_17partition_subalgoE9EllbEEZZNS1_14partition_implILS5_9ELb0ES3_jPlS8_PNS0_10empty_typeENS0_5tupleIJS8_S9_EEENSB_IJS8_SA_EEENS0_18inequality_wrapperIZN2at6native12_GLOBAL__N_124unique_dim_cuda_templateIlEESt5tupleIJNSF_6TensorESK_SK_EERKSK_lbbbEUlllE0_EEPmJS9_EEE10hipError_tPvRmT3_T4_T5_T6_T7_T9_mT8_P12ihipStream_tbDpT10_ENKUlT_T0_E_clISt17integral_constantIbLb1EES19_IbLb0EEEEDaS15_S16_EUlS15_E_NS1_11comp_targetILNS1_3genE0ELNS1_11target_archE4294967295ELNS1_3gpuE0ELNS1_3repE0EEENS1_30default_config_static_selectorELNS0_4arch9wavefront6targetE1EEEvT1_
	.p2align	8
	.type	_ZN7rocprim17ROCPRIM_400000_NS6detail17trampoline_kernelINS0_14default_configENS1_25partition_config_selectorILNS1_17partition_subalgoE9EllbEEZZNS1_14partition_implILS5_9ELb0ES3_jPlS8_PNS0_10empty_typeENS0_5tupleIJS8_S9_EEENSB_IJS8_SA_EEENS0_18inequality_wrapperIZN2at6native12_GLOBAL__N_124unique_dim_cuda_templateIlEESt5tupleIJNSF_6TensorESK_SK_EERKSK_lbbbEUlllE0_EEPmJS9_EEE10hipError_tPvRmT3_T4_T5_T6_T7_T9_mT8_P12ihipStream_tbDpT10_ENKUlT_T0_E_clISt17integral_constantIbLb1EES19_IbLb0EEEEDaS15_S16_EUlS15_E_NS1_11comp_targetILNS1_3genE0ELNS1_11target_archE4294967295ELNS1_3gpuE0ELNS1_3repE0EEENS1_30default_config_static_selectorELNS0_4arch9wavefront6targetE1EEEvT1_,@function
_ZN7rocprim17ROCPRIM_400000_NS6detail17trampoline_kernelINS0_14default_configENS1_25partition_config_selectorILNS1_17partition_subalgoE9EllbEEZZNS1_14partition_implILS5_9ELb0ES3_jPlS8_PNS0_10empty_typeENS0_5tupleIJS8_S9_EEENSB_IJS8_SA_EEENS0_18inequality_wrapperIZN2at6native12_GLOBAL__N_124unique_dim_cuda_templateIlEESt5tupleIJNSF_6TensorESK_SK_EERKSK_lbbbEUlllE0_EEPmJS9_EEE10hipError_tPvRmT3_T4_T5_T6_T7_T9_mT8_P12ihipStream_tbDpT10_ENKUlT_T0_E_clISt17integral_constantIbLb1EES19_IbLb0EEEEDaS15_S16_EUlS15_E_NS1_11comp_targetILNS1_3genE0ELNS1_11target_archE4294967295ELNS1_3gpuE0ELNS1_3repE0EEENS1_30default_config_static_selectorELNS0_4arch9wavefront6targetE1EEEvT1_: ; @_ZN7rocprim17ROCPRIM_400000_NS6detail17trampoline_kernelINS0_14default_configENS1_25partition_config_selectorILNS1_17partition_subalgoE9EllbEEZZNS1_14partition_implILS5_9ELb0ES3_jPlS8_PNS0_10empty_typeENS0_5tupleIJS8_S9_EEENSB_IJS8_SA_EEENS0_18inequality_wrapperIZN2at6native12_GLOBAL__N_124unique_dim_cuda_templateIlEESt5tupleIJNSF_6TensorESK_SK_EERKSK_lbbbEUlllE0_EEPmJS9_EEE10hipError_tPvRmT3_T4_T5_T6_T7_T9_mT8_P12ihipStream_tbDpT10_ENKUlT_T0_E_clISt17integral_constantIbLb1EES19_IbLb0EEEEDaS15_S16_EUlS15_E_NS1_11comp_targetILNS1_3genE0ELNS1_11target_archE4294967295ELNS1_3gpuE0ELNS1_3repE0EEENS1_30default_config_static_selectorELNS0_4arch9wavefront6targetE1EEEvT1_
; %bb.0:
	.section	.rodata,"a",@progbits
	.p2align	6, 0x0
	.amdhsa_kernel _ZN7rocprim17ROCPRIM_400000_NS6detail17trampoline_kernelINS0_14default_configENS1_25partition_config_selectorILNS1_17partition_subalgoE9EllbEEZZNS1_14partition_implILS5_9ELb0ES3_jPlS8_PNS0_10empty_typeENS0_5tupleIJS8_S9_EEENSB_IJS8_SA_EEENS0_18inequality_wrapperIZN2at6native12_GLOBAL__N_124unique_dim_cuda_templateIlEESt5tupleIJNSF_6TensorESK_SK_EERKSK_lbbbEUlllE0_EEPmJS9_EEE10hipError_tPvRmT3_T4_T5_T6_T7_T9_mT8_P12ihipStream_tbDpT10_ENKUlT_T0_E_clISt17integral_constantIbLb1EES19_IbLb0EEEEDaS15_S16_EUlS15_E_NS1_11comp_targetILNS1_3genE0ELNS1_11target_archE4294967295ELNS1_3gpuE0ELNS1_3repE0EEENS1_30default_config_static_selectorELNS0_4arch9wavefront6targetE1EEEvT1_
		.amdhsa_group_segment_fixed_size 0
		.amdhsa_private_segment_fixed_size 0
		.amdhsa_kernarg_size 120
		.amdhsa_user_sgpr_count 6
		.amdhsa_user_sgpr_private_segment_buffer 1
		.amdhsa_user_sgpr_dispatch_ptr 0
		.amdhsa_user_sgpr_queue_ptr 0
		.amdhsa_user_sgpr_kernarg_segment_ptr 1
		.amdhsa_user_sgpr_dispatch_id 0
		.amdhsa_user_sgpr_flat_scratch_init 0
		.amdhsa_user_sgpr_kernarg_preload_length 0
		.amdhsa_user_sgpr_kernarg_preload_offset 0
		.amdhsa_user_sgpr_private_segment_size 0
		.amdhsa_uses_dynamic_stack 0
		.amdhsa_system_sgpr_private_segment_wavefront_offset 0
		.amdhsa_system_sgpr_workgroup_id_x 1
		.amdhsa_system_sgpr_workgroup_id_y 0
		.amdhsa_system_sgpr_workgroup_id_z 0
		.amdhsa_system_sgpr_workgroup_info 0
		.amdhsa_system_vgpr_workitem_id 0
		.amdhsa_next_free_vgpr 1
		.amdhsa_next_free_sgpr 0
		.amdhsa_accum_offset 4
		.amdhsa_reserve_vcc 0
		.amdhsa_reserve_flat_scratch 0
		.amdhsa_float_round_mode_32 0
		.amdhsa_float_round_mode_16_64 0
		.amdhsa_float_denorm_mode_32 3
		.amdhsa_float_denorm_mode_16_64 3
		.amdhsa_dx10_clamp 1
		.amdhsa_ieee_mode 1
		.amdhsa_fp16_overflow 0
		.amdhsa_tg_split 0
		.amdhsa_exception_fp_ieee_invalid_op 0
		.amdhsa_exception_fp_denorm_src 0
		.amdhsa_exception_fp_ieee_div_zero 0
		.amdhsa_exception_fp_ieee_overflow 0
		.amdhsa_exception_fp_ieee_underflow 0
		.amdhsa_exception_fp_ieee_inexact 0
		.amdhsa_exception_int_div_zero 0
	.end_amdhsa_kernel
	.section	.text._ZN7rocprim17ROCPRIM_400000_NS6detail17trampoline_kernelINS0_14default_configENS1_25partition_config_selectorILNS1_17partition_subalgoE9EllbEEZZNS1_14partition_implILS5_9ELb0ES3_jPlS8_PNS0_10empty_typeENS0_5tupleIJS8_S9_EEENSB_IJS8_SA_EEENS0_18inequality_wrapperIZN2at6native12_GLOBAL__N_124unique_dim_cuda_templateIlEESt5tupleIJNSF_6TensorESK_SK_EERKSK_lbbbEUlllE0_EEPmJS9_EEE10hipError_tPvRmT3_T4_T5_T6_T7_T9_mT8_P12ihipStream_tbDpT10_ENKUlT_T0_E_clISt17integral_constantIbLb1EES19_IbLb0EEEEDaS15_S16_EUlS15_E_NS1_11comp_targetILNS1_3genE0ELNS1_11target_archE4294967295ELNS1_3gpuE0ELNS1_3repE0EEENS1_30default_config_static_selectorELNS0_4arch9wavefront6targetE1EEEvT1_,"axG",@progbits,_ZN7rocprim17ROCPRIM_400000_NS6detail17trampoline_kernelINS0_14default_configENS1_25partition_config_selectorILNS1_17partition_subalgoE9EllbEEZZNS1_14partition_implILS5_9ELb0ES3_jPlS8_PNS0_10empty_typeENS0_5tupleIJS8_S9_EEENSB_IJS8_SA_EEENS0_18inequality_wrapperIZN2at6native12_GLOBAL__N_124unique_dim_cuda_templateIlEESt5tupleIJNSF_6TensorESK_SK_EERKSK_lbbbEUlllE0_EEPmJS9_EEE10hipError_tPvRmT3_T4_T5_T6_T7_T9_mT8_P12ihipStream_tbDpT10_ENKUlT_T0_E_clISt17integral_constantIbLb1EES19_IbLb0EEEEDaS15_S16_EUlS15_E_NS1_11comp_targetILNS1_3genE0ELNS1_11target_archE4294967295ELNS1_3gpuE0ELNS1_3repE0EEENS1_30default_config_static_selectorELNS0_4arch9wavefront6targetE1EEEvT1_,comdat
.Lfunc_end611:
	.size	_ZN7rocprim17ROCPRIM_400000_NS6detail17trampoline_kernelINS0_14default_configENS1_25partition_config_selectorILNS1_17partition_subalgoE9EllbEEZZNS1_14partition_implILS5_9ELb0ES3_jPlS8_PNS0_10empty_typeENS0_5tupleIJS8_S9_EEENSB_IJS8_SA_EEENS0_18inequality_wrapperIZN2at6native12_GLOBAL__N_124unique_dim_cuda_templateIlEESt5tupleIJNSF_6TensorESK_SK_EERKSK_lbbbEUlllE0_EEPmJS9_EEE10hipError_tPvRmT3_T4_T5_T6_T7_T9_mT8_P12ihipStream_tbDpT10_ENKUlT_T0_E_clISt17integral_constantIbLb1EES19_IbLb0EEEEDaS15_S16_EUlS15_E_NS1_11comp_targetILNS1_3genE0ELNS1_11target_archE4294967295ELNS1_3gpuE0ELNS1_3repE0EEENS1_30default_config_static_selectorELNS0_4arch9wavefront6targetE1EEEvT1_, .Lfunc_end611-_ZN7rocprim17ROCPRIM_400000_NS6detail17trampoline_kernelINS0_14default_configENS1_25partition_config_selectorILNS1_17partition_subalgoE9EllbEEZZNS1_14partition_implILS5_9ELb0ES3_jPlS8_PNS0_10empty_typeENS0_5tupleIJS8_S9_EEENSB_IJS8_SA_EEENS0_18inequality_wrapperIZN2at6native12_GLOBAL__N_124unique_dim_cuda_templateIlEESt5tupleIJNSF_6TensorESK_SK_EERKSK_lbbbEUlllE0_EEPmJS9_EEE10hipError_tPvRmT3_T4_T5_T6_T7_T9_mT8_P12ihipStream_tbDpT10_ENKUlT_T0_E_clISt17integral_constantIbLb1EES19_IbLb0EEEEDaS15_S16_EUlS15_E_NS1_11comp_targetILNS1_3genE0ELNS1_11target_archE4294967295ELNS1_3gpuE0ELNS1_3repE0EEENS1_30default_config_static_selectorELNS0_4arch9wavefront6targetE1EEEvT1_
                                        ; -- End function
	.section	.AMDGPU.csdata,"",@progbits
; Kernel info:
; codeLenInByte = 0
; NumSgprs: 4
; NumVgprs: 0
; NumAgprs: 0
; TotalNumVgprs: 0
; ScratchSize: 0
; MemoryBound: 0
; FloatMode: 240
; IeeeMode: 1
; LDSByteSize: 0 bytes/workgroup (compile time only)
; SGPRBlocks: 0
; VGPRBlocks: 0
; NumSGPRsForWavesPerEU: 4
; NumVGPRsForWavesPerEU: 1
; AccumOffset: 4
; Occupancy: 8
; WaveLimiterHint : 0
; COMPUTE_PGM_RSRC2:SCRATCH_EN: 0
; COMPUTE_PGM_RSRC2:USER_SGPR: 6
; COMPUTE_PGM_RSRC2:TRAP_HANDLER: 0
; COMPUTE_PGM_RSRC2:TGID_X_EN: 1
; COMPUTE_PGM_RSRC2:TGID_Y_EN: 0
; COMPUTE_PGM_RSRC2:TGID_Z_EN: 0
; COMPUTE_PGM_RSRC2:TIDIG_COMP_CNT: 0
; COMPUTE_PGM_RSRC3_GFX90A:ACCUM_OFFSET: 0
; COMPUTE_PGM_RSRC3_GFX90A:TG_SPLIT: 0
	.section	.text._ZN7rocprim17ROCPRIM_400000_NS6detail17trampoline_kernelINS0_14default_configENS1_25partition_config_selectorILNS1_17partition_subalgoE9EllbEEZZNS1_14partition_implILS5_9ELb0ES3_jPlS8_PNS0_10empty_typeENS0_5tupleIJS8_S9_EEENSB_IJS8_SA_EEENS0_18inequality_wrapperIZN2at6native12_GLOBAL__N_124unique_dim_cuda_templateIlEESt5tupleIJNSF_6TensorESK_SK_EERKSK_lbbbEUlllE0_EEPmJS9_EEE10hipError_tPvRmT3_T4_T5_T6_T7_T9_mT8_P12ihipStream_tbDpT10_ENKUlT_T0_E_clISt17integral_constantIbLb1EES19_IbLb0EEEEDaS15_S16_EUlS15_E_NS1_11comp_targetILNS1_3genE5ELNS1_11target_archE942ELNS1_3gpuE9ELNS1_3repE0EEENS1_30default_config_static_selectorELNS0_4arch9wavefront6targetE1EEEvT1_,"axG",@progbits,_ZN7rocprim17ROCPRIM_400000_NS6detail17trampoline_kernelINS0_14default_configENS1_25partition_config_selectorILNS1_17partition_subalgoE9EllbEEZZNS1_14partition_implILS5_9ELb0ES3_jPlS8_PNS0_10empty_typeENS0_5tupleIJS8_S9_EEENSB_IJS8_SA_EEENS0_18inequality_wrapperIZN2at6native12_GLOBAL__N_124unique_dim_cuda_templateIlEESt5tupleIJNSF_6TensorESK_SK_EERKSK_lbbbEUlllE0_EEPmJS9_EEE10hipError_tPvRmT3_T4_T5_T6_T7_T9_mT8_P12ihipStream_tbDpT10_ENKUlT_T0_E_clISt17integral_constantIbLb1EES19_IbLb0EEEEDaS15_S16_EUlS15_E_NS1_11comp_targetILNS1_3genE5ELNS1_11target_archE942ELNS1_3gpuE9ELNS1_3repE0EEENS1_30default_config_static_selectorELNS0_4arch9wavefront6targetE1EEEvT1_,comdat
	.globl	_ZN7rocprim17ROCPRIM_400000_NS6detail17trampoline_kernelINS0_14default_configENS1_25partition_config_selectorILNS1_17partition_subalgoE9EllbEEZZNS1_14partition_implILS5_9ELb0ES3_jPlS8_PNS0_10empty_typeENS0_5tupleIJS8_S9_EEENSB_IJS8_SA_EEENS0_18inequality_wrapperIZN2at6native12_GLOBAL__N_124unique_dim_cuda_templateIlEESt5tupleIJNSF_6TensorESK_SK_EERKSK_lbbbEUlllE0_EEPmJS9_EEE10hipError_tPvRmT3_T4_T5_T6_T7_T9_mT8_P12ihipStream_tbDpT10_ENKUlT_T0_E_clISt17integral_constantIbLb1EES19_IbLb0EEEEDaS15_S16_EUlS15_E_NS1_11comp_targetILNS1_3genE5ELNS1_11target_archE942ELNS1_3gpuE9ELNS1_3repE0EEENS1_30default_config_static_selectorELNS0_4arch9wavefront6targetE1EEEvT1_ ; -- Begin function _ZN7rocprim17ROCPRIM_400000_NS6detail17trampoline_kernelINS0_14default_configENS1_25partition_config_selectorILNS1_17partition_subalgoE9EllbEEZZNS1_14partition_implILS5_9ELb0ES3_jPlS8_PNS0_10empty_typeENS0_5tupleIJS8_S9_EEENSB_IJS8_SA_EEENS0_18inequality_wrapperIZN2at6native12_GLOBAL__N_124unique_dim_cuda_templateIlEESt5tupleIJNSF_6TensorESK_SK_EERKSK_lbbbEUlllE0_EEPmJS9_EEE10hipError_tPvRmT3_T4_T5_T6_T7_T9_mT8_P12ihipStream_tbDpT10_ENKUlT_T0_E_clISt17integral_constantIbLb1EES19_IbLb0EEEEDaS15_S16_EUlS15_E_NS1_11comp_targetILNS1_3genE5ELNS1_11target_archE942ELNS1_3gpuE9ELNS1_3repE0EEENS1_30default_config_static_selectorELNS0_4arch9wavefront6targetE1EEEvT1_
	.p2align	8
	.type	_ZN7rocprim17ROCPRIM_400000_NS6detail17trampoline_kernelINS0_14default_configENS1_25partition_config_selectorILNS1_17partition_subalgoE9EllbEEZZNS1_14partition_implILS5_9ELb0ES3_jPlS8_PNS0_10empty_typeENS0_5tupleIJS8_S9_EEENSB_IJS8_SA_EEENS0_18inequality_wrapperIZN2at6native12_GLOBAL__N_124unique_dim_cuda_templateIlEESt5tupleIJNSF_6TensorESK_SK_EERKSK_lbbbEUlllE0_EEPmJS9_EEE10hipError_tPvRmT3_T4_T5_T6_T7_T9_mT8_P12ihipStream_tbDpT10_ENKUlT_T0_E_clISt17integral_constantIbLb1EES19_IbLb0EEEEDaS15_S16_EUlS15_E_NS1_11comp_targetILNS1_3genE5ELNS1_11target_archE942ELNS1_3gpuE9ELNS1_3repE0EEENS1_30default_config_static_selectorELNS0_4arch9wavefront6targetE1EEEvT1_,@function
_ZN7rocprim17ROCPRIM_400000_NS6detail17trampoline_kernelINS0_14default_configENS1_25partition_config_selectorILNS1_17partition_subalgoE9EllbEEZZNS1_14partition_implILS5_9ELb0ES3_jPlS8_PNS0_10empty_typeENS0_5tupleIJS8_S9_EEENSB_IJS8_SA_EEENS0_18inequality_wrapperIZN2at6native12_GLOBAL__N_124unique_dim_cuda_templateIlEESt5tupleIJNSF_6TensorESK_SK_EERKSK_lbbbEUlllE0_EEPmJS9_EEE10hipError_tPvRmT3_T4_T5_T6_T7_T9_mT8_P12ihipStream_tbDpT10_ENKUlT_T0_E_clISt17integral_constantIbLb1EES19_IbLb0EEEEDaS15_S16_EUlS15_E_NS1_11comp_targetILNS1_3genE5ELNS1_11target_archE942ELNS1_3gpuE9ELNS1_3repE0EEENS1_30default_config_static_selectorELNS0_4arch9wavefront6targetE1EEEvT1_: ; @_ZN7rocprim17ROCPRIM_400000_NS6detail17trampoline_kernelINS0_14default_configENS1_25partition_config_selectorILNS1_17partition_subalgoE9EllbEEZZNS1_14partition_implILS5_9ELb0ES3_jPlS8_PNS0_10empty_typeENS0_5tupleIJS8_S9_EEENSB_IJS8_SA_EEENS0_18inequality_wrapperIZN2at6native12_GLOBAL__N_124unique_dim_cuda_templateIlEESt5tupleIJNSF_6TensorESK_SK_EERKSK_lbbbEUlllE0_EEPmJS9_EEE10hipError_tPvRmT3_T4_T5_T6_T7_T9_mT8_P12ihipStream_tbDpT10_ENKUlT_T0_E_clISt17integral_constantIbLb1EES19_IbLb0EEEEDaS15_S16_EUlS15_E_NS1_11comp_targetILNS1_3genE5ELNS1_11target_archE942ELNS1_3gpuE9ELNS1_3repE0EEENS1_30default_config_static_selectorELNS0_4arch9wavefront6targetE1EEEvT1_
; %bb.0:
	.section	.rodata,"a",@progbits
	.p2align	6, 0x0
	.amdhsa_kernel _ZN7rocprim17ROCPRIM_400000_NS6detail17trampoline_kernelINS0_14default_configENS1_25partition_config_selectorILNS1_17partition_subalgoE9EllbEEZZNS1_14partition_implILS5_9ELb0ES3_jPlS8_PNS0_10empty_typeENS0_5tupleIJS8_S9_EEENSB_IJS8_SA_EEENS0_18inequality_wrapperIZN2at6native12_GLOBAL__N_124unique_dim_cuda_templateIlEESt5tupleIJNSF_6TensorESK_SK_EERKSK_lbbbEUlllE0_EEPmJS9_EEE10hipError_tPvRmT3_T4_T5_T6_T7_T9_mT8_P12ihipStream_tbDpT10_ENKUlT_T0_E_clISt17integral_constantIbLb1EES19_IbLb0EEEEDaS15_S16_EUlS15_E_NS1_11comp_targetILNS1_3genE5ELNS1_11target_archE942ELNS1_3gpuE9ELNS1_3repE0EEENS1_30default_config_static_selectorELNS0_4arch9wavefront6targetE1EEEvT1_
		.amdhsa_group_segment_fixed_size 0
		.amdhsa_private_segment_fixed_size 0
		.amdhsa_kernarg_size 120
		.amdhsa_user_sgpr_count 6
		.amdhsa_user_sgpr_private_segment_buffer 1
		.amdhsa_user_sgpr_dispatch_ptr 0
		.amdhsa_user_sgpr_queue_ptr 0
		.amdhsa_user_sgpr_kernarg_segment_ptr 1
		.amdhsa_user_sgpr_dispatch_id 0
		.amdhsa_user_sgpr_flat_scratch_init 0
		.amdhsa_user_sgpr_kernarg_preload_length 0
		.amdhsa_user_sgpr_kernarg_preload_offset 0
		.amdhsa_user_sgpr_private_segment_size 0
		.amdhsa_uses_dynamic_stack 0
		.amdhsa_system_sgpr_private_segment_wavefront_offset 0
		.amdhsa_system_sgpr_workgroup_id_x 1
		.amdhsa_system_sgpr_workgroup_id_y 0
		.amdhsa_system_sgpr_workgroup_id_z 0
		.amdhsa_system_sgpr_workgroup_info 0
		.amdhsa_system_vgpr_workitem_id 0
		.amdhsa_next_free_vgpr 1
		.amdhsa_next_free_sgpr 0
		.amdhsa_accum_offset 4
		.amdhsa_reserve_vcc 0
		.amdhsa_reserve_flat_scratch 0
		.amdhsa_float_round_mode_32 0
		.amdhsa_float_round_mode_16_64 0
		.amdhsa_float_denorm_mode_32 3
		.amdhsa_float_denorm_mode_16_64 3
		.amdhsa_dx10_clamp 1
		.amdhsa_ieee_mode 1
		.amdhsa_fp16_overflow 0
		.amdhsa_tg_split 0
		.amdhsa_exception_fp_ieee_invalid_op 0
		.amdhsa_exception_fp_denorm_src 0
		.amdhsa_exception_fp_ieee_div_zero 0
		.amdhsa_exception_fp_ieee_overflow 0
		.amdhsa_exception_fp_ieee_underflow 0
		.amdhsa_exception_fp_ieee_inexact 0
		.amdhsa_exception_int_div_zero 0
	.end_amdhsa_kernel
	.section	.text._ZN7rocprim17ROCPRIM_400000_NS6detail17trampoline_kernelINS0_14default_configENS1_25partition_config_selectorILNS1_17partition_subalgoE9EllbEEZZNS1_14partition_implILS5_9ELb0ES3_jPlS8_PNS0_10empty_typeENS0_5tupleIJS8_S9_EEENSB_IJS8_SA_EEENS0_18inequality_wrapperIZN2at6native12_GLOBAL__N_124unique_dim_cuda_templateIlEESt5tupleIJNSF_6TensorESK_SK_EERKSK_lbbbEUlllE0_EEPmJS9_EEE10hipError_tPvRmT3_T4_T5_T6_T7_T9_mT8_P12ihipStream_tbDpT10_ENKUlT_T0_E_clISt17integral_constantIbLb1EES19_IbLb0EEEEDaS15_S16_EUlS15_E_NS1_11comp_targetILNS1_3genE5ELNS1_11target_archE942ELNS1_3gpuE9ELNS1_3repE0EEENS1_30default_config_static_selectorELNS0_4arch9wavefront6targetE1EEEvT1_,"axG",@progbits,_ZN7rocprim17ROCPRIM_400000_NS6detail17trampoline_kernelINS0_14default_configENS1_25partition_config_selectorILNS1_17partition_subalgoE9EllbEEZZNS1_14partition_implILS5_9ELb0ES3_jPlS8_PNS0_10empty_typeENS0_5tupleIJS8_S9_EEENSB_IJS8_SA_EEENS0_18inequality_wrapperIZN2at6native12_GLOBAL__N_124unique_dim_cuda_templateIlEESt5tupleIJNSF_6TensorESK_SK_EERKSK_lbbbEUlllE0_EEPmJS9_EEE10hipError_tPvRmT3_T4_T5_T6_T7_T9_mT8_P12ihipStream_tbDpT10_ENKUlT_T0_E_clISt17integral_constantIbLb1EES19_IbLb0EEEEDaS15_S16_EUlS15_E_NS1_11comp_targetILNS1_3genE5ELNS1_11target_archE942ELNS1_3gpuE9ELNS1_3repE0EEENS1_30default_config_static_selectorELNS0_4arch9wavefront6targetE1EEEvT1_,comdat
.Lfunc_end612:
	.size	_ZN7rocprim17ROCPRIM_400000_NS6detail17trampoline_kernelINS0_14default_configENS1_25partition_config_selectorILNS1_17partition_subalgoE9EllbEEZZNS1_14partition_implILS5_9ELb0ES3_jPlS8_PNS0_10empty_typeENS0_5tupleIJS8_S9_EEENSB_IJS8_SA_EEENS0_18inequality_wrapperIZN2at6native12_GLOBAL__N_124unique_dim_cuda_templateIlEESt5tupleIJNSF_6TensorESK_SK_EERKSK_lbbbEUlllE0_EEPmJS9_EEE10hipError_tPvRmT3_T4_T5_T6_T7_T9_mT8_P12ihipStream_tbDpT10_ENKUlT_T0_E_clISt17integral_constantIbLb1EES19_IbLb0EEEEDaS15_S16_EUlS15_E_NS1_11comp_targetILNS1_3genE5ELNS1_11target_archE942ELNS1_3gpuE9ELNS1_3repE0EEENS1_30default_config_static_selectorELNS0_4arch9wavefront6targetE1EEEvT1_, .Lfunc_end612-_ZN7rocprim17ROCPRIM_400000_NS6detail17trampoline_kernelINS0_14default_configENS1_25partition_config_selectorILNS1_17partition_subalgoE9EllbEEZZNS1_14partition_implILS5_9ELb0ES3_jPlS8_PNS0_10empty_typeENS0_5tupleIJS8_S9_EEENSB_IJS8_SA_EEENS0_18inequality_wrapperIZN2at6native12_GLOBAL__N_124unique_dim_cuda_templateIlEESt5tupleIJNSF_6TensorESK_SK_EERKSK_lbbbEUlllE0_EEPmJS9_EEE10hipError_tPvRmT3_T4_T5_T6_T7_T9_mT8_P12ihipStream_tbDpT10_ENKUlT_T0_E_clISt17integral_constantIbLb1EES19_IbLb0EEEEDaS15_S16_EUlS15_E_NS1_11comp_targetILNS1_3genE5ELNS1_11target_archE942ELNS1_3gpuE9ELNS1_3repE0EEENS1_30default_config_static_selectorELNS0_4arch9wavefront6targetE1EEEvT1_
                                        ; -- End function
	.section	.AMDGPU.csdata,"",@progbits
; Kernel info:
; codeLenInByte = 0
; NumSgprs: 4
; NumVgprs: 0
; NumAgprs: 0
; TotalNumVgprs: 0
; ScratchSize: 0
; MemoryBound: 0
; FloatMode: 240
; IeeeMode: 1
; LDSByteSize: 0 bytes/workgroup (compile time only)
; SGPRBlocks: 0
; VGPRBlocks: 0
; NumSGPRsForWavesPerEU: 4
; NumVGPRsForWavesPerEU: 1
; AccumOffset: 4
; Occupancy: 8
; WaveLimiterHint : 0
; COMPUTE_PGM_RSRC2:SCRATCH_EN: 0
; COMPUTE_PGM_RSRC2:USER_SGPR: 6
; COMPUTE_PGM_RSRC2:TRAP_HANDLER: 0
; COMPUTE_PGM_RSRC2:TGID_X_EN: 1
; COMPUTE_PGM_RSRC2:TGID_Y_EN: 0
; COMPUTE_PGM_RSRC2:TGID_Z_EN: 0
; COMPUTE_PGM_RSRC2:TIDIG_COMP_CNT: 0
; COMPUTE_PGM_RSRC3_GFX90A:ACCUM_OFFSET: 0
; COMPUTE_PGM_RSRC3_GFX90A:TG_SPLIT: 0
	.section	.text._ZN7rocprim17ROCPRIM_400000_NS6detail17trampoline_kernelINS0_14default_configENS1_25partition_config_selectorILNS1_17partition_subalgoE9EllbEEZZNS1_14partition_implILS5_9ELb0ES3_jPlS8_PNS0_10empty_typeENS0_5tupleIJS8_S9_EEENSB_IJS8_SA_EEENS0_18inequality_wrapperIZN2at6native12_GLOBAL__N_124unique_dim_cuda_templateIlEESt5tupleIJNSF_6TensorESK_SK_EERKSK_lbbbEUlllE0_EEPmJS9_EEE10hipError_tPvRmT3_T4_T5_T6_T7_T9_mT8_P12ihipStream_tbDpT10_ENKUlT_T0_E_clISt17integral_constantIbLb1EES19_IbLb0EEEEDaS15_S16_EUlS15_E_NS1_11comp_targetILNS1_3genE4ELNS1_11target_archE910ELNS1_3gpuE8ELNS1_3repE0EEENS1_30default_config_static_selectorELNS0_4arch9wavefront6targetE1EEEvT1_,"axG",@progbits,_ZN7rocprim17ROCPRIM_400000_NS6detail17trampoline_kernelINS0_14default_configENS1_25partition_config_selectorILNS1_17partition_subalgoE9EllbEEZZNS1_14partition_implILS5_9ELb0ES3_jPlS8_PNS0_10empty_typeENS0_5tupleIJS8_S9_EEENSB_IJS8_SA_EEENS0_18inequality_wrapperIZN2at6native12_GLOBAL__N_124unique_dim_cuda_templateIlEESt5tupleIJNSF_6TensorESK_SK_EERKSK_lbbbEUlllE0_EEPmJS9_EEE10hipError_tPvRmT3_T4_T5_T6_T7_T9_mT8_P12ihipStream_tbDpT10_ENKUlT_T0_E_clISt17integral_constantIbLb1EES19_IbLb0EEEEDaS15_S16_EUlS15_E_NS1_11comp_targetILNS1_3genE4ELNS1_11target_archE910ELNS1_3gpuE8ELNS1_3repE0EEENS1_30default_config_static_selectorELNS0_4arch9wavefront6targetE1EEEvT1_,comdat
	.globl	_ZN7rocprim17ROCPRIM_400000_NS6detail17trampoline_kernelINS0_14default_configENS1_25partition_config_selectorILNS1_17partition_subalgoE9EllbEEZZNS1_14partition_implILS5_9ELb0ES3_jPlS8_PNS0_10empty_typeENS0_5tupleIJS8_S9_EEENSB_IJS8_SA_EEENS0_18inequality_wrapperIZN2at6native12_GLOBAL__N_124unique_dim_cuda_templateIlEESt5tupleIJNSF_6TensorESK_SK_EERKSK_lbbbEUlllE0_EEPmJS9_EEE10hipError_tPvRmT3_T4_T5_T6_T7_T9_mT8_P12ihipStream_tbDpT10_ENKUlT_T0_E_clISt17integral_constantIbLb1EES19_IbLb0EEEEDaS15_S16_EUlS15_E_NS1_11comp_targetILNS1_3genE4ELNS1_11target_archE910ELNS1_3gpuE8ELNS1_3repE0EEENS1_30default_config_static_selectorELNS0_4arch9wavefront6targetE1EEEvT1_ ; -- Begin function _ZN7rocprim17ROCPRIM_400000_NS6detail17trampoline_kernelINS0_14default_configENS1_25partition_config_selectorILNS1_17partition_subalgoE9EllbEEZZNS1_14partition_implILS5_9ELb0ES3_jPlS8_PNS0_10empty_typeENS0_5tupleIJS8_S9_EEENSB_IJS8_SA_EEENS0_18inequality_wrapperIZN2at6native12_GLOBAL__N_124unique_dim_cuda_templateIlEESt5tupleIJNSF_6TensorESK_SK_EERKSK_lbbbEUlllE0_EEPmJS9_EEE10hipError_tPvRmT3_T4_T5_T6_T7_T9_mT8_P12ihipStream_tbDpT10_ENKUlT_T0_E_clISt17integral_constantIbLb1EES19_IbLb0EEEEDaS15_S16_EUlS15_E_NS1_11comp_targetILNS1_3genE4ELNS1_11target_archE910ELNS1_3gpuE8ELNS1_3repE0EEENS1_30default_config_static_selectorELNS0_4arch9wavefront6targetE1EEEvT1_
	.p2align	8
	.type	_ZN7rocprim17ROCPRIM_400000_NS6detail17trampoline_kernelINS0_14default_configENS1_25partition_config_selectorILNS1_17partition_subalgoE9EllbEEZZNS1_14partition_implILS5_9ELb0ES3_jPlS8_PNS0_10empty_typeENS0_5tupleIJS8_S9_EEENSB_IJS8_SA_EEENS0_18inequality_wrapperIZN2at6native12_GLOBAL__N_124unique_dim_cuda_templateIlEESt5tupleIJNSF_6TensorESK_SK_EERKSK_lbbbEUlllE0_EEPmJS9_EEE10hipError_tPvRmT3_T4_T5_T6_T7_T9_mT8_P12ihipStream_tbDpT10_ENKUlT_T0_E_clISt17integral_constantIbLb1EES19_IbLb0EEEEDaS15_S16_EUlS15_E_NS1_11comp_targetILNS1_3genE4ELNS1_11target_archE910ELNS1_3gpuE8ELNS1_3repE0EEENS1_30default_config_static_selectorELNS0_4arch9wavefront6targetE1EEEvT1_,@function
_ZN7rocprim17ROCPRIM_400000_NS6detail17trampoline_kernelINS0_14default_configENS1_25partition_config_selectorILNS1_17partition_subalgoE9EllbEEZZNS1_14partition_implILS5_9ELb0ES3_jPlS8_PNS0_10empty_typeENS0_5tupleIJS8_S9_EEENSB_IJS8_SA_EEENS0_18inequality_wrapperIZN2at6native12_GLOBAL__N_124unique_dim_cuda_templateIlEESt5tupleIJNSF_6TensorESK_SK_EERKSK_lbbbEUlllE0_EEPmJS9_EEE10hipError_tPvRmT3_T4_T5_T6_T7_T9_mT8_P12ihipStream_tbDpT10_ENKUlT_T0_E_clISt17integral_constantIbLb1EES19_IbLb0EEEEDaS15_S16_EUlS15_E_NS1_11comp_targetILNS1_3genE4ELNS1_11target_archE910ELNS1_3gpuE8ELNS1_3repE0EEENS1_30default_config_static_selectorELNS0_4arch9wavefront6targetE1EEEvT1_: ; @_ZN7rocprim17ROCPRIM_400000_NS6detail17trampoline_kernelINS0_14default_configENS1_25partition_config_selectorILNS1_17partition_subalgoE9EllbEEZZNS1_14partition_implILS5_9ELb0ES3_jPlS8_PNS0_10empty_typeENS0_5tupleIJS8_S9_EEENSB_IJS8_SA_EEENS0_18inequality_wrapperIZN2at6native12_GLOBAL__N_124unique_dim_cuda_templateIlEESt5tupleIJNSF_6TensorESK_SK_EERKSK_lbbbEUlllE0_EEPmJS9_EEE10hipError_tPvRmT3_T4_T5_T6_T7_T9_mT8_P12ihipStream_tbDpT10_ENKUlT_T0_E_clISt17integral_constantIbLb1EES19_IbLb0EEEEDaS15_S16_EUlS15_E_NS1_11comp_targetILNS1_3genE4ELNS1_11target_archE910ELNS1_3gpuE8ELNS1_3repE0EEENS1_30default_config_static_selectorELNS0_4arch9wavefront6targetE1EEEvT1_
; %bb.0:
	s_load_dwordx8 s[20:27], s[4:5], 0x40
	s_load_dwordx4 s[0:3], s[4:5], 0x8
	s_load_dwordx2 s[12:13], s[4:5], 0x18
	s_load_dword s9, s[4:5], 0x70
	v_lshrrev_b32_e32 v18, 2, v0
	s_waitcnt lgkmcnt(0)
	v_mov_b32_e32 v2, s24
	s_lshl_b64 s[14:15], s[2:3], 3
	s_add_u32 s18, s0, s14
	s_addc_u32 s19, s1, s15
	s_add_i32 s10, s9, -1
	s_lshl_b32 s0, s10, 9
	s_add_i32 s0, s2, s0
	s_lshl_b32 s8, s6, 9
	s_sub_i32 s7, s24, s0
	s_lshl_b32 s0, s9, 9
	s_add_u32 s0, s2, s0
	s_addc_u32 s1, s3, 0
	v_mov_b32_e32 v3, s25
	s_cmp_eq_u32 s6, s10
	s_load_dwordx2 s[22:23], s[22:23], 0x0
	v_cmp_ge_u64_e32 vcc, s[0:1], v[2:3]
	s_cselect_b64 s[24:25], -1, 0
	s_mov_b32 s9, 0
	s_and_b64 s[10:11], s[24:25], vcc
	s_xor_b64 s[34:35], s[10:11], -1
	s_lshl_b64 s[16:17], s[8:9], 3
	s_add_u32 s8, s18, s16
	s_mov_b64 s[0:1], -1
	s_addc_u32 s9, s19, s17
	s_and_b64 vcc, exec, s[34:35]
	s_cbranch_vccz .LBB613_2
; %bb.1:
	v_lshlrev_b32_e32 v1, 3, v0
	global_load_dwordx2 v[2:3], v1, s[8:9]
	global_load_dwordx2 v[4:5], v1, s[8:9] offset:1024
	global_load_dwordx2 v[6:7], v1, s[8:9] offset:2048
	;; [unrolled: 1-line block ×3, first 2 shown]
	v_or_b32_e32 v11, 0x80, v0
	v_or_b32_e32 v12, 0x100, v0
	;; [unrolled: 1-line block ×3, first 2 shown]
	v_and_b32_e32 v10, 24, v18
	v_lshrrev_b32_e32 v11, 2, v11
	v_lshrrev_b32_e32 v12, 2, v12
	;; [unrolled: 1-line block ×3, first 2 shown]
	v_add_u32_e32 v10, v10, v1
	v_and_b32_e32 v11, 56, v11
	v_and_b32_e32 v12, 0x58, v12
	;; [unrolled: 1-line block ×3, first 2 shown]
	v_add_u32_e32 v11, v11, v1
	v_add_u32_e32 v12, v12, v1
	;; [unrolled: 1-line block ×3, first 2 shown]
	s_mov_b64 s[0:1], 0
	s_waitcnt vmcnt(3)
	ds_write_b64 v10, v[2:3]
	s_waitcnt vmcnt(2)
	ds_write_b64 v11, v[4:5] offset:1024
	s_waitcnt vmcnt(1)
	ds_write_b64 v12, v[6:7] offset:2048
	;; [unrolled: 2-line block ×3, first 2 shown]
	s_waitcnt lgkmcnt(0)
	s_barrier
.LBB613_2:
	s_load_dwordx4 s[28:31], s[4:5], 0x60
	s_andn2_b64 vcc, exec, s[0:1]
	v_cmp_gt_u32_e64 s[0:1], s7, v0
	s_cbranch_vccnz .LBB613_12
; %bb.3:
                                        ; implicit-def: $vgpr2_vgpr3_vgpr4_vgpr5_vgpr6_vgpr7_vgpr8_vgpr9
	s_and_saveexec_b64 s[18:19], s[0:1]
	s_cbranch_execz .LBB613_5
; %bb.4:
	v_lshlrev_b32_e32 v1, 3, v0
	global_load_dwordx2 v[2:3], v1, s[8:9]
.LBB613_5:
	s_or_b64 exec, exec, s[18:19]
	v_or_b32_e32 v1, 0x80, v0
	v_cmp_gt_u32_e32 vcc, s7, v1
	s_and_saveexec_b64 s[0:1], vcc
	s_cbranch_execz .LBB613_7
; %bb.6:
	v_lshlrev_b32_e32 v4, 3, v0
	global_load_dwordx2 v[4:5], v4, s[8:9] offset:1024
.LBB613_7:
	s_or_b64 exec, exec, s[0:1]
	v_or_b32_e32 v10, 0x100, v0
	v_cmp_gt_u32_e32 vcc, s7, v10
	s_and_saveexec_b64 s[0:1], vcc
	s_cbranch_execz .LBB613_9
; %bb.8:
	v_lshlrev_b32_e32 v6, 3, v0
	global_load_dwordx2 v[6:7], v6, s[8:9] offset:2048
.LBB613_9:
	;; [unrolled: 9-line block ×3, first 2 shown]
	s_or_b64 exec, exec, s[0:1]
	v_lshrrev_b32_e32 v1, 2, v1
	v_lshlrev_b32_e32 v13, 3, v0
	v_and_b32_e32 v1, 56, v1
	v_add_u32_e32 v1, v1, v13
	s_waitcnt vmcnt(0)
	ds_write_b64 v1, v[4:5] offset:1024
	v_lshrrev_b32_e32 v1, 2, v10
	v_and_b32_e32 v1, 0x78, v1
	v_add_u32_e32 v1, v1, v13
	ds_write_b64 v1, v[6:7] offset:2048
	v_lshrrev_b32_e32 v1, 2, v11
	v_and_b32_e32 v12, 24, v18
	v_and_b32_e32 v1, 0x78, v1
	v_add_u32_e32 v12, v12, v13
	v_add_u32_e32 v1, v1, v13
	ds_write_b64 v12, v[2:3]
	ds_write_b64 v1, v[8:9] offset:3072
	s_waitcnt lgkmcnt(0)
	s_barrier
.LBB613_12:
	v_lshlrev_b32_e32 v1, 2, v0
	v_lshrrev_b32_e32 v2, 3, v0
	v_add_lshl_u32 v19, v2, v1, 3
	s_waitcnt lgkmcnt(0)
	ds_read2_b64 v[14:17], v19 offset1:1
	ds_read2_b64 v[10:13], v19 offset0:2 offset1:3
	s_add_u32 s0, s12, s14
	s_addc_u32 s1, s13, s15
	s_add_u32 s0, s0, s16
	s_addc_u32 s1, s1, s17
	s_mov_b64 s[12:13], -1
	s_and_b64 vcc, exec, s[34:35]
	s_waitcnt lgkmcnt(0)
	s_barrier
	s_cbranch_vccz .LBB613_14
; %bb.13:
	v_lshlrev_b32_e32 v20, 3, v0
	global_load_dwordx2 v[2:3], v20, s[0:1]
	global_load_dwordx2 v[4:5], v20, s[0:1] offset:1024
	global_load_dwordx2 v[6:7], v20, s[0:1] offset:2048
	;; [unrolled: 1-line block ×3, first 2 shown]
	v_or_b32_e32 v22, 0x80, v0
	v_or_b32_e32 v23, 0x100, v0
	;; [unrolled: 1-line block ×3, first 2 shown]
	v_and_b32_e32 v21, 24, v18
	v_lshrrev_b32_e32 v22, 2, v22
	v_lshrrev_b32_e32 v23, 2, v23
	;; [unrolled: 1-line block ×3, first 2 shown]
	v_add_u32_e32 v21, v21, v20
	v_and_b32_e32 v22, 56, v22
	v_and_b32_e32 v23, 0x58, v23
	;; [unrolled: 1-line block ×3, first 2 shown]
	v_add_u32_e32 v22, v22, v20
	v_add_u32_e32 v23, v23, v20
	;; [unrolled: 1-line block ×3, first 2 shown]
	s_mov_b64 s[12:13], 0
	s_waitcnt vmcnt(3)
	ds_write_b64 v21, v[2:3]
	s_waitcnt vmcnt(2)
	ds_write_b64 v22, v[4:5] offset:1024
	s_waitcnt vmcnt(1)
	ds_write_b64 v23, v[6:7] offset:2048
	;; [unrolled: 2-line block ×3, first 2 shown]
	s_waitcnt lgkmcnt(0)
	s_barrier
.LBB613_14:
	s_andn2_b64 vcc, exec, s[12:13]
	s_cbranch_vccnz .LBB613_24
; %bb.15:
	v_cmp_gt_u32_e32 vcc, s7, v0
                                        ; implicit-def: $vgpr2_vgpr3
	s_and_saveexec_b64 s[12:13], vcc
	s_cbranch_execz .LBB613_17
; %bb.16:
	v_lshlrev_b32_e32 v2, 3, v0
	global_load_dwordx2 v[2:3], v2, s[0:1]
.LBB613_17:
	s_or_b64 exec, exec, s[12:13]
	v_or_b32_e32 v20, 0x80, v0
	v_cmp_gt_u32_e32 vcc, s7, v20
                                        ; implicit-def: $vgpr4_vgpr5
	s_and_saveexec_b64 s[12:13], vcc
	s_cbranch_execz .LBB613_19
; %bb.18:
	v_lshlrev_b32_e32 v4, 3, v0
	global_load_dwordx2 v[4:5], v4, s[0:1] offset:1024
.LBB613_19:
	s_or_b64 exec, exec, s[12:13]
	v_or_b32_e32 v21, 0x100, v0
	v_cmp_gt_u32_e32 vcc, s7, v21
                                        ; implicit-def: $vgpr6_vgpr7
	s_and_saveexec_b64 s[12:13], vcc
	s_cbranch_execz .LBB613_21
; %bb.20:
	v_lshlrev_b32_e32 v6, 3, v0
	global_load_dwordx2 v[6:7], v6, s[0:1] offset:2048
.LBB613_21:
	s_or_b64 exec, exec, s[12:13]
	v_or_b32_e32 v22, 0x180, v0
	v_cmp_gt_u32_e32 vcc, s7, v22
                                        ; implicit-def: $vgpr8_vgpr9
	s_and_saveexec_b64 s[12:13], vcc
	s_cbranch_execz .LBB613_23
; %bb.22:
	v_lshlrev_b32_e32 v8, 3, v0
	global_load_dwordx2 v[8:9], v8, s[0:1] offset:3072
.LBB613_23:
	s_or_b64 exec, exec, s[12:13]
	v_and_b32_e32 v18, 24, v18
	v_lshlrev_b32_e32 v23, 3, v0
	v_add_u32_e32 v18, v18, v23
	s_waitcnt vmcnt(0)
	ds_write_b64 v18, v[2:3]
	v_lshrrev_b32_e32 v2, 2, v20
	v_and_b32_e32 v2, 56, v2
	v_add_u32_e32 v2, v2, v23
	ds_write_b64 v2, v[4:5] offset:1024
	v_lshrrev_b32_e32 v2, 2, v21
	v_and_b32_e32 v2, 0x78, v2
	v_add_u32_e32 v2, v2, v23
	ds_write_b64 v2, v[6:7] offset:2048
	;; [unrolled: 4-line block ×3, first 2 shown]
	s_waitcnt lgkmcnt(0)
	s_barrier
.LBB613_24:
	ds_read2_b64 v[6:9], v19 offset1:1
	ds_read2_b64 v[2:5], v19 offset0:2 offset1:3
	s_cmp_lg_u32 s6, 0
	s_cselect_b64 s[16:17], -1, 0
	s_cmp_lg_u64 s[2:3], 0
	s_cselect_b64 s[0:1], -1, 0
	s_or_b64 s[0:1], s[16:17], s[0:1]
	s_mov_b64 s[12:13], 0
	s_and_b64 vcc, exec, s[0:1]
	v_cmp_gt_i64_e64 s[0:1], s[26:27], 0
	s_waitcnt lgkmcnt(0)
	s_barrier
	s_cbranch_vccz .LBB613_33
; %bb.25:
	s_add_u32 s2, s8, -8
	s_addc_u32 s3, s9, -1
	s_load_dwordx2 s[12:13], s[2:3], 0x0
	v_cndmask_b32_e64 v18, 0, 1, s[0:1]
	v_lshlrev_b32_e32 v26, 3, v0
	s_mov_b64 s[14:15], 0
	s_and_b64 vcc, exec, s[34:35]
	v_cmp_ne_u32_e64 s[0:1], 1, v18
	ds_write_b64 v26, v[12:13]
	s_cbranch_vccz .LBB613_34
; %bb.26:
	v_mul_lo_u32 v20, v11, s26
	v_mul_lo_u32 v21, v10, s27
	v_mad_u64_u32 v[18:19], s[2:3], v10, s26, 0
	v_add3_u32 v19, v19, v21, v20
	s_and_b64 vcc, exec, s[0:1]
	v_lshlrev_b64 v[18:19], 3, v[18:19]
	s_cbranch_vccnz .LBB613_37
; %bb.27:
	v_mul_lo_u32 v22, v13, s26
	v_mul_lo_u32 v23, v12, s27
	v_mad_u64_u32 v[20:21], s[2:3], v12, s26, 0
	v_add3_u32 v21, v21, v23, v22
	v_mov_b32_e32 v23, s29
	v_add_co_u32_e32 v22, vcc, s28, v18
	v_addc_co_u32_e64 v23, s[2:3], v23, v19, vcc
	v_lshlrev_b64 v[20:21], 3, v[20:21]
	v_mov_b32_e32 v25, s29
	v_add_co_u32_e64 v24, s[2:3], s28, v20
	v_addc_co_u32_e64 v25, s[8:9], v25, v21, s[2:3]
	global_load_dwordx2 v[28:29], v[22:23], off
	global_load_dwordx2 v[30:31], v[24:25], off
	s_mov_b64 s[14:15], -1
	s_waitcnt vmcnt(0)
	v_cmp_eq_u64_e64 s[8:9], v[28:29], v[30:31]
	s_and_saveexec_b64 s[18:19], s[8:9]
	s_cbranch_execz .LBB613_36
; %bb.28:
	v_mov_b32_e32 v20, s29
	v_addc_co_u32_e64 v21, s[2:3], v21, v20, s[2:3]
	v_add_co_u32_e64 v20, s[2:3], 8, v24
	v_mov_b32_e32 v23, s29
	v_addc_co_u32_e64 v21, s[2:3], 0, v21, s[2:3]
	v_addc_co_u32_e32 v23, vcc, v19, v23, vcc
	v_add_co_u32_e32 v22, vcc, 8, v22
	s_add_u32 s2, s26, -1
	v_addc_co_u32_e32 v23, vcc, 0, v23, vcc
	s_addc_u32 s3, s27, -1
	s_mov_b64 s[8:9], 0
	s_mov_b64 s[36:37], 0
                                        ; implicit-def: $sgpr14_sgpr15
	s_branch .LBB613_31
.LBB613_29:                             ;   in Loop: Header=BB613_31 Depth=1
	global_load_dwordx2 v[24:25], v[22:23], off
	global_load_dwordx2 v[28:29], v[20:21], off
	v_add_co_u32_e32 v20, vcc, 8, v20
	v_addc_co_u32_e32 v21, vcc, 0, v21, vcc
	v_add_co_u32_e32 v22, vcc, 8, v22
	v_addc_co_u32_e32 v23, vcc, 0, v23, vcc
	s_add_u32 s36, s36, 1
	s_addc_u32 s37, s37, 0
	s_andn2_b64 s[14:15], s[14:15], exec
	s_waitcnt vmcnt(0)
	v_cmp_ne_u64_e32 vcc, v[24:25], v[28:29]
	s_and_b64 s[38:39], vcc, exec
	s_or_b64 s[14:15], s[14:15], s[38:39]
.LBB613_30:                             ;   in Loop: Header=BB613_31 Depth=1
	s_and_b64 s[38:39], exec, s[14:15]
	s_or_b64 s[8:9], s[38:39], s[8:9]
	v_pk_mov_b32 v[24:25], s[36:37], s[36:37] op_sel:[0,1]
	s_andn2_b64 exec, exec, s[8:9]
	s_cbranch_execz .LBB613_35
.LBB613_31:                             ; =>This Inner Loop Header: Depth=1
	s_or_b64 s[14:15], s[14:15], exec
	s_cmp_eq_u64 s[2:3], s[36:37]
	s_cbranch_scc0 .LBB613_29
; %bb.32:                               ;   in Loop: Header=BB613_31 Depth=1
                                        ; implicit-def: $vgpr20_vgpr21
                                        ; implicit-def: $vgpr22_vgpr23
	s_mov_b64 s[36:37], s[26:27]
	s_branch .LBB613_30
.LBB613_33:
                                        ; implicit-def: $sgpr18_sgpr19
                                        ; implicit-def: $vgpr28
	s_branch .LBB613_115
.LBB613_34:
                                        ; implicit-def: $sgpr18_sgpr19
                                        ; implicit-def: $vgpr28
	s_cbranch_execnz .LBB613_67
	s_branch .LBB613_114
.LBB613_35:
	s_or_b64 exec, exec, s[8:9]
	v_cmp_gt_i64_e32 vcc, s[26:27], v[24:25]
	s_orn2_b64 s[14:15], vcc, exec
.LBB613_36:
	s_or_b64 exec, exec, s[18:19]
.LBB613_37:
	v_mul_lo_u32 v22, v17, s26
	v_mul_lo_u32 v23, v16, s27
	v_mad_u64_u32 v[20:21], s[2:3], v16, s26, 0
	v_add3_u32 v21, v21, v23, v22
	s_mov_b64 s[18:19], 0
	s_and_b64 vcc, exec, s[0:1]
	v_lshlrev_b64 v[20:21], 3, v[20:21]
	s_mov_b64 s[36:37], 0
	s_cbranch_vccnz .LBB613_46
; %bb.38:
	v_mov_b32_e32 v23, s29
	v_add_co_u32_e32 v22, vcc, s28, v20
	v_addc_co_u32_e64 v23, s[2:3], v23, v21, vcc
	v_mov_b32_e32 v25, s29
	v_add_co_u32_e64 v24, s[2:3], s28, v18
	v_addc_co_u32_e64 v25, s[8:9], v25, v19, s[2:3]
	global_load_dwordx2 v[28:29], v[22:23], off
	global_load_dwordx2 v[30:31], v[24:25], off
	s_mov_b64 s[36:37], -1
	s_waitcnt vmcnt(0)
	v_cmp_eq_u64_e64 s[8:9], v[28:29], v[30:31]
	s_and_saveexec_b64 s[38:39], s[8:9]
	s_cbranch_execz .LBB613_45
; %bb.39:
	v_mov_b32_e32 v18, s29
	v_addc_co_u32_e64 v19, s[2:3], v19, v18, s[2:3]
	v_add_co_u32_e64 v18, s[2:3], 8, v24
	v_mov_b32_e32 v23, s29
	v_addc_co_u32_e64 v19, s[2:3], 0, v19, s[2:3]
	v_addc_co_u32_e32 v23, vcc, v21, v23, vcc
	v_add_co_u32_e32 v22, vcc, 8, v22
	s_add_u32 s2, s26, -1
	v_addc_co_u32_e32 v23, vcc, 0, v23, vcc
	s_addc_u32 s3, s27, -1
	s_mov_b64 s[8:9], 0
	s_mov_b64 s[40:41], 0
                                        ; implicit-def: $sgpr36_sgpr37
	s_branch .LBB613_42
.LBB613_40:                             ;   in Loop: Header=BB613_42 Depth=1
	global_load_dwordx2 v[24:25], v[22:23], off
	global_load_dwordx2 v[28:29], v[18:19], off
	v_add_co_u32_e32 v18, vcc, 8, v18
	v_addc_co_u32_e32 v19, vcc, 0, v19, vcc
	v_add_co_u32_e32 v22, vcc, 8, v22
	v_addc_co_u32_e32 v23, vcc, 0, v23, vcc
	s_add_u32 s40, s40, 1
	s_addc_u32 s41, s41, 0
	s_andn2_b64 s[36:37], s[36:37], exec
	s_waitcnt vmcnt(0)
	v_cmp_ne_u64_e32 vcc, v[24:25], v[28:29]
	s_and_b64 s[42:43], vcc, exec
	s_or_b64 s[36:37], s[36:37], s[42:43]
.LBB613_41:                             ;   in Loop: Header=BB613_42 Depth=1
	s_and_b64 s[42:43], exec, s[36:37]
	s_or_b64 s[8:9], s[42:43], s[8:9]
	v_pk_mov_b32 v[24:25], s[40:41], s[40:41] op_sel:[0,1]
	s_andn2_b64 exec, exec, s[8:9]
	s_cbranch_execz .LBB613_44
.LBB613_42:                             ; =>This Inner Loop Header: Depth=1
	s_or_b64 s[36:37], s[36:37], exec
	s_cmp_eq_u64 s[2:3], s[40:41]
	s_cbranch_scc0 .LBB613_40
; %bb.43:                               ;   in Loop: Header=BB613_42 Depth=1
                                        ; implicit-def: $vgpr18_vgpr19
                                        ; implicit-def: $vgpr22_vgpr23
	s_mov_b64 s[40:41], s[26:27]
	s_branch .LBB613_41
.LBB613_44:
	s_or_b64 exec, exec, s[8:9]
	v_cmp_gt_i64_e32 vcc, s[26:27], v[24:25]
	s_orn2_b64 s[36:37], vcc, exec
.LBB613_45:
	s_or_b64 exec, exec, s[38:39]
.LBB613_46:
	v_mul_lo_u32 v22, v15, s26
	v_mul_lo_u32 v23, v14, s27
	v_mad_u64_u32 v[18:19], s[2:3], v14, s26, 0
	v_add3_u32 v19, v19, v23, v22
	s_and_b64 vcc, exec, s[0:1]
	v_lshlrev_b64 v[18:19], 3, v[18:19]
	s_cbranch_vccnz .LBB613_55
; %bb.47:
	v_mov_b32_e32 v23, s29
	v_add_co_u32_e32 v22, vcc, s28, v18
	v_addc_co_u32_e64 v23, s[2:3], v23, v19, vcc
	v_mov_b32_e32 v25, s29
	v_add_co_u32_e64 v24, s[2:3], s28, v20
	v_addc_co_u32_e64 v25, s[8:9], v25, v21, s[2:3]
	global_load_dwordx2 v[28:29], v[22:23], off
	global_load_dwordx2 v[30:31], v[24:25], off
	s_mov_b64 s[18:19], -1
	s_waitcnt vmcnt(0)
	v_cmp_eq_u64_e64 s[8:9], v[28:29], v[30:31]
	s_and_saveexec_b64 s[38:39], s[8:9]
	s_cbranch_execz .LBB613_54
; %bb.48:
	v_mov_b32_e32 v20, s29
	v_addc_co_u32_e64 v21, s[2:3], v21, v20, s[2:3]
	v_add_co_u32_e64 v20, s[2:3], 8, v24
	v_mov_b32_e32 v23, s29
	v_addc_co_u32_e64 v21, s[2:3], 0, v21, s[2:3]
	v_addc_co_u32_e32 v23, vcc, v19, v23, vcc
	v_add_co_u32_e32 v22, vcc, 8, v22
	s_add_u32 s2, s26, -1
	v_addc_co_u32_e32 v23, vcc, 0, v23, vcc
	s_addc_u32 s3, s27, -1
	s_mov_b64 s[8:9], 0
	s_mov_b64 s[40:41], 0
                                        ; implicit-def: $sgpr18_sgpr19
	s_branch .LBB613_51
.LBB613_49:                             ;   in Loop: Header=BB613_51 Depth=1
	global_load_dwordx2 v[24:25], v[22:23], off
	global_load_dwordx2 v[28:29], v[20:21], off
	v_add_co_u32_e32 v20, vcc, 8, v20
	v_addc_co_u32_e32 v21, vcc, 0, v21, vcc
	v_add_co_u32_e32 v22, vcc, 8, v22
	v_addc_co_u32_e32 v23, vcc, 0, v23, vcc
	s_add_u32 s40, s40, 1
	s_addc_u32 s41, s41, 0
	s_andn2_b64 s[18:19], s[18:19], exec
	s_waitcnt vmcnt(0)
	v_cmp_ne_u64_e32 vcc, v[24:25], v[28:29]
	s_and_b64 s[42:43], vcc, exec
	s_or_b64 s[18:19], s[18:19], s[42:43]
.LBB613_50:                             ;   in Loop: Header=BB613_51 Depth=1
	s_and_b64 s[42:43], exec, s[18:19]
	s_or_b64 s[8:9], s[42:43], s[8:9]
	v_pk_mov_b32 v[24:25], s[40:41], s[40:41] op_sel:[0,1]
	s_andn2_b64 exec, exec, s[8:9]
	s_cbranch_execz .LBB613_53
.LBB613_51:                             ; =>This Inner Loop Header: Depth=1
	s_or_b64 s[18:19], s[18:19], exec
	s_cmp_eq_u64 s[2:3], s[40:41]
	s_cbranch_scc0 .LBB613_49
; %bb.52:                               ;   in Loop: Header=BB613_51 Depth=1
                                        ; implicit-def: $vgpr20_vgpr21
                                        ; implicit-def: $vgpr22_vgpr23
	s_mov_b64 s[40:41], s[26:27]
	s_branch .LBB613_50
.LBB613_53:
	s_or_b64 exec, exec, s[8:9]
	v_cmp_gt_i64_e32 vcc, s[26:27], v[24:25]
	s_orn2_b64 s[18:19], vcc, exec
.LBB613_54:
	s_or_b64 exec, exec, s[38:39]
.LBB613_55:
	v_cmp_ne_u32_e32 vcc, 0, v0
	s_waitcnt lgkmcnt(0)
	v_pk_mov_b32 v[20:21], s[12:13], s[12:13] op_sel:[0,1]
	s_barrier
	s_and_saveexec_b64 s[2:3], vcc
	s_cbranch_execz .LBB613_57
; %bb.56:
	v_add_u32_e32 v20, -8, v26
	ds_read_b64 v[20:21], v20
.LBB613_57:
	s_or_b64 exec, exec, s[2:3]
	v_cndmask_b32_e64 v23, 0, 1, s[14:15]
	v_cndmask_b32_e64 v22, 0, 1, s[36:37]
	;; [unrolled: 1-line block ×3, first 2 shown]
	v_lshlrev_b16_e32 v23, 8, v23
	v_lshlrev_b16_e32 v27, 8, v24
	v_or_b32_sdwa v28, v22, v23 dst_sel:WORD_1 dst_unused:UNUSED_PAD src0_sel:DWORD src1_sel:DWORD
	s_mov_b64 s[14:15], 0
	s_and_b64 vcc, exec, s[0:1]
	s_mov_b64 s[18:19], 0
	s_cbranch_vccnz .LBB613_66
; %bb.58:
	s_waitcnt lgkmcnt(0)
	v_mul_lo_u32 v22, v21, s26
	v_mul_lo_u32 v23, v20, s27
	v_mad_u64_u32 v[20:21], s[2:3], v20, s26, 0
	v_add3_u32 v21, v21, v23, v22
	v_lshlrev_b64 v[20:21], 3, v[20:21]
	v_mov_b32_e32 v23, s29
	v_add_co_u32_e32 v22, vcc, s28, v20
	v_addc_co_u32_e64 v23, s[2:3], v23, v21, vcc
	v_mov_b32_e32 v20, s29
	v_add_co_u32_e64 v24, s[2:3], s28, v18
	v_addc_co_u32_e64 v25, s[8:9], v20, v19, s[2:3]
	global_load_dwordx2 v[30:31], v[22:23], off
	global_load_dwordx2 v[32:33], v[24:25], off
	s_mov_b64 s[18:19], -1
	s_waitcnt vmcnt(0)
	v_cmp_eq_u64_e64 s[8:9], v[30:31], v[32:33]
	s_and_saveexec_b64 s[36:37], s[8:9]
	s_cbranch_execz .LBB613_65
; %bb.59:
	v_mov_b32_e32 v18, s29
	v_addc_co_u32_e64 v19, s[2:3], v19, v18, s[2:3]
	v_add_co_u32_e64 v18, s[2:3], 8, v24
	v_mov_b32_e32 v20, s29
	v_addc_co_u32_e64 v19, s[2:3], 0, v19, s[2:3]
	v_addc_co_u32_e32 v21, vcc, v21, v20, vcc
	v_add_co_u32_e32 v20, vcc, 8, v22
	s_add_u32 s2, s26, -1
	v_addc_co_u32_e32 v21, vcc, 0, v21, vcc
	s_addc_u32 s3, s27, -1
	s_mov_b64 s[8:9], 0
	s_mov_b64 s[38:39], 0
                                        ; implicit-def: $sgpr18_sgpr19
	s_branch .LBB613_62
.LBB613_60:                             ;   in Loop: Header=BB613_62 Depth=1
	global_load_dwordx2 v[22:23], v[20:21], off
	global_load_dwordx2 v[24:25], v[18:19], off
	v_add_co_u32_e32 v18, vcc, 8, v18
	v_addc_co_u32_e32 v19, vcc, 0, v19, vcc
	v_add_co_u32_e32 v20, vcc, 8, v20
	v_addc_co_u32_e32 v21, vcc, 0, v21, vcc
	s_add_u32 s38, s38, 1
	s_addc_u32 s39, s39, 0
	s_andn2_b64 s[18:19], s[18:19], exec
	s_waitcnt vmcnt(0)
	v_cmp_ne_u64_e32 vcc, v[22:23], v[24:25]
	s_and_b64 s[40:41], vcc, exec
	s_or_b64 s[18:19], s[18:19], s[40:41]
.LBB613_61:                             ;   in Loop: Header=BB613_62 Depth=1
	s_and_b64 s[40:41], exec, s[18:19]
	s_or_b64 s[8:9], s[40:41], s[8:9]
	v_pk_mov_b32 v[22:23], s[38:39], s[38:39] op_sel:[0,1]
	s_andn2_b64 exec, exec, s[8:9]
	s_cbranch_execz .LBB613_64
.LBB613_62:                             ; =>This Inner Loop Header: Depth=1
	s_or_b64 s[18:19], s[18:19], exec
	s_cmp_eq_u64 s[2:3], s[38:39]
	s_cbranch_scc0 .LBB613_60
; %bb.63:                               ;   in Loop: Header=BB613_62 Depth=1
                                        ; implicit-def: $vgpr18_vgpr19
                                        ; implicit-def: $vgpr20_vgpr21
	s_mov_b64 s[38:39], s[26:27]
	s_branch .LBB613_61
.LBB613_64:
	s_or_b64 exec, exec, s[8:9]
	v_cmp_gt_i64_e32 vcc, s[26:27], v[22:23]
	s_orn2_b64 s[18:19], vcc, exec
.LBB613_65:
	s_or_b64 exec, exec, s[36:37]
.LBB613_66:
	v_or_b32_e32 v28, v27, v28
	s_and_b64 vcc, exec, s[14:15]
	s_cbranch_vccz .LBB613_114
.LBB613_67:
	v_or_b32_e32 v18, 3, v1
	v_cmp_gt_u32_e32 vcc, s7, v18
	s_mov_b64 s[18:19], 0
	s_mov_b64 s[14:15], 0
	s_and_saveexec_b64 s[36:37], vcc
	s_cbranch_execz .LBB613_78
; %bb.68:
	s_and_b64 vcc, exec, s[0:1]
	s_mov_b64 s[38:39], 0
	s_cbranch_vccnz .LBB613_77
; %bb.69:
	s_waitcnt lgkmcnt(0)
	v_mul_lo_u32 v20, v11, s26
	v_mul_lo_u32 v21, v10, s27
	v_mad_u64_u32 v[18:19], s[2:3], v10, s26, 0
	v_add3_u32 v19, v19, v21, v20
	v_mul_lo_u32 v20, v13, s26
	v_mul_lo_u32 v21, v12, s27
	v_mad_u64_u32 v[24:25], s[2:3], v12, s26, 0
	v_add3_u32 v25, v25, v21, v20
	v_lshlrev_b64 v[20:21], 3, v[18:19]
	v_mov_b32_e32 v18, s29
	v_add_co_u32_e32 v22, vcc, s28, v20
	v_addc_co_u32_e64 v23, s[2:3], v18, v21, vcc
	v_lshlrev_b64 v[18:19], 3, v[24:25]
	v_mov_b32_e32 v20, s29
	v_add_co_u32_e64 v24, s[2:3], s28, v18
	v_addc_co_u32_e64 v25, s[8:9], v20, v19, s[2:3]
	global_load_dwordx2 v[28:29], v[22:23], off
	global_load_dwordx2 v[30:31], v[24:25], off
	s_mov_b64 s[38:39], -1
	s_waitcnt vmcnt(0)
	v_cmp_eq_u64_e64 s[8:9], v[28:29], v[30:31]
	s_and_saveexec_b64 s[14:15], s[8:9]
	s_cbranch_execz .LBB613_76
; %bb.70:
	v_mov_b32_e32 v18, s29
	v_addc_co_u32_e64 v19, s[2:3], v19, v18, s[2:3]
	v_add_co_u32_e64 v18, s[2:3], 8, v24
	v_mov_b32_e32 v20, s29
	v_addc_co_u32_e64 v19, s[2:3], 0, v19, s[2:3]
	v_addc_co_u32_e32 v21, vcc, v21, v20, vcc
	v_add_co_u32_e32 v20, vcc, 8, v22
	s_add_u32 s2, s26, -1
	v_addc_co_u32_e32 v21, vcc, 0, v21, vcc
	s_addc_u32 s3, s27, -1
	s_mov_b64 s[8:9], 0
	s_mov_b64 s[40:41], 0
                                        ; implicit-def: $sgpr38_sgpr39
	s_branch .LBB613_73
.LBB613_71:                             ;   in Loop: Header=BB613_73 Depth=1
	global_load_dwordx2 v[22:23], v[20:21], off
	global_load_dwordx2 v[24:25], v[18:19], off
	v_add_co_u32_e32 v18, vcc, 8, v18
	v_addc_co_u32_e32 v19, vcc, 0, v19, vcc
	v_add_co_u32_e32 v20, vcc, 8, v20
	v_addc_co_u32_e32 v21, vcc, 0, v21, vcc
	s_add_u32 s40, s40, 1
	s_addc_u32 s41, s41, 0
	s_andn2_b64 s[38:39], s[38:39], exec
	s_waitcnt vmcnt(0)
	v_cmp_ne_u64_e32 vcc, v[22:23], v[24:25]
	s_and_b64 s[42:43], vcc, exec
	s_or_b64 s[38:39], s[38:39], s[42:43]
.LBB613_72:                             ;   in Loop: Header=BB613_73 Depth=1
	s_and_b64 s[42:43], exec, s[38:39]
	s_or_b64 s[8:9], s[42:43], s[8:9]
	v_pk_mov_b32 v[22:23], s[40:41], s[40:41] op_sel:[0,1]
	s_andn2_b64 exec, exec, s[8:9]
	s_cbranch_execz .LBB613_75
.LBB613_73:                             ; =>This Inner Loop Header: Depth=1
	s_or_b64 s[38:39], s[38:39], exec
	s_cmp_eq_u64 s[2:3], s[40:41]
	s_cbranch_scc0 .LBB613_71
; %bb.74:                               ;   in Loop: Header=BB613_73 Depth=1
                                        ; implicit-def: $vgpr18_vgpr19
                                        ; implicit-def: $vgpr20_vgpr21
	s_mov_b64 s[40:41], s[26:27]
	s_branch .LBB613_72
.LBB613_75:
	s_or_b64 exec, exec, s[8:9]
	v_cmp_gt_i64_e32 vcc, s[26:27], v[22:23]
	s_orn2_b64 s[38:39], vcc, exec
.LBB613_76:
	s_or_b64 exec, exec, s[14:15]
.LBB613_77:
	s_and_b64 s[14:15], s[38:39], exec
.LBB613_78:
	s_or_b64 exec, exec, s[36:37]
	v_or_b32_e32 v18, 2, v1
	v_cmp_gt_u32_e32 vcc, s7, v18
	s_and_saveexec_b64 s[36:37], vcc
	s_cbranch_execz .LBB613_89
; %bb.79:
	s_and_b64 vcc, exec, s[0:1]
	s_mov_b64 s[38:39], 0
	s_cbranch_vccnz .LBB613_88
; %bb.80:
	s_waitcnt lgkmcnt(0)
	v_mul_lo_u32 v20, v17, s26
	v_mul_lo_u32 v21, v16, s27
	v_mad_u64_u32 v[18:19], s[2:3], v16, s26, 0
	v_add3_u32 v19, v19, v21, v20
	v_mul_lo_u32 v20, v11, s26
	v_mul_lo_u32 v21, v10, s27
	v_mad_u64_u32 v[24:25], s[2:3], v10, s26, 0
	v_add3_u32 v25, v25, v21, v20
	v_lshlrev_b64 v[20:21], 3, v[18:19]
	v_mov_b32_e32 v18, s29
	v_add_co_u32_e32 v22, vcc, s28, v20
	v_addc_co_u32_e64 v23, s[2:3], v18, v21, vcc
	v_lshlrev_b64 v[18:19], 3, v[24:25]
	v_mov_b32_e32 v20, s29
	v_add_co_u32_e64 v24, s[2:3], s28, v18
	v_addc_co_u32_e64 v25, s[8:9], v20, v19, s[2:3]
	global_load_dwordx2 v[28:29], v[22:23], off
	global_load_dwordx2 v[30:31], v[24:25], off
	s_mov_b64 s[38:39], -1
	s_waitcnt vmcnt(0)
	v_cmp_eq_u64_e64 s[8:9], v[28:29], v[30:31]
	s_and_saveexec_b64 s[18:19], s[8:9]
	s_cbranch_execz .LBB613_87
; %bb.81:
	v_mov_b32_e32 v18, s29
	v_addc_co_u32_e64 v19, s[2:3], v19, v18, s[2:3]
	v_add_co_u32_e64 v18, s[2:3], 8, v24
	v_mov_b32_e32 v20, s29
	v_addc_co_u32_e64 v19, s[2:3], 0, v19, s[2:3]
	v_addc_co_u32_e32 v21, vcc, v21, v20, vcc
	v_add_co_u32_e32 v20, vcc, 8, v22
	s_add_u32 s2, s26, -1
	v_addc_co_u32_e32 v21, vcc, 0, v21, vcc
	s_addc_u32 s3, s27, -1
	s_mov_b64 s[8:9], 0
	s_mov_b64 s[40:41], 0
                                        ; implicit-def: $sgpr38_sgpr39
	s_branch .LBB613_84
.LBB613_82:                             ;   in Loop: Header=BB613_84 Depth=1
	global_load_dwordx2 v[22:23], v[20:21], off
	global_load_dwordx2 v[24:25], v[18:19], off
	v_add_co_u32_e32 v18, vcc, 8, v18
	v_addc_co_u32_e32 v19, vcc, 0, v19, vcc
	v_add_co_u32_e32 v20, vcc, 8, v20
	v_addc_co_u32_e32 v21, vcc, 0, v21, vcc
	s_add_u32 s40, s40, 1
	s_addc_u32 s41, s41, 0
	s_andn2_b64 s[38:39], s[38:39], exec
	s_waitcnt vmcnt(0)
	v_cmp_ne_u64_e32 vcc, v[22:23], v[24:25]
	s_and_b64 s[42:43], vcc, exec
	s_or_b64 s[38:39], s[38:39], s[42:43]
.LBB613_83:                             ;   in Loop: Header=BB613_84 Depth=1
	s_and_b64 s[42:43], exec, s[38:39]
	s_or_b64 s[8:9], s[42:43], s[8:9]
	v_pk_mov_b32 v[22:23], s[40:41], s[40:41] op_sel:[0,1]
	s_andn2_b64 exec, exec, s[8:9]
	s_cbranch_execz .LBB613_86
.LBB613_84:                             ; =>This Inner Loop Header: Depth=1
	s_or_b64 s[38:39], s[38:39], exec
	s_cmp_eq_u64 s[2:3], s[40:41]
	s_cbranch_scc0 .LBB613_82
; %bb.85:                               ;   in Loop: Header=BB613_84 Depth=1
                                        ; implicit-def: $vgpr18_vgpr19
                                        ; implicit-def: $vgpr20_vgpr21
	s_mov_b64 s[40:41], s[26:27]
	s_branch .LBB613_83
.LBB613_86:
	s_or_b64 exec, exec, s[8:9]
	v_cmp_gt_i64_e32 vcc, s[26:27], v[22:23]
	s_orn2_b64 s[38:39], vcc, exec
.LBB613_87:
	s_or_b64 exec, exec, s[18:19]
.LBB613_88:
	s_and_b64 s[18:19], s[38:39], exec
.LBB613_89:
	s_or_b64 exec, exec, s[36:37]
	v_or_b32_e32 v18, 1, v1
	v_cmp_gt_u32_e32 vcc, s7, v18
	s_mov_b64 s[2:3], 0
	s_and_saveexec_b64 s[36:37], vcc
	s_cbranch_execz .LBB613_100
; %bb.90:
	s_and_b64 vcc, exec, s[0:1]
	s_mov_b64 s[40:41], 0
	s_cbranch_vccnz .LBB613_99
; %bb.91:
	s_waitcnt lgkmcnt(0)
	v_mul_lo_u32 v20, v15, s26
	v_mul_lo_u32 v21, v14, s27
	v_mad_u64_u32 v[18:19], s[2:3], v14, s26, 0
	v_add3_u32 v19, v19, v21, v20
	v_mul_lo_u32 v20, v17, s26
	v_mul_lo_u32 v21, v16, s27
	v_mad_u64_u32 v[24:25], s[2:3], v16, s26, 0
	v_add3_u32 v25, v25, v21, v20
	v_lshlrev_b64 v[20:21], 3, v[18:19]
	v_mov_b32_e32 v18, s29
	v_add_co_u32_e32 v22, vcc, s28, v20
	v_addc_co_u32_e64 v23, s[2:3], v18, v21, vcc
	v_lshlrev_b64 v[18:19], 3, v[24:25]
	v_mov_b32_e32 v20, s29
	v_add_co_u32_e64 v24, s[2:3], s28, v18
	v_addc_co_u32_e64 v25, s[8:9], v20, v19, s[2:3]
	global_load_dwordx2 v[28:29], v[22:23], off
	global_load_dwordx2 v[30:31], v[24:25], off
	s_mov_b64 s[40:41], -1
	s_waitcnt vmcnt(0)
	v_cmp_eq_u64_e64 s[8:9], v[28:29], v[30:31]
	s_and_saveexec_b64 s[38:39], s[8:9]
	s_cbranch_execz .LBB613_98
; %bb.92:
	v_mov_b32_e32 v18, s29
	v_addc_co_u32_e64 v19, s[2:3], v19, v18, s[2:3]
	v_add_co_u32_e64 v18, s[2:3], 8, v24
	v_mov_b32_e32 v20, s29
	v_addc_co_u32_e64 v19, s[2:3], 0, v19, s[2:3]
	v_addc_co_u32_e32 v21, vcc, v21, v20, vcc
	v_add_co_u32_e32 v20, vcc, 8, v22
	s_add_u32 s2, s26, -1
	v_addc_co_u32_e32 v21, vcc, 0, v21, vcc
	s_addc_u32 s3, s27, -1
	s_mov_b64 s[8:9], 0
	s_mov_b64 s[42:43], 0
                                        ; implicit-def: $sgpr40_sgpr41
	s_branch .LBB613_95
.LBB613_93:                             ;   in Loop: Header=BB613_95 Depth=1
	global_load_dwordx2 v[22:23], v[20:21], off
	global_load_dwordx2 v[24:25], v[18:19], off
	v_add_co_u32_e32 v18, vcc, 8, v18
	v_addc_co_u32_e32 v19, vcc, 0, v19, vcc
	v_add_co_u32_e32 v20, vcc, 8, v20
	v_addc_co_u32_e32 v21, vcc, 0, v21, vcc
	s_add_u32 s42, s42, 1
	s_addc_u32 s43, s43, 0
	s_andn2_b64 s[40:41], s[40:41], exec
	s_waitcnt vmcnt(0)
	v_cmp_ne_u64_e32 vcc, v[22:23], v[24:25]
	s_and_b64 s[44:45], vcc, exec
	s_or_b64 s[40:41], s[40:41], s[44:45]
.LBB613_94:                             ;   in Loop: Header=BB613_95 Depth=1
	s_and_b64 s[44:45], exec, s[40:41]
	s_or_b64 s[8:9], s[44:45], s[8:9]
	v_pk_mov_b32 v[22:23], s[42:43], s[42:43] op_sel:[0,1]
	s_andn2_b64 exec, exec, s[8:9]
	s_cbranch_execz .LBB613_97
.LBB613_95:                             ; =>This Inner Loop Header: Depth=1
	s_or_b64 s[40:41], s[40:41], exec
	s_cmp_eq_u64 s[2:3], s[42:43]
	s_cbranch_scc0 .LBB613_93
; %bb.96:                               ;   in Loop: Header=BB613_95 Depth=1
                                        ; implicit-def: $vgpr18_vgpr19
                                        ; implicit-def: $vgpr20_vgpr21
	s_mov_b64 s[42:43], s[26:27]
	s_branch .LBB613_94
.LBB613_97:
	s_or_b64 exec, exec, s[8:9]
	v_cmp_gt_i64_e32 vcc, s[26:27], v[22:23]
	s_orn2_b64 s[40:41], vcc, exec
.LBB613_98:
	s_or_b64 exec, exec, s[38:39]
.LBB613_99:
	s_and_b64 s[2:3], s[40:41], exec
.LBB613_100:
	s_or_b64 exec, exec, s[36:37]
	v_cmp_ne_u32_e32 vcc, 0, v0
	s_waitcnt lgkmcnt(0)
	v_pk_mov_b32 v[18:19], s[12:13], s[12:13] op_sel:[0,1]
	s_barrier
	s_and_saveexec_b64 s[8:9], vcc
	s_cbranch_execz .LBB613_102
; %bb.101:
	v_add_u32_e32 v18, -8, v26
	ds_read_b64 v[18:19], v18
.LBB613_102:
	s_or_b64 exec, exec, s[8:9]
	v_cndmask_b32_e64 v21, 0, 1, s[14:15]
	v_cndmask_b32_e64 v20, 0, 1, s[18:19]
	;; [unrolled: 1-line block ×3, first 2 shown]
	v_lshlrev_b16_e32 v21, 8, v21
	v_lshlrev_b16_e32 v26, 8, v22
	v_or_b32_sdwa v27, v20, v21 dst_sel:WORD_1 dst_unused:UNUSED_PAD src0_sel:DWORD src1_sel:DWORD
	v_cmp_gt_u32_e32 vcc, s7, v1
	s_mov_b64 s[18:19], 0
	s_and_saveexec_b64 s[8:9], vcc
	s_cbranch_execz .LBB613_113
; %bb.103:
	s_and_b64 vcc, exec, s[0:1]
	s_mov_b64 s[14:15], 0
	s_cbranch_vccnz .LBB613_112
; %bb.104:
	s_waitcnt lgkmcnt(0)
	v_mul_lo_u32 v20, v19, s26
	v_mul_lo_u32 v21, v18, s27
	v_mad_u64_u32 v[18:19], s[0:1], v18, s26, 0
	v_add3_u32 v19, v19, v21, v20
	v_mul_lo_u32 v20, v15, s26
	v_mul_lo_u32 v21, v14, s27
	v_mad_u64_u32 v[24:25], s[0:1], v14, s26, 0
	v_add3_u32 v25, v25, v21, v20
	v_lshlrev_b64 v[20:21], 3, v[18:19]
	v_mov_b32_e32 v18, s29
	v_add_co_u32_e32 v22, vcc, s28, v20
	v_addc_co_u32_e64 v23, s[0:1], v18, v21, vcc
	v_lshlrev_b64 v[18:19], 3, v[24:25]
	v_mov_b32_e32 v20, s29
	v_add_co_u32_e64 v24, s[0:1], s28, v18
	v_addc_co_u32_e64 v25, s[2:3], v20, v19, s[0:1]
	global_load_dwordx2 v[28:29], v[22:23], off
	global_load_dwordx2 v[30:31], v[24:25], off
	s_mov_b64 s[14:15], -1
	s_waitcnt vmcnt(0)
	v_cmp_eq_u64_e64 s[2:3], v[28:29], v[30:31]
	s_and_saveexec_b64 s[12:13], s[2:3]
	s_cbranch_execz .LBB613_111
; %bb.105:
	v_mov_b32_e32 v18, s29
	v_addc_co_u32_e64 v19, s[0:1], v19, v18, s[0:1]
	v_add_co_u32_e64 v18, s[0:1], 8, v24
	v_mov_b32_e32 v20, s29
	v_addc_co_u32_e64 v19, s[0:1], 0, v19, s[0:1]
	v_addc_co_u32_e32 v21, vcc, v21, v20, vcc
	v_add_co_u32_e32 v20, vcc, 8, v22
	s_add_u32 s0, s26, -1
	v_addc_co_u32_e32 v21, vcc, 0, v21, vcc
	s_addc_u32 s1, s27, -1
	s_mov_b64 s[2:3], 0
                                        ; implicit-def: $sgpr14_sgpr15
	s_branch .LBB613_108
.LBB613_106:                            ;   in Loop: Header=BB613_108 Depth=1
	global_load_dwordx2 v[22:23], v[20:21], off
	global_load_dwordx2 v[24:25], v[18:19], off
	v_add_co_u32_e32 v18, vcc, 8, v18
	v_addc_co_u32_e32 v19, vcc, 0, v19, vcc
	v_add_co_u32_e32 v20, vcc, 8, v20
	v_addc_co_u32_e32 v21, vcc, 0, v21, vcc
	s_add_u32 s18, s18, 1
	s_addc_u32 s19, s19, 0
	s_andn2_b64 s[14:15], s[14:15], exec
	s_waitcnt vmcnt(0)
	v_cmp_ne_u64_e32 vcc, v[22:23], v[24:25]
	s_and_b64 s[36:37], vcc, exec
	s_or_b64 s[14:15], s[14:15], s[36:37]
.LBB613_107:                            ;   in Loop: Header=BB613_108 Depth=1
	s_and_b64 s[36:37], exec, s[14:15]
	s_or_b64 s[2:3], s[36:37], s[2:3]
	v_pk_mov_b32 v[22:23], s[18:19], s[18:19] op_sel:[0,1]
	s_andn2_b64 exec, exec, s[2:3]
	s_cbranch_execz .LBB613_110
.LBB613_108:                            ; =>This Inner Loop Header: Depth=1
	s_or_b64 s[14:15], s[14:15], exec
	s_cmp_eq_u64 s[0:1], s[18:19]
	s_cbranch_scc0 .LBB613_106
; %bb.109:                              ;   in Loop: Header=BB613_108 Depth=1
                                        ; implicit-def: $vgpr18_vgpr19
                                        ; implicit-def: $vgpr20_vgpr21
	s_mov_b64 s[18:19], s[26:27]
	s_branch .LBB613_107
.LBB613_110:
	s_or_b64 exec, exec, s[2:3]
	v_cmp_gt_i64_e32 vcc, s[26:27], v[22:23]
	s_orn2_b64 s[14:15], vcc, exec
.LBB613_111:
	s_or_b64 exec, exec, s[12:13]
.LBB613_112:
	s_and_b64 s[18:19], s[14:15], exec
.LBB613_113:
	s_or_b64 exec, exec, s[8:9]
	v_or_b32_e32 v28, v26, v27
.LBB613_114:
	s_waitcnt lgkmcnt(0)
	s_mov_b64 s[12:13], -1
	s_cbranch_execnz .LBB613_203
.LBB613_115:
	v_lshlrev_b32_e32 v29, 3, v0
	s_mov_b64 s[18:19], 0
	v_cmp_gt_i64_e64 s[14:15], s[26:27], 0
	s_and_b64 vcc, exec, s[34:35]
	ds_write_b64 v29, v[12:13]
	s_cbranch_vccz .LBB613_123
; %bb.116:
	v_mul_lo_u32 v20, v11, s26
	v_mul_lo_u32 v21, v10, s27
	v_mad_u64_u32 v[18:19], s[0:1], v10, s26, 0
	v_add3_u32 v19, v19, v21, v20
	v_cndmask_b32_e64 v20, 0, 1, s[14:15]
	v_cmp_ne_u32_e64 s[0:1], 1, v20
	s_andn2_b64 vcc, exec, s[14:15]
	v_lshlrev_b64 v[18:19], 3, v[18:19]
	s_cbranch_vccnz .LBB613_126
; %bb.117:
	v_mul_lo_u32 v22, v13, s26
	v_mul_lo_u32 v23, v12, s27
	v_mad_u64_u32 v[20:21], s[2:3], v12, s26, 0
	v_add3_u32 v21, v21, v23, v22
	v_mov_b32_e32 v23, s29
	v_add_co_u32_e32 v22, vcc, s28, v18
	v_addc_co_u32_e64 v23, s[2:3], v23, v19, vcc
	v_lshlrev_b64 v[20:21], 3, v[20:21]
	v_mov_b32_e32 v25, s29
	v_add_co_u32_e64 v24, s[2:3], s28, v20
	v_addc_co_u32_e64 v25, s[8:9], v25, v21, s[2:3]
	global_load_dwordx2 v[26:27], v[22:23], off
	global_load_dwordx2 v[30:31], v[24:25], off
	s_mov_b64 s[18:19], -1
	s_waitcnt vmcnt(0)
	v_cmp_eq_u64_e64 s[8:9], v[26:27], v[30:31]
	s_and_saveexec_b64 s[36:37], s[8:9]
	s_cbranch_execz .LBB613_125
; %bb.118:
	v_mov_b32_e32 v20, s29
	v_addc_co_u32_e64 v21, s[2:3], v21, v20, s[2:3]
	v_add_co_u32_e64 v20, s[2:3], 8, v24
	v_mov_b32_e32 v23, s29
	v_addc_co_u32_e64 v21, s[2:3], 0, v21, s[2:3]
	v_addc_co_u32_e32 v23, vcc, v19, v23, vcc
	v_add_co_u32_e32 v22, vcc, 8, v22
	s_add_u32 s2, s26, -1
	v_addc_co_u32_e32 v23, vcc, 0, v23, vcc
	s_addc_u32 s3, s27, -1
	s_mov_b64 s[8:9], 0
	s_mov_b64 s[38:39], 0
                                        ; implicit-def: $sgpr18_sgpr19
	s_branch .LBB613_121
.LBB613_119:                            ;   in Loop: Header=BB613_121 Depth=1
	global_load_dwordx2 v[24:25], v[22:23], off
	global_load_dwordx2 v[26:27], v[20:21], off
	v_add_co_u32_e32 v20, vcc, 8, v20
	v_addc_co_u32_e32 v21, vcc, 0, v21, vcc
	v_add_co_u32_e32 v22, vcc, 8, v22
	v_addc_co_u32_e32 v23, vcc, 0, v23, vcc
	s_add_u32 s38, s38, 1
	s_addc_u32 s39, s39, 0
	s_andn2_b64 s[18:19], s[18:19], exec
	s_waitcnt vmcnt(0)
	v_cmp_ne_u64_e32 vcc, v[24:25], v[26:27]
	s_and_b64 s[40:41], vcc, exec
	s_or_b64 s[18:19], s[18:19], s[40:41]
.LBB613_120:                            ;   in Loop: Header=BB613_121 Depth=1
	s_and_b64 s[40:41], exec, s[18:19]
	s_or_b64 s[8:9], s[40:41], s[8:9]
	v_pk_mov_b32 v[24:25], s[38:39], s[38:39] op_sel:[0,1]
	s_andn2_b64 exec, exec, s[8:9]
	s_cbranch_execz .LBB613_124
.LBB613_121:                            ; =>This Inner Loop Header: Depth=1
	s_or_b64 s[18:19], s[18:19], exec
	s_cmp_eq_u64 s[2:3], s[38:39]
	s_cbranch_scc0 .LBB613_119
; %bb.122:                              ;   in Loop: Header=BB613_121 Depth=1
                                        ; implicit-def: $vgpr20_vgpr21
                                        ; implicit-def: $vgpr22_vgpr23
	s_mov_b64 s[38:39], s[26:27]
	s_branch .LBB613_120
.LBB613_123:
                                        ; implicit-def: $sgpr18_sgpr19
                                        ; implicit-def: $vgpr28
	s_cbranch_execnz .LBB613_156
	s_branch .LBB613_203
.LBB613_124:
	s_or_b64 exec, exec, s[8:9]
	v_cmp_gt_i64_e32 vcc, s[26:27], v[24:25]
	s_orn2_b64 s[18:19], vcc, exec
.LBB613_125:
	s_or_b64 exec, exec, s[36:37]
.LBB613_126:
	v_mul_lo_u32 v22, v17, s26
	v_mul_lo_u32 v23, v16, s27
	v_mad_u64_u32 v[20:21], s[2:3], v16, s26, 0
	v_add3_u32 v21, v21, v23, v22
	s_mov_b64 s[36:37], 0
	s_and_b64 vcc, exec, s[0:1]
	v_lshlrev_b64 v[20:21], 3, v[20:21]
	s_mov_b64 s[38:39], 0
	s_cbranch_vccnz .LBB613_135
; %bb.127:
	v_mov_b32_e32 v23, s29
	v_add_co_u32_e32 v22, vcc, s28, v20
	v_addc_co_u32_e64 v23, s[2:3], v23, v21, vcc
	v_mov_b32_e32 v25, s29
	v_add_co_u32_e64 v24, s[2:3], s28, v18
	v_addc_co_u32_e64 v25, s[8:9], v25, v19, s[2:3]
	global_load_dwordx2 v[26:27], v[22:23], off
	global_load_dwordx2 v[30:31], v[24:25], off
	s_mov_b64 s[38:39], -1
	s_waitcnt vmcnt(0)
	v_cmp_eq_u64_e64 s[8:9], v[26:27], v[30:31]
	s_and_saveexec_b64 s[40:41], s[8:9]
	s_cbranch_execz .LBB613_134
; %bb.128:
	v_mov_b32_e32 v18, s29
	v_addc_co_u32_e64 v19, s[2:3], v19, v18, s[2:3]
	v_add_co_u32_e64 v18, s[2:3], 8, v24
	v_mov_b32_e32 v23, s29
	v_addc_co_u32_e64 v19, s[2:3], 0, v19, s[2:3]
	v_addc_co_u32_e32 v23, vcc, v21, v23, vcc
	v_add_co_u32_e32 v22, vcc, 8, v22
	s_add_u32 s2, s26, -1
	v_addc_co_u32_e32 v23, vcc, 0, v23, vcc
	s_addc_u32 s3, s27, -1
	s_mov_b64 s[8:9], 0
	s_mov_b64 s[42:43], 0
                                        ; implicit-def: $sgpr38_sgpr39
	s_branch .LBB613_131
.LBB613_129:                            ;   in Loop: Header=BB613_131 Depth=1
	global_load_dwordx2 v[24:25], v[22:23], off
	global_load_dwordx2 v[26:27], v[18:19], off
	v_add_co_u32_e32 v18, vcc, 8, v18
	v_addc_co_u32_e32 v19, vcc, 0, v19, vcc
	v_add_co_u32_e32 v22, vcc, 8, v22
	v_addc_co_u32_e32 v23, vcc, 0, v23, vcc
	s_add_u32 s42, s42, 1
	s_addc_u32 s43, s43, 0
	s_andn2_b64 s[38:39], s[38:39], exec
	s_waitcnt vmcnt(0)
	v_cmp_ne_u64_e32 vcc, v[24:25], v[26:27]
	s_and_b64 s[44:45], vcc, exec
	s_or_b64 s[38:39], s[38:39], s[44:45]
.LBB613_130:                            ;   in Loop: Header=BB613_131 Depth=1
	s_and_b64 s[44:45], exec, s[38:39]
	s_or_b64 s[8:9], s[44:45], s[8:9]
	v_pk_mov_b32 v[24:25], s[42:43], s[42:43] op_sel:[0,1]
	s_andn2_b64 exec, exec, s[8:9]
	s_cbranch_execz .LBB613_133
.LBB613_131:                            ; =>This Inner Loop Header: Depth=1
	s_or_b64 s[38:39], s[38:39], exec
	s_cmp_eq_u64 s[2:3], s[42:43]
	s_cbranch_scc0 .LBB613_129
; %bb.132:                              ;   in Loop: Header=BB613_131 Depth=1
                                        ; implicit-def: $vgpr18_vgpr19
                                        ; implicit-def: $vgpr22_vgpr23
	s_mov_b64 s[42:43], s[26:27]
	s_branch .LBB613_130
.LBB613_133:
	s_or_b64 exec, exec, s[8:9]
	v_cmp_gt_i64_e32 vcc, s[26:27], v[24:25]
	s_orn2_b64 s[38:39], vcc, exec
.LBB613_134:
	s_or_b64 exec, exec, s[40:41]
.LBB613_135:
	v_mul_lo_u32 v22, v15, s26
	v_mul_lo_u32 v23, v14, s27
	v_mad_u64_u32 v[18:19], s[2:3], v14, s26, 0
	s_and_b64 vcc, exec, s[0:1]
	v_add3_u32 v19, v19, v23, v22
	s_cbranch_vccnz .LBB613_144
; %bb.136:
	v_lshlrev_b64 v[22:23], 3, v[18:19]
	v_mov_b32_e32 v25, s29
	v_add_co_u32_e32 v24, vcc, s28, v22
	v_addc_co_u32_e64 v25, s[2:3], v25, v23, vcc
	v_mov_b32_e32 v22, s29
	v_add_co_u32_e64 v26, s[2:3], s28, v20
	v_addc_co_u32_e64 v27, s[8:9], v22, v21, s[2:3]
	global_load_dwordx2 v[30:31], v[24:25], off
	global_load_dwordx2 v[32:33], v[26:27], off
	s_mov_b64 s[36:37], -1
	s_waitcnt vmcnt(0)
	v_cmp_eq_u64_e64 s[8:9], v[30:31], v[32:33]
	s_and_saveexec_b64 s[40:41], s[8:9]
	s_cbranch_execz .LBB613_143
; %bb.137:
	v_mov_b32_e32 v20, s29
	v_addc_co_u32_e64 v21, s[2:3], v21, v20, s[2:3]
	v_add_co_u32_e64 v20, s[2:3], 8, v26
	v_mov_b32_e32 v22, s29
	v_addc_co_u32_e64 v21, s[2:3], 0, v21, s[2:3]
	v_addc_co_u32_e32 v23, vcc, v23, v22, vcc
	v_add_co_u32_e32 v22, vcc, 8, v24
	s_add_u32 s2, s26, -1
	v_addc_co_u32_e32 v23, vcc, 0, v23, vcc
	s_addc_u32 s3, s27, -1
	s_mov_b64 s[8:9], 0
	s_mov_b64 s[42:43], 0
                                        ; implicit-def: $sgpr36_sgpr37
	s_branch .LBB613_140
.LBB613_138:                            ;   in Loop: Header=BB613_140 Depth=1
	global_load_dwordx2 v[24:25], v[22:23], off
	global_load_dwordx2 v[26:27], v[20:21], off
	v_add_co_u32_e32 v20, vcc, 8, v20
	v_addc_co_u32_e32 v21, vcc, 0, v21, vcc
	v_add_co_u32_e32 v22, vcc, 8, v22
	v_addc_co_u32_e32 v23, vcc, 0, v23, vcc
	s_add_u32 s42, s42, 1
	s_addc_u32 s43, s43, 0
	s_andn2_b64 s[36:37], s[36:37], exec
	s_waitcnt vmcnt(0)
	v_cmp_ne_u64_e32 vcc, v[24:25], v[26:27]
	s_and_b64 s[44:45], vcc, exec
	s_or_b64 s[36:37], s[36:37], s[44:45]
.LBB613_139:                            ;   in Loop: Header=BB613_140 Depth=1
	s_and_b64 s[44:45], exec, s[36:37]
	s_or_b64 s[8:9], s[44:45], s[8:9]
	v_pk_mov_b32 v[24:25], s[42:43], s[42:43] op_sel:[0,1]
	s_andn2_b64 exec, exec, s[8:9]
	s_cbranch_execz .LBB613_142
.LBB613_140:                            ; =>This Inner Loop Header: Depth=1
	s_or_b64 s[36:37], s[36:37], exec
	s_cmp_eq_u64 s[2:3], s[42:43]
	s_cbranch_scc0 .LBB613_138
; %bb.141:                              ;   in Loop: Header=BB613_140 Depth=1
                                        ; implicit-def: $vgpr20_vgpr21
                                        ; implicit-def: $vgpr22_vgpr23
	s_mov_b64 s[42:43], s[26:27]
	s_branch .LBB613_139
.LBB613_142:
	s_or_b64 exec, exec, s[8:9]
	v_cmp_gt_i64_e32 vcc, s[26:27], v[24:25]
	s_orn2_b64 s[36:37], vcc, exec
.LBB613_143:
	s_or_b64 exec, exec, s[40:41]
.LBB613_144:
	v_cndmask_b32_e64 v21, 0, 1, s[18:19]
	v_cndmask_b32_e64 v22, 0, 1, s[36:37]
	;; [unrolled: 1-line block ×3, first 2 shown]
	v_lshlrev_b16_e32 v22, 8, v22
	v_lshlrev_b16_e32 v21, 8, v21
	v_or_b32_e32 v22, 1, v22
	v_or_b32_sdwa v20, v20, v21 dst_sel:WORD_1 dst_unused:UNUSED_PAD src0_sel:DWORD src1_sel:DWORD
	v_or_b32_sdwa v28, v22, v20 dst_sel:DWORD dst_unused:UNUSED_PAD src0_sel:WORD_0 src1_sel:DWORD
	v_cmp_ne_u32_e32 vcc, 0, v0
	s_waitcnt lgkmcnt(0)
	s_barrier
	s_waitcnt lgkmcnt(0)
                                        ; implicit-def: $sgpr18_sgpr19
	s_and_saveexec_b64 s[2:3], vcc
	s_xor_b64 s[8:9], exec, s[2:3]
	s_cbranch_execz .LBB613_155
; %bb.145:
	s_and_b64 vcc, exec, s[0:1]
	s_mov_b64 s[36:37], 0
	s_cbranch_vccnz .LBB613_154
; %bb.146:
	v_add_u32_e32 v20, -8, v29
	ds_read_b64 v[20:21], v20
	v_mov_b32_e32 v23, s29
	v_lshlrev_b64 v[18:19], 3, v[18:19]
	s_mov_b64 s[36:37], -1
	s_waitcnt lgkmcnt(0)
	v_mul_lo_u32 v22, v21, s26
	v_mul_lo_u32 v24, v20, s27
	v_mad_u64_u32 v[20:21], s[0:1], v20, s26, 0
	v_add3_u32 v21, v21, v24, v22
	v_lshlrev_b64 v[20:21], 3, v[20:21]
	v_add_co_u32_e32 v22, vcc, s28, v20
	v_addc_co_u32_e64 v23, s[0:1], v23, v21, vcc
	v_mov_b32_e32 v20, s29
	v_add_co_u32_e64 v24, s[0:1], s28, v18
	v_addc_co_u32_e64 v25, s[2:3], v20, v19, s[0:1]
	global_load_dwordx2 v[26:27], v[22:23], off
	global_load_dwordx2 v[30:31], v[24:25], off
	s_waitcnt vmcnt(0)
	v_cmp_eq_u64_e64 s[2:3], v[26:27], v[30:31]
	s_and_saveexec_b64 s[18:19], s[2:3]
	s_cbranch_execz .LBB613_153
; %bb.147:
	v_mov_b32_e32 v18, s29
	v_addc_co_u32_e64 v19, s[0:1], v19, v18, s[0:1]
	v_add_co_u32_e64 v18, s[0:1], 8, v24
	v_mov_b32_e32 v20, s29
	v_addc_co_u32_e64 v19, s[0:1], 0, v19, s[0:1]
	v_addc_co_u32_e32 v21, vcc, v21, v20, vcc
	v_add_co_u32_e32 v20, vcc, 8, v22
	s_add_u32 s0, s26, -1
	v_addc_co_u32_e32 v21, vcc, 0, v21, vcc
	s_addc_u32 s1, s27, -1
	s_mov_b64 s[2:3], 0
	s_mov_b64 s[38:39], 0
                                        ; implicit-def: $sgpr36_sgpr37
	s_branch .LBB613_150
.LBB613_148:                            ;   in Loop: Header=BB613_150 Depth=1
	global_load_dwordx2 v[22:23], v[20:21], off
	global_load_dwordx2 v[24:25], v[18:19], off
	v_add_co_u32_e32 v18, vcc, 8, v18
	v_addc_co_u32_e32 v19, vcc, 0, v19, vcc
	v_add_co_u32_e32 v20, vcc, 8, v20
	v_addc_co_u32_e32 v21, vcc, 0, v21, vcc
	s_add_u32 s38, s38, 1
	s_addc_u32 s39, s39, 0
	s_andn2_b64 s[36:37], s[36:37], exec
	s_waitcnt vmcnt(0)
	v_cmp_ne_u64_e32 vcc, v[22:23], v[24:25]
	s_and_b64 s[40:41], vcc, exec
	s_or_b64 s[36:37], s[36:37], s[40:41]
.LBB613_149:                            ;   in Loop: Header=BB613_150 Depth=1
	s_and_b64 s[40:41], exec, s[36:37]
	s_or_b64 s[2:3], s[40:41], s[2:3]
	v_pk_mov_b32 v[22:23], s[38:39], s[38:39] op_sel:[0,1]
	s_andn2_b64 exec, exec, s[2:3]
	s_cbranch_execz .LBB613_152
.LBB613_150:                            ; =>This Inner Loop Header: Depth=1
	s_or_b64 s[36:37], s[36:37], exec
	s_cmp_eq_u64 s[0:1], s[38:39]
	s_cbranch_scc0 .LBB613_148
; %bb.151:                              ;   in Loop: Header=BB613_150 Depth=1
                                        ; implicit-def: $vgpr18_vgpr19
                                        ; implicit-def: $vgpr20_vgpr21
	s_mov_b64 s[38:39], s[26:27]
	s_branch .LBB613_149
.LBB613_152:
	s_or_b64 exec, exec, s[2:3]
	v_cmp_gt_i64_e32 vcc, s[26:27], v[22:23]
	s_orn2_b64 s[36:37], vcc, exec
.LBB613_153:
	s_or_b64 exec, exec, s[18:19]
.LBB613_154:
	s_and_b64 s[18:19], s[36:37], exec
	s_or_b64 s[12:13], s[12:13], exec
.LBB613_155:
	s_or_b64 exec, exec, s[8:9]
	s_branch .LBB613_203
.LBB613_156:
	v_or_b32_e32 v18, 3, v1
	v_cmp_gt_u32_e32 vcc, s7, v18
	s_mov_b64 s[18:19], 0
	s_mov_b64 s[8:9], 0
	s_and_saveexec_b64 s[36:37], vcc
	s_cbranch_execz .LBB613_167
; %bb.157:
	s_andn2_b64 vcc, exec, s[14:15]
	s_mov_b64 s[38:39], 0
	s_cbranch_vccnz .LBB613_166
; %bb.158:
	v_mul_lo_u32 v20, v11, s26
	v_mul_lo_u32 v21, v10, s27
	v_mad_u64_u32 v[18:19], s[0:1], v10, s26, 0
	v_add3_u32 v19, v19, v21, v20
	v_mul_lo_u32 v20, v13, s26
	v_mul_lo_u32 v21, v12, s27
	v_mad_u64_u32 v[24:25], s[0:1], v12, s26, 0
	v_add3_u32 v25, v25, v21, v20
	v_lshlrev_b64 v[20:21], 3, v[18:19]
	v_mov_b32_e32 v18, s29
	v_add_co_u32_e32 v22, vcc, s28, v20
	v_addc_co_u32_e64 v23, s[0:1], v18, v21, vcc
	v_lshlrev_b64 v[18:19], 3, v[24:25]
	v_mov_b32_e32 v20, s29
	v_add_co_u32_e64 v24, s[0:1], s28, v18
	v_addc_co_u32_e64 v25, s[2:3], v20, v19, s[0:1]
	global_load_dwordx2 v[26:27], v[22:23], off
	global_load_dwordx2 v[30:31], v[24:25], off
	s_mov_b64 s[38:39], -1
	s_waitcnt vmcnt(0)
	v_cmp_eq_u64_e64 s[2:3], v[26:27], v[30:31]
	s_and_saveexec_b64 s[8:9], s[2:3]
	s_cbranch_execz .LBB613_165
; %bb.159:
	v_mov_b32_e32 v18, s29
	v_addc_co_u32_e64 v19, s[0:1], v19, v18, s[0:1]
	v_add_co_u32_e64 v18, s[0:1], 8, v24
	v_mov_b32_e32 v20, s29
	v_addc_co_u32_e64 v19, s[0:1], 0, v19, s[0:1]
	v_addc_co_u32_e32 v21, vcc, v21, v20, vcc
	v_add_co_u32_e32 v20, vcc, 8, v22
	s_add_u32 s0, s26, -1
	v_addc_co_u32_e32 v21, vcc, 0, v21, vcc
	s_addc_u32 s1, s27, -1
	s_mov_b64 s[2:3], 0
	s_mov_b64 s[40:41], 0
                                        ; implicit-def: $sgpr38_sgpr39
	s_branch .LBB613_162
.LBB613_160:                            ;   in Loop: Header=BB613_162 Depth=1
	global_load_dwordx2 v[22:23], v[20:21], off
	global_load_dwordx2 v[24:25], v[18:19], off
	v_add_co_u32_e32 v18, vcc, 8, v18
	v_addc_co_u32_e32 v19, vcc, 0, v19, vcc
	v_add_co_u32_e32 v20, vcc, 8, v20
	v_addc_co_u32_e32 v21, vcc, 0, v21, vcc
	s_add_u32 s40, s40, 1
	s_addc_u32 s41, s41, 0
	s_andn2_b64 s[38:39], s[38:39], exec
	s_waitcnt vmcnt(0)
	v_cmp_ne_u64_e32 vcc, v[22:23], v[24:25]
	s_and_b64 s[42:43], vcc, exec
	s_or_b64 s[38:39], s[38:39], s[42:43]
.LBB613_161:                            ;   in Loop: Header=BB613_162 Depth=1
	s_and_b64 s[42:43], exec, s[38:39]
	s_or_b64 s[2:3], s[42:43], s[2:3]
	v_pk_mov_b32 v[22:23], s[40:41], s[40:41] op_sel:[0,1]
	s_andn2_b64 exec, exec, s[2:3]
	s_cbranch_execz .LBB613_164
.LBB613_162:                            ; =>This Inner Loop Header: Depth=1
	s_or_b64 s[38:39], s[38:39], exec
	s_cmp_eq_u64 s[0:1], s[40:41]
	s_cbranch_scc0 .LBB613_160
; %bb.163:                              ;   in Loop: Header=BB613_162 Depth=1
                                        ; implicit-def: $vgpr18_vgpr19
                                        ; implicit-def: $vgpr20_vgpr21
	s_mov_b64 s[40:41], s[26:27]
	s_branch .LBB613_161
.LBB613_164:
	s_or_b64 exec, exec, s[2:3]
	v_cmp_gt_i64_e32 vcc, s[26:27], v[22:23]
	s_orn2_b64 s[38:39], vcc, exec
.LBB613_165:
	s_or_b64 exec, exec, s[8:9]
.LBB613_166:
	s_and_b64 s[8:9], s[38:39], exec
.LBB613_167:
	s_or_b64 exec, exec, s[36:37]
	v_or_b32_e32 v18, 2, v1
	v_cmp_gt_u32_e32 vcc, s7, v18
	s_and_saveexec_b64 s[36:37], vcc
	s_cbranch_execz .LBB613_178
; %bb.168:
	s_andn2_b64 vcc, exec, s[14:15]
	s_mov_b64 s[38:39], 0
	s_cbranch_vccnz .LBB613_177
; %bb.169:
	v_mul_lo_u32 v20, v17, s26
	v_mul_lo_u32 v21, v16, s27
	v_mad_u64_u32 v[18:19], s[0:1], v16, s26, 0
	v_add3_u32 v19, v19, v21, v20
	v_mul_lo_u32 v20, v11, s26
	v_mul_lo_u32 v21, v10, s27
	v_mad_u64_u32 v[24:25], s[0:1], v10, s26, 0
	v_add3_u32 v25, v25, v21, v20
	v_lshlrev_b64 v[20:21], 3, v[18:19]
	v_mov_b32_e32 v18, s29
	v_add_co_u32_e32 v22, vcc, s28, v20
	v_addc_co_u32_e64 v23, s[0:1], v18, v21, vcc
	v_lshlrev_b64 v[18:19], 3, v[24:25]
	v_mov_b32_e32 v20, s29
	v_add_co_u32_e64 v24, s[0:1], s28, v18
	v_addc_co_u32_e64 v25, s[2:3], v20, v19, s[0:1]
	global_load_dwordx2 v[26:27], v[22:23], off
	global_load_dwordx2 v[30:31], v[24:25], off
	s_mov_b64 s[38:39], -1
	s_waitcnt vmcnt(0)
	v_cmp_eq_u64_e64 s[2:3], v[26:27], v[30:31]
	s_and_saveexec_b64 s[18:19], s[2:3]
	s_cbranch_execz .LBB613_176
; %bb.170:
	v_mov_b32_e32 v18, s29
	v_addc_co_u32_e64 v19, s[0:1], v19, v18, s[0:1]
	v_add_co_u32_e64 v18, s[0:1], 8, v24
	v_mov_b32_e32 v20, s29
	v_addc_co_u32_e64 v19, s[0:1], 0, v19, s[0:1]
	v_addc_co_u32_e32 v21, vcc, v21, v20, vcc
	v_add_co_u32_e32 v20, vcc, 8, v22
	s_add_u32 s0, s26, -1
	v_addc_co_u32_e32 v21, vcc, 0, v21, vcc
	s_addc_u32 s1, s27, -1
	s_mov_b64 s[2:3], 0
	s_mov_b64 s[40:41], 0
                                        ; implicit-def: $sgpr38_sgpr39
	s_branch .LBB613_173
.LBB613_171:                            ;   in Loop: Header=BB613_173 Depth=1
	global_load_dwordx2 v[22:23], v[20:21], off
	global_load_dwordx2 v[24:25], v[18:19], off
	v_add_co_u32_e32 v18, vcc, 8, v18
	v_addc_co_u32_e32 v19, vcc, 0, v19, vcc
	v_add_co_u32_e32 v20, vcc, 8, v20
	v_addc_co_u32_e32 v21, vcc, 0, v21, vcc
	s_add_u32 s40, s40, 1
	s_addc_u32 s41, s41, 0
	s_andn2_b64 s[38:39], s[38:39], exec
	s_waitcnt vmcnt(0)
	v_cmp_ne_u64_e32 vcc, v[22:23], v[24:25]
	s_and_b64 s[42:43], vcc, exec
	s_or_b64 s[38:39], s[38:39], s[42:43]
.LBB613_172:                            ;   in Loop: Header=BB613_173 Depth=1
	s_and_b64 s[42:43], exec, s[38:39]
	s_or_b64 s[2:3], s[42:43], s[2:3]
	v_pk_mov_b32 v[22:23], s[40:41], s[40:41] op_sel:[0,1]
	s_andn2_b64 exec, exec, s[2:3]
	s_cbranch_execz .LBB613_175
.LBB613_173:                            ; =>This Inner Loop Header: Depth=1
	s_or_b64 s[38:39], s[38:39], exec
	s_cmp_eq_u64 s[0:1], s[40:41]
	s_cbranch_scc0 .LBB613_171
; %bb.174:                              ;   in Loop: Header=BB613_173 Depth=1
                                        ; implicit-def: $vgpr18_vgpr19
                                        ; implicit-def: $vgpr20_vgpr21
	s_mov_b64 s[40:41], s[26:27]
	s_branch .LBB613_172
.LBB613_175:
	s_or_b64 exec, exec, s[2:3]
	v_cmp_gt_i64_e32 vcc, s[26:27], v[22:23]
	s_orn2_b64 s[38:39], vcc, exec
.LBB613_176:
	s_or_b64 exec, exec, s[18:19]
.LBB613_177:
	s_and_b64 s[18:19], s[38:39], exec
.LBB613_178:
	s_or_b64 exec, exec, s[36:37]
	v_or_b32_e32 v18, 1, v1
	v_cmp_gt_u32_e32 vcc, s7, v18
	s_mov_b64 s[0:1], 0
	s_and_saveexec_b64 s[36:37], vcc
	s_cbranch_execz .LBB613_189
; %bb.179:
	s_andn2_b64 vcc, exec, s[14:15]
	s_mov_b64 s[40:41], 0
	s_cbranch_vccnz .LBB613_188
; %bb.180:
	v_mul_lo_u32 v20, v15, s26
	v_mul_lo_u32 v21, v14, s27
	v_mad_u64_u32 v[18:19], s[0:1], v14, s26, 0
	v_add3_u32 v19, v19, v21, v20
	v_mul_lo_u32 v20, v17, s26
	v_mul_lo_u32 v21, v16, s27
	v_mad_u64_u32 v[24:25], s[0:1], v16, s26, 0
	v_add3_u32 v25, v25, v21, v20
	v_lshlrev_b64 v[20:21], 3, v[18:19]
	v_mov_b32_e32 v18, s29
	v_add_co_u32_e32 v22, vcc, s28, v20
	v_addc_co_u32_e64 v23, s[0:1], v18, v21, vcc
	v_lshlrev_b64 v[18:19], 3, v[24:25]
	v_mov_b32_e32 v20, s29
	v_add_co_u32_e64 v24, s[0:1], s28, v18
	v_addc_co_u32_e64 v25, s[2:3], v20, v19, s[0:1]
	global_load_dwordx2 v[26:27], v[22:23], off
	global_load_dwordx2 v[30:31], v[24:25], off
	s_mov_b64 s[40:41], -1
	s_waitcnt vmcnt(0)
	v_cmp_eq_u64_e64 s[2:3], v[26:27], v[30:31]
	s_and_saveexec_b64 s[38:39], s[2:3]
	s_cbranch_execz .LBB613_187
; %bb.181:
	v_mov_b32_e32 v18, s29
	v_addc_co_u32_e64 v19, s[0:1], v19, v18, s[0:1]
	v_add_co_u32_e64 v18, s[0:1], 8, v24
	v_mov_b32_e32 v20, s29
	v_addc_co_u32_e64 v19, s[0:1], 0, v19, s[0:1]
	v_addc_co_u32_e32 v21, vcc, v21, v20, vcc
	v_add_co_u32_e32 v20, vcc, 8, v22
	s_add_u32 s0, s26, -1
	v_addc_co_u32_e32 v21, vcc, 0, v21, vcc
	s_addc_u32 s1, s27, -1
	s_mov_b64 s[2:3], 0
	s_mov_b64 s[42:43], 0
                                        ; implicit-def: $sgpr40_sgpr41
	s_branch .LBB613_184
.LBB613_182:                            ;   in Loop: Header=BB613_184 Depth=1
	global_load_dwordx2 v[22:23], v[20:21], off
	global_load_dwordx2 v[24:25], v[18:19], off
	v_add_co_u32_e32 v18, vcc, 8, v18
	v_addc_co_u32_e32 v19, vcc, 0, v19, vcc
	v_add_co_u32_e32 v20, vcc, 8, v20
	v_addc_co_u32_e32 v21, vcc, 0, v21, vcc
	s_add_u32 s42, s42, 1
	s_addc_u32 s43, s43, 0
	s_andn2_b64 s[40:41], s[40:41], exec
	s_waitcnt vmcnt(0)
	v_cmp_ne_u64_e32 vcc, v[22:23], v[24:25]
	s_and_b64 s[44:45], vcc, exec
	s_or_b64 s[40:41], s[40:41], s[44:45]
.LBB613_183:                            ;   in Loop: Header=BB613_184 Depth=1
	s_and_b64 s[44:45], exec, s[40:41]
	s_or_b64 s[2:3], s[44:45], s[2:3]
	v_pk_mov_b32 v[22:23], s[42:43], s[42:43] op_sel:[0,1]
	s_andn2_b64 exec, exec, s[2:3]
	s_cbranch_execz .LBB613_186
.LBB613_184:                            ; =>This Inner Loop Header: Depth=1
	s_or_b64 s[40:41], s[40:41], exec
	s_cmp_eq_u64 s[0:1], s[42:43]
	s_cbranch_scc0 .LBB613_182
; %bb.185:                              ;   in Loop: Header=BB613_184 Depth=1
                                        ; implicit-def: $vgpr18_vgpr19
                                        ; implicit-def: $vgpr20_vgpr21
	s_mov_b64 s[42:43], s[26:27]
	s_branch .LBB613_183
.LBB613_186:
	s_or_b64 exec, exec, s[2:3]
	v_cmp_gt_i64_e32 vcc, s[26:27], v[22:23]
	s_orn2_b64 s[40:41], vcc, exec
.LBB613_187:
	s_or_b64 exec, exec, s[38:39]
.LBB613_188:
	s_and_b64 s[0:1], s[40:41], exec
.LBB613_189:
	s_or_b64 exec, exec, s[36:37]
	v_cndmask_b32_e64 v19, 0, 1, s[8:9]
	v_cndmask_b32_e64 v20, 0, 1, s[0:1]
	;; [unrolled: 1-line block ×3, first 2 shown]
	v_lshlrev_b16_e32 v20, 8, v20
	v_lshlrev_b16_e32 v19, 8, v19
	v_or_b32_e32 v20, 1, v20
	v_or_b32_sdwa v18, v18, v19 dst_sel:WORD_1 dst_unused:UNUSED_PAD src0_sel:DWORD src1_sel:DWORD
	v_or_b32_sdwa v28, v20, v18 dst_sel:DWORD dst_unused:UNUSED_PAD src0_sel:WORD_0 src1_sel:DWORD
	v_cmp_ne_u32_e32 vcc, 0, v0
	s_waitcnt lgkmcnt(0)
	s_barrier
	s_waitcnt lgkmcnt(0)
                                        ; implicit-def: $sgpr18_sgpr19
	s_and_saveexec_b64 s[8:9], vcc
	s_cbranch_execz .LBB613_202
; %bb.190:
	v_cmp_gt_u32_e32 vcc, s7, v1
	s_mov_b64 s[0:1], 0
	s_and_saveexec_b64 s[18:19], vcc
	s_cbranch_execz .LBB613_201
; %bb.191:
	s_andn2_b64 vcc, exec, s[14:15]
	s_mov_b64 s[36:37], 0
	s_cbranch_vccnz .LBB613_200
; %bb.192:
	v_add_u32_e32 v18, -8, v29
	ds_read_b64 v[18:19], v18
	v_mul_lo_u32 v20, v15, s26
	v_mad_u64_u32 v[24:25], s[0:1], v14, s26, 0
	s_mov_b64 s[36:37], -1
	s_waitcnt lgkmcnt(0)
	v_mul_lo_u32 v21, v19, s26
	v_mul_lo_u32 v22, v18, s27
	v_mad_u64_u32 v[18:19], s[0:1], v18, s26, 0
	v_add3_u32 v19, v19, v22, v21
	v_mul_lo_u32 v21, v14, s27
	v_add3_u32 v25, v25, v21, v20
	v_lshlrev_b64 v[20:21], 3, v[18:19]
	v_mov_b32_e32 v18, s29
	v_add_co_u32_e32 v22, vcc, s28, v20
	v_addc_co_u32_e64 v23, s[0:1], v18, v21, vcc
	v_lshlrev_b64 v[18:19], 3, v[24:25]
	v_mov_b32_e32 v20, s29
	v_add_co_u32_e64 v24, s[0:1], s28, v18
	v_addc_co_u32_e64 v25, s[2:3], v20, v19, s[0:1]
	global_load_dwordx2 v[26:27], v[22:23], off
	global_load_dwordx2 v[30:31], v[24:25], off
	s_waitcnt vmcnt(0)
	v_cmp_eq_u64_e64 s[2:3], v[26:27], v[30:31]
	s_and_saveexec_b64 s[14:15], s[2:3]
	s_cbranch_execz .LBB613_199
; %bb.193:
	v_mov_b32_e32 v18, s29
	v_addc_co_u32_e64 v19, s[0:1], v19, v18, s[0:1]
	v_add_co_u32_e64 v18, s[0:1], 8, v24
	v_mov_b32_e32 v20, s29
	v_addc_co_u32_e64 v19, s[0:1], 0, v19, s[0:1]
	v_addc_co_u32_e32 v21, vcc, v21, v20, vcc
	v_add_co_u32_e32 v20, vcc, 8, v22
	s_add_u32 s0, s26, -1
	v_addc_co_u32_e32 v21, vcc, 0, v21, vcc
	s_addc_u32 s1, s27, -1
	s_mov_b64 s[2:3], 0
	s_mov_b64 s[36:37], 0
                                        ; implicit-def: $sgpr28_sgpr29
	s_branch .LBB613_196
.LBB613_194:                            ;   in Loop: Header=BB613_196 Depth=1
	global_load_dwordx2 v[22:23], v[20:21], off
	global_load_dwordx2 v[24:25], v[18:19], off
	v_add_co_u32_e32 v18, vcc, 8, v18
	v_addc_co_u32_e32 v19, vcc, 0, v19, vcc
	v_add_co_u32_e32 v20, vcc, 8, v20
	v_addc_co_u32_e32 v21, vcc, 0, v21, vcc
	s_add_u32 s36, s36, 1
	s_addc_u32 s37, s37, 0
	s_andn2_b64 s[28:29], s[28:29], exec
	s_waitcnt vmcnt(0)
	v_cmp_ne_u64_e32 vcc, v[22:23], v[24:25]
	s_and_b64 s[38:39], vcc, exec
	s_or_b64 s[28:29], s[28:29], s[38:39]
.LBB613_195:                            ;   in Loop: Header=BB613_196 Depth=1
	s_and_b64 s[38:39], exec, s[28:29]
	s_or_b64 s[2:3], s[38:39], s[2:3]
	v_pk_mov_b32 v[22:23], s[36:37], s[36:37] op_sel:[0,1]
	s_andn2_b64 exec, exec, s[2:3]
	s_cbranch_execz .LBB613_198
.LBB613_196:                            ; =>This Inner Loop Header: Depth=1
	s_or_b64 s[28:29], s[28:29], exec
	s_cmp_eq_u64 s[0:1], s[36:37]
	s_cbranch_scc0 .LBB613_194
; %bb.197:                              ;   in Loop: Header=BB613_196 Depth=1
                                        ; implicit-def: $vgpr18_vgpr19
                                        ; implicit-def: $vgpr20_vgpr21
	s_mov_b64 s[36:37], s[26:27]
	s_branch .LBB613_195
.LBB613_198:
	s_or_b64 exec, exec, s[2:3]
	v_cmp_gt_i64_e32 vcc, s[26:27], v[22:23]
	s_orn2_b64 s[36:37], vcc, exec
.LBB613_199:
	s_or_b64 exec, exec, s[14:15]
.LBB613_200:
	s_and_b64 s[0:1], s[36:37], exec
.LBB613_201:
	s_or_b64 exec, exec, s[18:19]
	s_and_b64 s[18:19], s[0:1], exec
	s_or_b64 s[12:13], s[12:13], exec
.LBB613_202:
	s_or_b64 exec, exec, s[8:9]
.LBB613_203:
	s_and_saveexec_b64 s[0:1], s[12:13]
; %bb.204:
	v_and_b32_e32 v18, 0xffffff00, v28
	v_cndmask_b32_e64 v19, 0, 1, s[18:19]
	v_or_b32_e32 v18, v19, v18
	v_and_b32_e32 v18, 0xffff, v18
	s_mov_b32 s2, 0xffff0000
	v_and_or_b32 v28, v28, s2, v18
; %bb.205:
	s_or_b64 exec, exec, s[0:1]
	s_andn2_b64 vcc, exec, s[10:11]
	s_cbranch_vccnz .LBB613_207
; %bb.206:
	v_cmp_gt_u32_e32 vcc, s7, v1
	v_cndmask_b32_e32 v18, 0, v28, vcc
	v_or_b32_e32 v19, 1, v1
	v_and_b32_e32 v18, 0xff, v18
	v_cmp_gt_u32_e32 vcc, s7, v19
	v_cndmask_b32_e32 v18, v18, v28, vcc
	v_or_b32_e32 v19, 2, v1
	v_and_b32_e32 v18, 0xffff, v18
	v_cmp_gt_u32_e32 vcc, s7, v19
	v_cndmask_b32_e32 v18, v18, v28, vcc
	v_or_b32_e32 v19, 3, v1
	v_and_b32_e32 v18, 0xffffff, v18
	v_cmp_gt_u32_e32 vcc, s7, v19
	v_cndmask_b32_e32 v28, v18, v28, vcc
.LBB613_207:
	v_bfe_u32 v30, v28, 16, 8
	v_lshrrev_b32_e32 v29, 24, v28
	v_add_u32_sdwa v18, v28, v28 dst_sel:DWORD dst_unused:UNUSED_PAD src0_sel:BYTE_1 src1_sel:BYTE_0
	v_add3_u32 v33, v18, v30, v29
	v_mbcnt_lo_u32_b32 v18, -1, 0
	v_mbcnt_hi_u32_b32 v31, -1, v18
	v_and_b32_e32 v18, 15, v31
	v_cmp_eq_u32_e64 s[14:15], 0, v18
	v_cmp_lt_u32_e64 s[12:13], 1, v18
	v_cmp_lt_u32_e64 s[10:11], 3, v18
	;; [unrolled: 1-line block ×3, first 2 shown]
	v_and_b32_e32 v18, 16, v31
	v_cmp_eq_u32_e64 s[18:19], 0, v18
	v_or_b32_e32 v18, 63, v0
	v_cmp_lt_u32_e64 s[0:1], 31, v31
	v_lshrrev_b32_e32 v32, 6, v0
	v_cmp_eq_u32_e64 s[2:3], v18, v0
	s_and_b64 vcc, exec, s[16:17]
	s_waitcnt lgkmcnt(0)
	s_barrier
	s_cbranch_vccz .LBB613_238
; %bb.208:
	v_mov_b32_dpp v18, v33 row_shr:1 row_mask:0xf bank_mask:0xf
	v_cndmask_b32_e64 v18, v18, 0, s[14:15]
	v_add_u32_e32 v18, v18, v33
	s_nop 1
	v_mov_b32_dpp v19, v18 row_shr:2 row_mask:0xf bank_mask:0xf
	v_cndmask_b32_e64 v19, 0, v19, s[12:13]
	v_add_u32_e32 v18, v18, v19
	s_nop 1
	;; [unrolled: 4-line block ×4, first 2 shown]
	v_mov_b32_dpp v19, v18 row_bcast:15 row_mask:0xf bank_mask:0xf
	v_cndmask_b32_e64 v19, v19, 0, s[18:19]
	v_add_u32_e32 v18, v18, v19
	s_nop 1
	v_mov_b32_dpp v19, v18 row_bcast:31 row_mask:0xf bank_mask:0xf
	v_cndmask_b32_e64 v19, 0, v19, s[0:1]
	v_add_u32_e32 v18, v18, v19
	s_and_saveexec_b64 s[16:17], s[2:3]
	s_cbranch_execz .LBB613_210
; %bb.209:
	v_lshlrev_b32_e32 v19, 2, v32
	ds_write_b32 v19, v18
.LBB613_210:
	s_or_b64 exec, exec, s[16:17]
	v_cmp_gt_u32_e32 vcc, 2, v0
	s_waitcnt lgkmcnt(0)
	s_barrier
	s_and_saveexec_b64 s[16:17], vcc
	s_cbranch_execz .LBB613_212
; %bb.211:
	ds_read_b32 v19, v1
	v_bfe_i32 v20, v31, 0, 1
	s_waitcnt lgkmcnt(0)
	v_mov_b32_dpp v21, v19 row_shr:1 row_mask:0xf bank_mask:0xf
	v_and_b32_e32 v20, v20, v21
	v_add_u32_e32 v19, v20, v19
	ds_write_b32 v1, v19
.LBB613_212:
	s_or_b64 exec, exec, s[16:17]
	v_cmp_gt_u32_e32 vcc, 64, v0
	v_cmp_lt_u32_e64 s[16:17], 63, v0
	s_waitcnt lgkmcnt(0)
	s_barrier
	s_waitcnt lgkmcnt(0)
                                        ; implicit-def: $vgpr34
	s_and_saveexec_b64 s[26:27], s[16:17]
	s_cbranch_execz .LBB613_214
; %bb.213:
	v_lshl_add_u32 v19, v32, 2, -4
	ds_read_b32 v34, v19
	s_waitcnt lgkmcnt(0)
	v_add_u32_e32 v18, v34, v18
.LBB613_214:
	s_or_b64 exec, exec, s[26:27]
	v_add_u32_e32 v19, -1, v31
	v_and_b32_e32 v20, 64, v31
	v_cmp_lt_i32_e64 s[16:17], v19, v20
	v_cndmask_b32_e64 v19, v19, v31, s[16:17]
	v_lshlrev_b32_e32 v19, 2, v19
	ds_bpermute_b32 v35, v19, v18
	v_cmp_eq_u32_e64 s[16:17], 0, v31
	s_and_saveexec_b64 s[26:27], vcc
	s_cbranch_execz .LBB613_237
; %bb.215:
	v_mov_b32_e32 v27, 0
	ds_read_b32 v18, v27 offset:4
	s_and_saveexec_b64 s[28:29], s[16:17]
	s_cbranch_execz .LBB613_217
; %bb.216:
	s_add_i32 s36, s6, 64
	s_mov_b32 s37, 0
	s_lshl_b64 s[36:37], s[36:37], 3
	s_add_u32 s36, s30, s36
	v_mov_b32_e32 v19, 1
	s_addc_u32 s37, s31, s37
	s_waitcnt lgkmcnt(0)
	global_store_dwordx2 v27, v[18:19], s[36:37]
.LBB613_217:
	s_or_b64 exec, exec, s[28:29]
	v_xad_u32 v20, v31, -1, s6
	v_add_u32_e32 v26, 64, v20
	v_lshlrev_b64 v[22:23], 3, v[26:27]
	v_mov_b32_e32 v19, s31
	v_add_co_u32_e32 v22, vcc, s30, v22
	v_addc_co_u32_e32 v23, vcc, v19, v23, vcc
	global_load_dwordx2 v[24:25], v[22:23], off glc
	s_waitcnt vmcnt(0)
	v_cmp_eq_u16_sdwa s[36:37], v25, v27 src0_sel:BYTE_0 src1_sel:DWORD
	s_and_saveexec_b64 s[28:29], s[36:37]
	s_cbranch_execz .LBB613_223
; %bb.218:
	s_mov_b32 s7, 1
	s_mov_b64 s[36:37], 0
	v_mov_b32_e32 v19, 0
.LBB613_219:                            ; =>This Loop Header: Depth=1
                                        ;     Child Loop BB613_220 Depth 2
	s_max_u32 s33, s7, 1
.LBB613_220:                            ;   Parent Loop BB613_219 Depth=1
                                        ; =>  This Inner Loop Header: Depth=2
	s_add_i32 s33, s33, -1
	s_cmp_eq_u32 s33, 0
	s_sleep 1
	s_cbranch_scc0 .LBB613_220
; %bb.221:                              ;   in Loop: Header=BB613_219 Depth=1
	global_load_dwordx2 v[24:25], v[22:23], off glc
	s_cmp_lt_u32 s7, 32
	s_cselect_b64 s[38:39], -1, 0
	s_cmp_lg_u64 s[38:39], 0
	s_addc_u32 s7, s7, 0
	s_waitcnt vmcnt(0)
	v_cmp_ne_u16_sdwa s[38:39], v25, v19 src0_sel:BYTE_0 src1_sel:DWORD
	s_or_b64 s[36:37], s[38:39], s[36:37]
	s_andn2_b64 exec, exec, s[36:37]
	s_cbranch_execnz .LBB613_219
; %bb.222:
	s_or_b64 exec, exec, s[36:37]
.LBB613_223:
	s_or_b64 exec, exec, s[28:29]
	v_and_b32_e32 v36, 63, v31
	v_mov_b32_e32 v19, 2
	v_cmp_ne_u32_e32 vcc, 63, v36
	v_cmp_eq_u16_sdwa s[28:29], v25, v19 src0_sel:BYTE_0 src1_sel:DWORD
	v_lshlrev_b64 v[22:23], v31, -1
	v_addc_co_u32_e32 v27, vcc, 0, v31, vcc
	v_and_b32_e32 v21, s29, v23
	v_lshlrev_b32_e32 v37, 2, v27
	v_or_b32_e32 v21, 0x80000000, v21
	ds_bpermute_b32 v27, v37, v24
	v_and_b32_e32 v26, s28, v22
	v_ffbl_b32_e32 v21, v21
	v_add_u32_e32 v21, 32, v21
	v_ffbl_b32_e32 v26, v26
	v_min_u32_e32 v21, v26, v21
	v_cmp_lt_u32_e32 vcc, v36, v21
	s_waitcnt lgkmcnt(0)
	v_cndmask_b32_e32 v26, 0, v27, vcc
	v_cmp_gt_u32_e32 vcc, 62, v36
	v_add_u32_e32 v24, v26, v24
	v_cndmask_b32_e64 v26, 0, 1, vcc
	v_lshlrev_b32_e32 v26, 1, v26
	v_add_lshl_u32 v38, v26, v31, 2
	ds_bpermute_b32 v26, v38, v24
	v_add_u32_e32 v39, 2, v36
	v_cmp_le_u32_e32 vcc, v39, v21
	v_add_u32_e32 v41, 4, v36
	v_add_u32_e32 v43, 8, v36
	s_waitcnt lgkmcnt(0)
	v_cndmask_b32_e32 v26, 0, v26, vcc
	v_cmp_gt_u32_e32 vcc, 60, v36
	v_add_u32_e32 v24, v24, v26
	v_cndmask_b32_e64 v26, 0, 1, vcc
	v_lshlrev_b32_e32 v26, 2, v26
	v_add_lshl_u32 v40, v26, v31, 2
	ds_bpermute_b32 v26, v40, v24
	v_cmp_le_u32_e32 vcc, v41, v21
	v_add_u32_e32 v46, 16, v36
	v_add_u32_e32 v48, 32, v36
	s_waitcnt lgkmcnt(0)
	v_cndmask_b32_e32 v26, 0, v26, vcc
	v_cmp_gt_u32_e32 vcc, 56, v36
	v_add_u32_e32 v24, v24, v26
	v_cndmask_b32_e64 v26, 0, 1, vcc
	v_lshlrev_b32_e32 v26, 3, v26
	v_add_lshl_u32 v42, v26, v31, 2
	ds_bpermute_b32 v26, v42, v24
	v_cmp_le_u32_e32 vcc, v43, v21
	s_waitcnt lgkmcnt(0)
	v_cndmask_b32_e32 v26, 0, v26, vcc
	v_cmp_gt_u32_e32 vcc, 48, v36
	v_add_u32_e32 v24, v24, v26
	v_cndmask_b32_e64 v26, 0, 1, vcc
	v_lshlrev_b32_e32 v26, 4, v26
	v_add_lshl_u32 v45, v26, v31, 2
	ds_bpermute_b32 v26, v45, v24
	v_cmp_le_u32_e32 vcc, v46, v21
	;; [unrolled: 9-line block ×3, first 2 shown]
	s_waitcnt lgkmcnt(0)
	v_cndmask_b32_e32 v21, 0, v26, vcc
	v_add_u32_e32 v24, v24, v21
	v_mov_b32_e32 v21, 0
	s_branch .LBB613_225
.LBB613_224:                            ;   in Loop: Header=BB613_225 Depth=1
	s_or_b64 exec, exec, s[28:29]
	v_cmp_eq_u16_sdwa s[28:29], v25, v19 src0_sel:BYTE_0 src1_sel:DWORD
	v_and_b32_e32 v26, s29, v23
	v_or_b32_e32 v26, 0x80000000, v26
	ds_bpermute_b32 v49, v37, v24
	v_and_b32_e32 v27, s28, v22
	v_ffbl_b32_e32 v26, v26
	v_add_u32_e32 v26, 32, v26
	v_ffbl_b32_e32 v27, v27
	v_min_u32_e32 v26, v27, v26
	v_cmp_lt_u32_e32 vcc, v36, v26
	s_waitcnt lgkmcnt(0)
	v_cndmask_b32_e32 v27, 0, v49, vcc
	v_add_u32_e32 v24, v27, v24
	ds_bpermute_b32 v27, v38, v24
	v_cmp_le_u32_e32 vcc, v39, v26
	v_subrev_u32_e32 v20, 64, v20
	s_waitcnt lgkmcnt(0)
	v_cndmask_b32_e32 v27, 0, v27, vcc
	v_add_u32_e32 v24, v24, v27
	ds_bpermute_b32 v27, v40, v24
	v_cmp_le_u32_e32 vcc, v41, v26
	s_waitcnt lgkmcnt(0)
	v_cndmask_b32_e32 v27, 0, v27, vcc
	v_add_u32_e32 v24, v24, v27
	ds_bpermute_b32 v27, v42, v24
	v_cmp_le_u32_e32 vcc, v43, v26
	;; [unrolled: 5-line block ×4, first 2 shown]
	s_waitcnt lgkmcnt(0)
	v_cndmask_b32_e32 v26, 0, v27, vcc
	v_add3_u32 v24, v26, v44, v24
.LBB613_225:                            ; =>This Loop Header: Depth=1
                                        ;     Child Loop BB613_228 Depth 2
                                        ;       Child Loop BB613_229 Depth 3
	v_cmp_ne_u16_sdwa s[28:29], v25, v19 src0_sel:BYTE_0 src1_sel:DWORD
	v_cndmask_b32_e64 v25, 0, 1, s[28:29]
	;;#ASMSTART
	;;#ASMEND
	v_cmp_ne_u32_e32 vcc, 0, v25
	s_cmp_lg_u64 vcc, exec
	v_mov_b32_e32 v44, v24
	s_cbranch_scc1 .LBB613_232
; %bb.226:                              ;   in Loop: Header=BB613_225 Depth=1
	v_lshlrev_b64 v[24:25], 3, v[20:21]
	v_mov_b32_e32 v27, s31
	v_add_co_u32_e32 v26, vcc, s30, v24
	v_addc_co_u32_e32 v27, vcc, v27, v25, vcc
	global_load_dwordx2 v[24:25], v[26:27], off glc
	s_waitcnt vmcnt(0)
	v_cmp_eq_u16_sdwa s[36:37], v25, v21 src0_sel:BYTE_0 src1_sel:DWORD
	s_and_saveexec_b64 s[28:29], s[36:37]
	s_cbranch_execz .LBB613_224
; %bb.227:                              ;   in Loop: Header=BB613_225 Depth=1
	s_mov_b32 s7, 1
	s_mov_b64 s[36:37], 0
.LBB613_228:                            ;   Parent Loop BB613_225 Depth=1
                                        ; =>  This Loop Header: Depth=2
                                        ;       Child Loop BB613_229 Depth 3
	s_max_u32 s33, s7, 1
.LBB613_229:                            ;   Parent Loop BB613_225 Depth=1
                                        ;     Parent Loop BB613_228 Depth=2
                                        ; =>    This Inner Loop Header: Depth=3
	s_add_i32 s33, s33, -1
	s_cmp_eq_u32 s33, 0
	s_sleep 1
	s_cbranch_scc0 .LBB613_229
; %bb.230:                              ;   in Loop: Header=BB613_228 Depth=2
	global_load_dwordx2 v[24:25], v[26:27], off glc
	s_cmp_lt_u32 s7, 32
	s_cselect_b64 s[38:39], -1, 0
	s_cmp_lg_u64 s[38:39], 0
	s_addc_u32 s7, s7, 0
	s_waitcnt vmcnt(0)
	v_cmp_ne_u16_sdwa s[38:39], v25, v21 src0_sel:BYTE_0 src1_sel:DWORD
	s_or_b64 s[36:37], s[38:39], s[36:37]
	s_andn2_b64 exec, exec, s[36:37]
	s_cbranch_execnz .LBB613_228
; %bb.231:                              ;   in Loop: Header=BB613_225 Depth=1
	s_or_b64 exec, exec, s[36:37]
	s_branch .LBB613_224
.LBB613_232:                            ;   in Loop: Header=BB613_225 Depth=1
                                        ; implicit-def: $vgpr24
                                        ; implicit-def: $vgpr25
	s_cbranch_execz .LBB613_225
; %bb.233:
	s_and_saveexec_b64 s[28:29], s[16:17]
	s_cbranch_execz .LBB613_235
; %bb.234:
	s_add_i32 s6, s6, 64
	s_mov_b32 s7, 0
	s_lshl_b64 s[6:7], s[6:7], 3
	s_add_u32 s6, s30, s6
	v_add_u32_e32 v20, v44, v18
	v_mov_b32_e32 v21, 2
	s_addc_u32 s7, s31, s7
	v_mov_b32_e32 v19, 0
	global_store_dwordx2 v19, v[20:21], s[6:7]
	s_movk_i32 s6, 0x1000
	v_add_u32_e64 v19, s6, 0
	ds_write2_b32 v19, v18, v44 offset0:32 offset1:34
.LBB613_235:
	s_or_b64 exec, exec, s[28:29]
	v_cmp_eq_u32_e32 vcc, 0, v0
	s_and_b64 exec, exec, vcc
	s_cbranch_execz .LBB613_237
; %bb.236:
	v_mov_b32_e32 v18, 0
	ds_write_b32 v18, v44 offset:4
.LBB613_237:
	s_or_b64 exec, exec, s[26:27]
	v_mov_b32_e32 v19, 0
	s_waitcnt lgkmcnt(0)
	s_barrier
	ds_read_b32 v19, v19 offset:4
	s_movk_i32 s6, 0x1000
	v_add_u32_e64 v20, s6, 0
	v_cndmask_b32_e64 v18, v35, v34, s[16:17]
	v_cmp_ne_u32_e32 vcc, 0, v0
	s_waitcnt lgkmcnt(0)
	s_barrier
	ds_read2_b32 v[26:27], v20 offset0:32 offset1:34
	v_cndmask_b32_e32 v18, 0, v18, vcc
	v_add_u32_e32 v24, v19, v18
	v_add_u32_sdwa v22, v24, v28 dst_sel:DWORD dst_unused:UNUSED_PAD src0_sel:DWORD src1_sel:BYTE_0
	v_add_u32_sdwa v20, v22, v28 dst_sel:DWORD dst_unused:UNUSED_PAD src0_sel:DWORD src1_sel:BYTE_1
	v_add_u32_e32 v18, v20, v30
	s_waitcnt lgkmcnt(0)
	v_readfirstlane_b32 s26, v26
	v_readfirstlane_b32 s16, v27
	s_branch .LBB613_248
.LBB613_238:
                                        ; implicit-def: $vgpr18
                                        ; implicit-def: $vgpr20
                                        ; implicit-def: $vgpr22
                                        ; implicit-def: $vgpr24
                                        ; implicit-def: $sgpr16
                                        ; implicit-def: $sgpr26
	s_cbranch_execz .LBB613_248
; %bb.239:
	s_nop 0
	v_mov_b32_dpp v18, v33 row_shr:1 row_mask:0xf bank_mask:0xf
	v_cndmask_b32_e64 v18, v18, 0, s[14:15]
	v_add_u32_e32 v18, v18, v33
	s_nop 1
	v_mov_b32_dpp v19, v18 row_shr:2 row_mask:0xf bank_mask:0xf
	v_cndmask_b32_e64 v19, 0, v19, s[12:13]
	v_add_u32_e32 v18, v18, v19
	;; [unrolled: 4-line block ×4, first 2 shown]
	s_nop 1
	v_mov_b32_dpp v19, v18 row_bcast:15 row_mask:0xf bank_mask:0xf
	v_cndmask_b32_e64 v19, v19, 0, s[18:19]
	v_add_u32_e32 v18, v18, v19
	s_nop 1
	v_mov_b32_dpp v19, v18 row_bcast:31 row_mask:0xf bank_mask:0xf
	v_cndmask_b32_e64 v19, 0, v19, s[0:1]
	v_add_u32_e32 v18, v18, v19
	s_and_saveexec_b64 s[0:1], s[2:3]
	s_cbranch_execz .LBB613_241
; %bb.240:
	v_lshlrev_b32_e32 v19, 2, v32
	ds_write_b32 v19, v18
.LBB613_241:
	s_or_b64 exec, exec, s[0:1]
	v_cmp_gt_u32_e32 vcc, 2, v0
	s_waitcnt lgkmcnt(0)
	s_barrier
	s_and_saveexec_b64 s[0:1], vcc
	s_cbranch_execz .LBB613_243
; %bb.242:
	ds_read_b32 v19, v1
	v_bfe_i32 v20, v31, 0, 1
	s_waitcnt lgkmcnt(0)
	v_mov_b32_dpp v21, v19 row_shr:1 row_mask:0xf bank_mask:0xf
	v_and_b32_e32 v20, v20, v21
	v_add_u32_e32 v19, v20, v19
	ds_write_b32 v1, v19
.LBB613_243:
	s_or_b64 exec, exec, s[0:1]
	v_cmp_lt_u32_e32 vcc, 63, v0
	v_mov_b32_e32 v19, 0
	v_mov_b32_e32 v1, 0
	s_waitcnt lgkmcnt(0)
	s_barrier
	s_and_saveexec_b64 s[0:1], vcc
	s_cbranch_execz .LBB613_245
; %bb.244:
	v_lshl_add_u32 v1, v32, 2, -4
	ds_read_b32 v1, v1
.LBB613_245:
	s_or_b64 exec, exec, s[0:1]
	v_add_u32_e32 v20, -1, v31
	v_and_b32_e32 v21, 64, v31
	v_cmp_lt_i32_e32 vcc, v20, v21
	v_cndmask_b32_e32 v20, v20, v31, vcc
	s_waitcnt lgkmcnt(0)
	v_add_u32_e32 v18, v1, v18
	v_lshlrev_b32_e32 v20, 2, v20
	ds_read_b32 v19, v19 offset:4
	ds_bpermute_b32 v18, v20, v18
	s_mov_b32 s16, 0
	v_cmp_eq_u32_e32 vcc, 0, v0
	s_waitcnt lgkmcnt(1)
	v_readfirstlane_b32 s26, v19
	s_and_saveexec_b64 s[0:1], vcc
	s_cbranch_execz .LBB613_247
; %bb.246:
	v_mov_b32_e32 v19, 0
	v_mov_b32_e32 v20, s26
	;; [unrolled: 1-line block ×3, first 2 shown]
	global_store_dwordx2 v19, v[20:21], s[30:31] offset:512
.LBB613_247:
	s_or_b64 exec, exec, s[0:1]
	v_cmp_eq_u32_e64 s[0:1], 0, v31
	s_waitcnt lgkmcnt(0)
	v_cndmask_b32_e64 v1, v18, v1, s[0:1]
	v_cndmask_b32_e64 v24, v1, 0, vcc
	v_add_u32_sdwa v22, v24, v28 dst_sel:DWORD dst_unused:UNUSED_PAD src0_sel:DWORD src1_sel:BYTE_0
	v_add_u32_sdwa v20, v22, v28 dst_sel:DWORD dst_unused:UNUSED_PAD src0_sel:DWORD src1_sel:BYTE_1
	v_add_u32_e32 v18, v20, v30
	s_barrier
.LBB613_248:
	s_load_dwordx4 s[4:7], s[4:5], 0x28
	s_cmpk_lt_u32 s26, 0x81
	s_cselect_b64 s[2:3], -1, 0
	v_lshrrev_b32_e32 v1, 8, v28
	s_mov_b64 s[0:1], -1
	s_and_b64 vcc, exec, s[2:3]
	s_cbranch_vccz .LBB613_262
; %bb.249:
	s_add_i32 s8, s16, s26
	v_cmp_gt_u32_e32 vcc, s8, v24
	s_or_b64 s[10:11], s[34:35], vcc
	s_and_saveexec_b64 s[0:1], s[10:11]
	s_cbranch_execz .LBB613_252
; %bb.250:
	v_and_b32_e32 v19, 1, v28
	v_cmp_eq_u32_e32 vcc, 1, v19
	s_and_b64 exec, exec, vcc
	s_cbranch_execz .LBB613_252
; %bb.251:
	s_lshl_b64 s[10:11], s[22:23], 3
	s_waitcnt lgkmcnt(0)
	s_add_u32 s9, s4, s10
	v_mov_b32_e32 v25, 0
	s_addc_u32 s10, s5, s11
	v_lshlrev_b64 v[26:27], 3, v[24:25]
	v_mov_b32_e32 v19, s10
	v_add_co_u32_e32 v26, vcc, s9, v26
	v_addc_co_u32_e32 v27, vcc, v19, v27, vcc
	global_store_dwordx2 v[26:27], v[14:15], off
.LBB613_252:
	s_or_b64 exec, exec, s[0:1]
	v_cmp_gt_u32_e32 vcc, s8, v22
	s_or_b64 s[10:11], s[34:35], vcc
	s_and_saveexec_b64 s[0:1], s[10:11]
	s_cbranch_execz .LBB613_255
; %bb.253:
	v_and_b32_e32 v19, 1, v1
	v_cmp_eq_u32_e32 vcc, 1, v19
	s_and_b64 exec, exec, vcc
	s_cbranch_execz .LBB613_255
; %bb.254:
	s_lshl_b64 s[10:11], s[22:23], 3
	s_waitcnt lgkmcnt(0)
	s_add_u32 s9, s4, s10
	v_mov_b32_e32 v23, 0
	s_addc_u32 s10, s5, s11
	v_lshlrev_b64 v[26:27], 3, v[22:23]
	v_mov_b32_e32 v19, s10
	v_add_co_u32_e32 v26, vcc, s9, v26
	v_addc_co_u32_e32 v27, vcc, v19, v27, vcc
	global_store_dwordx2 v[26:27], v[16:17], off
.LBB613_255:
	s_or_b64 exec, exec, s[0:1]
	v_cmp_gt_u32_e32 vcc, s8, v20
	s_or_b64 s[10:11], s[34:35], vcc
	s_and_saveexec_b64 s[0:1], s[10:11]
	s_cbranch_execz .LBB613_258
; %bb.256:
	v_mov_b32_e32 v19, 1
	v_and_b32_sdwa v19, v19, v28 dst_sel:DWORD dst_unused:UNUSED_PAD src0_sel:DWORD src1_sel:WORD_1
	v_cmp_eq_u32_e32 vcc, 1, v19
	s_and_b64 exec, exec, vcc
	s_cbranch_execz .LBB613_258
; %bb.257:
	s_lshl_b64 s[10:11], s[22:23], 3
	s_waitcnt lgkmcnt(0)
	s_add_u32 s9, s4, s10
	v_mov_b32_e32 v21, 0
	s_addc_u32 s10, s5, s11
	v_lshlrev_b64 v[26:27], 3, v[20:21]
	v_mov_b32_e32 v19, s10
	v_add_co_u32_e32 v26, vcc, s9, v26
	v_addc_co_u32_e32 v27, vcc, v19, v27, vcc
	global_store_dwordx2 v[26:27], v[10:11], off
.LBB613_258:
	s_or_b64 exec, exec, s[0:1]
	v_cmp_gt_u32_e32 vcc, s8, v18
	s_or_b64 s[8:9], s[34:35], vcc
	s_and_saveexec_b64 s[0:1], s[8:9]
	s_cbranch_execz .LBB613_261
; %bb.259:
	v_and_b32_e32 v19, 1, v29
	v_cmp_eq_u32_e32 vcc, 1, v19
	s_and_b64 exec, exec, vcc
	s_cbranch_execz .LBB613_261
; %bb.260:
	s_lshl_b64 s[8:9], s[22:23], 3
	s_waitcnt lgkmcnt(0)
	s_add_u32 s8, s4, s8
	v_mov_b32_e32 v19, 0
	s_addc_u32 s9, s5, s9
	v_lshlrev_b64 v[26:27], 3, v[18:19]
	v_mov_b32_e32 v19, s9
	v_add_co_u32_e32 v26, vcc, s8, v26
	v_addc_co_u32_e32 v27, vcc, v19, v27, vcc
	global_store_dwordx2 v[26:27], v[12:13], off
.LBB613_261:
	s_or_b64 exec, exec, s[0:1]
	s_mov_b64 s[0:1], 0
.LBB613_262:
	v_and_b32_e32 v26, 1, v28
	s_and_b64 vcc, exec, s[0:1]
	v_cmp_eq_u32_e64 s[0:1], 1, v26
	s_cbranch_vccz .LBB613_275
; %bb.263:
	s_and_saveexec_b64 s[8:9], s[0:1]
	s_cbranch_execz .LBB613_265
; %bb.264:
	v_subrev_u32_e32 v19, s16, v24
	v_lshlrev_b32_e32 v19, 3, v19
	ds_write_b64 v19, v[14:15]
.LBB613_265:
	s_or_b64 exec, exec, s[8:9]
	v_and_b32_e32 v14, 1, v1
	v_cmp_eq_u32_e32 vcc, 1, v14
	s_and_saveexec_b64 s[0:1], vcc
	s_cbranch_execz .LBB613_267
; %bb.266:
	v_subrev_u32_e32 v14, s16, v22
	v_lshlrev_b32_e32 v14, 3, v14
	ds_write_b64 v14, v[16:17]
.LBB613_267:
	s_or_b64 exec, exec, s[0:1]
	v_mov_b32_e32 v14, 1
	v_and_b32_sdwa v14, v14, v28 dst_sel:DWORD dst_unused:UNUSED_PAD src0_sel:DWORD src1_sel:WORD_1
	v_cmp_eq_u32_e32 vcc, 1, v14
	s_and_saveexec_b64 s[0:1], vcc
	s_cbranch_execz .LBB613_269
; %bb.268:
	v_subrev_u32_e32 v14, s16, v20
	v_lshlrev_b32_e32 v14, 3, v14
	ds_write_b64 v14, v[10:11]
.LBB613_269:
	s_or_b64 exec, exec, s[0:1]
	v_and_b32_e32 v10, 1, v29
	v_cmp_eq_u32_e32 vcc, 1, v10
	s_and_saveexec_b64 s[0:1], vcc
	s_cbranch_execz .LBB613_271
; %bb.270:
	v_subrev_u32_e32 v10, s16, v18
	v_lshlrev_b32_e32 v10, 3, v10
	ds_write_b64 v10, v[12:13]
.LBB613_271:
	s_or_b64 exec, exec, s[0:1]
	v_cmp_gt_u32_e32 vcc, s26, v0
	s_waitcnt lgkmcnt(0)
	s_barrier
	s_and_saveexec_b64 s[0:1], vcc
	s_cbranch_execz .LBB613_274
; %bb.272:
	s_mov_b32 s17, 0
	s_lshl_b64 s[8:9], s[16:17], 3
	s_add_u32 s8, s4, s8
	s_addc_u32 s9, s5, s9
	s_lshl_b64 s[4:5], s[22:23], 3
	s_add_u32 s8, s8, s4
	s_addc_u32 s9, s9, s5
	v_lshlrev_b32_e32 v12, 3, v0
	s_mov_b64 s[4:5], 0
	v_mov_b32_e32 v11, 0
	v_mov_b32_e32 v13, s9
	;; [unrolled: 1-line block ×3, first 2 shown]
.LBB613_273:                            ; =>This Inner Loop Header: Depth=1
	ds_read_b64 v[14:15], v12
	v_lshlrev_b64 v[16:17], 3, v[10:11]
	v_add_co_u32_e32 v16, vcc, s8, v16
	v_add_u32_e32 v10, 0x80, v10
	v_addc_co_u32_e32 v17, vcc, v13, v17, vcc
	v_cmp_le_u32_e32 vcc, s26, v10
	v_add_u32_e32 v12, 0x400, v12
	s_or_b64 s[4:5], vcc, s[4:5]
	s_waitcnt lgkmcnt(0)
	global_store_dwordx2 v[16:17], v[14:15], off
	s_andn2_b64 exec, exec, s[4:5]
	s_cbranch_execnz .LBB613_273
.LBB613_274:
	s_or_b64 exec, exec, s[0:1]
.LBB613_275:
	s_mov_b64 s[0:1], -1
	s_and_b64 vcc, exec, s[2:3]
	s_waitcnt lgkmcnt(0)
	s_barrier
	s_cbranch_vccnz .LBB613_279
; %bb.276:
	s_and_b64 vcc, exec, s[0:1]
	s_cbranch_vccnz .LBB613_292
.LBB613_277:
	v_cmp_eq_u32_e32 vcc, 0, v0
	s_and_b64 s[0:1], vcc, s[24:25]
	s_and_saveexec_b64 s[2:3], s[0:1]
	s_cbranch_execnz .LBB613_304
.LBB613_278:
	s_endpgm
.LBB613_279:
	s_add_i32 s2, s16, s26
	v_cmp_gt_u32_e32 vcc, s2, v24
	s_or_b64 s[4:5], s[34:35], vcc
	s_and_saveexec_b64 s[0:1], s[4:5]
	s_cbranch_execz .LBB613_282
; %bb.280:
	v_cmp_eq_u32_e32 vcc, 1, v26
	s_and_b64 exec, exec, vcc
	s_cbranch_execz .LBB613_282
; %bb.281:
	s_lshl_b64 s[4:5], s[22:23], 3
	s_add_u32 s3, s6, s4
	v_mov_b32_e32 v25, 0
	s_addc_u32 s4, s7, s5
	v_lshlrev_b64 v[10:11], 3, v[24:25]
	v_mov_b32_e32 v12, s4
	v_add_co_u32_e32 v10, vcc, s3, v10
	v_addc_co_u32_e32 v11, vcc, v12, v11, vcc
	global_store_dwordx2 v[10:11], v[6:7], off
.LBB613_282:
	s_or_b64 exec, exec, s[0:1]
	v_cmp_gt_u32_e32 vcc, s2, v22
	s_or_b64 s[4:5], s[34:35], vcc
	s_and_saveexec_b64 s[0:1], s[4:5]
	s_cbranch_execz .LBB613_285
; %bb.283:
	v_and_b32_e32 v10, 1, v1
	v_cmp_eq_u32_e32 vcc, 1, v10
	s_and_b64 exec, exec, vcc
	s_cbranch_execz .LBB613_285
; %bb.284:
	s_lshl_b64 s[4:5], s[22:23], 3
	s_add_u32 s3, s6, s4
	v_mov_b32_e32 v23, 0
	s_addc_u32 s4, s7, s5
	v_lshlrev_b64 v[10:11], 3, v[22:23]
	v_mov_b32_e32 v12, s4
	v_add_co_u32_e32 v10, vcc, s3, v10
	v_addc_co_u32_e32 v11, vcc, v12, v11, vcc
	global_store_dwordx2 v[10:11], v[8:9], off
.LBB613_285:
	s_or_b64 exec, exec, s[0:1]
	v_cmp_gt_u32_e32 vcc, s2, v20
	s_or_b64 s[4:5], s[34:35], vcc
	s_and_saveexec_b64 s[0:1], s[4:5]
	s_cbranch_execz .LBB613_288
; %bb.286:
	v_mov_b32_e32 v10, 1
	v_and_b32_sdwa v10, v10, v28 dst_sel:DWORD dst_unused:UNUSED_PAD src0_sel:DWORD src1_sel:WORD_1
	v_cmp_eq_u32_e32 vcc, 1, v10
	s_and_b64 exec, exec, vcc
	s_cbranch_execz .LBB613_288
; %bb.287:
	s_lshl_b64 s[4:5], s[22:23], 3
	s_add_u32 s3, s6, s4
	v_mov_b32_e32 v21, 0
	s_addc_u32 s4, s7, s5
	v_lshlrev_b64 v[10:11], 3, v[20:21]
	v_mov_b32_e32 v12, s4
	v_add_co_u32_e32 v10, vcc, s3, v10
	v_addc_co_u32_e32 v11, vcc, v12, v11, vcc
	global_store_dwordx2 v[10:11], v[2:3], off
.LBB613_288:
	s_or_b64 exec, exec, s[0:1]
	v_cmp_gt_u32_e32 vcc, s2, v18
	s_or_b64 s[2:3], s[34:35], vcc
	s_and_saveexec_b64 s[0:1], s[2:3]
	s_cbranch_execz .LBB613_291
; %bb.289:
	v_and_b32_e32 v10, 1, v29
	v_cmp_eq_u32_e32 vcc, 1, v10
	s_and_b64 exec, exec, vcc
	s_cbranch_execz .LBB613_291
; %bb.290:
	s_lshl_b64 s[2:3], s[22:23], 3
	s_add_u32 s2, s6, s2
	v_mov_b32_e32 v19, 0
	s_addc_u32 s3, s7, s3
	v_lshlrev_b64 v[10:11], 3, v[18:19]
	v_mov_b32_e32 v12, s3
	v_add_co_u32_e32 v10, vcc, s2, v10
	v_addc_co_u32_e32 v11, vcc, v12, v11, vcc
	global_store_dwordx2 v[10:11], v[4:5], off
.LBB613_291:
	s_or_b64 exec, exec, s[0:1]
	s_branch .LBB613_277
.LBB613_292:
	v_cmp_eq_u32_e32 vcc, 1, v26
	s_and_saveexec_b64 s[0:1], vcc
	s_cbranch_execz .LBB613_294
; %bb.293:
	v_subrev_u32_e32 v10, s16, v24
	v_lshlrev_b32_e32 v10, 3, v10
	ds_write_b64 v10, v[6:7]
.LBB613_294:
	s_or_b64 exec, exec, s[0:1]
	v_and_b32_e32 v1, 1, v1
	v_cmp_eq_u32_e32 vcc, 1, v1
	s_and_saveexec_b64 s[0:1], vcc
	s_cbranch_execz .LBB613_296
; %bb.295:
	v_subrev_u32_e32 v1, s16, v22
	v_lshlrev_b32_e32 v1, 3, v1
	ds_write_b64 v1, v[8:9]
.LBB613_296:
	s_or_b64 exec, exec, s[0:1]
	v_mov_b32_e32 v1, 1
	v_and_b32_sdwa v1, v1, v28 dst_sel:DWORD dst_unused:UNUSED_PAD src0_sel:DWORD src1_sel:WORD_1
	v_cmp_eq_u32_e32 vcc, 1, v1
	s_and_saveexec_b64 s[0:1], vcc
	s_cbranch_execz .LBB613_298
; %bb.297:
	v_subrev_u32_e32 v1, s16, v20
	v_lshlrev_b32_e32 v1, 3, v1
	ds_write_b64 v1, v[2:3]
.LBB613_298:
	s_or_b64 exec, exec, s[0:1]
	v_and_b32_e32 v1, 1, v29
	v_cmp_eq_u32_e32 vcc, 1, v1
	s_and_saveexec_b64 s[0:1], vcc
	s_cbranch_execz .LBB613_300
; %bb.299:
	v_subrev_u32_e32 v1, s16, v18
	v_lshlrev_b32_e32 v1, 3, v1
	ds_write_b64 v1, v[4:5]
.LBB613_300:
	s_or_b64 exec, exec, s[0:1]
	v_cmp_gt_u32_e32 vcc, s26, v0
	s_waitcnt lgkmcnt(0)
	s_barrier
	s_and_saveexec_b64 s[0:1], vcc
	s_cbranch_execz .LBB613_303
; %bb.301:
	s_mov_b32 s17, 0
	s_lshl_b64 s[2:3], s[16:17], 3
	s_add_u32 s4, s6, s2
	s_addc_u32 s5, s7, s3
	s_lshl_b64 s[2:3], s[22:23], 3
	s_add_u32 s4, s4, s2
	s_addc_u32 s5, s5, s3
	v_lshlrev_b32_e32 v1, 3, v0
	s_mov_b64 s[2:3], 0
	v_mov_b32_e32 v3, 0
	v_mov_b32_e32 v4, s5
	;; [unrolled: 1-line block ×3, first 2 shown]
.LBB613_302:                            ; =>This Inner Loop Header: Depth=1
	ds_read_b64 v[6:7], v1
	v_lshlrev_b64 v[8:9], 3, v[2:3]
	v_add_co_u32_e32 v8, vcc, s4, v8
	v_add_u32_e32 v2, 0x80, v2
	v_addc_co_u32_e32 v9, vcc, v4, v9, vcc
	v_cmp_le_u32_e32 vcc, s26, v2
	v_add_u32_e32 v1, 0x400, v1
	s_or_b64 s[2:3], vcc, s[2:3]
	s_waitcnt lgkmcnt(0)
	global_store_dwordx2 v[8:9], v[6:7], off
	s_andn2_b64 exec, exec, s[2:3]
	s_cbranch_execnz .LBB613_302
.LBB613_303:
	s_or_b64 exec, exec, s[0:1]
	v_cmp_eq_u32_e32 vcc, 0, v0
	s_and_b64 s[0:1], vcc, s[24:25]
	s_and_saveexec_b64 s[2:3], s[0:1]
	s_cbranch_execz .LBB613_278
.LBB613_304:
	s_add_u32 s0, s22, s26
	s_addc_u32 s1, s23, 0
	s_add_u32 s0, s0, s16
	s_addc_u32 s1, s1, 0
	v_mov_b32_e32 v2, 0
	v_pk_mov_b32 v[0:1], s[0:1], s[0:1] op_sel:[0,1]
	global_store_dwordx2 v2, v[0:1], s[20:21]
	s_endpgm
	.section	.rodata,"a",@progbits
	.p2align	6, 0x0
	.amdhsa_kernel _ZN7rocprim17ROCPRIM_400000_NS6detail17trampoline_kernelINS0_14default_configENS1_25partition_config_selectorILNS1_17partition_subalgoE9EllbEEZZNS1_14partition_implILS5_9ELb0ES3_jPlS8_PNS0_10empty_typeENS0_5tupleIJS8_S9_EEENSB_IJS8_SA_EEENS0_18inequality_wrapperIZN2at6native12_GLOBAL__N_124unique_dim_cuda_templateIlEESt5tupleIJNSF_6TensorESK_SK_EERKSK_lbbbEUlllE0_EEPmJS9_EEE10hipError_tPvRmT3_T4_T5_T6_T7_T9_mT8_P12ihipStream_tbDpT10_ENKUlT_T0_E_clISt17integral_constantIbLb1EES19_IbLb0EEEEDaS15_S16_EUlS15_E_NS1_11comp_targetILNS1_3genE4ELNS1_11target_archE910ELNS1_3gpuE8ELNS1_3repE0EEENS1_30default_config_static_selectorELNS0_4arch9wavefront6targetE1EEEvT1_
		.amdhsa_group_segment_fixed_size 4236
		.amdhsa_private_segment_fixed_size 0
		.amdhsa_kernarg_size 120
		.amdhsa_user_sgpr_count 6
		.amdhsa_user_sgpr_private_segment_buffer 1
		.amdhsa_user_sgpr_dispatch_ptr 0
		.amdhsa_user_sgpr_queue_ptr 0
		.amdhsa_user_sgpr_kernarg_segment_ptr 1
		.amdhsa_user_sgpr_dispatch_id 0
		.amdhsa_user_sgpr_flat_scratch_init 0
		.amdhsa_user_sgpr_kernarg_preload_length 0
		.amdhsa_user_sgpr_kernarg_preload_offset 0
		.amdhsa_user_sgpr_private_segment_size 0
		.amdhsa_uses_dynamic_stack 0
		.amdhsa_system_sgpr_private_segment_wavefront_offset 0
		.amdhsa_system_sgpr_workgroup_id_x 1
		.amdhsa_system_sgpr_workgroup_id_y 0
		.amdhsa_system_sgpr_workgroup_id_z 0
		.amdhsa_system_sgpr_workgroup_info 0
		.amdhsa_system_vgpr_workitem_id 0
		.amdhsa_next_free_vgpr 50
		.amdhsa_next_free_sgpr 46
		.amdhsa_accum_offset 52
		.amdhsa_reserve_vcc 1
		.amdhsa_reserve_flat_scratch 0
		.amdhsa_float_round_mode_32 0
		.amdhsa_float_round_mode_16_64 0
		.amdhsa_float_denorm_mode_32 3
		.amdhsa_float_denorm_mode_16_64 3
		.amdhsa_dx10_clamp 1
		.amdhsa_ieee_mode 1
		.amdhsa_fp16_overflow 0
		.amdhsa_tg_split 0
		.amdhsa_exception_fp_ieee_invalid_op 0
		.amdhsa_exception_fp_denorm_src 0
		.amdhsa_exception_fp_ieee_div_zero 0
		.amdhsa_exception_fp_ieee_overflow 0
		.amdhsa_exception_fp_ieee_underflow 0
		.amdhsa_exception_fp_ieee_inexact 0
		.amdhsa_exception_int_div_zero 0
	.end_amdhsa_kernel
	.section	.text._ZN7rocprim17ROCPRIM_400000_NS6detail17trampoline_kernelINS0_14default_configENS1_25partition_config_selectorILNS1_17partition_subalgoE9EllbEEZZNS1_14partition_implILS5_9ELb0ES3_jPlS8_PNS0_10empty_typeENS0_5tupleIJS8_S9_EEENSB_IJS8_SA_EEENS0_18inequality_wrapperIZN2at6native12_GLOBAL__N_124unique_dim_cuda_templateIlEESt5tupleIJNSF_6TensorESK_SK_EERKSK_lbbbEUlllE0_EEPmJS9_EEE10hipError_tPvRmT3_T4_T5_T6_T7_T9_mT8_P12ihipStream_tbDpT10_ENKUlT_T0_E_clISt17integral_constantIbLb1EES19_IbLb0EEEEDaS15_S16_EUlS15_E_NS1_11comp_targetILNS1_3genE4ELNS1_11target_archE910ELNS1_3gpuE8ELNS1_3repE0EEENS1_30default_config_static_selectorELNS0_4arch9wavefront6targetE1EEEvT1_,"axG",@progbits,_ZN7rocprim17ROCPRIM_400000_NS6detail17trampoline_kernelINS0_14default_configENS1_25partition_config_selectorILNS1_17partition_subalgoE9EllbEEZZNS1_14partition_implILS5_9ELb0ES3_jPlS8_PNS0_10empty_typeENS0_5tupleIJS8_S9_EEENSB_IJS8_SA_EEENS0_18inequality_wrapperIZN2at6native12_GLOBAL__N_124unique_dim_cuda_templateIlEESt5tupleIJNSF_6TensorESK_SK_EERKSK_lbbbEUlllE0_EEPmJS9_EEE10hipError_tPvRmT3_T4_T5_T6_T7_T9_mT8_P12ihipStream_tbDpT10_ENKUlT_T0_E_clISt17integral_constantIbLb1EES19_IbLb0EEEEDaS15_S16_EUlS15_E_NS1_11comp_targetILNS1_3genE4ELNS1_11target_archE910ELNS1_3gpuE8ELNS1_3repE0EEENS1_30default_config_static_selectorELNS0_4arch9wavefront6targetE1EEEvT1_,comdat
.Lfunc_end613:
	.size	_ZN7rocprim17ROCPRIM_400000_NS6detail17trampoline_kernelINS0_14default_configENS1_25partition_config_selectorILNS1_17partition_subalgoE9EllbEEZZNS1_14partition_implILS5_9ELb0ES3_jPlS8_PNS0_10empty_typeENS0_5tupleIJS8_S9_EEENSB_IJS8_SA_EEENS0_18inequality_wrapperIZN2at6native12_GLOBAL__N_124unique_dim_cuda_templateIlEESt5tupleIJNSF_6TensorESK_SK_EERKSK_lbbbEUlllE0_EEPmJS9_EEE10hipError_tPvRmT3_T4_T5_T6_T7_T9_mT8_P12ihipStream_tbDpT10_ENKUlT_T0_E_clISt17integral_constantIbLb1EES19_IbLb0EEEEDaS15_S16_EUlS15_E_NS1_11comp_targetILNS1_3genE4ELNS1_11target_archE910ELNS1_3gpuE8ELNS1_3repE0EEENS1_30default_config_static_selectorELNS0_4arch9wavefront6targetE1EEEvT1_, .Lfunc_end613-_ZN7rocprim17ROCPRIM_400000_NS6detail17trampoline_kernelINS0_14default_configENS1_25partition_config_selectorILNS1_17partition_subalgoE9EllbEEZZNS1_14partition_implILS5_9ELb0ES3_jPlS8_PNS0_10empty_typeENS0_5tupleIJS8_S9_EEENSB_IJS8_SA_EEENS0_18inequality_wrapperIZN2at6native12_GLOBAL__N_124unique_dim_cuda_templateIlEESt5tupleIJNSF_6TensorESK_SK_EERKSK_lbbbEUlllE0_EEPmJS9_EEE10hipError_tPvRmT3_T4_T5_T6_T7_T9_mT8_P12ihipStream_tbDpT10_ENKUlT_T0_E_clISt17integral_constantIbLb1EES19_IbLb0EEEEDaS15_S16_EUlS15_E_NS1_11comp_targetILNS1_3genE4ELNS1_11target_archE910ELNS1_3gpuE8ELNS1_3repE0EEENS1_30default_config_static_selectorELNS0_4arch9wavefront6targetE1EEEvT1_
                                        ; -- End function
	.section	.AMDGPU.csdata,"",@progbits
; Kernel info:
; codeLenInByte = 10876
; NumSgprs: 50
; NumVgprs: 50
; NumAgprs: 0
; TotalNumVgprs: 50
; ScratchSize: 0
; MemoryBound: 1
; FloatMode: 240
; IeeeMode: 1
; LDSByteSize: 4236 bytes/workgroup (compile time only)
; SGPRBlocks: 6
; VGPRBlocks: 6
; NumSGPRsForWavesPerEU: 50
; NumVGPRsForWavesPerEU: 50
; AccumOffset: 52
; Occupancy: 8
; WaveLimiterHint : 1
; COMPUTE_PGM_RSRC2:SCRATCH_EN: 0
; COMPUTE_PGM_RSRC2:USER_SGPR: 6
; COMPUTE_PGM_RSRC2:TRAP_HANDLER: 0
; COMPUTE_PGM_RSRC2:TGID_X_EN: 1
; COMPUTE_PGM_RSRC2:TGID_Y_EN: 0
; COMPUTE_PGM_RSRC2:TGID_Z_EN: 0
; COMPUTE_PGM_RSRC2:TIDIG_COMP_CNT: 0
; COMPUTE_PGM_RSRC3_GFX90A:ACCUM_OFFSET: 12
; COMPUTE_PGM_RSRC3_GFX90A:TG_SPLIT: 0
	.section	.text._ZN7rocprim17ROCPRIM_400000_NS6detail17trampoline_kernelINS0_14default_configENS1_25partition_config_selectorILNS1_17partition_subalgoE9EllbEEZZNS1_14partition_implILS5_9ELb0ES3_jPlS8_PNS0_10empty_typeENS0_5tupleIJS8_S9_EEENSB_IJS8_SA_EEENS0_18inequality_wrapperIZN2at6native12_GLOBAL__N_124unique_dim_cuda_templateIlEESt5tupleIJNSF_6TensorESK_SK_EERKSK_lbbbEUlllE0_EEPmJS9_EEE10hipError_tPvRmT3_T4_T5_T6_T7_T9_mT8_P12ihipStream_tbDpT10_ENKUlT_T0_E_clISt17integral_constantIbLb1EES19_IbLb0EEEEDaS15_S16_EUlS15_E_NS1_11comp_targetILNS1_3genE3ELNS1_11target_archE908ELNS1_3gpuE7ELNS1_3repE0EEENS1_30default_config_static_selectorELNS0_4arch9wavefront6targetE1EEEvT1_,"axG",@progbits,_ZN7rocprim17ROCPRIM_400000_NS6detail17trampoline_kernelINS0_14default_configENS1_25partition_config_selectorILNS1_17partition_subalgoE9EllbEEZZNS1_14partition_implILS5_9ELb0ES3_jPlS8_PNS0_10empty_typeENS0_5tupleIJS8_S9_EEENSB_IJS8_SA_EEENS0_18inequality_wrapperIZN2at6native12_GLOBAL__N_124unique_dim_cuda_templateIlEESt5tupleIJNSF_6TensorESK_SK_EERKSK_lbbbEUlllE0_EEPmJS9_EEE10hipError_tPvRmT3_T4_T5_T6_T7_T9_mT8_P12ihipStream_tbDpT10_ENKUlT_T0_E_clISt17integral_constantIbLb1EES19_IbLb0EEEEDaS15_S16_EUlS15_E_NS1_11comp_targetILNS1_3genE3ELNS1_11target_archE908ELNS1_3gpuE7ELNS1_3repE0EEENS1_30default_config_static_selectorELNS0_4arch9wavefront6targetE1EEEvT1_,comdat
	.globl	_ZN7rocprim17ROCPRIM_400000_NS6detail17trampoline_kernelINS0_14default_configENS1_25partition_config_selectorILNS1_17partition_subalgoE9EllbEEZZNS1_14partition_implILS5_9ELb0ES3_jPlS8_PNS0_10empty_typeENS0_5tupleIJS8_S9_EEENSB_IJS8_SA_EEENS0_18inequality_wrapperIZN2at6native12_GLOBAL__N_124unique_dim_cuda_templateIlEESt5tupleIJNSF_6TensorESK_SK_EERKSK_lbbbEUlllE0_EEPmJS9_EEE10hipError_tPvRmT3_T4_T5_T6_T7_T9_mT8_P12ihipStream_tbDpT10_ENKUlT_T0_E_clISt17integral_constantIbLb1EES19_IbLb0EEEEDaS15_S16_EUlS15_E_NS1_11comp_targetILNS1_3genE3ELNS1_11target_archE908ELNS1_3gpuE7ELNS1_3repE0EEENS1_30default_config_static_selectorELNS0_4arch9wavefront6targetE1EEEvT1_ ; -- Begin function _ZN7rocprim17ROCPRIM_400000_NS6detail17trampoline_kernelINS0_14default_configENS1_25partition_config_selectorILNS1_17partition_subalgoE9EllbEEZZNS1_14partition_implILS5_9ELb0ES3_jPlS8_PNS0_10empty_typeENS0_5tupleIJS8_S9_EEENSB_IJS8_SA_EEENS0_18inequality_wrapperIZN2at6native12_GLOBAL__N_124unique_dim_cuda_templateIlEESt5tupleIJNSF_6TensorESK_SK_EERKSK_lbbbEUlllE0_EEPmJS9_EEE10hipError_tPvRmT3_T4_T5_T6_T7_T9_mT8_P12ihipStream_tbDpT10_ENKUlT_T0_E_clISt17integral_constantIbLb1EES19_IbLb0EEEEDaS15_S16_EUlS15_E_NS1_11comp_targetILNS1_3genE3ELNS1_11target_archE908ELNS1_3gpuE7ELNS1_3repE0EEENS1_30default_config_static_selectorELNS0_4arch9wavefront6targetE1EEEvT1_
	.p2align	8
	.type	_ZN7rocprim17ROCPRIM_400000_NS6detail17trampoline_kernelINS0_14default_configENS1_25partition_config_selectorILNS1_17partition_subalgoE9EllbEEZZNS1_14partition_implILS5_9ELb0ES3_jPlS8_PNS0_10empty_typeENS0_5tupleIJS8_S9_EEENSB_IJS8_SA_EEENS0_18inequality_wrapperIZN2at6native12_GLOBAL__N_124unique_dim_cuda_templateIlEESt5tupleIJNSF_6TensorESK_SK_EERKSK_lbbbEUlllE0_EEPmJS9_EEE10hipError_tPvRmT3_T4_T5_T6_T7_T9_mT8_P12ihipStream_tbDpT10_ENKUlT_T0_E_clISt17integral_constantIbLb1EES19_IbLb0EEEEDaS15_S16_EUlS15_E_NS1_11comp_targetILNS1_3genE3ELNS1_11target_archE908ELNS1_3gpuE7ELNS1_3repE0EEENS1_30default_config_static_selectorELNS0_4arch9wavefront6targetE1EEEvT1_,@function
_ZN7rocprim17ROCPRIM_400000_NS6detail17trampoline_kernelINS0_14default_configENS1_25partition_config_selectorILNS1_17partition_subalgoE9EllbEEZZNS1_14partition_implILS5_9ELb0ES3_jPlS8_PNS0_10empty_typeENS0_5tupleIJS8_S9_EEENSB_IJS8_SA_EEENS0_18inequality_wrapperIZN2at6native12_GLOBAL__N_124unique_dim_cuda_templateIlEESt5tupleIJNSF_6TensorESK_SK_EERKSK_lbbbEUlllE0_EEPmJS9_EEE10hipError_tPvRmT3_T4_T5_T6_T7_T9_mT8_P12ihipStream_tbDpT10_ENKUlT_T0_E_clISt17integral_constantIbLb1EES19_IbLb0EEEEDaS15_S16_EUlS15_E_NS1_11comp_targetILNS1_3genE3ELNS1_11target_archE908ELNS1_3gpuE7ELNS1_3repE0EEENS1_30default_config_static_selectorELNS0_4arch9wavefront6targetE1EEEvT1_: ; @_ZN7rocprim17ROCPRIM_400000_NS6detail17trampoline_kernelINS0_14default_configENS1_25partition_config_selectorILNS1_17partition_subalgoE9EllbEEZZNS1_14partition_implILS5_9ELb0ES3_jPlS8_PNS0_10empty_typeENS0_5tupleIJS8_S9_EEENSB_IJS8_SA_EEENS0_18inequality_wrapperIZN2at6native12_GLOBAL__N_124unique_dim_cuda_templateIlEESt5tupleIJNSF_6TensorESK_SK_EERKSK_lbbbEUlllE0_EEPmJS9_EEE10hipError_tPvRmT3_T4_T5_T6_T7_T9_mT8_P12ihipStream_tbDpT10_ENKUlT_T0_E_clISt17integral_constantIbLb1EES19_IbLb0EEEEDaS15_S16_EUlS15_E_NS1_11comp_targetILNS1_3genE3ELNS1_11target_archE908ELNS1_3gpuE7ELNS1_3repE0EEENS1_30default_config_static_selectorELNS0_4arch9wavefront6targetE1EEEvT1_
; %bb.0:
	.section	.rodata,"a",@progbits
	.p2align	6, 0x0
	.amdhsa_kernel _ZN7rocprim17ROCPRIM_400000_NS6detail17trampoline_kernelINS0_14default_configENS1_25partition_config_selectorILNS1_17partition_subalgoE9EllbEEZZNS1_14partition_implILS5_9ELb0ES3_jPlS8_PNS0_10empty_typeENS0_5tupleIJS8_S9_EEENSB_IJS8_SA_EEENS0_18inequality_wrapperIZN2at6native12_GLOBAL__N_124unique_dim_cuda_templateIlEESt5tupleIJNSF_6TensorESK_SK_EERKSK_lbbbEUlllE0_EEPmJS9_EEE10hipError_tPvRmT3_T4_T5_T6_T7_T9_mT8_P12ihipStream_tbDpT10_ENKUlT_T0_E_clISt17integral_constantIbLb1EES19_IbLb0EEEEDaS15_S16_EUlS15_E_NS1_11comp_targetILNS1_3genE3ELNS1_11target_archE908ELNS1_3gpuE7ELNS1_3repE0EEENS1_30default_config_static_selectorELNS0_4arch9wavefront6targetE1EEEvT1_
		.amdhsa_group_segment_fixed_size 0
		.amdhsa_private_segment_fixed_size 0
		.amdhsa_kernarg_size 120
		.amdhsa_user_sgpr_count 6
		.amdhsa_user_sgpr_private_segment_buffer 1
		.amdhsa_user_sgpr_dispatch_ptr 0
		.amdhsa_user_sgpr_queue_ptr 0
		.amdhsa_user_sgpr_kernarg_segment_ptr 1
		.amdhsa_user_sgpr_dispatch_id 0
		.amdhsa_user_sgpr_flat_scratch_init 0
		.amdhsa_user_sgpr_kernarg_preload_length 0
		.amdhsa_user_sgpr_kernarg_preload_offset 0
		.amdhsa_user_sgpr_private_segment_size 0
		.amdhsa_uses_dynamic_stack 0
		.amdhsa_system_sgpr_private_segment_wavefront_offset 0
		.amdhsa_system_sgpr_workgroup_id_x 1
		.amdhsa_system_sgpr_workgroup_id_y 0
		.amdhsa_system_sgpr_workgroup_id_z 0
		.amdhsa_system_sgpr_workgroup_info 0
		.amdhsa_system_vgpr_workitem_id 0
		.amdhsa_next_free_vgpr 1
		.amdhsa_next_free_sgpr 0
		.amdhsa_accum_offset 4
		.amdhsa_reserve_vcc 0
		.amdhsa_reserve_flat_scratch 0
		.amdhsa_float_round_mode_32 0
		.amdhsa_float_round_mode_16_64 0
		.amdhsa_float_denorm_mode_32 3
		.amdhsa_float_denorm_mode_16_64 3
		.amdhsa_dx10_clamp 1
		.amdhsa_ieee_mode 1
		.amdhsa_fp16_overflow 0
		.amdhsa_tg_split 0
		.amdhsa_exception_fp_ieee_invalid_op 0
		.amdhsa_exception_fp_denorm_src 0
		.amdhsa_exception_fp_ieee_div_zero 0
		.amdhsa_exception_fp_ieee_overflow 0
		.amdhsa_exception_fp_ieee_underflow 0
		.amdhsa_exception_fp_ieee_inexact 0
		.amdhsa_exception_int_div_zero 0
	.end_amdhsa_kernel
	.section	.text._ZN7rocprim17ROCPRIM_400000_NS6detail17trampoline_kernelINS0_14default_configENS1_25partition_config_selectorILNS1_17partition_subalgoE9EllbEEZZNS1_14partition_implILS5_9ELb0ES3_jPlS8_PNS0_10empty_typeENS0_5tupleIJS8_S9_EEENSB_IJS8_SA_EEENS0_18inequality_wrapperIZN2at6native12_GLOBAL__N_124unique_dim_cuda_templateIlEESt5tupleIJNSF_6TensorESK_SK_EERKSK_lbbbEUlllE0_EEPmJS9_EEE10hipError_tPvRmT3_T4_T5_T6_T7_T9_mT8_P12ihipStream_tbDpT10_ENKUlT_T0_E_clISt17integral_constantIbLb1EES19_IbLb0EEEEDaS15_S16_EUlS15_E_NS1_11comp_targetILNS1_3genE3ELNS1_11target_archE908ELNS1_3gpuE7ELNS1_3repE0EEENS1_30default_config_static_selectorELNS0_4arch9wavefront6targetE1EEEvT1_,"axG",@progbits,_ZN7rocprim17ROCPRIM_400000_NS6detail17trampoline_kernelINS0_14default_configENS1_25partition_config_selectorILNS1_17partition_subalgoE9EllbEEZZNS1_14partition_implILS5_9ELb0ES3_jPlS8_PNS0_10empty_typeENS0_5tupleIJS8_S9_EEENSB_IJS8_SA_EEENS0_18inequality_wrapperIZN2at6native12_GLOBAL__N_124unique_dim_cuda_templateIlEESt5tupleIJNSF_6TensorESK_SK_EERKSK_lbbbEUlllE0_EEPmJS9_EEE10hipError_tPvRmT3_T4_T5_T6_T7_T9_mT8_P12ihipStream_tbDpT10_ENKUlT_T0_E_clISt17integral_constantIbLb1EES19_IbLb0EEEEDaS15_S16_EUlS15_E_NS1_11comp_targetILNS1_3genE3ELNS1_11target_archE908ELNS1_3gpuE7ELNS1_3repE0EEENS1_30default_config_static_selectorELNS0_4arch9wavefront6targetE1EEEvT1_,comdat
.Lfunc_end614:
	.size	_ZN7rocprim17ROCPRIM_400000_NS6detail17trampoline_kernelINS0_14default_configENS1_25partition_config_selectorILNS1_17partition_subalgoE9EllbEEZZNS1_14partition_implILS5_9ELb0ES3_jPlS8_PNS0_10empty_typeENS0_5tupleIJS8_S9_EEENSB_IJS8_SA_EEENS0_18inequality_wrapperIZN2at6native12_GLOBAL__N_124unique_dim_cuda_templateIlEESt5tupleIJNSF_6TensorESK_SK_EERKSK_lbbbEUlllE0_EEPmJS9_EEE10hipError_tPvRmT3_T4_T5_T6_T7_T9_mT8_P12ihipStream_tbDpT10_ENKUlT_T0_E_clISt17integral_constantIbLb1EES19_IbLb0EEEEDaS15_S16_EUlS15_E_NS1_11comp_targetILNS1_3genE3ELNS1_11target_archE908ELNS1_3gpuE7ELNS1_3repE0EEENS1_30default_config_static_selectorELNS0_4arch9wavefront6targetE1EEEvT1_, .Lfunc_end614-_ZN7rocprim17ROCPRIM_400000_NS6detail17trampoline_kernelINS0_14default_configENS1_25partition_config_selectorILNS1_17partition_subalgoE9EllbEEZZNS1_14partition_implILS5_9ELb0ES3_jPlS8_PNS0_10empty_typeENS0_5tupleIJS8_S9_EEENSB_IJS8_SA_EEENS0_18inequality_wrapperIZN2at6native12_GLOBAL__N_124unique_dim_cuda_templateIlEESt5tupleIJNSF_6TensorESK_SK_EERKSK_lbbbEUlllE0_EEPmJS9_EEE10hipError_tPvRmT3_T4_T5_T6_T7_T9_mT8_P12ihipStream_tbDpT10_ENKUlT_T0_E_clISt17integral_constantIbLb1EES19_IbLb0EEEEDaS15_S16_EUlS15_E_NS1_11comp_targetILNS1_3genE3ELNS1_11target_archE908ELNS1_3gpuE7ELNS1_3repE0EEENS1_30default_config_static_selectorELNS0_4arch9wavefront6targetE1EEEvT1_
                                        ; -- End function
	.section	.AMDGPU.csdata,"",@progbits
; Kernel info:
; codeLenInByte = 0
; NumSgprs: 4
; NumVgprs: 0
; NumAgprs: 0
; TotalNumVgprs: 0
; ScratchSize: 0
; MemoryBound: 0
; FloatMode: 240
; IeeeMode: 1
; LDSByteSize: 0 bytes/workgroup (compile time only)
; SGPRBlocks: 0
; VGPRBlocks: 0
; NumSGPRsForWavesPerEU: 4
; NumVGPRsForWavesPerEU: 1
; AccumOffset: 4
; Occupancy: 8
; WaveLimiterHint : 0
; COMPUTE_PGM_RSRC2:SCRATCH_EN: 0
; COMPUTE_PGM_RSRC2:USER_SGPR: 6
; COMPUTE_PGM_RSRC2:TRAP_HANDLER: 0
; COMPUTE_PGM_RSRC2:TGID_X_EN: 1
; COMPUTE_PGM_RSRC2:TGID_Y_EN: 0
; COMPUTE_PGM_RSRC2:TGID_Z_EN: 0
; COMPUTE_PGM_RSRC2:TIDIG_COMP_CNT: 0
; COMPUTE_PGM_RSRC3_GFX90A:ACCUM_OFFSET: 0
; COMPUTE_PGM_RSRC3_GFX90A:TG_SPLIT: 0
	.section	.text._ZN7rocprim17ROCPRIM_400000_NS6detail17trampoline_kernelINS0_14default_configENS1_25partition_config_selectorILNS1_17partition_subalgoE9EllbEEZZNS1_14partition_implILS5_9ELb0ES3_jPlS8_PNS0_10empty_typeENS0_5tupleIJS8_S9_EEENSB_IJS8_SA_EEENS0_18inequality_wrapperIZN2at6native12_GLOBAL__N_124unique_dim_cuda_templateIlEESt5tupleIJNSF_6TensorESK_SK_EERKSK_lbbbEUlllE0_EEPmJS9_EEE10hipError_tPvRmT3_T4_T5_T6_T7_T9_mT8_P12ihipStream_tbDpT10_ENKUlT_T0_E_clISt17integral_constantIbLb1EES19_IbLb0EEEEDaS15_S16_EUlS15_E_NS1_11comp_targetILNS1_3genE2ELNS1_11target_archE906ELNS1_3gpuE6ELNS1_3repE0EEENS1_30default_config_static_selectorELNS0_4arch9wavefront6targetE1EEEvT1_,"axG",@progbits,_ZN7rocprim17ROCPRIM_400000_NS6detail17trampoline_kernelINS0_14default_configENS1_25partition_config_selectorILNS1_17partition_subalgoE9EllbEEZZNS1_14partition_implILS5_9ELb0ES3_jPlS8_PNS0_10empty_typeENS0_5tupleIJS8_S9_EEENSB_IJS8_SA_EEENS0_18inequality_wrapperIZN2at6native12_GLOBAL__N_124unique_dim_cuda_templateIlEESt5tupleIJNSF_6TensorESK_SK_EERKSK_lbbbEUlllE0_EEPmJS9_EEE10hipError_tPvRmT3_T4_T5_T6_T7_T9_mT8_P12ihipStream_tbDpT10_ENKUlT_T0_E_clISt17integral_constantIbLb1EES19_IbLb0EEEEDaS15_S16_EUlS15_E_NS1_11comp_targetILNS1_3genE2ELNS1_11target_archE906ELNS1_3gpuE6ELNS1_3repE0EEENS1_30default_config_static_selectorELNS0_4arch9wavefront6targetE1EEEvT1_,comdat
	.globl	_ZN7rocprim17ROCPRIM_400000_NS6detail17trampoline_kernelINS0_14default_configENS1_25partition_config_selectorILNS1_17partition_subalgoE9EllbEEZZNS1_14partition_implILS5_9ELb0ES3_jPlS8_PNS0_10empty_typeENS0_5tupleIJS8_S9_EEENSB_IJS8_SA_EEENS0_18inequality_wrapperIZN2at6native12_GLOBAL__N_124unique_dim_cuda_templateIlEESt5tupleIJNSF_6TensorESK_SK_EERKSK_lbbbEUlllE0_EEPmJS9_EEE10hipError_tPvRmT3_T4_T5_T6_T7_T9_mT8_P12ihipStream_tbDpT10_ENKUlT_T0_E_clISt17integral_constantIbLb1EES19_IbLb0EEEEDaS15_S16_EUlS15_E_NS1_11comp_targetILNS1_3genE2ELNS1_11target_archE906ELNS1_3gpuE6ELNS1_3repE0EEENS1_30default_config_static_selectorELNS0_4arch9wavefront6targetE1EEEvT1_ ; -- Begin function _ZN7rocprim17ROCPRIM_400000_NS6detail17trampoline_kernelINS0_14default_configENS1_25partition_config_selectorILNS1_17partition_subalgoE9EllbEEZZNS1_14partition_implILS5_9ELb0ES3_jPlS8_PNS0_10empty_typeENS0_5tupleIJS8_S9_EEENSB_IJS8_SA_EEENS0_18inequality_wrapperIZN2at6native12_GLOBAL__N_124unique_dim_cuda_templateIlEESt5tupleIJNSF_6TensorESK_SK_EERKSK_lbbbEUlllE0_EEPmJS9_EEE10hipError_tPvRmT3_T4_T5_T6_T7_T9_mT8_P12ihipStream_tbDpT10_ENKUlT_T0_E_clISt17integral_constantIbLb1EES19_IbLb0EEEEDaS15_S16_EUlS15_E_NS1_11comp_targetILNS1_3genE2ELNS1_11target_archE906ELNS1_3gpuE6ELNS1_3repE0EEENS1_30default_config_static_selectorELNS0_4arch9wavefront6targetE1EEEvT1_
	.p2align	8
	.type	_ZN7rocprim17ROCPRIM_400000_NS6detail17trampoline_kernelINS0_14default_configENS1_25partition_config_selectorILNS1_17partition_subalgoE9EllbEEZZNS1_14partition_implILS5_9ELb0ES3_jPlS8_PNS0_10empty_typeENS0_5tupleIJS8_S9_EEENSB_IJS8_SA_EEENS0_18inequality_wrapperIZN2at6native12_GLOBAL__N_124unique_dim_cuda_templateIlEESt5tupleIJNSF_6TensorESK_SK_EERKSK_lbbbEUlllE0_EEPmJS9_EEE10hipError_tPvRmT3_T4_T5_T6_T7_T9_mT8_P12ihipStream_tbDpT10_ENKUlT_T0_E_clISt17integral_constantIbLb1EES19_IbLb0EEEEDaS15_S16_EUlS15_E_NS1_11comp_targetILNS1_3genE2ELNS1_11target_archE906ELNS1_3gpuE6ELNS1_3repE0EEENS1_30default_config_static_selectorELNS0_4arch9wavefront6targetE1EEEvT1_,@function
_ZN7rocprim17ROCPRIM_400000_NS6detail17trampoline_kernelINS0_14default_configENS1_25partition_config_selectorILNS1_17partition_subalgoE9EllbEEZZNS1_14partition_implILS5_9ELb0ES3_jPlS8_PNS0_10empty_typeENS0_5tupleIJS8_S9_EEENSB_IJS8_SA_EEENS0_18inequality_wrapperIZN2at6native12_GLOBAL__N_124unique_dim_cuda_templateIlEESt5tupleIJNSF_6TensorESK_SK_EERKSK_lbbbEUlllE0_EEPmJS9_EEE10hipError_tPvRmT3_T4_T5_T6_T7_T9_mT8_P12ihipStream_tbDpT10_ENKUlT_T0_E_clISt17integral_constantIbLb1EES19_IbLb0EEEEDaS15_S16_EUlS15_E_NS1_11comp_targetILNS1_3genE2ELNS1_11target_archE906ELNS1_3gpuE6ELNS1_3repE0EEENS1_30default_config_static_selectorELNS0_4arch9wavefront6targetE1EEEvT1_: ; @_ZN7rocprim17ROCPRIM_400000_NS6detail17trampoline_kernelINS0_14default_configENS1_25partition_config_selectorILNS1_17partition_subalgoE9EllbEEZZNS1_14partition_implILS5_9ELb0ES3_jPlS8_PNS0_10empty_typeENS0_5tupleIJS8_S9_EEENSB_IJS8_SA_EEENS0_18inequality_wrapperIZN2at6native12_GLOBAL__N_124unique_dim_cuda_templateIlEESt5tupleIJNSF_6TensorESK_SK_EERKSK_lbbbEUlllE0_EEPmJS9_EEE10hipError_tPvRmT3_T4_T5_T6_T7_T9_mT8_P12ihipStream_tbDpT10_ENKUlT_T0_E_clISt17integral_constantIbLb1EES19_IbLb0EEEEDaS15_S16_EUlS15_E_NS1_11comp_targetILNS1_3genE2ELNS1_11target_archE906ELNS1_3gpuE6ELNS1_3repE0EEENS1_30default_config_static_selectorELNS0_4arch9wavefront6targetE1EEEvT1_
; %bb.0:
	.section	.rodata,"a",@progbits
	.p2align	6, 0x0
	.amdhsa_kernel _ZN7rocprim17ROCPRIM_400000_NS6detail17trampoline_kernelINS0_14default_configENS1_25partition_config_selectorILNS1_17partition_subalgoE9EllbEEZZNS1_14partition_implILS5_9ELb0ES3_jPlS8_PNS0_10empty_typeENS0_5tupleIJS8_S9_EEENSB_IJS8_SA_EEENS0_18inequality_wrapperIZN2at6native12_GLOBAL__N_124unique_dim_cuda_templateIlEESt5tupleIJNSF_6TensorESK_SK_EERKSK_lbbbEUlllE0_EEPmJS9_EEE10hipError_tPvRmT3_T4_T5_T6_T7_T9_mT8_P12ihipStream_tbDpT10_ENKUlT_T0_E_clISt17integral_constantIbLb1EES19_IbLb0EEEEDaS15_S16_EUlS15_E_NS1_11comp_targetILNS1_3genE2ELNS1_11target_archE906ELNS1_3gpuE6ELNS1_3repE0EEENS1_30default_config_static_selectorELNS0_4arch9wavefront6targetE1EEEvT1_
		.amdhsa_group_segment_fixed_size 0
		.amdhsa_private_segment_fixed_size 0
		.amdhsa_kernarg_size 120
		.amdhsa_user_sgpr_count 6
		.amdhsa_user_sgpr_private_segment_buffer 1
		.amdhsa_user_sgpr_dispatch_ptr 0
		.amdhsa_user_sgpr_queue_ptr 0
		.amdhsa_user_sgpr_kernarg_segment_ptr 1
		.amdhsa_user_sgpr_dispatch_id 0
		.amdhsa_user_sgpr_flat_scratch_init 0
		.amdhsa_user_sgpr_kernarg_preload_length 0
		.amdhsa_user_sgpr_kernarg_preload_offset 0
		.amdhsa_user_sgpr_private_segment_size 0
		.amdhsa_uses_dynamic_stack 0
		.amdhsa_system_sgpr_private_segment_wavefront_offset 0
		.amdhsa_system_sgpr_workgroup_id_x 1
		.amdhsa_system_sgpr_workgroup_id_y 0
		.amdhsa_system_sgpr_workgroup_id_z 0
		.amdhsa_system_sgpr_workgroup_info 0
		.amdhsa_system_vgpr_workitem_id 0
		.amdhsa_next_free_vgpr 1
		.amdhsa_next_free_sgpr 0
		.amdhsa_accum_offset 4
		.amdhsa_reserve_vcc 0
		.amdhsa_reserve_flat_scratch 0
		.amdhsa_float_round_mode_32 0
		.amdhsa_float_round_mode_16_64 0
		.amdhsa_float_denorm_mode_32 3
		.amdhsa_float_denorm_mode_16_64 3
		.amdhsa_dx10_clamp 1
		.amdhsa_ieee_mode 1
		.amdhsa_fp16_overflow 0
		.amdhsa_tg_split 0
		.amdhsa_exception_fp_ieee_invalid_op 0
		.amdhsa_exception_fp_denorm_src 0
		.amdhsa_exception_fp_ieee_div_zero 0
		.amdhsa_exception_fp_ieee_overflow 0
		.amdhsa_exception_fp_ieee_underflow 0
		.amdhsa_exception_fp_ieee_inexact 0
		.amdhsa_exception_int_div_zero 0
	.end_amdhsa_kernel
	.section	.text._ZN7rocprim17ROCPRIM_400000_NS6detail17trampoline_kernelINS0_14default_configENS1_25partition_config_selectorILNS1_17partition_subalgoE9EllbEEZZNS1_14partition_implILS5_9ELb0ES3_jPlS8_PNS0_10empty_typeENS0_5tupleIJS8_S9_EEENSB_IJS8_SA_EEENS0_18inequality_wrapperIZN2at6native12_GLOBAL__N_124unique_dim_cuda_templateIlEESt5tupleIJNSF_6TensorESK_SK_EERKSK_lbbbEUlllE0_EEPmJS9_EEE10hipError_tPvRmT3_T4_T5_T6_T7_T9_mT8_P12ihipStream_tbDpT10_ENKUlT_T0_E_clISt17integral_constantIbLb1EES19_IbLb0EEEEDaS15_S16_EUlS15_E_NS1_11comp_targetILNS1_3genE2ELNS1_11target_archE906ELNS1_3gpuE6ELNS1_3repE0EEENS1_30default_config_static_selectorELNS0_4arch9wavefront6targetE1EEEvT1_,"axG",@progbits,_ZN7rocprim17ROCPRIM_400000_NS6detail17trampoline_kernelINS0_14default_configENS1_25partition_config_selectorILNS1_17partition_subalgoE9EllbEEZZNS1_14partition_implILS5_9ELb0ES3_jPlS8_PNS0_10empty_typeENS0_5tupleIJS8_S9_EEENSB_IJS8_SA_EEENS0_18inequality_wrapperIZN2at6native12_GLOBAL__N_124unique_dim_cuda_templateIlEESt5tupleIJNSF_6TensorESK_SK_EERKSK_lbbbEUlllE0_EEPmJS9_EEE10hipError_tPvRmT3_T4_T5_T6_T7_T9_mT8_P12ihipStream_tbDpT10_ENKUlT_T0_E_clISt17integral_constantIbLb1EES19_IbLb0EEEEDaS15_S16_EUlS15_E_NS1_11comp_targetILNS1_3genE2ELNS1_11target_archE906ELNS1_3gpuE6ELNS1_3repE0EEENS1_30default_config_static_selectorELNS0_4arch9wavefront6targetE1EEEvT1_,comdat
.Lfunc_end615:
	.size	_ZN7rocprim17ROCPRIM_400000_NS6detail17trampoline_kernelINS0_14default_configENS1_25partition_config_selectorILNS1_17partition_subalgoE9EllbEEZZNS1_14partition_implILS5_9ELb0ES3_jPlS8_PNS0_10empty_typeENS0_5tupleIJS8_S9_EEENSB_IJS8_SA_EEENS0_18inequality_wrapperIZN2at6native12_GLOBAL__N_124unique_dim_cuda_templateIlEESt5tupleIJNSF_6TensorESK_SK_EERKSK_lbbbEUlllE0_EEPmJS9_EEE10hipError_tPvRmT3_T4_T5_T6_T7_T9_mT8_P12ihipStream_tbDpT10_ENKUlT_T0_E_clISt17integral_constantIbLb1EES19_IbLb0EEEEDaS15_S16_EUlS15_E_NS1_11comp_targetILNS1_3genE2ELNS1_11target_archE906ELNS1_3gpuE6ELNS1_3repE0EEENS1_30default_config_static_selectorELNS0_4arch9wavefront6targetE1EEEvT1_, .Lfunc_end615-_ZN7rocprim17ROCPRIM_400000_NS6detail17trampoline_kernelINS0_14default_configENS1_25partition_config_selectorILNS1_17partition_subalgoE9EllbEEZZNS1_14partition_implILS5_9ELb0ES3_jPlS8_PNS0_10empty_typeENS0_5tupleIJS8_S9_EEENSB_IJS8_SA_EEENS0_18inequality_wrapperIZN2at6native12_GLOBAL__N_124unique_dim_cuda_templateIlEESt5tupleIJNSF_6TensorESK_SK_EERKSK_lbbbEUlllE0_EEPmJS9_EEE10hipError_tPvRmT3_T4_T5_T6_T7_T9_mT8_P12ihipStream_tbDpT10_ENKUlT_T0_E_clISt17integral_constantIbLb1EES19_IbLb0EEEEDaS15_S16_EUlS15_E_NS1_11comp_targetILNS1_3genE2ELNS1_11target_archE906ELNS1_3gpuE6ELNS1_3repE0EEENS1_30default_config_static_selectorELNS0_4arch9wavefront6targetE1EEEvT1_
                                        ; -- End function
	.section	.AMDGPU.csdata,"",@progbits
; Kernel info:
; codeLenInByte = 0
; NumSgprs: 4
; NumVgprs: 0
; NumAgprs: 0
; TotalNumVgprs: 0
; ScratchSize: 0
; MemoryBound: 0
; FloatMode: 240
; IeeeMode: 1
; LDSByteSize: 0 bytes/workgroup (compile time only)
; SGPRBlocks: 0
; VGPRBlocks: 0
; NumSGPRsForWavesPerEU: 4
; NumVGPRsForWavesPerEU: 1
; AccumOffset: 4
; Occupancy: 8
; WaveLimiterHint : 0
; COMPUTE_PGM_RSRC2:SCRATCH_EN: 0
; COMPUTE_PGM_RSRC2:USER_SGPR: 6
; COMPUTE_PGM_RSRC2:TRAP_HANDLER: 0
; COMPUTE_PGM_RSRC2:TGID_X_EN: 1
; COMPUTE_PGM_RSRC2:TGID_Y_EN: 0
; COMPUTE_PGM_RSRC2:TGID_Z_EN: 0
; COMPUTE_PGM_RSRC2:TIDIG_COMP_CNT: 0
; COMPUTE_PGM_RSRC3_GFX90A:ACCUM_OFFSET: 0
; COMPUTE_PGM_RSRC3_GFX90A:TG_SPLIT: 0
	.section	.text._ZN7rocprim17ROCPRIM_400000_NS6detail17trampoline_kernelINS0_14default_configENS1_25partition_config_selectorILNS1_17partition_subalgoE9EllbEEZZNS1_14partition_implILS5_9ELb0ES3_jPlS8_PNS0_10empty_typeENS0_5tupleIJS8_S9_EEENSB_IJS8_SA_EEENS0_18inequality_wrapperIZN2at6native12_GLOBAL__N_124unique_dim_cuda_templateIlEESt5tupleIJNSF_6TensorESK_SK_EERKSK_lbbbEUlllE0_EEPmJS9_EEE10hipError_tPvRmT3_T4_T5_T6_T7_T9_mT8_P12ihipStream_tbDpT10_ENKUlT_T0_E_clISt17integral_constantIbLb1EES19_IbLb0EEEEDaS15_S16_EUlS15_E_NS1_11comp_targetILNS1_3genE10ELNS1_11target_archE1200ELNS1_3gpuE4ELNS1_3repE0EEENS1_30default_config_static_selectorELNS0_4arch9wavefront6targetE1EEEvT1_,"axG",@progbits,_ZN7rocprim17ROCPRIM_400000_NS6detail17trampoline_kernelINS0_14default_configENS1_25partition_config_selectorILNS1_17partition_subalgoE9EllbEEZZNS1_14partition_implILS5_9ELb0ES3_jPlS8_PNS0_10empty_typeENS0_5tupleIJS8_S9_EEENSB_IJS8_SA_EEENS0_18inequality_wrapperIZN2at6native12_GLOBAL__N_124unique_dim_cuda_templateIlEESt5tupleIJNSF_6TensorESK_SK_EERKSK_lbbbEUlllE0_EEPmJS9_EEE10hipError_tPvRmT3_T4_T5_T6_T7_T9_mT8_P12ihipStream_tbDpT10_ENKUlT_T0_E_clISt17integral_constantIbLb1EES19_IbLb0EEEEDaS15_S16_EUlS15_E_NS1_11comp_targetILNS1_3genE10ELNS1_11target_archE1200ELNS1_3gpuE4ELNS1_3repE0EEENS1_30default_config_static_selectorELNS0_4arch9wavefront6targetE1EEEvT1_,comdat
	.globl	_ZN7rocprim17ROCPRIM_400000_NS6detail17trampoline_kernelINS0_14default_configENS1_25partition_config_selectorILNS1_17partition_subalgoE9EllbEEZZNS1_14partition_implILS5_9ELb0ES3_jPlS8_PNS0_10empty_typeENS0_5tupleIJS8_S9_EEENSB_IJS8_SA_EEENS0_18inequality_wrapperIZN2at6native12_GLOBAL__N_124unique_dim_cuda_templateIlEESt5tupleIJNSF_6TensorESK_SK_EERKSK_lbbbEUlllE0_EEPmJS9_EEE10hipError_tPvRmT3_T4_T5_T6_T7_T9_mT8_P12ihipStream_tbDpT10_ENKUlT_T0_E_clISt17integral_constantIbLb1EES19_IbLb0EEEEDaS15_S16_EUlS15_E_NS1_11comp_targetILNS1_3genE10ELNS1_11target_archE1200ELNS1_3gpuE4ELNS1_3repE0EEENS1_30default_config_static_selectorELNS0_4arch9wavefront6targetE1EEEvT1_ ; -- Begin function _ZN7rocprim17ROCPRIM_400000_NS6detail17trampoline_kernelINS0_14default_configENS1_25partition_config_selectorILNS1_17partition_subalgoE9EllbEEZZNS1_14partition_implILS5_9ELb0ES3_jPlS8_PNS0_10empty_typeENS0_5tupleIJS8_S9_EEENSB_IJS8_SA_EEENS0_18inequality_wrapperIZN2at6native12_GLOBAL__N_124unique_dim_cuda_templateIlEESt5tupleIJNSF_6TensorESK_SK_EERKSK_lbbbEUlllE0_EEPmJS9_EEE10hipError_tPvRmT3_T4_T5_T6_T7_T9_mT8_P12ihipStream_tbDpT10_ENKUlT_T0_E_clISt17integral_constantIbLb1EES19_IbLb0EEEEDaS15_S16_EUlS15_E_NS1_11comp_targetILNS1_3genE10ELNS1_11target_archE1200ELNS1_3gpuE4ELNS1_3repE0EEENS1_30default_config_static_selectorELNS0_4arch9wavefront6targetE1EEEvT1_
	.p2align	8
	.type	_ZN7rocprim17ROCPRIM_400000_NS6detail17trampoline_kernelINS0_14default_configENS1_25partition_config_selectorILNS1_17partition_subalgoE9EllbEEZZNS1_14partition_implILS5_9ELb0ES3_jPlS8_PNS0_10empty_typeENS0_5tupleIJS8_S9_EEENSB_IJS8_SA_EEENS0_18inequality_wrapperIZN2at6native12_GLOBAL__N_124unique_dim_cuda_templateIlEESt5tupleIJNSF_6TensorESK_SK_EERKSK_lbbbEUlllE0_EEPmJS9_EEE10hipError_tPvRmT3_T4_T5_T6_T7_T9_mT8_P12ihipStream_tbDpT10_ENKUlT_T0_E_clISt17integral_constantIbLb1EES19_IbLb0EEEEDaS15_S16_EUlS15_E_NS1_11comp_targetILNS1_3genE10ELNS1_11target_archE1200ELNS1_3gpuE4ELNS1_3repE0EEENS1_30default_config_static_selectorELNS0_4arch9wavefront6targetE1EEEvT1_,@function
_ZN7rocprim17ROCPRIM_400000_NS6detail17trampoline_kernelINS0_14default_configENS1_25partition_config_selectorILNS1_17partition_subalgoE9EllbEEZZNS1_14partition_implILS5_9ELb0ES3_jPlS8_PNS0_10empty_typeENS0_5tupleIJS8_S9_EEENSB_IJS8_SA_EEENS0_18inequality_wrapperIZN2at6native12_GLOBAL__N_124unique_dim_cuda_templateIlEESt5tupleIJNSF_6TensorESK_SK_EERKSK_lbbbEUlllE0_EEPmJS9_EEE10hipError_tPvRmT3_T4_T5_T6_T7_T9_mT8_P12ihipStream_tbDpT10_ENKUlT_T0_E_clISt17integral_constantIbLb1EES19_IbLb0EEEEDaS15_S16_EUlS15_E_NS1_11comp_targetILNS1_3genE10ELNS1_11target_archE1200ELNS1_3gpuE4ELNS1_3repE0EEENS1_30default_config_static_selectorELNS0_4arch9wavefront6targetE1EEEvT1_: ; @_ZN7rocprim17ROCPRIM_400000_NS6detail17trampoline_kernelINS0_14default_configENS1_25partition_config_selectorILNS1_17partition_subalgoE9EllbEEZZNS1_14partition_implILS5_9ELb0ES3_jPlS8_PNS0_10empty_typeENS0_5tupleIJS8_S9_EEENSB_IJS8_SA_EEENS0_18inequality_wrapperIZN2at6native12_GLOBAL__N_124unique_dim_cuda_templateIlEESt5tupleIJNSF_6TensorESK_SK_EERKSK_lbbbEUlllE0_EEPmJS9_EEE10hipError_tPvRmT3_T4_T5_T6_T7_T9_mT8_P12ihipStream_tbDpT10_ENKUlT_T0_E_clISt17integral_constantIbLb1EES19_IbLb0EEEEDaS15_S16_EUlS15_E_NS1_11comp_targetILNS1_3genE10ELNS1_11target_archE1200ELNS1_3gpuE4ELNS1_3repE0EEENS1_30default_config_static_selectorELNS0_4arch9wavefront6targetE1EEEvT1_
; %bb.0:
	.section	.rodata,"a",@progbits
	.p2align	6, 0x0
	.amdhsa_kernel _ZN7rocprim17ROCPRIM_400000_NS6detail17trampoline_kernelINS0_14default_configENS1_25partition_config_selectorILNS1_17partition_subalgoE9EllbEEZZNS1_14partition_implILS5_9ELb0ES3_jPlS8_PNS0_10empty_typeENS0_5tupleIJS8_S9_EEENSB_IJS8_SA_EEENS0_18inequality_wrapperIZN2at6native12_GLOBAL__N_124unique_dim_cuda_templateIlEESt5tupleIJNSF_6TensorESK_SK_EERKSK_lbbbEUlllE0_EEPmJS9_EEE10hipError_tPvRmT3_T4_T5_T6_T7_T9_mT8_P12ihipStream_tbDpT10_ENKUlT_T0_E_clISt17integral_constantIbLb1EES19_IbLb0EEEEDaS15_S16_EUlS15_E_NS1_11comp_targetILNS1_3genE10ELNS1_11target_archE1200ELNS1_3gpuE4ELNS1_3repE0EEENS1_30default_config_static_selectorELNS0_4arch9wavefront6targetE1EEEvT1_
		.amdhsa_group_segment_fixed_size 0
		.amdhsa_private_segment_fixed_size 0
		.amdhsa_kernarg_size 120
		.amdhsa_user_sgpr_count 6
		.amdhsa_user_sgpr_private_segment_buffer 1
		.amdhsa_user_sgpr_dispatch_ptr 0
		.amdhsa_user_sgpr_queue_ptr 0
		.amdhsa_user_sgpr_kernarg_segment_ptr 1
		.amdhsa_user_sgpr_dispatch_id 0
		.amdhsa_user_sgpr_flat_scratch_init 0
		.amdhsa_user_sgpr_kernarg_preload_length 0
		.amdhsa_user_sgpr_kernarg_preload_offset 0
		.amdhsa_user_sgpr_private_segment_size 0
		.amdhsa_uses_dynamic_stack 0
		.amdhsa_system_sgpr_private_segment_wavefront_offset 0
		.amdhsa_system_sgpr_workgroup_id_x 1
		.amdhsa_system_sgpr_workgroup_id_y 0
		.amdhsa_system_sgpr_workgroup_id_z 0
		.amdhsa_system_sgpr_workgroup_info 0
		.amdhsa_system_vgpr_workitem_id 0
		.amdhsa_next_free_vgpr 1
		.amdhsa_next_free_sgpr 0
		.amdhsa_accum_offset 4
		.amdhsa_reserve_vcc 0
		.amdhsa_reserve_flat_scratch 0
		.amdhsa_float_round_mode_32 0
		.amdhsa_float_round_mode_16_64 0
		.amdhsa_float_denorm_mode_32 3
		.amdhsa_float_denorm_mode_16_64 3
		.amdhsa_dx10_clamp 1
		.amdhsa_ieee_mode 1
		.amdhsa_fp16_overflow 0
		.amdhsa_tg_split 0
		.amdhsa_exception_fp_ieee_invalid_op 0
		.amdhsa_exception_fp_denorm_src 0
		.amdhsa_exception_fp_ieee_div_zero 0
		.amdhsa_exception_fp_ieee_overflow 0
		.amdhsa_exception_fp_ieee_underflow 0
		.amdhsa_exception_fp_ieee_inexact 0
		.amdhsa_exception_int_div_zero 0
	.end_amdhsa_kernel
	.section	.text._ZN7rocprim17ROCPRIM_400000_NS6detail17trampoline_kernelINS0_14default_configENS1_25partition_config_selectorILNS1_17partition_subalgoE9EllbEEZZNS1_14partition_implILS5_9ELb0ES3_jPlS8_PNS0_10empty_typeENS0_5tupleIJS8_S9_EEENSB_IJS8_SA_EEENS0_18inequality_wrapperIZN2at6native12_GLOBAL__N_124unique_dim_cuda_templateIlEESt5tupleIJNSF_6TensorESK_SK_EERKSK_lbbbEUlllE0_EEPmJS9_EEE10hipError_tPvRmT3_T4_T5_T6_T7_T9_mT8_P12ihipStream_tbDpT10_ENKUlT_T0_E_clISt17integral_constantIbLb1EES19_IbLb0EEEEDaS15_S16_EUlS15_E_NS1_11comp_targetILNS1_3genE10ELNS1_11target_archE1200ELNS1_3gpuE4ELNS1_3repE0EEENS1_30default_config_static_selectorELNS0_4arch9wavefront6targetE1EEEvT1_,"axG",@progbits,_ZN7rocprim17ROCPRIM_400000_NS6detail17trampoline_kernelINS0_14default_configENS1_25partition_config_selectorILNS1_17partition_subalgoE9EllbEEZZNS1_14partition_implILS5_9ELb0ES3_jPlS8_PNS0_10empty_typeENS0_5tupleIJS8_S9_EEENSB_IJS8_SA_EEENS0_18inequality_wrapperIZN2at6native12_GLOBAL__N_124unique_dim_cuda_templateIlEESt5tupleIJNSF_6TensorESK_SK_EERKSK_lbbbEUlllE0_EEPmJS9_EEE10hipError_tPvRmT3_T4_T5_T6_T7_T9_mT8_P12ihipStream_tbDpT10_ENKUlT_T0_E_clISt17integral_constantIbLb1EES19_IbLb0EEEEDaS15_S16_EUlS15_E_NS1_11comp_targetILNS1_3genE10ELNS1_11target_archE1200ELNS1_3gpuE4ELNS1_3repE0EEENS1_30default_config_static_selectorELNS0_4arch9wavefront6targetE1EEEvT1_,comdat
.Lfunc_end616:
	.size	_ZN7rocprim17ROCPRIM_400000_NS6detail17trampoline_kernelINS0_14default_configENS1_25partition_config_selectorILNS1_17partition_subalgoE9EllbEEZZNS1_14partition_implILS5_9ELb0ES3_jPlS8_PNS0_10empty_typeENS0_5tupleIJS8_S9_EEENSB_IJS8_SA_EEENS0_18inequality_wrapperIZN2at6native12_GLOBAL__N_124unique_dim_cuda_templateIlEESt5tupleIJNSF_6TensorESK_SK_EERKSK_lbbbEUlllE0_EEPmJS9_EEE10hipError_tPvRmT3_T4_T5_T6_T7_T9_mT8_P12ihipStream_tbDpT10_ENKUlT_T0_E_clISt17integral_constantIbLb1EES19_IbLb0EEEEDaS15_S16_EUlS15_E_NS1_11comp_targetILNS1_3genE10ELNS1_11target_archE1200ELNS1_3gpuE4ELNS1_3repE0EEENS1_30default_config_static_selectorELNS0_4arch9wavefront6targetE1EEEvT1_, .Lfunc_end616-_ZN7rocprim17ROCPRIM_400000_NS6detail17trampoline_kernelINS0_14default_configENS1_25partition_config_selectorILNS1_17partition_subalgoE9EllbEEZZNS1_14partition_implILS5_9ELb0ES3_jPlS8_PNS0_10empty_typeENS0_5tupleIJS8_S9_EEENSB_IJS8_SA_EEENS0_18inequality_wrapperIZN2at6native12_GLOBAL__N_124unique_dim_cuda_templateIlEESt5tupleIJNSF_6TensorESK_SK_EERKSK_lbbbEUlllE0_EEPmJS9_EEE10hipError_tPvRmT3_T4_T5_T6_T7_T9_mT8_P12ihipStream_tbDpT10_ENKUlT_T0_E_clISt17integral_constantIbLb1EES19_IbLb0EEEEDaS15_S16_EUlS15_E_NS1_11comp_targetILNS1_3genE10ELNS1_11target_archE1200ELNS1_3gpuE4ELNS1_3repE0EEENS1_30default_config_static_selectorELNS0_4arch9wavefront6targetE1EEEvT1_
                                        ; -- End function
	.section	.AMDGPU.csdata,"",@progbits
; Kernel info:
; codeLenInByte = 0
; NumSgprs: 4
; NumVgprs: 0
; NumAgprs: 0
; TotalNumVgprs: 0
; ScratchSize: 0
; MemoryBound: 0
; FloatMode: 240
; IeeeMode: 1
; LDSByteSize: 0 bytes/workgroup (compile time only)
; SGPRBlocks: 0
; VGPRBlocks: 0
; NumSGPRsForWavesPerEU: 4
; NumVGPRsForWavesPerEU: 1
; AccumOffset: 4
; Occupancy: 8
; WaveLimiterHint : 0
; COMPUTE_PGM_RSRC2:SCRATCH_EN: 0
; COMPUTE_PGM_RSRC2:USER_SGPR: 6
; COMPUTE_PGM_RSRC2:TRAP_HANDLER: 0
; COMPUTE_PGM_RSRC2:TGID_X_EN: 1
; COMPUTE_PGM_RSRC2:TGID_Y_EN: 0
; COMPUTE_PGM_RSRC2:TGID_Z_EN: 0
; COMPUTE_PGM_RSRC2:TIDIG_COMP_CNT: 0
; COMPUTE_PGM_RSRC3_GFX90A:ACCUM_OFFSET: 0
; COMPUTE_PGM_RSRC3_GFX90A:TG_SPLIT: 0
	.section	.text._ZN7rocprim17ROCPRIM_400000_NS6detail17trampoline_kernelINS0_14default_configENS1_25partition_config_selectorILNS1_17partition_subalgoE9EllbEEZZNS1_14partition_implILS5_9ELb0ES3_jPlS8_PNS0_10empty_typeENS0_5tupleIJS8_S9_EEENSB_IJS8_SA_EEENS0_18inequality_wrapperIZN2at6native12_GLOBAL__N_124unique_dim_cuda_templateIlEESt5tupleIJNSF_6TensorESK_SK_EERKSK_lbbbEUlllE0_EEPmJS9_EEE10hipError_tPvRmT3_T4_T5_T6_T7_T9_mT8_P12ihipStream_tbDpT10_ENKUlT_T0_E_clISt17integral_constantIbLb1EES19_IbLb0EEEEDaS15_S16_EUlS15_E_NS1_11comp_targetILNS1_3genE9ELNS1_11target_archE1100ELNS1_3gpuE3ELNS1_3repE0EEENS1_30default_config_static_selectorELNS0_4arch9wavefront6targetE1EEEvT1_,"axG",@progbits,_ZN7rocprim17ROCPRIM_400000_NS6detail17trampoline_kernelINS0_14default_configENS1_25partition_config_selectorILNS1_17partition_subalgoE9EllbEEZZNS1_14partition_implILS5_9ELb0ES3_jPlS8_PNS0_10empty_typeENS0_5tupleIJS8_S9_EEENSB_IJS8_SA_EEENS0_18inequality_wrapperIZN2at6native12_GLOBAL__N_124unique_dim_cuda_templateIlEESt5tupleIJNSF_6TensorESK_SK_EERKSK_lbbbEUlllE0_EEPmJS9_EEE10hipError_tPvRmT3_T4_T5_T6_T7_T9_mT8_P12ihipStream_tbDpT10_ENKUlT_T0_E_clISt17integral_constantIbLb1EES19_IbLb0EEEEDaS15_S16_EUlS15_E_NS1_11comp_targetILNS1_3genE9ELNS1_11target_archE1100ELNS1_3gpuE3ELNS1_3repE0EEENS1_30default_config_static_selectorELNS0_4arch9wavefront6targetE1EEEvT1_,comdat
	.globl	_ZN7rocprim17ROCPRIM_400000_NS6detail17trampoline_kernelINS0_14default_configENS1_25partition_config_selectorILNS1_17partition_subalgoE9EllbEEZZNS1_14partition_implILS5_9ELb0ES3_jPlS8_PNS0_10empty_typeENS0_5tupleIJS8_S9_EEENSB_IJS8_SA_EEENS0_18inequality_wrapperIZN2at6native12_GLOBAL__N_124unique_dim_cuda_templateIlEESt5tupleIJNSF_6TensorESK_SK_EERKSK_lbbbEUlllE0_EEPmJS9_EEE10hipError_tPvRmT3_T4_T5_T6_T7_T9_mT8_P12ihipStream_tbDpT10_ENKUlT_T0_E_clISt17integral_constantIbLb1EES19_IbLb0EEEEDaS15_S16_EUlS15_E_NS1_11comp_targetILNS1_3genE9ELNS1_11target_archE1100ELNS1_3gpuE3ELNS1_3repE0EEENS1_30default_config_static_selectorELNS0_4arch9wavefront6targetE1EEEvT1_ ; -- Begin function _ZN7rocprim17ROCPRIM_400000_NS6detail17trampoline_kernelINS0_14default_configENS1_25partition_config_selectorILNS1_17partition_subalgoE9EllbEEZZNS1_14partition_implILS5_9ELb0ES3_jPlS8_PNS0_10empty_typeENS0_5tupleIJS8_S9_EEENSB_IJS8_SA_EEENS0_18inequality_wrapperIZN2at6native12_GLOBAL__N_124unique_dim_cuda_templateIlEESt5tupleIJNSF_6TensorESK_SK_EERKSK_lbbbEUlllE0_EEPmJS9_EEE10hipError_tPvRmT3_T4_T5_T6_T7_T9_mT8_P12ihipStream_tbDpT10_ENKUlT_T0_E_clISt17integral_constantIbLb1EES19_IbLb0EEEEDaS15_S16_EUlS15_E_NS1_11comp_targetILNS1_3genE9ELNS1_11target_archE1100ELNS1_3gpuE3ELNS1_3repE0EEENS1_30default_config_static_selectorELNS0_4arch9wavefront6targetE1EEEvT1_
	.p2align	8
	.type	_ZN7rocprim17ROCPRIM_400000_NS6detail17trampoline_kernelINS0_14default_configENS1_25partition_config_selectorILNS1_17partition_subalgoE9EllbEEZZNS1_14partition_implILS5_9ELb0ES3_jPlS8_PNS0_10empty_typeENS0_5tupleIJS8_S9_EEENSB_IJS8_SA_EEENS0_18inequality_wrapperIZN2at6native12_GLOBAL__N_124unique_dim_cuda_templateIlEESt5tupleIJNSF_6TensorESK_SK_EERKSK_lbbbEUlllE0_EEPmJS9_EEE10hipError_tPvRmT3_T4_T5_T6_T7_T9_mT8_P12ihipStream_tbDpT10_ENKUlT_T0_E_clISt17integral_constantIbLb1EES19_IbLb0EEEEDaS15_S16_EUlS15_E_NS1_11comp_targetILNS1_3genE9ELNS1_11target_archE1100ELNS1_3gpuE3ELNS1_3repE0EEENS1_30default_config_static_selectorELNS0_4arch9wavefront6targetE1EEEvT1_,@function
_ZN7rocprim17ROCPRIM_400000_NS6detail17trampoline_kernelINS0_14default_configENS1_25partition_config_selectorILNS1_17partition_subalgoE9EllbEEZZNS1_14partition_implILS5_9ELb0ES3_jPlS8_PNS0_10empty_typeENS0_5tupleIJS8_S9_EEENSB_IJS8_SA_EEENS0_18inequality_wrapperIZN2at6native12_GLOBAL__N_124unique_dim_cuda_templateIlEESt5tupleIJNSF_6TensorESK_SK_EERKSK_lbbbEUlllE0_EEPmJS9_EEE10hipError_tPvRmT3_T4_T5_T6_T7_T9_mT8_P12ihipStream_tbDpT10_ENKUlT_T0_E_clISt17integral_constantIbLb1EES19_IbLb0EEEEDaS15_S16_EUlS15_E_NS1_11comp_targetILNS1_3genE9ELNS1_11target_archE1100ELNS1_3gpuE3ELNS1_3repE0EEENS1_30default_config_static_selectorELNS0_4arch9wavefront6targetE1EEEvT1_: ; @_ZN7rocprim17ROCPRIM_400000_NS6detail17trampoline_kernelINS0_14default_configENS1_25partition_config_selectorILNS1_17partition_subalgoE9EllbEEZZNS1_14partition_implILS5_9ELb0ES3_jPlS8_PNS0_10empty_typeENS0_5tupleIJS8_S9_EEENSB_IJS8_SA_EEENS0_18inequality_wrapperIZN2at6native12_GLOBAL__N_124unique_dim_cuda_templateIlEESt5tupleIJNSF_6TensorESK_SK_EERKSK_lbbbEUlllE0_EEPmJS9_EEE10hipError_tPvRmT3_T4_T5_T6_T7_T9_mT8_P12ihipStream_tbDpT10_ENKUlT_T0_E_clISt17integral_constantIbLb1EES19_IbLb0EEEEDaS15_S16_EUlS15_E_NS1_11comp_targetILNS1_3genE9ELNS1_11target_archE1100ELNS1_3gpuE3ELNS1_3repE0EEENS1_30default_config_static_selectorELNS0_4arch9wavefront6targetE1EEEvT1_
; %bb.0:
	.section	.rodata,"a",@progbits
	.p2align	6, 0x0
	.amdhsa_kernel _ZN7rocprim17ROCPRIM_400000_NS6detail17trampoline_kernelINS0_14default_configENS1_25partition_config_selectorILNS1_17partition_subalgoE9EllbEEZZNS1_14partition_implILS5_9ELb0ES3_jPlS8_PNS0_10empty_typeENS0_5tupleIJS8_S9_EEENSB_IJS8_SA_EEENS0_18inequality_wrapperIZN2at6native12_GLOBAL__N_124unique_dim_cuda_templateIlEESt5tupleIJNSF_6TensorESK_SK_EERKSK_lbbbEUlllE0_EEPmJS9_EEE10hipError_tPvRmT3_T4_T5_T6_T7_T9_mT8_P12ihipStream_tbDpT10_ENKUlT_T0_E_clISt17integral_constantIbLb1EES19_IbLb0EEEEDaS15_S16_EUlS15_E_NS1_11comp_targetILNS1_3genE9ELNS1_11target_archE1100ELNS1_3gpuE3ELNS1_3repE0EEENS1_30default_config_static_selectorELNS0_4arch9wavefront6targetE1EEEvT1_
		.amdhsa_group_segment_fixed_size 0
		.amdhsa_private_segment_fixed_size 0
		.amdhsa_kernarg_size 120
		.amdhsa_user_sgpr_count 6
		.amdhsa_user_sgpr_private_segment_buffer 1
		.amdhsa_user_sgpr_dispatch_ptr 0
		.amdhsa_user_sgpr_queue_ptr 0
		.amdhsa_user_sgpr_kernarg_segment_ptr 1
		.amdhsa_user_sgpr_dispatch_id 0
		.amdhsa_user_sgpr_flat_scratch_init 0
		.amdhsa_user_sgpr_kernarg_preload_length 0
		.amdhsa_user_sgpr_kernarg_preload_offset 0
		.amdhsa_user_sgpr_private_segment_size 0
		.amdhsa_uses_dynamic_stack 0
		.amdhsa_system_sgpr_private_segment_wavefront_offset 0
		.amdhsa_system_sgpr_workgroup_id_x 1
		.amdhsa_system_sgpr_workgroup_id_y 0
		.amdhsa_system_sgpr_workgroup_id_z 0
		.amdhsa_system_sgpr_workgroup_info 0
		.amdhsa_system_vgpr_workitem_id 0
		.amdhsa_next_free_vgpr 1
		.amdhsa_next_free_sgpr 0
		.amdhsa_accum_offset 4
		.amdhsa_reserve_vcc 0
		.amdhsa_reserve_flat_scratch 0
		.amdhsa_float_round_mode_32 0
		.amdhsa_float_round_mode_16_64 0
		.amdhsa_float_denorm_mode_32 3
		.amdhsa_float_denorm_mode_16_64 3
		.amdhsa_dx10_clamp 1
		.amdhsa_ieee_mode 1
		.amdhsa_fp16_overflow 0
		.amdhsa_tg_split 0
		.amdhsa_exception_fp_ieee_invalid_op 0
		.amdhsa_exception_fp_denorm_src 0
		.amdhsa_exception_fp_ieee_div_zero 0
		.amdhsa_exception_fp_ieee_overflow 0
		.amdhsa_exception_fp_ieee_underflow 0
		.amdhsa_exception_fp_ieee_inexact 0
		.amdhsa_exception_int_div_zero 0
	.end_amdhsa_kernel
	.section	.text._ZN7rocprim17ROCPRIM_400000_NS6detail17trampoline_kernelINS0_14default_configENS1_25partition_config_selectorILNS1_17partition_subalgoE9EllbEEZZNS1_14partition_implILS5_9ELb0ES3_jPlS8_PNS0_10empty_typeENS0_5tupleIJS8_S9_EEENSB_IJS8_SA_EEENS0_18inequality_wrapperIZN2at6native12_GLOBAL__N_124unique_dim_cuda_templateIlEESt5tupleIJNSF_6TensorESK_SK_EERKSK_lbbbEUlllE0_EEPmJS9_EEE10hipError_tPvRmT3_T4_T5_T6_T7_T9_mT8_P12ihipStream_tbDpT10_ENKUlT_T0_E_clISt17integral_constantIbLb1EES19_IbLb0EEEEDaS15_S16_EUlS15_E_NS1_11comp_targetILNS1_3genE9ELNS1_11target_archE1100ELNS1_3gpuE3ELNS1_3repE0EEENS1_30default_config_static_selectorELNS0_4arch9wavefront6targetE1EEEvT1_,"axG",@progbits,_ZN7rocprim17ROCPRIM_400000_NS6detail17trampoline_kernelINS0_14default_configENS1_25partition_config_selectorILNS1_17partition_subalgoE9EllbEEZZNS1_14partition_implILS5_9ELb0ES3_jPlS8_PNS0_10empty_typeENS0_5tupleIJS8_S9_EEENSB_IJS8_SA_EEENS0_18inequality_wrapperIZN2at6native12_GLOBAL__N_124unique_dim_cuda_templateIlEESt5tupleIJNSF_6TensorESK_SK_EERKSK_lbbbEUlllE0_EEPmJS9_EEE10hipError_tPvRmT3_T4_T5_T6_T7_T9_mT8_P12ihipStream_tbDpT10_ENKUlT_T0_E_clISt17integral_constantIbLb1EES19_IbLb0EEEEDaS15_S16_EUlS15_E_NS1_11comp_targetILNS1_3genE9ELNS1_11target_archE1100ELNS1_3gpuE3ELNS1_3repE0EEENS1_30default_config_static_selectorELNS0_4arch9wavefront6targetE1EEEvT1_,comdat
.Lfunc_end617:
	.size	_ZN7rocprim17ROCPRIM_400000_NS6detail17trampoline_kernelINS0_14default_configENS1_25partition_config_selectorILNS1_17partition_subalgoE9EllbEEZZNS1_14partition_implILS5_9ELb0ES3_jPlS8_PNS0_10empty_typeENS0_5tupleIJS8_S9_EEENSB_IJS8_SA_EEENS0_18inequality_wrapperIZN2at6native12_GLOBAL__N_124unique_dim_cuda_templateIlEESt5tupleIJNSF_6TensorESK_SK_EERKSK_lbbbEUlllE0_EEPmJS9_EEE10hipError_tPvRmT3_T4_T5_T6_T7_T9_mT8_P12ihipStream_tbDpT10_ENKUlT_T0_E_clISt17integral_constantIbLb1EES19_IbLb0EEEEDaS15_S16_EUlS15_E_NS1_11comp_targetILNS1_3genE9ELNS1_11target_archE1100ELNS1_3gpuE3ELNS1_3repE0EEENS1_30default_config_static_selectorELNS0_4arch9wavefront6targetE1EEEvT1_, .Lfunc_end617-_ZN7rocprim17ROCPRIM_400000_NS6detail17trampoline_kernelINS0_14default_configENS1_25partition_config_selectorILNS1_17partition_subalgoE9EllbEEZZNS1_14partition_implILS5_9ELb0ES3_jPlS8_PNS0_10empty_typeENS0_5tupleIJS8_S9_EEENSB_IJS8_SA_EEENS0_18inequality_wrapperIZN2at6native12_GLOBAL__N_124unique_dim_cuda_templateIlEESt5tupleIJNSF_6TensorESK_SK_EERKSK_lbbbEUlllE0_EEPmJS9_EEE10hipError_tPvRmT3_T4_T5_T6_T7_T9_mT8_P12ihipStream_tbDpT10_ENKUlT_T0_E_clISt17integral_constantIbLb1EES19_IbLb0EEEEDaS15_S16_EUlS15_E_NS1_11comp_targetILNS1_3genE9ELNS1_11target_archE1100ELNS1_3gpuE3ELNS1_3repE0EEENS1_30default_config_static_selectorELNS0_4arch9wavefront6targetE1EEEvT1_
                                        ; -- End function
	.section	.AMDGPU.csdata,"",@progbits
; Kernel info:
; codeLenInByte = 0
; NumSgprs: 4
; NumVgprs: 0
; NumAgprs: 0
; TotalNumVgprs: 0
; ScratchSize: 0
; MemoryBound: 0
; FloatMode: 240
; IeeeMode: 1
; LDSByteSize: 0 bytes/workgroup (compile time only)
; SGPRBlocks: 0
; VGPRBlocks: 0
; NumSGPRsForWavesPerEU: 4
; NumVGPRsForWavesPerEU: 1
; AccumOffset: 4
; Occupancy: 8
; WaveLimiterHint : 0
; COMPUTE_PGM_RSRC2:SCRATCH_EN: 0
; COMPUTE_PGM_RSRC2:USER_SGPR: 6
; COMPUTE_PGM_RSRC2:TRAP_HANDLER: 0
; COMPUTE_PGM_RSRC2:TGID_X_EN: 1
; COMPUTE_PGM_RSRC2:TGID_Y_EN: 0
; COMPUTE_PGM_RSRC2:TGID_Z_EN: 0
; COMPUTE_PGM_RSRC2:TIDIG_COMP_CNT: 0
; COMPUTE_PGM_RSRC3_GFX90A:ACCUM_OFFSET: 0
; COMPUTE_PGM_RSRC3_GFX90A:TG_SPLIT: 0
	.section	.text._ZN7rocprim17ROCPRIM_400000_NS6detail17trampoline_kernelINS0_14default_configENS1_25partition_config_selectorILNS1_17partition_subalgoE9EllbEEZZNS1_14partition_implILS5_9ELb0ES3_jPlS8_PNS0_10empty_typeENS0_5tupleIJS8_S9_EEENSB_IJS8_SA_EEENS0_18inequality_wrapperIZN2at6native12_GLOBAL__N_124unique_dim_cuda_templateIlEESt5tupleIJNSF_6TensorESK_SK_EERKSK_lbbbEUlllE0_EEPmJS9_EEE10hipError_tPvRmT3_T4_T5_T6_T7_T9_mT8_P12ihipStream_tbDpT10_ENKUlT_T0_E_clISt17integral_constantIbLb1EES19_IbLb0EEEEDaS15_S16_EUlS15_E_NS1_11comp_targetILNS1_3genE8ELNS1_11target_archE1030ELNS1_3gpuE2ELNS1_3repE0EEENS1_30default_config_static_selectorELNS0_4arch9wavefront6targetE1EEEvT1_,"axG",@progbits,_ZN7rocprim17ROCPRIM_400000_NS6detail17trampoline_kernelINS0_14default_configENS1_25partition_config_selectorILNS1_17partition_subalgoE9EllbEEZZNS1_14partition_implILS5_9ELb0ES3_jPlS8_PNS0_10empty_typeENS0_5tupleIJS8_S9_EEENSB_IJS8_SA_EEENS0_18inequality_wrapperIZN2at6native12_GLOBAL__N_124unique_dim_cuda_templateIlEESt5tupleIJNSF_6TensorESK_SK_EERKSK_lbbbEUlllE0_EEPmJS9_EEE10hipError_tPvRmT3_T4_T5_T6_T7_T9_mT8_P12ihipStream_tbDpT10_ENKUlT_T0_E_clISt17integral_constantIbLb1EES19_IbLb0EEEEDaS15_S16_EUlS15_E_NS1_11comp_targetILNS1_3genE8ELNS1_11target_archE1030ELNS1_3gpuE2ELNS1_3repE0EEENS1_30default_config_static_selectorELNS0_4arch9wavefront6targetE1EEEvT1_,comdat
	.globl	_ZN7rocprim17ROCPRIM_400000_NS6detail17trampoline_kernelINS0_14default_configENS1_25partition_config_selectorILNS1_17partition_subalgoE9EllbEEZZNS1_14partition_implILS5_9ELb0ES3_jPlS8_PNS0_10empty_typeENS0_5tupleIJS8_S9_EEENSB_IJS8_SA_EEENS0_18inequality_wrapperIZN2at6native12_GLOBAL__N_124unique_dim_cuda_templateIlEESt5tupleIJNSF_6TensorESK_SK_EERKSK_lbbbEUlllE0_EEPmJS9_EEE10hipError_tPvRmT3_T4_T5_T6_T7_T9_mT8_P12ihipStream_tbDpT10_ENKUlT_T0_E_clISt17integral_constantIbLb1EES19_IbLb0EEEEDaS15_S16_EUlS15_E_NS1_11comp_targetILNS1_3genE8ELNS1_11target_archE1030ELNS1_3gpuE2ELNS1_3repE0EEENS1_30default_config_static_selectorELNS0_4arch9wavefront6targetE1EEEvT1_ ; -- Begin function _ZN7rocprim17ROCPRIM_400000_NS6detail17trampoline_kernelINS0_14default_configENS1_25partition_config_selectorILNS1_17partition_subalgoE9EllbEEZZNS1_14partition_implILS5_9ELb0ES3_jPlS8_PNS0_10empty_typeENS0_5tupleIJS8_S9_EEENSB_IJS8_SA_EEENS0_18inequality_wrapperIZN2at6native12_GLOBAL__N_124unique_dim_cuda_templateIlEESt5tupleIJNSF_6TensorESK_SK_EERKSK_lbbbEUlllE0_EEPmJS9_EEE10hipError_tPvRmT3_T4_T5_T6_T7_T9_mT8_P12ihipStream_tbDpT10_ENKUlT_T0_E_clISt17integral_constantIbLb1EES19_IbLb0EEEEDaS15_S16_EUlS15_E_NS1_11comp_targetILNS1_3genE8ELNS1_11target_archE1030ELNS1_3gpuE2ELNS1_3repE0EEENS1_30default_config_static_selectorELNS0_4arch9wavefront6targetE1EEEvT1_
	.p2align	8
	.type	_ZN7rocprim17ROCPRIM_400000_NS6detail17trampoline_kernelINS0_14default_configENS1_25partition_config_selectorILNS1_17partition_subalgoE9EllbEEZZNS1_14partition_implILS5_9ELb0ES3_jPlS8_PNS0_10empty_typeENS0_5tupleIJS8_S9_EEENSB_IJS8_SA_EEENS0_18inequality_wrapperIZN2at6native12_GLOBAL__N_124unique_dim_cuda_templateIlEESt5tupleIJNSF_6TensorESK_SK_EERKSK_lbbbEUlllE0_EEPmJS9_EEE10hipError_tPvRmT3_T4_T5_T6_T7_T9_mT8_P12ihipStream_tbDpT10_ENKUlT_T0_E_clISt17integral_constantIbLb1EES19_IbLb0EEEEDaS15_S16_EUlS15_E_NS1_11comp_targetILNS1_3genE8ELNS1_11target_archE1030ELNS1_3gpuE2ELNS1_3repE0EEENS1_30default_config_static_selectorELNS0_4arch9wavefront6targetE1EEEvT1_,@function
_ZN7rocprim17ROCPRIM_400000_NS6detail17trampoline_kernelINS0_14default_configENS1_25partition_config_selectorILNS1_17partition_subalgoE9EllbEEZZNS1_14partition_implILS5_9ELb0ES3_jPlS8_PNS0_10empty_typeENS0_5tupleIJS8_S9_EEENSB_IJS8_SA_EEENS0_18inequality_wrapperIZN2at6native12_GLOBAL__N_124unique_dim_cuda_templateIlEESt5tupleIJNSF_6TensorESK_SK_EERKSK_lbbbEUlllE0_EEPmJS9_EEE10hipError_tPvRmT3_T4_T5_T6_T7_T9_mT8_P12ihipStream_tbDpT10_ENKUlT_T0_E_clISt17integral_constantIbLb1EES19_IbLb0EEEEDaS15_S16_EUlS15_E_NS1_11comp_targetILNS1_3genE8ELNS1_11target_archE1030ELNS1_3gpuE2ELNS1_3repE0EEENS1_30default_config_static_selectorELNS0_4arch9wavefront6targetE1EEEvT1_: ; @_ZN7rocprim17ROCPRIM_400000_NS6detail17trampoline_kernelINS0_14default_configENS1_25partition_config_selectorILNS1_17partition_subalgoE9EllbEEZZNS1_14partition_implILS5_9ELb0ES3_jPlS8_PNS0_10empty_typeENS0_5tupleIJS8_S9_EEENSB_IJS8_SA_EEENS0_18inequality_wrapperIZN2at6native12_GLOBAL__N_124unique_dim_cuda_templateIlEESt5tupleIJNSF_6TensorESK_SK_EERKSK_lbbbEUlllE0_EEPmJS9_EEE10hipError_tPvRmT3_T4_T5_T6_T7_T9_mT8_P12ihipStream_tbDpT10_ENKUlT_T0_E_clISt17integral_constantIbLb1EES19_IbLb0EEEEDaS15_S16_EUlS15_E_NS1_11comp_targetILNS1_3genE8ELNS1_11target_archE1030ELNS1_3gpuE2ELNS1_3repE0EEENS1_30default_config_static_selectorELNS0_4arch9wavefront6targetE1EEEvT1_
; %bb.0:
	.section	.rodata,"a",@progbits
	.p2align	6, 0x0
	.amdhsa_kernel _ZN7rocprim17ROCPRIM_400000_NS6detail17trampoline_kernelINS0_14default_configENS1_25partition_config_selectorILNS1_17partition_subalgoE9EllbEEZZNS1_14partition_implILS5_9ELb0ES3_jPlS8_PNS0_10empty_typeENS0_5tupleIJS8_S9_EEENSB_IJS8_SA_EEENS0_18inequality_wrapperIZN2at6native12_GLOBAL__N_124unique_dim_cuda_templateIlEESt5tupleIJNSF_6TensorESK_SK_EERKSK_lbbbEUlllE0_EEPmJS9_EEE10hipError_tPvRmT3_T4_T5_T6_T7_T9_mT8_P12ihipStream_tbDpT10_ENKUlT_T0_E_clISt17integral_constantIbLb1EES19_IbLb0EEEEDaS15_S16_EUlS15_E_NS1_11comp_targetILNS1_3genE8ELNS1_11target_archE1030ELNS1_3gpuE2ELNS1_3repE0EEENS1_30default_config_static_selectorELNS0_4arch9wavefront6targetE1EEEvT1_
		.amdhsa_group_segment_fixed_size 0
		.amdhsa_private_segment_fixed_size 0
		.amdhsa_kernarg_size 120
		.amdhsa_user_sgpr_count 6
		.amdhsa_user_sgpr_private_segment_buffer 1
		.amdhsa_user_sgpr_dispatch_ptr 0
		.amdhsa_user_sgpr_queue_ptr 0
		.amdhsa_user_sgpr_kernarg_segment_ptr 1
		.amdhsa_user_sgpr_dispatch_id 0
		.amdhsa_user_sgpr_flat_scratch_init 0
		.amdhsa_user_sgpr_kernarg_preload_length 0
		.amdhsa_user_sgpr_kernarg_preload_offset 0
		.amdhsa_user_sgpr_private_segment_size 0
		.amdhsa_uses_dynamic_stack 0
		.amdhsa_system_sgpr_private_segment_wavefront_offset 0
		.amdhsa_system_sgpr_workgroup_id_x 1
		.amdhsa_system_sgpr_workgroup_id_y 0
		.amdhsa_system_sgpr_workgroup_id_z 0
		.amdhsa_system_sgpr_workgroup_info 0
		.amdhsa_system_vgpr_workitem_id 0
		.amdhsa_next_free_vgpr 1
		.amdhsa_next_free_sgpr 0
		.amdhsa_accum_offset 4
		.amdhsa_reserve_vcc 0
		.amdhsa_reserve_flat_scratch 0
		.amdhsa_float_round_mode_32 0
		.amdhsa_float_round_mode_16_64 0
		.amdhsa_float_denorm_mode_32 3
		.amdhsa_float_denorm_mode_16_64 3
		.amdhsa_dx10_clamp 1
		.amdhsa_ieee_mode 1
		.amdhsa_fp16_overflow 0
		.amdhsa_tg_split 0
		.amdhsa_exception_fp_ieee_invalid_op 0
		.amdhsa_exception_fp_denorm_src 0
		.amdhsa_exception_fp_ieee_div_zero 0
		.amdhsa_exception_fp_ieee_overflow 0
		.amdhsa_exception_fp_ieee_underflow 0
		.amdhsa_exception_fp_ieee_inexact 0
		.amdhsa_exception_int_div_zero 0
	.end_amdhsa_kernel
	.section	.text._ZN7rocprim17ROCPRIM_400000_NS6detail17trampoline_kernelINS0_14default_configENS1_25partition_config_selectorILNS1_17partition_subalgoE9EllbEEZZNS1_14partition_implILS5_9ELb0ES3_jPlS8_PNS0_10empty_typeENS0_5tupleIJS8_S9_EEENSB_IJS8_SA_EEENS0_18inequality_wrapperIZN2at6native12_GLOBAL__N_124unique_dim_cuda_templateIlEESt5tupleIJNSF_6TensorESK_SK_EERKSK_lbbbEUlllE0_EEPmJS9_EEE10hipError_tPvRmT3_T4_T5_T6_T7_T9_mT8_P12ihipStream_tbDpT10_ENKUlT_T0_E_clISt17integral_constantIbLb1EES19_IbLb0EEEEDaS15_S16_EUlS15_E_NS1_11comp_targetILNS1_3genE8ELNS1_11target_archE1030ELNS1_3gpuE2ELNS1_3repE0EEENS1_30default_config_static_selectorELNS0_4arch9wavefront6targetE1EEEvT1_,"axG",@progbits,_ZN7rocprim17ROCPRIM_400000_NS6detail17trampoline_kernelINS0_14default_configENS1_25partition_config_selectorILNS1_17partition_subalgoE9EllbEEZZNS1_14partition_implILS5_9ELb0ES3_jPlS8_PNS0_10empty_typeENS0_5tupleIJS8_S9_EEENSB_IJS8_SA_EEENS0_18inequality_wrapperIZN2at6native12_GLOBAL__N_124unique_dim_cuda_templateIlEESt5tupleIJNSF_6TensorESK_SK_EERKSK_lbbbEUlllE0_EEPmJS9_EEE10hipError_tPvRmT3_T4_T5_T6_T7_T9_mT8_P12ihipStream_tbDpT10_ENKUlT_T0_E_clISt17integral_constantIbLb1EES19_IbLb0EEEEDaS15_S16_EUlS15_E_NS1_11comp_targetILNS1_3genE8ELNS1_11target_archE1030ELNS1_3gpuE2ELNS1_3repE0EEENS1_30default_config_static_selectorELNS0_4arch9wavefront6targetE1EEEvT1_,comdat
.Lfunc_end618:
	.size	_ZN7rocprim17ROCPRIM_400000_NS6detail17trampoline_kernelINS0_14default_configENS1_25partition_config_selectorILNS1_17partition_subalgoE9EllbEEZZNS1_14partition_implILS5_9ELb0ES3_jPlS8_PNS0_10empty_typeENS0_5tupleIJS8_S9_EEENSB_IJS8_SA_EEENS0_18inequality_wrapperIZN2at6native12_GLOBAL__N_124unique_dim_cuda_templateIlEESt5tupleIJNSF_6TensorESK_SK_EERKSK_lbbbEUlllE0_EEPmJS9_EEE10hipError_tPvRmT3_T4_T5_T6_T7_T9_mT8_P12ihipStream_tbDpT10_ENKUlT_T0_E_clISt17integral_constantIbLb1EES19_IbLb0EEEEDaS15_S16_EUlS15_E_NS1_11comp_targetILNS1_3genE8ELNS1_11target_archE1030ELNS1_3gpuE2ELNS1_3repE0EEENS1_30default_config_static_selectorELNS0_4arch9wavefront6targetE1EEEvT1_, .Lfunc_end618-_ZN7rocprim17ROCPRIM_400000_NS6detail17trampoline_kernelINS0_14default_configENS1_25partition_config_selectorILNS1_17partition_subalgoE9EllbEEZZNS1_14partition_implILS5_9ELb0ES3_jPlS8_PNS0_10empty_typeENS0_5tupleIJS8_S9_EEENSB_IJS8_SA_EEENS0_18inequality_wrapperIZN2at6native12_GLOBAL__N_124unique_dim_cuda_templateIlEESt5tupleIJNSF_6TensorESK_SK_EERKSK_lbbbEUlllE0_EEPmJS9_EEE10hipError_tPvRmT3_T4_T5_T6_T7_T9_mT8_P12ihipStream_tbDpT10_ENKUlT_T0_E_clISt17integral_constantIbLb1EES19_IbLb0EEEEDaS15_S16_EUlS15_E_NS1_11comp_targetILNS1_3genE8ELNS1_11target_archE1030ELNS1_3gpuE2ELNS1_3repE0EEENS1_30default_config_static_selectorELNS0_4arch9wavefront6targetE1EEEvT1_
                                        ; -- End function
	.section	.AMDGPU.csdata,"",@progbits
; Kernel info:
; codeLenInByte = 0
; NumSgprs: 4
; NumVgprs: 0
; NumAgprs: 0
; TotalNumVgprs: 0
; ScratchSize: 0
; MemoryBound: 0
; FloatMode: 240
; IeeeMode: 1
; LDSByteSize: 0 bytes/workgroup (compile time only)
; SGPRBlocks: 0
; VGPRBlocks: 0
; NumSGPRsForWavesPerEU: 4
; NumVGPRsForWavesPerEU: 1
; AccumOffset: 4
; Occupancy: 8
; WaveLimiterHint : 0
; COMPUTE_PGM_RSRC2:SCRATCH_EN: 0
; COMPUTE_PGM_RSRC2:USER_SGPR: 6
; COMPUTE_PGM_RSRC2:TRAP_HANDLER: 0
; COMPUTE_PGM_RSRC2:TGID_X_EN: 1
; COMPUTE_PGM_RSRC2:TGID_Y_EN: 0
; COMPUTE_PGM_RSRC2:TGID_Z_EN: 0
; COMPUTE_PGM_RSRC2:TIDIG_COMP_CNT: 0
; COMPUTE_PGM_RSRC3_GFX90A:ACCUM_OFFSET: 0
; COMPUTE_PGM_RSRC3_GFX90A:TG_SPLIT: 0
	.section	.text._ZN7rocprim17ROCPRIM_400000_NS6detail17trampoline_kernelINS0_14default_configENS1_25partition_config_selectorILNS1_17partition_subalgoE9EllbEEZZNS1_14partition_implILS5_9ELb0ES3_jPlS8_PNS0_10empty_typeENS0_5tupleIJS8_S9_EEENSB_IJS8_SA_EEENS0_18inequality_wrapperIZN2at6native12_GLOBAL__N_124unique_dim_cuda_templateIlEESt5tupleIJNSF_6TensorESK_SK_EERKSK_lbbbEUlllE0_EEPmJS9_EEE10hipError_tPvRmT3_T4_T5_T6_T7_T9_mT8_P12ihipStream_tbDpT10_ENKUlT_T0_E_clISt17integral_constantIbLb0EES19_IbLb1EEEEDaS15_S16_EUlS15_E_NS1_11comp_targetILNS1_3genE0ELNS1_11target_archE4294967295ELNS1_3gpuE0ELNS1_3repE0EEENS1_30default_config_static_selectorELNS0_4arch9wavefront6targetE1EEEvT1_,"axG",@progbits,_ZN7rocprim17ROCPRIM_400000_NS6detail17trampoline_kernelINS0_14default_configENS1_25partition_config_selectorILNS1_17partition_subalgoE9EllbEEZZNS1_14partition_implILS5_9ELb0ES3_jPlS8_PNS0_10empty_typeENS0_5tupleIJS8_S9_EEENSB_IJS8_SA_EEENS0_18inequality_wrapperIZN2at6native12_GLOBAL__N_124unique_dim_cuda_templateIlEESt5tupleIJNSF_6TensorESK_SK_EERKSK_lbbbEUlllE0_EEPmJS9_EEE10hipError_tPvRmT3_T4_T5_T6_T7_T9_mT8_P12ihipStream_tbDpT10_ENKUlT_T0_E_clISt17integral_constantIbLb0EES19_IbLb1EEEEDaS15_S16_EUlS15_E_NS1_11comp_targetILNS1_3genE0ELNS1_11target_archE4294967295ELNS1_3gpuE0ELNS1_3repE0EEENS1_30default_config_static_selectorELNS0_4arch9wavefront6targetE1EEEvT1_,comdat
	.globl	_ZN7rocprim17ROCPRIM_400000_NS6detail17trampoline_kernelINS0_14default_configENS1_25partition_config_selectorILNS1_17partition_subalgoE9EllbEEZZNS1_14partition_implILS5_9ELb0ES3_jPlS8_PNS0_10empty_typeENS0_5tupleIJS8_S9_EEENSB_IJS8_SA_EEENS0_18inequality_wrapperIZN2at6native12_GLOBAL__N_124unique_dim_cuda_templateIlEESt5tupleIJNSF_6TensorESK_SK_EERKSK_lbbbEUlllE0_EEPmJS9_EEE10hipError_tPvRmT3_T4_T5_T6_T7_T9_mT8_P12ihipStream_tbDpT10_ENKUlT_T0_E_clISt17integral_constantIbLb0EES19_IbLb1EEEEDaS15_S16_EUlS15_E_NS1_11comp_targetILNS1_3genE0ELNS1_11target_archE4294967295ELNS1_3gpuE0ELNS1_3repE0EEENS1_30default_config_static_selectorELNS0_4arch9wavefront6targetE1EEEvT1_ ; -- Begin function _ZN7rocprim17ROCPRIM_400000_NS6detail17trampoline_kernelINS0_14default_configENS1_25partition_config_selectorILNS1_17partition_subalgoE9EllbEEZZNS1_14partition_implILS5_9ELb0ES3_jPlS8_PNS0_10empty_typeENS0_5tupleIJS8_S9_EEENSB_IJS8_SA_EEENS0_18inequality_wrapperIZN2at6native12_GLOBAL__N_124unique_dim_cuda_templateIlEESt5tupleIJNSF_6TensorESK_SK_EERKSK_lbbbEUlllE0_EEPmJS9_EEE10hipError_tPvRmT3_T4_T5_T6_T7_T9_mT8_P12ihipStream_tbDpT10_ENKUlT_T0_E_clISt17integral_constantIbLb0EES19_IbLb1EEEEDaS15_S16_EUlS15_E_NS1_11comp_targetILNS1_3genE0ELNS1_11target_archE4294967295ELNS1_3gpuE0ELNS1_3repE0EEENS1_30default_config_static_selectorELNS0_4arch9wavefront6targetE1EEEvT1_
	.p2align	8
	.type	_ZN7rocprim17ROCPRIM_400000_NS6detail17trampoline_kernelINS0_14default_configENS1_25partition_config_selectorILNS1_17partition_subalgoE9EllbEEZZNS1_14partition_implILS5_9ELb0ES3_jPlS8_PNS0_10empty_typeENS0_5tupleIJS8_S9_EEENSB_IJS8_SA_EEENS0_18inequality_wrapperIZN2at6native12_GLOBAL__N_124unique_dim_cuda_templateIlEESt5tupleIJNSF_6TensorESK_SK_EERKSK_lbbbEUlllE0_EEPmJS9_EEE10hipError_tPvRmT3_T4_T5_T6_T7_T9_mT8_P12ihipStream_tbDpT10_ENKUlT_T0_E_clISt17integral_constantIbLb0EES19_IbLb1EEEEDaS15_S16_EUlS15_E_NS1_11comp_targetILNS1_3genE0ELNS1_11target_archE4294967295ELNS1_3gpuE0ELNS1_3repE0EEENS1_30default_config_static_selectorELNS0_4arch9wavefront6targetE1EEEvT1_,@function
_ZN7rocprim17ROCPRIM_400000_NS6detail17trampoline_kernelINS0_14default_configENS1_25partition_config_selectorILNS1_17partition_subalgoE9EllbEEZZNS1_14partition_implILS5_9ELb0ES3_jPlS8_PNS0_10empty_typeENS0_5tupleIJS8_S9_EEENSB_IJS8_SA_EEENS0_18inequality_wrapperIZN2at6native12_GLOBAL__N_124unique_dim_cuda_templateIlEESt5tupleIJNSF_6TensorESK_SK_EERKSK_lbbbEUlllE0_EEPmJS9_EEE10hipError_tPvRmT3_T4_T5_T6_T7_T9_mT8_P12ihipStream_tbDpT10_ENKUlT_T0_E_clISt17integral_constantIbLb0EES19_IbLb1EEEEDaS15_S16_EUlS15_E_NS1_11comp_targetILNS1_3genE0ELNS1_11target_archE4294967295ELNS1_3gpuE0ELNS1_3repE0EEENS1_30default_config_static_selectorELNS0_4arch9wavefront6targetE1EEEvT1_: ; @_ZN7rocprim17ROCPRIM_400000_NS6detail17trampoline_kernelINS0_14default_configENS1_25partition_config_selectorILNS1_17partition_subalgoE9EllbEEZZNS1_14partition_implILS5_9ELb0ES3_jPlS8_PNS0_10empty_typeENS0_5tupleIJS8_S9_EEENSB_IJS8_SA_EEENS0_18inequality_wrapperIZN2at6native12_GLOBAL__N_124unique_dim_cuda_templateIlEESt5tupleIJNSF_6TensorESK_SK_EERKSK_lbbbEUlllE0_EEPmJS9_EEE10hipError_tPvRmT3_T4_T5_T6_T7_T9_mT8_P12ihipStream_tbDpT10_ENKUlT_T0_E_clISt17integral_constantIbLb0EES19_IbLb1EEEEDaS15_S16_EUlS15_E_NS1_11comp_targetILNS1_3genE0ELNS1_11target_archE4294967295ELNS1_3gpuE0ELNS1_3repE0EEENS1_30default_config_static_selectorELNS0_4arch9wavefront6targetE1EEEvT1_
; %bb.0:
	.section	.rodata,"a",@progbits
	.p2align	6, 0x0
	.amdhsa_kernel _ZN7rocprim17ROCPRIM_400000_NS6detail17trampoline_kernelINS0_14default_configENS1_25partition_config_selectorILNS1_17partition_subalgoE9EllbEEZZNS1_14partition_implILS5_9ELb0ES3_jPlS8_PNS0_10empty_typeENS0_5tupleIJS8_S9_EEENSB_IJS8_SA_EEENS0_18inequality_wrapperIZN2at6native12_GLOBAL__N_124unique_dim_cuda_templateIlEESt5tupleIJNSF_6TensorESK_SK_EERKSK_lbbbEUlllE0_EEPmJS9_EEE10hipError_tPvRmT3_T4_T5_T6_T7_T9_mT8_P12ihipStream_tbDpT10_ENKUlT_T0_E_clISt17integral_constantIbLb0EES19_IbLb1EEEEDaS15_S16_EUlS15_E_NS1_11comp_targetILNS1_3genE0ELNS1_11target_archE4294967295ELNS1_3gpuE0ELNS1_3repE0EEENS1_30default_config_static_selectorELNS0_4arch9wavefront6targetE1EEEvT1_
		.amdhsa_group_segment_fixed_size 0
		.amdhsa_private_segment_fixed_size 0
		.amdhsa_kernarg_size 136
		.amdhsa_user_sgpr_count 6
		.amdhsa_user_sgpr_private_segment_buffer 1
		.amdhsa_user_sgpr_dispatch_ptr 0
		.amdhsa_user_sgpr_queue_ptr 0
		.amdhsa_user_sgpr_kernarg_segment_ptr 1
		.amdhsa_user_sgpr_dispatch_id 0
		.amdhsa_user_sgpr_flat_scratch_init 0
		.amdhsa_user_sgpr_kernarg_preload_length 0
		.amdhsa_user_sgpr_kernarg_preload_offset 0
		.amdhsa_user_sgpr_private_segment_size 0
		.amdhsa_uses_dynamic_stack 0
		.amdhsa_system_sgpr_private_segment_wavefront_offset 0
		.amdhsa_system_sgpr_workgroup_id_x 1
		.amdhsa_system_sgpr_workgroup_id_y 0
		.amdhsa_system_sgpr_workgroup_id_z 0
		.amdhsa_system_sgpr_workgroup_info 0
		.amdhsa_system_vgpr_workitem_id 0
		.amdhsa_next_free_vgpr 1
		.amdhsa_next_free_sgpr 0
		.amdhsa_accum_offset 4
		.amdhsa_reserve_vcc 0
		.amdhsa_reserve_flat_scratch 0
		.amdhsa_float_round_mode_32 0
		.amdhsa_float_round_mode_16_64 0
		.amdhsa_float_denorm_mode_32 3
		.amdhsa_float_denorm_mode_16_64 3
		.amdhsa_dx10_clamp 1
		.amdhsa_ieee_mode 1
		.amdhsa_fp16_overflow 0
		.amdhsa_tg_split 0
		.amdhsa_exception_fp_ieee_invalid_op 0
		.amdhsa_exception_fp_denorm_src 0
		.amdhsa_exception_fp_ieee_div_zero 0
		.amdhsa_exception_fp_ieee_overflow 0
		.amdhsa_exception_fp_ieee_underflow 0
		.amdhsa_exception_fp_ieee_inexact 0
		.amdhsa_exception_int_div_zero 0
	.end_amdhsa_kernel
	.section	.text._ZN7rocprim17ROCPRIM_400000_NS6detail17trampoline_kernelINS0_14default_configENS1_25partition_config_selectorILNS1_17partition_subalgoE9EllbEEZZNS1_14partition_implILS5_9ELb0ES3_jPlS8_PNS0_10empty_typeENS0_5tupleIJS8_S9_EEENSB_IJS8_SA_EEENS0_18inequality_wrapperIZN2at6native12_GLOBAL__N_124unique_dim_cuda_templateIlEESt5tupleIJNSF_6TensorESK_SK_EERKSK_lbbbEUlllE0_EEPmJS9_EEE10hipError_tPvRmT3_T4_T5_T6_T7_T9_mT8_P12ihipStream_tbDpT10_ENKUlT_T0_E_clISt17integral_constantIbLb0EES19_IbLb1EEEEDaS15_S16_EUlS15_E_NS1_11comp_targetILNS1_3genE0ELNS1_11target_archE4294967295ELNS1_3gpuE0ELNS1_3repE0EEENS1_30default_config_static_selectorELNS0_4arch9wavefront6targetE1EEEvT1_,"axG",@progbits,_ZN7rocprim17ROCPRIM_400000_NS6detail17trampoline_kernelINS0_14default_configENS1_25partition_config_selectorILNS1_17partition_subalgoE9EllbEEZZNS1_14partition_implILS5_9ELb0ES3_jPlS8_PNS0_10empty_typeENS0_5tupleIJS8_S9_EEENSB_IJS8_SA_EEENS0_18inequality_wrapperIZN2at6native12_GLOBAL__N_124unique_dim_cuda_templateIlEESt5tupleIJNSF_6TensorESK_SK_EERKSK_lbbbEUlllE0_EEPmJS9_EEE10hipError_tPvRmT3_T4_T5_T6_T7_T9_mT8_P12ihipStream_tbDpT10_ENKUlT_T0_E_clISt17integral_constantIbLb0EES19_IbLb1EEEEDaS15_S16_EUlS15_E_NS1_11comp_targetILNS1_3genE0ELNS1_11target_archE4294967295ELNS1_3gpuE0ELNS1_3repE0EEENS1_30default_config_static_selectorELNS0_4arch9wavefront6targetE1EEEvT1_,comdat
.Lfunc_end619:
	.size	_ZN7rocprim17ROCPRIM_400000_NS6detail17trampoline_kernelINS0_14default_configENS1_25partition_config_selectorILNS1_17partition_subalgoE9EllbEEZZNS1_14partition_implILS5_9ELb0ES3_jPlS8_PNS0_10empty_typeENS0_5tupleIJS8_S9_EEENSB_IJS8_SA_EEENS0_18inequality_wrapperIZN2at6native12_GLOBAL__N_124unique_dim_cuda_templateIlEESt5tupleIJNSF_6TensorESK_SK_EERKSK_lbbbEUlllE0_EEPmJS9_EEE10hipError_tPvRmT3_T4_T5_T6_T7_T9_mT8_P12ihipStream_tbDpT10_ENKUlT_T0_E_clISt17integral_constantIbLb0EES19_IbLb1EEEEDaS15_S16_EUlS15_E_NS1_11comp_targetILNS1_3genE0ELNS1_11target_archE4294967295ELNS1_3gpuE0ELNS1_3repE0EEENS1_30default_config_static_selectorELNS0_4arch9wavefront6targetE1EEEvT1_, .Lfunc_end619-_ZN7rocprim17ROCPRIM_400000_NS6detail17trampoline_kernelINS0_14default_configENS1_25partition_config_selectorILNS1_17partition_subalgoE9EllbEEZZNS1_14partition_implILS5_9ELb0ES3_jPlS8_PNS0_10empty_typeENS0_5tupleIJS8_S9_EEENSB_IJS8_SA_EEENS0_18inequality_wrapperIZN2at6native12_GLOBAL__N_124unique_dim_cuda_templateIlEESt5tupleIJNSF_6TensorESK_SK_EERKSK_lbbbEUlllE0_EEPmJS9_EEE10hipError_tPvRmT3_T4_T5_T6_T7_T9_mT8_P12ihipStream_tbDpT10_ENKUlT_T0_E_clISt17integral_constantIbLb0EES19_IbLb1EEEEDaS15_S16_EUlS15_E_NS1_11comp_targetILNS1_3genE0ELNS1_11target_archE4294967295ELNS1_3gpuE0ELNS1_3repE0EEENS1_30default_config_static_selectorELNS0_4arch9wavefront6targetE1EEEvT1_
                                        ; -- End function
	.section	.AMDGPU.csdata,"",@progbits
; Kernel info:
; codeLenInByte = 0
; NumSgprs: 4
; NumVgprs: 0
; NumAgprs: 0
; TotalNumVgprs: 0
; ScratchSize: 0
; MemoryBound: 0
; FloatMode: 240
; IeeeMode: 1
; LDSByteSize: 0 bytes/workgroup (compile time only)
; SGPRBlocks: 0
; VGPRBlocks: 0
; NumSGPRsForWavesPerEU: 4
; NumVGPRsForWavesPerEU: 1
; AccumOffset: 4
; Occupancy: 8
; WaveLimiterHint : 0
; COMPUTE_PGM_RSRC2:SCRATCH_EN: 0
; COMPUTE_PGM_RSRC2:USER_SGPR: 6
; COMPUTE_PGM_RSRC2:TRAP_HANDLER: 0
; COMPUTE_PGM_RSRC2:TGID_X_EN: 1
; COMPUTE_PGM_RSRC2:TGID_Y_EN: 0
; COMPUTE_PGM_RSRC2:TGID_Z_EN: 0
; COMPUTE_PGM_RSRC2:TIDIG_COMP_CNT: 0
; COMPUTE_PGM_RSRC3_GFX90A:ACCUM_OFFSET: 0
; COMPUTE_PGM_RSRC3_GFX90A:TG_SPLIT: 0
	.section	.text._ZN7rocprim17ROCPRIM_400000_NS6detail17trampoline_kernelINS0_14default_configENS1_25partition_config_selectorILNS1_17partition_subalgoE9EllbEEZZNS1_14partition_implILS5_9ELb0ES3_jPlS8_PNS0_10empty_typeENS0_5tupleIJS8_S9_EEENSB_IJS8_SA_EEENS0_18inequality_wrapperIZN2at6native12_GLOBAL__N_124unique_dim_cuda_templateIlEESt5tupleIJNSF_6TensorESK_SK_EERKSK_lbbbEUlllE0_EEPmJS9_EEE10hipError_tPvRmT3_T4_T5_T6_T7_T9_mT8_P12ihipStream_tbDpT10_ENKUlT_T0_E_clISt17integral_constantIbLb0EES19_IbLb1EEEEDaS15_S16_EUlS15_E_NS1_11comp_targetILNS1_3genE5ELNS1_11target_archE942ELNS1_3gpuE9ELNS1_3repE0EEENS1_30default_config_static_selectorELNS0_4arch9wavefront6targetE1EEEvT1_,"axG",@progbits,_ZN7rocprim17ROCPRIM_400000_NS6detail17trampoline_kernelINS0_14default_configENS1_25partition_config_selectorILNS1_17partition_subalgoE9EllbEEZZNS1_14partition_implILS5_9ELb0ES3_jPlS8_PNS0_10empty_typeENS0_5tupleIJS8_S9_EEENSB_IJS8_SA_EEENS0_18inequality_wrapperIZN2at6native12_GLOBAL__N_124unique_dim_cuda_templateIlEESt5tupleIJNSF_6TensorESK_SK_EERKSK_lbbbEUlllE0_EEPmJS9_EEE10hipError_tPvRmT3_T4_T5_T6_T7_T9_mT8_P12ihipStream_tbDpT10_ENKUlT_T0_E_clISt17integral_constantIbLb0EES19_IbLb1EEEEDaS15_S16_EUlS15_E_NS1_11comp_targetILNS1_3genE5ELNS1_11target_archE942ELNS1_3gpuE9ELNS1_3repE0EEENS1_30default_config_static_selectorELNS0_4arch9wavefront6targetE1EEEvT1_,comdat
	.globl	_ZN7rocprim17ROCPRIM_400000_NS6detail17trampoline_kernelINS0_14default_configENS1_25partition_config_selectorILNS1_17partition_subalgoE9EllbEEZZNS1_14partition_implILS5_9ELb0ES3_jPlS8_PNS0_10empty_typeENS0_5tupleIJS8_S9_EEENSB_IJS8_SA_EEENS0_18inequality_wrapperIZN2at6native12_GLOBAL__N_124unique_dim_cuda_templateIlEESt5tupleIJNSF_6TensorESK_SK_EERKSK_lbbbEUlllE0_EEPmJS9_EEE10hipError_tPvRmT3_T4_T5_T6_T7_T9_mT8_P12ihipStream_tbDpT10_ENKUlT_T0_E_clISt17integral_constantIbLb0EES19_IbLb1EEEEDaS15_S16_EUlS15_E_NS1_11comp_targetILNS1_3genE5ELNS1_11target_archE942ELNS1_3gpuE9ELNS1_3repE0EEENS1_30default_config_static_selectorELNS0_4arch9wavefront6targetE1EEEvT1_ ; -- Begin function _ZN7rocprim17ROCPRIM_400000_NS6detail17trampoline_kernelINS0_14default_configENS1_25partition_config_selectorILNS1_17partition_subalgoE9EllbEEZZNS1_14partition_implILS5_9ELb0ES3_jPlS8_PNS0_10empty_typeENS0_5tupleIJS8_S9_EEENSB_IJS8_SA_EEENS0_18inequality_wrapperIZN2at6native12_GLOBAL__N_124unique_dim_cuda_templateIlEESt5tupleIJNSF_6TensorESK_SK_EERKSK_lbbbEUlllE0_EEPmJS9_EEE10hipError_tPvRmT3_T4_T5_T6_T7_T9_mT8_P12ihipStream_tbDpT10_ENKUlT_T0_E_clISt17integral_constantIbLb0EES19_IbLb1EEEEDaS15_S16_EUlS15_E_NS1_11comp_targetILNS1_3genE5ELNS1_11target_archE942ELNS1_3gpuE9ELNS1_3repE0EEENS1_30default_config_static_selectorELNS0_4arch9wavefront6targetE1EEEvT1_
	.p2align	8
	.type	_ZN7rocprim17ROCPRIM_400000_NS6detail17trampoline_kernelINS0_14default_configENS1_25partition_config_selectorILNS1_17partition_subalgoE9EllbEEZZNS1_14partition_implILS5_9ELb0ES3_jPlS8_PNS0_10empty_typeENS0_5tupleIJS8_S9_EEENSB_IJS8_SA_EEENS0_18inequality_wrapperIZN2at6native12_GLOBAL__N_124unique_dim_cuda_templateIlEESt5tupleIJNSF_6TensorESK_SK_EERKSK_lbbbEUlllE0_EEPmJS9_EEE10hipError_tPvRmT3_T4_T5_T6_T7_T9_mT8_P12ihipStream_tbDpT10_ENKUlT_T0_E_clISt17integral_constantIbLb0EES19_IbLb1EEEEDaS15_S16_EUlS15_E_NS1_11comp_targetILNS1_3genE5ELNS1_11target_archE942ELNS1_3gpuE9ELNS1_3repE0EEENS1_30default_config_static_selectorELNS0_4arch9wavefront6targetE1EEEvT1_,@function
_ZN7rocprim17ROCPRIM_400000_NS6detail17trampoline_kernelINS0_14default_configENS1_25partition_config_selectorILNS1_17partition_subalgoE9EllbEEZZNS1_14partition_implILS5_9ELb0ES3_jPlS8_PNS0_10empty_typeENS0_5tupleIJS8_S9_EEENSB_IJS8_SA_EEENS0_18inequality_wrapperIZN2at6native12_GLOBAL__N_124unique_dim_cuda_templateIlEESt5tupleIJNSF_6TensorESK_SK_EERKSK_lbbbEUlllE0_EEPmJS9_EEE10hipError_tPvRmT3_T4_T5_T6_T7_T9_mT8_P12ihipStream_tbDpT10_ENKUlT_T0_E_clISt17integral_constantIbLb0EES19_IbLb1EEEEDaS15_S16_EUlS15_E_NS1_11comp_targetILNS1_3genE5ELNS1_11target_archE942ELNS1_3gpuE9ELNS1_3repE0EEENS1_30default_config_static_selectorELNS0_4arch9wavefront6targetE1EEEvT1_: ; @_ZN7rocprim17ROCPRIM_400000_NS6detail17trampoline_kernelINS0_14default_configENS1_25partition_config_selectorILNS1_17partition_subalgoE9EllbEEZZNS1_14partition_implILS5_9ELb0ES3_jPlS8_PNS0_10empty_typeENS0_5tupleIJS8_S9_EEENSB_IJS8_SA_EEENS0_18inequality_wrapperIZN2at6native12_GLOBAL__N_124unique_dim_cuda_templateIlEESt5tupleIJNSF_6TensorESK_SK_EERKSK_lbbbEUlllE0_EEPmJS9_EEE10hipError_tPvRmT3_T4_T5_T6_T7_T9_mT8_P12ihipStream_tbDpT10_ENKUlT_T0_E_clISt17integral_constantIbLb0EES19_IbLb1EEEEDaS15_S16_EUlS15_E_NS1_11comp_targetILNS1_3genE5ELNS1_11target_archE942ELNS1_3gpuE9ELNS1_3repE0EEENS1_30default_config_static_selectorELNS0_4arch9wavefront6targetE1EEEvT1_
; %bb.0:
	.section	.rodata,"a",@progbits
	.p2align	6, 0x0
	.amdhsa_kernel _ZN7rocprim17ROCPRIM_400000_NS6detail17trampoline_kernelINS0_14default_configENS1_25partition_config_selectorILNS1_17partition_subalgoE9EllbEEZZNS1_14partition_implILS5_9ELb0ES3_jPlS8_PNS0_10empty_typeENS0_5tupleIJS8_S9_EEENSB_IJS8_SA_EEENS0_18inequality_wrapperIZN2at6native12_GLOBAL__N_124unique_dim_cuda_templateIlEESt5tupleIJNSF_6TensorESK_SK_EERKSK_lbbbEUlllE0_EEPmJS9_EEE10hipError_tPvRmT3_T4_T5_T6_T7_T9_mT8_P12ihipStream_tbDpT10_ENKUlT_T0_E_clISt17integral_constantIbLb0EES19_IbLb1EEEEDaS15_S16_EUlS15_E_NS1_11comp_targetILNS1_3genE5ELNS1_11target_archE942ELNS1_3gpuE9ELNS1_3repE0EEENS1_30default_config_static_selectorELNS0_4arch9wavefront6targetE1EEEvT1_
		.amdhsa_group_segment_fixed_size 0
		.amdhsa_private_segment_fixed_size 0
		.amdhsa_kernarg_size 136
		.amdhsa_user_sgpr_count 6
		.amdhsa_user_sgpr_private_segment_buffer 1
		.amdhsa_user_sgpr_dispatch_ptr 0
		.amdhsa_user_sgpr_queue_ptr 0
		.amdhsa_user_sgpr_kernarg_segment_ptr 1
		.amdhsa_user_sgpr_dispatch_id 0
		.amdhsa_user_sgpr_flat_scratch_init 0
		.amdhsa_user_sgpr_kernarg_preload_length 0
		.amdhsa_user_sgpr_kernarg_preload_offset 0
		.amdhsa_user_sgpr_private_segment_size 0
		.amdhsa_uses_dynamic_stack 0
		.amdhsa_system_sgpr_private_segment_wavefront_offset 0
		.amdhsa_system_sgpr_workgroup_id_x 1
		.amdhsa_system_sgpr_workgroup_id_y 0
		.amdhsa_system_sgpr_workgroup_id_z 0
		.amdhsa_system_sgpr_workgroup_info 0
		.amdhsa_system_vgpr_workitem_id 0
		.amdhsa_next_free_vgpr 1
		.amdhsa_next_free_sgpr 0
		.amdhsa_accum_offset 4
		.amdhsa_reserve_vcc 0
		.amdhsa_reserve_flat_scratch 0
		.amdhsa_float_round_mode_32 0
		.amdhsa_float_round_mode_16_64 0
		.amdhsa_float_denorm_mode_32 3
		.amdhsa_float_denorm_mode_16_64 3
		.amdhsa_dx10_clamp 1
		.amdhsa_ieee_mode 1
		.amdhsa_fp16_overflow 0
		.amdhsa_tg_split 0
		.amdhsa_exception_fp_ieee_invalid_op 0
		.amdhsa_exception_fp_denorm_src 0
		.amdhsa_exception_fp_ieee_div_zero 0
		.amdhsa_exception_fp_ieee_overflow 0
		.amdhsa_exception_fp_ieee_underflow 0
		.amdhsa_exception_fp_ieee_inexact 0
		.amdhsa_exception_int_div_zero 0
	.end_amdhsa_kernel
	.section	.text._ZN7rocprim17ROCPRIM_400000_NS6detail17trampoline_kernelINS0_14default_configENS1_25partition_config_selectorILNS1_17partition_subalgoE9EllbEEZZNS1_14partition_implILS5_9ELb0ES3_jPlS8_PNS0_10empty_typeENS0_5tupleIJS8_S9_EEENSB_IJS8_SA_EEENS0_18inequality_wrapperIZN2at6native12_GLOBAL__N_124unique_dim_cuda_templateIlEESt5tupleIJNSF_6TensorESK_SK_EERKSK_lbbbEUlllE0_EEPmJS9_EEE10hipError_tPvRmT3_T4_T5_T6_T7_T9_mT8_P12ihipStream_tbDpT10_ENKUlT_T0_E_clISt17integral_constantIbLb0EES19_IbLb1EEEEDaS15_S16_EUlS15_E_NS1_11comp_targetILNS1_3genE5ELNS1_11target_archE942ELNS1_3gpuE9ELNS1_3repE0EEENS1_30default_config_static_selectorELNS0_4arch9wavefront6targetE1EEEvT1_,"axG",@progbits,_ZN7rocprim17ROCPRIM_400000_NS6detail17trampoline_kernelINS0_14default_configENS1_25partition_config_selectorILNS1_17partition_subalgoE9EllbEEZZNS1_14partition_implILS5_9ELb0ES3_jPlS8_PNS0_10empty_typeENS0_5tupleIJS8_S9_EEENSB_IJS8_SA_EEENS0_18inequality_wrapperIZN2at6native12_GLOBAL__N_124unique_dim_cuda_templateIlEESt5tupleIJNSF_6TensorESK_SK_EERKSK_lbbbEUlllE0_EEPmJS9_EEE10hipError_tPvRmT3_T4_T5_T6_T7_T9_mT8_P12ihipStream_tbDpT10_ENKUlT_T0_E_clISt17integral_constantIbLb0EES19_IbLb1EEEEDaS15_S16_EUlS15_E_NS1_11comp_targetILNS1_3genE5ELNS1_11target_archE942ELNS1_3gpuE9ELNS1_3repE0EEENS1_30default_config_static_selectorELNS0_4arch9wavefront6targetE1EEEvT1_,comdat
.Lfunc_end620:
	.size	_ZN7rocprim17ROCPRIM_400000_NS6detail17trampoline_kernelINS0_14default_configENS1_25partition_config_selectorILNS1_17partition_subalgoE9EllbEEZZNS1_14partition_implILS5_9ELb0ES3_jPlS8_PNS0_10empty_typeENS0_5tupleIJS8_S9_EEENSB_IJS8_SA_EEENS0_18inequality_wrapperIZN2at6native12_GLOBAL__N_124unique_dim_cuda_templateIlEESt5tupleIJNSF_6TensorESK_SK_EERKSK_lbbbEUlllE0_EEPmJS9_EEE10hipError_tPvRmT3_T4_T5_T6_T7_T9_mT8_P12ihipStream_tbDpT10_ENKUlT_T0_E_clISt17integral_constantIbLb0EES19_IbLb1EEEEDaS15_S16_EUlS15_E_NS1_11comp_targetILNS1_3genE5ELNS1_11target_archE942ELNS1_3gpuE9ELNS1_3repE0EEENS1_30default_config_static_selectorELNS0_4arch9wavefront6targetE1EEEvT1_, .Lfunc_end620-_ZN7rocprim17ROCPRIM_400000_NS6detail17trampoline_kernelINS0_14default_configENS1_25partition_config_selectorILNS1_17partition_subalgoE9EllbEEZZNS1_14partition_implILS5_9ELb0ES3_jPlS8_PNS0_10empty_typeENS0_5tupleIJS8_S9_EEENSB_IJS8_SA_EEENS0_18inequality_wrapperIZN2at6native12_GLOBAL__N_124unique_dim_cuda_templateIlEESt5tupleIJNSF_6TensorESK_SK_EERKSK_lbbbEUlllE0_EEPmJS9_EEE10hipError_tPvRmT3_T4_T5_T6_T7_T9_mT8_P12ihipStream_tbDpT10_ENKUlT_T0_E_clISt17integral_constantIbLb0EES19_IbLb1EEEEDaS15_S16_EUlS15_E_NS1_11comp_targetILNS1_3genE5ELNS1_11target_archE942ELNS1_3gpuE9ELNS1_3repE0EEENS1_30default_config_static_selectorELNS0_4arch9wavefront6targetE1EEEvT1_
                                        ; -- End function
	.section	.AMDGPU.csdata,"",@progbits
; Kernel info:
; codeLenInByte = 0
; NumSgprs: 4
; NumVgprs: 0
; NumAgprs: 0
; TotalNumVgprs: 0
; ScratchSize: 0
; MemoryBound: 0
; FloatMode: 240
; IeeeMode: 1
; LDSByteSize: 0 bytes/workgroup (compile time only)
; SGPRBlocks: 0
; VGPRBlocks: 0
; NumSGPRsForWavesPerEU: 4
; NumVGPRsForWavesPerEU: 1
; AccumOffset: 4
; Occupancy: 8
; WaveLimiterHint : 0
; COMPUTE_PGM_RSRC2:SCRATCH_EN: 0
; COMPUTE_PGM_RSRC2:USER_SGPR: 6
; COMPUTE_PGM_RSRC2:TRAP_HANDLER: 0
; COMPUTE_PGM_RSRC2:TGID_X_EN: 1
; COMPUTE_PGM_RSRC2:TGID_Y_EN: 0
; COMPUTE_PGM_RSRC2:TGID_Z_EN: 0
; COMPUTE_PGM_RSRC2:TIDIG_COMP_CNT: 0
; COMPUTE_PGM_RSRC3_GFX90A:ACCUM_OFFSET: 0
; COMPUTE_PGM_RSRC3_GFX90A:TG_SPLIT: 0
	.section	.text._ZN7rocprim17ROCPRIM_400000_NS6detail17trampoline_kernelINS0_14default_configENS1_25partition_config_selectorILNS1_17partition_subalgoE9EllbEEZZNS1_14partition_implILS5_9ELb0ES3_jPlS8_PNS0_10empty_typeENS0_5tupleIJS8_S9_EEENSB_IJS8_SA_EEENS0_18inequality_wrapperIZN2at6native12_GLOBAL__N_124unique_dim_cuda_templateIlEESt5tupleIJNSF_6TensorESK_SK_EERKSK_lbbbEUlllE0_EEPmJS9_EEE10hipError_tPvRmT3_T4_T5_T6_T7_T9_mT8_P12ihipStream_tbDpT10_ENKUlT_T0_E_clISt17integral_constantIbLb0EES19_IbLb1EEEEDaS15_S16_EUlS15_E_NS1_11comp_targetILNS1_3genE4ELNS1_11target_archE910ELNS1_3gpuE8ELNS1_3repE0EEENS1_30default_config_static_selectorELNS0_4arch9wavefront6targetE1EEEvT1_,"axG",@progbits,_ZN7rocprim17ROCPRIM_400000_NS6detail17trampoline_kernelINS0_14default_configENS1_25partition_config_selectorILNS1_17partition_subalgoE9EllbEEZZNS1_14partition_implILS5_9ELb0ES3_jPlS8_PNS0_10empty_typeENS0_5tupleIJS8_S9_EEENSB_IJS8_SA_EEENS0_18inequality_wrapperIZN2at6native12_GLOBAL__N_124unique_dim_cuda_templateIlEESt5tupleIJNSF_6TensorESK_SK_EERKSK_lbbbEUlllE0_EEPmJS9_EEE10hipError_tPvRmT3_T4_T5_T6_T7_T9_mT8_P12ihipStream_tbDpT10_ENKUlT_T0_E_clISt17integral_constantIbLb0EES19_IbLb1EEEEDaS15_S16_EUlS15_E_NS1_11comp_targetILNS1_3genE4ELNS1_11target_archE910ELNS1_3gpuE8ELNS1_3repE0EEENS1_30default_config_static_selectorELNS0_4arch9wavefront6targetE1EEEvT1_,comdat
	.globl	_ZN7rocprim17ROCPRIM_400000_NS6detail17trampoline_kernelINS0_14default_configENS1_25partition_config_selectorILNS1_17partition_subalgoE9EllbEEZZNS1_14partition_implILS5_9ELb0ES3_jPlS8_PNS0_10empty_typeENS0_5tupleIJS8_S9_EEENSB_IJS8_SA_EEENS0_18inequality_wrapperIZN2at6native12_GLOBAL__N_124unique_dim_cuda_templateIlEESt5tupleIJNSF_6TensorESK_SK_EERKSK_lbbbEUlllE0_EEPmJS9_EEE10hipError_tPvRmT3_T4_T5_T6_T7_T9_mT8_P12ihipStream_tbDpT10_ENKUlT_T0_E_clISt17integral_constantIbLb0EES19_IbLb1EEEEDaS15_S16_EUlS15_E_NS1_11comp_targetILNS1_3genE4ELNS1_11target_archE910ELNS1_3gpuE8ELNS1_3repE0EEENS1_30default_config_static_selectorELNS0_4arch9wavefront6targetE1EEEvT1_ ; -- Begin function _ZN7rocprim17ROCPRIM_400000_NS6detail17trampoline_kernelINS0_14default_configENS1_25partition_config_selectorILNS1_17partition_subalgoE9EllbEEZZNS1_14partition_implILS5_9ELb0ES3_jPlS8_PNS0_10empty_typeENS0_5tupleIJS8_S9_EEENSB_IJS8_SA_EEENS0_18inequality_wrapperIZN2at6native12_GLOBAL__N_124unique_dim_cuda_templateIlEESt5tupleIJNSF_6TensorESK_SK_EERKSK_lbbbEUlllE0_EEPmJS9_EEE10hipError_tPvRmT3_T4_T5_T6_T7_T9_mT8_P12ihipStream_tbDpT10_ENKUlT_T0_E_clISt17integral_constantIbLb0EES19_IbLb1EEEEDaS15_S16_EUlS15_E_NS1_11comp_targetILNS1_3genE4ELNS1_11target_archE910ELNS1_3gpuE8ELNS1_3repE0EEENS1_30default_config_static_selectorELNS0_4arch9wavefront6targetE1EEEvT1_
	.p2align	8
	.type	_ZN7rocprim17ROCPRIM_400000_NS6detail17trampoline_kernelINS0_14default_configENS1_25partition_config_selectorILNS1_17partition_subalgoE9EllbEEZZNS1_14partition_implILS5_9ELb0ES3_jPlS8_PNS0_10empty_typeENS0_5tupleIJS8_S9_EEENSB_IJS8_SA_EEENS0_18inequality_wrapperIZN2at6native12_GLOBAL__N_124unique_dim_cuda_templateIlEESt5tupleIJNSF_6TensorESK_SK_EERKSK_lbbbEUlllE0_EEPmJS9_EEE10hipError_tPvRmT3_T4_T5_T6_T7_T9_mT8_P12ihipStream_tbDpT10_ENKUlT_T0_E_clISt17integral_constantIbLb0EES19_IbLb1EEEEDaS15_S16_EUlS15_E_NS1_11comp_targetILNS1_3genE4ELNS1_11target_archE910ELNS1_3gpuE8ELNS1_3repE0EEENS1_30default_config_static_selectorELNS0_4arch9wavefront6targetE1EEEvT1_,@function
_ZN7rocprim17ROCPRIM_400000_NS6detail17trampoline_kernelINS0_14default_configENS1_25partition_config_selectorILNS1_17partition_subalgoE9EllbEEZZNS1_14partition_implILS5_9ELb0ES3_jPlS8_PNS0_10empty_typeENS0_5tupleIJS8_S9_EEENSB_IJS8_SA_EEENS0_18inequality_wrapperIZN2at6native12_GLOBAL__N_124unique_dim_cuda_templateIlEESt5tupleIJNSF_6TensorESK_SK_EERKSK_lbbbEUlllE0_EEPmJS9_EEE10hipError_tPvRmT3_T4_T5_T6_T7_T9_mT8_P12ihipStream_tbDpT10_ENKUlT_T0_E_clISt17integral_constantIbLb0EES19_IbLb1EEEEDaS15_S16_EUlS15_E_NS1_11comp_targetILNS1_3genE4ELNS1_11target_archE910ELNS1_3gpuE8ELNS1_3repE0EEENS1_30default_config_static_selectorELNS0_4arch9wavefront6targetE1EEEvT1_: ; @_ZN7rocprim17ROCPRIM_400000_NS6detail17trampoline_kernelINS0_14default_configENS1_25partition_config_selectorILNS1_17partition_subalgoE9EllbEEZZNS1_14partition_implILS5_9ELb0ES3_jPlS8_PNS0_10empty_typeENS0_5tupleIJS8_S9_EEENSB_IJS8_SA_EEENS0_18inequality_wrapperIZN2at6native12_GLOBAL__N_124unique_dim_cuda_templateIlEESt5tupleIJNSF_6TensorESK_SK_EERKSK_lbbbEUlllE0_EEPmJS9_EEE10hipError_tPvRmT3_T4_T5_T6_T7_T9_mT8_P12ihipStream_tbDpT10_ENKUlT_T0_E_clISt17integral_constantIbLb0EES19_IbLb1EEEEDaS15_S16_EUlS15_E_NS1_11comp_targetILNS1_3genE4ELNS1_11target_archE910ELNS1_3gpuE8ELNS1_3repE0EEENS1_30default_config_static_selectorELNS0_4arch9wavefront6targetE1EEEvT1_
; %bb.0:
	s_load_dwordx4 s[8:11], s[4:5], 0x8
	s_load_dwordx2 s[14:15], s[4:5], 0x18
	s_load_dwordx8 s[20:27], s[4:5], 0x40
	s_load_dwordx4 s[16:19], s[4:5], 0x60
	v_cmp_ne_u32_e64 s[2:3], 0, v0
	v_cmp_eq_u32_e64 s[0:1], 0, v0
	s_and_saveexec_b64 s[6:7], s[0:1]
	s_cbranch_execz .LBB621_4
; %bb.1:
	s_mov_b64 s[28:29], exec
	v_mbcnt_lo_u32_b32 v1, s28, 0
	v_mbcnt_hi_u32_b32 v1, s29, v1
	v_cmp_eq_u32_e32 vcc, 0, v1
                                        ; implicit-def: $vgpr2
	s_and_saveexec_b64 s[12:13], vcc
	s_cbranch_execz .LBB621_3
; %bb.2:
	s_load_dwordx2 s[30:31], s[4:5], 0x78
	s_bcnt1_i32_b64 s28, s[28:29]
	v_mov_b32_e32 v2, 0
	v_mov_b32_e32 v3, s28
	s_waitcnt lgkmcnt(0)
	global_atomic_add v2, v2, v3, s[30:31] glc
.LBB621_3:
	s_or_b64 exec, exec, s[12:13]
	s_waitcnt vmcnt(0)
	v_readfirstlane_b32 s12, v2
	v_add_u32_e32 v1, s12, v1
	v_mov_b32_e32 v2, 0
	ds_write_b32 v2, v1
.LBB621_4:
	s_or_b64 exec, exec, s[6:7]
	v_mov_b32_e32 v1, 0
	s_load_dwordx4 s[28:31], s[4:5], 0x28
	s_load_dword s6, s[4:5], 0x70
	s_waitcnt lgkmcnt(0)
	s_barrier
	ds_read_b32 v6, v1
	s_waitcnt lgkmcnt(0)
	s_barrier
	global_load_dwordx2 v[2:3], v1, s[22:23]
	s_lshl_b64 s[36:37], s[10:11], 3
	s_add_u32 s22, s8, s36
	s_addc_u32 s23, s9, s37
	s_add_i32 s12, s6, -1
	s_lshl_b32 s8, s6, 9
	s_lshl_b32 s6, s12, 9
	s_add_i32 s6, s10, s6
	v_readfirstlane_b32 s33, v6
	s_sub_i32 s48, s24, s6
	s_lshl_b32 s6, s33, 9
	s_add_u32 s8, s10, s8
	s_addc_u32 s9, s11, 0
	v_mov_b32_e32 v4, s24
	v_mov_b32_e32 v5, s25
	s_cmp_eq_u32 s33, s12
	v_cmp_ge_u64_e32 vcc, s[8:9], v[4:5]
	s_cselect_b64 s[24:25], -1, 0
	s_mov_b32 s7, 0
	s_and_b64 s[12:13], vcc, s[24:25]
	s_lshl_b64 s[8:9], s[6:7], 3
	s_xor_b64 s[34:35], s[12:13], -1
	s_add_u32 s6, s22, s8
	s_mov_b64 s[4:5], -1
	v_lshrrev_b32_e32 v18, 2, v0
	s_addc_u32 s7, s23, s9
	s_and_b64 vcc, exec, s[34:35]
	s_waitcnt vmcnt(0)
	v_readfirstlane_b32 s22, v2
	v_readfirstlane_b32 s23, v3
	s_cbranch_vccz .LBB621_6
; %bb.5:
	v_lshlrev_b32_e32 v1, 3, v0
	global_load_dwordx2 v[2:3], v1, s[6:7]
	global_load_dwordx2 v[4:5], v1, s[6:7] offset:1024
	global_load_dwordx2 v[6:7], v1, s[6:7] offset:2048
	;; [unrolled: 1-line block ×3, first 2 shown]
	v_or_b32_e32 v11, 0x80, v0
	v_or_b32_e32 v12, 0x100, v0
	;; [unrolled: 1-line block ×3, first 2 shown]
	v_and_b32_e32 v10, 24, v18
	v_lshrrev_b32_e32 v11, 2, v11
	v_lshrrev_b32_e32 v12, 2, v12
	;; [unrolled: 1-line block ×3, first 2 shown]
	v_add_u32_e32 v10, v10, v1
	v_and_b32_e32 v11, 56, v11
	v_and_b32_e32 v12, 0x58, v12
	;; [unrolled: 1-line block ×3, first 2 shown]
	v_add_u32_e32 v11, v11, v1
	v_add_u32_e32 v12, v12, v1
	;; [unrolled: 1-line block ×3, first 2 shown]
	s_mov_b64 s[4:5], 0
	s_waitcnt vmcnt(3)
	ds_write_b64 v10, v[2:3]
	s_waitcnt vmcnt(2)
	ds_write_b64 v11, v[4:5] offset:1024
	s_waitcnt vmcnt(1)
	ds_write_b64 v12, v[6:7] offset:2048
	;; [unrolled: 2-line block ×3, first 2 shown]
	s_waitcnt lgkmcnt(0)
	s_barrier
.LBB621_6:
	s_andn2_b64 vcc, exec, s[4:5]
	v_cmp_gt_u32_e64 s[4:5], s48, v0
	s_cbranch_vccnz .LBB621_16
; %bb.7:
                                        ; implicit-def: $vgpr2_vgpr3_vgpr4_vgpr5_vgpr6_vgpr7_vgpr8_vgpr9
	s_and_saveexec_b64 s[38:39], s[4:5]
	s_cbranch_execz .LBB621_9
; %bb.8:
	v_lshlrev_b32_e32 v1, 3, v0
	global_load_dwordx2 v[2:3], v1, s[6:7]
.LBB621_9:
	s_or_b64 exec, exec, s[38:39]
	v_or_b32_e32 v1, 0x80, v0
	v_cmp_gt_u32_e32 vcc, s48, v1
	s_and_saveexec_b64 s[4:5], vcc
	s_cbranch_execz .LBB621_11
; %bb.10:
	v_lshlrev_b32_e32 v4, 3, v0
	global_load_dwordx2 v[4:5], v4, s[6:7] offset:1024
.LBB621_11:
	s_or_b64 exec, exec, s[4:5]
	v_or_b32_e32 v10, 0x100, v0
	v_cmp_gt_u32_e32 vcc, s48, v10
	s_and_saveexec_b64 s[4:5], vcc
	s_cbranch_execz .LBB621_13
; %bb.12:
	v_lshlrev_b32_e32 v6, 3, v0
	global_load_dwordx2 v[6:7], v6, s[6:7] offset:2048
.LBB621_13:
	;; [unrolled: 9-line block ×3, first 2 shown]
	s_or_b64 exec, exec, s[4:5]
	v_lshrrev_b32_e32 v1, 2, v1
	v_lshlrev_b32_e32 v13, 3, v0
	v_and_b32_e32 v1, 56, v1
	v_add_u32_e32 v1, v1, v13
	s_waitcnt vmcnt(0)
	ds_write_b64 v1, v[4:5] offset:1024
	v_lshrrev_b32_e32 v1, 2, v10
	v_and_b32_e32 v1, 0x78, v1
	v_add_u32_e32 v1, v1, v13
	ds_write_b64 v1, v[6:7] offset:2048
	v_lshrrev_b32_e32 v1, 2, v11
	v_and_b32_e32 v12, 24, v18
	v_and_b32_e32 v1, 0x78, v1
	v_add_u32_e32 v12, v12, v13
	v_add_u32_e32 v1, v1, v13
	ds_write_b64 v12, v[2:3]
	ds_write_b64 v1, v[8:9] offset:3072
	s_waitcnt lgkmcnt(0)
	s_barrier
.LBB621_16:
	v_lshlrev_b32_e32 v1, 2, v0
	v_lshrrev_b32_e32 v2, 3, v0
	v_add_lshl_u32 v19, v2, v1, 3
	ds_read2_b64 v[14:17], v19 offset1:1
	ds_read2_b64 v[10:13], v19 offset0:2 offset1:3
	s_add_u32 s4, s14, s36
	s_addc_u32 s5, s15, s37
	s_add_u32 s4, s4, s8
	s_addc_u32 s5, s5, s9
	s_mov_b64 s[8:9], -1
	s_and_b64 vcc, exec, s[34:35]
	s_waitcnt lgkmcnt(0)
	s_barrier
	s_cbranch_vccz .LBB621_18
; %bb.17:
	v_lshlrev_b32_e32 v20, 3, v0
	global_load_dwordx2 v[2:3], v20, s[4:5]
	global_load_dwordx2 v[4:5], v20, s[4:5] offset:1024
	global_load_dwordx2 v[6:7], v20, s[4:5] offset:2048
	;; [unrolled: 1-line block ×3, first 2 shown]
	v_or_b32_e32 v22, 0x80, v0
	v_or_b32_e32 v23, 0x100, v0
	;; [unrolled: 1-line block ×3, first 2 shown]
	v_and_b32_e32 v21, 24, v18
	v_lshrrev_b32_e32 v22, 2, v22
	v_lshrrev_b32_e32 v23, 2, v23
	;; [unrolled: 1-line block ×3, first 2 shown]
	v_add_u32_e32 v21, v21, v20
	v_and_b32_e32 v22, 56, v22
	v_and_b32_e32 v23, 0x58, v23
	;; [unrolled: 1-line block ×3, first 2 shown]
	v_add_u32_e32 v22, v22, v20
	v_add_u32_e32 v23, v23, v20
	;; [unrolled: 1-line block ×3, first 2 shown]
	s_mov_b64 s[8:9], 0
	s_waitcnt vmcnt(3)
	ds_write_b64 v21, v[2:3]
	s_waitcnt vmcnt(2)
	ds_write_b64 v22, v[4:5] offset:1024
	s_waitcnt vmcnt(1)
	ds_write_b64 v23, v[6:7] offset:2048
	;; [unrolled: 2-line block ×3, first 2 shown]
	s_waitcnt lgkmcnt(0)
	s_barrier
.LBB621_18:
	s_andn2_b64 vcc, exec, s[8:9]
	s_cbranch_vccnz .LBB621_28
; %bb.19:
	v_cmp_gt_u32_e32 vcc, s48, v0
                                        ; implicit-def: $vgpr2_vgpr3
	s_and_saveexec_b64 s[8:9], vcc
	s_cbranch_execz .LBB621_21
; %bb.20:
	v_lshlrev_b32_e32 v2, 3, v0
	global_load_dwordx2 v[2:3], v2, s[4:5]
.LBB621_21:
	s_or_b64 exec, exec, s[8:9]
	v_or_b32_e32 v20, 0x80, v0
	v_cmp_gt_u32_e32 vcc, s48, v20
                                        ; implicit-def: $vgpr4_vgpr5
	s_and_saveexec_b64 s[8:9], vcc
	s_cbranch_execz .LBB621_23
; %bb.22:
	v_lshlrev_b32_e32 v4, 3, v0
	global_load_dwordx2 v[4:5], v4, s[4:5] offset:1024
.LBB621_23:
	s_or_b64 exec, exec, s[8:9]
	v_or_b32_e32 v21, 0x100, v0
	v_cmp_gt_u32_e32 vcc, s48, v21
                                        ; implicit-def: $vgpr6_vgpr7
	s_and_saveexec_b64 s[8:9], vcc
	s_cbranch_execz .LBB621_25
; %bb.24:
	v_lshlrev_b32_e32 v6, 3, v0
	global_load_dwordx2 v[6:7], v6, s[4:5] offset:2048
.LBB621_25:
	s_or_b64 exec, exec, s[8:9]
	v_or_b32_e32 v22, 0x180, v0
	v_cmp_gt_u32_e32 vcc, s48, v22
                                        ; implicit-def: $vgpr8_vgpr9
	s_and_saveexec_b64 s[8:9], vcc
	s_cbranch_execz .LBB621_27
; %bb.26:
	v_lshlrev_b32_e32 v8, 3, v0
	global_load_dwordx2 v[8:9], v8, s[4:5] offset:3072
.LBB621_27:
	s_or_b64 exec, exec, s[8:9]
	v_and_b32_e32 v18, 24, v18
	v_lshlrev_b32_e32 v23, 3, v0
	v_add_u32_e32 v18, v18, v23
	s_waitcnt vmcnt(0)
	ds_write_b64 v18, v[2:3]
	v_lshrrev_b32_e32 v2, 2, v20
	v_and_b32_e32 v2, 56, v2
	v_add_u32_e32 v2, v2, v23
	ds_write_b64 v2, v[4:5] offset:1024
	v_lshrrev_b32_e32 v2, 2, v21
	v_and_b32_e32 v2, 0x78, v2
	v_add_u32_e32 v2, v2, v23
	ds_write_b64 v2, v[6:7] offset:2048
	;; [unrolled: 4-line block ×3, first 2 shown]
	s_waitcnt lgkmcnt(0)
	s_barrier
.LBB621_28:
	ds_read2_b64 v[6:9], v19 offset1:1
	ds_read2_b64 v[2:5], v19 offset0:2 offset1:3
	s_cmp_lg_u32 s33, 0
	s_cselect_b64 s[36:37], -1, 0
	s_cmp_lg_u64 s[10:11], 0
	s_cselect_b64 s[4:5], -1, 0
	s_or_b64 s[4:5], s[4:5], s[36:37]
	s_mov_b64 s[14:15], 0
	s_and_b64 vcc, exec, s[4:5]
	v_cmp_gt_i64_e64 s[4:5], s[26:27], 0
	s_waitcnt lgkmcnt(0)
	s_barrier
	s_cbranch_vccz .LBB621_37
; %bb.29:
	v_mov_b32_e32 v18, 0
	global_load_dwordx2 v[18:19], v18, s[6:7] offset:-8
	v_cndmask_b32_e64 v20, 0, 1, s[4:5]
	v_lshlrev_b32_e32 v29, 3, v0
	s_mov_b64 s[10:11], 0
	s_and_b64 vcc, exec, s[34:35]
	v_cmp_ne_u32_e64 s[4:5], 1, v20
	ds_write_b64 v29, v[12:13]
	s_cbranch_vccz .LBB621_38
; %bb.30:
	v_mul_lo_u32 v22, v11, s26
	v_mul_lo_u32 v23, v10, s27
	v_mad_u64_u32 v[20:21], s[6:7], v10, s26, 0
	v_add3_u32 v21, v21, v23, v22
	s_and_b64 vcc, exec, s[4:5]
	v_lshlrev_b64 v[20:21], 3, v[20:21]
	s_cbranch_vccnz .LBB621_41
; %bb.31:
	v_mul_lo_u32 v24, v13, s26
	v_mul_lo_u32 v25, v12, s27
	v_mad_u64_u32 v[22:23], s[6:7], v12, s26, 0
	v_add3_u32 v23, v23, v25, v24
	v_mov_b32_e32 v25, s17
	v_add_co_u32_e32 v24, vcc, s16, v20
	v_addc_co_u32_e64 v25, s[6:7], v25, v21, vcc
	v_lshlrev_b64 v[22:23], 3, v[22:23]
	v_mov_b32_e32 v27, s17
	v_add_co_u32_e64 v26, s[6:7], s16, v22
	v_addc_co_u32_e64 v27, s[8:9], v27, v23, s[6:7]
	global_load_dwordx2 v[30:31], v[24:25], off
	global_load_dwordx2 v[32:33], v[26:27], off
	s_mov_b64 s[10:11], -1
	s_waitcnt vmcnt(0)
	v_cmp_eq_u64_e64 s[8:9], v[30:31], v[32:33]
	s_and_saveexec_b64 s[14:15], s[8:9]
	s_cbranch_execz .LBB621_40
; %bb.32:
	v_mov_b32_e32 v22, s17
	v_addc_co_u32_e64 v23, s[6:7], v23, v22, s[6:7]
	v_add_co_u32_e64 v22, s[6:7], 8, v26
	v_mov_b32_e32 v25, s17
	v_addc_co_u32_e64 v23, s[6:7], 0, v23, s[6:7]
	v_addc_co_u32_e32 v25, vcc, v21, v25, vcc
	v_add_co_u32_e32 v24, vcc, 8, v24
	s_add_u32 s6, s26, -1
	v_addc_co_u32_e32 v25, vcc, 0, v25, vcc
	s_addc_u32 s7, s27, -1
	s_mov_b64 s[8:9], 0
	s_mov_b64 s[38:39], 0
                                        ; implicit-def: $sgpr10_sgpr11
	s_branch .LBB621_35
.LBB621_33:                             ;   in Loop: Header=BB621_35 Depth=1
	global_load_dwordx2 v[26:27], v[24:25], off
	global_load_dwordx2 v[30:31], v[22:23], off
	v_add_co_u32_e32 v22, vcc, 8, v22
	v_addc_co_u32_e32 v23, vcc, 0, v23, vcc
	v_add_co_u32_e32 v24, vcc, 8, v24
	v_addc_co_u32_e32 v25, vcc, 0, v25, vcc
	s_add_u32 s38, s38, 1
	s_addc_u32 s39, s39, 0
	s_andn2_b64 s[10:11], s[10:11], exec
	s_waitcnt vmcnt(0)
	v_cmp_ne_u64_e32 vcc, v[26:27], v[30:31]
	s_and_b64 s[40:41], vcc, exec
	s_or_b64 s[10:11], s[10:11], s[40:41]
.LBB621_34:                             ;   in Loop: Header=BB621_35 Depth=1
	s_and_b64 s[40:41], exec, s[10:11]
	s_or_b64 s[8:9], s[40:41], s[8:9]
	v_pk_mov_b32 v[26:27], s[38:39], s[38:39] op_sel:[0,1]
	s_andn2_b64 exec, exec, s[8:9]
	s_cbranch_execz .LBB621_39
.LBB621_35:                             ; =>This Inner Loop Header: Depth=1
	s_or_b64 s[10:11], s[10:11], exec
	s_cmp_eq_u64 s[6:7], s[38:39]
	s_cbranch_scc0 .LBB621_33
; %bb.36:                               ;   in Loop: Header=BB621_35 Depth=1
                                        ; implicit-def: $vgpr22_vgpr23
                                        ; implicit-def: $vgpr24_vgpr25
	s_mov_b64 s[38:39], s[26:27]
	s_branch .LBB621_34
.LBB621_37:
                                        ; implicit-def: $sgpr38_sgpr39
                                        ; implicit-def: $vgpr28
	s_branch .LBB621_119
.LBB621_38:
                                        ; implicit-def: $sgpr38_sgpr39
                                        ; implicit-def: $vgpr28
	s_cbranch_execnz .LBB621_71
	s_branch .LBB621_118
.LBB621_39:
	s_or_b64 exec, exec, s[8:9]
	v_cmp_gt_i64_e32 vcc, s[26:27], v[26:27]
	s_orn2_b64 s[10:11], vcc, exec
.LBB621_40:
	s_or_b64 exec, exec, s[14:15]
.LBB621_41:
	v_mul_lo_u32 v24, v17, s26
	v_mul_lo_u32 v25, v16, s27
	v_mad_u64_u32 v[22:23], s[6:7], v16, s26, 0
	v_add3_u32 v23, v23, v25, v24
	s_mov_b64 s[14:15], 0
	s_and_b64 vcc, exec, s[4:5]
	v_lshlrev_b64 v[22:23], 3, v[22:23]
	s_mov_b64 s[38:39], 0
	s_cbranch_vccnz .LBB621_50
; %bb.42:
	v_mov_b32_e32 v25, s17
	v_add_co_u32_e32 v24, vcc, s16, v22
	v_addc_co_u32_e64 v25, s[6:7], v25, v23, vcc
	v_mov_b32_e32 v27, s17
	v_add_co_u32_e64 v26, s[6:7], s16, v20
	v_addc_co_u32_e64 v27, s[8:9], v27, v21, s[6:7]
	global_load_dwordx2 v[30:31], v[24:25], off
	global_load_dwordx2 v[32:33], v[26:27], off
	s_mov_b64 s[38:39], -1
	s_waitcnt vmcnt(0)
	v_cmp_eq_u64_e64 s[8:9], v[30:31], v[32:33]
	s_and_saveexec_b64 s[40:41], s[8:9]
	s_cbranch_execz .LBB621_49
; %bb.43:
	v_mov_b32_e32 v20, s17
	v_addc_co_u32_e64 v21, s[6:7], v21, v20, s[6:7]
	v_add_co_u32_e64 v20, s[6:7], 8, v26
	v_mov_b32_e32 v25, s17
	v_addc_co_u32_e64 v21, s[6:7], 0, v21, s[6:7]
	v_addc_co_u32_e32 v25, vcc, v23, v25, vcc
	v_add_co_u32_e32 v24, vcc, 8, v24
	s_add_u32 s6, s26, -1
	v_addc_co_u32_e32 v25, vcc, 0, v25, vcc
	s_addc_u32 s7, s27, -1
	s_mov_b64 s[8:9], 0
	s_mov_b64 s[42:43], 0
                                        ; implicit-def: $sgpr38_sgpr39
	s_branch .LBB621_46
.LBB621_44:                             ;   in Loop: Header=BB621_46 Depth=1
	global_load_dwordx2 v[26:27], v[24:25], off
	global_load_dwordx2 v[30:31], v[20:21], off
	v_add_co_u32_e32 v20, vcc, 8, v20
	v_addc_co_u32_e32 v21, vcc, 0, v21, vcc
	v_add_co_u32_e32 v24, vcc, 8, v24
	v_addc_co_u32_e32 v25, vcc, 0, v25, vcc
	s_add_u32 s42, s42, 1
	s_addc_u32 s43, s43, 0
	s_andn2_b64 s[38:39], s[38:39], exec
	s_waitcnt vmcnt(0)
	v_cmp_ne_u64_e32 vcc, v[26:27], v[30:31]
	s_and_b64 s[44:45], vcc, exec
	s_or_b64 s[38:39], s[38:39], s[44:45]
.LBB621_45:                             ;   in Loop: Header=BB621_46 Depth=1
	s_and_b64 s[44:45], exec, s[38:39]
	s_or_b64 s[8:9], s[44:45], s[8:9]
	v_pk_mov_b32 v[26:27], s[42:43], s[42:43] op_sel:[0,1]
	s_andn2_b64 exec, exec, s[8:9]
	s_cbranch_execz .LBB621_48
.LBB621_46:                             ; =>This Inner Loop Header: Depth=1
	s_or_b64 s[38:39], s[38:39], exec
	s_cmp_eq_u64 s[6:7], s[42:43]
	s_cbranch_scc0 .LBB621_44
; %bb.47:                               ;   in Loop: Header=BB621_46 Depth=1
                                        ; implicit-def: $vgpr20_vgpr21
                                        ; implicit-def: $vgpr24_vgpr25
	s_mov_b64 s[42:43], s[26:27]
	s_branch .LBB621_45
.LBB621_48:
	s_or_b64 exec, exec, s[8:9]
	v_cmp_gt_i64_e32 vcc, s[26:27], v[26:27]
	s_orn2_b64 s[38:39], vcc, exec
.LBB621_49:
	s_or_b64 exec, exec, s[40:41]
.LBB621_50:
	v_mul_lo_u32 v24, v15, s26
	v_mul_lo_u32 v25, v14, s27
	v_mad_u64_u32 v[20:21], s[6:7], v14, s26, 0
	v_add3_u32 v21, v21, v25, v24
	s_and_b64 vcc, exec, s[4:5]
	v_lshlrev_b64 v[20:21], 3, v[20:21]
	s_cbranch_vccnz .LBB621_59
; %bb.51:
	v_mov_b32_e32 v25, s17
	v_add_co_u32_e32 v24, vcc, s16, v20
	v_addc_co_u32_e64 v25, s[6:7], v25, v21, vcc
	v_mov_b32_e32 v27, s17
	v_add_co_u32_e64 v26, s[6:7], s16, v22
	v_addc_co_u32_e64 v27, s[8:9], v27, v23, s[6:7]
	global_load_dwordx2 v[30:31], v[24:25], off
	global_load_dwordx2 v[32:33], v[26:27], off
	s_mov_b64 s[14:15], -1
	s_waitcnt vmcnt(0)
	v_cmp_eq_u64_e64 s[8:9], v[30:31], v[32:33]
	s_and_saveexec_b64 s[40:41], s[8:9]
	s_cbranch_execz .LBB621_58
; %bb.52:
	v_mov_b32_e32 v22, s17
	v_addc_co_u32_e64 v23, s[6:7], v23, v22, s[6:7]
	v_add_co_u32_e64 v22, s[6:7], 8, v26
	v_mov_b32_e32 v25, s17
	v_addc_co_u32_e64 v23, s[6:7], 0, v23, s[6:7]
	v_addc_co_u32_e32 v25, vcc, v21, v25, vcc
	v_add_co_u32_e32 v24, vcc, 8, v24
	s_add_u32 s6, s26, -1
	v_addc_co_u32_e32 v25, vcc, 0, v25, vcc
	s_addc_u32 s7, s27, -1
	s_mov_b64 s[8:9], 0
	s_mov_b64 s[42:43], 0
                                        ; implicit-def: $sgpr14_sgpr15
	s_branch .LBB621_55
.LBB621_53:                             ;   in Loop: Header=BB621_55 Depth=1
	global_load_dwordx2 v[26:27], v[24:25], off
	global_load_dwordx2 v[30:31], v[22:23], off
	v_add_co_u32_e32 v22, vcc, 8, v22
	v_addc_co_u32_e32 v23, vcc, 0, v23, vcc
	v_add_co_u32_e32 v24, vcc, 8, v24
	v_addc_co_u32_e32 v25, vcc, 0, v25, vcc
	s_add_u32 s42, s42, 1
	s_addc_u32 s43, s43, 0
	s_andn2_b64 s[14:15], s[14:15], exec
	s_waitcnt vmcnt(0)
	v_cmp_ne_u64_e32 vcc, v[26:27], v[30:31]
	s_and_b64 s[44:45], vcc, exec
	s_or_b64 s[14:15], s[14:15], s[44:45]
.LBB621_54:                             ;   in Loop: Header=BB621_55 Depth=1
	s_and_b64 s[44:45], exec, s[14:15]
	s_or_b64 s[8:9], s[44:45], s[8:9]
	v_pk_mov_b32 v[26:27], s[42:43], s[42:43] op_sel:[0,1]
	s_andn2_b64 exec, exec, s[8:9]
	s_cbranch_execz .LBB621_57
.LBB621_55:                             ; =>This Inner Loop Header: Depth=1
	s_or_b64 s[14:15], s[14:15], exec
	s_cmp_eq_u64 s[6:7], s[42:43]
	s_cbranch_scc0 .LBB621_53
; %bb.56:                               ;   in Loop: Header=BB621_55 Depth=1
                                        ; implicit-def: $vgpr22_vgpr23
                                        ; implicit-def: $vgpr24_vgpr25
	s_mov_b64 s[42:43], s[26:27]
	s_branch .LBB621_54
.LBB621_57:
	s_or_b64 exec, exec, s[8:9]
	v_cmp_gt_i64_e32 vcc, s[26:27], v[26:27]
	s_orn2_b64 s[14:15], vcc, exec
.LBB621_58:
	s_or_b64 exec, exec, s[40:41]
.LBB621_59:
	s_waitcnt vmcnt(0)
	v_pk_mov_b32 v[22:23], v[18:19], v[18:19] op_sel:[0,1]
	s_waitcnt lgkmcnt(0)
	s_barrier
	s_and_saveexec_b64 s[6:7], s[2:3]
	s_cbranch_execz .LBB621_61
; %bb.60:
	v_add_u32_e32 v22, -8, v29
	ds_read_b64 v[22:23], v22
.LBB621_61:
	s_or_b64 exec, exec, s[6:7]
	v_cndmask_b32_e64 v25, 0, 1, s[10:11]
	v_cndmask_b32_e64 v24, 0, 1, s[38:39]
	;; [unrolled: 1-line block ×3, first 2 shown]
	v_lshlrev_b16_e32 v25, 8, v25
	v_lshlrev_b16_e32 v28, 8, v26
	v_or_b32_sdwa v30, v24, v25 dst_sel:WORD_1 dst_unused:UNUSED_PAD src0_sel:DWORD src1_sel:DWORD
	s_mov_b64 s[10:11], 0
	s_and_b64 vcc, exec, s[4:5]
	s_mov_b64 s[38:39], 0
	s_cbranch_vccnz .LBB621_70
; %bb.62:
	s_waitcnt lgkmcnt(0)
	v_mul_lo_u32 v24, v23, s26
	v_mul_lo_u32 v25, v22, s27
	v_mad_u64_u32 v[22:23], s[6:7], v22, s26, 0
	v_add3_u32 v23, v23, v25, v24
	v_lshlrev_b64 v[22:23], 3, v[22:23]
	v_mov_b32_e32 v25, s17
	v_add_co_u32_e32 v24, vcc, s16, v22
	v_addc_co_u32_e64 v25, s[6:7], v25, v23, vcc
	v_mov_b32_e32 v22, s17
	v_add_co_u32_e64 v26, s[6:7], s16, v20
	v_addc_co_u32_e64 v27, s[8:9], v22, v21, s[6:7]
	global_load_dwordx2 v[32:33], v[24:25], off
	global_load_dwordx2 v[34:35], v[26:27], off
	s_mov_b64 s[38:39], -1
	s_waitcnt vmcnt(0)
	v_cmp_eq_u64_e64 s[8:9], v[32:33], v[34:35]
	s_and_saveexec_b64 s[14:15], s[8:9]
	s_cbranch_execz .LBB621_69
; %bb.63:
	v_mov_b32_e32 v20, s17
	v_addc_co_u32_e64 v21, s[6:7], v21, v20, s[6:7]
	v_add_co_u32_e64 v20, s[6:7], 8, v26
	v_mov_b32_e32 v22, s17
	v_addc_co_u32_e64 v21, s[6:7], 0, v21, s[6:7]
	v_addc_co_u32_e32 v23, vcc, v23, v22, vcc
	v_add_co_u32_e32 v22, vcc, 8, v24
	s_add_u32 s6, s26, -1
	v_addc_co_u32_e32 v23, vcc, 0, v23, vcc
	s_addc_u32 s7, s27, -1
	s_mov_b64 s[8:9], 0
	s_mov_b64 s[40:41], 0
                                        ; implicit-def: $sgpr38_sgpr39
	s_branch .LBB621_66
.LBB621_64:                             ;   in Loop: Header=BB621_66 Depth=1
	global_load_dwordx2 v[24:25], v[22:23], off
	global_load_dwordx2 v[26:27], v[20:21], off
	v_add_co_u32_e32 v20, vcc, 8, v20
	v_addc_co_u32_e32 v21, vcc, 0, v21, vcc
	v_add_co_u32_e32 v22, vcc, 8, v22
	v_addc_co_u32_e32 v23, vcc, 0, v23, vcc
	s_add_u32 s40, s40, 1
	s_addc_u32 s41, s41, 0
	s_andn2_b64 s[38:39], s[38:39], exec
	s_waitcnt vmcnt(0)
	v_cmp_ne_u64_e32 vcc, v[24:25], v[26:27]
	s_and_b64 s[42:43], vcc, exec
	s_or_b64 s[38:39], s[38:39], s[42:43]
.LBB621_65:                             ;   in Loop: Header=BB621_66 Depth=1
	s_and_b64 s[42:43], exec, s[38:39]
	s_or_b64 s[8:9], s[42:43], s[8:9]
	v_pk_mov_b32 v[24:25], s[40:41], s[40:41] op_sel:[0,1]
	s_andn2_b64 exec, exec, s[8:9]
	s_cbranch_execz .LBB621_68
.LBB621_66:                             ; =>This Inner Loop Header: Depth=1
	s_or_b64 s[38:39], s[38:39], exec
	s_cmp_eq_u64 s[6:7], s[40:41]
	s_cbranch_scc0 .LBB621_64
; %bb.67:                               ;   in Loop: Header=BB621_66 Depth=1
                                        ; implicit-def: $vgpr20_vgpr21
                                        ; implicit-def: $vgpr22_vgpr23
	s_mov_b64 s[40:41], s[26:27]
	s_branch .LBB621_65
.LBB621_68:
	s_or_b64 exec, exec, s[8:9]
	v_cmp_gt_i64_e32 vcc, s[26:27], v[24:25]
	s_orn2_b64 s[38:39], vcc, exec
.LBB621_69:
	s_or_b64 exec, exec, s[14:15]
.LBB621_70:
	v_or_b32_e32 v28, v28, v30
	s_and_b64 vcc, exec, s[10:11]
	s_cbranch_vccz .LBB621_118
.LBB621_71:
	v_or_b32_e32 v20, 3, v1
	v_cmp_gt_u32_e32 vcc, s48, v20
	s_mov_b64 s[14:15], 0
	s_mov_b64 s[10:11], 0
	s_and_saveexec_b64 s[38:39], vcc
	s_cbranch_execz .LBB621_82
; %bb.72:
	s_and_b64 vcc, exec, s[4:5]
	s_mov_b64 s[40:41], 0
	s_cbranch_vccnz .LBB621_81
; %bb.73:
	s_waitcnt lgkmcnt(0)
	v_mul_lo_u32 v22, v11, s26
	v_mul_lo_u32 v23, v10, s27
	v_mad_u64_u32 v[20:21], s[6:7], v10, s26, 0
	v_add3_u32 v21, v21, v23, v22
	v_mul_lo_u32 v22, v13, s26
	v_mul_lo_u32 v23, v12, s27
	v_mad_u64_u32 v[26:27], s[6:7], v12, s26, 0
	v_add3_u32 v27, v27, v23, v22
	v_lshlrev_b64 v[22:23], 3, v[20:21]
	v_mov_b32_e32 v20, s17
	v_add_co_u32_e32 v24, vcc, s16, v22
	v_addc_co_u32_e64 v25, s[6:7], v20, v23, vcc
	v_lshlrev_b64 v[20:21], 3, v[26:27]
	v_mov_b32_e32 v22, s17
	v_add_co_u32_e64 v26, s[6:7], s16, v20
	v_addc_co_u32_e64 v27, s[8:9], v22, v21, s[6:7]
	global_load_dwordx2 v[30:31], v[24:25], off
	global_load_dwordx2 v[32:33], v[26:27], off
	s_mov_b64 s[40:41], -1
	s_waitcnt vmcnt(0)
	v_cmp_eq_u64_e64 s[8:9], v[30:31], v[32:33]
	s_and_saveexec_b64 s[10:11], s[8:9]
	s_cbranch_execz .LBB621_80
; %bb.74:
	v_mov_b32_e32 v20, s17
	v_addc_co_u32_e64 v21, s[6:7], v21, v20, s[6:7]
	v_add_co_u32_e64 v20, s[6:7], 8, v26
	v_mov_b32_e32 v22, s17
	v_addc_co_u32_e64 v21, s[6:7], 0, v21, s[6:7]
	v_addc_co_u32_e32 v23, vcc, v23, v22, vcc
	v_add_co_u32_e32 v22, vcc, 8, v24
	s_add_u32 s6, s26, -1
	v_addc_co_u32_e32 v23, vcc, 0, v23, vcc
	s_addc_u32 s7, s27, -1
	s_mov_b64 s[8:9], 0
	s_mov_b64 s[42:43], 0
                                        ; implicit-def: $sgpr40_sgpr41
	s_branch .LBB621_77
.LBB621_75:                             ;   in Loop: Header=BB621_77 Depth=1
	global_load_dwordx2 v[24:25], v[22:23], off
	global_load_dwordx2 v[26:27], v[20:21], off
	v_add_co_u32_e32 v20, vcc, 8, v20
	v_addc_co_u32_e32 v21, vcc, 0, v21, vcc
	v_add_co_u32_e32 v22, vcc, 8, v22
	v_addc_co_u32_e32 v23, vcc, 0, v23, vcc
	s_add_u32 s42, s42, 1
	s_addc_u32 s43, s43, 0
	s_andn2_b64 s[40:41], s[40:41], exec
	s_waitcnt vmcnt(0)
	v_cmp_ne_u64_e32 vcc, v[24:25], v[26:27]
	s_and_b64 s[44:45], vcc, exec
	s_or_b64 s[40:41], s[40:41], s[44:45]
.LBB621_76:                             ;   in Loop: Header=BB621_77 Depth=1
	s_and_b64 s[44:45], exec, s[40:41]
	s_or_b64 s[8:9], s[44:45], s[8:9]
	v_pk_mov_b32 v[24:25], s[42:43], s[42:43] op_sel:[0,1]
	s_andn2_b64 exec, exec, s[8:9]
	s_cbranch_execz .LBB621_79
.LBB621_77:                             ; =>This Inner Loop Header: Depth=1
	s_or_b64 s[40:41], s[40:41], exec
	s_cmp_eq_u64 s[6:7], s[42:43]
	s_cbranch_scc0 .LBB621_75
; %bb.78:                               ;   in Loop: Header=BB621_77 Depth=1
                                        ; implicit-def: $vgpr20_vgpr21
                                        ; implicit-def: $vgpr22_vgpr23
	s_mov_b64 s[42:43], s[26:27]
	s_branch .LBB621_76
.LBB621_79:
	s_or_b64 exec, exec, s[8:9]
	v_cmp_gt_i64_e32 vcc, s[26:27], v[24:25]
	s_orn2_b64 s[40:41], vcc, exec
.LBB621_80:
	s_or_b64 exec, exec, s[10:11]
.LBB621_81:
	s_and_b64 s[10:11], s[40:41], exec
.LBB621_82:
	s_or_b64 exec, exec, s[38:39]
	v_or_b32_e32 v20, 2, v1
	v_cmp_gt_u32_e32 vcc, s48, v20
	s_and_saveexec_b64 s[38:39], vcc
	s_cbranch_execz .LBB621_93
; %bb.83:
	s_and_b64 vcc, exec, s[4:5]
	s_mov_b64 s[40:41], 0
	s_cbranch_vccnz .LBB621_92
; %bb.84:
	s_waitcnt lgkmcnt(0)
	v_mul_lo_u32 v22, v17, s26
	v_mul_lo_u32 v23, v16, s27
	v_mad_u64_u32 v[20:21], s[6:7], v16, s26, 0
	v_add3_u32 v21, v21, v23, v22
	v_mul_lo_u32 v22, v11, s26
	v_mul_lo_u32 v23, v10, s27
	v_mad_u64_u32 v[26:27], s[6:7], v10, s26, 0
	v_add3_u32 v27, v27, v23, v22
	v_lshlrev_b64 v[22:23], 3, v[20:21]
	v_mov_b32_e32 v20, s17
	v_add_co_u32_e32 v24, vcc, s16, v22
	v_addc_co_u32_e64 v25, s[6:7], v20, v23, vcc
	v_lshlrev_b64 v[20:21], 3, v[26:27]
	v_mov_b32_e32 v22, s17
	v_add_co_u32_e64 v26, s[6:7], s16, v20
	v_addc_co_u32_e64 v27, s[8:9], v22, v21, s[6:7]
	global_load_dwordx2 v[30:31], v[24:25], off
	global_load_dwordx2 v[32:33], v[26:27], off
	s_mov_b64 s[40:41], -1
	s_waitcnt vmcnt(0)
	v_cmp_eq_u64_e64 s[8:9], v[30:31], v[32:33]
	s_and_saveexec_b64 s[14:15], s[8:9]
	s_cbranch_execz .LBB621_91
; %bb.85:
	v_mov_b32_e32 v20, s17
	v_addc_co_u32_e64 v21, s[6:7], v21, v20, s[6:7]
	v_add_co_u32_e64 v20, s[6:7], 8, v26
	v_mov_b32_e32 v22, s17
	v_addc_co_u32_e64 v21, s[6:7], 0, v21, s[6:7]
	v_addc_co_u32_e32 v23, vcc, v23, v22, vcc
	v_add_co_u32_e32 v22, vcc, 8, v24
	s_add_u32 s6, s26, -1
	v_addc_co_u32_e32 v23, vcc, 0, v23, vcc
	s_addc_u32 s7, s27, -1
	s_mov_b64 s[8:9], 0
	s_mov_b64 s[42:43], 0
                                        ; implicit-def: $sgpr40_sgpr41
	s_branch .LBB621_88
.LBB621_86:                             ;   in Loop: Header=BB621_88 Depth=1
	global_load_dwordx2 v[24:25], v[22:23], off
	global_load_dwordx2 v[26:27], v[20:21], off
	v_add_co_u32_e32 v20, vcc, 8, v20
	v_addc_co_u32_e32 v21, vcc, 0, v21, vcc
	v_add_co_u32_e32 v22, vcc, 8, v22
	v_addc_co_u32_e32 v23, vcc, 0, v23, vcc
	s_add_u32 s42, s42, 1
	s_addc_u32 s43, s43, 0
	s_andn2_b64 s[40:41], s[40:41], exec
	s_waitcnt vmcnt(0)
	v_cmp_ne_u64_e32 vcc, v[24:25], v[26:27]
	s_and_b64 s[44:45], vcc, exec
	s_or_b64 s[40:41], s[40:41], s[44:45]
.LBB621_87:                             ;   in Loop: Header=BB621_88 Depth=1
	s_and_b64 s[44:45], exec, s[40:41]
	s_or_b64 s[8:9], s[44:45], s[8:9]
	v_pk_mov_b32 v[24:25], s[42:43], s[42:43] op_sel:[0,1]
	s_andn2_b64 exec, exec, s[8:9]
	s_cbranch_execz .LBB621_90
.LBB621_88:                             ; =>This Inner Loop Header: Depth=1
	s_or_b64 s[40:41], s[40:41], exec
	s_cmp_eq_u64 s[6:7], s[42:43]
	s_cbranch_scc0 .LBB621_86
; %bb.89:                               ;   in Loop: Header=BB621_88 Depth=1
                                        ; implicit-def: $vgpr20_vgpr21
                                        ; implicit-def: $vgpr22_vgpr23
	s_mov_b64 s[42:43], s[26:27]
	s_branch .LBB621_87
.LBB621_90:
	s_or_b64 exec, exec, s[8:9]
	v_cmp_gt_i64_e32 vcc, s[26:27], v[24:25]
	s_orn2_b64 s[40:41], vcc, exec
.LBB621_91:
	s_or_b64 exec, exec, s[14:15]
.LBB621_92:
	s_and_b64 s[14:15], s[40:41], exec
.LBB621_93:
	s_or_b64 exec, exec, s[38:39]
	v_or_b32_e32 v20, 1, v1
	v_cmp_gt_u32_e32 vcc, s48, v20
	s_mov_b64 s[6:7], 0
	s_and_saveexec_b64 s[38:39], vcc
	s_cbranch_execz .LBB621_104
; %bb.94:
	s_and_b64 vcc, exec, s[4:5]
	s_mov_b64 s[42:43], 0
	s_cbranch_vccnz .LBB621_103
; %bb.95:
	s_waitcnt lgkmcnt(0)
	v_mul_lo_u32 v22, v15, s26
	v_mul_lo_u32 v23, v14, s27
	v_mad_u64_u32 v[20:21], s[6:7], v14, s26, 0
	v_add3_u32 v21, v21, v23, v22
	v_mul_lo_u32 v22, v17, s26
	v_mul_lo_u32 v23, v16, s27
	v_mad_u64_u32 v[26:27], s[6:7], v16, s26, 0
	v_add3_u32 v27, v27, v23, v22
	v_lshlrev_b64 v[22:23], 3, v[20:21]
	v_mov_b32_e32 v20, s17
	v_add_co_u32_e32 v24, vcc, s16, v22
	v_addc_co_u32_e64 v25, s[6:7], v20, v23, vcc
	v_lshlrev_b64 v[20:21], 3, v[26:27]
	v_mov_b32_e32 v22, s17
	v_add_co_u32_e64 v26, s[6:7], s16, v20
	v_addc_co_u32_e64 v27, s[8:9], v22, v21, s[6:7]
	global_load_dwordx2 v[30:31], v[24:25], off
	global_load_dwordx2 v[32:33], v[26:27], off
	s_mov_b64 s[42:43], -1
	s_waitcnt vmcnt(0)
	v_cmp_eq_u64_e64 s[8:9], v[30:31], v[32:33]
	s_and_saveexec_b64 s[40:41], s[8:9]
	s_cbranch_execz .LBB621_102
; %bb.96:
	v_mov_b32_e32 v20, s17
	v_addc_co_u32_e64 v21, s[6:7], v21, v20, s[6:7]
	v_add_co_u32_e64 v20, s[6:7], 8, v26
	v_mov_b32_e32 v22, s17
	v_addc_co_u32_e64 v21, s[6:7], 0, v21, s[6:7]
	v_addc_co_u32_e32 v23, vcc, v23, v22, vcc
	v_add_co_u32_e32 v22, vcc, 8, v24
	s_add_u32 s6, s26, -1
	v_addc_co_u32_e32 v23, vcc, 0, v23, vcc
	s_addc_u32 s7, s27, -1
	s_mov_b64 s[8:9], 0
	s_mov_b64 s[44:45], 0
                                        ; implicit-def: $sgpr42_sgpr43
	s_branch .LBB621_99
.LBB621_97:                             ;   in Loop: Header=BB621_99 Depth=1
	global_load_dwordx2 v[24:25], v[22:23], off
	global_load_dwordx2 v[26:27], v[20:21], off
	v_add_co_u32_e32 v20, vcc, 8, v20
	v_addc_co_u32_e32 v21, vcc, 0, v21, vcc
	v_add_co_u32_e32 v22, vcc, 8, v22
	v_addc_co_u32_e32 v23, vcc, 0, v23, vcc
	s_add_u32 s44, s44, 1
	s_addc_u32 s45, s45, 0
	s_andn2_b64 s[42:43], s[42:43], exec
	s_waitcnt vmcnt(0)
	v_cmp_ne_u64_e32 vcc, v[24:25], v[26:27]
	s_and_b64 s[46:47], vcc, exec
	s_or_b64 s[42:43], s[42:43], s[46:47]
.LBB621_98:                             ;   in Loop: Header=BB621_99 Depth=1
	s_and_b64 s[46:47], exec, s[42:43]
	s_or_b64 s[8:9], s[46:47], s[8:9]
	v_pk_mov_b32 v[24:25], s[44:45], s[44:45] op_sel:[0,1]
	s_andn2_b64 exec, exec, s[8:9]
	s_cbranch_execz .LBB621_101
.LBB621_99:                             ; =>This Inner Loop Header: Depth=1
	s_or_b64 s[42:43], s[42:43], exec
	s_cmp_eq_u64 s[6:7], s[44:45]
	s_cbranch_scc0 .LBB621_97
; %bb.100:                              ;   in Loop: Header=BB621_99 Depth=1
                                        ; implicit-def: $vgpr20_vgpr21
                                        ; implicit-def: $vgpr22_vgpr23
	s_mov_b64 s[44:45], s[26:27]
	s_branch .LBB621_98
.LBB621_101:
	s_or_b64 exec, exec, s[8:9]
	v_cmp_gt_i64_e32 vcc, s[26:27], v[24:25]
	s_orn2_b64 s[42:43], vcc, exec
.LBB621_102:
	s_or_b64 exec, exec, s[40:41]
.LBB621_103:
	s_and_b64 s[6:7], s[42:43], exec
.LBB621_104:
	s_or_b64 exec, exec, s[38:39]
	s_waitcnt lgkmcnt(0)
	s_barrier
	s_and_saveexec_b64 s[8:9], s[2:3]
	s_cbranch_execz .LBB621_106
; %bb.105:
	s_waitcnt vmcnt(0)
	v_add_u32_e32 v18, -8, v29
	ds_read_b64 v[18:19], v18
.LBB621_106:
	s_or_b64 exec, exec, s[8:9]
	v_cndmask_b32_e64 v21, 0, 1, s[10:11]
	v_cndmask_b32_e64 v20, 0, 1, s[14:15]
	;; [unrolled: 1-line block ×3, first 2 shown]
	v_lshlrev_b16_e32 v21, 8, v21
	v_lshlrev_b16_e32 v26, 8, v22
	v_or_b32_sdwa v27, v20, v21 dst_sel:WORD_1 dst_unused:UNUSED_PAD src0_sel:DWORD src1_sel:DWORD
	v_cmp_gt_u32_e32 vcc, s48, v1
	s_mov_b64 s[38:39], 0
	s_and_saveexec_b64 s[8:9], vcc
	s_cbranch_execz .LBB621_117
; %bb.107:
	s_and_b64 vcc, exec, s[4:5]
	s_mov_b64 s[14:15], 0
	s_cbranch_vccnz .LBB621_116
; %bb.108:
	s_waitcnt vmcnt(0) lgkmcnt(0)
	v_mul_lo_u32 v20, v19, s26
	v_mul_lo_u32 v21, v18, s27
	v_mad_u64_u32 v[18:19], s[4:5], v18, s26, 0
	v_add3_u32 v19, v19, v21, v20
	v_mul_lo_u32 v20, v15, s26
	v_mul_lo_u32 v21, v14, s27
	v_mad_u64_u32 v[24:25], s[4:5], v14, s26, 0
	v_add3_u32 v25, v25, v21, v20
	v_lshlrev_b64 v[20:21], 3, v[18:19]
	v_mov_b32_e32 v18, s17
	v_add_co_u32_e32 v22, vcc, s16, v20
	v_addc_co_u32_e64 v23, s[4:5], v18, v21, vcc
	v_lshlrev_b64 v[18:19], 3, v[24:25]
	v_mov_b32_e32 v20, s17
	v_add_co_u32_e64 v24, s[4:5], s16, v18
	v_addc_co_u32_e64 v25, s[6:7], v20, v19, s[4:5]
	global_load_dwordx2 v[28:29], v[22:23], off
	global_load_dwordx2 v[30:31], v[24:25], off
	s_mov_b64 s[14:15], -1
	s_waitcnt vmcnt(0)
	v_cmp_eq_u64_e64 s[6:7], v[28:29], v[30:31]
	s_and_saveexec_b64 s[10:11], s[6:7]
	s_cbranch_execz .LBB621_115
; %bb.109:
	v_mov_b32_e32 v18, s17
	v_addc_co_u32_e64 v19, s[4:5], v19, v18, s[4:5]
	v_add_co_u32_e64 v18, s[4:5], 8, v24
	v_mov_b32_e32 v20, s17
	v_addc_co_u32_e64 v19, s[4:5], 0, v19, s[4:5]
	v_addc_co_u32_e32 v21, vcc, v21, v20, vcc
	v_add_co_u32_e32 v20, vcc, 8, v22
	s_add_u32 s4, s26, -1
	v_addc_co_u32_e32 v21, vcc, 0, v21, vcc
	s_addc_u32 s5, s27, -1
	s_mov_b64 s[6:7], 0
                                        ; implicit-def: $sgpr14_sgpr15
	s_branch .LBB621_112
.LBB621_110:                            ;   in Loop: Header=BB621_112 Depth=1
	global_load_dwordx2 v[22:23], v[20:21], off
	global_load_dwordx2 v[24:25], v[18:19], off
	v_add_co_u32_e32 v18, vcc, 8, v18
	v_addc_co_u32_e32 v19, vcc, 0, v19, vcc
	v_add_co_u32_e32 v20, vcc, 8, v20
	v_addc_co_u32_e32 v21, vcc, 0, v21, vcc
	s_add_u32 s38, s38, 1
	s_addc_u32 s39, s39, 0
	s_andn2_b64 s[14:15], s[14:15], exec
	s_waitcnt vmcnt(0)
	v_cmp_ne_u64_e32 vcc, v[22:23], v[24:25]
	s_and_b64 s[40:41], vcc, exec
	s_or_b64 s[14:15], s[14:15], s[40:41]
.LBB621_111:                            ;   in Loop: Header=BB621_112 Depth=1
	s_and_b64 s[40:41], exec, s[14:15]
	s_or_b64 s[6:7], s[40:41], s[6:7]
	v_pk_mov_b32 v[22:23], s[38:39], s[38:39] op_sel:[0,1]
	s_andn2_b64 exec, exec, s[6:7]
	s_cbranch_execz .LBB621_114
.LBB621_112:                            ; =>This Inner Loop Header: Depth=1
	s_or_b64 s[14:15], s[14:15], exec
	s_cmp_eq_u64 s[4:5], s[38:39]
	s_cbranch_scc0 .LBB621_110
; %bb.113:                              ;   in Loop: Header=BB621_112 Depth=1
                                        ; implicit-def: $vgpr18_vgpr19
                                        ; implicit-def: $vgpr20_vgpr21
	s_mov_b64 s[38:39], s[26:27]
	s_branch .LBB621_111
.LBB621_114:
	s_or_b64 exec, exec, s[6:7]
	v_cmp_gt_i64_e32 vcc, s[26:27], v[22:23]
	s_orn2_b64 s[14:15], vcc, exec
.LBB621_115:
	s_or_b64 exec, exec, s[10:11]
.LBB621_116:
	s_and_b64 s[38:39], s[14:15], exec
.LBB621_117:
	s_or_b64 exec, exec, s[8:9]
	v_or_b32_e32 v28, v26, v27
.LBB621_118:
	s_mov_b64 s[14:15], -1
	s_cbranch_execnz .LBB621_207
.LBB621_119:
	v_lshlrev_b32_e32 v29, 3, v0
	s_mov_b64 s[38:39], 0
	v_cmp_gt_i64_e64 s[10:11], s[26:27], 0
	s_and_b64 vcc, exec, s[34:35]
	ds_write_b64 v29, v[12:13]
	s_cbranch_vccz .LBB621_127
; %bb.120:
	v_mul_lo_u32 v20, v11, s26
	v_mul_lo_u32 v21, v10, s27
	s_waitcnt vmcnt(0) lgkmcnt(1)
	v_mad_u64_u32 v[18:19], s[4:5], v10, s26, 0
	v_add3_u32 v19, v19, v21, v20
	v_cndmask_b32_e64 v20, 0, 1, s[10:11]
	v_cmp_ne_u32_e64 s[4:5], 1, v20
	s_andn2_b64 vcc, exec, s[10:11]
	v_lshlrev_b64 v[18:19], 3, v[18:19]
	s_cbranch_vccnz .LBB621_130
; %bb.121:
	v_mul_lo_u32 v22, v13, s26
	v_mul_lo_u32 v23, v12, s27
	v_mad_u64_u32 v[20:21], s[6:7], v12, s26, 0
	v_add3_u32 v21, v21, v23, v22
	v_mov_b32_e32 v23, s17
	v_add_co_u32_e32 v22, vcc, s16, v18
	v_addc_co_u32_e64 v23, s[6:7], v23, v19, vcc
	v_lshlrev_b64 v[20:21], 3, v[20:21]
	v_mov_b32_e32 v25, s17
	v_add_co_u32_e64 v24, s[6:7], s16, v20
	v_addc_co_u32_e64 v25, s[8:9], v25, v21, s[6:7]
	global_load_dwordx2 v[26:27], v[22:23], off
	global_load_dwordx2 v[30:31], v[24:25], off
	s_mov_b64 s[38:39], -1
	s_waitcnt vmcnt(0)
	v_cmp_eq_u64_e64 s[8:9], v[26:27], v[30:31]
	s_and_saveexec_b64 s[40:41], s[8:9]
	s_cbranch_execz .LBB621_129
; %bb.122:
	v_mov_b32_e32 v20, s17
	v_addc_co_u32_e64 v21, s[6:7], v21, v20, s[6:7]
	v_add_co_u32_e64 v20, s[6:7], 8, v24
	v_mov_b32_e32 v23, s17
	v_addc_co_u32_e64 v21, s[6:7], 0, v21, s[6:7]
	v_addc_co_u32_e32 v23, vcc, v19, v23, vcc
	v_add_co_u32_e32 v22, vcc, 8, v22
	s_add_u32 s6, s26, -1
	v_addc_co_u32_e32 v23, vcc, 0, v23, vcc
	s_addc_u32 s7, s27, -1
	s_mov_b64 s[8:9], 0
	s_mov_b64 s[42:43], 0
                                        ; implicit-def: $sgpr38_sgpr39
	s_branch .LBB621_125
.LBB621_123:                            ;   in Loop: Header=BB621_125 Depth=1
	global_load_dwordx2 v[24:25], v[22:23], off
	global_load_dwordx2 v[26:27], v[20:21], off
	v_add_co_u32_e32 v20, vcc, 8, v20
	v_addc_co_u32_e32 v21, vcc, 0, v21, vcc
	v_add_co_u32_e32 v22, vcc, 8, v22
	v_addc_co_u32_e32 v23, vcc, 0, v23, vcc
	s_add_u32 s42, s42, 1
	s_addc_u32 s43, s43, 0
	s_andn2_b64 s[38:39], s[38:39], exec
	s_waitcnt vmcnt(0)
	v_cmp_ne_u64_e32 vcc, v[24:25], v[26:27]
	s_and_b64 s[44:45], vcc, exec
	s_or_b64 s[38:39], s[38:39], s[44:45]
.LBB621_124:                            ;   in Loop: Header=BB621_125 Depth=1
	s_and_b64 s[44:45], exec, s[38:39]
	s_or_b64 s[8:9], s[44:45], s[8:9]
	v_pk_mov_b32 v[24:25], s[42:43], s[42:43] op_sel:[0,1]
	s_andn2_b64 exec, exec, s[8:9]
	s_cbranch_execz .LBB621_128
.LBB621_125:                            ; =>This Inner Loop Header: Depth=1
	s_or_b64 s[38:39], s[38:39], exec
	s_cmp_eq_u64 s[6:7], s[42:43]
	s_cbranch_scc0 .LBB621_123
; %bb.126:                              ;   in Loop: Header=BB621_125 Depth=1
                                        ; implicit-def: $vgpr20_vgpr21
                                        ; implicit-def: $vgpr22_vgpr23
	s_mov_b64 s[42:43], s[26:27]
	s_branch .LBB621_124
.LBB621_127:
                                        ; implicit-def: $sgpr38_sgpr39
                                        ; implicit-def: $vgpr28
	s_cbranch_execnz .LBB621_160
	s_branch .LBB621_207
.LBB621_128:
	s_or_b64 exec, exec, s[8:9]
	v_cmp_gt_i64_e32 vcc, s[26:27], v[24:25]
	s_orn2_b64 s[38:39], vcc, exec
.LBB621_129:
	s_or_b64 exec, exec, s[40:41]
.LBB621_130:
	v_mul_lo_u32 v22, v17, s26
	v_mul_lo_u32 v23, v16, s27
	v_mad_u64_u32 v[20:21], s[6:7], v16, s26, 0
	v_add3_u32 v21, v21, v23, v22
	s_mov_b64 s[40:41], 0
	s_and_b64 vcc, exec, s[4:5]
	v_lshlrev_b64 v[20:21], 3, v[20:21]
	s_mov_b64 s[42:43], 0
	s_cbranch_vccnz .LBB621_139
; %bb.131:
	v_mov_b32_e32 v23, s17
	v_add_co_u32_e32 v22, vcc, s16, v20
	v_addc_co_u32_e64 v23, s[6:7], v23, v21, vcc
	v_mov_b32_e32 v25, s17
	v_add_co_u32_e64 v24, s[6:7], s16, v18
	v_addc_co_u32_e64 v25, s[8:9], v25, v19, s[6:7]
	global_load_dwordx2 v[26:27], v[22:23], off
	global_load_dwordx2 v[30:31], v[24:25], off
	s_mov_b64 s[42:43], -1
	s_waitcnt vmcnt(0)
	v_cmp_eq_u64_e64 s[8:9], v[26:27], v[30:31]
	s_and_saveexec_b64 s[44:45], s[8:9]
	s_cbranch_execz .LBB621_138
; %bb.132:
	v_mov_b32_e32 v18, s17
	v_addc_co_u32_e64 v19, s[6:7], v19, v18, s[6:7]
	v_add_co_u32_e64 v18, s[6:7], 8, v24
	v_mov_b32_e32 v23, s17
	v_addc_co_u32_e64 v19, s[6:7], 0, v19, s[6:7]
	v_addc_co_u32_e32 v23, vcc, v21, v23, vcc
	v_add_co_u32_e32 v22, vcc, 8, v22
	s_add_u32 s6, s26, -1
	v_addc_co_u32_e32 v23, vcc, 0, v23, vcc
	s_addc_u32 s7, s27, -1
	s_mov_b64 s[8:9], 0
	s_mov_b64 s[46:47], 0
                                        ; implicit-def: $sgpr42_sgpr43
	s_branch .LBB621_135
.LBB621_133:                            ;   in Loop: Header=BB621_135 Depth=1
	global_load_dwordx2 v[24:25], v[22:23], off
	global_load_dwordx2 v[26:27], v[18:19], off
	v_add_co_u32_e32 v18, vcc, 8, v18
	v_addc_co_u32_e32 v19, vcc, 0, v19, vcc
	v_add_co_u32_e32 v22, vcc, 8, v22
	v_addc_co_u32_e32 v23, vcc, 0, v23, vcc
	s_add_u32 s46, s46, 1
	s_addc_u32 s47, s47, 0
	s_andn2_b64 s[42:43], s[42:43], exec
	s_waitcnt vmcnt(0)
	v_cmp_ne_u64_e32 vcc, v[24:25], v[26:27]
	s_and_b64 s[50:51], vcc, exec
	s_or_b64 s[42:43], s[42:43], s[50:51]
.LBB621_134:                            ;   in Loop: Header=BB621_135 Depth=1
	s_and_b64 s[50:51], exec, s[42:43]
	s_or_b64 s[8:9], s[50:51], s[8:9]
	v_pk_mov_b32 v[24:25], s[46:47], s[46:47] op_sel:[0,1]
	s_andn2_b64 exec, exec, s[8:9]
	s_cbranch_execz .LBB621_137
.LBB621_135:                            ; =>This Inner Loop Header: Depth=1
	s_or_b64 s[42:43], s[42:43], exec
	s_cmp_eq_u64 s[6:7], s[46:47]
	s_cbranch_scc0 .LBB621_133
; %bb.136:                              ;   in Loop: Header=BB621_135 Depth=1
                                        ; implicit-def: $vgpr18_vgpr19
                                        ; implicit-def: $vgpr22_vgpr23
	s_mov_b64 s[46:47], s[26:27]
	s_branch .LBB621_134
.LBB621_137:
	s_or_b64 exec, exec, s[8:9]
	v_cmp_gt_i64_e32 vcc, s[26:27], v[24:25]
	s_orn2_b64 s[42:43], vcc, exec
.LBB621_138:
	s_or_b64 exec, exec, s[44:45]
.LBB621_139:
	v_mul_lo_u32 v22, v15, s26
	v_mul_lo_u32 v23, v14, s27
	v_mad_u64_u32 v[18:19], s[6:7], v14, s26, 0
	s_and_b64 vcc, exec, s[4:5]
	v_add3_u32 v19, v19, v23, v22
	s_cbranch_vccnz .LBB621_148
; %bb.140:
	v_lshlrev_b64 v[22:23], 3, v[18:19]
	v_mov_b32_e32 v25, s17
	v_add_co_u32_e32 v24, vcc, s16, v22
	v_addc_co_u32_e64 v25, s[6:7], v25, v23, vcc
	v_mov_b32_e32 v22, s17
	v_add_co_u32_e64 v26, s[6:7], s16, v20
	v_addc_co_u32_e64 v27, s[8:9], v22, v21, s[6:7]
	global_load_dwordx2 v[30:31], v[24:25], off
	global_load_dwordx2 v[32:33], v[26:27], off
	s_mov_b64 s[40:41], -1
	s_waitcnt vmcnt(0)
	v_cmp_eq_u64_e64 s[8:9], v[30:31], v[32:33]
	s_and_saveexec_b64 s[44:45], s[8:9]
	s_cbranch_execz .LBB621_147
; %bb.141:
	v_mov_b32_e32 v20, s17
	v_addc_co_u32_e64 v21, s[6:7], v21, v20, s[6:7]
	v_add_co_u32_e64 v20, s[6:7], 8, v26
	v_mov_b32_e32 v22, s17
	v_addc_co_u32_e64 v21, s[6:7], 0, v21, s[6:7]
	v_addc_co_u32_e32 v23, vcc, v23, v22, vcc
	v_add_co_u32_e32 v22, vcc, 8, v24
	s_add_u32 s6, s26, -1
	v_addc_co_u32_e32 v23, vcc, 0, v23, vcc
	s_addc_u32 s7, s27, -1
	s_mov_b64 s[8:9], 0
	s_mov_b64 s[46:47], 0
                                        ; implicit-def: $sgpr40_sgpr41
	s_branch .LBB621_144
.LBB621_142:                            ;   in Loop: Header=BB621_144 Depth=1
	global_load_dwordx2 v[24:25], v[22:23], off
	global_load_dwordx2 v[26:27], v[20:21], off
	v_add_co_u32_e32 v20, vcc, 8, v20
	v_addc_co_u32_e32 v21, vcc, 0, v21, vcc
	v_add_co_u32_e32 v22, vcc, 8, v22
	v_addc_co_u32_e32 v23, vcc, 0, v23, vcc
	s_add_u32 s46, s46, 1
	s_addc_u32 s47, s47, 0
	s_andn2_b64 s[40:41], s[40:41], exec
	s_waitcnt vmcnt(0)
	v_cmp_ne_u64_e32 vcc, v[24:25], v[26:27]
	s_and_b64 s[50:51], vcc, exec
	s_or_b64 s[40:41], s[40:41], s[50:51]
.LBB621_143:                            ;   in Loop: Header=BB621_144 Depth=1
	s_and_b64 s[50:51], exec, s[40:41]
	s_or_b64 s[8:9], s[50:51], s[8:9]
	v_pk_mov_b32 v[24:25], s[46:47], s[46:47] op_sel:[0,1]
	s_andn2_b64 exec, exec, s[8:9]
	s_cbranch_execz .LBB621_146
.LBB621_144:                            ; =>This Inner Loop Header: Depth=1
	s_or_b64 s[40:41], s[40:41], exec
	s_cmp_eq_u64 s[6:7], s[46:47]
	s_cbranch_scc0 .LBB621_142
; %bb.145:                              ;   in Loop: Header=BB621_144 Depth=1
                                        ; implicit-def: $vgpr20_vgpr21
                                        ; implicit-def: $vgpr22_vgpr23
	s_mov_b64 s[46:47], s[26:27]
	s_branch .LBB621_143
.LBB621_146:
	s_or_b64 exec, exec, s[8:9]
	v_cmp_gt_i64_e32 vcc, s[26:27], v[24:25]
	s_orn2_b64 s[40:41], vcc, exec
.LBB621_147:
	s_or_b64 exec, exec, s[44:45]
.LBB621_148:
	v_cndmask_b32_e64 v21, 0, 1, s[38:39]
	v_cndmask_b32_e64 v22, 0, 1, s[40:41]
	;; [unrolled: 1-line block ×3, first 2 shown]
	v_lshlrev_b16_e32 v22, 8, v22
	v_lshlrev_b16_e32 v21, 8, v21
	v_or_b32_e32 v22, 1, v22
	v_or_b32_sdwa v20, v20, v21 dst_sel:WORD_1 dst_unused:UNUSED_PAD src0_sel:DWORD src1_sel:DWORD
	v_or_b32_sdwa v28, v22, v20 dst_sel:DWORD dst_unused:UNUSED_PAD src0_sel:WORD_0 src1_sel:DWORD
	s_waitcnt lgkmcnt(0)
	s_barrier
	s_waitcnt lgkmcnt(0)
                                        ; implicit-def: $sgpr38_sgpr39
	s_and_saveexec_b64 s[6:7], s[2:3]
	s_xor_b64 s[8:9], exec, s[6:7]
	s_cbranch_execz .LBB621_159
; %bb.149:
	s_and_b64 vcc, exec, s[4:5]
	s_mov_b64 s[40:41], 0
	s_cbranch_vccnz .LBB621_158
; %bb.150:
	v_add_u32_e32 v20, -8, v29
	ds_read_b64 v[20:21], v20
	v_mov_b32_e32 v23, s17
	v_lshlrev_b64 v[18:19], 3, v[18:19]
	s_mov_b64 s[40:41], -1
	s_waitcnt lgkmcnt(0)
	v_mul_lo_u32 v22, v21, s26
	v_mul_lo_u32 v24, v20, s27
	v_mad_u64_u32 v[20:21], s[4:5], v20, s26, 0
	v_add3_u32 v21, v21, v24, v22
	v_lshlrev_b64 v[20:21], 3, v[20:21]
	v_add_co_u32_e32 v22, vcc, s16, v20
	v_addc_co_u32_e64 v23, s[4:5], v23, v21, vcc
	v_mov_b32_e32 v20, s17
	v_add_co_u32_e64 v24, s[4:5], s16, v18
	v_addc_co_u32_e64 v25, s[6:7], v20, v19, s[4:5]
	global_load_dwordx2 v[26:27], v[22:23], off
	global_load_dwordx2 v[30:31], v[24:25], off
	s_waitcnt vmcnt(0)
	v_cmp_eq_u64_e64 s[6:7], v[26:27], v[30:31]
	s_and_saveexec_b64 s[38:39], s[6:7]
	s_cbranch_execz .LBB621_157
; %bb.151:
	v_mov_b32_e32 v18, s17
	v_addc_co_u32_e64 v19, s[4:5], v19, v18, s[4:5]
	v_add_co_u32_e64 v18, s[4:5], 8, v24
	v_mov_b32_e32 v20, s17
	v_addc_co_u32_e64 v19, s[4:5], 0, v19, s[4:5]
	v_addc_co_u32_e32 v21, vcc, v21, v20, vcc
	v_add_co_u32_e32 v20, vcc, 8, v22
	s_add_u32 s4, s26, -1
	v_addc_co_u32_e32 v21, vcc, 0, v21, vcc
	s_addc_u32 s5, s27, -1
	s_mov_b64 s[6:7], 0
	s_mov_b64 s[42:43], 0
                                        ; implicit-def: $sgpr40_sgpr41
	s_branch .LBB621_154
.LBB621_152:                            ;   in Loop: Header=BB621_154 Depth=1
	global_load_dwordx2 v[22:23], v[20:21], off
	global_load_dwordx2 v[24:25], v[18:19], off
	v_add_co_u32_e32 v18, vcc, 8, v18
	v_addc_co_u32_e32 v19, vcc, 0, v19, vcc
	v_add_co_u32_e32 v20, vcc, 8, v20
	v_addc_co_u32_e32 v21, vcc, 0, v21, vcc
	s_add_u32 s42, s42, 1
	s_addc_u32 s43, s43, 0
	s_andn2_b64 s[40:41], s[40:41], exec
	s_waitcnt vmcnt(0)
	v_cmp_ne_u64_e32 vcc, v[22:23], v[24:25]
	s_and_b64 s[44:45], vcc, exec
	s_or_b64 s[40:41], s[40:41], s[44:45]
.LBB621_153:                            ;   in Loop: Header=BB621_154 Depth=1
	s_and_b64 s[44:45], exec, s[40:41]
	s_or_b64 s[6:7], s[44:45], s[6:7]
	v_pk_mov_b32 v[22:23], s[42:43], s[42:43] op_sel:[0,1]
	s_andn2_b64 exec, exec, s[6:7]
	s_cbranch_execz .LBB621_156
.LBB621_154:                            ; =>This Inner Loop Header: Depth=1
	s_or_b64 s[40:41], s[40:41], exec
	s_cmp_eq_u64 s[4:5], s[42:43]
	s_cbranch_scc0 .LBB621_152
; %bb.155:                              ;   in Loop: Header=BB621_154 Depth=1
                                        ; implicit-def: $vgpr18_vgpr19
                                        ; implicit-def: $vgpr20_vgpr21
	s_mov_b64 s[42:43], s[26:27]
	s_branch .LBB621_153
.LBB621_156:
	s_or_b64 exec, exec, s[6:7]
	v_cmp_gt_i64_e32 vcc, s[26:27], v[22:23]
	s_orn2_b64 s[40:41], vcc, exec
.LBB621_157:
	s_or_b64 exec, exec, s[38:39]
.LBB621_158:
	s_and_b64 s[38:39], s[40:41], exec
	s_or_b64 s[14:15], s[14:15], exec
.LBB621_159:
	s_or_b64 exec, exec, s[8:9]
	s_branch .LBB621_207
.LBB621_160:
	s_waitcnt vmcnt(0) lgkmcnt(1)
	v_or_b32_e32 v18, 3, v1
	v_cmp_gt_u32_e32 vcc, s48, v18
	s_mov_b64 s[38:39], 0
	s_mov_b64 s[8:9], 0
	s_and_saveexec_b64 s[40:41], vcc
	s_cbranch_execz .LBB621_171
; %bb.161:
	s_andn2_b64 vcc, exec, s[10:11]
	s_mov_b64 s[42:43], 0
	s_cbranch_vccnz .LBB621_170
; %bb.162:
	v_mul_lo_u32 v20, v11, s26
	v_mul_lo_u32 v21, v10, s27
	v_mad_u64_u32 v[18:19], s[4:5], v10, s26, 0
	v_add3_u32 v19, v19, v21, v20
	v_mul_lo_u32 v20, v13, s26
	v_mul_lo_u32 v21, v12, s27
	v_mad_u64_u32 v[24:25], s[4:5], v12, s26, 0
	v_add3_u32 v25, v25, v21, v20
	v_lshlrev_b64 v[20:21], 3, v[18:19]
	v_mov_b32_e32 v18, s17
	v_add_co_u32_e32 v22, vcc, s16, v20
	v_addc_co_u32_e64 v23, s[4:5], v18, v21, vcc
	v_lshlrev_b64 v[18:19], 3, v[24:25]
	v_mov_b32_e32 v20, s17
	v_add_co_u32_e64 v24, s[4:5], s16, v18
	v_addc_co_u32_e64 v25, s[6:7], v20, v19, s[4:5]
	global_load_dwordx2 v[26:27], v[22:23], off
	global_load_dwordx2 v[30:31], v[24:25], off
	s_mov_b64 s[42:43], -1
	s_waitcnt vmcnt(0)
	v_cmp_eq_u64_e64 s[6:7], v[26:27], v[30:31]
	s_and_saveexec_b64 s[8:9], s[6:7]
	s_cbranch_execz .LBB621_169
; %bb.163:
	v_mov_b32_e32 v18, s17
	v_addc_co_u32_e64 v19, s[4:5], v19, v18, s[4:5]
	v_add_co_u32_e64 v18, s[4:5], 8, v24
	v_mov_b32_e32 v20, s17
	v_addc_co_u32_e64 v19, s[4:5], 0, v19, s[4:5]
	v_addc_co_u32_e32 v21, vcc, v21, v20, vcc
	v_add_co_u32_e32 v20, vcc, 8, v22
	s_add_u32 s4, s26, -1
	v_addc_co_u32_e32 v21, vcc, 0, v21, vcc
	s_addc_u32 s5, s27, -1
	s_mov_b64 s[6:7], 0
	s_mov_b64 s[44:45], 0
                                        ; implicit-def: $sgpr42_sgpr43
	s_branch .LBB621_166
.LBB621_164:                            ;   in Loop: Header=BB621_166 Depth=1
	global_load_dwordx2 v[22:23], v[20:21], off
	global_load_dwordx2 v[24:25], v[18:19], off
	v_add_co_u32_e32 v18, vcc, 8, v18
	v_addc_co_u32_e32 v19, vcc, 0, v19, vcc
	v_add_co_u32_e32 v20, vcc, 8, v20
	v_addc_co_u32_e32 v21, vcc, 0, v21, vcc
	s_add_u32 s44, s44, 1
	s_addc_u32 s45, s45, 0
	s_andn2_b64 s[42:43], s[42:43], exec
	s_waitcnt vmcnt(0)
	v_cmp_ne_u64_e32 vcc, v[22:23], v[24:25]
	s_and_b64 s[46:47], vcc, exec
	s_or_b64 s[42:43], s[42:43], s[46:47]
.LBB621_165:                            ;   in Loop: Header=BB621_166 Depth=1
	s_and_b64 s[46:47], exec, s[42:43]
	s_or_b64 s[6:7], s[46:47], s[6:7]
	v_pk_mov_b32 v[22:23], s[44:45], s[44:45] op_sel:[0,1]
	s_andn2_b64 exec, exec, s[6:7]
	s_cbranch_execz .LBB621_168
.LBB621_166:                            ; =>This Inner Loop Header: Depth=1
	s_or_b64 s[42:43], s[42:43], exec
	s_cmp_eq_u64 s[4:5], s[44:45]
	s_cbranch_scc0 .LBB621_164
; %bb.167:                              ;   in Loop: Header=BB621_166 Depth=1
                                        ; implicit-def: $vgpr18_vgpr19
                                        ; implicit-def: $vgpr20_vgpr21
	s_mov_b64 s[44:45], s[26:27]
	s_branch .LBB621_165
.LBB621_168:
	s_or_b64 exec, exec, s[6:7]
	v_cmp_gt_i64_e32 vcc, s[26:27], v[22:23]
	s_orn2_b64 s[42:43], vcc, exec
.LBB621_169:
	s_or_b64 exec, exec, s[8:9]
.LBB621_170:
	s_and_b64 s[8:9], s[42:43], exec
.LBB621_171:
	s_or_b64 exec, exec, s[40:41]
	v_or_b32_e32 v18, 2, v1
	v_cmp_gt_u32_e32 vcc, s48, v18
	s_and_saveexec_b64 s[40:41], vcc
	s_cbranch_execz .LBB621_182
; %bb.172:
	s_andn2_b64 vcc, exec, s[10:11]
	s_mov_b64 s[42:43], 0
	s_cbranch_vccnz .LBB621_181
; %bb.173:
	v_mul_lo_u32 v20, v17, s26
	v_mul_lo_u32 v21, v16, s27
	v_mad_u64_u32 v[18:19], s[4:5], v16, s26, 0
	v_add3_u32 v19, v19, v21, v20
	v_mul_lo_u32 v20, v11, s26
	v_mul_lo_u32 v21, v10, s27
	v_mad_u64_u32 v[24:25], s[4:5], v10, s26, 0
	v_add3_u32 v25, v25, v21, v20
	v_lshlrev_b64 v[20:21], 3, v[18:19]
	v_mov_b32_e32 v18, s17
	v_add_co_u32_e32 v22, vcc, s16, v20
	v_addc_co_u32_e64 v23, s[4:5], v18, v21, vcc
	v_lshlrev_b64 v[18:19], 3, v[24:25]
	v_mov_b32_e32 v20, s17
	v_add_co_u32_e64 v24, s[4:5], s16, v18
	v_addc_co_u32_e64 v25, s[6:7], v20, v19, s[4:5]
	global_load_dwordx2 v[26:27], v[22:23], off
	global_load_dwordx2 v[30:31], v[24:25], off
	s_mov_b64 s[42:43], -1
	s_waitcnt vmcnt(0)
	v_cmp_eq_u64_e64 s[6:7], v[26:27], v[30:31]
	s_and_saveexec_b64 s[38:39], s[6:7]
	s_cbranch_execz .LBB621_180
; %bb.174:
	v_mov_b32_e32 v18, s17
	v_addc_co_u32_e64 v19, s[4:5], v19, v18, s[4:5]
	v_add_co_u32_e64 v18, s[4:5], 8, v24
	v_mov_b32_e32 v20, s17
	v_addc_co_u32_e64 v19, s[4:5], 0, v19, s[4:5]
	v_addc_co_u32_e32 v21, vcc, v21, v20, vcc
	v_add_co_u32_e32 v20, vcc, 8, v22
	s_add_u32 s4, s26, -1
	v_addc_co_u32_e32 v21, vcc, 0, v21, vcc
	s_addc_u32 s5, s27, -1
	s_mov_b64 s[6:7], 0
	s_mov_b64 s[44:45], 0
                                        ; implicit-def: $sgpr42_sgpr43
	s_branch .LBB621_177
.LBB621_175:                            ;   in Loop: Header=BB621_177 Depth=1
	global_load_dwordx2 v[22:23], v[20:21], off
	global_load_dwordx2 v[24:25], v[18:19], off
	v_add_co_u32_e32 v18, vcc, 8, v18
	v_addc_co_u32_e32 v19, vcc, 0, v19, vcc
	v_add_co_u32_e32 v20, vcc, 8, v20
	v_addc_co_u32_e32 v21, vcc, 0, v21, vcc
	s_add_u32 s44, s44, 1
	s_addc_u32 s45, s45, 0
	s_andn2_b64 s[42:43], s[42:43], exec
	s_waitcnt vmcnt(0)
	v_cmp_ne_u64_e32 vcc, v[22:23], v[24:25]
	s_and_b64 s[46:47], vcc, exec
	s_or_b64 s[42:43], s[42:43], s[46:47]
.LBB621_176:                            ;   in Loop: Header=BB621_177 Depth=1
	s_and_b64 s[46:47], exec, s[42:43]
	s_or_b64 s[6:7], s[46:47], s[6:7]
	v_pk_mov_b32 v[22:23], s[44:45], s[44:45] op_sel:[0,1]
	s_andn2_b64 exec, exec, s[6:7]
	s_cbranch_execz .LBB621_179
.LBB621_177:                            ; =>This Inner Loop Header: Depth=1
	s_or_b64 s[42:43], s[42:43], exec
	s_cmp_eq_u64 s[4:5], s[44:45]
	s_cbranch_scc0 .LBB621_175
; %bb.178:                              ;   in Loop: Header=BB621_177 Depth=1
                                        ; implicit-def: $vgpr18_vgpr19
                                        ; implicit-def: $vgpr20_vgpr21
	s_mov_b64 s[44:45], s[26:27]
	s_branch .LBB621_176
.LBB621_179:
	s_or_b64 exec, exec, s[6:7]
	v_cmp_gt_i64_e32 vcc, s[26:27], v[22:23]
	s_orn2_b64 s[42:43], vcc, exec
.LBB621_180:
	s_or_b64 exec, exec, s[38:39]
.LBB621_181:
	s_and_b64 s[38:39], s[42:43], exec
.LBB621_182:
	s_or_b64 exec, exec, s[40:41]
	v_or_b32_e32 v18, 1, v1
	v_cmp_gt_u32_e32 vcc, s48, v18
	s_mov_b64 s[4:5], 0
	s_and_saveexec_b64 s[40:41], vcc
	s_cbranch_execz .LBB621_193
; %bb.183:
	s_andn2_b64 vcc, exec, s[10:11]
	s_mov_b64 s[44:45], 0
	s_cbranch_vccnz .LBB621_192
; %bb.184:
	v_mul_lo_u32 v20, v15, s26
	v_mul_lo_u32 v21, v14, s27
	v_mad_u64_u32 v[18:19], s[4:5], v14, s26, 0
	v_add3_u32 v19, v19, v21, v20
	v_mul_lo_u32 v20, v17, s26
	v_mul_lo_u32 v21, v16, s27
	v_mad_u64_u32 v[24:25], s[4:5], v16, s26, 0
	v_add3_u32 v25, v25, v21, v20
	v_lshlrev_b64 v[20:21], 3, v[18:19]
	v_mov_b32_e32 v18, s17
	v_add_co_u32_e32 v22, vcc, s16, v20
	v_addc_co_u32_e64 v23, s[4:5], v18, v21, vcc
	v_lshlrev_b64 v[18:19], 3, v[24:25]
	v_mov_b32_e32 v20, s17
	v_add_co_u32_e64 v24, s[4:5], s16, v18
	v_addc_co_u32_e64 v25, s[6:7], v20, v19, s[4:5]
	global_load_dwordx2 v[26:27], v[22:23], off
	global_load_dwordx2 v[30:31], v[24:25], off
	s_mov_b64 s[44:45], -1
	s_waitcnt vmcnt(0)
	v_cmp_eq_u64_e64 s[6:7], v[26:27], v[30:31]
	s_and_saveexec_b64 s[42:43], s[6:7]
	s_cbranch_execz .LBB621_191
; %bb.185:
	v_mov_b32_e32 v18, s17
	v_addc_co_u32_e64 v19, s[4:5], v19, v18, s[4:5]
	v_add_co_u32_e64 v18, s[4:5], 8, v24
	v_mov_b32_e32 v20, s17
	v_addc_co_u32_e64 v19, s[4:5], 0, v19, s[4:5]
	v_addc_co_u32_e32 v21, vcc, v21, v20, vcc
	v_add_co_u32_e32 v20, vcc, 8, v22
	s_add_u32 s4, s26, -1
	v_addc_co_u32_e32 v21, vcc, 0, v21, vcc
	s_addc_u32 s5, s27, -1
	s_mov_b64 s[6:7], 0
	s_mov_b64 s[46:47], 0
                                        ; implicit-def: $sgpr44_sgpr45
	s_branch .LBB621_188
.LBB621_186:                            ;   in Loop: Header=BB621_188 Depth=1
	global_load_dwordx2 v[22:23], v[20:21], off
	global_load_dwordx2 v[24:25], v[18:19], off
	v_add_co_u32_e32 v18, vcc, 8, v18
	v_addc_co_u32_e32 v19, vcc, 0, v19, vcc
	v_add_co_u32_e32 v20, vcc, 8, v20
	v_addc_co_u32_e32 v21, vcc, 0, v21, vcc
	s_add_u32 s46, s46, 1
	s_addc_u32 s47, s47, 0
	s_andn2_b64 s[44:45], s[44:45], exec
	s_waitcnt vmcnt(0)
	v_cmp_ne_u64_e32 vcc, v[22:23], v[24:25]
	s_and_b64 s[50:51], vcc, exec
	s_or_b64 s[44:45], s[44:45], s[50:51]
.LBB621_187:                            ;   in Loop: Header=BB621_188 Depth=1
	s_and_b64 s[50:51], exec, s[44:45]
	s_or_b64 s[6:7], s[50:51], s[6:7]
	v_pk_mov_b32 v[22:23], s[46:47], s[46:47] op_sel:[0,1]
	s_andn2_b64 exec, exec, s[6:7]
	s_cbranch_execz .LBB621_190
.LBB621_188:                            ; =>This Inner Loop Header: Depth=1
	s_or_b64 s[44:45], s[44:45], exec
	s_cmp_eq_u64 s[4:5], s[46:47]
	s_cbranch_scc0 .LBB621_186
; %bb.189:                              ;   in Loop: Header=BB621_188 Depth=1
                                        ; implicit-def: $vgpr18_vgpr19
                                        ; implicit-def: $vgpr20_vgpr21
	s_mov_b64 s[46:47], s[26:27]
	s_branch .LBB621_187
.LBB621_190:
	s_or_b64 exec, exec, s[6:7]
	v_cmp_gt_i64_e32 vcc, s[26:27], v[22:23]
	s_orn2_b64 s[44:45], vcc, exec
.LBB621_191:
	s_or_b64 exec, exec, s[42:43]
.LBB621_192:
	s_and_b64 s[4:5], s[44:45], exec
.LBB621_193:
	s_or_b64 exec, exec, s[40:41]
	v_cndmask_b32_e64 v19, 0, 1, s[8:9]
	v_cndmask_b32_e64 v20, 0, 1, s[4:5]
	;; [unrolled: 1-line block ×3, first 2 shown]
	v_lshlrev_b16_e32 v20, 8, v20
	v_lshlrev_b16_e32 v19, 8, v19
	v_or_b32_e32 v20, 1, v20
	v_or_b32_sdwa v18, v18, v19 dst_sel:WORD_1 dst_unused:UNUSED_PAD src0_sel:DWORD src1_sel:DWORD
	v_or_b32_sdwa v28, v20, v18 dst_sel:DWORD dst_unused:UNUSED_PAD src0_sel:WORD_0 src1_sel:DWORD
	s_waitcnt lgkmcnt(0)
	s_barrier
	s_waitcnt lgkmcnt(0)
                                        ; implicit-def: $sgpr38_sgpr39
	s_and_saveexec_b64 s[6:7], s[2:3]
	s_cbranch_execz .LBB621_206
; %bb.194:
	v_cmp_gt_u32_e32 vcc, s48, v1
	s_mov_b64 s[2:3], 0
	s_and_saveexec_b64 s[8:9], vcc
	s_cbranch_execz .LBB621_205
; %bb.195:
	s_andn2_b64 vcc, exec, s[10:11]
	s_mov_b64 s[38:39], 0
	s_cbranch_vccnz .LBB621_204
; %bb.196:
	v_add_u32_e32 v18, -8, v29
	ds_read_b64 v[18:19], v18
	v_mul_lo_u32 v20, v15, s26
	v_mad_u64_u32 v[24:25], s[2:3], v14, s26, 0
	s_mov_b64 s[38:39], -1
	s_waitcnt lgkmcnt(0)
	v_mul_lo_u32 v21, v19, s26
	v_mul_lo_u32 v22, v18, s27
	v_mad_u64_u32 v[18:19], s[2:3], v18, s26, 0
	v_add3_u32 v19, v19, v22, v21
	v_mul_lo_u32 v21, v14, s27
	v_add3_u32 v25, v25, v21, v20
	v_lshlrev_b64 v[20:21], 3, v[18:19]
	v_mov_b32_e32 v18, s17
	v_add_co_u32_e32 v22, vcc, s16, v20
	v_addc_co_u32_e64 v23, s[2:3], v18, v21, vcc
	v_lshlrev_b64 v[18:19], 3, v[24:25]
	v_mov_b32_e32 v20, s17
	v_add_co_u32_e64 v24, s[2:3], s16, v18
	v_addc_co_u32_e64 v25, s[4:5], v20, v19, s[2:3]
	global_load_dwordx2 v[26:27], v[22:23], off
	global_load_dwordx2 v[30:31], v[24:25], off
	s_waitcnt vmcnt(0)
	v_cmp_eq_u64_e64 s[4:5], v[26:27], v[30:31]
	s_and_saveexec_b64 s[10:11], s[4:5]
	s_cbranch_execz .LBB621_203
; %bb.197:
	v_mov_b32_e32 v18, s17
	v_addc_co_u32_e64 v19, s[2:3], v19, v18, s[2:3]
	v_add_co_u32_e64 v18, s[2:3], 8, v24
	v_mov_b32_e32 v20, s17
	v_addc_co_u32_e64 v19, s[2:3], 0, v19, s[2:3]
	v_addc_co_u32_e32 v21, vcc, v21, v20, vcc
	v_add_co_u32_e32 v20, vcc, 8, v22
	s_add_u32 s2, s26, -1
	v_addc_co_u32_e32 v21, vcc, 0, v21, vcc
	s_addc_u32 s3, s27, -1
	s_mov_b64 s[4:5], 0
	s_mov_b64 s[38:39], 0
                                        ; implicit-def: $sgpr16_sgpr17
	s_branch .LBB621_200
.LBB621_198:                            ;   in Loop: Header=BB621_200 Depth=1
	global_load_dwordx2 v[22:23], v[20:21], off
	global_load_dwordx2 v[24:25], v[18:19], off
	v_add_co_u32_e32 v18, vcc, 8, v18
	v_addc_co_u32_e32 v19, vcc, 0, v19, vcc
	v_add_co_u32_e32 v20, vcc, 8, v20
	v_addc_co_u32_e32 v21, vcc, 0, v21, vcc
	s_add_u32 s38, s38, 1
	s_addc_u32 s39, s39, 0
	s_andn2_b64 s[16:17], s[16:17], exec
	s_waitcnt vmcnt(0)
	v_cmp_ne_u64_e32 vcc, v[22:23], v[24:25]
	s_and_b64 s[40:41], vcc, exec
	s_or_b64 s[16:17], s[16:17], s[40:41]
.LBB621_199:                            ;   in Loop: Header=BB621_200 Depth=1
	s_and_b64 s[40:41], exec, s[16:17]
	s_or_b64 s[4:5], s[40:41], s[4:5]
	v_pk_mov_b32 v[22:23], s[38:39], s[38:39] op_sel:[0,1]
	s_andn2_b64 exec, exec, s[4:5]
	s_cbranch_execz .LBB621_202
.LBB621_200:                            ; =>This Inner Loop Header: Depth=1
	s_or_b64 s[16:17], s[16:17], exec
	s_cmp_eq_u64 s[2:3], s[38:39]
	s_cbranch_scc0 .LBB621_198
; %bb.201:                              ;   in Loop: Header=BB621_200 Depth=1
                                        ; implicit-def: $vgpr18_vgpr19
                                        ; implicit-def: $vgpr20_vgpr21
	s_mov_b64 s[38:39], s[26:27]
	s_branch .LBB621_199
.LBB621_202:
	s_or_b64 exec, exec, s[4:5]
	v_cmp_gt_i64_e32 vcc, s[26:27], v[22:23]
	s_orn2_b64 s[38:39], vcc, exec
.LBB621_203:
	s_or_b64 exec, exec, s[10:11]
.LBB621_204:
	s_and_b64 s[2:3], s[38:39], exec
.LBB621_205:
	s_or_b64 exec, exec, s[8:9]
	s_and_b64 s[38:39], s[2:3], exec
	s_or_b64 s[14:15], s[14:15], exec
.LBB621_206:
	s_or_b64 exec, exec, s[6:7]
.LBB621_207:
	s_and_saveexec_b64 s[2:3], s[14:15]
	s_cbranch_execz .LBB621_209
; %bb.208:
	s_waitcnt vmcnt(0) lgkmcnt(0)
	v_and_b32_e32 v18, 0xffffff00, v28
	v_cndmask_b32_e64 v19, 0, 1, s[38:39]
	v_or_b32_e32 v18, v19, v18
	v_and_b32_e32 v18, 0xffff, v18
	s_mov_b32 s4, 0xffff0000
	v_and_or_b32 v28, v28, s4, v18
.LBB621_209:
	s_or_b64 exec, exec, s[2:3]
	s_andn2_b64 vcc, exec, s[12:13]
	s_cbranch_vccnz .LBB621_211
; %bb.210:
	v_cmp_gt_u32_e32 vcc, s48, v1
	s_waitcnt vmcnt(0) lgkmcnt(0)
	v_cndmask_b32_e32 v18, 0, v28, vcc
	v_or_b32_e32 v19, 1, v1
	v_and_b32_e32 v18, 0xff, v18
	v_cmp_gt_u32_e32 vcc, s48, v19
	v_cndmask_b32_e32 v18, v18, v28, vcc
	v_or_b32_e32 v19, 2, v1
	v_and_b32_e32 v18, 0xffff, v18
	v_cmp_gt_u32_e32 vcc, s48, v19
	;; [unrolled: 4-line block ×3, first 2 shown]
	v_cndmask_b32_e32 v28, v18, v28, vcc
.LBB621_211:
	v_bfe_u32 v30, v28, 16, 8
	v_lshrrev_b32_e32 v29, 24, v28
	s_waitcnt vmcnt(0) lgkmcnt(0)
	v_add_u32_sdwa v18, v28, v28 dst_sel:DWORD dst_unused:UNUSED_PAD src0_sel:BYTE_1 src1_sel:BYTE_0
	v_add3_u32 v33, v18, v30, v29
	v_mbcnt_lo_u32_b32 v18, -1, 0
	v_mbcnt_hi_u32_b32 v31, -1, v18
	v_and_b32_e32 v18, 15, v31
	v_cmp_eq_u32_e64 s[14:15], 0, v18
	v_cmp_lt_u32_e64 s[12:13], 1, v18
	v_cmp_lt_u32_e64 s[10:11], 3, v18
	;; [unrolled: 1-line block ×3, first 2 shown]
	v_and_b32_e32 v18, 16, v31
	v_cmp_eq_u32_e64 s[6:7], 0, v18
	v_or_b32_e32 v18, 63, v0
	v_cmp_lt_u32_e64 s[2:3], 31, v31
	v_lshrrev_b32_e32 v32, 6, v0
	v_cmp_eq_u32_e64 s[4:5], v18, v0
	s_and_b64 vcc, exec, s[36:37]
	s_barrier
	s_cbranch_vccz .LBB621_238
; %bb.212:
	v_mov_b32_dpp v18, v33 row_shr:1 row_mask:0xf bank_mask:0xf
	v_cndmask_b32_e64 v18, v18, 0, s[14:15]
	v_add_u32_e32 v18, v18, v33
	s_nop 1
	v_mov_b32_dpp v19, v18 row_shr:2 row_mask:0xf bank_mask:0xf
	v_cndmask_b32_e64 v19, 0, v19, s[12:13]
	v_add_u32_e32 v18, v18, v19
	s_nop 1
	;; [unrolled: 4-line block ×4, first 2 shown]
	v_mov_b32_dpp v19, v18 row_bcast:15 row_mask:0xf bank_mask:0xf
	v_cndmask_b32_e64 v19, v19, 0, s[6:7]
	v_add_u32_e32 v18, v18, v19
	s_nop 1
	v_mov_b32_dpp v19, v18 row_bcast:31 row_mask:0xf bank_mask:0xf
	v_cndmask_b32_e64 v19, 0, v19, s[2:3]
	v_add_u32_e32 v18, v18, v19
	s_and_saveexec_b64 s[16:17], s[4:5]
	s_cbranch_execz .LBB621_214
; %bb.213:
	v_lshlrev_b32_e32 v19, 2, v32
	ds_write_b32 v19, v18
.LBB621_214:
	s_or_b64 exec, exec, s[16:17]
	v_cmp_gt_u32_e32 vcc, 2, v0
	s_waitcnt lgkmcnt(0)
	s_barrier
	s_and_saveexec_b64 s[16:17], vcc
	s_cbranch_execz .LBB621_216
; %bb.215:
	ds_read_b32 v19, v1
	v_bfe_i32 v20, v31, 0, 1
	s_waitcnt lgkmcnt(0)
	v_mov_b32_dpp v21, v19 row_shr:1 row_mask:0xf bank_mask:0xf
	v_and_b32_e32 v20, v20, v21
	v_add_u32_e32 v19, v20, v19
	ds_write_b32 v1, v19
.LBB621_216:
	s_or_b64 exec, exec, s[16:17]
	v_cmp_gt_u32_e32 vcc, 64, v0
	v_cmp_lt_u32_e64 s[16:17], 63, v0
	s_waitcnt lgkmcnt(0)
	s_barrier
	s_waitcnt lgkmcnt(0)
                                        ; implicit-def: $vgpr34
	s_and_saveexec_b64 s[26:27], s[16:17]
	s_cbranch_execz .LBB621_218
; %bb.217:
	v_lshl_add_u32 v19, v32, 2, -4
	ds_read_b32 v34, v19
	s_waitcnt lgkmcnt(0)
	v_add_u32_e32 v18, v34, v18
.LBB621_218:
	s_or_b64 exec, exec, s[26:27]
	v_add_u32_e32 v19, -1, v31
	v_and_b32_e32 v20, 64, v31
	v_cmp_lt_i32_e64 s[16:17], v19, v20
	v_cndmask_b32_e64 v19, v19, v31, s[16:17]
	v_lshlrev_b32_e32 v19, 2, v19
	ds_bpermute_b32 v35, v19, v18
	v_cmp_eq_u32_e64 s[16:17], 0, v31
	s_and_saveexec_b64 s[26:27], vcc
	s_cbranch_execz .LBB621_237
; %bb.219:
	v_mov_b32_e32 v25, 0
	ds_read_b32 v18, v25 offset:4
	s_and_saveexec_b64 s[36:37], s[16:17]
	s_cbranch_execz .LBB621_221
; %bb.220:
	s_add_i32 s38, s33, 64
	s_mov_b32 s39, 0
	s_lshl_b64 s[38:39], s[38:39], 3
	s_add_u32 s38, s18, s38
	v_mov_b32_e32 v19, 1
	s_addc_u32 s39, s19, s39
	s_waitcnt lgkmcnt(0)
	global_store_dwordx2 v25, v[18:19], s[38:39]
.LBB621_221:
	s_or_b64 exec, exec, s[36:37]
	v_xad_u32 v20, v31, -1, s33
	v_add_u32_e32 v24, 64, v20
	v_lshlrev_b64 v[22:23], 3, v[24:25]
	v_mov_b32_e32 v19, s19
	v_add_co_u32_e32 v26, vcc, s18, v22
	v_addc_co_u32_e32 v27, vcc, v19, v23, vcc
	global_load_dwordx2 v[22:23], v[26:27], off glc
	s_waitcnt vmcnt(0)
	v_cmp_eq_u16_sdwa s[38:39], v23, v25 src0_sel:BYTE_0 src1_sel:DWORD
	s_and_saveexec_b64 s[36:37], s[38:39]
	s_cbranch_execz .LBB621_225
; %bb.222:
	s_mov_b64 s[38:39], 0
	v_mov_b32_e32 v19, 0
.LBB621_223:                            ; =>This Inner Loop Header: Depth=1
	global_load_dwordx2 v[22:23], v[26:27], off glc
	s_waitcnt vmcnt(0)
	v_cmp_ne_u16_sdwa s[40:41], v23, v19 src0_sel:BYTE_0 src1_sel:DWORD
	s_or_b64 s[38:39], s[40:41], s[38:39]
	s_andn2_b64 exec, exec, s[38:39]
	s_cbranch_execnz .LBB621_223
; %bb.224:
	s_or_b64 exec, exec, s[38:39]
.LBB621_225:
	s_or_b64 exec, exec, s[36:37]
	v_and_b32_e32 v36, 63, v31
	v_mov_b32_e32 v19, 2
	v_cmp_ne_u32_e32 vcc, 63, v36
	v_cmp_eq_u16_sdwa s[36:37], v23, v19 src0_sel:BYTE_0 src1_sel:DWORD
	v_lshlrev_b64 v[24:25], v31, -1
	v_addc_co_u32_e32 v27, vcc, 0, v31, vcc
	v_and_b32_e32 v21, s37, v25
	v_lshlrev_b32_e32 v37, 2, v27
	v_or_b32_e32 v21, 0x80000000, v21
	ds_bpermute_b32 v27, v37, v22
	v_and_b32_e32 v26, s36, v24
	v_ffbl_b32_e32 v21, v21
	v_add_u32_e32 v21, 32, v21
	v_ffbl_b32_e32 v26, v26
	v_min_u32_e32 v21, v26, v21
	v_cmp_lt_u32_e32 vcc, v36, v21
	s_waitcnt lgkmcnt(0)
	v_cndmask_b32_e32 v26, 0, v27, vcc
	v_cmp_gt_u32_e32 vcc, 62, v36
	v_add_u32_e32 v22, v26, v22
	v_cndmask_b32_e64 v26, 0, 1, vcc
	v_lshlrev_b32_e32 v26, 1, v26
	v_add_lshl_u32 v38, v26, v31, 2
	ds_bpermute_b32 v26, v38, v22
	v_add_u32_e32 v39, 2, v36
	v_cmp_le_u32_e32 vcc, v39, v21
	v_add_u32_e32 v41, 4, v36
	v_add_u32_e32 v43, 8, v36
	s_waitcnt lgkmcnt(0)
	v_cndmask_b32_e32 v26, 0, v26, vcc
	v_cmp_gt_u32_e32 vcc, 60, v36
	v_add_u32_e32 v22, v22, v26
	v_cndmask_b32_e64 v26, 0, 1, vcc
	v_lshlrev_b32_e32 v26, 2, v26
	v_add_lshl_u32 v40, v26, v31, 2
	ds_bpermute_b32 v26, v40, v22
	v_cmp_le_u32_e32 vcc, v41, v21
	v_add_u32_e32 v46, 16, v36
	v_add_u32_e32 v48, 32, v36
	s_waitcnt lgkmcnt(0)
	v_cndmask_b32_e32 v26, 0, v26, vcc
	v_cmp_gt_u32_e32 vcc, 56, v36
	v_add_u32_e32 v22, v22, v26
	v_cndmask_b32_e64 v26, 0, 1, vcc
	v_lshlrev_b32_e32 v26, 3, v26
	v_add_lshl_u32 v42, v26, v31, 2
	ds_bpermute_b32 v26, v42, v22
	v_cmp_le_u32_e32 vcc, v43, v21
	s_waitcnt lgkmcnt(0)
	v_cndmask_b32_e32 v26, 0, v26, vcc
	v_cmp_gt_u32_e32 vcc, 48, v36
	v_add_u32_e32 v22, v22, v26
	v_cndmask_b32_e64 v26, 0, 1, vcc
	v_lshlrev_b32_e32 v26, 4, v26
	v_add_lshl_u32 v45, v26, v31, 2
	ds_bpermute_b32 v26, v45, v22
	v_cmp_le_u32_e32 vcc, v46, v21
	;; [unrolled: 9-line block ×3, first 2 shown]
	s_waitcnt lgkmcnt(0)
	v_cndmask_b32_e32 v21, 0, v26, vcc
	v_add_u32_e32 v22, v22, v21
	v_mov_b32_e32 v21, 0
	s_branch .LBB621_227
.LBB621_226:                            ;   in Loop: Header=BB621_227 Depth=1
	s_or_b64 exec, exec, s[36:37]
	v_cmp_eq_u16_sdwa s[36:37], v23, v19 src0_sel:BYTE_0 src1_sel:DWORD
	v_and_b32_e32 v26, s37, v25
	v_or_b32_e32 v26, 0x80000000, v26
	ds_bpermute_b32 v49, v37, v22
	v_and_b32_e32 v27, s36, v24
	v_ffbl_b32_e32 v26, v26
	v_add_u32_e32 v26, 32, v26
	v_ffbl_b32_e32 v27, v27
	v_min_u32_e32 v26, v27, v26
	v_cmp_lt_u32_e32 vcc, v36, v26
	s_waitcnt lgkmcnt(0)
	v_cndmask_b32_e32 v27, 0, v49, vcc
	v_add_u32_e32 v22, v27, v22
	ds_bpermute_b32 v27, v38, v22
	v_cmp_le_u32_e32 vcc, v39, v26
	v_subrev_u32_e32 v20, 64, v20
	s_waitcnt lgkmcnt(0)
	v_cndmask_b32_e32 v27, 0, v27, vcc
	v_add_u32_e32 v22, v22, v27
	ds_bpermute_b32 v27, v40, v22
	v_cmp_le_u32_e32 vcc, v41, v26
	s_waitcnt lgkmcnt(0)
	v_cndmask_b32_e32 v27, 0, v27, vcc
	v_add_u32_e32 v22, v22, v27
	ds_bpermute_b32 v27, v42, v22
	v_cmp_le_u32_e32 vcc, v43, v26
	;; [unrolled: 5-line block ×4, first 2 shown]
	s_waitcnt lgkmcnt(0)
	v_cndmask_b32_e32 v26, 0, v27, vcc
	v_add3_u32 v22, v26, v44, v22
.LBB621_227:                            ; =>This Loop Header: Depth=1
                                        ;     Child Loop BB621_230 Depth 2
	v_cmp_ne_u16_sdwa s[36:37], v23, v19 src0_sel:BYTE_0 src1_sel:DWORD
	v_cndmask_b32_e64 v23, 0, 1, s[36:37]
	;;#ASMSTART
	;;#ASMEND
	v_cmp_ne_u32_e32 vcc, 0, v23
	s_cmp_lg_u64 vcc, exec
	v_mov_b32_e32 v44, v22
	s_cbranch_scc1 .LBB621_232
; %bb.228:                              ;   in Loop: Header=BB621_227 Depth=1
	v_lshlrev_b64 v[22:23], 3, v[20:21]
	v_mov_b32_e32 v27, s19
	v_add_co_u32_e32 v26, vcc, s18, v22
	v_addc_co_u32_e32 v27, vcc, v27, v23, vcc
	global_load_dwordx2 v[22:23], v[26:27], off glc
	s_waitcnt vmcnt(0)
	v_cmp_eq_u16_sdwa s[38:39], v23, v21 src0_sel:BYTE_0 src1_sel:DWORD
	s_and_saveexec_b64 s[36:37], s[38:39]
	s_cbranch_execz .LBB621_226
; %bb.229:                              ;   in Loop: Header=BB621_227 Depth=1
	s_mov_b64 s[38:39], 0
.LBB621_230:                            ;   Parent Loop BB621_227 Depth=1
                                        ; =>  This Inner Loop Header: Depth=2
	global_load_dwordx2 v[22:23], v[26:27], off glc
	s_waitcnt vmcnt(0)
	v_cmp_ne_u16_sdwa s[40:41], v23, v21 src0_sel:BYTE_0 src1_sel:DWORD
	s_or_b64 s[38:39], s[40:41], s[38:39]
	s_andn2_b64 exec, exec, s[38:39]
	s_cbranch_execnz .LBB621_230
; %bb.231:                              ;   in Loop: Header=BB621_227 Depth=1
	s_or_b64 exec, exec, s[38:39]
	s_branch .LBB621_226
.LBB621_232:                            ;   in Loop: Header=BB621_227 Depth=1
                                        ; implicit-def: $vgpr22
                                        ; implicit-def: $vgpr23
	s_cbranch_execz .LBB621_227
; %bb.233:
	s_and_saveexec_b64 s[36:37], s[16:17]
	s_cbranch_execz .LBB621_235
; %bb.234:
	s_add_i32 s38, s33, 64
	s_mov_b32 s39, 0
	s_lshl_b64 s[38:39], s[38:39], 3
	s_add_u32 s38, s18, s38
	v_add_u32_e32 v20, v44, v18
	v_mov_b32_e32 v21, 2
	s_addc_u32 s39, s19, s39
	v_mov_b32_e32 v19, 0
	s_movk_i32 s33, 0x1000
	global_store_dwordx2 v19, v[20:21], s[38:39]
	v_add_u32_e64 v19, s33, 0
	ds_write2_b32 v19, v18, v44 offset0:32 offset1:34
.LBB621_235:
	s_or_b64 exec, exec, s[36:37]
	s_and_b64 exec, exec, s[0:1]
	s_cbranch_execz .LBB621_237
; %bb.236:
	v_mov_b32_e32 v18, 0
	ds_write_b32 v18, v44 offset:4
.LBB621_237:
	s_or_b64 exec, exec, s[26:27]
	v_mov_b32_e32 v19, 0
	s_waitcnt lgkmcnt(0)
	s_barrier
	ds_read_b32 v19, v19 offset:4
	v_cndmask_b32_e64 v18, v35, v34, s[16:17]
	s_movk_i32 s16, 0x1000
	v_add_u32_e64 v20, s16, 0
	s_waitcnt lgkmcnt(0)
	s_barrier
	ds_read2_b32 v[26:27], v20 offset0:32 offset1:34
	v_cndmask_b32_e64 v18, v18, 0, s[0:1]
	v_add_u32_e32 v24, v19, v18
	v_add_u32_sdwa v22, v24, v28 dst_sel:DWORD dst_unused:UNUSED_PAD src0_sel:DWORD src1_sel:BYTE_0
	v_add_u32_sdwa v20, v22, v28 dst_sel:DWORD dst_unused:UNUSED_PAD src0_sel:DWORD src1_sel:BYTE_1
	v_add_u32_e32 v18, v20, v30
	s_waitcnt lgkmcnt(0)
	v_readfirstlane_b32 s33, v26
	v_readfirstlane_b32 s16, v27
	s_branch .LBB621_248
.LBB621_238:
                                        ; implicit-def: $vgpr18
                                        ; implicit-def: $vgpr20
                                        ; implicit-def: $vgpr22
                                        ; implicit-def: $vgpr24
                                        ; implicit-def: $sgpr16
                                        ; implicit-def: $sgpr33
	s_cbranch_execz .LBB621_248
; %bb.239:
	s_nop 0
	v_mov_b32_dpp v18, v33 row_shr:1 row_mask:0xf bank_mask:0xf
	v_cndmask_b32_e64 v18, v18, 0, s[14:15]
	v_add_u32_e32 v18, v18, v33
	s_nop 1
	v_mov_b32_dpp v19, v18 row_shr:2 row_mask:0xf bank_mask:0xf
	v_cndmask_b32_e64 v19, 0, v19, s[12:13]
	v_add_u32_e32 v18, v18, v19
	;; [unrolled: 4-line block ×4, first 2 shown]
	s_nop 1
	v_mov_b32_dpp v19, v18 row_bcast:15 row_mask:0xf bank_mask:0xf
	v_cndmask_b32_e64 v19, v19, 0, s[6:7]
	v_add_u32_e32 v18, v18, v19
	s_nop 1
	v_mov_b32_dpp v19, v18 row_bcast:31 row_mask:0xf bank_mask:0xf
	v_cndmask_b32_e64 v19, 0, v19, s[2:3]
	v_add_u32_e32 v18, v18, v19
	s_and_saveexec_b64 s[2:3], s[4:5]
	s_cbranch_execz .LBB621_241
; %bb.240:
	v_lshlrev_b32_e32 v19, 2, v32
	ds_write_b32 v19, v18
.LBB621_241:
	s_or_b64 exec, exec, s[2:3]
	v_cmp_gt_u32_e32 vcc, 2, v0
	s_waitcnt lgkmcnt(0)
	s_barrier
	s_and_saveexec_b64 s[2:3], vcc
	s_cbranch_execz .LBB621_243
; %bb.242:
	ds_read_b32 v19, v1
	v_bfe_i32 v20, v31, 0, 1
	s_waitcnt lgkmcnt(0)
	v_mov_b32_dpp v21, v19 row_shr:1 row_mask:0xf bank_mask:0xf
	v_and_b32_e32 v20, v20, v21
	v_add_u32_e32 v19, v20, v19
	ds_write_b32 v1, v19
.LBB621_243:
	s_or_b64 exec, exec, s[2:3]
	v_cmp_lt_u32_e32 vcc, 63, v0
	v_mov_b32_e32 v19, 0
	v_mov_b32_e32 v1, 0
	s_waitcnt lgkmcnt(0)
	s_barrier
	s_and_saveexec_b64 s[2:3], vcc
	s_cbranch_execz .LBB621_245
; %bb.244:
	v_lshl_add_u32 v1, v32, 2, -4
	ds_read_b32 v1, v1
.LBB621_245:
	s_or_b64 exec, exec, s[2:3]
	v_add_u32_e32 v20, -1, v31
	v_and_b32_e32 v21, 64, v31
	v_cmp_lt_i32_e32 vcc, v20, v21
	v_cndmask_b32_e32 v20, v20, v31, vcc
	s_waitcnt lgkmcnt(0)
	v_add_u32_e32 v18, v1, v18
	v_lshlrev_b32_e32 v20, 2, v20
	ds_read_b32 v19, v19 offset:4
	ds_bpermute_b32 v18, v20, v18
	s_waitcnt lgkmcnt(1)
	v_readfirstlane_b32 s33, v19
	s_and_saveexec_b64 s[2:3], s[0:1]
	s_cbranch_execz .LBB621_247
; %bb.246:
	v_mov_b32_e32 v19, 0
	v_mov_b32_e32 v20, s33
	;; [unrolled: 1-line block ×3, first 2 shown]
	global_store_dwordx2 v19, v[20:21], s[18:19] offset:512
.LBB621_247:
	s_or_b64 exec, exec, s[2:3]
	v_cmp_eq_u32_e32 vcc, 0, v31
	s_waitcnt lgkmcnt(0)
	v_cndmask_b32_e32 v1, v18, v1, vcc
	v_cndmask_b32_e64 v24, v1, 0, s[0:1]
	v_add_u32_sdwa v22, v24, v28 dst_sel:DWORD dst_unused:UNUSED_PAD src0_sel:DWORD src1_sel:BYTE_0
	v_add_u32_sdwa v20, v22, v28 dst_sel:DWORD dst_unused:UNUSED_PAD src0_sel:DWORD src1_sel:BYTE_1
	s_mov_b32 s16, 0
	v_add_u32_e32 v18, v20, v30
	s_barrier
.LBB621_248:
	s_cmpk_lt_u32 s33, 0x81
	s_cselect_b64 s[4:5], -1, 0
	v_lshrrev_b32_e32 v1, 8, v28
	s_mov_b64 s[2:3], -1
	s_and_b64 vcc, exec, s[4:5]
	s_cbranch_vccz .LBB621_262
; %bb.249:
	s_add_i32 s6, s16, s33
	v_cmp_gt_u32_e32 vcc, s6, v24
	s_or_b64 s[8:9], s[34:35], vcc
	s_and_saveexec_b64 s[2:3], s[8:9]
	s_cbranch_execz .LBB621_252
; %bb.250:
	v_and_b32_e32 v19, 1, v28
	v_cmp_eq_u32_e32 vcc, 1, v19
	s_and_b64 exec, exec, vcc
	s_cbranch_execz .LBB621_252
; %bb.251:
	s_lshl_b64 s[8:9], s[22:23], 3
	s_add_u32 s7, s28, s8
	v_mov_b32_e32 v25, 0
	s_addc_u32 s8, s29, s9
	v_lshlrev_b64 v[26:27], 3, v[24:25]
	v_mov_b32_e32 v19, s8
	v_add_co_u32_e32 v26, vcc, s7, v26
	v_addc_co_u32_e32 v27, vcc, v19, v27, vcc
	global_store_dwordx2 v[26:27], v[14:15], off
.LBB621_252:
	s_or_b64 exec, exec, s[2:3]
	v_cmp_gt_u32_e32 vcc, s6, v22
	s_or_b64 s[8:9], s[34:35], vcc
	s_and_saveexec_b64 s[2:3], s[8:9]
	s_cbranch_execz .LBB621_255
; %bb.253:
	v_and_b32_e32 v19, 1, v1
	v_cmp_eq_u32_e32 vcc, 1, v19
	s_and_b64 exec, exec, vcc
	s_cbranch_execz .LBB621_255
; %bb.254:
	s_lshl_b64 s[8:9], s[22:23], 3
	s_add_u32 s7, s28, s8
	v_mov_b32_e32 v23, 0
	s_addc_u32 s8, s29, s9
	v_lshlrev_b64 v[26:27], 3, v[22:23]
	v_mov_b32_e32 v19, s8
	v_add_co_u32_e32 v26, vcc, s7, v26
	v_addc_co_u32_e32 v27, vcc, v19, v27, vcc
	global_store_dwordx2 v[26:27], v[16:17], off
.LBB621_255:
	s_or_b64 exec, exec, s[2:3]
	v_cmp_gt_u32_e32 vcc, s6, v20
	s_or_b64 s[8:9], s[34:35], vcc
	s_and_saveexec_b64 s[2:3], s[8:9]
	s_cbranch_execz .LBB621_258
; %bb.256:
	v_mov_b32_e32 v19, 1
	v_and_b32_sdwa v19, v19, v28 dst_sel:DWORD dst_unused:UNUSED_PAD src0_sel:DWORD src1_sel:WORD_1
	v_cmp_eq_u32_e32 vcc, 1, v19
	s_and_b64 exec, exec, vcc
	s_cbranch_execz .LBB621_258
; %bb.257:
	s_lshl_b64 s[8:9], s[22:23], 3
	s_add_u32 s7, s28, s8
	v_mov_b32_e32 v21, 0
	s_addc_u32 s8, s29, s9
	v_lshlrev_b64 v[26:27], 3, v[20:21]
	v_mov_b32_e32 v19, s8
	v_add_co_u32_e32 v26, vcc, s7, v26
	v_addc_co_u32_e32 v27, vcc, v19, v27, vcc
	global_store_dwordx2 v[26:27], v[10:11], off
.LBB621_258:
	s_or_b64 exec, exec, s[2:3]
	v_cmp_gt_u32_e32 vcc, s6, v18
	s_or_b64 s[6:7], s[34:35], vcc
	s_and_saveexec_b64 s[2:3], s[6:7]
	s_cbranch_execz .LBB621_261
; %bb.259:
	v_and_b32_e32 v19, 1, v29
	v_cmp_eq_u32_e32 vcc, 1, v19
	s_and_b64 exec, exec, vcc
	s_cbranch_execz .LBB621_261
; %bb.260:
	s_lshl_b64 s[6:7], s[22:23], 3
	s_add_u32 s6, s28, s6
	v_mov_b32_e32 v19, 0
	s_addc_u32 s7, s29, s7
	v_lshlrev_b64 v[26:27], 3, v[18:19]
	v_mov_b32_e32 v19, s7
	v_add_co_u32_e32 v26, vcc, s6, v26
	v_addc_co_u32_e32 v27, vcc, v19, v27, vcc
	global_store_dwordx2 v[26:27], v[12:13], off
.LBB621_261:
	s_or_b64 exec, exec, s[2:3]
	s_mov_b64 s[2:3], 0
.LBB621_262:
	v_and_b32_e32 v26, 1, v28
	s_and_b64 vcc, exec, s[2:3]
	v_cmp_eq_u32_e64 s[2:3], 1, v26
	s_cbranch_vccz .LBB621_275
; %bb.263:
	s_and_saveexec_b64 s[6:7], s[2:3]
	s_cbranch_execz .LBB621_265
; %bb.264:
	v_subrev_u32_e32 v19, s16, v24
	v_lshlrev_b32_e32 v19, 3, v19
	ds_write_b64 v19, v[14:15]
.LBB621_265:
	s_or_b64 exec, exec, s[6:7]
	v_and_b32_e32 v14, 1, v1
	v_cmp_eq_u32_e32 vcc, 1, v14
	s_and_saveexec_b64 s[2:3], vcc
	s_cbranch_execz .LBB621_267
; %bb.266:
	v_subrev_u32_e32 v14, s16, v22
	v_lshlrev_b32_e32 v14, 3, v14
	ds_write_b64 v14, v[16:17]
.LBB621_267:
	s_or_b64 exec, exec, s[2:3]
	v_mov_b32_e32 v14, 1
	v_and_b32_sdwa v14, v14, v28 dst_sel:DWORD dst_unused:UNUSED_PAD src0_sel:DWORD src1_sel:WORD_1
	v_cmp_eq_u32_e32 vcc, 1, v14
	s_and_saveexec_b64 s[2:3], vcc
	s_cbranch_execz .LBB621_269
; %bb.268:
	v_subrev_u32_e32 v14, s16, v20
	v_lshlrev_b32_e32 v14, 3, v14
	ds_write_b64 v14, v[10:11]
.LBB621_269:
	s_or_b64 exec, exec, s[2:3]
	v_and_b32_e32 v10, 1, v29
	v_cmp_eq_u32_e32 vcc, 1, v10
	s_and_saveexec_b64 s[2:3], vcc
	s_cbranch_execz .LBB621_271
; %bb.270:
	v_subrev_u32_e32 v10, s16, v18
	v_lshlrev_b32_e32 v10, 3, v10
	ds_write_b64 v10, v[12:13]
.LBB621_271:
	s_or_b64 exec, exec, s[2:3]
	v_cmp_gt_u32_e32 vcc, s33, v0
	s_waitcnt lgkmcnt(0)
	s_barrier
	s_and_saveexec_b64 s[2:3], vcc
	s_cbranch_execz .LBB621_274
; %bb.272:
	s_mov_b32 s17, 0
	s_lshl_b64 s[6:7], s[16:17], 3
	s_add_u32 s8, s28, s6
	s_addc_u32 s9, s29, s7
	s_lshl_b64 s[6:7], s[22:23], 3
	s_add_u32 s8, s8, s6
	s_addc_u32 s9, s9, s7
	v_lshlrev_b32_e32 v12, 3, v0
	s_mov_b64 s[6:7], 0
	v_mov_b32_e32 v11, 0
	v_mov_b32_e32 v13, s9
	;; [unrolled: 1-line block ×3, first 2 shown]
.LBB621_273:                            ; =>This Inner Loop Header: Depth=1
	ds_read_b64 v[14:15], v12
	v_lshlrev_b64 v[16:17], 3, v[10:11]
	v_add_co_u32_e32 v16, vcc, s8, v16
	v_add_u32_e32 v10, 0x80, v10
	v_addc_co_u32_e32 v17, vcc, v13, v17, vcc
	v_cmp_le_u32_e32 vcc, s33, v10
	v_add_u32_e32 v12, 0x400, v12
	s_or_b64 s[6:7], vcc, s[6:7]
	s_waitcnt lgkmcnt(0)
	global_store_dwordx2 v[16:17], v[14:15], off
	s_andn2_b64 exec, exec, s[6:7]
	s_cbranch_execnz .LBB621_273
.LBB621_274:
	s_or_b64 exec, exec, s[2:3]
.LBB621_275:
	s_mov_b64 s[2:3], -1
	s_and_b64 vcc, exec, s[4:5]
	s_barrier
	s_cbranch_vccnz .LBB621_279
; %bb.276:
	s_and_b64 vcc, exec, s[2:3]
	s_cbranch_vccnz .LBB621_292
.LBB621_277:
	s_and_b64 s[0:1], s[0:1], s[24:25]
	s_and_saveexec_b64 s[2:3], s[0:1]
	s_cbranch_execnz .LBB621_304
.LBB621_278:
	s_endpgm
.LBB621_279:
	s_add_i32 s4, s16, s33
	v_cmp_gt_u32_e32 vcc, s4, v24
	s_or_b64 s[6:7], s[34:35], vcc
	s_and_saveexec_b64 s[2:3], s[6:7]
	s_cbranch_execz .LBB621_282
; %bb.280:
	v_cmp_eq_u32_e32 vcc, 1, v26
	s_and_b64 exec, exec, vcc
	s_cbranch_execz .LBB621_282
; %bb.281:
	s_lshl_b64 s[6:7], s[22:23], 3
	s_add_u32 s5, s30, s6
	v_mov_b32_e32 v25, 0
	s_addc_u32 s6, s31, s7
	v_lshlrev_b64 v[10:11], 3, v[24:25]
	v_mov_b32_e32 v12, s6
	v_add_co_u32_e32 v10, vcc, s5, v10
	v_addc_co_u32_e32 v11, vcc, v12, v11, vcc
	global_store_dwordx2 v[10:11], v[6:7], off
.LBB621_282:
	s_or_b64 exec, exec, s[2:3]
	v_cmp_gt_u32_e32 vcc, s4, v22
	s_or_b64 s[6:7], s[34:35], vcc
	s_and_saveexec_b64 s[2:3], s[6:7]
	s_cbranch_execz .LBB621_285
; %bb.283:
	v_and_b32_e32 v10, 1, v1
	v_cmp_eq_u32_e32 vcc, 1, v10
	s_and_b64 exec, exec, vcc
	s_cbranch_execz .LBB621_285
; %bb.284:
	s_lshl_b64 s[6:7], s[22:23], 3
	s_add_u32 s5, s30, s6
	v_mov_b32_e32 v23, 0
	s_addc_u32 s6, s31, s7
	v_lshlrev_b64 v[10:11], 3, v[22:23]
	v_mov_b32_e32 v12, s6
	v_add_co_u32_e32 v10, vcc, s5, v10
	v_addc_co_u32_e32 v11, vcc, v12, v11, vcc
	global_store_dwordx2 v[10:11], v[8:9], off
.LBB621_285:
	s_or_b64 exec, exec, s[2:3]
	v_cmp_gt_u32_e32 vcc, s4, v20
	s_or_b64 s[6:7], s[34:35], vcc
	s_and_saveexec_b64 s[2:3], s[6:7]
	s_cbranch_execz .LBB621_288
; %bb.286:
	v_mov_b32_e32 v10, 1
	v_and_b32_sdwa v10, v10, v28 dst_sel:DWORD dst_unused:UNUSED_PAD src0_sel:DWORD src1_sel:WORD_1
	v_cmp_eq_u32_e32 vcc, 1, v10
	s_and_b64 exec, exec, vcc
	s_cbranch_execz .LBB621_288
; %bb.287:
	s_lshl_b64 s[6:7], s[22:23], 3
	s_add_u32 s5, s30, s6
	v_mov_b32_e32 v21, 0
	s_addc_u32 s6, s31, s7
	v_lshlrev_b64 v[10:11], 3, v[20:21]
	v_mov_b32_e32 v12, s6
	v_add_co_u32_e32 v10, vcc, s5, v10
	v_addc_co_u32_e32 v11, vcc, v12, v11, vcc
	global_store_dwordx2 v[10:11], v[2:3], off
.LBB621_288:
	s_or_b64 exec, exec, s[2:3]
	v_cmp_gt_u32_e32 vcc, s4, v18
	s_or_b64 s[4:5], s[34:35], vcc
	s_and_saveexec_b64 s[2:3], s[4:5]
	s_cbranch_execz .LBB621_291
; %bb.289:
	v_and_b32_e32 v10, 1, v29
	v_cmp_eq_u32_e32 vcc, 1, v10
	s_and_b64 exec, exec, vcc
	s_cbranch_execz .LBB621_291
; %bb.290:
	s_lshl_b64 s[4:5], s[22:23], 3
	s_add_u32 s4, s30, s4
	v_mov_b32_e32 v19, 0
	s_addc_u32 s5, s31, s5
	v_lshlrev_b64 v[10:11], 3, v[18:19]
	v_mov_b32_e32 v12, s5
	v_add_co_u32_e32 v10, vcc, s4, v10
	v_addc_co_u32_e32 v11, vcc, v12, v11, vcc
	global_store_dwordx2 v[10:11], v[4:5], off
.LBB621_291:
	s_or_b64 exec, exec, s[2:3]
	s_branch .LBB621_277
.LBB621_292:
	v_cmp_eq_u32_e32 vcc, 1, v26
	s_and_saveexec_b64 s[2:3], vcc
	s_cbranch_execz .LBB621_294
; %bb.293:
	v_subrev_u32_e32 v10, s16, v24
	v_lshlrev_b32_e32 v10, 3, v10
	ds_write_b64 v10, v[6:7]
.LBB621_294:
	s_or_b64 exec, exec, s[2:3]
	v_and_b32_e32 v1, 1, v1
	v_cmp_eq_u32_e32 vcc, 1, v1
	s_and_saveexec_b64 s[2:3], vcc
	s_cbranch_execz .LBB621_296
; %bb.295:
	v_subrev_u32_e32 v1, s16, v22
	v_lshlrev_b32_e32 v1, 3, v1
	ds_write_b64 v1, v[8:9]
.LBB621_296:
	s_or_b64 exec, exec, s[2:3]
	v_mov_b32_e32 v1, 1
	v_and_b32_sdwa v1, v1, v28 dst_sel:DWORD dst_unused:UNUSED_PAD src0_sel:DWORD src1_sel:WORD_1
	v_cmp_eq_u32_e32 vcc, 1, v1
	s_and_saveexec_b64 s[2:3], vcc
	s_cbranch_execz .LBB621_298
; %bb.297:
	v_subrev_u32_e32 v1, s16, v20
	v_lshlrev_b32_e32 v1, 3, v1
	ds_write_b64 v1, v[2:3]
.LBB621_298:
	s_or_b64 exec, exec, s[2:3]
	v_and_b32_e32 v1, 1, v29
	v_cmp_eq_u32_e32 vcc, 1, v1
	s_and_saveexec_b64 s[2:3], vcc
	s_cbranch_execz .LBB621_300
; %bb.299:
	v_subrev_u32_e32 v1, s16, v18
	v_lshlrev_b32_e32 v1, 3, v1
	ds_write_b64 v1, v[4:5]
.LBB621_300:
	s_or_b64 exec, exec, s[2:3]
	v_cmp_gt_u32_e32 vcc, s33, v0
	s_waitcnt lgkmcnt(0)
	s_barrier
	s_and_saveexec_b64 s[2:3], vcc
	s_cbranch_execz .LBB621_303
; %bb.301:
	s_mov_b32 s17, 0
	s_lshl_b64 s[4:5], s[16:17], 3
	s_add_u32 s6, s30, s4
	s_addc_u32 s7, s31, s5
	s_lshl_b64 s[4:5], s[22:23], 3
	s_add_u32 s6, s6, s4
	s_addc_u32 s7, s7, s5
	v_lshlrev_b32_e32 v2, 3, v0
	s_mov_b64 s[4:5], 0
	v_mov_b32_e32 v1, 0
	v_mov_b32_e32 v3, s7
.LBB621_302:                            ; =>This Inner Loop Header: Depth=1
	ds_read_b64 v[4:5], v2
	v_lshlrev_b64 v[6:7], 3, v[0:1]
	v_add_co_u32_e32 v6, vcc, s6, v6
	v_add_u32_e32 v0, 0x80, v0
	v_addc_co_u32_e32 v7, vcc, v3, v7, vcc
	v_cmp_le_u32_e32 vcc, s33, v0
	v_add_u32_e32 v2, 0x400, v2
	s_or_b64 s[4:5], vcc, s[4:5]
	s_waitcnt lgkmcnt(0)
	global_store_dwordx2 v[6:7], v[4:5], off
	s_andn2_b64 exec, exec, s[4:5]
	s_cbranch_execnz .LBB621_302
.LBB621_303:
	s_or_b64 exec, exec, s[2:3]
	s_and_b64 s[0:1], s[0:1], s[24:25]
	s_and_saveexec_b64 s[2:3], s[0:1]
	s_cbranch_execz .LBB621_278
.LBB621_304:
	s_add_u32 s0, s22, s33
	s_addc_u32 s1, s23, 0
	s_add_u32 s0, s0, s16
	s_addc_u32 s1, s1, 0
	v_mov_b32_e32 v2, 0
	v_pk_mov_b32 v[0:1], s[0:1], s[0:1] op_sel:[0,1]
	global_store_dwordx2 v2, v[0:1], s[20:21]
	s_endpgm
	.section	.rodata,"a",@progbits
	.p2align	6, 0x0
	.amdhsa_kernel _ZN7rocprim17ROCPRIM_400000_NS6detail17trampoline_kernelINS0_14default_configENS1_25partition_config_selectorILNS1_17partition_subalgoE9EllbEEZZNS1_14partition_implILS5_9ELb0ES3_jPlS8_PNS0_10empty_typeENS0_5tupleIJS8_S9_EEENSB_IJS8_SA_EEENS0_18inequality_wrapperIZN2at6native12_GLOBAL__N_124unique_dim_cuda_templateIlEESt5tupleIJNSF_6TensorESK_SK_EERKSK_lbbbEUlllE0_EEPmJS9_EEE10hipError_tPvRmT3_T4_T5_T6_T7_T9_mT8_P12ihipStream_tbDpT10_ENKUlT_T0_E_clISt17integral_constantIbLb0EES19_IbLb1EEEEDaS15_S16_EUlS15_E_NS1_11comp_targetILNS1_3genE4ELNS1_11target_archE910ELNS1_3gpuE8ELNS1_3repE0EEENS1_30default_config_static_selectorELNS0_4arch9wavefront6targetE1EEEvT1_
		.amdhsa_group_segment_fixed_size 4236
		.amdhsa_private_segment_fixed_size 0
		.amdhsa_kernarg_size 136
		.amdhsa_user_sgpr_count 6
		.amdhsa_user_sgpr_private_segment_buffer 1
		.amdhsa_user_sgpr_dispatch_ptr 0
		.amdhsa_user_sgpr_queue_ptr 0
		.amdhsa_user_sgpr_kernarg_segment_ptr 1
		.amdhsa_user_sgpr_dispatch_id 0
		.amdhsa_user_sgpr_flat_scratch_init 0
		.amdhsa_user_sgpr_kernarg_preload_length 0
		.amdhsa_user_sgpr_kernarg_preload_offset 0
		.amdhsa_user_sgpr_private_segment_size 0
		.amdhsa_uses_dynamic_stack 0
		.amdhsa_system_sgpr_private_segment_wavefront_offset 0
		.amdhsa_system_sgpr_workgroup_id_x 1
		.amdhsa_system_sgpr_workgroup_id_y 0
		.amdhsa_system_sgpr_workgroup_id_z 0
		.amdhsa_system_sgpr_workgroup_info 0
		.amdhsa_system_vgpr_workitem_id 0
		.amdhsa_next_free_vgpr 50
		.amdhsa_next_free_sgpr 52
		.amdhsa_accum_offset 52
		.amdhsa_reserve_vcc 1
		.amdhsa_reserve_flat_scratch 0
		.amdhsa_float_round_mode_32 0
		.amdhsa_float_round_mode_16_64 0
		.amdhsa_float_denorm_mode_32 3
		.amdhsa_float_denorm_mode_16_64 3
		.amdhsa_dx10_clamp 1
		.amdhsa_ieee_mode 1
		.amdhsa_fp16_overflow 0
		.amdhsa_tg_split 0
		.amdhsa_exception_fp_ieee_invalid_op 0
		.amdhsa_exception_fp_denorm_src 0
		.amdhsa_exception_fp_ieee_div_zero 0
		.amdhsa_exception_fp_ieee_overflow 0
		.amdhsa_exception_fp_ieee_underflow 0
		.amdhsa_exception_fp_ieee_inexact 0
		.amdhsa_exception_int_div_zero 0
	.end_amdhsa_kernel
	.section	.text._ZN7rocprim17ROCPRIM_400000_NS6detail17trampoline_kernelINS0_14default_configENS1_25partition_config_selectorILNS1_17partition_subalgoE9EllbEEZZNS1_14partition_implILS5_9ELb0ES3_jPlS8_PNS0_10empty_typeENS0_5tupleIJS8_S9_EEENSB_IJS8_SA_EEENS0_18inequality_wrapperIZN2at6native12_GLOBAL__N_124unique_dim_cuda_templateIlEESt5tupleIJNSF_6TensorESK_SK_EERKSK_lbbbEUlllE0_EEPmJS9_EEE10hipError_tPvRmT3_T4_T5_T6_T7_T9_mT8_P12ihipStream_tbDpT10_ENKUlT_T0_E_clISt17integral_constantIbLb0EES19_IbLb1EEEEDaS15_S16_EUlS15_E_NS1_11comp_targetILNS1_3genE4ELNS1_11target_archE910ELNS1_3gpuE8ELNS1_3repE0EEENS1_30default_config_static_selectorELNS0_4arch9wavefront6targetE1EEEvT1_,"axG",@progbits,_ZN7rocprim17ROCPRIM_400000_NS6detail17trampoline_kernelINS0_14default_configENS1_25partition_config_selectorILNS1_17partition_subalgoE9EllbEEZZNS1_14partition_implILS5_9ELb0ES3_jPlS8_PNS0_10empty_typeENS0_5tupleIJS8_S9_EEENSB_IJS8_SA_EEENS0_18inequality_wrapperIZN2at6native12_GLOBAL__N_124unique_dim_cuda_templateIlEESt5tupleIJNSF_6TensorESK_SK_EERKSK_lbbbEUlllE0_EEPmJS9_EEE10hipError_tPvRmT3_T4_T5_T6_T7_T9_mT8_P12ihipStream_tbDpT10_ENKUlT_T0_E_clISt17integral_constantIbLb0EES19_IbLb1EEEEDaS15_S16_EUlS15_E_NS1_11comp_targetILNS1_3genE4ELNS1_11target_archE910ELNS1_3gpuE8ELNS1_3repE0EEENS1_30default_config_static_selectorELNS0_4arch9wavefront6targetE1EEEvT1_,comdat
.Lfunc_end621:
	.size	_ZN7rocprim17ROCPRIM_400000_NS6detail17trampoline_kernelINS0_14default_configENS1_25partition_config_selectorILNS1_17partition_subalgoE9EllbEEZZNS1_14partition_implILS5_9ELb0ES3_jPlS8_PNS0_10empty_typeENS0_5tupleIJS8_S9_EEENSB_IJS8_SA_EEENS0_18inequality_wrapperIZN2at6native12_GLOBAL__N_124unique_dim_cuda_templateIlEESt5tupleIJNSF_6TensorESK_SK_EERKSK_lbbbEUlllE0_EEPmJS9_EEE10hipError_tPvRmT3_T4_T5_T6_T7_T9_mT8_P12ihipStream_tbDpT10_ENKUlT_T0_E_clISt17integral_constantIbLb0EES19_IbLb1EEEEDaS15_S16_EUlS15_E_NS1_11comp_targetILNS1_3genE4ELNS1_11target_archE910ELNS1_3gpuE8ELNS1_3repE0EEENS1_30default_config_static_selectorELNS0_4arch9wavefront6targetE1EEEvT1_, .Lfunc_end621-_ZN7rocprim17ROCPRIM_400000_NS6detail17trampoline_kernelINS0_14default_configENS1_25partition_config_selectorILNS1_17partition_subalgoE9EllbEEZZNS1_14partition_implILS5_9ELb0ES3_jPlS8_PNS0_10empty_typeENS0_5tupleIJS8_S9_EEENSB_IJS8_SA_EEENS0_18inequality_wrapperIZN2at6native12_GLOBAL__N_124unique_dim_cuda_templateIlEESt5tupleIJNSF_6TensorESK_SK_EERKSK_lbbbEUlllE0_EEPmJS9_EEE10hipError_tPvRmT3_T4_T5_T6_T7_T9_mT8_P12ihipStream_tbDpT10_ENKUlT_T0_E_clISt17integral_constantIbLb0EES19_IbLb1EEEEDaS15_S16_EUlS15_E_NS1_11comp_targetILNS1_3genE4ELNS1_11target_archE910ELNS1_3gpuE8ELNS1_3repE0EEENS1_30default_config_static_selectorELNS0_4arch9wavefront6targetE1EEEvT1_
                                        ; -- End function
	.section	.AMDGPU.csdata,"",@progbits
; Kernel info:
; codeLenInByte = 10900
; NumSgprs: 56
; NumVgprs: 50
; NumAgprs: 0
; TotalNumVgprs: 50
; ScratchSize: 0
; MemoryBound: 1
; FloatMode: 240
; IeeeMode: 1
; LDSByteSize: 4236 bytes/workgroup (compile time only)
; SGPRBlocks: 6
; VGPRBlocks: 6
; NumSGPRsForWavesPerEU: 56
; NumVGPRsForWavesPerEU: 50
; AccumOffset: 52
; Occupancy: 8
; WaveLimiterHint : 1
; COMPUTE_PGM_RSRC2:SCRATCH_EN: 0
; COMPUTE_PGM_RSRC2:USER_SGPR: 6
; COMPUTE_PGM_RSRC2:TRAP_HANDLER: 0
; COMPUTE_PGM_RSRC2:TGID_X_EN: 1
; COMPUTE_PGM_RSRC2:TGID_Y_EN: 0
; COMPUTE_PGM_RSRC2:TGID_Z_EN: 0
; COMPUTE_PGM_RSRC2:TIDIG_COMP_CNT: 0
; COMPUTE_PGM_RSRC3_GFX90A:ACCUM_OFFSET: 12
; COMPUTE_PGM_RSRC3_GFX90A:TG_SPLIT: 0
	.section	.text._ZN7rocprim17ROCPRIM_400000_NS6detail17trampoline_kernelINS0_14default_configENS1_25partition_config_selectorILNS1_17partition_subalgoE9EllbEEZZNS1_14partition_implILS5_9ELb0ES3_jPlS8_PNS0_10empty_typeENS0_5tupleIJS8_S9_EEENSB_IJS8_SA_EEENS0_18inequality_wrapperIZN2at6native12_GLOBAL__N_124unique_dim_cuda_templateIlEESt5tupleIJNSF_6TensorESK_SK_EERKSK_lbbbEUlllE0_EEPmJS9_EEE10hipError_tPvRmT3_T4_T5_T6_T7_T9_mT8_P12ihipStream_tbDpT10_ENKUlT_T0_E_clISt17integral_constantIbLb0EES19_IbLb1EEEEDaS15_S16_EUlS15_E_NS1_11comp_targetILNS1_3genE3ELNS1_11target_archE908ELNS1_3gpuE7ELNS1_3repE0EEENS1_30default_config_static_selectorELNS0_4arch9wavefront6targetE1EEEvT1_,"axG",@progbits,_ZN7rocprim17ROCPRIM_400000_NS6detail17trampoline_kernelINS0_14default_configENS1_25partition_config_selectorILNS1_17partition_subalgoE9EllbEEZZNS1_14partition_implILS5_9ELb0ES3_jPlS8_PNS0_10empty_typeENS0_5tupleIJS8_S9_EEENSB_IJS8_SA_EEENS0_18inequality_wrapperIZN2at6native12_GLOBAL__N_124unique_dim_cuda_templateIlEESt5tupleIJNSF_6TensorESK_SK_EERKSK_lbbbEUlllE0_EEPmJS9_EEE10hipError_tPvRmT3_T4_T5_T6_T7_T9_mT8_P12ihipStream_tbDpT10_ENKUlT_T0_E_clISt17integral_constantIbLb0EES19_IbLb1EEEEDaS15_S16_EUlS15_E_NS1_11comp_targetILNS1_3genE3ELNS1_11target_archE908ELNS1_3gpuE7ELNS1_3repE0EEENS1_30default_config_static_selectorELNS0_4arch9wavefront6targetE1EEEvT1_,comdat
	.globl	_ZN7rocprim17ROCPRIM_400000_NS6detail17trampoline_kernelINS0_14default_configENS1_25partition_config_selectorILNS1_17partition_subalgoE9EllbEEZZNS1_14partition_implILS5_9ELb0ES3_jPlS8_PNS0_10empty_typeENS0_5tupleIJS8_S9_EEENSB_IJS8_SA_EEENS0_18inequality_wrapperIZN2at6native12_GLOBAL__N_124unique_dim_cuda_templateIlEESt5tupleIJNSF_6TensorESK_SK_EERKSK_lbbbEUlllE0_EEPmJS9_EEE10hipError_tPvRmT3_T4_T5_T6_T7_T9_mT8_P12ihipStream_tbDpT10_ENKUlT_T0_E_clISt17integral_constantIbLb0EES19_IbLb1EEEEDaS15_S16_EUlS15_E_NS1_11comp_targetILNS1_3genE3ELNS1_11target_archE908ELNS1_3gpuE7ELNS1_3repE0EEENS1_30default_config_static_selectorELNS0_4arch9wavefront6targetE1EEEvT1_ ; -- Begin function _ZN7rocprim17ROCPRIM_400000_NS6detail17trampoline_kernelINS0_14default_configENS1_25partition_config_selectorILNS1_17partition_subalgoE9EllbEEZZNS1_14partition_implILS5_9ELb0ES3_jPlS8_PNS0_10empty_typeENS0_5tupleIJS8_S9_EEENSB_IJS8_SA_EEENS0_18inequality_wrapperIZN2at6native12_GLOBAL__N_124unique_dim_cuda_templateIlEESt5tupleIJNSF_6TensorESK_SK_EERKSK_lbbbEUlllE0_EEPmJS9_EEE10hipError_tPvRmT3_T4_T5_T6_T7_T9_mT8_P12ihipStream_tbDpT10_ENKUlT_T0_E_clISt17integral_constantIbLb0EES19_IbLb1EEEEDaS15_S16_EUlS15_E_NS1_11comp_targetILNS1_3genE3ELNS1_11target_archE908ELNS1_3gpuE7ELNS1_3repE0EEENS1_30default_config_static_selectorELNS0_4arch9wavefront6targetE1EEEvT1_
	.p2align	8
	.type	_ZN7rocprim17ROCPRIM_400000_NS6detail17trampoline_kernelINS0_14default_configENS1_25partition_config_selectorILNS1_17partition_subalgoE9EllbEEZZNS1_14partition_implILS5_9ELb0ES3_jPlS8_PNS0_10empty_typeENS0_5tupleIJS8_S9_EEENSB_IJS8_SA_EEENS0_18inequality_wrapperIZN2at6native12_GLOBAL__N_124unique_dim_cuda_templateIlEESt5tupleIJNSF_6TensorESK_SK_EERKSK_lbbbEUlllE0_EEPmJS9_EEE10hipError_tPvRmT3_T4_T5_T6_T7_T9_mT8_P12ihipStream_tbDpT10_ENKUlT_T0_E_clISt17integral_constantIbLb0EES19_IbLb1EEEEDaS15_S16_EUlS15_E_NS1_11comp_targetILNS1_3genE3ELNS1_11target_archE908ELNS1_3gpuE7ELNS1_3repE0EEENS1_30default_config_static_selectorELNS0_4arch9wavefront6targetE1EEEvT1_,@function
_ZN7rocprim17ROCPRIM_400000_NS6detail17trampoline_kernelINS0_14default_configENS1_25partition_config_selectorILNS1_17partition_subalgoE9EllbEEZZNS1_14partition_implILS5_9ELb0ES3_jPlS8_PNS0_10empty_typeENS0_5tupleIJS8_S9_EEENSB_IJS8_SA_EEENS0_18inequality_wrapperIZN2at6native12_GLOBAL__N_124unique_dim_cuda_templateIlEESt5tupleIJNSF_6TensorESK_SK_EERKSK_lbbbEUlllE0_EEPmJS9_EEE10hipError_tPvRmT3_T4_T5_T6_T7_T9_mT8_P12ihipStream_tbDpT10_ENKUlT_T0_E_clISt17integral_constantIbLb0EES19_IbLb1EEEEDaS15_S16_EUlS15_E_NS1_11comp_targetILNS1_3genE3ELNS1_11target_archE908ELNS1_3gpuE7ELNS1_3repE0EEENS1_30default_config_static_selectorELNS0_4arch9wavefront6targetE1EEEvT1_: ; @_ZN7rocprim17ROCPRIM_400000_NS6detail17trampoline_kernelINS0_14default_configENS1_25partition_config_selectorILNS1_17partition_subalgoE9EllbEEZZNS1_14partition_implILS5_9ELb0ES3_jPlS8_PNS0_10empty_typeENS0_5tupleIJS8_S9_EEENSB_IJS8_SA_EEENS0_18inequality_wrapperIZN2at6native12_GLOBAL__N_124unique_dim_cuda_templateIlEESt5tupleIJNSF_6TensorESK_SK_EERKSK_lbbbEUlllE0_EEPmJS9_EEE10hipError_tPvRmT3_T4_T5_T6_T7_T9_mT8_P12ihipStream_tbDpT10_ENKUlT_T0_E_clISt17integral_constantIbLb0EES19_IbLb1EEEEDaS15_S16_EUlS15_E_NS1_11comp_targetILNS1_3genE3ELNS1_11target_archE908ELNS1_3gpuE7ELNS1_3repE0EEENS1_30default_config_static_selectorELNS0_4arch9wavefront6targetE1EEEvT1_
; %bb.0:
	.section	.rodata,"a",@progbits
	.p2align	6, 0x0
	.amdhsa_kernel _ZN7rocprim17ROCPRIM_400000_NS6detail17trampoline_kernelINS0_14default_configENS1_25partition_config_selectorILNS1_17partition_subalgoE9EllbEEZZNS1_14partition_implILS5_9ELb0ES3_jPlS8_PNS0_10empty_typeENS0_5tupleIJS8_S9_EEENSB_IJS8_SA_EEENS0_18inequality_wrapperIZN2at6native12_GLOBAL__N_124unique_dim_cuda_templateIlEESt5tupleIJNSF_6TensorESK_SK_EERKSK_lbbbEUlllE0_EEPmJS9_EEE10hipError_tPvRmT3_T4_T5_T6_T7_T9_mT8_P12ihipStream_tbDpT10_ENKUlT_T0_E_clISt17integral_constantIbLb0EES19_IbLb1EEEEDaS15_S16_EUlS15_E_NS1_11comp_targetILNS1_3genE3ELNS1_11target_archE908ELNS1_3gpuE7ELNS1_3repE0EEENS1_30default_config_static_selectorELNS0_4arch9wavefront6targetE1EEEvT1_
		.amdhsa_group_segment_fixed_size 0
		.amdhsa_private_segment_fixed_size 0
		.amdhsa_kernarg_size 136
		.amdhsa_user_sgpr_count 6
		.amdhsa_user_sgpr_private_segment_buffer 1
		.amdhsa_user_sgpr_dispatch_ptr 0
		.amdhsa_user_sgpr_queue_ptr 0
		.amdhsa_user_sgpr_kernarg_segment_ptr 1
		.amdhsa_user_sgpr_dispatch_id 0
		.amdhsa_user_sgpr_flat_scratch_init 0
		.amdhsa_user_sgpr_kernarg_preload_length 0
		.amdhsa_user_sgpr_kernarg_preload_offset 0
		.amdhsa_user_sgpr_private_segment_size 0
		.amdhsa_uses_dynamic_stack 0
		.amdhsa_system_sgpr_private_segment_wavefront_offset 0
		.amdhsa_system_sgpr_workgroup_id_x 1
		.amdhsa_system_sgpr_workgroup_id_y 0
		.amdhsa_system_sgpr_workgroup_id_z 0
		.amdhsa_system_sgpr_workgroup_info 0
		.amdhsa_system_vgpr_workitem_id 0
		.amdhsa_next_free_vgpr 1
		.amdhsa_next_free_sgpr 0
		.amdhsa_accum_offset 4
		.amdhsa_reserve_vcc 0
		.amdhsa_reserve_flat_scratch 0
		.amdhsa_float_round_mode_32 0
		.amdhsa_float_round_mode_16_64 0
		.amdhsa_float_denorm_mode_32 3
		.amdhsa_float_denorm_mode_16_64 3
		.amdhsa_dx10_clamp 1
		.amdhsa_ieee_mode 1
		.amdhsa_fp16_overflow 0
		.amdhsa_tg_split 0
		.amdhsa_exception_fp_ieee_invalid_op 0
		.amdhsa_exception_fp_denorm_src 0
		.amdhsa_exception_fp_ieee_div_zero 0
		.amdhsa_exception_fp_ieee_overflow 0
		.amdhsa_exception_fp_ieee_underflow 0
		.amdhsa_exception_fp_ieee_inexact 0
		.amdhsa_exception_int_div_zero 0
	.end_amdhsa_kernel
	.section	.text._ZN7rocprim17ROCPRIM_400000_NS6detail17trampoline_kernelINS0_14default_configENS1_25partition_config_selectorILNS1_17partition_subalgoE9EllbEEZZNS1_14partition_implILS5_9ELb0ES3_jPlS8_PNS0_10empty_typeENS0_5tupleIJS8_S9_EEENSB_IJS8_SA_EEENS0_18inequality_wrapperIZN2at6native12_GLOBAL__N_124unique_dim_cuda_templateIlEESt5tupleIJNSF_6TensorESK_SK_EERKSK_lbbbEUlllE0_EEPmJS9_EEE10hipError_tPvRmT3_T4_T5_T6_T7_T9_mT8_P12ihipStream_tbDpT10_ENKUlT_T0_E_clISt17integral_constantIbLb0EES19_IbLb1EEEEDaS15_S16_EUlS15_E_NS1_11comp_targetILNS1_3genE3ELNS1_11target_archE908ELNS1_3gpuE7ELNS1_3repE0EEENS1_30default_config_static_selectorELNS0_4arch9wavefront6targetE1EEEvT1_,"axG",@progbits,_ZN7rocprim17ROCPRIM_400000_NS6detail17trampoline_kernelINS0_14default_configENS1_25partition_config_selectorILNS1_17partition_subalgoE9EllbEEZZNS1_14partition_implILS5_9ELb0ES3_jPlS8_PNS0_10empty_typeENS0_5tupleIJS8_S9_EEENSB_IJS8_SA_EEENS0_18inequality_wrapperIZN2at6native12_GLOBAL__N_124unique_dim_cuda_templateIlEESt5tupleIJNSF_6TensorESK_SK_EERKSK_lbbbEUlllE0_EEPmJS9_EEE10hipError_tPvRmT3_T4_T5_T6_T7_T9_mT8_P12ihipStream_tbDpT10_ENKUlT_T0_E_clISt17integral_constantIbLb0EES19_IbLb1EEEEDaS15_S16_EUlS15_E_NS1_11comp_targetILNS1_3genE3ELNS1_11target_archE908ELNS1_3gpuE7ELNS1_3repE0EEENS1_30default_config_static_selectorELNS0_4arch9wavefront6targetE1EEEvT1_,comdat
.Lfunc_end622:
	.size	_ZN7rocprim17ROCPRIM_400000_NS6detail17trampoline_kernelINS0_14default_configENS1_25partition_config_selectorILNS1_17partition_subalgoE9EllbEEZZNS1_14partition_implILS5_9ELb0ES3_jPlS8_PNS0_10empty_typeENS0_5tupleIJS8_S9_EEENSB_IJS8_SA_EEENS0_18inequality_wrapperIZN2at6native12_GLOBAL__N_124unique_dim_cuda_templateIlEESt5tupleIJNSF_6TensorESK_SK_EERKSK_lbbbEUlllE0_EEPmJS9_EEE10hipError_tPvRmT3_T4_T5_T6_T7_T9_mT8_P12ihipStream_tbDpT10_ENKUlT_T0_E_clISt17integral_constantIbLb0EES19_IbLb1EEEEDaS15_S16_EUlS15_E_NS1_11comp_targetILNS1_3genE3ELNS1_11target_archE908ELNS1_3gpuE7ELNS1_3repE0EEENS1_30default_config_static_selectorELNS0_4arch9wavefront6targetE1EEEvT1_, .Lfunc_end622-_ZN7rocprim17ROCPRIM_400000_NS6detail17trampoline_kernelINS0_14default_configENS1_25partition_config_selectorILNS1_17partition_subalgoE9EllbEEZZNS1_14partition_implILS5_9ELb0ES3_jPlS8_PNS0_10empty_typeENS0_5tupleIJS8_S9_EEENSB_IJS8_SA_EEENS0_18inequality_wrapperIZN2at6native12_GLOBAL__N_124unique_dim_cuda_templateIlEESt5tupleIJNSF_6TensorESK_SK_EERKSK_lbbbEUlllE0_EEPmJS9_EEE10hipError_tPvRmT3_T4_T5_T6_T7_T9_mT8_P12ihipStream_tbDpT10_ENKUlT_T0_E_clISt17integral_constantIbLb0EES19_IbLb1EEEEDaS15_S16_EUlS15_E_NS1_11comp_targetILNS1_3genE3ELNS1_11target_archE908ELNS1_3gpuE7ELNS1_3repE0EEENS1_30default_config_static_selectorELNS0_4arch9wavefront6targetE1EEEvT1_
                                        ; -- End function
	.section	.AMDGPU.csdata,"",@progbits
; Kernel info:
; codeLenInByte = 0
; NumSgprs: 4
; NumVgprs: 0
; NumAgprs: 0
; TotalNumVgprs: 0
; ScratchSize: 0
; MemoryBound: 0
; FloatMode: 240
; IeeeMode: 1
; LDSByteSize: 0 bytes/workgroup (compile time only)
; SGPRBlocks: 0
; VGPRBlocks: 0
; NumSGPRsForWavesPerEU: 4
; NumVGPRsForWavesPerEU: 1
; AccumOffset: 4
; Occupancy: 8
; WaveLimiterHint : 0
; COMPUTE_PGM_RSRC2:SCRATCH_EN: 0
; COMPUTE_PGM_RSRC2:USER_SGPR: 6
; COMPUTE_PGM_RSRC2:TRAP_HANDLER: 0
; COMPUTE_PGM_RSRC2:TGID_X_EN: 1
; COMPUTE_PGM_RSRC2:TGID_Y_EN: 0
; COMPUTE_PGM_RSRC2:TGID_Z_EN: 0
; COMPUTE_PGM_RSRC2:TIDIG_COMP_CNT: 0
; COMPUTE_PGM_RSRC3_GFX90A:ACCUM_OFFSET: 0
; COMPUTE_PGM_RSRC3_GFX90A:TG_SPLIT: 0
	.section	.text._ZN7rocprim17ROCPRIM_400000_NS6detail17trampoline_kernelINS0_14default_configENS1_25partition_config_selectorILNS1_17partition_subalgoE9EllbEEZZNS1_14partition_implILS5_9ELb0ES3_jPlS8_PNS0_10empty_typeENS0_5tupleIJS8_S9_EEENSB_IJS8_SA_EEENS0_18inequality_wrapperIZN2at6native12_GLOBAL__N_124unique_dim_cuda_templateIlEESt5tupleIJNSF_6TensorESK_SK_EERKSK_lbbbEUlllE0_EEPmJS9_EEE10hipError_tPvRmT3_T4_T5_T6_T7_T9_mT8_P12ihipStream_tbDpT10_ENKUlT_T0_E_clISt17integral_constantIbLb0EES19_IbLb1EEEEDaS15_S16_EUlS15_E_NS1_11comp_targetILNS1_3genE2ELNS1_11target_archE906ELNS1_3gpuE6ELNS1_3repE0EEENS1_30default_config_static_selectorELNS0_4arch9wavefront6targetE1EEEvT1_,"axG",@progbits,_ZN7rocprim17ROCPRIM_400000_NS6detail17trampoline_kernelINS0_14default_configENS1_25partition_config_selectorILNS1_17partition_subalgoE9EllbEEZZNS1_14partition_implILS5_9ELb0ES3_jPlS8_PNS0_10empty_typeENS0_5tupleIJS8_S9_EEENSB_IJS8_SA_EEENS0_18inequality_wrapperIZN2at6native12_GLOBAL__N_124unique_dim_cuda_templateIlEESt5tupleIJNSF_6TensorESK_SK_EERKSK_lbbbEUlllE0_EEPmJS9_EEE10hipError_tPvRmT3_T4_T5_T6_T7_T9_mT8_P12ihipStream_tbDpT10_ENKUlT_T0_E_clISt17integral_constantIbLb0EES19_IbLb1EEEEDaS15_S16_EUlS15_E_NS1_11comp_targetILNS1_3genE2ELNS1_11target_archE906ELNS1_3gpuE6ELNS1_3repE0EEENS1_30default_config_static_selectorELNS0_4arch9wavefront6targetE1EEEvT1_,comdat
	.globl	_ZN7rocprim17ROCPRIM_400000_NS6detail17trampoline_kernelINS0_14default_configENS1_25partition_config_selectorILNS1_17partition_subalgoE9EllbEEZZNS1_14partition_implILS5_9ELb0ES3_jPlS8_PNS0_10empty_typeENS0_5tupleIJS8_S9_EEENSB_IJS8_SA_EEENS0_18inequality_wrapperIZN2at6native12_GLOBAL__N_124unique_dim_cuda_templateIlEESt5tupleIJNSF_6TensorESK_SK_EERKSK_lbbbEUlllE0_EEPmJS9_EEE10hipError_tPvRmT3_T4_T5_T6_T7_T9_mT8_P12ihipStream_tbDpT10_ENKUlT_T0_E_clISt17integral_constantIbLb0EES19_IbLb1EEEEDaS15_S16_EUlS15_E_NS1_11comp_targetILNS1_3genE2ELNS1_11target_archE906ELNS1_3gpuE6ELNS1_3repE0EEENS1_30default_config_static_selectorELNS0_4arch9wavefront6targetE1EEEvT1_ ; -- Begin function _ZN7rocprim17ROCPRIM_400000_NS6detail17trampoline_kernelINS0_14default_configENS1_25partition_config_selectorILNS1_17partition_subalgoE9EllbEEZZNS1_14partition_implILS5_9ELb0ES3_jPlS8_PNS0_10empty_typeENS0_5tupleIJS8_S9_EEENSB_IJS8_SA_EEENS0_18inequality_wrapperIZN2at6native12_GLOBAL__N_124unique_dim_cuda_templateIlEESt5tupleIJNSF_6TensorESK_SK_EERKSK_lbbbEUlllE0_EEPmJS9_EEE10hipError_tPvRmT3_T4_T5_T6_T7_T9_mT8_P12ihipStream_tbDpT10_ENKUlT_T0_E_clISt17integral_constantIbLb0EES19_IbLb1EEEEDaS15_S16_EUlS15_E_NS1_11comp_targetILNS1_3genE2ELNS1_11target_archE906ELNS1_3gpuE6ELNS1_3repE0EEENS1_30default_config_static_selectorELNS0_4arch9wavefront6targetE1EEEvT1_
	.p2align	8
	.type	_ZN7rocprim17ROCPRIM_400000_NS6detail17trampoline_kernelINS0_14default_configENS1_25partition_config_selectorILNS1_17partition_subalgoE9EllbEEZZNS1_14partition_implILS5_9ELb0ES3_jPlS8_PNS0_10empty_typeENS0_5tupleIJS8_S9_EEENSB_IJS8_SA_EEENS0_18inequality_wrapperIZN2at6native12_GLOBAL__N_124unique_dim_cuda_templateIlEESt5tupleIJNSF_6TensorESK_SK_EERKSK_lbbbEUlllE0_EEPmJS9_EEE10hipError_tPvRmT3_T4_T5_T6_T7_T9_mT8_P12ihipStream_tbDpT10_ENKUlT_T0_E_clISt17integral_constantIbLb0EES19_IbLb1EEEEDaS15_S16_EUlS15_E_NS1_11comp_targetILNS1_3genE2ELNS1_11target_archE906ELNS1_3gpuE6ELNS1_3repE0EEENS1_30default_config_static_selectorELNS0_4arch9wavefront6targetE1EEEvT1_,@function
_ZN7rocprim17ROCPRIM_400000_NS6detail17trampoline_kernelINS0_14default_configENS1_25partition_config_selectorILNS1_17partition_subalgoE9EllbEEZZNS1_14partition_implILS5_9ELb0ES3_jPlS8_PNS0_10empty_typeENS0_5tupleIJS8_S9_EEENSB_IJS8_SA_EEENS0_18inequality_wrapperIZN2at6native12_GLOBAL__N_124unique_dim_cuda_templateIlEESt5tupleIJNSF_6TensorESK_SK_EERKSK_lbbbEUlllE0_EEPmJS9_EEE10hipError_tPvRmT3_T4_T5_T6_T7_T9_mT8_P12ihipStream_tbDpT10_ENKUlT_T0_E_clISt17integral_constantIbLb0EES19_IbLb1EEEEDaS15_S16_EUlS15_E_NS1_11comp_targetILNS1_3genE2ELNS1_11target_archE906ELNS1_3gpuE6ELNS1_3repE0EEENS1_30default_config_static_selectorELNS0_4arch9wavefront6targetE1EEEvT1_: ; @_ZN7rocprim17ROCPRIM_400000_NS6detail17trampoline_kernelINS0_14default_configENS1_25partition_config_selectorILNS1_17partition_subalgoE9EllbEEZZNS1_14partition_implILS5_9ELb0ES3_jPlS8_PNS0_10empty_typeENS0_5tupleIJS8_S9_EEENSB_IJS8_SA_EEENS0_18inequality_wrapperIZN2at6native12_GLOBAL__N_124unique_dim_cuda_templateIlEESt5tupleIJNSF_6TensorESK_SK_EERKSK_lbbbEUlllE0_EEPmJS9_EEE10hipError_tPvRmT3_T4_T5_T6_T7_T9_mT8_P12ihipStream_tbDpT10_ENKUlT_T0_E_clISt17integral_constantIbLb0EES19_IbLb1EEEEDaS15_S16_EUlS15_E_NS1_11comp_targetILNS1_3genE2ELNS1_11target_archE906ELNS1_3gpuE6ELNS1_3repE0EEENS1_30default_config_static_selectorELNS0_4arch9wavefront6targetE1EEEvT1_
; %bb.0:
	.section	.rodata,"a",@progbits
	.p2align	6, 0x0
	.amdhsa_kernel _ZN7rocprim17ROCPRIM_400000_NS6detail17trampoline_kernelINS0_14default_configENS1_25partition_config_selectorILNS1_17partition_subalgoE9EllbEEZZNS1_14partition_implILS5_9ELb0ES3_jPlS8_PNS0_10empty_typeENS0_5tupleIJS8_S9_EEENSB_IJS8_SA_EEENS0_18inequality_wrapperIZN2at6native12_GLOBAL__N_124unique_dim_cuda_templateIlEESt5tupleIJNSF_6TensorESK_SK_EERKSK_lbbbEUlllE0_EEPmJS9_EEE10hipError_tPvRmT3_T4_T5_T6_T7_T9_mT8_P12ihipStream_tbDpT10_ENKUlT_T0_E_clISt17integral_constantIbLb0EES19_IbLb1EEEEDaS15_S16_EUlS15_E_NS1_11comp_targetILNS1_3genE2ELNS1_11target_archE906ELNS1_3gpuE6ELNS1_3repE0EEENS1_30default_config_static_selectorELNS0_4arch9wavefront6targetE1EEEvT1_
		.amdhsa_group_segment_fixed_size 0
		.amdhsa_private_segment_fixed_size 0
		.amdhsa_kernarg_size 136
		.amdhsa_user_sgpr_count 6
		.amdhsa_user_sgpr_private_segment_buffer 1
		.amdhsa_user_sgpr_dispatch_ptr 0
		.amdhsa_user_sgpr_queue_ptr 0
		.amdhsa_user_sgpr_kernarg_segment_ptr 1
		.amdhsa_user_sgpr_dispatch_id 0
		.amdhsa_user_sgpr_flat_scratch_init 0
		.amdhsa_user_sgpr_kernarg_preload_length 0
		.amdhsa_user_sgpr_kernarg_preload_offset 0
		.amdhsa_user_sgpr_private_segment_size 0
		.amdhsa_uses_dynamic_stack 0
		.amdhsa_system_sgpr_private_segment_wavefront_offset 0
		.amdhsa_system_sgpr_workgroup_id_x 1
		.amdhsa_system_sgpr_workgroup_id_y 0
		.amdhsa_system_sgpr_workgroup_id_z 0
		.amdhsa_system_sgpr_workgroup_info 0
		.amdhsa_system_vgpr_workitem_id 0
		.amdhsa_next_free_vgpr 1
		.amdhsa_next_free_sgpr 0
		.amdhsa_accum_offset 4
		.amdhsa_reserve_vcc 0
		.amdhsa_reserve_flat_scratch 0
		.amdhsa_float_round_mode_32 0
		.amdhsa_float_round_mode_16_64 0
		.amdhsa_float_denorm_mode_32 3
		.amdhsa_float_denorm_mode_16_64 3
		.amdhsa_dx10_clamp 1
		.amdhsa_ieee_mode 1
		.amdhsa_fp16_overflow 0
		.amdhsa_tg_split 0
		.amdhsa_exception_fp_ieee_invalid_op 0
		.amdhsa_exception_fp_denorm_src 0
		.amdhsa_exception_fp_ieee_div_zero 0
		.amdhsa_exception_fp_ieee_overflow 0
		.amdhsa_exception_fp_ieee_underflow 0
		.amdhsa_exception_fp_ieee_inexact 0
		.amdhsa_exception_int_div_zero 0
	.end_amdhsa_kernel
	.section	.text._ZN7rocprim17ROCPRIM_400000_NS6detail17trampoline_kernelINS0_14default_configENS1_25partition_config_selectorILNS1_17partition_subalgoE9EllbEEZZNS1_14partition_implILS5_9ELb0ES3_jPlS8_PNS0_10empty_typeENS0_5tupleIJS8_S9_EEENSB_IJS8_SA_EEENS0_18inequality_wrapperIZN2at6native12_GLOBAL__N_124unique_dim_cuda_templateIlEESt5tupleIJNSF_6TensorESK_SK_EERKSK_lbbbEUlllE0_EEPmJS9_EEE10hipError_tPvRmT3_T4_T5_T6_T7_T9_mT8_P12ihipStream_tbDpT10_ENKUlT_T0_E_clISt17integral_constantIbLb0EES19_IbLb1EEEEDaS15_S16_EUlS15_E_NS1_11comp_targetILNS1_3genE2ELNS1_11target_archE906ELNS1_3gpuE6ELNS1_3repE0EEENS1_30default_config_static_selectorELNS0_4arch9wavefront6targetE1EEEvT1_,"axG",@progbits,_ZN7rocprim17ROCPRIM_400000_NS6detail17trampoline_kernelINS0_14default_configENS1_25partition_config_selectorILNS1_17partition_subalgoE9EllbEEZZNS1_14partition_implILS5_9ELb0ES3_jPlS8_PNS0_10empty_typeENS0_5tupleIJS8_S9_EEENSB_IJS8_SA_EEENS0_18inequality_wrapperIZN2at6native12_GLOBAL__N_124unique_dim_cuda_templateIlEESt5tupleIJNSF_6TensorESK_SK_EERKSK_lbbbEUlllE0_EEPmJS9_EEE10hipError_tPvRmT3_T4_T5_T6_T7_T9_mT8_P12ihipStream_tbDpT10_ENKUlT_T0_E_clISt17integral_constantIbLb0EES19_IbLb1EEEEDaS15_S16_EUlS15_E_NS1_11comp_targetILNS1_3genE2ELNS1_11target_archE906ELNS1_3gpuE6ELNS1_3repE0EEENS1_30default_config_static_selectorELNS0_4arch9wavefront6targetE1EEEvT1_,comdat
.Lfunc_end623:
	.size	_ZN7rocprim17ROCPRIM_400000_NS6detail17trampoline_kernelINS0_14default_configENS1_25partition_config_selectorILNS1_17partition_subalgoE9EllbEEZZNS1_14partition_implILS5_9ELb0ES3_jPlS8_PNS0_10empty_typeENS0_5tupleIJS8_S9_EEENSB_IJS8_SA_EEENS0_18inequality_wrapperIZN2at6native12_GLOBAL__N_124unique_dim_cuda_templateIlEESt5tupleIJNSF_6TensorESK_SK_EERKSK_lbbbEUlllE0_EEPmJS9_EEE10hipError_tPvRmT3_T4_T5_T6_T7_T9_mT8_P12ihipStream_tbDpT10_ENKUlT_T0_E_clISt17integral_constantIbLb0EES19_IbLb1EEEEDaS15_S16_EUlS15_E_NS1_11comp_targetILNS1_3genE2ELNS1_11target_archE906ELNS1_3gpuE6ELNS1_3repE0EEENS1_30default_config_static_selectorELNS0_4arch9wavefront6targetE1EEEvT1_, .Lfunc_end623-_ZN7rocprim17ROCPRIM_400000_NS6detail17trampoline_kernelINS0_14default_configENS1_25partition_config_selectorILNS1_17partition_subalgoE9EllbEEZZNS1_14partition_implILS5_9ELb0ES3_jPlS8_PNS0_10empty_typeENS0_5tupleIJS8_S9_EEENSB_IJS8_SA_EEENS0_18inequality_wrapperIZN2at6native12_GLOBAL__N_124unique_dim_cuda_templateIlEESt5tupleIJNSF_6TensorESK_SK_EERKSK_lbbbEUlllE0_EEPmJS9_EEE10hipError_tPvRmT3_T4_T5_T6_T7_T9_mT8_P12ihipStream_tbDpT10_ENKUlT_T0_E_clISt17integral_constantIbLb0EES19_IbLb1EEEEDaS15_S16_EUlS15_E_NS1_11comp_targetILNS1_3genE2ELNS1_11target_archE906ELNS1_3gpuE6ELNS1_3repE0EEENS1_30default_config_static_selectorELNS0_4arch9wavefront6targetE1EEEvT1_
                                        ; -- End function
	.section	.AMDGPU.csdata,"",@progbits
; Kernel info:
; codeLenInByte = 0
; NumSgprs: 4
; NumVgprs: 0
; NumAgprs: 0
; TotalNumVgprs: 0
; ScratchSize: 0
; MemoryBound: 0
; FloatMode: 240
; IeeeMode: 1
; LDSByteSize: 0 bytes/workgroup (compile time only)
; SGPRBlocks: 0
; VGPRBlocks: 0
; NumSGPRsForWavesPerEU: 4
; NumVGPRsForWavesPerEU: 1
; AccumOffset: 4
; Occupancy: 8
; WaveLimiterHint : 0
; COMPUTE_PGM_RSRC2:SCRATCH_EN: 0
; COMPUTE_PGM_RSRC2:USER_SGPR: 6
; COMPUTE_PGM_RSRC2:TRAP_HANDLER: 0
; COMPUTE_PGM_RSRC2:TGID_X_EN: 1
; COMPUTE_PGM_RSRC2:TGID_Y_EN: 0
; COMPUTE_PGM_RSRC2:TGID_Z_EN: 0
; COMPUTE_PGM_RSRC2:TIDIG_COMP_CNT: 0
; COMPUTE_PGM_RSRC3_GFX90A:ACCUM_OFFSET: 0
; COMPUTE_PGM_RSRC3_GFX90A:TG_SPLIT: 0
	.section	.text._ZN7rocprim17ROCPRIM_400000_NS6detail17trampoline_kernelINS0_14default_configENS1_25partition_config_selectorILNS1_17partition_subalgoE9EllbEEZZNS1_14partition_implILS5_9ELb0ES3_jPlS8_PNS0_10empty_typeENS0_5tupleIJS8_S9_EEENSB_IJS8_SA_EEENS0_18inequality_wrapperIZN2at6native12_GLOBAL__N_124unique_dim_cuda_templateIlEESt5tupleIJNSF_6TensorESK_SK_EERKSK_lbbbEUlllE0_EEPmJS9_EEE10hipError_tPvRmT3_T4_T5_T6_T7_T9_mT8_P12ihipStream_tbDpT10_ENKUlT_T0_E_clISt17integral_constantIbLb0EES19_IbLb1EEEEDaS15_S16_EUlS15_E_NS1_11comp_targetILNS1_3genE10ELNS1_11target_archE1200ELNS1_3gpuE4ELNS1_3repE0EEENS1_30default_config_static_selectorELNS0_4arch9wavefront6targetE1EEEvT1_,"axG",@progbits,_ZN7rocprim17ROCPRIM_400000_NS6detail17trampoline_kernelINS0_14default_configENS1_25partition_config_selectorILNS1_17partition_subalgoE9EllbEEZZNS1_14partition_implILS5_9ELb0ES3_jPlS8_PNS0_10empty_typeENS0_5tupleIJS8_S9_EEENSB_IJS8_SA_EEENS0_18inequality_wrapperIZN2at6native12_GLOBAL__N_124unique_dim_cuda_templateIlEESt5tupleIJNSF_6TensorESK_SK_EERKSK_lbbbEUlllE0_EEPmJS9_EEE10hipError_tPvRmT3_T4_T5_T6_T7_T9_mT8_P12ihipStream_tbDpT10_ENKUlT_T0_E_clISt17integral_constantIbLb0EES19_IbLb1EEEEDaS15_S16_EUlS15_E_NS1_11comp_targetILNS1_3genE10ELNS1_11target_archE1200ELNS1_3gpuE4ELNS1_3repE0EEENS1_30default_config_static_selectorELNS0_4arch9wavefront6targetE1EEEvT1_,comdat
	.globl	_ZN7rocprim17ROCPRIM_400000_NS6detail17trampoline_kernelINS0_14default_configENS1_25partition_config_selectorILNS1_17partition_subalgoE9EllbEEZZNS1_14partition_implILS5_9ELb0ES3_jPlS8_PNS0_10empty_typeENS0_5tupleIJS8_S9_EEENSB_IJS8_SA_EEENS0_18inequality_wrapperIZN2at6native12_GLOBAL__N_124unique_dim_cuda_templateIlEESt5tupleIJNSF_6TensorESK_SK_EERKSK_lbbbEUlllE0_EEPmJS9_EEE10hipError_tPvRmT3_T4_T5_T6_T7_T9_mT8_P12ihipStream_tbDpT10_ENKUlT_T0_E_clISt17integral_constantIbLb0EES19_IbLb1EEEEDaS15_S16_EUlS15_E_NS1_11comp_targetILNS1_3genE10ELNS1_11target_archE1200ELNS1_3gpuE4ELNS1_3repE0EEENS1_30default_config_static_selectorELNS0_4arch9wavefront6targetE1EEEvT1_ ; -- Begin function _ZN7rocprim17ROCPRIM_400000_NS6detail17trampoline_kernelINS0_14default_configENS1_25partition_config_selectorILNS1_17partition_subalgoE9EllbEEZZNS1_14partition_implILS5_9ELb0ES3_jPlS8_PNS0_10empty_typeENS0_5tupleIJS8_S9_EEENSB_IJS8_SA_EEENS0_18inequality_wrapperIZN2at6native12_GLOBAL__N_124unique_dim_cuda_templateIlEESt5tupleIJNSF_6TensorESK_SK_EERKSK_lbbbEUlllE0_EEPmJS9_EEE10hipError_tPvRmT3_T4_T5_T6_T7_T9_mT8_P12ihipStream_tbDpT10_ENKUlT_T0_E_clISt17integral_constantIbLb0EES19_IbLb1EEEEDaS15_S16_EUlS15_E_NS1_11comp_targetILNS1_3genE10ELNS1_11target_archE1200ELNS1_3gpuE4ELNS1_3repE0EEENS1_30default_config_static_selectorELNS0_4arch9wavefront6targetE1EEEvT1_
	.p2align	8
	.type	_ZN7rocprim17ROCPRIM_400000_NS6detail17trampoline_kernelINS0_14default_configENS1_25partition_config_selectorILNS1_17partition_subalgoE9EllbEEZZNS1_14partition_implILS5_9ELb0ES3_jPlS8_PNS0_10empty_typeENS0_5tupleIJS8_S9_EEENSB_IJS8_SA_EEENS0_18inequality_wrapperIZN2at6native12_GLOBAL__N_124unique_dim_cuda_templateIlEESt5tupleIJNSF_6TensorESK_SK_EERKSK_lbbbEUlllE0_EEPmJS9_EEE10hipError_tPvRmT3_T4_T5_T6_T7_T9_mT8_P12ihipStream_tbDpT10_ENKUlT_T0_E_clISt17integral_constantIbLb0EES19_IbLb1EEEEDaS15_S16_EUlS15_E_NS1_11comp_targetILNS1_3genE10ELNS1_11target_archE1200ELNS1_3gpuE4ELNS1_3repE0EEENS1_30default_config_static_selectorELNS0_4arch9wavefront6targetE1EEEvT1_,@function
_ZN7rocprim17ROCPRIM_400000_NS6detail17trampoline_kernelINS0_14default_configENS1_25partition_config_selectorILNS1_17partition_subalgoE9EllbEEZZNS1_14partition_implILS5_9ELb0ES3_jPlS8_PNS0_10empty_typeENS0_5tupleIJS8_S9_EEENSB_IJS8_SA_EEENS0_18inequality_wrapperIZN2at6native12_GLOBAL__N_124unique_dim_cuda_templateIlEESt5tupleIJNSF_6TensorESK_SK_EERKSK_lbbbEUlllE0_EEPmJS9_EEE10hipError_tPvRmT3_T4_T5_T6_T7_T9_mT8_P12ihipStream_tbDpT10_ENKUlT_T0_E_clISt17integral_constantIbLb0EES19_IbLb1EEEEDaS15_S16_EUlS15_E_NS1_11comp_targetILNS1_3genE10ELNS1_11target_archE1200ELNS1_3gpuE4ELNS1_3repE0EEENS1_30default_config_static_selectorELNS0_4arch9wavefront6targetE1EEEvT1_: ; @_ZN7rocprim17ROCPRIM_400000_NS6detail17trampoline_kernelINS0_14default_configENS1_25partition_config_selectorILNS1_17partition_subalgoE9EllbEEZZNS1_14partition_implILS5_9ELb0ES3_jPlS8_PNS0_10empty_typeENS0_5tupleIJS8_S9_EEENSB_IJS8_SA_EEENS0_18inequality_wrapperIZN2at6native12_GLOBAL__N_124unique_dim_cuda_templateIlEESt5tupleIJNSF_6TensorESK_SK_EERKSK_lbbbEUlllE0_EEPmJS9_EEE10hipError_tPvRmT3_T4_T5_T6_T7_T9_mT8_P12ihipStream_tbDpT10_ENKUlT_T0_E_clISt17integral_constantIbLb0EES19_IbLb1EEEEDaS15_S16_EUlS15_E_NS1_11comp_targetILNS1_3genE10ELNS1_11target_archE1200ELNS1_3gpuE4ELNS1_3repE0EEENS1_30default_config_static_selectorELNS0_4arch9wavefront6targetE1EEEvT1_
; %bb.0:
	.section	.rodata,"a",@progbits
	.p2align	6, 0x0
	.amdhsa_kernel _ZN7rocprim17ROCPRIM_400000_NS6detail17trampoline_kernelINS0_14default_configENS1_25partition_config_selectorILNS1_17partition_subalgoE9EllbEEZZNS1_14partition_implILS5_9ELb0ES3_jPlS8_PNS0_10empty_typeENS0_5tupleIJS8_S9_EEENSB_IJS8_SA_EEENS0_18inequality_wrapperIZN2at6native12_GLOBAL__N_124unique_dim_cuda_templateIlEESt5tupleIJNSF_6TensorESK_SK_EERKSK_lbbbEUlllE0_EEPmJS9_EEE10hipError_tPvRmT3_T4_T5_T6_T7_T9_mT8_P12ihipStream_tbDpT10_ENKUlT_T0_E_clISt17integral_constantIbLb0EES19_IbLb1EEEEDaS15_S16_EUlS15_E_NS1_11comp_targetILNS1_3genE10ELNS1_11target_archE1200ELNS1_3gpuE4ELNS1_3repE0EEENS1_30default_config_static_selectorELNS0_4arch9wavefront6targetE1EEEvT1_
		.amdhsa_group_segment_fixed_size 0
		.amdhsa_private_segment_fixed_size 0
		.amdhsa_kernarg_size 136
		.amdhsa_user_sgpr_count 6
		.amdhsa_user_sgpr_private_segment_buffer 1
		.amdhsa_user_sgpr_dispatch_ptr 0
		.amdhsa_user_sgpr_queue_ptr 0
		.amdhsa_user_sgpr_kernarg_segment_ptr 1
		.amdhsa_user_sgpr_dispatch_id 0
		.amdhsa_user_sgpr_flat_scratch_init 0
		.amdhsa_user_sgpr_kernarg_preload_length 0
		.amdhsa_user_sgpr_kernarg_preload_offset 0
		.amdhsa_user_sgpr_private_segment_size 0
		.amdhsa_uses_dynamic_stack 0
		.amdhsa_system_sgpr_private_segment_wavefront_offset 0
		.amdhsa_system_sgpr_workgroup_id_x 1
		.amdhsa_system_sgpr_workgroup_id_y 0
		.amdhsa_system_sgpr_workgroup_id_z 0
		.amdhsa_system_sgpr_workgroup_info 0
		.amdhsa_system_vgpr_workitem_id 0
		.amdhsa_next_free_vgpr 1
		.amdhsa_next_free_sgpr 0
		.amdhsa_accum_offset 4
		.amdhsa_reserve_vcc 0
		.amdhsa_reserve_flat_scratch 0
		.amdhsa_float_round_mode_32 0
		.amdhsa_float_round_mode_16_64 0
		.amdhsa_float_denorm_mode_32 3
		.amdhsa_float_denorm_mode_16_64 3
		.amdhsa_dx10_clamp 1
		.amdhsa_ieee_mode 1
		.amdhsa_fp16_overflow 0
		.amdhsa_tg_split 0
		.amdhsa_exception_fp_ieee_invalid_op 0
		.amdhsa_exception_fp_denorm_src 0
		.amdhsa_exception_fp_ieee_div_zero 0
		.amdhsa_exception_fp_ieee_overflow 0
		.amdhsa_exception_fp_ieee_underflow 0
		.amdhsa_exception_fp_ieee_inexact 0
		.amdhsa_exception_int_div_zero 0
	.end_amdhsa_kernel
	.section	.text._ZN7rocprim17ROCPRIM_400000_NS6detail17trampoline_kernelINS0_14default_configENS1_25partition_config_selectorILNS1_17partition_subalgoE9EllbEEZZNS1_14partition_implILS5_9ELb0ES3_jPlS8_PNS0_10empty_typeENS0_5tupleIJS8_S9_EEENSB_IJS8_SA_EEENS0_18inequality_wrapperIZN2at6native12_GLOBAL__N_124unique_dim_cuda_templateIlEESt5tupleIJNSF_6TensorESK_SK_EERKSK_lbbbEUlllE0_EEPmJS9_EEE10hipError_tPvRmT3_T4_T5_T6_T7_T9_mT8_P12ihipStream_tbDpT10_ENKUlT_T0_E_clISt17integral_constantIbLb0EES19_IbLb1EEEEDaS15_S16_EUlS15_E_NS1_11comp_targetILNS1_3genE10ELNS1_11target_archE1200ELNS1_3gpuE4ELNS1_3repE0EEENS1_30default_config_static_selectorELNS0_4arch9wavefront6targetE1EEEvT1_,"axG",@progbits,_ZN7rocprim17ROCPRIM_400000_NS6detail17trampoline_kernelINS0_14default_configENS1_25partition_config_selectorILNS1_17partition_subalgoE9EllbEEZZNS1_14partition_implILS5_9ELb0ES3_jPlS8_PNS0_10empty_typeENS0_5tupleIJS8_S9_EEENSB_IJS8_SA_EEENS0_18inequality_wrapperIZN2at6native12_GLOBAL__N_124unique_dim_cuda_templateIlEESt5tupleIJNSF_6TensorESK_SK_EERKSK_lbbbEUlllE0_EEPmJS9_EEE10hipError_tPvRmT3_T4_T5_T6_T7_T9_mT8_P12ihipStream_tbDpT10_ENKUlT_T0_E_clISt17integral_constantIbLb0EES19_IbLb1EEEEDaS15_S16_EUlS15_E_NS1_11comp_targetILNS1_3genE10ELNS1_11target_archE1200ELNS1_3gpuE4ELNS1_3repE0EEENS1_30default_config_static_selectorELNS0_4arch9wavefront6targetE1EEEvT1_,comdat
.Lfunc_end624:
	.size	_ZN7rocprim17ROCPRIM_400000_NS6detail17trampoline_kernelINS0_14default_configENS1_25partition_config_selectorILNS1_17partition_subalgoE9EllbEEZZNS1_14partition_implILS5_9ELb0ES3_jPlS8_PNS0_10empty_typeENS0_5tupleIJS8_S9_EEENSB_IJS8_SA_EEENS0_18inequality_wrapperIZN2at6native12_GLOBAL__N_124unique_dim_cuda_templateIlEESt5tupleIJNSF_6TensorESK_SK_EERKSK_lbbbEUlllE0_EEPmJS9_EEE10hipError_tPvRmT3_T4_T5_T6_T7_T9_mT8_P12ihipStream_tbDpT10_ENKUlT_T0_E_clISt17integral_constantIbLb0EES19_IbLb1EEEEDaS15_S16_EUlS15_E_NS1_11comp_targetILNS1_3genE10ELNS1_11target_archE1200ELNS1_3gpuE4ELNS1_3repE0EEENS1_30default_config_static_selectorELNS0_4arch9wavefront6targetE1EEEvT1_, .Lfunc_end624-_ZN7rocprim17ROCPRIM_400000_NS6detail17trampoline_kernelINS0_14default_configENS1_25partition_config_selectorILNS1_17partition_subalgoE9EllbEEZZNS1_14partition_implILS5_9ELb0ES3_jPlS8_PNS0_10empty_typeENS0_5tupleIJS8_S9_EEENSB_IJS8_SA_EEENS0_18inequality_wrapperIZN2at6native12_GLOBAL__N_124unique_dim_cuda_templateIlEESt5tupleIJNSF_6TensorESK_SK_EERKSK_lbbbEUlllE0_EEPmJS9_EEE10hipError_tPvRmT3_T4_T5_T6_T7_T9_mT8_P12ihipStream_tbDpT10_ENKUlT_T0_E_clISt17integral_constantIbLb0EES19_IbLb1EEEEDaS15_S16_EUlS15_E_NS1_11comp_targetILNS1_3genE10ELNS1_11target_archE1200ELNS1_3gpuE4ELNS1_3repE0EEENS1_30default_config_static_selectorELNS0_4arch9wavefront6targetE1EEEvT1_
                                        ; -- End function
	.section	.AMDGPU.csdata,"",@progbits
; Kernel info:
; codeLenInByte = 0
; NumSgprs: 4
; NumVgprs: 0
; NumAgprs: 0
; TotalNumVgprs: 0
; ScratchSize: 0
; MemoryBound: 0
; FloatMode: 240
; IeeeMode: 1
; LDSByteSize: 0 bytes/workgroup (compile time only)
; SGPRBlocks: 0
; VGPRBlocks: 0
; NumSGPRsForWavesPerEU: 4
; NumVGPRsForWavesPerEU: 1
; AccumOffset: 4
; Occupancy: 8
; WaveLimiterHint : 0
; COMPUTE_PGM_RSRC2:SCRATCH_EN: 0
; COMPUTE_PGM_RSRC2:USER_SGPR: 6
; COMPUTE_PGM_RSRC2:TRAP_HANDLER: 0
; COMPUTE_PGM_RSRC2:TGID_X_EN: 1
; COMPUTE_PGM_RSRC2:TGID_Y_EN: 0
; COMPUTE_PGM_RSRC2:TGID_Z_EN: 0
; COMPUTE_PGM_RSRC2:TIDIG_COMP_CNT: 0
; COMPUTE_PGM_RSRC3_GFX90A:ACCUM_OFFSET: 0
; COMPUTE_PGM_RSRC3_GFX90A:TG_SPLIT: 0
	.section	.text._ZN7rocprim17ROCPRIM_400000_NS6detail17trampoline_kernelINS0_14default_configENS1_25partition_config_selectorILNS1_17partition_subalgoE9EllbEEZZNS1_14partition_implILS5_9ELb0ES3_jPlS8_PNS0_10empty_typeENS0_5tupleIJS8_S9_EEENSB_IJS8_SA_EEENS0_18inequality_wrapperIZN2at6native12_GLOBAL__N_124unique_dim_cuda_templateIlEESt5tupleIJNSF_6TensorESK_SK_EERKSK_lbbbEUlllE0_EEPmJS9_EEE10hipError_tPvRmT3_T4_T5_T6_T7_T9_mT8_P12ihipStream_tbDpT10_ENKUlT_T0_E_clISt17integral_constantIbLb0EES19_IbLb1EEEEDaS15_S16_EUlS15_E_NS1_11comp_targetILNS1_3genE9ELNS1_11target_archE1100ELNS1_3gpuE3ELNS1_3repE0EEENS1_30default_config_static_selectorELNS0_4arch9wavefront6targetE1EEEvT1_,"axG",@progbits,_ZN7rocprim17ROCPRIM_400000_NS6detail17trampoline_kernelINS0_14default_configENS1_25partition_config_selectorILNS1_17partition_subalgoE9EllbEEZZNS1_14partition_implILS5_9ELb0ES3_jPlS8_PNS0_10empty_typeENS0_5tupleIJS8_S9_EEENSB_IJS8_SA_EEENS0_18inequality_wrapperIZN2at6native12_GLOBAL__N_124unique_dim_cuda_templateIlEESt5tupleIJNSF_6TensorESK_SK_EERKSK_lbbbEUlllE0_EEPmJS9_EEE10hipError_tPvRmT3_T4_T5_T6_T7_T9_mT8_P12ihipStream_tbDpT10_ENKUlT_T0_E_clISt17integral_constantIbLb0EES19_IbLb1EEEEDaS15_S16_EUlS15_E_NS1_11comp_targetILNS1_3genE9ELNS1_11target_archE1100ELNS1_3gpuE3ELNS1_3repE0EEENS1_30default_config_static_selectorELNS0_4arch9wavefront6targetE1EEEvT1_,comdat
	.globl	_ZN7rocprim17ROCPRIM_400000_NS6detail17trampoline_kernelINS0_14default_configENS1_25partition_config_selectorILNS1_17partition_subalgoE9EllbEEZZNS1_14partition_implILS5_9ELb0ES3_jPlS8_PNS0_10empty_typeENS0_5tupleIJS8_S9_EEENSB_IJS8_SA_EEENS0_18inequality_wrapperIZN2at6native12_GLOBAL__N_124unique_dim_cuda_templateIlEESt5tupleIJNSF_6TensorESK_SK_EERKSK_lbbbEUlllE0_EEPmJS9_EEE10hipError_tPvRmT3_T4_T5_T6_T7_T9_mT8_P12ihipStream_tbDpT10_ENKUlT_T0_E_clISt17integral_constantIbLb0EES19_IbLb1EEEEDaS15_S16_EUlS15_E_NS1_11comp_targetILNS1_3genE9ELNS1_11target_archE1100ELNS1_3gpuE3ELNS1_3repE0EEENS1_30default_config_static_selectorELNS0_4arch9wavefront6targetE1EEEvT1_ ; -- Begin function _ZN7rocprim17ROCPRIM_400000_NS6detail17trampoline_kernelINS0_14default_configENS1_25partition_config_selectorILNS1_17partition_subalgoE9EllbEEZZNS1_14partition_implILS5_9ELb0ES3_jPlS8_PNS0_10empty_typeENS0_5tupleIJS8_S9_EEENSB_IJS8_SA_EEENS0_18inequality_wrapperIZN2at6native12_GLOBAL__N_124unique_dim_cuda_templateIlEESt5tupleIJNSF_6TensorESK_SK_EERKSK_lbbbEUlllE0_EEPmJS9_EEE10hipError_tPvRmT3_T4_T5_T6_T7_T9_mT8_P12ihipStream_tbDpT10_ENKUlT_T0_E_clISt17integral_constantIbLb0EES19_IbLb1EEEEDaS15_S16_EUlS15_E_NS1_11comp_targetILNS1_3genE9ELNS1_11target_archE1100ELNS1_3gpuE3ELNS1_3repE0EEENS1_30default_config_static_selectorELNS0_4arch9wavefront6targetE1EEEvT1_
	.p2align	8
	.type	_ZN7rocprim17ROCPRIM_400000_NS6detail17trampoline_kernelINS0_14default_configENS1_25partition_config_selectorILNS1_17partition_subalgoE9EllbEEZZNS1_14partition_implILS5_9ELb0ES3_jPlS8_PNS0_10empty_typeENS0_5tupleIJS8_S9_EEENSB_IJS8_SA_EEENS0_18inequality_wrapperIZN2at6native12_GLOBAL__N_124unique_dim_cuda_templateIlEESt5tupleIJNSF_6TensorESK_SK_EERKSK_lbbbEUlllE0_EEPmJS9_EEE10hipError_tPvRmT3_T4_T5_T6_T7_T9_mT8_P12ihipStream_tbDpT10_ENKUlT_T0_E_clISt17integral_constantIbLb0EES19_IbLb1EEEEDaS15_S16_EUlS15_E_NS1_11comp_targetILNS1_3genE9ELNS1_11target_archE1100ELNS1_3gpuE3ELNS1_3repE0EEENS1_30default_config_static_selectorELNS0_4arch9wavefront6targetE1EEEvT1_,@function
_ZN7rocprim17ROCPRIM_400000_NS6detail17trampoline_kernelINS0_14default_configENS1_25partition_config_selectorILNS1_17partition_subalgoE9EllbEEZZNS1_14partition_implILS5_9ELb0ES3_jPlS8_PNS0_10empty_typeENS0_5tupleIJS8_S9_EEENSB_IJS8_SA_EEENS0_18inequality_wrapperIZN2at6native12_GLOBAL__N_124unique_dim_cuda_templateIlEESt5tupleIJNSF_6TensorESK_SK_EERKSK_lbbbEUlllE0_EEPmJS9_EEE10hipError_tPvRmT3_T4_T5_T6_T7_T9_mT8_P12ihipStream_tbDpT10_ENKUlT_T0_E_clISt17integral_constantIbLb0EES19_IbLb1EEEEDaS15_S16_EUlS15_E_NS1_11comp_targetILNS1_3genE9ELNS1_11target_archE1100ELNS1_3gpuE3ELNS1_3repE0EEENS1_30default_config_static_selectorELNS0_4arch9wavefront6targetE1EEEvT1_: ; @_ZN7rocprim17ROCPRIM_400000_NS6detail17trampoline_kernelINS0_14default_configENS1_25partition_config_selectorILNS1_17partition_subalgoE9EllbEEZZNS1_14partition_implILS5_9ELb0ES3_jPlS8_PNS0_10empty_typeENS0_5tupleIJS8_S9_EEENSB_IJS8_SA_EEENS0_18inequality_wrapperIZN2at6native12_GLOBAL__N_124unique_dim_cuda_templateIlEESt5tupleIJNSF_6TensorESK_SK_EERKSK_lbbbEUlllE0_EEPmJS9_EEE10hipError_tPvRmT3_T4_T5_T6_T7_T9_mT8_P12ihipStream_tbDpT10_ENKUlT_T0_E_clISt17integral_constantIbLb0EES19_IbLb1EEEEDaS15_S16_EUlS15_E_NS1_11comp_targetILNS1_3genE9ELNS1_11target_archE1100ELNS1_3gpuE3ELNS1_3repE0EEENS1_30default_config_static_selectorELNS0_4arch9wavefront6targetE1EEEvT1_
; %bb.0:
	.section	.rodata,"a",@progbits
	.p2align	6, 0x0
	.amdhsa_kernel _ZN7rocprim17ROCPRIM_400000_NS6detail17trampoline_kernelINS0_14default_configENS1_25partition_config_selectorILNS1_17partition_subalgoE9EllbEEZZNS1_14partition_implILS5_9ELb0ES3_jPlS8_PNS0_10empty_typeENS0_5tupleIJS8_S9_EEENSB_IJS8_SA_EEENS0_18inequality_wrapperIZN2at6native12_GLOBAL__N_124unique_dim_cuda_templateIlEESt5tupleIJNSF_6TensorESK_SK_EERKSK_lbbbEUlllE0_EEPmJS9_EEE10hipError_tPvRmT3_T4_T5_T6_T7_T9_mT8_P12ihipStream_tbDpT10_ENKUlT_T0_E_clISt17integral_constantIbLb0EES19_IbLb1EEEEDaS15_S16_EUlS15_E_NS1_11comp_targetILNS1_3genE9ELNS1_11target_archE1100ELNS1_3gpuE3ELNS1_3repE0EEENS1_30default_config_static_selectorELNS0_4arch9wavefront6targetE1EEEvT1_
		.amdhsa_group_segment_fixed_size 0
		.amdhsa_private_segment_fixed_size 0
		.amdhsa_kernarg_size 136
		.amdhsa_user_sgpr_count 6
		.amdhsa_user_sgpr_private_segment_buffer 1
		.amdhsa_user_sgpr_dispatch_ptr 0
		.amdhsa_user_sgpr_queue_ptr 0
		.amdhsa_user_sgpr_kernarg_segment_ptr 1
		.amdhsa_user_sgpr_dispatch_id 0
		.amdhsa_user_sgpr_flat_scratch_init 0
		.amdhsa_user_sgpr_kernarg_preload_length 0
		.amdhsa_user_sgpr_kernarg_preload_offset 0
		.amdhsa_user_sgpr_private_segment_size 0
		.amdhsa_uses_dynamic_stack 0
		.amdhsa_system_sgpr_private_segment_wavefront_offset 0
		.amdhsa_system_sgpr_workgroup_id_x 1
		.amdhsa_system_sgpr_workgroup_id_y 0
		.amdhsa_system_sgpr_workgroup_id_z 0
		.amdhsa_system_sgpr_workgroup_info 0
		.amdhsa_system_vgpr_workitem_id 0
		.amdhsa_next_free_vgpr 1
		.amdhsa_next_free_sgpr 0
		.amdhsa_accum_offset 4
		.amdhsa_reserve_vcc 0
		.amdhsa_reserve_flat_scratch 0
		.amdhsa_float_round_mode_32 0
		.amdhsa_float_round_mode_16_64 0
		.amdhsa_float_denorm_mode_32 3
		.amdhsa_float_denorm_mode_16_64 3
		.amdhsa_dx10_clamp 1
		.amdhsa_ieee_mode 1
		.amdhsa_fp16_overflow 0
		.amdhsa_tg_split 0
		.amdhsa_exception_fp_ieee_invalid_op 0
		.amdhsa_exception_fp_denorm_src 0
		.amdhsa_exception_fp_ieee_div_zero 0
		.amdhsa_exception_fp_ieee_overflow 0
		.amdhsa_exception_fp_ieee_underflow 0
		.amdhsa_exception_fp_ieee_inexact 0
		.amdhsa_exception_int_div_zero 0
	.end_amdhsa_kernel
	.section	.text._ZN7rocprim17ROCPRIM_400000_NS6detail17trampoline_kernelINS0_14default_configENS1_25partition_config_selectorILNS1_17partition_subalgoE9EllbEEZZNS1_14partition_implILS5_9ELb0ES3_jPlS8_PNS0_10empty_typeENS0_5tupleIJS8_S9_EEENSB_IJS8_SA_EEENS0_18inequality_wrapperIZN2at6native12_GLOBAL__N_124unique_dim_cuda_templateIlEESt5tupleIJNSF_6TensorESK_SK_EERKSK_lbbbEUlllE0_EEPmJS9_EEE10hipError_tPvRmT3_T4_T5_T6_T7_T9_mT8_P12ihipStream_tbDpT10_ENKUlT_T0_E_clISt17integral_constantIbLb0EES19_IbLb1EEEEDaS15_S16_EUlS15_E_NS1_11comp_targetILNS1_3genE9ELNS1_11target_archE1100ELNS1_3gpuE3ELNS1_3repE0EEENS1_30default_config_static_selectorELNS0_4arch9wavefront6targetE1EEEvT1_,"axG",@progbits,_ZN7rocprim17ROCPRIM_400000_NS6detail17trampoline_kernelINS0_14default_configENS1_25partition_config_selectorILNS1_17partition_subalgoE9EllbEEZZNS1_14partition_implILS5_9ELb0ES3_jPlS8_PNS0_10empty_typeENS0_5tupleIJS8_S9_EEENSB_IJS8_SA_EEENS0_18inequality_wrapperIZN2at6native12_GLOBAL__N_124unique_dim_cuda_templateIlEESt5tupleIJNSF_6TensorESK_SK_EERKSK_lbbbEUlllE0_EEPmJS9_EEE10hipError_tPvRmT3_T4_T5_T6_T7_T9_mT8_P12ihipStream_tbDpT10_ENKUlT_T0_E_clISt17integral_constantIbLb0EES19_IbLb1EEEEDaS15_S16_EUlS15_E_NS1_11comp_targetILNS1_3genE9ELNS1_11target_archE1100ELNS1_3gpuE3ELNS1_3repE0EEENS1_30default_config_static_selectorELNS0_4arch9wavefront6targetE1EEEvT1_,comdat
.Lfunc_end625:
	.size	_ZN7rocprim17ROCPRIM_400000_NS6detail17trampoline_kernelINS0_14default_configENS1_25partition_config_selectorILNS1_17partition_subalgoE9EllbEEZZNS1_14partition_implILS5_9ELb0ES3_jPlS8_PNS0_10empty_typeENS0_5tupleIJS8_S9_EEENSB_IJS8_SA_EEENS0_18inequality_wrapperIZN2at6native12_GLOBAL__N_124unique_dim_cuda_templateIlEESt5tupleIJNSF_6TensorESK_SK_EERKSK_lbbbEUlllE0_EEPmJS9_EEE10hipError_tPvRmT3_T4_T5_T6_T7_T9_mT8_P12ihipStream_tbDpT10_ENKUlT_T0_E_clISt17integral_constantIbLb0EES19_IbLb1EEEEDaS15_S16_EUlS15_E_NS1_11comp_targetILNS1_3genE9ELNS1_11target_archE1100ELNS1_3gpuE3ELNS1_3repE0EEENS1_30default_config_static_selectorELNS0_4arch9wavefront6targetE1EEEvT1_, .Lfunc_end625-_ZN7rocprim17ROCPRIM_400000_NS6detail17trampoline_kernelINS0_14default_configENS1_25partition_config_selectorILNS1_17partition_subalgoE9EllbEEZZNS1_14partition_implILS5_9ELb0ES3_jPlS8_PNS0_10empty_typeENS0_5tupleIJS8_S9_EEENSB_IJS8_SA_EEENS0_18inequality_wrapperIZN2at6native12_GLOBAL__N_124unique_dim_cuda_templateIlEESt5tupleIJNSF_6TensorESK_SK_EERKSK_lbbbEUlllE0_EEPmJS9_EEE10hipError_tPvRmT3_T4_T5_T6_T7_T9_mT8_P12ihipStream_tbDpT10_ENKUlT_T0_E_clISt17integral_constantIbLb0EES19_IbLb1EEEEDaS15_S16_EUlS15_E_NS1_11comp_targetILNS1_3genE9ELNS1_11target_archE1100ELNS1_3gpuE3ELNS1_3repE0EEENS1_30default_config_static_selectorELNS0_4arch9wavefront6targetE1EEEvT1_
                                        ; -- End function
	.section	.AMDGPU.csdata,"",@progbits
; Kernel info:
; codeLenInByte = 0
; NumSgprs: 4
; NumVgprs: 0
; NumAgprs: 0
; TotalNumVgprs: 0
; ScratchSize: 0
; MemoryBound: 0
; FloatMode: 240
; IeeeMode: 1
; LDSByteSize: 0 bytes/workgroup (compile time only)
; SGPRBlocks: 0
; VGPRBlocks: 0
; NumSGPRsForWavesPerEU: 4
; NumVGPRsForWavesPerEU: 1
; AccumOffset: 4
; Occupancy: 8
; WaveLimiterHint : 0
; COMPUTE_PGM_RSRC2:SCRATCH_EN: 0
; COMPUTE_PGM_RSRC2:USER_SGPR: 6
; COMPUTE_PGM_RSRC2:TRAP_HANDLER: 0
; COMPUTE_PGM_RSRC2:TGID_X_EN: 1
; COMPUTE_PGM_RSRC2:TGID_Y_EN: 0
; COMPUTE_PGM_RSRC2:TGID_Z_EN: 0
; COMPUTE_PGM_RSRC2:TIDIG_COMP_CNT: 0
; COMPUTE_PGM_RSRC3_GFX90A:ACCUM_OFFSET: 0
; COMPUTE_PGM_RSRC3_GFX90A:TG_SPLIT: 0
	.section	.text._ZN7rocprim17ROCPRIM_400000_NS6detail17trampoline_kernelINS0_14default_configENS1_25partition_config_selectorILNS1_17partition_subalgoE9EllbEEZZNS1_14partition_implILS5_9ELb0ES3_jPlS8_PNS0_10empty_typeENS0_5tupleIJS8_S9_EEENSB_IJS8_SA_EEENS0_18inequality_wrapperIZN2at6native12_GLOBAL__N_124unique_dim_cuda_templateIlEESt5tupleIJNSF_6TensorESK_SK_EERKSK_lbbbEUlllE0_EEPmJS9_EEE10hipError_tPvRmT3_T4_T5_T6_T7_T9_mT8_P12ihipStream_tbDpT10_ENKUlT_T0_E_clISt17integral_constantIbLb0EES19_IbLb1EEEEDaS15_S16_EUlS15_E_NS1_11comp_targetILNS1_3genE8ELNS1_11target_archE1030ELNS1_3gpuE2ELNS1_3repE0EEENS1_30default_config_static_selectorELNS0_4arch9wavefront6targetE1EEEvT1_,"axG",@progbits,_ZN7rocprim17ROCPRIM_400000_NS6detail17trampoline_kernelINS0_14default_configENS1_25partition_config_selectorILNS1_17partition_subalgoE9EllbEEZZNS1_14partition_implILS5_9ELb0ES3_jPlS8_PNS0_10empty_typeENS0_5tupleIJS8_S9_EEENSB_IJS8_SA_EEENS0_18inequality_wrapperIZN2at6native12_GLOBAL__N_124unique_dim_cuda_templateIlEESt5tupleIJNSF_6TensorESK_SK_EERKSK_lbbbEUlllE0_EEPmJS9_EEE10hipError_tPvRmT3_T4_T5_T6_T7_T9_mT8_P12ihipStream_tbDpT10_ENKUlT_T0_E_clISt17integral_constantIbLb0EES19_IbLb1EEEEDaS15_S16_EUlS15_E_NS1_11comp_targetILNS1_3genE8ELNS1_11target_archE1030ELNS1_3gpuE2ELNS1_3repE0EEENS1_30default_config_static_selectorELNS0_4arch9wavefront6targetE1EEEvT1_,comdat
	.globl	_ZN7rocprim17ROCPRIM_400000_NS6detail17trampoline_kernelINS0_14default_configENS1_25partition_config_selectorILNS1_17partition_subalgoE9EllbEEZZNS1_14partition_implILS5_9ELb0ES3_jPlS8_PNS0_10empty_typeENS0_5tupleIJS8_S9_EEENSB_IJS8_SA_EEENS0_18inequality_wrapperIZN2at6native12_GLOBAL__N_124unique_dim_cuda_templateIlEESt5tupleIJNSF_6TensorESK_SK_EERKSK_lbbbEUlllE0_EEPmJS9_EEE10hipError_tPvRmT3_T4_T5_T6_T7_T9_mT8_P12ihipStream_tbDpT10_ENKUlT_T0_E_clISt17integral_constantIbLb0EES19_IbLb1EEEEDaS15_S16_EUlS15_E_NS1_11comp_targetILNS1_3genE8ELNS1_11target_archE1030ELNS1_3gpuE2ELNS1_3repE0EEENS1_30default_config_static_selectorELNS0_4arch9wavefront6targetE1EEEvT1_ ; -- Begin function _ZN7rocprim17ROCPRIM_400000_NS6detail17trampoline_kernelINS0_14default_configENS1_25partition_config_selectorILNS1_17partition_subalgoE9EllbEEZZNS1_14partition_implILS5_9ELb0ES3_jPlS8_PNS0_10empty_typeENS0_5tupleIJS8_S9_EEENSB_IJS8_SA_EEENS0_18inequality_wrapperIZN2at6native12_GLOBAL__N_124unique_dim_cuda_templateIlEESt5tupleIJNSF_6TensorESK_SK_EERKSK_lbbbEUlllE0_EEPmJS9_EEE10hipError_tPvRmT3_T4_T5_T6_T7_T9_mT8_P12ihipStream_tbDpT10_ENKUlT_T0_E_clISt17integral_constantIbLb0EES19_IbLb1EEEEDaS15_S16_EUlS15_E_NS1_11comp_targetILNS1_3genE8ELNS1_11target_archE1030ELNS1_3gpuE2ELNS1_3repE0EEENS1_30default_config_static_selectorELNS0_4arch9wavefront6targetE1EEEvT1_
	.p2align	8
	.type	_ZN7rocprim17ROCPRIM_400000_NS6detail17trampoline_kernelINS0_14default_configENS1_25partition_config_selectorILNS1_17partition_subalgoE9EllbEEZZNS1_14partition_implILS5_9ELb0ES3_jPlS8_PNS0_10empty_typeENS0_5tupleIJS8_S9_EEENSB_IJS8_SA_EEENS0_18inequality_wrapperIZN2at6native12_GLOBAL__N_124unique_dim_cuda_templateIlEESt5tupleIJNSF_6TensorESK_SK_EERKSK_lbbbEUlllE0_EEPmJS9_EEE10hipError_tPvRmT3_T4_T5_T6_T7_T9_mT8_P12ihipStream_tbDpT10_ENKUlT_T0_E_clISt17integral_constantIbLb0EES19_IbLb1EEEEDaS15_S16_EUlS15_E_NS1_11comp_targetILNS1_3genE8ELNS1_11target_archE1030ELNS1_3gpuE2ELNS1_3repE0EEENS1_30default_config_static_selectorELNS0_4arch9wavefront6targetE1EEEvT1_,@function
_ZN7rocprim17ROCPRIM_400000_NS6detail17trampoline_kernelINS0_14default_configENS1_25partition_config_selectorILNS1_17partition_subalgoE9EllbEEZZNS1_14partition_implILS5_9ELb0ES3_jPlS8_PNS0_10empty_typeENS0_5tupleIJS8_S9_EEENSB_IJS8_SA_EEENS0_18inequality_wrapperIZN2at6native12_GLOBAL__N_124unique_dim_cuda_templateIlEESt5tupleIJNSF_6TensorESK_SK_EERKSK_lbbbEUlllE0_EEPmJS9_EEE10hipError_tPvRmT3_T4_T5_T6_T7_T9_mT8_P12ihipStream_tbDpT10_ENKUlT_T0_E_clISt17integral_constantIbLb0EES19_IbLb1EEEEDaS15_S16_EUlS15_E_NS1_11comp_targetILNS1_3genE8ELNS1_11target_archE1030ELNS1_3gpuE2ELNS1_3repE0EEENS1_30default_config_static_selectorELNS0_4arch9wavefront6targetE1EEEvT1_: ; @_ZN7rocprim17ROCPRIM_400000_NS6detail17trampoline_kernelINS0_14default_configENS1_25partition_config_selectorILNS1_17partition_subalgoE9EllbEEZZNS1_14partition_implILS5_9ELb0ES3_jPlS8_PNS0_10empty_typeENS0_5tupleIJS8_S9_EEENSB_IJS8_SA_EEENS0_18inequality_wrapperIZN2at6native12_GLOBAL__N_124unique_dim_cuda_templateIlEESt5tupleIJNSF_6TensorESK_SK_EERKSK_lbbbEUlllE0_EEPmJS9_EEE10hipError_tPvRmT3_T4_T5_T6_T7_T9_mT8_P12ihipStream_tbDpT10_ENKUlT_T0_E_clISt17integral_constantIbLb0EES19_IbLb1EEEEDaS15_S16_EUlS15_E_NS1_11comp_targetILNS1_3genE8ELNS1_11target_archE1030ELNS1_3gpuE2ELNS1_3repE0EEENS1_30default_config_static_selectorELNS0_4arch9wavefront6targetE1EEEvT1_
; %bb.0:
	.section	.rodata,"a",@progbits
	.p2align	6, 0x0
	.amdhsa_kernel _ZN7rocprim17ROCPRIM_400000_NS6detail17trampoline_kernelINS0_14default_configENS1_25partition_config_selectorILNS1_17partition_subalgoE9EllbEEZZNS1_14partition_implILS5_9ELb0ES3_jPlS8_PNS0_10empty_typeENS0_5tupleIJS8_S9_EEENSB_IJS8_SA_EEENS0_18inequality_wrapperIZN2at6native12_GLOBAL__N_124unique_dim_cuda_templateIlEESt5tupleIJNSF_6TensorESK_SK_EERKSK_lbbbEUlllE0_EEPmJS9_EEE10hipError_tPvRmT3_T4_T5_T6_T7_T9_mT8_P12ihipStream_tbDpT10_ENKUlT_T0_E_clISt17integral_constantIbLb0EES19_IbLb1EEEEDaS15_S16_EUlS15_E_NS1_11comp_targetILNS1_3genE8ELNS1_11target_archE1030ELNS1_3gpuE2ELNS1_3repE0EEENS1_30default_config_static_selectorELNS0_4arch9wavefront6targetE1EEEvT1_
		.amdhsa_group_segment_fixed_size 0
		.amdhsa_private_segment_fixed_size 0
		.amdhsa_kernarg_size 136
		.amdhsa_user_sgpr_count 6
		.amdhsa_user_sgpr_private_segment_buffer 1
		.amdhsa_user_sgpr_dispatch_ptr 0
		.amdhsa_user_sgpr_queue_ptr 0
		.amdhsa_user_sgpr_kernarg_segment_ptr 1
		.amdhsa_user_sgpr_dispatch_id 0
		.amdhsa_user_sgpr_flat_scratch_init 0
		.amdhsa_user_sgpr_kernarg_preload_length 0
		.amdhsa_user_sgpr_kernarg_preload_offset 0
		.amdhsa_user_sgpr_private_segment_size 0
		.amdhsa_uses_dynamic_stack 0
		.amdhsa_system_sgpr_private_segment_wavefront_offset 0
		.amdhsa_system_sgpr_workgroup_id_x 1
		.amdhsa_system_sgpr_workgroup_id_y 0
		.amdhsa_system_sgpr_workgroup_id_z 0
		.amdhsa_system_sgpr_workgroup_info 0
		.amdhsa_system_vgpr_workitem_id 0
		.amdhsa_next_free_vgpr 1
		.amdhsa_next_free_sgpr 0
		.amdhsa_accum_offset 4
		.amdhsa_reserve_vcc 0
		.amdhsa_reserve_flat_scratch 0
		.amdhsa_float_round_mode_32 0
		.amdhsa_float_round_mode_16_64 0
		.amdhsa_float_denorm_mode_32 3
		.amdhsa_float_denorm_mode_16_64 3
		.amdhsa_dx10_clamp 1
		.amdhsa_ieee_mode 1
		.amdhsa_fp16_overflow 0
		.amdhsa_tg_split 0
		.amdhsa_exception_fp_ieee_invalid_op 0
		.amdhsa_exception_fp_denorm_src 0
		.amdhsa_exception_fp_ieee_div_zero 0
		.amdhsa_exception_fp_ieee_overflow 0
		.amdhsa_exception_fp_ieee_underflow 0
		.amdhsa_exception_fp_ieee_inexact 0
		.amdhsa_exception_int_div_zero 0
	.end_amdhsa_kernel
	.section	.text._ZN7rocprim17ROCPRIM_400000_NS6detail17trampoline_kernelINS0_14default_configENS1_25partition_config_selectorILNS1_17partition_subalgoE9EllbEEZZNS1_14partition_implILS5_9ELb0ES3_jPlS8_PNS0_10empty_typeENS0_5tupleIJS8_S9_EEENSB_IJS8_SA_EEENS0_18inequality_wrapperIZN2at6native12_GLOBAL__N_124unique_dim_cuda_templateIlEESt5tupleIJNSF_6TensorESK_SK_EERKSK_lbbbEUlllE0_EEPmJS9_EEE10hipError_tPvRmT3_T4_T5_T6_T7_T9_mT8_P12ihipStream_tbDpT10_ENKUlT_T0_E_clISt17integral_constantIbLb0EES19_IbLb1EEEEDaS15_S16_EUlS15_E_NS1_11comp_targetILNS1_3genE8ELNS1_11target_archE1030ELNS1_3gpuE2ELNS1_3repE0EEENS1_30default_config_static_selectorELNS0_4arch9wavefront6targetE1EEEvT1_,"axG",@progbits,_ZN7rocprim17ROCPRIM_400000_NS6detail17trampoline_kernelINS0_14default_configENS1_25partition_config_selectorILNS1_17partition_subalgoE9EllbEEZZNS1_14partition_implILS5_9ELb0ES3_jPlS8_PNS0_10empty_typeENS0_5tupleIJS8_S9_EEENSB_IJS8_SA_EEENS0_18inequality_wrapperIZN2at6native12_GLOBAL__N_124unique_dim_cuda_templateIlEESt5tupleIJNSF_6TensorESK_SK_EERKSK_lbbbEUlllE0_EEPmJS9_EEE10hipError_tPvRmT3_T4_T5_T6_T7_T9_mT8_P12ihipStream_tbDpT10_ENKUlT_T0_E_clISt17integral_constantIbLb0EES19_IbLb1EEEEDaS15_S16_EUlS15_E_NS1_11comp_targetILNS1_3genE8ELNS1_11target_archE1030ELNS1_3gpuE2ELNS1_3repE0EEENS1_30default_config_static_selectorELNS0_4arch9wavefront6targetE1EEEvT1_,comdat
.Lfunc_end626:
	.size	_ZN7rocprim17ROCPRIM_400000_NS6detail17trampoline_kernelINS0_14default_configENS1_25partition_config_selectorILNS1_17partition_subalgoE9EllbEEZZNS1_14partition_implILS5_9ELb0ES3_jPlS8_PNS0_10empty_typeENS0_5tupleIJS8_S9_EEENSB_IJS8_SA_EEENS0_18inequality_wrapperIZN2at6native12_GLOBAL__N_124unique_dim_cuda_templateIlEESt5tupleIJNSF_6TensorESK_SK_EERKSK_lbbbEUlllE0_EEPmJS9_EEE10hipError_tPvRmT3_T4_T5_T6_T7_T9_mT8_P12ihipStream_tbDpT10_ENKUlT_T0_E_clISt17integral_constantIbLb0EES19_IbLb1EEEEDaS15_S16_EUlS15_E_NS1_11comp_targetILNS1_3genE8ELNS1_11target_archE1030ELNS1_3gpuE2ELNS1_3repE0EEENS1_30default_config_static_selectorELNS0_4arch9wavefront6targetE1EEEvT1_, .Lfunc_end626-_ZN7rocprim17ROCPRIM_400000_NS6detail17trampoline_kernelINS0_14default_configENS1_25partition_config_selectorILNS1_17partition_subalgoE9EllbEEZZNS1_14partition_implILS5_9ELb0ES3_jPlS8_PNS0_10empty_typeENS0_5tupleIJS8_S9_EEENSB_IJS8_SA_EEENS0_18inequality_wrapperIZN2at6native12_GLOBAL__N_124unique_dim_cuda_templateIlEESt5tupleIJNSF_6TensorESK_SK_EERKSK_lbbbEUlllE0_EEPmJS9_EEE10hipError_tPvRmT3_T4_T5_T6_T7_T9_mT8_P12ihipStream_tbDpT10_ENKUlT_T0_E_clISt17integral_constantIbLb0EES19_IbLb1EEEEDaS15_S16_EUlS15_E_NS1_11comp_targetILNS1_3genE8ELNS1_11target_archE1030ELNS1_3gpuE2ELNS1_3repE0EEENS1_30default_config_static_selectorELNS0_4arch9wavefront6targetE1EEEvT1_
                                        ; -- End function
	.section	.AMDGPU.csdata,"",@progbits
; Kernel info:
; codeLenInByte = 0
; NumSgprs: 4
; NumVgprs: 0
; NumAgprs: 0
; TotalNumVgprs: 0
; ScratchSize: 0
; MemoryBound: 0
; FloatMode: 240
; IeeeMode: 1
; LDSByteSize: 0 bytes/workgroup (compile time only)
; SGPRBlocks: 0
; VGPRBlocks: 0
; NumSGPRsForWavesPerEU: 4
; NumVGPRsForWavesPerEU: 1
; AccumOffset: 4
; Occupancy: 8
; WaveLimiterHint : 0
; COMPUTE_PGM_RSRC2:SCRATCH_EN: 0
; COMPUTE_PGM_RSRC2:USER_SGPR: 6
; COMPUTE_PGM_RSRC2:TRAP_HANDLER: 0
; COMPUTE_PGM_RSRC2:TGID_X_EN: 1
; COMPUTE_PGM_RSRC2:TGID_Y_EN: 0
; COMPUTE_PGM_RSRC2:TGID_Z_EN: 0
; COMPUTE_PGM_RSRC2:TIDIG_COMP_CNT: 0
; COMPUTE_PGM_RSRC3_GFX90A:ACCUM_OFFSET: 0
; COMPUTE_PGM_RSRC3_GFX90A:TG_SPLIT: 0
	.section	.text._ZN7rocprim17ROCPRIM_400000_NS6detail17trampoline_kernelINS0_14default_configENS1_37merge_sort_block_sort_config_selectorIlNS0_10empty_typeEEEZNS1_21merge_sort_block_sortIS3_PlS8_PS5_S9_ZN2at6native12_GLOBAL__N_124unique_dim_cuda_templateIsEESt5tupleIJNSA_6TensorESF_SF_EERKSF_lbbbEUlllE_EE10hipError_tT0_T1_T2_T3_mRjT4_P12ihipStream_tbNS1_7vsmem_tEEUlT_E_NS1_11comp_targetILNS1_3genE0ELNS1_11target_archE4294967295ELNS1_3gpuE0ELNS1_3repE0EEENS1_30default_config_static_selectorELNS0_4arch9wavefront6targetE1EEEvSM_,"axG",@progbits,_ZN7rocprim17ROCPRIM_400000_NS6detail17trampoline_kernelINS0_14default_configENS1_37merge_sort_block_sort_config_selectorIlNS0_10empty_typeEEEZNS1_21merge_sort_block_sortIS3_PlS8_PS5_S9_ZN2at6native12_GLOBAL__N_124unique_dim_cuda_templateIsEESt5tupleIJNSA_6TensorESF_SF_EERKSF_lbbbEUlllE_EE10hipError_tT0_T1_T2_T3_mRjT4_P12ihipStream_tbNS1_7vsmem_tEEUlT_E_NS1_11comp_targetILNS1_3genE0ELNS1_11target_archE4294967295ELNS1_3gpuE0ELNS1_3repE0EEENS1_30default_config_static_selectorELNS0_4arch9wavefront6targetE1EEEvSM_,comdat
	.globl	_ZN7rocprim17ROCPRIM_400000_NS6detail17trampoline_kernelINS0_14default_configENS1_37merge_sort_block_sort_config_selectorIlNS0_10empty_typeEEEZNS1_21merge_sort_block_sortIS3_PlS8_PS5_S9_ZN2at6native12_GLOBAL__N_124unique_dim_cuda_templateIsEESt5tupleIJNSA_6TensorESF_SF_EERKSF_lbbbEUlllE_EE10hipError_tT0_T1_T2_T3_mRjT4_P12ihipStream_tbNS1_7vsmem_tEEUlT_E_NS1_11comp_targetILNS1_3genE0ELNS1_11target_archE4294967295ELNS1_3gpuE0ELNS1_3repE0EEENS1_30default_config_static_selectorELNS0_4arch9wavefront6targetE1EEEvSM_ ; -- Begin function _ZN7rocprim17ROCPRIM_400000_NS6detail17trampoline_kernelINS0_14default_configENS1_37merge_sort_block_sort_config_selectorIlNS0_10empty_typeEEEZNS1_21merge_sort_block_sortIS3_PlS8_PS5_S9_ZN2at6native12_GLOBAL__N_124unique_dim_cuda_templateIsEESt5tupleIJNSA_6TensorESF_SF_EERKSF_lbbbEUlllE_EE10hipError_tT0_T1_T2_T3_mRjT4_P12ihipStream_tbNS1_7vsmem_tEEUlT_E_NS1_11comp_targetILNS1_3genE0ELNS1_11target_archE4294967295ELNS1_3gpuE0ELNS1_3repE0EEENS1_30default_config_static_selectorELNS0_4arch9wavefront6targetE1EEEvSM_
	.p2align	8
	.type	_ZN7rocprim17ROCPRIM_400000_NS6detail17trampoline_kernelINS0_14default_configENS1_37merge_sort_block_sort_config_selectorIlNS0_10empty_typeEEEZNS1_21merge_sort_block_sortIS3_PlS8_PS5_S9_ZN2at6native12_GLOBAL__N_124unique_dim_cuda_templateIsEESt5tupleIJNSA_6TensorESF_SF_EERKSF_lbbbEUlllE_EE10hipError_tT0_T1_T2_T3_mRjT4_P12ihipStream_tbNS1_7vsmem_tEEUlT_E_NS1_11comp_targetILNS1_3genE0ELNS1_11target_archE4294967295ELNS1_3gpuE0ELNS1_3repE0EEENS1_30default_config_static_selectorELNS0_4arch9wavefront6targetE1EEEvSM_,@function
_ZN7rocprim17ROCPRIM_400000_NS6detail17trampoline_kernelINS0_14default_configENS1_37merge_sort_block_sort_config_selectorIlNS0_10empty_typeEEEZNS1_21merge_sort_block_sortIS3_PlS8_PS5_S9_ZN2at6native12_GLOBAL__N_124unique_dim_cuda_templateIsEESt5tupleIJNSA_6TensorESF_SF_EERKSF_lbbbEUlllE_EE10hipError_tT0_T1_T2_T3_mRjT4_P12ihipStream_tbNS1_7vsmem_tEEUlT_E_NS1_11comp_targetILNS1_3genE0ELNS1_11target_archE4294967295ELNS1_3gpuE0ELNS1_3repE0EEENS1_30default_config_static_selectorELNS0_4arch9wavefront6targetE1EEEvSM_: ; @_ZN7rocprim17ROCPRIM_400000_NS6detail17trampoline_kernelINS0_14default_configENS1_37merge_sort_block_sort_config_selectorIlNS0_10empty_typeEEEZNS1_21merge_sort_block_sortIS3_PlS8_PS5_S9_ZN2at6native12_GLOBAL__N_124unique_dim_cuda_templateIsEESt5tupleIJNSA_6TensorESF_SF_EERKSF_lbbbEUlllE_EE10hipError_tT0_T1_T2_T3_mRjT4_P12ihipStream_tbNS1_7vsmem_tEEUlT_E_NS1_11comp_targetILNS1_3genE0ELNS1_11target_archE4294967295ELNS1_3gpuE0ELNS1_3repE0EEENS1_30default_config_static_selectorELNS0_4arch9wavefront6targetE1EEEvSM_
; %bb.0:
	.section	.rodata,"a",@progbits
	.p2align	6, 0x0
	.amdhsa_kernel _ZN7rocprim17ROCPRIM_400000_NS6detail17trampoline_kernelINS0_14default_configENS1_37merge_sort_block_sort_config_selectorIlNS0_10empty_typeEEEZNS1_21merge_sort_block_sortIS3_PlS8_PS5_S9_ZN2at6native12_GLOBAL__N_124unique_dim_cuda_templateIsEESt5tupleIJNSA_6TensorESF_SF_EERKSF_lbbbEUlllE_EE10hipError_tT0_T1_T2_T3_mRjT4_P12ihipStream_tbNS1_7vsmem_tEEUlT_E_NS1_11comp_targetILNS1_3genE0ELNS1_11target_archE4294967295ELNS1_3gpuE0ELNS1_3repE0EEENS1_30default_config_static_selectorELNS0_4arch9wavefront6targetE1EEEvSM_
		.amdhsa_group_segment_fixed_size 0
		.amdhsa_private_segment_fixed_size 0
		.amdhsa_kernarg_size 72
		.amdhsa_user_sgpr_count 6
		.amdhsa_user_sgpr_private_segment_buffer 1
		.amdhsa_user_sgpr_dispatch_ptr 0
		.amdhsa_user_sgpr_queue_ptr 0
		.amdhsa_user_sgpr_kernarg_segment_ptr 1
		.amdhsa_user_sgpr_dispatch_id 0
		.amdhsa_user_sgpr_flat_scratch_init 0
		.amdhsa_user_sgpr_kernarg_preload_length 0
		.amdhsa_user_sgpr_kernarg_preload_offset 0
		.amdhsa_user_sgpr_private_segment_size 0
		.amdhsa_uses_dynamic_stack 0
		.amdhsa_system_sgpr_private_segment_wavefront_offset 0
		.amdhsa_system_sgpr_workgroup_id_x 1
		.amdhsa_system_sgpr_workgroup_id_y 0
		.amdhsa_system_sgpr_workgroup_id_z 0
		.amdhsa_system_sgpr_workgroup_info 0
		.amdhsa_system_vgpr_workitem_id 0
		.amdhsa_next_free_vgpr 1
		.amdhsa_next_free_sgpr 0
		.amdhsa_accum_offset 4
		.amdhsa_reserve_vcc 0
		.amdhsa_reserve_flat_scratch 0
		.amdhsa_float_round_mode_32 0
		.amdhsa_float_round_mode_16_64 0
		.amdhsa_float_denorm_mode_32 3
		.amdhsa_float_denorm_mode_16_64 3
		.amdhsa_dx10_clamp 1
		.amdhsa_ieee_mode 1
		.amdhsa_fp16_overflow 0
		.amdhsa_tg_split 0
		.amdhsa_exception_fp_ieee_invalid_op 0
		.amdhsa_exception_fp_denorm_src 0
		.amdhsa_exception_fp_ieee_div_zero 0
		.amdhsa_exception_fp_ieee_overflow 0
		.amdhsa_exception_fp_ieee_underflow 0
		.amdhsa_exception_fp_ieee_inexact 0
		.amdhsa_exception_int_div_zero 0
	.end_amdhsa_kernel
	.section	.text._ZN7rocprim17ROCPRIM_400000_NS6detail17trampoline_kernelINS0_14default_configENS1_37merge_sort_block_sort_config_selectorIlNS0_10empty_typeEEEZNS1_21merge_sort_block_sortIS3_PlS8_PS5_S9_ZN2at6native12_GLOBAL__N_124unique_dim_cuda_templateIsEESt5tupleIJNSA_6TensorESF_SF_EERKSF_lbbbEUlllE_EE10hipError_tT0_T1_T2_T3_mRjT4_P12ihipStream_tbNS1_7vsmem_tEEUlT_E_NS1_11comp_targetILNS1_3genE0ELNS1_11target_archE4294967295ELNS1_3gpuE0ELNS1_3repE0EEENS1_30default_config_static_selectorELNS0_4arch9wavefront6targetE1EEEvSM_,"axG",@progbits,_ZN7rocprim17ROCPRIM_400000_NS6detail17trampoline_kernelINS0_14default_configENS1_37merge_sort_block_sort_config_selectorIlNS0_10empty_typeEEEZNS1_21merge_sort_block_sortIS3_PlS8_PS5_S9_ZN2at6native12_GLOBAL__N_124unique_dim_cuda_templateIsEESt5tupleIJNSA_6TensorESF_SF_EERKSF_lbbbEUlllE_EE10hipError_tT0_T1_T2_T3_mRjT4_P12ihipStream_tbNS1_7vsmem_tEEUlT_E_NS1_11comp_targetILNS1_3genE0ELNS1_11target_archE4294967295ELNS1_3gpuE0ELNS1_3repE0EEENS1_30default_config_static_selectorELNS0_4arch9wavefront6targetE1EEEvSM_,comdat
.Lfunc_end627:
	.size	_ZN7rocprim17ROCPRIM_400000_NS6detail17trampoline_kernelINS0_14default_configENS1_37merge_sort_block_sort_config_selectorIlNS0_10empty_typeEEEZNS1_21merge_sort_block_sortIS3_PlS8_PS5_S9_ZN2at6native12_GLOBAL__N_124unique_dim_cuda_templateIsEESt5tupleIJNSA_6TensorESF_SF_EERKSF_lbbbEUlllE_EE10hipError_tT0_T1_T2_T3_mRjT4_P12ihipStream_tbNS1_7vsmem_tEEUlT_E_NS1_11comp_targetILNS1_3genE0ELNS1_11target_archE4294967295ELNS1_3gpuE0ELNS1_3repE0EEENS1_30default_config_static_selectorELNS0_4arch9wavefront6targetE1EEEvSM_, .Lfunc_end627-_ZN7rocprim17ROCPRIM_400000_NS6detail17trampoline_kernelINS0_14default_configENS1_37merge_sort_block_sort_config_selectorIlNS0_10empty_typeEEEZNS1_21merge_sort_block_sortIS3_PlS8_PS5_S9_ZN2at6native12_GLOBAL__N_124unique_dim_cuda_templateIsEESt5tupleIJNSA_6TensorESF_SF_EERKSF_lbbbEUlllE_EE10hipError_tT0_T1_T2_T3_mRjT4_P12ihipStream_tbNS1_7vsmem_tEEUlT_E_NS1_11comp_targetILNS1_3genE0ELNS1_11target_archE4294967295ELNS1_3gpuE0ELNS1_3repE0EEENS1_30default_config_static_selectorELNS0_4arch9wavefront6targetE1EEEvSM_
                                        ; -- End function
	.section	.AMDGPU.csdata,"",@progbits
; Kernel info:
; codeLenInByte = 0
; NumSgprs: 4
; NumVgprs: 0
; NumAgprs: 0
; TotalNumVgprs: 0
; ScratchSize: 0
; MemoryBound: 0
; FloatMode: 240
; IeeeMode: 1
; LDSByteSize: 0 bytes/workgroup (compile time only)
; SGPRBlocks: 0
; VGPRBlocks: 0
; NumSGPRsForWavesPerEU: 4
; NumVGPRsForWavesPerEU: 1
; AccumOffset: 4
; Occupancy: 8
; WaveLimiterHint : 0
; COMPUTE_PGM_RSRC2:SCRATCH_EN: 0
; COMPUTE_PGM_RSRC2:USER_SGPR: 6
; COMPUTE_PGM_RSRC2:TRAP_HANDLER: 0
; COMPUTE_PGM_RSRC2:TGID_X_EN: 1
; COMPUTE_PGM_RSRC2:TGID_Y_EN: 0
; COMPUTE_PGM_RSRC2:TGID_Z_EN: 0
; COMPUTE_PGM_RSRC2:TIDIG_COMP_CNT: 0
; COMPUTE_PGM_RSRC3_GFX90A:ACCUM_OFFSET: 0
; COMPUTE_PGM_RSRC3_GFX90A:TG_SPLIT: 0
	.section	.text._ZN7rocprim17ROCPRIM_400000_NS6detail17trampoline_kernelINS0_14default_configENS1_37merge_sort_block_sort_config_selectorIlNS0_10empty_typeEEEZNS1_21merge_sort_block_sortIS3_PlS8_PS5_S9_ZN2at6native12_GLOBAL__N_124unique_dim_cuda_templateIsEESt5tupleIJNSA_6TensorESF_SF_EERKSF_lbbbEUlllE_EE10hipError_tT0_T1_T2_T3_mRjT4_P12ihipStream_tbNS1_7vsmem_tEEUlT_E_NS1_11comp_targetILNS1_3genE5ELNS1_11target_archE942ELNS1_3gpuE9ELNS1_3repE0EEENS1_30default_config_static_selectorELNS0_4arch9wavefront6targetE1EEEvSM_,"axG",@progbits,_ZN7rocprim17ROCPRIM_400000_NS6detail17trampoline_kernelINS0_14default_configENS1_37merge_sort_block_sort_config_selectorIlNS0_10empty_typeEEEZNS1_21merge_sort_block_sortIS3_PlS8_PS5_S9_ZN2at6native12_GLOBAL__N_124unique_dim_cuda_templateIsEESt5tupleIJNSA_6TensorESF_SF_EERKSF_lbbbEUlllE_EE10hipError_tT0_T1_T2_T3_mRjT4_P12ihipStream_tbNS1_7vsmem_tEEUlT_E_NS1_11comp_targetILNS1_3genE5ELNS1_11target_archE942ELNS1_3gpuE9ELNS1_3repE0EEENS1_30default_config_static_selectorELNS0_4arch9wavefront6targetE1EEEvSM_,comdat
	.globl	_ZN7rocprim17ROCPRIM_400000_NS6detail17trampoline_kernelINS0_14default_configENS1_37merge_sort_block_sort_config_selectorIlNS0_10empty_typeEEEZNS1_21merge_sort_block_sortIS3_PlS8_PS5_S9_ZN2at6native12_GLOBAL__N_124unique_dim_cuda_templateIsEESt5tupleIJNSA_6TensorESF_SF_EERKSF_lbbbEUlllE_EE10hipError_tT0_T1_T2_T3_mRjT4_P12ihipStream_tbNS1_7vsmem_tEEUlT_E_NS1_11comp_targetILNS1_3genE5ELNS1_11target_archE942ELNS1_3gpuE9ELNS1_3repE0EEENS1_30default_config_static_selectorELNS0_4arch9wavefront6targetE1EEEvSM_ ; -- Begin function _ZN7rocprim17ROCPRIM_400000_NS6detail17trampoline_kernelINS0_14default_configENS1_37merge_sort_block_sort_config_selectorIlNS0_10empty_typeEEEZNS1_21merge_sort_block_sortIS3_PlS8_PS5_S9_ZN2at6native12_GLOBAL__N_124unique_dim_cuda_templateIsEESt5tupleIJNSA_6TensorESF_SF_EERKSF_lbbbEUlllE_EE10hipError_tT0_T1_T2_T3_mRjT4_P12ihipStream_tbNS1_7vsmem_tEEUlT_E_NS1_11comp_targetILNS1_3genE5ELNS1_11target_archE942ELNS1_3gpuE9ELNS1_3repE0EEENS1_30default_config_static_selectorELNS0_4arch9wavefront6targetE1EEEvSM_
	.p2align	8
	.type	_ZN7rocprim17ROCPRIM_400000_NS6detail17trampoline_kernelINS0_14default_configENS1_37merge_sort_block_sort_config_selectorIlNS0_10empty_typeEEEZNS1_21merge_sort_block_sortIS3_PlS8_PS5_S9_ZN2at6native12_GLOBAL__N_124unique_dim_cuda_templateIsEESt5tupleIJNSA_6TensorESF_SF_EERKSF_lbbbEUlllE_EE10hipError_tT0_T1_T2_T3_mRjT4_P12ihipStream_tbNS1_7vsmem_tEEUlT_E_NS1_11comp_targetILNS1_3genE5ELNS1_11target_archE942ELNS1_3gpuE9ELNS1_3repE0EEENS1_30default_config_static_selectorELNS0_4arch9wavefront6targetE1EEEvSM_,@function
_ZN7rocprim17ROCPRIM_400000_NS6detail17trampoline_kernelINS0_14default_configENS1_37merge_sort_block_sort_config_selectorIlNS0_10empty_typeEEEZNS1_21merge_sort_block_sortIS3_PlS8_PS5_S9_ZN2at6native12_GLOBAL__N_124unique_dim_cuda_templateIsEESt5tupleIJNSA_6TensorESF_SF_EERKSF_lbbbEUlllE_EE10hipError_tT0_T1_T2_T3_mRjT4_P12ihipStream_tbNS1_7vsmem_tEEUlT_E_NS1_11comp_targetILNS1_3genE5ELNS1_11target_archE942ELNS1_3gpuE9ELNS1_3repE0EEENS1_30default_config_static_selectorELNS0_4arch9wavefront6targetE1EEEvSM_: ; @_ZN7rocprim17ROCPRIM_400000_NS6detail17trampoline_kernelINS0_14default_configENS1_37merge_sort_block_sort_config_selectorIlNS0_10empty_typeEEEZNS1_21merge_sort_block_sortIS3_PlS8_PS5_S9_ZN2at6native12_GLOBAL__N_124unique_dim_cuda_templateIsEESt5tupleIJNSA_6TensorESF_SF_EERKSF_lbbbEUlllE_EE10hipError_tT0_T1_T2_T3_mRjT4_P12ihipStream_tbNS1_7vsmem_tEEUlT_E_NS1_11comp_targetILNS1_3genE5ELNS1_11target_archE942ELNS1_3gpuE9ELNS1_3repE0EEENS1_30default_config_static_selectorELNS0_4arch9wavefront6targetE1EEEvSM_
; %bb.0:
	.section	.rodata,"a",@progbits
	.p2align	6, 0x0
	.amdhsa_kernel _ZN7rocprim17ROCPRIM_400000_NS6detail17trampoline_kernelINS0_14default_configENS1_37merge_sort_block_sort_config_selectorIlNS0_10empty_typeEEEZNS1_21merge_sort_block_sortIS3_PlS8_PS5_S9_ZN2at6native12_GLOBAL__N_124unique_dim_cuda_templateIsEESt5tupleIJNSA_6TensorESF_SF_EERKSF_lbbbEUlllE_EE10hipError_tT0_T1_T2_T3_mRjT4_P12ihipStream_tbNS1_7vsmem_tEEUlT_E_NS1_11comp_targetILNS1_3genE5ELNS1_11target_archE942ELNS1_3gpuE9ELNS1_3repE0EEENS1_30default_config_static_selectorELNS0_4arch9wavefront6targetE1EEEvSM_
		.amdhsa_group_segment_fixed_size 0
		.amdhsa_private_segment_fixed_size 0
		.amdhsa_kernarg_size 72
		.amdhsa_user_sgpr_count 6
		.amdhsa_user_sgpr_private_segment_buffer 1
		.amdhsa_user_sgpr_dispatch_ptr 0
		.amdhsa_user_sgpr_queue_ptr 0
		.amdhsa_user_sgpr_kernarg_segment_ptr 1
		.amdhsa_user_sgpr_dispatch_id 0
		.amdhsa_user_sgpr_flat_scratch_init 0
		.amdhsa_user_sgpr_kernarg_preload_length 0
		.amdhsa_user_sgpr_kernarg_preload_offset 0
		.amdhsa_user_sgpr_private_segment_size 0
		.amdhsa_uses_dynamic_stack 0
		.amdhsa_system_sgpr_private_segment_wavefront_offset 0
		.amdhsa_system_sgpr_workgroup_id_x 1
		.amdhsa_system_sgpr_workgroup_id_y 0
		.amdhsa_system_sgpr_workgroup_id_z 0
		.amdhsa_system_sgpr_workgroup_info 0
		.amdhsa_system_vgpr_workitem_id 0
		.amdhsa_next_free_vgpr 1
		.amdhsa_next_free_sgpr 0
		.amdhsa_accum_offset 4
		.amdhsa_reserve_vcc 0
		.amdhsa_reserve_flat_scratch 0
		.amdhsa_float_round_mode_32 0
		.amdhsa_float_round_mode_16_64 0
		.amdhsa_float_denorm_mode_32 3
		.amdhsa_float_denorm_mode_16_64 3
		.amdhsa_dx10_clamp 1
		.amdhsa_ieee_mode 1
		.amdhsa_fp16_overflow 0
		.amdhsa_tg_split 0
		.amdhsa_exception_fp_ieee_invalid_op 0
		.amdhsa_exception_fp_denorm_src 0
		.amdhsa_exception_fp_ieee_div_zero 0
		.amdhsa_exception_fp_ieee_overflow 0
		.amdhsa_exception_fp_ieee_underflow 0
		.amdhsa_exception_fp_ieee_inexact 0
		.amdhsa_exception_int_div_zero 0
	.end_amdhsa_kernel
	.section	.text._ZN7rocprim17ROCPRIM_400000_NS6detail17trampoline_kernelINS0_14default_configENS1_37merge_sort_block_sort_config_selectorIlNS0_10empty_typeEEEZNS1_21merge_sort_block_sortIS3_PlS8_PS5_S9_ZN2at6native12_GLOBAL__N_124unique_dim_cuda_templateIsEESt5tupleIJNSA_6TensorESF_SF_EERKSF_lbbbEUlllE_EE10hipError_tT0_T1_T2_T3_mRjT4_P12ihipStream_tbNS1_7vsmem_tEEUlT_E_NS1_11comp_targetILNS1_3genE5ELNS1_11target_archE942ELNS1_3gpuE9ELNS1_3repE0EEENS1_30default_config_static_selectorELNS0_4arch9wavefront6targetE1EEEvSM_,"axG",@progbits,_ZN7rocprim17ROCPRIM_400000_NS6detail17trampoline_kernelINS0_14default_configENS1_37merge_sort_block_sort_config_selectorIlNS0_10empty_typeEEEZNS1_21merge_sort_block_sortIS3_PlS8_PS5_S9_ZN2at6native12_GLOBAL__N_124unique_dim_cuda_templateIsEESt5tupleIJNSA_6TensorESF_SF_EERKSF_lbbbEUlllE_EE10hipError_tT0_T1_T2_T3_mRjT4_P12ihipStream_tbNS1_7vsmem_tEEUlT_E_NS1_11comp_targetILNS1_3genE5ELNS1_11target_archE942ELNS1_3gpuE9ELNS1_3repE0EEENS1_30default_config_static_selectorELNS0_4arch9wavefront6targetE1EEEvSM_,comdat
.Lfunc_end628:
	.size	_ZN7rocprim17ROCPRIM_400000_NS6detail17trampoline_kernelINS0_14default_configENS1_37merge_sort_block_sort_config_selectorIlNS0_10empty_typeEEEZNS1_21merge_sort_block_sortIS3_PlS8_PS5_S9_ZN2at6native12_GLOBAL__N_124unique_dim_cuda_templateIsEESt5tupleIJNSA_6TensorESF_SF_EERKSF_lbbbEUlllE_EE10hipError_tT0_T1_T2_T3_mRjT4_P12ihipStream_tbNS1_7vsmem_tEEUlT_E_NS1_11comp_targetILNS1_3genE5ELNS1_11target_archE942ELNS1_3gpuE9ELNS1_3repE0EEENS1_30default_config_static_selectorELNS0_4arch9wavefront6targetE1EEEvSM_, .Lfunc_end628-_ZN7rocprim17ROCPRIM_400000_NS6detail17trampoline_kernelINS0_14default_configENS1_37merge_sort_block_sort_config_selectorIlNS0_10empty_typeEEEZNS1_21merge_sort_block_sortIS3_PlS8_PS5_S9_ZN2at6native12_GLOBAL__N_124unique_dim_cuda_templateIsEESt5tupleIJNSA_6TensorESF_SF_EERKSF_lbbbEUlllE_EE10hipError_tT0_T1_T2_T3_mRjT4_P12ihipStream_tbNS1_7vsmem_tEEUlT_E_NS1_11comp_targetILNS1_3genE5ELNS1_11target_archE942ELNS1_3gpuE9ELNS1_3repE0EEENS1_30default_config_static_selectorELNS0_4arch9wavefront6targetE1EEEvSM_
                                        ; -- End function
	.section	.AMDGPU.csdata,"",@progbits
; Kernel info:
; codeLenInByte = 0
; NumSgprs: 4
; NumVgprs: 0
; NumAgprs: 0
; TotalNumVgprs: 0
; ScratchSize: 0
; MemoryBound: 0
; FloatMode: 240
; IeeeMode: 1
; LDSByteSize: 0 bytes/workgroup (compile time only)
; SGPRBlocks: 0
; VGPRBlocks: 0
; NumSGPRsForWavesPerEU: 4
; NumVGPRsForWavesPerEU: 1
; AccumOffset: 4
; Occupancy: 8
; WaveLimiterHint : 0
; COMPUTE_PGM_RSRC2:SCRATCH_EN: 0
; COMPUTE_PGM_RSRC2:USER_SGPR: 6
; COMPUTE_PGM_RSRC2:TRAP_HANDLER: 0
; COMPUTE_PGM_RSRC2:TGID_X_EN: 1
; COMPUTE_PGM_RSRC2:TGID_Y_EN: 0
; COMPUTE_PGM_RSRC2:TGID_Z_EN: 0
; COMPUTE_PGM_RSRC2:TIDIG_COMP_CNT: 0
; COMPUTE_PGM_RSRC3_GFX90A:ACCUM_OFFSET: 0
; COMPUTE_PGM_RSRC3_GFX90A:TG_SPLIT: 0
	.section	.text._ZN7rocprim17ROCPRIM_400000_NS6detail17trampoline_kernelINS0_14default_configENS1_37merge_sort_block_sort_config_selectorIlNS0_10empty_typeEEEZNS1_21merge_sort_block_sortIS3_PlS8_PS5_S9_ZN2at6native12_GLOBAL__N_124unique_dim_cuda_templateIsEESt5tupleIJNSA_6TensorESF_SF_EERKSF_lbbbEUlllE_EE10hipError_tT0_T1_T2_T3_mRjT4_P12ihipStream_tbNS1_7vsmem_tEEUlT_E_NS1_11comp_targetILNS1_3genE4ELNS1_11target_archE910ELNS1_3gpuE8ELNS1_3repE0EEENS1_30default_config_static_selectorELNS0_4arch9wavefront6targetE1EEEvSM_,"axG",@progbits,_ZN7rocprim17ROCPRIM_400000_NS6detail17trampoline_kernelINS0_14default_configENS1_37merge_sort_block_sort_config_selectorIlNS0_10empty_typeEEEZNS1_21merge_sort_block_sortIS3_PlS8_PS5_S9_ZN2at6native12_GLOBAL__N_124unique_dim_cuda_templateIsEESt5tupleIJNSA_6TensorESF_SF_EERKSF_lbbbEUlllE_EE10hipError_tT0_T1_T2_T3_mRjT4_P12ihipStream_tbNS1_7vsmem_tEEUlT_E_NS1_11comp_targetILNS1_3genE4ELNS1_11target_archE910ELNS1_3gpuE8ELNS1_3repE0EEENS1_30default_config_static_selectorELNS0_4arch9wavefront6targetE1EEEvSM_,comdat
	.globl	_ZN7rocprim17ROCPRIM_400000_NS6detail17trampoline_kernelINS0_14default_configENS1_37merge_sort_block_sort_config_selectorIlNS0_10empty_typeEEEZNS1_21merge_sort_block_sortIS3_PlS8_PS5_S9_ZN2at6native12_GLOBAL__N_124unique_dim_cuda_templateIsEESt5tupleIJNSA_6TensorESF_SF_EERKSF_lbbbEUlllE_EE10hipError_tT0_T1_T2_T3_mRjT4_P12ihipStream_tbNS1_7vsmem_tEEUlT_E_NS1_11comp_targetILNS1_3genE4ELNS1_11target_archE910ELNS1_3gpuE8ELNS1_3repE0EEENS1_30default_config_static_selectorELNS0_4arch9wavefront6targetE1EEEvSM_ ; -- Begin function _ZN7rocprim17ROCPRIM_400000_NS6detail17trampoline_kernelINS0_14default_configENS1_37merge_sort_block_sort_config_selectorIlNS0_10empty_typeEEEZNS1_21merge_sort_block_sortIS3_PlS8_PS5_S9_ZN2at6native12_GLOBAL__N_124unique_dim_cuda_templateIsEESt5tupleIJNSA_6TensorESF_SF_EERKSF_lbbbEUlllE_EE10hipError_tT0_T1_T2_T3_mRjT4_P12ihipStream_tbNS1_7vsmem_tEEUlT_E_NS1_11comp_targetILNS1_3genE4ELNS1_11target_archE910ELNS1_3gpuE8ELNS1_3repE0EEENS1_30default_config_static_selectorELNS0_4arch9wavefront6targetE1EEEvSM_
	.p2align	8
	.type	_ZN7rocprim17ROCPRIM_400000_NS6detail17trampoline_kernelINS0_14default_configENS1_37merge_sort_block_sort_config_selectorIlNS0_10empty_typeEEEZNS1_21merge_sort_block_sortIS3_PlS8_PS5_S9_ZN2at6native12_GLOBAL__N_124unique_dim_cuda_templateIsEESt5tupleIJNSA_6TensorESF_SF_EERKSF_lbbbEUlllE_EE10hipError_tT0_T1_T2_T3_mRjT4_P12ihipStream_tbNS1_7vsmem_tEEUlT_E_NS1_11comp_targetILNS1_3genE4ELNS1_11target_archE910ELNS1_3gpuE8ELNS1_3repE0EEENS1_30default_config_static_selectorELNS0_4arch9wavefront6targetE1EEEvSM_,@function
_ZN7rocprim17ROCPRIM_400000_NS6detail17trampoline_kernelINS0_14default_configENS1_37merge_sort_block_sort_config_selectorIlNS0_10empty_typeEEEZNS1_21merge_sort_block_sortIS3_PlS8_PS5_S9_ZN2at6native12_GLOBAL__N_124unique_dim_cuda_templateIsEESt5tupleIJNSA_6TensorESF_SF_EERKSF_lbbbEUlllE_EE10hipError_tT0_T1_T2_T3_mRjT4_P12ihipStream_tbNS1_7vsmem_tEEUlT_E_NS1_11comp_targetILNS1_3genE4ELNS1_11target_archE910ELNS1_3gpuE8ELNS1_3repE0EEENS1_30default_config_static_selectorELNS0_4arch9wavefront6targetE1EEEvSM_: ; @_ZN7rocprim17ROCPRIM_400000_NS6detail17trampoline_kernelINS0_14default_configENS1_37merge_sort_block_sort_config_selectorIlNS0_10empty_typeEEEZNS1_21merge_sort_block_sortIS3_PlS8_PS5_S9_ZN2at6native12_GLOBAL__N_124unique_dim_cuda_templateIsEESt5tupleIJNSA_6TensorESF_SF_EERKSF_lbbbEUlllE_EE10hipError_tT0_T1_T2_T3_mRjT4_P12ihipStream_tbNS1_7vsmem_tEEUlT_E_NS1_11comp_targetILNS1_3genE4ELNS1_11target_archE910ELNS1_3gpuE8ELNS1_3repE0EEENS1_30default_config_static_selectorELNS0_4arch9wavefront6targetE1EEEvSM_
; %bb.0:
	s_load_dwordx2 s[12:13], s[4:5], 0x48
	s_load_dword s0, s[4:5], 0x0
	s_add_u32 s10, s4, 0x48
	s_addc_u32 s11, s5, 0
	s_waitcnt lgkmcnt(0)
	s_mul_i32 s1, s13, s8
	s_add_i32 s1, s1, s7
	s_mul_i32 s1, s1, s12
	s_add_i32 s14, s1, s6
	s_cmp_ge_u32 s14, s0
	s_cbranch_scc1 .LBB629_876
; %bb.1:
	s_load_dwordx2 s[22:23], s[4:5], 0x8
	s_load_dwordx4 s[0:3], s[4:5], 0x18
	s_load_dwordx4 s[16:19], s[4:5], 0x38
	s_mov_b32 s15, 0
	s_lshl_b64 s[4:5], s[14:15], 13
	s_waitcnt lgkmcnt(0)
	s_lshr_b64 s[24:25], s[22:23], 10
	s_add_u32 s8, s0, s4
	s_addc_u32 s9, s1, s5
	s_add_u32 s20, s2, s4
	s_addc_u32 s21, s3, s5
	v_and_b32_e32 v12, 0x3ff, v0
	s_cmp_lg_u64 s[24:25], s[14:15]
	v_bfe_u32 v28, v0, 10, 10
	v_bfe_u32 v29, v0, 20, 10
	v_lshlrev_b32_e32 v26, 3, v12
	v_lshrrev_b32_e32 v31, 2, v12
	v_lshlrev_b32_e32 v27, 2, v12
	v_lshrrev_b32_e32 v30, 3, v12
	v_cmp_gt_i64_e64 s[24:25], s[16:17], 0
	s_cbranch_scc0 .LBB629_8
; %bb.2:
	v_mov_b32_e32 v0, s9
	v_add_co_u32_e32 v4, vcc, s8, v26
	v_addc_co_u32_e32 v5, vcc, 0, v0, vcc
	v_add_co_u32_e32 v4, vcc, 0x1000, v4
	v_addc_co_u32_e32 v5, vcc, 0, v5, vcc
	global_load_dwordx2 v[0:1], v26, s[8:9]
	global_load_dwordx2 v[2:3], v26, s[8:9] offset:2048
	global_load_dwordx2 v[6:7], v[4:5], off
	global_load_dwordx2 v[8:9], v[4:5], off offset:2048
	v_and_b32_e32 v4, 0xf8, v31
	v_add_u32_e32 v5, 0x100, v12
	v_add_u32_e32 v10, 0x200, v12
	;; [unrolled: 1-line block ×4, first 2 shown]
	v_lshrrev_b32_e32 v4, 2, v5
	v_lshrrev_b32_e32 v5, 2, v10
	;; [unrolled: 1-line block ×3, first 2 shown]
	v_add_lshl_u32 v33, v30, v27, 3
	v_and_b32_e32 v4, 0x1f8, v4
	v_and_b32_e32 v5, 0x1f8, v5
	;; [unrolled: 1-line block ×3, first 2 shown]
	v_add_u32_e32 v34, v4, v26
	v_add_u32_e32 v35, v5, v26
	;; [unrolled: 1-line block ×3, first 2 shown]
	v_mov_b32_e32 v13, 0
	s_waitcnt vmcnt(3)
	ds_write_b64 v32, v[0:1]
	s_waitcnt vmcnt(2)
	ds_write_b64 v34, v[2:3] offset:2048
	s_waitcnt vmcnt(1)
	ds_write_b64 v35, v[6:7] offset:4096
	;; [unrolled: 2-line block ×3, first 2 shown]
	s_waitcnt lgkmcnt(0)
	s_barrier
	ds_read2_b64 v[8:11], v33 offset1:1
	ds_read2_b64 v[4:7], v33 offset0:2 offset1:3
	s_waitcnt lgkmcnt(0)
	s_barrier
	s_load_dword s0, s[10:11], 0xc
	v_mov_b32_e32 v0, v8
	v_mov_b32_e32 v1, v9
	v_mov_b32_e32 v2, v10
	v_mov_b32_e32 v3, v11
	s_waitcnt lgkmcnt(0)
	s_lshr_b32 s2, s0, 16
	s_cmp_lt_u32 s6, s12
	s_cselect_b32 s0, 12, 18
	s_add_u32 s0, s10, s0
	s_addc_u32 s1, s11, 0
	global_load_ushort v14, v13, s[0:1]
	v_mad_u32_u24 v15, v29, s2, v28
	s_movk_i32 s0, 0x400
	s_waitcnt vmcnt(0)
	v_mul_lo_u32 v14, v15, v14
	v_add_lshl_u32 v37, v14, v12, 2
	v_cmp_gt_u32_e32 vcc, s0, v37
	s_and_saveexec_b64 s[26:27], vcc
	s_cbranch_execz .LBB629_62
; %bb.3:
	v_cndmask_b32_e64 v14, 0, 1, s[24:25]
	v_cmp_ne_u32_e64 s[0:1], 1, v14
	s_andn2_b64 vcc, exec, s[24:25]
	s_cbranch_vccnz .LBB629_14
; %bb.4:
	v_mul_lo_u32 v16, v11, s16
	v_mul_lo_u32 v17, v10, s17
	v_mad_u64_u32 v[14:15], s[2:3], v10, s16, 0
	v_add3_u32 v15, v15, v17, v16
	v_lshlrev_b64 v[14:15], 1, v[14:15]
	v_mov_b32_e32 v16, s19
	v_add_co_u32_e32 v14, vcc, s18, v14
	v_addc_co_u32_e32 v15, vcc, v16, v15, vcc
	v_mul_lo_u32 v18, v9, s16
	v_mul_lo_u32 v19, v8, s17
	v_mad_u64_u32 v[16:17], s[2:3], v8, s16, 0
	v_add3_u32 v17, v17, v19, v18
	v_lshlrev_b64 v[16:17], 1, v[16:17]
	v_mov_b32_e32 v18, s19
	v_add_co_u32_e32 v16, vcc, s18, v16
	v_addc_co_u32_e32 v17, vcc, v18, v17, vcc
	s_mov_b64 s[34:35], 0
	s_mov_b64 s[42:43], s[16:17]
                                        ; implicit-def: $sgpr28_sgpr29
                                        ; implicit-def: $sgpr30_sgpr31
                                        ; implicit-def: $sgpr38_sgpr39
                                        ; implicit-def: $sgpr36_sgpr37
                                        ; implicit-def: $sgpr40_sgpr41
                                        ; implicit-def: $sgpr44_sgpr45
	s_branch .LBB629_6
.LBB629_5:                              ;   in Loop: Header=BB629_6 Depth=1
	s_or_b64 exec, exec, s[46:47]
	s_and_b64 s[4:5], exec, s[38:39]
	s_or_b64 s[34:35], s[4:5], s[34:35]
	s_andn2_b64 s[4:5], s[44:45], exec
	s_and_b64 s[44:45], s[40:41], exec
	s_or_b64 s[44:45], s[4:5], s[44:45]
	s_andn2_b64 s[4:5], s[30:31], exec
	s_and_b64 s[30:31], s[36:37], exec
	;; [unrolled: 3-line block ×3, first 2 shown]
	s_or_b64 s[28:29], s[4:5], s[2:3]
	s_andn2_b64 exec, exec, s[34:35]
	s_cbranch_execz .LBB629_9
.LBB629_6:                              ; =>This Inner Loop Header: Depth=1
	global_load_ushort v18, v[14:15], off
	global_load_ushort v19, v[16:17], off
	s_andn2_b64 s[40:41], s[40:41], exec
	s_or_b64 s[36:37], s[36:37], exec
	s_or_b64 s[38:39], s[38:39], exec
	s_waitcnt vmcnt(0)
	v_cmp_le_i16_e64 s[2:3], v18, v19
	v_cmp_lt_i16_e32 vcc, v18, v19
	s_and_b64 s[2:3], s[2:3], s[44:45]
	v_cmp_eq_u16_e64 s[4:5], v18, v19
	s_or_b64 s[2:3], vcc, s[2:3]
	s_and_saveexec_b64 s[46:47], s[4:5]
	s_cbranch_execz .LBB629_5
; %bb.7:                                ;   in Loop: Header=BB629_6 Depth=1
	s_add_u32 s42, s42, -1
	s_addc_u32 s43, s43, -1
	v_add_co_u32_e32 v14, vcc, 2, v14
	s_cmp_eq_u64 s[42:43], 0
	v_addc_co_u32_e32 v15, vcc, 0, v15, vcc
	s_cselect_b64 s[4:5], -1, 0
	v_add_co_u32_e32 v16, vcc, 2, v16
	s_andn2_b64 s[40:41], s[40:41], exec
	s_and_b64 s[44:45], s[2:3], exec
	s_andn2_b64 s[38:39], s[38:39], exec
	s_and_b64 s[4:5], s[4:5], exec
	v_addc_co_u32_e32 v17, vcc, 0, v17, vcc
	s_or_b64 s[40:41], s[40:41], s[44:45]
	s_andn2_b64 s[36:37], s[36:37], exec
	s_or_b64 s[38:39], s[38:39], s[4:5]
                                        ; implicit-def: $sgpr44_sgpr45
	s_branch .LBB629_5
.LBB629_8:
	s_mov_b64 s[24:25], 0
                                        ; implicit-def: $vgpr0_vgpr1
	s_cbranch_execnz .LBB629_519
	s_branch .LBB629_874
.LBB629_9:
	s_or_b64 exec, exec, s[34:35]
	s_and_saveexec_b64 s[2:3], s[30:31]
	s_xor_b64 s[2:3], exec, s[2:3]
	s_cbranch_execz .LBB629_13
; %bb.10:
	v_pk_mov_b32 v[14:15], v[10:11], v[10:11] op_sel:[0,1]
	s_and_saveexec_b64 s[4:5], s[28:29]
; %bb.11:
	v_mov_b32_e32 v0, v10
	v_mov_b32_e32 v1, v11
	v_mov_b32_e32 v2, v8
	v_mov_b32_e32 v3, v9
	v_pk_mov_b32 v[14:15], v[8:9], v[8:9] op_sel:[0,1]
	v_pk_mov_b32 v[8:9], v[10:11], v[10:11] op_sel:[0,1]
; %bb.12:
	s_or_b64 exec, exec, s[4:5]
	v_pk_mov_b32 v[10:11], v[14:15], v[14:15] op_sel:[0,1]
.LBB629_13:
	s_or_b64 exec, exec, s[2:3]
.LBB629_14:
	v_mul_lo_u32 v20, v5, s16
	v_mul_lo_u32 v21, v4, s17
	v_mad_u64_u32 v[18:19], s[2:3], v4, s16, 0
	v_mov_b32_e32 v16, v6
	v_mov_b32_e32 v17, v7
	;; [unrolled: 1-line block ×4, first 2 shown]
	s_and_b64 vcc, exec, s[0:1]
	v_add3_u32 v19, v19, v21, v20
	s_cbranch_vccnz .LBB629_24
; %bb.15:
	v_mul_lo_u32 v22, v7, s16
	v_mul_lo_u32 v23, v6, s17
	v_mad_u64_u32 v[20:21], s[2:3], v6, s16, 0
	v_add3_u32 v21, v21, v23, v22
	v_lshlrev_b64 v[22:23], 1, v[20:21]
	v_mov_b32_e32 v24, s19
	v_add_co_u32_e32 v22, vcc, s18, v22
	v_addc_co_u32_e32 v23, vcc, v24, v23, vcc
	v_lshlrev_b64 v[24:25], 1, v[18:19]
	v_mov_b32_e32 v38, s19
	v_add_co_u32_e32 v24, vcc, s18, v24
	v_addc_co_u32_e32 v25, vcc, v38, v25, vcc
	s_mov_b64 s[34:35], 0
	s_mov_b64 s[42:43], s[16:17]
                                        ; implicit-def: $sgpr28_sgpr29
                                        ; implicit-def: $sgpr30_sgpr31
                                        ; implicit-def: $sgpr38_sgpr39
                                        ; implicit-def: $sgpr36_sgpr37
                                        ; implicit-def: $sgpr40_sgpr41
                                        ; implicit-def: $sgpr44_sgpr45
	s_branch .LBB629_17
.LBB629_16:                             ;   in Loop: Header=BB629_17 Depth=1
	s_or_b64 exec, exec, s[46:47]
	s_and_b64 s[4:5], exec, s[38:39]
	s_or_b64 s[34:35], s[4:5], s[34:35]
	s_andn2_b64 s[4:5], s[44:45], exec
	s_and_b64 s[44:45], s[40:41], exec
	s_or_b64 s[44:45], s[4:5], s[44:45]
	s_andn2_b64 s[4:5], s[30:31], exec
	s_and_b64 s[30:31], s[36:37], exec
	;; [unrolled: 3-line block ×3, first 2 shown]
	s_or_b64 s[28:29], s[4:5], s[2:3]
	s_andn2_b64 exec, exec, s[34:35]
	s_cbranch_execz .LBB629_19
.LBB629_17:                             ; =>This Inner Loop Header: Depth=1
	global_load_ushort v38, v[22:23], off
	global_load_ushort v39, v[24:25], off
	s_andn2_b64 s[40:41], s[40:41], exec
	s_or_b64 s[36:37], s[36:37], exec
	s_or_b64 s[38:39], s[38:39], exec
	s_waitcnt vmcnt(0)
	v_cmp_le_i16_e64 s[2:3], v38, v39
	v_cmp_lt_i16_e32 vcc, v38, v39
	s_and_b64 s[2:3], s[2:3], s[44:45]
	v_cmp_eq_u16_e64 s[4:5], v38, v39
	s_or_b64 s[2:3], vcc, s[2:3]
	s_and_saveexec_b64 s[46:47], s[4:5]
	s_cbranch_execz .LBB629_16
; %bb.18:                               ;   in Loop: Header=BB629_17 Depth=1
	s_add_u32 s42, s42, -1
	s_addc_u32 s43, s43, -1
	v_add_co_u32_e32 v22, vcc, 2, v22
	s_cmp_eq_u64 s[42:43], 0
	v_addc_co_u32_e32 v23, vcc, 0, v23, vcc
	s_cselect_b64 s[4:5], -1, 0
	v_add_co_u32_e32 v24, vcc, 2, v24
	s_andn2_b64 s[40:41], s[40:41], exec
	s_and_b64 s[44:45], s[2:3], exec
	s_andn2_b64 s[38:39], s[38:39], exec
	s_and_b64 s[4:5], s[4:5], exec
	v_addc_co_u32_e32 v25, vcc, 0, v25, vcc
	s_or_b64 s[40:41], s[40:41], s[44:45]
	s_andn2_b64 s[36:37], s[36:37], exec
	s_or_b64 s[38:39], s[38:39], s[4:5]
                                        ; implicit-def: $sgpr44_sgpr45
	s_branch .LBB629_16
.LBB629_19:
	s_or_b64 exec, exec, s[34:35]
	s_and_saveexec_b64 s[2:3], s[30:31]
	s_xor_b64 s[2:3], exec, s[2:3]
	s_cbranch_execz .LBB629_23
; %bb.20:
	s_and_saveexec_b64 s[4:5], s[28:29]
	s_cbranch_execz .LBB629_22
; %bb.21:
	v_mov_b32_e32 v38, v0
	v_mov_b32_e32 v39, v1
	v_mov_b32_e32 v40, v2
	v_mov_b32_e32 v41, v3
	v_mov_b32_e32 v42, v6
	v_mov_b32_e32 v43, v7
	v_mov_b32_e32 v44, v4
	v_mov_b32_e32 v45, v5
	v_pk_mov_b32 v[22:23], v[16:17], v[16:17] op_sel:[0,1]
	v_pk_mov_b32 v[0:1], v[38:39], v[38:39] op_sel:[0,1]
	;; [unrolled: 1-line block ×8, first 2 shown]
.LBB629_22:
	s_or_b64 exec, exec, s[4:5]
.LBB629_23:
	s_or_b64 exec, exec, s[2:3]
.LBB629_24:
	v_mul_lo_u32 v22, v11, s16
	v_mul_lo_u32 v23, v10, s17
	v_mad_u64_u32 v[20:21], s[2:3], v10, s16, 0
	s_and_b64 vcc, exec, s[0:1]
	v_add3_u32 v21, v21, v23, v22
	s_cbranch_vccnz .LBB629_34
; %bb.25:
	v_lshlrev_b64 v[22:23], 1, v[18:19]
	v_mov_b32_e32 v24, s19
	v_add_co_u32_e32 v22, vcc, s18, v22
	v_addc_co_u32_e32 v23, vcc, v24, v23, vcc
	v_lshlrev_b64 v[24:25], 1, v[20:21]
	v_mov_b32_e32 v38, s19
	v_add_co_u32_e32 v24, vcc, s18, v24
	v_addc_co_u32_e32 v25, vcc, v38, v25, vcc
	s_mov_b64 s[34:35], 0
	s_mov_b64 s[42:43], s[16:17]
                                        ; implicit-def: $sgpr28_sgpr29
                                        ; implicit-def: $sgpr30_sgpr31
                                        ; implicit-def: $sgpr38_sgpr39
                                        ; implicit-def: $sgpr36_sgpr37
                                        ; implicit-def: $sgpr40_sgpr41
                                        ; implicit-def: $sgpr44_sgpr45
	s_branch .LBB629_27
.LBB629_26:                             ;   in Loop: Header=BB629_27 Depth=1
	s_or_b64 exec, exec, s[46:47]
	s_and_b64 s[4:5], exec, s[38:39]
	s_or_b64 s[34:35], s[4:5], s[34:35]
	s_andn2_b64 s[4:5], s[44:45], exec
	s_and_b64 s[44:45], s[40:41], exec
	s_or_b64 s[44:45], s[4:5], s[44:45]
	s_andn2_b64 s[4:5], s[30:31], exec
	s_and_b64 s[30:31], s[36:37], exec
	s_or_b64 s[30:31], s[4:5], s[30:31]
	s_andn2_b64 s[4:5], s[28:29], exec
	s_and_b64 s[2:3], s[2:3], exec
	s_or_b64 s[28:29], s[4:5], s[2:3]
	s_andn2_b64 exec, exec, s[34:35]
	s_cbranch_execz .LBB629_29
.LBB629_27:                             ; =>This Inner Loop Header: Depth=1
	global_load_ushort v38, v[22:23], off
	global_load_ushort v39, v[24:25], off
	s_andn2_b64 s[40:41], s[40:41], exec
	s_or_b64 s[36:37], s[36:37], exec
	s_or_b64 s[38:39], s[38:39], exec
	s_waitcnt vmcnt(0)
	v_cmp_le_i16_e64 s[2:3], v38, v39
	v_cmp_lt_i16_e32 vcc, v38, v39
	s_and_b64 s[2:3], s[2:3], s[44:45]
	v_cmp_eq_u16_e64 s[4:5], v38, v39
	s_or_b64 s[2:3], vcc, s[2:3]
	s_and_saveexec_b64 s[46:47], s[4:5]
	s_cbranch_execz .LBB629_26
; %bb.28:                               ;   in Loop: Header=BB629_27 Depth=1
	s_add_u32 s42, s42, -1
	s_addc_u32 s43, s43, -1
	v_add_co_u32_e32 v22, vcc, 2, v22
	s_cmp_eq_u64 s[42:43], 0
	v_addc_co_u32_e32 v23, vcc, 0, v23, vcc
	s_cselect_b64 s[4:5], -1, 0
	v_add_co_u32_e32 v24, vcc, 2, v24
	s_andn2_b64 s[40:41], s[40:41], exec
	s_and_b64 s[44:45], s[2:3], exec
	s_andn2_b64 s[38:39], s[38:39], exec
	s_and_b64 s[4:5], s[4:5], exec
	v_addc_co_u32_e32 v25, vcc, 0, v25, vcc
	s_or_b64 s[40:41], s[40:41], s[44:45]
	s_andn2_b64 s[36:37], s[36:37], exec
	s_or_b64 s[38:39], s[38:39], s[4:5]
                                        ; implicit-def: $sgpr44_sgpr45
	s_branch .LBB629_26
.LBB629_29:
	s_or_b64 exec, exec, s[34:35]
	s_and_saveexec_b64 s[2:3], s[30:31]
	s_xor_b64 s[2:3], exec, s[2:3]
	s_cbranch_execz .LBB629_33
; %bb.30:
	v_pk_mov_b32 v[22:23], v[10:11], v[10:11] op_sel:[0,1]
	s_and_saveexec_b64 s[4:5], s[28:29]
; %bb.31:
	v_mov_b32_e32 v2, v14
	v_mov_b32_e32 v3, v15
	;; [unrolled: 1-line block ×4, first 2 shown]
	v_pk_mov_b32 v[22:23], v[14:15], v[14:15] op_sel:[0,1]
	v_pk_mov_b32 v[14:15], v[10:11], v[10:11] op_sel:[0,1]
	;; [unrolled: 1-line block ×3, first 2 shown]
; %bb.32:
	s_or_b64 exec, exec, s[4:5]
	v_pk_mov_b32 v[10:11], v[22:23], v[22:23] op_sel:[0,1]
.LBB629_33:
	s_or_b64 exec, exec, s[2:3]
.LBB629_34:
	s_and_b64 vcc, exec, s[0:1]
	s_cbranch_vccnz .LBB629_44
; %bb.35:
	v_lshlrev_b64 v[18:19], 1, v[20:21]
	v_mov_b32_e32 v20, s19
	v_add_co_u32_e32 v18, vcc, s18, v18
	v_addc_co_u32_e32 v19, vcc, v20, v19, vcc
	v_mul_lo_u32 v22, v9, s16
	v_mul_lo_u32 v23, v8, s17
	v_mad_u64_u32 v[20:21], s[2:3], v8, s16, 0
	v_add3_u32 v21, v21, v23, v22
	v_lshlrev_b64 v[20:21], 1, v[20:21]
	v_mov_b32_e32 v22, s19
	v_add_co_u32_e32 v20, vcc, s18, v20
	v_addc_co_u32_e32 v21, vcc, v22, v21, vcc
	s_mov_b64 s[34:35], 0
	s_mov_b64 s[42:43], s[16:17]
                                        ; implicit-def: $sgpr28_sgpr29
                                        ; implicit-def: $sgpr30_sgpr31
                                        ; implicit-def: $sgpr38_sgpr39
                                        ; implicit-def: $sgpr36_sgpr37
                                        ; implicit-def: $sgpr40_sgpr41
                                        ; implicit-def: $sgpr44_sgpr45
	s_branch .LBB629_37
.LBB629_36:                             ;   in Loop: Header=BB629_37 Depth=1
	s_or_b64 exec, exec, s[46:47]
	s_and_b64 s[4:5], exec, s[38:39]
	s_or_b64 s[34:35], s[4:5], s[34:35]
	s_andn2_b64 s[4:5], s[44:45], exec
	s_and_b64 s[44:45], s[40:41], exec
	s_or_b64 s[44:45], s[4:5], s[44:45]
	s_andn2_b64 s[4:5], s[30:31], exec
	s_and_b64 s[30:31], s[36:37], exec
	;; [unrolled: 3-line block ×3, first 2 shown]
	s_or_b64 s[28:29], s[4:5], s[2:3]
	s_andn2_b64 exec, exec, s[34:35]
	s_cbranch_execz .LBB629_39
.LBB629_37:                             ; =>This Inner Loop Header: Depth=1
	global_load_ushort v22, v[18:19], off
	global_load_ushort v23, v[20:21], off
	s_andn2_b64 s[40:41], s[40:41], exec
	s_or_b64 s[36:37], s[36:37], exec
	s_or_b64 s[38:39], s[38:39], exec
	s_waitcnt vmcnt(0)
	v_cmp_le_i16_e64 s[2:3], v22, v23
	v_cmp_lt_i16_e32 vcc, v22, v23
	s_and_b64 s[2:3], s[2:3], s[44:45]
	v_cmp_eq_u16_e64 s[4:5], v22, v23
	s_or_b64 s[2:3], vcc, s[2:3]
	s_and_saveexec_b64 s[46:47], s[4:5]
	s_cbranch_execz .LBB629_36
; %bb.38:                               ;   in Loop: Header=BB629_37 Depth=1
	s_add_u32 s42, s42, -1
	s_addc_u32 s43, s43, -1
	v_add_co_u32_e32 v18, vcc, 2, v18
	s_cmp_eq_u64 s[42:43], 0
	v_addc_co_u32_e32 v19, vcc, 0, v19, vcc
	s_cselect_b64 s[4:5], -1, 0
	v_add_co_u32_e32 v20, vcc, 2, v20
	s_andn2_b64 s[40:41], s[40:41], exec
	s_and_b64 s[44:45], s[2:3], exec
	s_andn2_b64 s[38:39], s[38:39], exec
	s_and_b64 s[4:5], s[4:5], exec
	v_addc_co_u32_e32 v21, vcc, 0, v21, vcc
	s_or_b64 s[40:41], s[40:41], s[44:45]
	s_andn2_b64 s[36:37], s[36:37], exec
	s_or_b64 s[38:39], s[38:39], s[4:5]
                                        ; implicit-def: $sgpr44_sgpr45
	s_branch .LBB629_36
.LBB629_39:
	s_or_b64 exec, exec, s[34:35]
	s_and_saveexec_b64 s[2:3], s[30:31]
	s_xor_b64 s[2:3], exec, s[2:3]
	s_cbranch_execz .LBB629_43
; %bb.40:
	v_pk_mov_b32 v[18:19], v[10:11], v[10:11] op_sel:[0,1]
	s_and_saveexec_b64 s[4:5], s[28:29]
; %bb.41:
	v_mov_b32_e32 v0, v10
	v_mov_b32_e32 v1, v11
	;; [unrolled: 1-line block ×4, first 2 shown]
	v_pk_mov_b32 v[18:19], v[8:9], v[8:9] op_sel:[0,1]
	v_pk_mov_b32 v[8:9], v[10:11], v[10:11] op_sel:[0,1]
; %bb.42:
	s_or_b64 exec, exec, s[4:5]
	v_pk_mov_b32 v[10:11], v[18:19], v[18:19] op_sel:[0,1]
.LBB629_43:
	s_or_b64 exec, exec, s[2:3]
.LBB629_44:
	v_mul_lo_u32 v20, v15, s16
	v_mul_lo_u32 v21, v14, s17
	v_mad_u64_u32 v[18:19], s[2:3], v14, s16, 0
	s_and_b64 vcc, exec, s[0:1]
	v_add3_u32 v19, v19, v21, v20
	s_cbranch_vccnz .LBB629_54
; %bb.45:
	v_mul_lo_u32 v22, v17, s16
	v_mul_lo_u32 v23, v16, s17
	v_mad_u64_u32 v[20:21], s[2:3], v16, s16, 0
	v_add3_u32 v21, v21, v23, v22
	v_lshlrev_b64 v[22:23], 1, v[20:21]
	v_mov_b32_e32 v24, s19
	v_add_co_u32_e32 v22, vcc, s18, v22
	v_addc_co_u32_e32 v23, vcc, v24, v23, vcc
	v_lshlrev_b64 v[24:25], 1, v[18:19]
	v_mov_b32_e32 v38, s19
	v_add_co_u32_e32 v24, vcc, s18, v24
	v_addc_co_u32_e32 v25, vcc, v38, v25, vcc
	s_mov_b64 s[34:35], 0
	s_mov_b64 s[42:43], s[16:17]
                                        ; implicit-def: $sgpr28_sgpr29
                                        ; implicit-def: $sgpr30_sgpr31
                                        ; implicit-def: $sgpr38_sgpr39
                                        ; implicit-def: $sgpr36_sgpr37
                                        ; implicit-def: $sgpr40_sgpr41
                                        ; implicit-def: $sgpr44_sgpr45
	s_branch .LBB629_47
.LBB629_46:                             ;   in Loop: Header=BB629_47 Depth=1
	s_or_b64 exec, exec, s[46:47]
	s_and_b64 s[4:5], exec, s[38:39]
	s_or_b64 s[34:35], s[4:5], s[34:35]
	s_andn2_b64 s[4:5], s[44:45], exec
	s_and_b64 s[44:45], s[40:41], exec
	s_or_b64 s[44:45], s[4:5], s[44:45]
	s_andn2_b64 s[4:5], s[30:31], exec
	s_and_b64 s[30:31], s[36:37], exec
	;; [unrolled: 3-line block ×3, first 2 shown]
	s_or_b64 s[28:29], s[4:5], s[2:3]
	s_andn2_b64 exec, exec, s[34:35]
	s_cbranch_execz .LBB629_49
.LBB629_47:                             ; =>This Inner Loop Header: Depth=1
	global_load_ushort v38, v[22:23], off
	global_load_ushort v39, v[24:25], off
	s_andn2_b64 s[40:41], s[40:41], exec
	s_or_b64 s[36:37], s[36:37], exec
	s_or_b64 s[38:39], s[38:39], exec
	s_waitcnt vmcnt(0)
	v_cmp_le_i16_e64 s[2:3], v38, v39
	v_cmp_lt_i16_e32 vcc, v38, v39
	s_and_b64 s[2:3], s[2:3], s[44:45]
	v_cmp_eq_u16_e64 s[4:5], v38, v39
	s_or_b64 s[2:3], vcc, s[2:3]
	s_and_saveexec_b64 s[46:47], s[4:5]
	s_cbranch_execz .LBB629_46
; %bb.48:                               ;   in Loop: Header=BB629_47 Depth=1
	s_add_u32 s42, s42, -1
	s_addc_u32 s43, s43, -1
	v_add_co_u32_e32 v22, vcc, 2, v22
	s_cmp_eq_u64 s[42:43], 0
	v_addc_co_u32_e32 v23, vcc, 0, v23, vcc
	s_cselect_b64 s[4:5], -1, 0
	v_add_co_u32_e32 v24, vcc, 2, v24
	s_andn2_b64 s[40:41], s[40:41], exec
	s_and_b64 s[44:45], s[2:3], exec
	s_andn2_b64 s[38:39], s[38:39], exec
	s_and_b64 s[4:5], s[4:5], exec
	v_addc_co_u32_e32 v25, vcc, 0, v25, vcc
	s_or_b64 s[40:41], s[40:41], s[44:45]
	s_andn2_b64 s[36:37], s[36:37], exec
	s_or_b64 s[38:39], s[38:39], s[4:5]
                                        ; implicit-def: $sgpr44_sgpr45
	s_branch .LBB629_46
.LBB629_49:
	s_or_b64 exec, exec, s[34:35]
	s_and_saveexec_b64 s[2:3], s[30:31]
	s_xor_b64 s[2:3], exec, s[2:3]
	s_cbranch_execz .LBB629_53
; %bb.50:
	s_and_saveexec_b64 s[4:5], s[28:29]
; %bb.51:
	v_mov_b32_e32 v4, v16
	v_mov_b32_e32 v5, v17
	v_mov_b32_e32 v6, v14
	v_mov_b32_e32 v7, v15
	v_pk_mov_b32 v[14:15], v[16:17], v[16:17] op_sel:[0,1]
	v_pk_mov_b32 v[18:19], v[20:21], v[20:21] op_sel:[0,1]
; %bb.52:
	s_or_b64 exec, exec, s[4:5]
.LBB629_53:
	s_or_b64 exec, exec, s[2:3]
.LBB629_54:
	s_and_b64 vcc, exec, s[0:1]
	s_cbranch_vccnz .LBB629_62
; %bb.55:
	v_lshlrev_b64 v[16:17], 1, v[18:19]
	v_mov_b32_e32 v18, s19
	v_add_co_u32_e32 v16, vcc, s18, v16
	v_addc_co_u32_e32 v17, vcc, v18, v17, vcc
	v_mul_lo_u32 v20, v11, s16
	v_mul_lo_u32 v21, v10, s17
	v_mad_u64_u32 v[18:19], s[0:1], v10, s16, 0
	v_add3_u32 v19, v19, v21, v20
	v_lshlrev_b64 v[18:19], 1, v[18:19]
	v_mov_b32_e32 v20, s19
	v_add_co_u32_e32 v18, vcc, s18, v18
	v_addc_co_u32_e32 v19, vcc, v20, v19, vcc
	s_mov_b64 s[28:29], 0
	s_mov_b64 s[40:41], s[16:17]
                                        ; implicit-def: $sgpr4_sgpr5
                                        ; implicit-def: $sgpr30_sgpr31
                                        ; implicit-def: $sgpr36_sgpr37
                                        ; implicit-def: $sgpr34_sgpr35
                                        ; implicit-def: $sgpr38_sgpr39
                                        ; implicit-def: $sgpr42_sgpr43
	s_branch .LBB629_57
.LBB629_56:                             ;   in Loop: Header=BB629_57 Depth=1
	s_or_b64 exec, exec, s[44:45]
	s_and_b64 s[2:3], exec, s[36:37]
	s_or_b64 s[28:29], s[2:3], s[28:29]
	s_andn2_b64 s[2:3], s[42:43], exec
	s_and_b64 s[42:43], s[38:39], exec
	s_or_b64 s[42:43], s[2:3], s[42:43]
	s_andn2_b64 s[2:3], s[30:31], exec
	s_and_b64 s[30:31], s[34:35], exec
	s_or_b64 s[30:31], s[2:3], s[30:31]
	s_andn2_b64 s[2:3], s[4:5], exec
	s_and_b64 s[0:1], s[0:1], exec
	s_or_b64 s[4:5], s[2:3], s[0:1]
	s_andn2_b64 exec, exec, s[28:29]
	s_cbranch_execz .LBB629_59
.LBB629_57:                             ; =>This Inner Loop Header: Depth=1
	global_load_ushort v20, v[16:17], off
	global_load_ushort v21, v[18:19], off
	s_andn2_b64 s[38:39], s[38:39], exec
	s_or_b64 s[34:35], s[34:35], exec
	s_or_b64 s[36:37], s[36:37], exec
	s_waitcnt vmcnt(0)
	v_cmp_le_i16_e64 s[0:1], v20, v21
	v_cmp_lt_i16_e32 vcc, v20, v21
	s_and_b64 s[0:1], s[0:1], s[42:43]
	v_cmp_eq_u16_e64 s[2:3], v20, v21
	s_or_b64 s[0:1], vcc, s[0:1]
	s_and_saveexec_b64 s[44:45], s[2:3]
	s_cbranch_execz .LBB629_56
; %bb.58:                               ;   in Loop: Header=BB629_57 Depth=1
	s_add_u32 s40, s40, -1
	s_addc_u32 s41, s41, -1
	v_add_co_u32_e32 v16, vcc, 2, v16
	s_cmp_eq_u64 s[40:41], 0
	v_addc_co_u32_e32 v17, vcc, 0, v17, vcc
	s_cselect_b64 s[2:3], -1, 0
	v_add_co_u32_e32 v18, vcc, 2, v18
	s_andn2_b64 s[38:39], s[38:39], exec
	s_and_b64 s[42:43], s[0:1], exec
	s_andn2_b64 s[36:37], s[36:37], exec
	s_and_b64 s[2:3], s[2:3], exec
	v_addc_co_u32_e32 v19, vcc, 0, v19, vcc
	s_or_b64 s[38:39], s[38:39], s[42:43]
	s_andn2_b64 s[34:35], s[34:35], exec
	s_or_b64 s[36:37], s[36:37], s[2:3]
                                        ; implicit-def: $sgpr42_sgpr43
	s_branch .LBB629_56
.LBB629_59:
	s_or_b64 exec, exec, s[28:29]
	s_and_saveexec_b64 s[0:1], s[30:31]
	s_xor_b64 s[0:1], exec, s[0:1]
; %bb.60:
	v_cndmask_b32_e64 v5, v5, v11, s[4:5]
	v_cndmask_b32_e64 v4, v4, v10, s[4:5]
	;; [unrolled: 1-line block ×4, first 2 shown]
; %bb.61:
	s_or_b64 exec, exec, s[0:1]
.LBB629_62:
	s_or_b64 exec, exec, s[26:27]
	v_mbcnt_lo_u32_b32 v10, -1, 0
	v_and_b32_e32 v11, 0xffffff00, v37
	v_mbcnt_hi_u32_b32 v10, -1, v10
	s_movk_i32 s0, 0x400
	v_lshlrev_b32_e32 v16, 3, v11
	v_sub_u32_e64 v17, s0, v11 clamp
	v_lshlrev_b32_e32 v18, 2, v10
	v_lshl_add_u32 v19, v10, 5, v16
	v_mov_b32_e32 v10, v2
	v_mov_b32_e32 v11, v3
	ds_write_b128 v19, v[8:11]
	ds_write_b128 v19, v[4:7] offset:16
	v_or_b32_e32 v8, 4, v18
	v_min_u32_e32 v14, v17, v8
	v_add_u32_e32 v8, 4, v14
	v_and_b32_e32 v22, 0x1f8, v18
	v_min_u32_e32 v15, v17, v8
	v_and_b32_e32 v8, 4, v18
	v_min_u32_e32 v23, v17, v8
	v_sub_u32_e32 v8, v14, v22
	v_sub_u32_e32 v9, v15, v14
	v_sub_u32_e64 v21, v23, v9 clamp
	v_min_u32_e32 v24, v23, v8
	v_lshl_add_u32 v20, v22, 3, v16
	v_cmp_lt_u32_e32 vcc, v21, v24
	; wave barrier
	s_and_saveexec_b64 s[26:27], vcc
	s_cbranch_execz .LBB629_72
; %bb.63:
	v_lshlrev_b32_e32 v8, 3, v14
	v_lshlrev_b32_e32 v9, 3, v23
	v_add3_u32 v25, v16, v8, v9
	v_cndmask_b32_e64 v8, 0, 1, s[24:25]
	s_lshl_b64 s[30:31], s[16:17], 1
	s_mov_b64 s[28:29], 0
	v_cmp_ne_u32_e64 s[0:1], 1, v8
	s_branch .LBB629_66
.LBB629_64:                             ;   in Loop: Header=BB629_66 Depth=1
	s_or_b64 exec, exec, s[36:37]
.LBB629_65:                             ;   in Loop: Header=BB629_66 Depth=1
	v_add_u32_e32 v8, 1, v37
	v_cndmask_b32_e64 v24, v24, v37, s[34:35]
	v_cndmask_b32_e64 v21, v8, v21, s[34:35]
	v_cmp_ge_u32_e32 vcc, v21, v24
	s_or_b64 s[28:29], vcc, s[28:29]
	s_andn2_b64 exec, exec, s[28:29]
	s_cbranch_execz .LBB629_71
.LBB629_66:                             ; =>This Loop Header: Depth=1
                                        ;     Child Loop BB629_69 Depth 2
	v_add_u32_e32 v8, v24, v21
	v_lshrrev_b32_e32 v37, 1, v8
	s_and_b64 vcc, exec, s[0:1]
	s_mov_b64 s[34:35], 0
	s_cbranch_vccnz .LBB629_65
; %bb.67:                               ;   in Loop: Header=BB629_66 Depth=1
	v_not_b32_e32 v8, v37
	v_lshl_add_u32 v8, v8, 3, v25
	ds_read_b64 v[8:9], v8
	v_lshl_add_u32 v38, v37, 3, v20
	ds_read_b64 v[38:39], v38
	v_pk_mov_b32 v[10:11], s[18:19], s[18:19] op_sel:[0,1]
	s_mov_b64 s[36:37], 0
	s_waitcnt lgkmcnt(1)
	v_mul_lo_u32 v40, s30, v9
	v_mul_lo_u32 v41, s31, v8
	v_mad_u64_u32 v[8:9], s[2:3], s30, v8, v[10:11]
	v_add3_u32 v9, v41, v9, v40
	s_waitcnt lgkmcnt(0)
	v_mul_lo_u32 v39, s30, v39
	v_mul_lo_u32 v40, s31, v38
	v_mad_u64_u32 v[10:11], s[2:3], s30, v38, v[10:11]
	v_add3_u32 v11, v40, v11, v39
	s_mov_b64 s[42:43], s[16:17]
                                        ; implicit-def: $sgpr34_sgpr35
                                        ; implicit-def: $sgpr38_sgpr39
                                        ; implicit-def: $sgpr40_sgpr41
                                        ; implicit-def: $sgpr2_sgpr3
                                        ; implicit-def: $sgpr44_sgpr45
	s_branch .LBB629_69
.LBB629_68:                             ;   in Loop: Header=BB629_69 Depth=2
	s_or_b64 exec, exec, s[46:47]
	s_and_b64 s[4:5], exec, s[38:39]
	s_or_b64 s[36:37], s[4:5], s[36:37]
	s_andn2_b64 s[4:5], s[44:45], exec
	s_and_b64 s[44:45], s[40:41], exec
	s_or_b64 s[44:45], s[4:5], s[44:45]
	s_andn2_b64 s[4:5], s[34:35], exec
	s_and_b64 s[34:35], s[2:3], exec
	s_or_b64 s[34:35], s[4:5], s[34:35]
	s_andn2_b64 exec, exec, s[36:37]
	s_cbranch_execz .LBB629_64
.LBB629_69:                             ;   Parent Loop BB629_66 Depth=1
                                        ; =>  This Inner Loop Header: Depth=2
	global_load_ushort v38, v[8:9], off
	global_load_ushort v39, v[10:11], off
	s_andn2_b64 s[46:47], s[2:3], exec
	s_andn2_b64 s[40:41], s[40:41], exec
	s_or_b64 s[38:39], s[38:39], exec
	s_waitcnt vmcnt(0)
	v_cmp_le_i16_e64 s[2:3], v38, v39
	v_cmp_lt_i16_e32 vcc, v38, v39
	s_and_b64 s[2:3], s[2:3], s[44:45]
	s_or_b64 s[48:49], vcc, s[2:3]
	s_and_b64 s[2:3], s[48:49], exec
	v_cmp_eq_u16_e64 s[4:5], v38, v39
	s_or_b64 s[2:3], s[46:47], s[2:3]
	s_and_saveexec_b64 s[46:47], s[4:5]
	s_cbranch_execz .LBB629_68
; %bb.70:                               ;   in Loop: Header=BB629_69 Depth=2
	s_add_u32 s42, s42, -1
	s_addc_u32 s43, s43, -1
	v_add_co_u32_e32 v8, vcc, 2, v8
	s_cmp_eq_u64 s[42:43], 0
	v_addc_co_u32_e32 v9, vcc, 0, v9, vcc
	s_cselect_b64 s[4:5], -1, 0
	v_add_co_u32_e32 v10, vcc, 2, v10
	s_andn2_b64 s[40:41], s[40:41], exec
	s_and_b64 s[44:45], s[48:49], exec
	s_andn2_b64 s[38:39], s[38:39], exec
	s_and_b64 s[4:5], s[4:5], exec
	v_addc_co_u32_e32 v11, vcc, 0, v11, vcc
	s_andn2_b64 s[2:3], s[2:3], exec
	s_or_b64 s[40:41], s[40:41], s[44:45]
	s_or_b64 s[38:39], s[38:39], s[4:5]
                                        ; implicit-def: $sgpr44_sgpr45
	s_branch .LBB629_68
.LBB629_71:
	s_or_b64 exec, exec, s[28:29]
.LBB629_72:
	s_or_b64 exec, exec, s[26:27]
	v_add_u32_e32 v9, v14, v23
	v_add_u32_e32 v8, v21, v22
	v_sub_u32_e32 v9, v9, v21
	v_cmp_le_u32_e32 vcc, v8, v14
	v_cmp_le_u32_e64 s[0:1], v9, v15
	s_or_b64 s[0:1], vcc, s[0:1]
	s_and_saveexec_b64 s[4:5], s[0:1]
	s_cbranch_execz .LBB629_119
; %bb.73:
	v_cmp_ge_u32_e32 vcc, v8, v14
	v_cmp_lt_u32_e64 s[0:1], v8, v14
                                        ; implicit-def: $vgpr0_vgpr1
	s_and_saveexec_b64 s[2:3], s[0:1]
	s_cbranch_execz .LBB629_75
; %bb.74:
	v_lshl_add_u32 v0, v21, 3, v20
	ds_read_b64 v[0:1], v0
.LBB629_75:
	s_or_b64 exec, exec, s[2:3]
	v_cmp_ge_u32_e64 s[26:27], v9, v15
	v_cmp_lt_u32_e64 s[0:1], v9, v15
                                        ; implicit-def: $vgpr2_vgpr3
	s_and_saveexec_b64 s[2:3], s[0:1]
	s_cbranch_execz .LBB629_77
; %bb.76:
	v_lshl_add_u32 v2, v9, 3, v16
	ds_read_b64 v[2:3], v2
.LBB629_77:
	s_or_b64 exec, exec, s[2:3]
	s_or_b64 s[0:1], vcc, s[26:27]
	s_mov_b64 s[28:29], -1
	s_xor_b64 s[0:1], s[0:1], -1
	s_and_saveexec_b64 s[30:31], s[0:1]
	s_cbranch_execz .LBB629_86
; %bb.78:
	s_andn2_b64 vcc, exec, s[24:25]
	s_cbranch_vccnz .LBB629_84
; %bb.79:
	s_waitcnt lgkmcnt(0)
	v_mul_lo_u32 v6, v3, s16
	v_mul_lo_u32 v7, v2, s17
	v_mad_u64_u32 v[4:5], s[0:1], v2, s16, 0
	v_add3_u32 v5, v5, v7, v6
	v_lshlrev_b64 v[4:5], 1, v[4:5]
	v_mov_b32_e32 v6, s19
	v_add_co_u32_e32 v4, vcc, s18, v4
	v_addc_co_u32_e32 v5, vcc, v6, v5, vcc
	v_mul_lo_u32 v10, v1, s16
	v_mul_lo_u32 v11, v0, s17
	v_mad_u64_u32 v[6:7], s[0:1], v0, s16, 0
	v_add3_u32 v7, v7, v11, v10
	v_lshlrev_b64 v[6:7], 1, v[6:7]
	v_mov_b32_e32 v10, s19
	v_add_co_u32_e32 v6, vcc, s18, v6
	v_addc_co_u32_e32 v7, vcc, v10, v7, vcc
	s_mov_b64 s[34:35], 0
	s_mov_b64 s[42:43], s[16:17]
                                        ; implicit-def: $sgpr36_sgpr37
                                        ; implicit-def: $sgpr38_sgpr39
                                        ; implicit-def: $sgpr0_sgpr1
                                        ; implicit-def: $sgpr40_sgpr41
                                        ; implicit-def: $sgpr44_sgpr45
	s_branch .LBB629_81
.LBB629_80:                             ;   in Loop: Header=BB629_81 Depth=1
	s_or_b64 exec, exec, s[46:47]
	s_and_b64 s[2:3], exec, s[38:39]
	s_or_b64 s[34:35], s[2:3], s[34:35]
	s_andn2_b64 s[2:3], s[44:45], exec
	s_and_b64 s[44:45], s[40:41], exec
	s_or_b64 s[44:45], s[2:3], s[44:45]
	s_andn2_b64 s[2:3], s[36:37], exec
	s_and_b64 s[36:37], s[0:1], exec
	s_or_b64 s[36:37], s[2:3], s[36:37]
	s_andn2_b64 exec, exec, s[34:35]
	s_cbranch_execz .LBB629_83
.LBB629_81:                             ; =>This Inner Loop Header: Depth=1
	global_load_ushort v10, v[4:5], off
	global_load_ushort v11, v[6:7], off
	s_andn2_b64 s[46:47], s[0:1], exec
	s_andn2_b64 s[40:41], s[40:41], exec
	s_or_b64 s[38:39], s[38:39], exec
	s_waitcnt vmcnt(0)
	v_cmp_le_i16_e64 s[0:1], v10, v11
	v_cmp_lt_i16_e32 vcc, v10, v11
	s_and_b64 s[0:1], s[0:1], s[44:45]
	s_or_b64 s[48:49], vcc, s[0:1]
	s_and_b64 s[0:1], s[48:49], exec
	v_cmp_eq_u16_e64 s[2:3], v10, v11
	s_or_b64 s[0:1], s[46:47], s[0:1]
	s_and_saveexec_b64 s[46:47], s[2:3]
	s_cbranch_execz .LBB629_80
; %bb.82:                               ;   in Loop: Header=BB629_81 Depth=1
	s_add_u32 s42, s42, -1
	s_addc_u32 s43, s43, -1
	v_add_co_u32_e32 v4, vcc, 2, v4
	s_cmp_eq_u64 s[42:43], 0
	v_addc_co_u32_e32 v5, vcc, 0, v5, vcc
	s_cselect_b64 s[2:3], -1, 0
	v_add_co_u32_e32 v6, vcc, 2, v6
	s_andn2_b64 s[40:41], s[40:41], exec
	s_and_b64 s[44:45], s[48:49], exec
	s_andn2_b64 s[38:39], s[38:39], exec
	s_and_b64 s[2:3], s[2:3], exec
	v_addc_co_u32_e32 v7, vcc, 0, v7, vcc
	s_or_b64 s[40:41], s[40:41], s[44:45]
	s_andn2_b64 s[0:1], s[0:1], exec
	s_or_b64 s[38:39], s[38:39], s[2:3]
                                        ; implicit-def: $sgpr44_sgpr45
	s_branch .LBB629_80
.LBB629_83:
	s_or_b64 exec, exec, s[34:35]
	s_xor_b64 s[0:1], s[36:37], -1
	s_branch .LBB629_85
.LBB629_84:
	s_mov_b64 s[0:1], -1
.LBB629_85:
	s_andn2_b64 s[2:3], s[26:27], exec
	s_and_b64 s[0:1], s[0:1], exec
	s_or_b64 s[26:27], s[2:3], s[0:1]
.LBB629_86:
	s_or_b64 exec, exec, s[30:31]
	v_cndmask_b32_e64 v4, v9, v8, s[26:27]
	v_cndmask_b32_e64 v5, v15, v14, s[26:27]
	v_add_u32_e32 v6, 1, v4
	v_add_u32_e32 v4, -1, v5
	v_min_u32_e32 v4, v6, v4
	v_lshl_add_u32 v4, v4, 3, v16
	ds_read_b64 v[4:5], v4
	v_cndmask_b32_e64 v9, v6, v9, s[26:27]
	v_cndmask_b32_e64 v8, v8, v6, s[26:27]
	v_cmp_lt_u32_e32 vcc, v9, v15
	s_waitcnt lgkmcnt(0)
	v_cndmask_b32_e64 v20, v5, v3, s[26:27]
	v_cndmask_b32_e64 v21, v4, v2, s[26:27]
	v_cndmask_b32_e64 v22, v1, v5, s[26:27]
	v_cndmask_b32_e64 v23, v0, v4, s[26:27]
	s_and_saveexec_b64 s[30:31], vcc
	s_cbranch_execz .LBB629_97
; %bb.87:
	v_cmp_lt_u32_e32 vcc, v8, v14
	s_mov_b64 s[0:1], 0
	s_and_saveexec_b64 s[28:29], vcc
	s_cbranch_execz .LBB629_96
; %bb.88:
	s_andn2_b64 vcc, exec, s[24:25]
	s_cbranch_vccnz .LBB629_94
; %bb.89:
	v_mul_lo_u32 v6, v20, s16
	v_mul_lo_u32 v7, v21, s17
	v_mad_u64_u32 v[4:5], s[0:1], v21, s16, 0
	v_add3_u32 v5, v5, v7, v6
	v_lshlrev_b64 v[4:5], 1, v[4:5]
	v_mov_b32_e32 v6, s19
	v_add_co_u32_e32 v4, vcc, s18, v4
	v_addc_co_u32_e32 v5, vcc, v6, v5, vcc
	v_mul_lo_u32 v10, v22, s16
	v_mul_lo_u32 v11, v23, s17
	v_mad_u64_u32 v[6:7], s[0:1], v23, s16, 0
	v_add3_u32 v7, v7, v11, v10
	v_lshlrev_b64 v[6:7], 1, v[6:7]
	v_mov_b32_e32 v10, s19
	v_add_co_u32_e32 v6, vcc, s18, v6
	v_addc_co_u32_e32 v7, vcc, v10, v7, vcc
	s_mov_b64 s[34:35], 0
	s_mov_b64 s[42:43], s[16:17]
                                        ; implicit-def: $sgpr36_sgpr37
                                        ; implicit-def: $sgpr38_sgpr39
                                        ; implicit-def: $sgpr0_sgpr1
                                        ; implicit-def: $sgpr40_sgpr41
                                        ; implicit-def: $sgpr44_sgpr45
	s_branch .LBB629_91
.LBB629_90:                             ;   in Loop: Header=BB629_91 Depth=1
	s_or_b64 exec, exec, s[46:47]
	s_and_b64 s[2:3], exec, s[38:39]
	s_or_b64 s[34:35], s[2:3], s[34:35]
	s_andn2_b64 s[2:3], s[44:45], exec
	s_and_b64 s[44:45], s[40:41], exec
	s_or_b64 s[44:45], s[2:3], s[44:45]
	s_andn2_b64 s[2:3], s[36:37], exec
	s_and_b64 s[36:37], s[0:1], exec
	s_or_b64 s[36:37], s[2:3], s[36:37]
	s_andn2_b64 exec, exec, s[34:35]
	s_cbranch_execz .LBB629_93
.LBB629_91:                             ; =>This Inner Loop Header: Depth=1
	global_load_ushort v10, v[4:5], off
	global_load_ushort v11, v[6:7], off
	s_andn2_b64 s[46:47], s[0:1], exec
	s_andn2_b64 s[40:41], s[40:41], exec
	s_or_b64 s[38:39], s[38:39], exec
	s_waitcnt vmcnt(0)
	v_cmp_le_i16_e64 s[0:1], v10, v11
	v_cmp_lt_i16_e32 vcc, v10, v11
	s_and_b64 s[0:1], s[0:1], s[44:45]
	s_or_b64 s[48:49], vcc, s[0:1]
	s_and_b64 s[0:1], s[48:49], exec
	v_cmp_eq_u16_e64 s[2:3], v10, v11
	s_or_b64 s[0:1], s[46:47], s[0:1]
	s_and_saveexec_b64 s[46:47], s[2:3]
	s_cbranch_execz .LBB629_90
; %bb.92:                               ;   in Loop: Header=BB629_91 Depth=1
	s_add_u32 s42, s42, -1
	s_addc_u32 s43, s43, -1
	v_add_co_u32_e32 v4, vcc, 2, v4
	s_cmp_eq_u64 s[42:43], 0
	v_addc_co_u32_e32 v5, vcc, 0, v5, vcc
	s_cselect_b64 s[2:3], -1, 0
	v_add_co_u32_e32 v6, vcc, 2, v6
	s_andn2_b64 s[40:41], s[40:41], exec
	s_and_b64 s[44:45], s[48:49], exec
	s_andn2_b64 s[38:39], s[38:39], exec
	s_and_b64 s[2:3], s[2:3], exec
	v_addc_co_u32_e32 v7, vcc, 0, v7, vcc
	s_or_b64 s[40:41], s[40:41], s[44:45]
	s_andn2_b64 s[0:1], s[0:1], exec
	s_or_b64 s[38:39], s[38:39], s[2:3]
                                        ; implicit-def: $sgpr44_sgpr45
	s_branch .LBB629_90
.LBB629_93:
	s_or_b64 exec, exec, s[34:35]
	s_xor_b64 s[0:1], s[36:37], -1
	s_branch .LBB629_95
.LBB629_94:
	s_mov_b64 s[0:1], -1
.LBB629_95:
	s_and_b64 s[0:1], s[0:1], exec
.LBB629_96:
	s_or_b64 exec, exec, s[28:29]
	s_orn2_b64 s[28:29], s[0:1], exec
.LBB629_97:
	s_or_b64 exec, exec, s[30:31]
	v_cndmask_b32_e64 v4, v9, v8, s[28:29]
	v_cndmask_b32_e64 v5, v15, v14, s[28:29]
	v_add_u32_e32 v6, 1, v4
	v_add_u32_e32 v4, -1, v5
	v_min_u32_e32 v4, v6, v4
	v_lshl_add_u32 v4, v4, 3, v16
	ds_read_b64 v[4:5], v4
	v_cndmask_b32_e64 v9, v6, v9, s[28:29]
	v_cndmask_b32_e64 v8, v8, v6, s[28:29]
	v_cmp_lt_u32_e32 vcc, v9, v15
	s_mov_b64 s[30:31], -1
	s_waitcnt lgkmcnt(0)
	v_cndmask_b32_e64 v24, v5, v20, s[28:29]
	v_cndmask_b32_e64 v25, v4, v21, s[28:29]
	;; [unrolled: 1-line block ×4, first 2 shown]
	s_and_saveexec_b64 s[34:35], vcc
	s_cbranch_execz .LBB629_108
; %bb.98:
	v_cmp_lt_u32_e32 vcc, v8, v14
	s_mov_b64 s[0:1], 0
	s_and_saveexec_b64 s[30:31], vcc
	s_cbranch_execz .LBB629_107
; %bb.99:
	s_andn2_b64 vcc, exec, s[24:25]
	s_cbranch_vccnz .LBB629_105
; %bb.100:
	v_mul_lo_u32 v6, v24, s16
	v_mul_lo_u32 v7, v25, s17
	v_mad_u64_u32 v[4:5], s[0:1], v25, s16, 0
	v_add3_u32 v5, v5, v7, v6
	v_lshlrev_b64 v[4:5], 1, v[4:5]
	v_mov_b32_e32 v6, s19
	v_add_co_u32_e32 v4, vcc, s18, v4
	v_addc_co_u32_e32 v5, vcc, v6, v5, vcc
	v_mul_lo_u32 v10, v37, s16
	v_mul_lo_u32 v11, v38, s17
	v_mad_u64_u32 v[6:7], s[0:1], v38, s16, 0
	v_add3_u32 v7, v7, v11, v10
	v_lshlrev_b64 v[6:7], 1, v[6:7]
	v_mov_b32_e32 v10, s19
	v_add_co_u32_e32 v6, vcc, s18, v6
	v_addc_co_u32_e32 v7, vcc, v10, v7, vcc
	s_mov_b64 s[36:37], 0
	s_mov_b64 s[44:45], s[16:17]
                                        ; implicit-def: $sgpr38_sgpr39
                                        ; implicit-def: $sgpr40_sgpr41
                                        ; implicit-def: $sgpr0_sgpr1
                                        ; implicit-def: $sgpr42_sgpr43
                                        ; implicit-def: $sgpr46_sgpr47
	s_branch .LBB629_102
.LBB629_101:                            ;   in Loop: Header=BB629_102 Depth=1
	s_or_b64 exec, exec, s[48:49]
	s_and_b64 s[2:3], exec, s[40:41]
	s_or_b64 s[36:37], s[2:3], s[36:37]
	s_andn2_b64 s[2:3], s[46:47], exec
	s_and_b64 s[46:47], s[42:43], exec
	s_or_b64 s[46:47], s[2:3], s[46:47]
	s_andn2_b64 s[2:3], s[38:39], exec
	s_and_b64 s[38:39], s[0:1], exec
	s_or_b64 s[38:39], s[2:3], s[38:39]
	s_andn2_b64 exec, exec, s[36:37]
	s_cbranch_execz .LBB629_104
.LBB629_102:                            ; =>This Inner Loop Header: Depth=1
	global_load_ushort v10, v[4:5], off
	global_load_ushort v11, v[6:7], off
	s_andn2_b64 s[48:49], s[0:1], exec
	s_andn2_b64 s[42:43], s[42:43], exec
	s_or_b64 s[40:41], s[40:41], exec
	s_waitcnt vmcnt(0)
	v_cmp_le_i16_e64 s[0:1], v10, v11
	v_cmp_lt_i16_e32 vcc, v10, v11
	s_and_b64 s[0:1], s[0:1], s[46:47]
	s_or_b64 s[50:51], vcc, s[0:1]
	s_and_b64 s[0:1], s[50:51], exec
	v_cmp_eq_u16_e64 s[2:3], v10, v11
	s_or_b64 s[0:1], s[48:49], s[0:1]
	s_and_saveexec_b64 s[48:49], s[2:3]
	s_cbranch_execz .LBB629_101
; %bb.103:                              ;   in Loop: Header=BB629_102 Depth=1
	s_add_u32 s44, s44, -1
	s_addc_u32 s45, s45, -1
	v_add_co_u32_e32 v4, vcc, 2, v4
	s_cmp_eq_u64 s[44:45], 0
	v_addc_co_u32_e32 v5, vcc, 0, v5, vcc
	s_cselect_b64 s[2:3], -1, 0
	v_add_co_u32_e32 v6, vcc, 2, v6
	s_andn2_b64 s[42:43], s[42:43], exec
	s_and_b64 s[46:47], s[50:51], exec
	s_andn2_b64 s[40:41], s[40:41], exec
	s_and_b64 s[2:3], s[2:3], exec
	v_addc_co_u32_e32 v7, vcc, 0, v7, vcc
	s_or_b64 s[42:43], s[42:43], s[46:47]
	s_andn2_b64 s[0:1], s[0:1], exec
	s_or_b64 s[40:41], s[40:41], s[2:3]
                                        ; implicit-def: $sgpr46_sgpr47
	s_branch .LBB629_101
.LBB629_104:
	s_or_b64 exec, exec, s[36:37]
	s_xor_b64 s[0:1], s[38:39], -1
	s_branch .LBB629_106
.LBB629_105:
	s_mov_b64 s[0:1], -1
.LBB629_106:
	s_and_b64 s[0:1], s[0:1], exec
.LBB629_107:
	s_or_b64 exec, exec, s[30:31]
	s_orn2_b64 s[30:31], s[0:1], exec
.LBB629_108:
	s_or_b64 exec, exec, s[34:35]
	v_cndmask_b32_e64 v4, v9, v8, s[30:31]
	v_cndmask_b32_e64 v5, v15, v14, s[30:31]
	v_add_u32_e32 v10, 1, v4
	v_add_u32_e32 v4, -1, v5
	v_min_u32_e32 v4, v10, v4
	v_lshl_add_u32 v4, v4, 3, v16
	ds_read_b64 v[4:5], v4
	v_cndmask_b32_e64 v9, v10, v9, s[30:31]
	v_cmp_lt_u32_e32 vcc, v9, v15
	s_waitcnt lgkmcnt(0)
	v_cndmask_b32_e64 v7, v37, v5, s[30:31]
	v_cndmask_b32_e64 v6, v38, v4, s[30:31]
	s_and_saveexec_b64 s[34:35], vcc
	s_cbranch_execz .LBB629_118
; %bb.109:
	v_cndmask_b32_e64 v8, v8, v10, s[30:31]
	v_cndmask_b32_e64 v5, v5, v24, s[30:31]
	;; [unrolled: 1-line block ×3, first 2 shown]
	v_cmp_lt_u32_e32 vcc, v8, v14
	s_and_saveexec_b64 s[36:37], vcc
	s_cbranch_execz .LBB629_117
; %bb.110:
	s_andn2_b64 vcc, exec, s[24:25]
	s_cbranch_vccnz .LBB629_116
; %bb.111:
	v_mul_lo_u32 v10, v5, s16
	v_mul_lo_u32 v11, v4, s17
	v_mad_u64_u32 v[8:9], s[0:1], v4, s16, 0
	v_add3_u32 v9, v9, v11, v10
	v_lshlrev_b64 v[8:9], 1, v[8:9]
	v_mov_b32_e32 v10, s19
	v_add_co_u32_e32 v8, vcc, s18, v8
	v_addc_co_u32_e32 v9, vcc, v10, v9, vcc
	v_mul_lo_u32 v14, v7, s16
	v_mul_lo_u32 v15, v6, s17
	v_mad_u64_u32 v[10:11], s[0:1], v6, s16, 0
	v_add3_u32 v11, v11, v15, v14
	v_lshlrev_b64 v[10:11], 1, v[10:11]
	v_mov_b32_e32 v14, s19
	v_add_co_u32_e32 v10, vcc, s18, v10
	v_addc_co_u32_e32 v11, vcc, v14, v11, vcc
	s_mov_b64 s[38:39], 0
	s_mov_b64 s[46:47], s[16:17]
                                        ; implicit-def: $sgpr40_sgpr41
                                        ; implicit-def: $sgpr42_sgpr43
                                        ; implicit-def: $sgpr0_sgpr1
                                        ; implicit-def: $sgpr44_sgpr45
                                        ; implicit-def: $sgpr48_sgpr49
	s_branch .LBB629_113
.LBB629_112:                            ;   in Loop: Header=BB629_113 Depth=1
	s_or_b64 exec, exec, s[50:51]
	s_and_b64 s[2:3], exec, s[42:43]
	s_or_b64 s[38:39], s[2:3], s[38:39]
	s_andn2_b64 s[2:3], s[48:49], exec
	s_and_b64 s[48:49], s[44:45], exec
	s_or_b64 s[48:49], s[2:3], s[48:49]
	s_andn2_b64 s[2:3], s[40:41], exec
	s_and_b64 s[40:41], s[0:1], exec
	s_or_b64 s[40:41], s[2:3], s[40:41]
	s_andn2_b64 exec, exec, s[38:39]
	s_cbranch_execz .LBB629_115
.LBB629_113:                            ; =>This Inner Loop Header: Depth=1
	global_load_ushort v14, v[8:9], off
	global_load_ushort v15, v[10:11], off
	s_andn2_b64 s[50:51], s[0:1], exec
	s_andn2_b64 s[44:45], s[44:45], exec
	s_or_b64 s[42:43], s[42:43], exec
	s_waitcnt vmcnt(0)
	v_cmp_le_i16_e64 s[0:1], v14, v15
	v_cmp_lt_i16_e32 vcc, v14, v15
	s_and_b64 s[0:1], s[0:1], s[48:49]
	s_or_b64 s[52:53], vcc, s[0:1]
	s_and_b64 s[0:1], s[52:53], exec
	v_cmp_eq_u16_e64 s[2:3], v14, v15
	s_or_b64 s[0:1], s[50:51], s[0:1]
	s_and_saveexec_b64 s[50:51], s[2:3]
	s_cbranch_execz .LBB629_112
; %bb.114:                              ;   in Loop: Header=BB629_113 Depth=1
	s_add_u32 s46, s46, -1
	s_addc_u32 s47, s47, -1
	v_add_co_u32_e32 v8, vcc, 2, v8
	s_cmp_eq_u64 s[46:47], 0
	v_addc_co_u32_e32 v9, vcc, 0, v9, vcc
	s_cselect_b64 s[2:3], -1, 0
	v_add_co_u32_e32 v10, vcc, 2, v10
	s_andn2_b64 s[44:45], s[44:45], exec
	s_and_b64 s[48:49], s[52:53], exec
	s_andn2_b64 s[42:43], s[42:43], exec
	s_and_b64 s[2:3], s[2:3], exec
	v_addc_co_u32_e32 v11, vcc, 0, v11, vcc
	s_or_b64 s[44:45], s[44:45], s[48:49]
	s_andn2_b64 s[0:1], s[0:1], exec
	s_or_b64 s[42:43], s[42:43], s[2:3]
                                        ; implicit-def: $sgpr48_sgpr49
	s_branch .LBB629_112
.LBB629_115:
	s_or_b64 exec, exec, s[38:39]
	v_cndmask_b32_e64 v7, v7, v5, s[40:41]
	v_cndmask_b32_e64 v6, v6, v4, s[40:41]
.LBB629_116:
	v_pk_mov_b32 v[4:5], v[6:7], v[6:7] op_sel:[0,1]
.LBB629_117:
	s_or_b64 exec, exec, s[36:37]
	v_pk_mov_b32 v[6:7], v[4:5], v[4:5] op_sel:[0,1]
.LBB629_118:
	s_or_b64 exec, exec, s[34:35]
	v_cndmask_b32_e64 v1, v3, v1, s[26:27]
	v_cndmask_b32_e64 v0, v2, v0, s[26:27]
	;; [unrolled: 1-line block ×6, first 2 shown]
.LBB629_119:
	s_or_b64 exec, exec, s[4:5]
	v_and_b32_e32 v20, 0x1f0, v18
	v_or_b32_e32 v8, 8, v20
	v_min_u32_e32 v14, v17, v8
	v_add_u32_e32 v8, 8, v14
	v_min_u32_e32 v15, v17, v8
	v_and_b32_e32 v8, 12, v18
	v_min_u32_e32 v21, v17, v8
	v_sub_u32_e32 v8, v14, v20
	v_sub_u32_e32 v9, v15, v14
	v_sub_u32_e64 v23, v21, v9 clamp
	v_min_u32_e32 v24, v21, v8
	v_lshl_add_u32 v22, v20, 3, v16
	v_cmp_lt_u32_e32 vcc, v23, v24
	; wave barrier
	ds_write_b128 v19, v[0:3]
	ds_write_b128 v19, v[4:7] offset:16
	; wave barrier
	s_and_saveexec_b64 s[26:27], vcc
	s_cbranch_execz .LBB629_129
; %bb.120:
	v_lshlrev_b32_e32 v8, 3, v14
	v_lshlrev_b32_e32 v9, 3, v21
	v_add3_u32 v25, v16, v8, v9
	v_cndmask_b32_e64 v8, 0, 1, s[24:25]
	s_lshl_b64 s[30:31], s[16:17], 1
	s_mov_b64 s[28:29], 0
	v_cmp_ne_u32_e64 s[0:1], 1, v8
	s_branch .LBB629_123
.LBB629_121:                            ;   in Loop: Header=BB629_123 Depth=1
	s_or_b64 exec, exec, s[36:37]
.LBB629_122:                            ;   in Loop: Header=BB629_123 Depth=1
	v_add_u32_e32 v8, 1, v37
	v_cndmask_b32_e64 v24, v24, v37, s[34:35]
	v_cndmask_b32_e64 v23, v8, v23, s[34:35]
	v_cmp_ge_u32_e32 vcc, v23, v24
	s_or_b64 s[28:29], vcc, s[28:29]
	s_andn2_b64 exec, exec, s[28:29]
	s_cbranch_execz .LBB629_128
.LBB629_123:                            ; =>This Loop Header: Depth=1
                                        ;     Child Loop BB629_126 Depth 2
	v_add_u32_e32 v8, v24, v23
	v_lshrrev_b32_e32 v37, 1, v8
	s_and_b64 vcc, exec, s[0:1]
	s_mov_b64 s[34:35], 0
	s_cbranch_vccnz .LBB629_122
; %bb.124:                              ;   in Loop: Header=BB629_123 Depth=1
	v_not_b32_e32 v8, v37
	v_lshl_add_u32 v8, v8, 3, v25
	ds_read_b64 v[8:9], v8
	v_lshl_add_u32 v38, v37, 3, v22
	ds_read_b64 v[38:39], v38
	v_pk_mov_b32 v[10:11], s[18:19], s[18:19] op_sel:[0,1]
	s_mov_b64 s[36:37], 0
	s_waitcnt lgkmcnt(1)
	v_mul_lo_u32 v40, s30, v9
	v_mul_lo_u32 v41, s31, v8
	v_mad_u64_u32 v[8:9], s[2:3], s30, v8, v[10:11]
	v_add3_u32 v9, v41, v9, v40
	s_waitcnt lgkmcnt(0)
	v_mul_lo_u32 v39, s30, v39
	v_mul_lo_u32 v40, s31, v38
	v_mad_u64_u32 v[10:11], s[2:3], s30, v38, v[10:11]
	v_add3_u32 v11, v40, v11, v39
	s_mov_b64 s[42:43], s[16:17]
                                        ; implicit-def: $sgpr34_sgpr35
                                        ; implicit-def: $sgpr38_sgpr39
                                        ; implicit-def: $sgpr40_sgpr41
                                        ; implicit-def: $sgpr2_sgpr3
                                        ; implicit-def: $sgpr44_sgpr45
	s_branch .LBB629_126
.LBB629_125:                            ;   in Loop: Header=BB629_126 Depth=2
	s_or_b64 exec, exec, s[46:47]
	s_and_b64 s[4:5], exec, s[38:39]
	s_or_b64 s[36:37], s[4:5], s[36:37]
	s_andn2_b64 s[4:5], s[44:45], exec
	s_and_b64 s[44:45], s[40:41], exec
	s_or_b64 s[44:45], s[4:5], s[44:45]
	s_andn2_b64 s[4:5], s[34:35], exec
	s_and_b64 s[34:35], s[2:3], exec
	s_or_b64 s[34:35], s[4:5], s[34:35]
	s_andn2_b64 exec, exec, s[36:37]
	s_cbranch_execz .LBB629_121
.LBB629_126:                            ;   Parent Loop BB629_123 Depth=1
                                        ; =>  This Inner Loop Header: Depth=2
	global_load_ushort v38, v[8:9], off
	global_load_ushort v39, v[10:11], off
	s_andn2_b64 s[46:47], s[2:3], exec
	s_andn2_b64 s[40:41], s[40:41], exec
	s_or_b64 s[38:39], s[38:39], exec
	s_waitcnt vmcnt(0)
	v_cmp_le_i16_e64 s[2:3], v38, v39
	v_cmp_lt_i16_e32 vcc, v38, v39
	s_and_b64 s[2:3], s[2:3], s[44:45]
	s_or_b64 s[48:49], vcc, s[2:3]
	s_and_b64 s[2:3], s[48:49], exec
	v_cmp_eq_u16_e64 s[4:5], v38, v39
	s_or_b64 s[2:3], s[46:47], s[2:3]
	s_and_saveexec_b64 s[46:47], s[4:5]
	s_cbranch_execz .LBB629_125
; %bb.127:                              ;   in Loop: Header=BB629_126 Depth=2
	s_add_u32 s42, s42, -1
	s_addc_u32 s43, s43, -1
	v_add_co_u32_e32 v8, vcc, 2, v8
	s_cmp_eq_u64 s[42:43], 0
	v_addc_co_u32_e32 v9, vcc, 0, v9, vcc
	s_cselect_b64 s[4:5], -1, 0
	v_add_co_u32_e32 v10, vcc, 2, v10
	s_andn2_b64 s[40:41], s[40:41], exec
	s_and_b64 s[44:45], s[48:49], exec
	s_andn2_b64 s[38:39], s[38:39], exec
	s_and_b64 s[4:5], s[4:5], exec
	v_addc_co_u32_e32 v11, vcc, 0, v11, vcc
	s_andn2_b64 s[2:3], s[2:3], exec
	s_or_b64 s[40:41], s[40:41], s[44:45]
	s_or_b64 s[38:39], s[38:39], s[4:5]
                                        ; implicit-def: $sgpr44_sgpr45
	s_branch .LBB629_125
.LBB629_128:
	s_or_b64 exec, exec, s[28:29]
.LBB629_129:
	s_or_b64 exec, exec, s[26:27]
	v_add_u32_e32 v8, v14, v21
	v_add_u32_e32 v20, v23, v20
	v_sub_u32_e32 v21, v8, v23
	v_cmp_le_u32_e32 vcc, v20, v14
	v_cmp_le_u32_e64 s[0:1], v21, v15
	s_or_b64 s[0:1], vcc, s[0:1]
	s_and_saveexec_b64 s[4:5], s[0:1]
	s_cbranch_execz .LBB629_176
; %bb.130:
	v_cmp_ge_u32_e32 vcc, v20, v14
	v_cmp_lt_u32_e64 s[0:1], v20, v14
                                        ; implicit-def: $vgpr0_vgpr1
	s_and_saveexec_b64 s[2:3], s[0:1]
	s_cbranch_execz .LBB629_132
; %bb.131:
	v_lshl_add_u32 v0, v23, 3, v22
	ds_read_b64 v[0:1], v0
.LBB629_132:
	s_or_b64 exec, exec, s[2:3]
	v_cmp_ge_u32_e64 s[26:27], v21, v15
	v_cmp_lt_u32_e64 s[0:1], v21, v15
                                        ; implicit-def: $vgpr4_vgpr5
	s_and_saveexec_b64 s[2:3], s[0:1]
	s_cbranch_execz .LBB629_134
; %bb.133:
	v_lshl_add_u32 v2, v21, 3, v16
	ds_read_b64 v[4:5], v2
.LBB629_134:
	s_or_b64 exec, exec, s[2:3]
	s_or_b64 s[0:1], vcc, s[26:27]
	s_mov_b64 s[28:29], -1
	s_xor_b64 s[0:1], s[0:1], -1
	s_and_saveexec_b64 s[30:31], s[0:1]
	s_cbranch_execz .LBB629_143
; %bb.135:
	s_andn2_b64 vcc, exec, s[24:25]
	s_cbranch_vccnz .LBB629_141
; %bb.136:
	s_waitcnt lgkmcnt(0)
	v_mul_lo_u32 v6, v5, s16
	v_mul_lo_u32 v7, v4, s17
	v_mad_u64_u32 v[2:3], s[0:1], v4, s16, 0
	v_add3_u32 v3, v3, v7, v6
	v_lshlrev_b64 v[2:3], 1, v[2:3]
	v_mov_b32_e32 v6, s19
	v_add_co_u32_e32 v2, vcc, s18, v2
	v_addc_co_u32_e32 v3, vcc, v6, v3, vcc
	v_mul_lo_u32 v8, v1, s16
	v_mul_lo_u32 v9, v0, s17
	v_mad_u64_u32 v[6:7], s[0:1], v0, s16, 0
	v_add3_u32 v7, v7, v9, v8
	v_lshlrev_b64 v[6:7], 1, v[6:7]
	v_mov_b32_e32 v8, s19
	v_add_co_u32_e32 v6, vcc, s18, v6
	v_addc_co_u32_e32 v7, vcc, v8, v7, vcc
	s_mov_b64 s[34:35], 0
	s_mov_b64 s[42:43], s[16:17]
                                        ; implicit-def: $sgpr36_sgpr37
                                        ; implicit-def: $sgpr38_sgpr39
                                        ; implicit-def: $sgpr0_sgpr1
                                        ; implicit-def: $sgpr40_sgpr41
                                        ; implicit-def: $sgpr44_sgpr45
	s_branch .LBB629_138
.LBB629_137:                            ;   in Loop: Header=BB629_138 Depth=1
	s_or_b64 exec, exec, s[46:47]
	s_and_b64 s[2:3], exec, s[38:39]
	s_or_b64 s[34:35], s[2:3], s[34:35]
	s_andn2_b64 s[2:3], s[44:45], exec
	s_and_b64 s[44:45], s[40:41], exec
	s_or_b64 s[44:45], s[2:3], s[44:45]
	s_andn2_b64 s[2:3], s[36:37], exec
	s_and_b64 s[36:37], s[0:1], exec
	s_or_b64 s[36:37], s[2:3], s[36:37]
	s_andn2_b64 exec, exec, s[34:35]
	s_cbranch_execz .LBB629_140
.LBB629_138:                            ; =>This Inner Loop Header: Depth=1
	global_load_ushort v8, v[2:3], off
	global_load_ushort v9, v[6:7], off
	s_andn2_b64 s[46:47], s[0:1], exec
	s_andn2_b64 s[40:41], s[40:41], exec
	s_or_b64 s[38:39], s[38:39], exec
	s_waitcnt vmcnt(0)
	v_cmp_le_i16_e64 s[0:1], v8, v9
	v_cmp_lt_i16_e32 vcc, v8, v9
	s_and_b64 s[0:1], s[0:1], s[44:45]
	s_or_b64 s[48:49], vcc, s[0:1]
	s_and_b64 s[0:1], s[48:49], exec
	v_cmp_eq_u16_e64 s[2:3], v8, v9
	s_or_b64 s[0:1], s[46:47], s[0:1]
	s_and_saveexec_b64 s[46:47], s[2:3]
	s_cbranch_execz .LBB629_137
; %bb.139:                              ;   in Loop: Header=BB629_138 Depth=1
	s_add_u32 s42, s42, -1
	s_addc_u32 s43, s43, -1
	v_add_co_u32_e32 v2, vcc, 2, v2
	s_cmp_eq_u64 s[42:43], 0
	v_addc_co_u32_e32 v3, vcc, 0, v3, vcc
	s_cselect_b64 s[2:3], -1, 0
	v_add_co_u32_e32 v6, vcc, 2, v6
	s_andn2_b64 s[40:41], s[40:41], exec
	s_and_b64 s[44:45], s[48:49], exec
	s_andn2_b64 s[38:39], s[38:39], exec
	s_and_b64 s[2:3], s[2:3], exec
	v_addc_co_u32_e32 v7, vcc, 0, v7, vcc
	s_or_b64 s[40:41], s[40:41], s[44:45]
	s_andn2_b64 s[0:1], s[0:1], exec
	s_or_b64 s[38:39], s[38:39], s[2:3]
                                        ; implicit-def: $sgpr44_sgpr45
	s_branch .LBB629_137
.LBB629_140:
	s_or_b64 exec, exec, s[34:35]
	s_xor_b64 s[0:1], s[36:37], -1
	s_branch .LBB629_142
.LBB629_141:
	s_mov_b64 s[0:1], -1
.LBB629_142:
	s_andn2_b64 s[2:3], s[26:27], exec
	s_and_b64 s[0:1], s[0:1], exec
	s_or_b64 s[26:27], s[2:3], s[0:1]
.LBB629_143:
	s_or_b64 exec, exec, s[30:31]
	v_cndmask_b32_e64 v2, v21, v20, s[26:27]
	v_cndmask_b32_e64 v3, v15, v14, s[26:27]
	v_add_u32_e32 v6, 1, v2
	v_add_u32_e32 v2, -1, v3
	v_min_u32_e32 v2, v6, v2
	v_lshl_add_u32 v2, v2, 3, v16
	ds_read_b64 v[2:3], v2
	v_cndmask_b32_e64 v22, v6, v21, s[26:27]
	v_cndmask_b32_e64 v37, v20, v6, s[26:27]
	v_cmp_lt_u32_e32 vcc, v22, v15
	s_waitcnt lgkmcnt(0)
	v_cndmask_b32_e64 v8, v3, v5, s[26:27]
	v_cndmask_b32_e64 v9, v2, v4, s[26:27]
	;; [unrolled: 1-line block ×4, first 2 shown]
	s_and_saveexec_b64 s[30:31], vcc
	s_cbranch_execz .LBB629_154
; %bb.144:
	v_cmp_lt_u32_e32 vcc, v37, v14
	s_mov_b64 s[0:1], 0
	s_and_saveexec_b64 s[28:29], vcc
	s_cbranch_execz .LBB629_153
; %bb.145:
	s_andn2_b64 vcc, exec, s[24:25]
	s_cbranch_vccnz .LBB629_151
; %bb.146:
	v_mul_lo_u32 v6, v8, s16
	v_mul_lo_u32 v7, v9, s17
	v_mad_u64_u32 v[2:3], s[0:1], v9, s16, 0
	v_add3_u32 v3, v3, v7, v6
	v_lshlrev_b64 v[2:3], 1, v[2:3]
	v_mov_b32_e32 v6, s19
	v_add_co_u32_e32 v2, vcc, s18, v2
	v_addc_co_u32_e32 v3, vcc, v6, v3, vcc
	v_mul_lo_u32 v20, v10, s16
	v_mul_lo_u32 v21, v11, s17
	v_mad_u64_u32 v[6:7], s[0:1], v11, s16, 0
	v_add3_u32 v7, v7, v21, v20
	v_lshlrev_b64 v[6:7], 1, v[6:7]
	v_mov_b32_e32 v20, s19
	v_add_co_u32_e32 v6, vcc, s18, v6
	v_addc_co_u32_e32 v7, vcc, v20, v7, vcc
	s_mov_b64 s[34:35], 0
	s_mov_b64 s[42:43], s[16:17]
                                        ; implicit-def: $sgpr36_sgpr37
                                        ; implicit-def: $sgpr38_sgpr39
                                        ; implicit-def: $sgpr0_sgpr1
                                        ; implicit-def: $sgpr40_sgpr41
                                        ; implicit-def: $sgpr44_sgpr45
	s_branch .LBB629_148
.LBB629_147:                            ;   in Loop: Header=BB629_148 Depth=1
	s_or_b64 exec, exec, s[46:47]
	s_and_b64 s[2:3], exec, s[38:39]
	s_or_b64 s[34:35], s[2:3], s[34:35]
	s_andn2_b64 s[2:3], s[44:45], exec
	s_and_b64 s[44:45], s[40:41], exec
	s_or_b64 s[44:45], s[2:3], s[44:45]
	s_andn2_b64 s[2:3], s[36:37], exec
	s_and_b64 s[36:37], s[0:1], exec
	s_or_b64 s[36:37], s[2:3], s[36:37]
	s_andn2_b64 exec, exec, s[34:35]
	s_cbranch_execz .LBB629_150
.LBB629_148:                            ; =>This Inner Loop Header: Depth=1
	global_load_ushort v20, v[2:3], off
	global_load_ushort v21, v[6:7], off
	s_andn2_b64 s[46:47], s[0:1], exec
	s_andn2_b64 s[40:41], s[40:41], exec
	s_or_b64 s[38:39], s[38:39], exec
	s_waitcnt vmcnt(0)
	v_cmp_le_i16_e64 s[0:1], v20, v21
	v_cmp_lt_i16_e32 vcc, v20, v21
	s_and_b64 s[0:1], s[0:1], s[44:45]
	s_or_b64 s[48:49], vcc, s[0:1]
	s_and_b64 s[0:1], s[48:49], exec
	v_cmp_eq_u16_e64 s[2:3], v20, v21
	s_or_b64 s[0:1], s[46:47], s[0:1]
	s_and_saveexec_b64 s[46:47], s[2:3]
	s_cbranch_execz .LBB629_147
; %bb.149:                              ;   in Loop: Header=BB629_148 Depth=1
	s_add_u32 s42, s42, -1
	s_addc_u32 s43, s43, -1
	v_add_co_u32_e32 v2, vcc, 2, v2
	s_cmp_eq_u64 s[42:43], 0
	v_addc_co_u32_e32 v3, vcc, 0, v3, vcc
	s_cselect_b64 s[2:3], -1, 0
	v_add_co_u32_e32 v6, vcc, 2, v6
	s_andn2_b64 s[40:41], s[40:41], exec
	s_and_b64 s[44:45], s[48:49], exec
	s_andn2_b64 s[38:39], s[38:39], exec
	s_and_b64 s[2:3], s[2:3], exec
	v_addc_co_u32_e32 v7, vcc, 0, v7, vcc
	s_or_b64 s[40:41], s[40:41], s[44:45]
	s_andn2_b64 s[0:1], s[0:1], exec
	s_or_b64 s[38:39], s[38:39], s[2:3]
                                        ; implicit-def: $sgpr44_sgpr45
	s_branch .LBB629_147
.LBB629_150:
	s_or_b64 exec, exec, s[34:35]
	s_xor_b64 s[0:1], s[36:37], -1
	s_branch .LBB629_152
.LBB629_151:
	s_mov_b64 s[0:1], -1
.LBB629_152:
	s_and_b64 s[0:1], s[0:1], exec
.LBB629_153:
	s_or_b64 exec, exec, s[28:29]
	s_orn2_b64 s[28:29], s[0:1], exec
.LBB629_154:
	s_or_b64 exec, exec, s[30:31]
	v_cndmask_b32_e64 v2, v22, v37, s[28:29]
	v_cndmask_b32_e64 v3, v15, v14, s[28:29]
	v_add_u32_e32 v6, 1, v2
	v_add_u32_e32 v2, -1, v3
	v_min_u32_e32 v2, v6, v2
	v_lshl_add_u32 v2, v2, 3, v16
	ds_read_b64 v[2:3], v2
	v_cndmask_b32_e64 v23, v6, v22, s[28:29]
	v_cndmask_b32_e64 v22, v37, v6, s[28:29]
	v_cmp_lt_u32_e32 vcc, v23, v15
	s_mov_b64 s[0:1], -1
	s_waitcnt lgkmcnt(0)
	v_cndmask_b32_e64 v20, v3, v8, s[28:29]
	v_cndmask_b32_e64 v21, v2, v9, s[28:29]
	;; [unrolled: 1-line block ×4, first 2 shown]
	s_and_saveexec_b64 s[30:31], vcc
	s_cbranch_execz .LBB629_165
; %bb.155:
	v_cmp_lt_u32_e32 vcc, v22, v14
	s_mov_b64 s[0:1], 0
	s_and_saveexec_b64 s[34:35], vcc
	s_cbranch_execz .LBB629_164
; %bb.156:
	s_andn2_b64 vcc, exec, s[24:25]
	s_cbranch_vccnz .LBB629_162
; %bb.157:
	v_mul_lo_u32 v6, v20, s16
	v_mul_lo_u32 v7, v21, s17
	v_mad_u64_u32 v[2:3], s[0:1], v21, s16, 0
	v_add3_u32 v3, v3, v7, v6
	v_lshlrev_b64 v[2:3], 1, v[2:3]
	v_mov_b32_e32 v6, s19
	v_add_co_u32_e32 v2, vcc, s18, v2
	v_addc_co_u32_e32 v3, vcc, v6, v3, vcc
	v_mul_lo_u32 v37, v24, s16
	v_mul_lo_u32 v38, v25, s17
	v_mad_u64_u32 v[6:7], s[0:1], v25, s16, 0
	v_add3_u32 v7, v7, v38, v37
	v_lshlrev_b64 v[6:7], 1, v[6:7]
	v_mov_b32_e32 v37, s19
	v_add_co_u32_e32 v6, vcc, s18, v6
	v_addc_co_u32_e32 v7, vcc, v37, v7, vcc
	s_mov_b64 s[36:37], 0
	s_mov_b64 s[44:45], s[16:17]
                                        ; implicit-def: $sgpr38_sgpr39
                                        ; implicit-def: $sgpr40_sgpr41
                                        ; implicit-def: $sgpr0_sgpr1
                                        ; implicit-def: $sgpr42_sgpr43
                                        ; implicit-def: $sgpr46_sgpr47
	s_branch .LBB629_159
.LBB629_158:                            ;   in Loop: Header=BB629_159 Depth=1
	s_or_b64 exec, exec, s[48:49]
	s_and_b64 s[2:3], exec, s[40:41]
	s_or_b64 s[36:37], s[2:3], s[36:37]
	s_andn2_b64 s[2:3], s[46:47], exec
	s_and_b64 s[46:47], s[42:43], exec
	s_or_b64 s[46:47], s[2:3], s[46:47]
	s_andn2_b64 s[2:3], s[38:39], exec
	s_and_b64 s[38:39], s[0:1], exec
	s_or_b64 s[38:39], s[2:3], s[38:39]
	s_andn2_b64 exec, exec, s[36:37]
	s_cbranch_execz .LBB629_161
.LBB629_159:                            ; =>This Inner Loop Header: Depth=1
	global_load_ushort v37, v[2:3], off
	global_load_ushort v38, v[6:7], off
	s_andn2_b64 s[48:49], s[0:1], exec
	s_andn2_b64 s[42:43], s[42:43], exec
	s_or_b64 s[40:41], s[40:41], exec
	s_waitcnt vmcnt(0)
	v_cmp_le_i16_e64 s[0:1], v37, v38
	v_cmp_lt_i16_e32 vcc, v37, v38
	s_and_b64 s[0:1], s[0:1], s[46:47]
	s_or_b64 s[50:51], vcc, s[0:1]
	s_and_b64 s[0:1], s[50:51], exec
	v_cmp_eq_u16_e64 s[2:3], v37, v38
	s_or_b64 s[0:1], s[48:49], s[0:1]
	s_and_saveexec_b64 s[48:49], s[2:3]
	s_cbranch_execz .LBB629_158
; %bb.160:                              ;   in Loop: Header=BB629_159 Depth=1
	s_add_u32 s44, s44, -1
	s_addc_u32 s45, s45, -1
	v_add_co_u32_e32 v2, vcc, 2, v2
	s_cmp_eq_u64 s[44:45], 0
	v_addc_co_u32_e32 v3, vcc, 0, v3, vcc
	s_cselect_b64 s[2:3], -1, 0
	v_add_co_u32_e32 v6, vcc, 2, v6
	s_andn2_b64 s[42:43], s[42:43], exec
	s_and_b64 s[46:47], s[50:51], exec
	s_andn2_b64 s[40:41], s[40:41], exec
	s_and_b64 s[2:3], s[2:3], exec
	v_addc_co_u32_e32 v7, vcc, 0, v7, vcc
	s_or_b64 s[42:43], s[42:43], s[46:47]
	s_andn2_b64 s[0:1], s[0:1], exec
	s_or_b64 s[40:41], s[40:41], s[2:3]
                                        ; implicit-def: $sgpr46_sgpr47
	s_branch .LBB629_158
.LBB629_161:
	s_or_b64 exec, exec, s[36:37]
	s_xor_b64 s[0:1], s[38:39], -1
	s_branch .LBB629_163
.LBB629_162:
	s_mov_b64 s[0:1], -1
.LBB629_163:
	s_and_b64 s[0:1], s[0:1], exec
.LBB629_164:
	s_or_b64 exec, exec, s[34:35]
	s_orn2_b64 s[0:1], s[0:1], exec
.LBB629_165:
	s_or_b64 exec, exec, s[30:31]
	v_cndmask_b32_e64 v6, v23, v22, s[0:1]
	v_cndmask_b32_e64 v7, v15, v14, s[0:1]
	;; [unrolled: 1-line block ×3, first 2 shown]
	v_add_u32_e32 v10, 1, v6
	v_add_u32_e32 v6, -1, v7
	v_min_u32_e32 v6, v10, v6
	v_lshl_add_u32 v6, v6, 3, v16
	v_cndmask_b32_e64 v2, v9, v11, s[28:29]
	ds_read_b64 v[8:9], v6
	v_cndmask_b32_e64 v11, v10, v23, s[0:1]
	v_cndmask_b32_e64 v1, v5, v1, s[26:27]
	;; [unrolled: 1-line block ×5, first 2 shown]
	s_waitcnt lgkmcnt(0)
	v_cndmask_b32_e64 v7, v24, v9, s[0:1]
	v_cndmask_b32_e64 v6, v25, v8, s[0:1]
	v_cmp_lt_u32_e32 vcc, v11, v15
	s_and_saveexec_b64 s[26:27], vcc
	s_cbranch_execz .LBB629_175
; %bb.166:
	v_cndmask_b32_e64 v10, v22, v10, s[0:1]
	v_cndmask_b32_e64 v9, v9, v20, s[0:1]
	;; [unrolled: 1-line block ×3, first 2 shown]
	v_cmp_lt_u32_e32 vcc, v10, v14
	s_and_saveexec_b64 s[28:29], vcc
	s_cbranch_execz .LBB629_174
; %bb.167:
	s_andn2_b64 vcc, exec, s[24:25]
	s_cbranch_vccnz .LBB629_173
; %bb.168:
	v_mul_lo_u32 v14, v9, s16
	v_mul_lo_u32 v15, v8, s17
	v_mad_u64_u32 v[10:11], s[0:1], v8, s16, 0
	v_add3_u32 v11, v11, v15, v14
	v_lshlrev_b64 v[10:11], 1, v[10:11]
	v_mov_b32_e32 v14, s19
	v_add_co_u32_e32 v10, vcc, s18, v10
	v_addc_co_u32_e32 v11, vcc, v14, v11, vcc
	v_mul_lo_u32 v20, v7, s16
	v_mul_lo_u32 v21, v6, s17
	v_mad_u64_u32 v[14:15], s[0:1], v6, s16, 0
	v_add3_u32 v15, v15, v21, v20
	v_lshlrev_b64 v[14:15], 1, v[14:15]
	v_mov_b32_e32 v20, s19
	v_add_co_u32_e32 v14, vcc, s18, v14
	v_addc_co_u32_e32 v15, vcc, v20, v15, vcc
	s_mov_b64 s[30:31], 0
	s_mov_b64 s[40:41], s[16:17]
                                        ; implicit-def: $sgpr34_sgpr35
                                        ; implicit-def: $sgpr36_sgpr37
                                        ; implicit-def: $sgpr0_sgpr1
                                        ; implicit-def: $sgpr38_sgpr39
                                        ; implicit-def: $sgpr42_sgpr43
	s_branch .LBB629_170
.LBB629_169:                            ;   in Loop: Header=BB629_170 Depth=1
	s_or_b64 exec, exec, s[44:45]
	s_and_b64 s[2:3], exec, s[36:37]
	s_or_b64 s[30:31], s[2:3], s[30:31]
	s_andn2_b64 s[2:3], s[42:43], exec
	s_and_b64 s[42:43], s[38:39], exec
	s_or_b64 s[42:43], s[2:3], s[42:43]
	s_andn2_b64 s[2:3], s[34:35], exec
	s_and_b64 s[34:35], s[0:1], exec
	s_or_b64 s[34:35], s[2:3], s[34:35]
	s_andn2_b64 exec, exec, s[30:31]
	s_cbranch_execz .LBB629_172
.LBB629_170:                            ; =>This Inner Loop Header: Depth=1
	global_load_ushort v20, v[10:11], off
	global_load_ushort v21, v[14:15], off
	s_andn2_b64 s[44:45], s[0:1], exec
	s_andn2_b64 s[38:39], s[38:39], exec
	s_or_b64 s[36:37], s[36:37], exec
	s_waitcnt vmcnt(0)
	v_cmp_le_i16_e64 s[0:1], v20, v21
	v_cmp_lt_i16_e32 vcc, v20, v21
	s_and_b64 s[0:1], s[0:1], s[42:43]
	s_or_b64 s[46:47], vcc, s[0:1]
	s_and_b64 s[0:1], s[46:47], exec
	v_cmp_eq_u16_e64 s[2:3], v20, v21
	s_or_b64 s[0:1], s[44:45], s[0:1]
	s_and_saveexec_b64 s[44:45], s[2:3]
	s_cbranch_execz .LBB629_169
; %bb.171:                              ;   in Loop: Header=BB629_170 Depth=1
	s_add_u32 s40, s40, -1
	s_addc_u32 s41, s41, -1
	v_add_co_u32_e32 v10, vcc, 2, v10
	s_cmp_eq_u64 s[40:41], 0
	v_addc_co_u32_e32 v11, vcc, 0, v11, vcc
	s_cselect_b64 s[2:3], -1, 0
	v_add_co_u32_e32 v14, vcc, 2, v14
	s_andn2_b64 s[38:39], s[38:39], exec
	s_and_b64 s[42:43], s[46:47], exec
	s_andn2_b64 s[36:37], s[36:37], exec
	s_and_b64 s[2:3], s[2:3], exec
	v_addc_co_u32_e32 v15, vcc, 0, v15, vcc
	s_or_b64 s[38:39], s[38:39], s[42:43]
	s_andn2_b64 s[0:1], s[0:1], exec
	s_or_b64 s[36:37], s[36:37], s[2:3]
                                        ; implicit-def: $sgpr42_sgpr43
	s_branch .LBB629_169
.LBB629_172:
	s_or_b64 exec, exec, s[30:31]
	v_cndmask_b32_e64 v7, v7, v9, s[34:35]
	v_cndmask_b32_e64 v6, v6, v8, s[34:35]
.LBB629_173:
	v_pk_mov_b32 v[8:9], v[6:7], v[6:7] op_sel:[0,1]
.LBB629_174:
	s_or_b64 exec, exec, s[28:29]
	v_pk_mov_b32 v[6:7], v[8:9], v[8:9] op_sel:[0,1]
.LBB629_175:
	s_or_b64 exec, exec, s[26:27]
.LBB629_176:
	s_or_b64 exec, exec, s[4:5]
	v_and_b32_e32 v20, 0x1e0, v18
	v_or_b32_e32 v8, 16, v20
	v_min_u32_e32 v14, v17, v8
	v_add_u32_e32 v8, 16, v14
	v_min_u32_e32 v15, v17, v8
	v_and_b32_e32 v8, 28, v18
	v_min_u32_e32 v21, v17, v8
	v_sub_u32_e32 v8, v14, v20
	v_sub_u32_e32 v9, v15, v14
	v_sub_u32_e64 v23, v21, v9 clamp
	v_min_u32_e32 v24, v21, v8
	v_lshl_add_u32 v22, v20, 3, v16
	v_cmp_lt_u32_e32 vcc, v23, v24
	; wave barrier
	ds_write_b128 v19, v[0:3]
	ds_write_b128 v19, v[4:7] offset:16
	; wave barrier
	s_and_saveexec_b64 s[26:27], vcc
	s_cbranch_execz .LBB629_186
; %bb.177:
	v_lshlrev_b32_e32 v8, 3, v14
	v_lshlrev_b32_e32 v9, 3, v21
	v_add3_u32 v25, v16, v8, v9
	v_cndmask_b32_e64 v8, 0, 1, s[24:25]
	s_lshl_b64 s[30:31], s[16:17], 1
	s_mov_b64 s[28:29], 0
	v_cmp_ne_u32_e64 s[0:1], 1, v8
	s_branch .LBB629_180
.LBB629_178:                            ;   in Loop: Header=BB629_180 Depth=1
	s_or_b64 exec, exec, s[36:37]
.LBB629_179:                            ;   in Loop: Header=BB629_180 Depth=1
	v_add_u32_e32 v8, 1, v37
	v_cndmask_b32_e64 v24, v24, v37, s[34:35]
	v_cndmask_b32_e64 v23, v8, v23, s[34:35]
	v_cmp_ge_u32_e32 vcc, v23, v24
	s_or_b64 s[28:29], vcc, s[28:29]
	s_andn2_b64 exec, exec, s[28:29]
	s_cbranch_execz .LBB629_185
.LBB629_180:                            ; =>This Loop Header: Depth=1
                                        ;     Child Loop BB629_183 Depth 2
	v_add_u32_e32 v8, v24, v23
	v_lshrrev_b32_e32 v37, 1, v8
	s_and_b64 vcc, exec, s[0:1]
	s_mov_b64 s[34:35], 0
	s_cbranch_vccnz .LBB629_179
; %bb.181:                              ;   in Loop: Header=BB629_180 Depth=1
	v_not_b32_e32 v8, v37
	v_lshl_add_u32 v8, v8, 3, v25
	ds_read_b64 v[8:9], v8
	v_lshl_add_u32 v38, v37, 3, v22
	ds_read_b64 v[38:39], v38
	v_pk_mov_b32 v[10:11], s[18:19], s[18:19] op_sel:[0,1]
	s_mov_b64 s[36:37], 0
	s_waitcnt lgkmcnt(1)
	v_mul_lo_u32 v40, s30, v9
	v_mul_lo_u32 v41, s31, v8
	v_mad_u64_u32 v[8:9], s[2:3], s30, v8, v[10:11]
	v_add3_u32 v9, v41, v9, v40
	s_waitcnt lgkmcnt(0)
	v_mul_lo_u32 v39, s30, v39
	v_mul_lo_u32 v40, s31, v38
	v_mad_u64_u32 v[10:11], s[2:3], s30, v38, v[10:11]
	v_add3_u32 v11, v40, v11, v39
	s_mov_b64 s[42:43], s[16:17]
                                        ; implicit-def: $sgpr34_sgpr35
                                        ; implicit-def: $sgpr38_sgpr39
                                        ; implicit-def: $sgpr40_sgpr41
                                        ; implicit-def: $sgpr2_sgpr3
                                        ; implicit-def: $sgpr44_sgpr45
	s_branch .LBB629_183
.LBB629_182:                            ;   in Loop: Header=BB629_183 Depth=2
	s_or_b64 exec, exec, s[46:47]
	s_and_b64 s[4:5], exec, s[38:39]
	s_or_b64 s[36:37], s[4:5], s[36:37]
	s_andn2_b64 s[4:5], s[44:45], exec
	s_and_b64 s[44:45], s[40:41], exec
	s_or_b64 s[44:45], s[4:5], s[44:45]
	s_andn2_b64 s[4:5], s[34:35], exec
	s_and_b64 s[34:35], s[2:3], exec
	s_or_b64 s[34:35], s[4:5], s[34:35]
	s_andn2_b64 exec, exec, s[36:37]
	s_cbranch_execz .LBB629_178
.LBB629_183:                            ;   Parent Loop BB629_180 Depth=1
                                        ; =>  This Inner Loop Header: Depth=2
	global_load_ushort v38, v[8:9], off
	global_load_ushort v39, v[10:11], off
	s_andn2_b64 s[46:47], s[2:3], exec
	s_andn2_b64 s[40:41], s[40:41], exec
	s_or_b64 s[38:39], s[38:39], exec
	s_waitcnt vmcnt(0)
	v_cmp_le_i16_e64 s[2:3], v38, v39
	v_cmp_lt_i16_e32 vcc, v38, v39
	s_and_b64 s[2:3], s[2:3], s[44:45]
	s_or_b64 s[48:49], vcc, s[2:3]
	s_and_b64 s[2:3], s[48:49], exec
	v_cmp_eq_u16_e64 s[4:5], v38, v39
	s_or_b64 s[2:3], s[46:47], s[2:3]
	s_and_saveexec_b64 s[46:47], s[4:5]
	s_cbranch_execz .LBB629_182
; %bb.184:                              ;   in Loop: Header=BB629_183 Depth=2
	s_add_u32 s42, s42, -1
	s_addc_u32 s43, s43, -1
	v_add_co_u32_e32 v8, vcc, 2, v8
	s_cmp_eq_u64 s[42:43], 0
	v_addc_co_u32_e32 v9, vcc, 0, v9, vcc
	s_cselect_b64 s[4:5], -1, 0
	v_add_co_u32_e32 v10, vcc, 2, v10
	s_andn2_b64 s[40:41], s[40:41], exec
	s_and_b64 s[44:45], s[48:49], exec
	s_andn2_b64 s[38:39], s[38:39], exec
	s_and_b64 s[4:5], s[4:5], exec
	v_addc_co_u32_e32 v11, vcc, 0, v11, vcc
	s_andn2_b64 s[2:3], s[2:3], exec
	s_or_b64 s[40:41], s[40:41], s[44:45]
	s_or_b64 s[38:39], s[38:39], s[4:5]
                                        ; implicit-def: $sgpr44_sgpr45
	s_branch .LBB629_182
.LBB629_185:
	s_or_b64 exec, exec, s[28:29]
.LBB629_186:
	s_or_b64 exec, exec, s[26:27]
	v_add_u32_e32 v8, v14, v21
	v_add_u32_e32 v20, v23, v20
	v_sub_u32_e32 v21, v8, v23
	v_cmp_le_u32_e32 vcc, v20, v14
	v_cmp_le_u32_e64 s[0:1], v21, v15
	s_or_b64 s[0:1], vcc, s[0:1]
	s_and_saveexec_b64 s[4:5], s[0:1]
	s_cbranch_execz .LBB629_233
; %bb.187:
	v_cmp_ge_u32_e32 vcc, v20, v14
	v_cmp_lt_u32_e64 s[0:1], v20, v14
                                        ; implicit-def: $vgpr0_vgpr1
	s_and_saveexec_b64 s[2:3], s[0:1]
	s_cbranch_execz .LBB629_189
; %bb.188:
	v_lshl_add_u32 v0, v23, 3, v22
	ds_read_b64 v[0:1], v0
.LBB629_189:
	s_or_b64 exec, exec, s[2:3]
	v_cmp_ge_u32_e64 s[26:27], v21, v15
	v_cmp_lt_u32_e64 s[0:1], v21, v15
                                        ; implicit-def: $vgpr4_vgpr5
	s_and_saveexec_b64 s[2:3], s[0:1]
	s_cbranch_execz .LBB629_191
; %bb.190:
	v_lshl_add_u32 v2, v21, 3, v16
	ds_read_b64 v[4:5], v2
.LBB629_191:
	s_or_b64 exec, exec, s[2:3]
	s_or_b64 s[0:1], vcc, s[26:27]
	s_mov_b64 s[28:29], -1
	s_xor_b64 s[0:1], s[0:1], -1
	s_and_saveexec_b64 s[30:31], s[0:1]
	s_cbranch_execz .LBB629_200
; %bb.192:
	s_andn2_b64 vcc, exec, s[24:25]
	s_cbranch_vccnz .LBB629_198
; %bb.193:
	s_waitcnt lgkmcnt(0)
	v_mul_lo_u32 v6, v5, s16
	v_mul_lo_u32 v7, v4, s17
	v_mad_u64_u32 v[2:3], s[0:1], v4, s16, 0
	v_add3_u32 v3, v3, v7, v6
	v_lshlrev_b64 v[2:3], 1, v[2:3]
	v_mov_b32_e32 v6, s19
	v_add_co_u32_e32 v2, vcc, s18, v2
	v_addc_co_u32_e32 v3, vcc, v6, v3, vcc
	v_mul_lo_u32 v8, v1, s16
	v_mul_lo_u32 v9, v0, s17
	v_mad_u64_u32 v[6:7], s[0:1], v0, s16, 0
	v_add3_u32 v7, v7, v9, v8
	v_lshlrev_b64 v[6:7], 1, v[6:7]
	v_mov_b32_e32 v8, s19
	v_add_co_u32_e32 v6, vcc, s18, v6
	v_addc_co_u32_e32 v7, vcc, v8, v7, vcc
	s_mov_b64 s[34:35], 0
	s_mov_b64 s[42:43], s[16:17]
                                        ; implicit-def: $sgpr36_sgpr37
                                        ; implicit-def: $sgpr38_sgpr39
                                        ; implicit-def: $sgpr0_sgpr1
                                        ; implicit-def: $sgpr40_sgpr41
                                        ; implicit-def: $sgpr44_sgpr45
	s_branch .LBB629_195
.LBB629_194:                            ;   in Loop: Header=BB629_195 Depth=1
	s_or_b64 exec, exec, s[46:47]
	s_and_b64 s[2:3], exec, s[38:39]
	s_or_b64 s[34:35], s[2:3], s[34:35]
	s_andn2_b64 s[2:3], s[44:45], exec
	s_and_b64 s[44:45], s[40:41], exec
	s_or_b64 s[44:45], s[2:3], s[44:45]
	s_andn2_b64 s[2:3], s[36:37], exec
	s_and_b64 s[36:37], s[0:1], exec
	s_or_b64 s[36:37], s[2:3], s[36:37]
	s_andn2_b64 exec, exec, s[34:35]
	s_cbranch_execz .LBB629_197
.LBB629_195:                            ; =>This Inner Loop Header: Depth=1
	global_load_ushort v8, v[2:3], off
	global_load_ushort v9, v[6:7], off
	s_andn2_b64 s[46:47], s[0:1], exec
	s_andn2_b64 s[40:41], s[40:41], exec
	s_or_b64 s[38:39], s[38:39], exec
	s_waitcnt vmcnt(0)
	v_cmp_le_i16_e64 s[0:1], v8, v9
	v_cmp_lt_i16_e32 vcc, v8, v9
	s_and_b64 s[0:1], s[0:1], s[44:45]
	s_or_b64 s[48:49], vcc, s[0:1]
	s_and_b64 s[0:1], s[48:49], exec
	v_cmp_eq_u16_e64 s[2:3], v8, v9
	s_or_b64 s[0:1], s[46:47], s[0:1]
	s_and_saveexec_b64 s[46:47], s[2:3]
	s_cbranch_execz .LBB629_194
; %bb.196:                              ;   in Loop: Header=BB629_195 Depth=1
	s_add_u32 s42, s42, -1
	s_addc_u32 s43, s43, -1
	v_add_co_u32_e32 v2, vcc, 2, v2
	s_cmp_eq_u64 s[42:43], 0
	v_addc_co_u32_e32 v3, vcc, 0, v3, vcc
	s_cselect_b64 s[2:3], -1, 0
	v_add_co_u32_e32 v6, vcc, 2, v6
	s_andn2_b64 s[40:41], s[40:41], exec
	s_and_b64 s[44:45], s[48:49], exec
	s_andn2_b64 s[38:39], s[38:39], exec
	s_and_b64 s[2:3], s[2:3], exec
	v_addc_co_u32_e32 v7, vcc, 0, v7, vcc
	s_or_b64 s[40:41], s[40:41], s[44:45]
	s_andn2_b64 s[0:1], s[0:1], exec
	s_or_b64 s[38:39], s[38:39], s[2:3]
                                        ; implicit-def: $sgpr44_sgpr45
	s_branch .LBB629_194
.LBB629_197:
	s_or_b64 exec, exec, s[34:35]
	s_xor_b64 s[0:1], s[36:37], -1
	s_branch .LBB629_199
.LBB629_198:
	s_mov_b64 s[0:1], -1
.LBB629_199:
	s_andn2_b64 s[2:3], s[26:27], exec
	s_and_b64 s[0:1], s[0:1], exec
	s_or_b64 s[26:27], s[2:3], s[0:1]
.LBB629_200:
	s_or_b64 exec, exec, s[30:31]
	v_cndmask_b32_e64 v2, v21, v20, s[26:27]
	v_cndmask_b32_e64 v3, v15, v14, s[26:27]
	v_add_u32_e32 v6, 1, v2
	v_add_u32_e32 v2, -1, v3
	v_min_u32_e32 v2, v6, v2
	v_lshl_add_u32 v2, v2, 3, v16
	ds_read_b64 v[2:3], v2
	v_cndmask_b32_e64 v22, v6, v21, s[26:27]
	v_cndmask_b32_e64 v37, v20, v6, s[26:27]
	v_cmp_lt_u32_e32 vcc, v22, v15
	s_waitcnt lgkmcnt(0)
	v_cndmask_b32_e64 v8, v3, v5, s[26:27]
	v_cndmask_b32_e64 v9, v2, v4, s[26:27]
	;; [unrolled: 1-line block ×4, first 2 shown]
	s_and_saveexec_b64 s[30:31], vcc
	s_cbranch_execz .LBB629_211
; %bb.201:
	v_cmp_lt_u32_e32 vcc, v37, v14
	s_mov_b64 s[0:1], 0
	s_and_saveexec_b64 s[28:29], vcc
	s_cbranch_execz .LBB629_210
; %bb.202:
	s_andn2_b64 vcc, exec, s[24:25]
	s_cbranch_vccnz .LBB629_208
; %bb.203:
	v_mul_lo_u32 v6, v8, s16
	v_mul_lo_u32 v7, v9, s17
	v_mad_u64_u32 v[2:3], s[0:1], v9, s16, 0
	v_add3_u32 v3, v3, v7, v6
	v_lshlrev_b64 v[2:3], 1, v[2:3]
	v_mov_b32_e32 v6, s19
	v_add_co_u32_e32 v2, vcc, s18, v2
	v_addc_co_u32_e32 v3, vcc, v6, v3, vcc
	v_mul_lo_u32 v20, v10, s16
	v_mul_lo_u32 v21, v11, s17
	v_mad_u64_u32 v[6:7], s[0:1], v11, s16, 0
	v_add3_u32 v7, v7, v21, v20
	v_lshlrev_b64 v[6:7], 1, v[6:7]
	v_mov_b32_e32 v20, s19
	v_add_co_u32_e32 v6, vcc, s18, v6
	v_addc_co_u32_e32 v7, vcc, v20, v7, vcc
	s_mov_b64 s[34:35], 0
	s_mov_b64 s[42:43], s[16:17]
                                        ; implicit-def: $sgpr36_sgpr37
                                        ; implicit-def: $sgpr38_sgpr39
                                        ; implicit-def: $sgpr0_sgpr1
                                        ; implicit-def: $sgpr40_sgpr41
                                        ; implicit-def: $sgpr44_sgpr45
	s_branch .LBB629_205
.LBB629_204:                            ;   in Loop: Header=BB629_205 Depth=1
	s_or_b64 exec, exec, s[46:47]
	s_and_b64 s[2:3], exec, s[38:39]
	s_or_b64 s[34:35], s[2:3], s[34:35]
	s_andn2_b64 s[2:3], s[44:45], exec
	s_and_b64 s[44:45], s[40:41], exec
	s_or_b64 s[44:45], s[2:3], s[44:45]
	s_andn2_b64 s[2:3], s[36:37], exec
	s_and_b64 s[36:37], s[0:1], exec
	s_or_b64 s[36:37], s[2:3], s[36:37]
	s_andn2_b64 exec, exec, s[34:35]
	s_cbranch_execz .LBB629_207
.LBB629_205:                            ; =>This Inner Loop Header: Depth=1
	global_load_ushort v20, v[2:3], off
	global_load_ushort v21, v[6:7], off
	s_andn2_b64 s[46:47], s[0:1], exec
	s_andn2_b64 s[40:41], s[40:41], exec
	s_or_b64 s[38:39], s[38:39], exec
	s_waitcnt vmcnt(0)
	v_cmp_le_i16_e64 s[0:1], v20, v21
	v_cmp_lt_i16_e32 vcc, v20, v21
	s_and_b64 s[0:1], s[0:1], s[44:45]
	s_or_b64 s[48:49], vcc, s[0:1]
	s_and_b64 s[0:1], s[48:49], exec
	v_cmp_eq_u16_e64 s[2:3], v20, v21
	s_or_b64 s[0:1], s[46:47], s[0:1]
	s_and_saveexec_b64 s[46:47], s[2:3]
	s_cbranch_execz .LBB629_204
; %bb.206:                              ;   in Loop: Header=BB629_205 Depth=1
	s_add_u32 s42, s42, -1
	s_addc_u32 s43, s43, -1
	v_add_co_u32_e32 v2, vcc, 2, v2
	s_cmp_eq_u64 s[42:43], 0
	v_addc_co_u32_e32 v3, vcc, 0, v3, vcc
	s_cselect_b64 s[2:3], -1, 0
	v_add_co_u32_e32 v6, vcc, 2, v6
	s_andn2_b64 s[40:41], s[40:41], exec
	s_and_b64 s[44:45], s[48:49], exec
	s_andn2_b64 s[38:39], s[38:39], exec
	s_and_b64 s[2:3], s[2:3], exec
	v_addc_co_u32_e32 v7, vcc, 0, v7, vcc
	s_or_b64 s[40:41], s[40:41], s[44:45]
	s_andn2_b64 s[0:1], s[0:1], exec
	s_or_b64 s[38:39], s[38:39], s[2:3]
                                        ; implicit-def: $sgpr44_sgpr45
	s_branch .LBB629_204
.LBB629_207:
	s_or_b64 exec, exec, s[34:35]
	s_xor_b64 s[0:1], s[36:37], -1
	s_branch .LBB629_209
.LBB629_208:
	s_mov_b64 s[0:1], -1
.LBB629_209:
	s_and_b64 s[0:1], s[0:1], exec
.LBB629_210:
	s_or_b64 exec, exec, s[28:29]
	s_orn2_b64 s[28:29], s[0:1], exec
.LBB629_211:
	s_or_b64 exec, exec, s[30:31]
	v_cndmask_b32_e64 v2, v22, v37, s[28:29]
	v_cndmask_b32_e64 v3, v15, v14, s[28:29]
	v_add_u32_e32 v6, 1, v2
	v_add_u32_e32 v2, -1, v3
	v_min_u32_e32 v2, v6, v2
	v_lshl_add_u32 v2, v2, 3, v16
	ds_read_b64 v[2:3], v2
	v_cndmask_b32_e64 v23, v6, v22, s[28:29]
	v_cndmask_b32_e64 v22, v37, v6, s[28:29]
	v_cmp_lt_u32_e32 vcc, v23, v15
	s_mov_b64 s[0:1], -1
	s_waitcnt lgkmcnt(0)
	v_cndmask_b32_e64 v20, v3, v8, s[28:29]
	v_cndmask_b32_e64 v21, v2, v9, s[28:29]
	;; [unrolled: 1-line block ×4, first 2 shown]
	s_and_saveexec_b64 s[30:31], vcc
	s_cbranch_execz .LBB629_222
; %bb.212:
	v_cmp_lt_u32_e32 vcc, v22, v14
	s_mov_b64 s[0:1], 0
	s_and_saveexec_b64 s[34:35], vcc
	s_cbranch_execz .LBB629_221
; %bb.213:
	s_andn2_b64 vcc, exec, s[24:25]
	s_cbranch_vccnz .LBB629_219
; %bb.214:
	v_mul_lo_u32 v6, v20, s16
	v_mul_lo_u32 v7, v21, s17
	v_mad_u64_u32 v[2:3], s[0:1], v21, s16, 0
	v_add3_u32 v3, v3, v7, v6
	v_lshlrev_b64 v[2:3], 1, v[2:3]
	v_mov_b32_e32 v6, s19
	v_add_co_u32_e32 v2, vcc, s18, v2
	v_addc_co_u32_e32 v3, vcc, v6, v3, vcc
	v_mul_lo_u32 v37, v24, s16
	v_mul_lo_u32 v38, v25, s17
	v_mad_u64_u32 v[6:7], s[0:1], v25, s16, 0
	v_add3_u32 v7, v7, v38, v37
	v_lshlrev_b64 v[6:7], 1, v[6:7]
	v_mov_b32_e32 v37, s19
	v_add_co_u32_e32 v6, vcc, s18, v6
	v_addc_co_u32_e32 v7, vcc, v37, v7, vcc
	s_mov_b64 s[36:37], 0
	s_mov_b64 s[44:45], s[16:17]
                                        ; implicit-def: $sgpr38_sgpr39
                                        ; implicit-def: $sgpr40_sgpr41
                                        ; implicit-def: $sgpr0_sgpr1
                                        ; implicit-def: $sgpr42_sgpr43
                                        ; implicit-def: $sgpr46_sgpr47
	s_branch .LBB629_216
.LBB629_215:                            ;   in Loop: Header=BB629_216 Depth=1
	s_or_b64 exec, exec, s[48:49]
	s_and_b64 s[2:3], exec, s[40:41]
	s_or_b64 s[36:37], s[2:3], s[36:37]
	s_andn2_b64 s[2:3], s[46:47], exec
	s_and_b64 s[46:47], s[42:43], exec
	s_or_b64 s[46:47], s[2:3], s[46:47]
	s_andn2_b64 s[2:3], s[38:39], exec
	s_and_b64 s[38:39], s[0:1], exec
	s_or_b64 s[38:39], s[2:3], s[38:39]
	s_andn2_b64 exec, exec, s[36:37]
	s_cbranch_execz .LBB629_218
.LBB629_216:                            ; =>This Inner Loop Header: Depth=1
	global_load_ushort v37, v[2:3], off
	global_load_ushort v38, v[6:7], off
	s_andn2_b64 s[48:49], s[0:1], exec
	s_andn2_b64 s[42:43], s[42:43], exec
	s_or_b64 s[40:41], s[40:41], exec
	s_waitcnt vmcnt(0)
	v_cmp_le_i16_e64 s[0:1], v37, v38
	v_cmp_lt_i16_e32 vcc, v37, v38
	s_and_b64 s[0:1], s[0:1], s[46:47]
	s_or_b64 s[50:51], vcc, s[0:1]
	s_and_b64 s[0:1], s[50:51], exec
	v_cmp_eq_u16_e64 s[2:3], v37, v38
	s_or_b64 s[0:1], s[48:49], s[0:1]
	s_and_saveexec_b64 s[48:49], s[2:3]
	s_cbranch_execz .LBB629_215
; %bb.217:                              ;   in Loop: Header=BB629_216 Depth=1
	s_add_u32 s44, s44, -1
	s_addc_u32 s45, s45, -1
	v_add_co_u32_e32 v2, vcc, 2, v2
	s_cmp_eq_u64 s[44:45], 0
	v_addc_co_u32_e32 v3, vcc, 0, v3, vcc
	s_cselect_b64 s[2:3], -1, 0
	v_add_co_u32_e32 v6, vcc, 2, v6
	s_andn2_b64 s[42:43], s[42:43], exec
	s_and_b64 s[46:47], s[50:51], exec
	s_andn2_b64 s[40:41], s[40:41], exec
	s_and_b64 s[2:3], s[2:3], exec
	v_addc_co_u32_e32 v7, vcc, 0, v7, vcc
	s_or_b64 s[42:43], s[42:43], s[46:47]
	s_andn2_b64 s[0:1], s[0:1], exec
	s_or_b64 s[40:41], s[40:41], s[2:3]
                                        ; implicit-def: $sgpr46_sgpr47
	s_branch .LBB629_215
.LBB629_218:
	s_or_b64 exec, exec, s[36:37]
	s_xor_b64 s[0:1], s[38:39], -1
	s_branch .LBB629_220
.LBB629_219:
	s_mov_b64 s[0:1], -1
.LBB629_220:
	s_and_b64 s[0:1], s[0:1], exec
.LBB629_221:
	s_or_b64 exec, exec, s[34:35]
	s_orn2_b64 s[0:1], s[0:1], exec
.LBB629_222:
	s_or_b64 exec, exec, s[30:31]
	v_cndmask_b32_e64 v6, v23, v22, s[0:1]
	v_cndmask_b32_e64 v7, v15, v14, s[0:1]
	;; [unrolled: 1-line block ×3, first 2 shown]
	v_add_u32_e32 v10, 1, v6
	v_add_u32_e32 v6, -1, v7
	v_min_u32_e32 v6, v10, v6
	v_lshl_add_u32 v6, v6, 3, v16
	v_cndmask_b32_e64 v2, v9, v11, s[28:29]
	ds_read_b64 v[8:9], v6
	v_cndmask_b32_e64 v11, v10, v23, s[0:1]
	v_cndmask_b32_e64 v1, v5, v1, s[26:27]
	v_cndmask_b32_e64 v0, v4, v0, s[26:27]
	v_cndmask_b32_e64 v5, v20, v24, s[0:1]
	v_cndmask_b32_e64 v4, v21, v25, s[0:1]
	s_waitcnt lgkmcnt(0)
	v_cndmask_b32_e64 v7, v24, v9, s[0:1]
	v_cndmask_b32_e64 v6, v25, v8, s[0:1]
	v_cmp_lt_u32_e32 vcc, v11, v15
	s_and_saveexec_b64 s[26:27], vcc
	s_cbranch_execz .LBB629_232
; %bb.223:
	v_cndmask_b32_e64 v10, v22, v10, s[0:1]
	v_cndmask_b32_e64 v9, v9, v20, s[0:1]
	;; [unrolled: 1-line block ×3, first 2 shown]
	v_cmp_lt_u32_e32 vcc, v10, v14
	s_and_saveexec_b64 s[28:29], vcc
	s_cbranch_execz .LBB629_231
; %bb.224:
	s_andn2_b64 vcc, exec, s[24:25]
	s_cbranch_vccnz .LBB629_230
; %bb.225:
	v_mul_lo_u32 v14, v9, s16
	v_mul_lo_u32 v15, v8, s17
	v_mad_u64_u32 v[10:11], s[0:1], v8, s16, 0
	v_add3_u32 v11, v11, v15, v14
	v_lshlrev_b64 v[10:11], 1, v[10:11]
	v_mov_b32_e32 v14, s19
	v_add_co_u32_e32 v10, vcc, s18, v10
	v_addc_co_u32_e32 v11, vcc, v14, v11, vcc
	v_mul_lo_u32 v20, v7, s16
	v_mul_lo_u32 v21, v6, s17
	v_mad_u64_u32 v[14:15], s[0:1], v6, s16, 0
	v_add3_u32 v15, v15, v21, v20
	v_lshlrev_b64 v[14:15], 1, v[14:15]
	v_mov_b32_e32 v20, s19
	v_add_co_u32_e32 v14, vcc, s18, v14
	v_addc_co_u32_e32 v15, vcc, v20, v15, vcc
	s_mov_b64 s[30:31], 0
	s_mov_b64 s[40:41], s[16:17]
                                        ; implicit-def: $sgpr34_sgpr35
                                        ; implicit-def: $sgpr36_sgpr37
                                        ; implicit-def: $sgpr0_sgpr1
                                        ; implicit-def: $sgpr38_sgpr39
                                        ; implicit-def: $sgpr42_sgpr43
	s_branch .LBB629_227
.LBB629_226:                            ;   in Loop: Header=BB629_227 Depth=1
	s_or_b64 exec, exec, s[44:45]
	s_and_b64 s[2:3], exec, s[36:37]
	s_or_b64 s[30:31], s[2:3], s[30:31]
	s_andn2_b64 s[2:3], s[42:43], exec
	s_and_b64 s[42:43], s[38:39], exec
	s_or_b64 s[42:43], s[2:3], s[42:43]
	s_andn2_b64 s[2:3], s[34:35], exec
	s_and_b64 s[34:35], s[0:1], exec
	s_or_b64 s[34:35], s[2:3], s[34:35]
	s_andn2_b64 exec, exec, s[30:31]
	s_cbranch_execz .LBB629_229
.LBB629_227:                            ; =>This Inner Loop Header: Depth=1
	global_load_ushort v20, v[10:11], off
	global_load_ushort v21, v[14:15], off
	s_andn2_b64 s[44:45], s[0:1], exec
	s_andn2_b64 s[38:39], s[38:39], exec
	s_or_b64 s[36:37], s[36:37], exec
	s_waitcnt vmcnt(0)
	v_cmp_le_i16_e64 s[0:1], v20, v21
	v_cmp_lt_i16_e32 vcc, v20, v21
	s_and_b64 s[0:1], s[0:1], s[42:43]
	s_or_b64 s[46:47], vcc, s[0:1]
	s_and_b64 s[0:1], s[46:47], exec
	v_cmp_eq_u16_e64 s[2:3], v20, v21
	s_or_b64 s[0:1], s[44:45], s[0:1]
	s_and_saveexec_b64 s[44:45], s[2:3]
	s_cbranch_execz .LBB629_226
; %bb.228:                              ;   in Loop: Header=BB629_227 Depth=1
	s_add_u32 s40, s40, -1
	s_addc_u32 s41, s41, -1
	v_add_co_u32_e32 v10, vcc, 2, v10
	s_cmp_eq_u64 s[40:41], 0
	v_addc_co_u32_e32 v11, vcc, 0, v11, vcc
	s_cselect_b64 s[2:3], -1, 0
	v_add_co_u32_e32 v14, vcc, 2, v14
	s_andn2_b64 s[38:39], s[38:39], exec
	s_and_b64 s[42:43], s[46:47], exec
	s_andn2_b64 s[36:37], s[36:37], exec
	s_and_b64 s[2:3], s[2:3], exec
	v_addc_co_u32_e32 v15, vcc, 0, v15, vcc
	s_or_b64 s[38:39], s[38:39], s[42:43]
	s_andn2_b64 s[0:1], s[0:1], exec
	s_or_b64 s[36:37], s[36:37], s[2:3]
                                        ; implicit-def: $sgpr42_sgpr43
	s_branch .LBB629_226
.LBB629_229:
	s_or_b64 exec, exec, s[30:31]
	v_cndmask_b32_e64 v7, v7, v9, s[34:35]
	v_cndmask_b32_e64 v6, v6, v8, s[34:35]
.LBB629_230:
	v_pk_mov_b32 v[8:9], v[6:7], v[6:7] op_sel:[0,1]
.LBB629_231:
	s_or_b64 exec, exec, s[28:29]
	v_pk_mov_b32 v[6:7], v[8:9], v[8:9] op_sel:[0,1]
.LBB629_232:
	s_or_b64 exec, exec, s[26:27]
.LBB629_233:
	s_or_b64 exec, exec, s[4:5]
	v_and_b32_e32 v21, 0x1c0, v18
	v_or_b32_e32 v8, 32, v21
	v_min_u32_e32 v14, v17, v8
	v_add_u32_e32 v8, 32, v14
	v_min_u32_e32 v15, v17, v8
	v_and_b32_e32 v8, 60, v18
	v_min_u32_e32 v18, v17, v8
	v_sub_u32_e32 v8, v14, v21
	v_sub_u32_e32 v9, v15, v14
	v_sub_u32_e64 v20, v18, v9 clamp
	v_min_u32_e32 v17, v18, v8
	; wave barrier
	ds_write_b128 v19, v[0:3]
	ds_write_b128 v19, v[4:7] offset:16
	v_lshl_add_u32 v19, v21, 3, v16
	v_cmp_lt_u32_e32 vcc, v20, v17
	; wave barrier
	s_and_saveexec_b64 s[26:27], vcc
	s_cbranch_execz .LBB629_243
; %bb.234:
	v_lshlrev_b32_e32 v8, 3, v14
	v_lshlrev_b32_e32 v9, 3, v18
	v_add3_u32 v22, v16, v8, v9
	v_cndmask_b32_e64 v8, 0, 1, s[24:25]
	s_lshl_b64 s[30:31], s[16:17], 1
	s_mov_b64 s[28:29], 0
	v_cmp_ne_u32_e64 s[0:1], 1, v8
	s_branch .LBB629_237
.LBB629_235:                            ;   in Loop: Header=BB629_237 Depth=1
	s_or_b64 exec, exec, s[36:37]
.LBB629_236:                            ;   in Loop: Header=BB629_237 Depth=1
	v_add_u32_e32 v8, 1, v23
	v_cndmask_b32_e64 v17, v17, v23, s[34:35]
	v_cndmask_b32_e64 v20, v8, v20, s[34:35]
	v_cmp_ge_u32_e32 vcc, v20, v17
	s_or_b64 s[28:29], vcc, s[28:29]
	s_andn2_b64 exec, exec, s[28:29]
	s_cbranch_execz .LBB629_242
.LBB629_237:                            ; =>This Loop Header: Depth=1
                                        ;     Child Loop BB629_240 Depth 2
	v_add_u32_e32 v8, v17, v20
	v_lshrrev_b32_e32 v23, 1, v8
	s_and_b64 vcc, exec, s[0:1]
	s_mov_b64 s[34:35], 0
	s_cbranch_vccnz .LBB629_236
; %bb.238:                              ;   in Loop: Header=BB629_237 Depth=1
	v_not_b32_e32 v8, v23
	v_lshl_add_u32 v8, v8, 3, v22
	ds_read_b64 v[8:9], v8
	v_lshl_add_u32 v24, v23, 3, v19
	ds_read_b64 v[24:25], v24
	v_pk_mov_b32 v[10:11], s[18:19], s[18:19] op_sel:[0,1]
	s_mov_b64 s[36:37], 0
	s_waitcnt lgkmcnt(1)
	v_mul_lo_u32 v37, s30, v9
	v_mul_lo_u32 v38, s31, v8
	v_mad_u64_u32 v[8:9], s[2:3], s30, v8, v[10:11]
	v_add3_u32 v9, v38, v9, v37
	s_waitcnt lgkmcnt(0)
	v_mul_lo_u32 v25, s30, v25
	v_mul_lo_u32 v37, s31, v24
	v_mad_u64_u32 v[10:11], s[2:3], s30, v24, v[10:11]
	v_add3_u32 v11, v37, v11, v25
	s_mov_b64 s[42:43], s[16:17]
                                        ; implicit-def: $sgpr34_sgpr35
                                        ; implicit-def: $sgpr38_sgpr39
                                        ; implicit-def: $sgpr40_sgpr41
                                        ; implicit-def: $sgpr2_sgpr3
                                        ; implicit-def: $sgpr44_sgpr45
	s_branch .LBB629_240
.LBB629_239:                            ;   in Loop: Header=BB629_240 Depth=2
	s_or_b64 exec, exec, s[46:47]
	s_and_b64 s[4:5], exec, s[38:39]
	s_or_b64 s[36:37], s[4:5], s[36:37]
	s_andn2_b64 s[4:5], s[44:45], exec
	s_and_b64 s[44:45], s[40:41], exec
	s_or_b64 s[44:45], s[4:5], s[44:45]
	s_andn2_b64 s[4:5], s[34:35], exec
	s_and_b64 s[34:35], s[2:3], exec
	s_or_b64 s[34:35], s[4:5], s[34:35]
	s_andn2_b64 exec, exec, s[36:37]
	s_cbranch_execz .LBB629_235
.LBB629_240:                            ;   Parent Loop BB629_237 Depth=1
                                        ; =>  This Inner Loop Header: Depth=2
	global_load_ushort v24, v[8:9], off
	global_load_ushort v25, v[10:11], off
	s_andn2_b64 s[46:47], s[2:3], exec
	s_andn2_b64 s[40:41], s[40:41], exec
	s_or_b64 s[38:39], s[38:39], exec
	s_waitcnt vmcnt(0)
	v_cmp_le_i16_e64 s[2:3], v24, v25
	v_cmp_lt_i16_e32 vcc, v24, v25
	s_and_b64 s[2:3], s[2:3], s[44:45]
	s_or_b64 s[48:49], vcc, s[2:3]
	s_and_b64 s[2:3], s[48:49], exec
	v_cmp_eq_u16_e64 s[4:5], v24, v25
	s_or_b64 s[2:3], s[46:47], s[2:3]
	s_and_saveexec_b64 s[46:47], s[4:5]
	s_cbranch_execz .LBB629_239
; %bb.241:                              ;   in Loop: Header=BB629_240 Depth=2
	s_add_u32 s42, s42, -1
	s_addc_u32 s43, s43, -1
	v_add_co_u32_e32 v8, vcc, 2, v8
	s_cmp_eq_u64 s[42:43], 0
	v_addc_co_u32_e32 v9, vcc, 0, v9, vcc
	s_cselect_b64 s[4:5], -1, 0
	v_add_co_u32_e32 v10, vcc, 2, v10
	s_andn2_b64 s[40:41], s[40:41], exec
	s_and_b64 s[44:45], s[48:49], exec
	s_andn2_b64 s[38:39], s[38:39], exec
	s_and_b64 s[4:5], s[4:5], exec
	v_addc_co_u32_e32 v11, vcc, 0, v11, vcc
	s_andn2_b64 s[2:3], s[2:3], exec
	s_or_b64 s[40:41], s[40:41], s[44:45]
	s_or_b64 s[38:39], s[38:39], s[4:5]
                                        ; implicit-def: $sgpr44_sgpr45
	s_branch .LBB629_239
.LBB629_242:
	s_or_b64 exec, exec, s[28:29]
.LBB629_243:
	s_or_b64 exec, exec, s[26:27]
	v_add_u32_e32 v8, v14, v18
	v_add_u32_e32 v17, v20, v21
	v_sub_u32_e32 v18, v8, v20
	v_cmp_le_u32_e32 vcc, v17, v14
	v_cmp_le_u32_e64 s[0:1], v18, v15
	s_or_b64 s[0:1], vcc, s[0:1]
	s_and_saveexec_b64 s[4:5], s[0:1]
	s_cbranch_execz .LBB629_290
; %bb.244:
	v_cmp_ge_u32_e32 vcc, v17, v14
	v_cmp_lt_u32_e64 s[0:1], v17, v14
                                        ; implicit-def: $vgpr0_vgpr1
	s_and_saveexec_b64 s[2:3], s[0:1]
	s_cbranch_execz .LBB629_246
; %bb.245:
	v_lshl_add_u32 v0, v20, 3, v19
	ds_read_b64 v[0:1], v0
.LBB629_246:
	s_or_b64 exec, exec, s[2:3]
	v_cmp_ge_u32_e64 s[26:27], v18, v15
	v_cmp_lt_u32_e64 s[0:1], v18, v15
                                        ; implicit-def: $vgpr4_vgpr5
	s_and_saveexec_b64 s[2:3], s[0:1]
	s_cbranch_execz .LBB629_248
; %bb.247:
	v_lshl_add_u32 v2, v18, 3, v16
	ds_read_b64 v[4:5], v2
.LBB629_248:
	s_or_b64 exec, exec, s[2:3]
	s_or_b64 s[0:1], vcc, s[26:27]
	s_mov_b64 s[28:29], -1
	s_xor_b64 s[0:1], s[0:1], -1
	s_and_saveexec_b64 s[30:31], s[0:1]
	s_cbranch_execz .LBB629_257
; %bb.249:
	s_andn2_b64 vcc, exec, s[24:25]
	s_cbranch_vccnz .LBB629_255
; %bb.250:
	s_waitcnt lgkmcnt(0)
	v_mul_lo_u32 v6, v5, s16
	v_mul_lo_u32 v7, v4, s17
	v_mad_u64_u32 v[2:3], s[0:1], v4, s16, 0
	v_add3_u32 v3, v3, v7, v6
	v_lshlrev_b64 v[2:3], 1, v[2:3]
	v_mov_b32_e32 v6, s19
	v_add_co_u32_e32 v2, vcc, s18, v2
	v_addc_co_u32_e32 v3, vcc, v6, v3, vcc
	v_mul_lo_u32 v8, v1, s16
	v_mul_lo_u32 v9, v0, s17
	v_mad_u64_u32 v[6:7], s[0:1], v0, s16, 0
	v_add3_u32 v7, v7, v9, v8
	v_lshlrev_b64 v[6:7], 1, v[6:7]
	v_mov_b32_e32 v8, s19
	v_add_co_u32_e32 v6, vcc, s18, v6
	v_addc_co_u32_e32 v7, vcc, v8, v7, vcc
	s_mov_b64 s[34:35], 0
	s_mov_b64 s[42:43], s[16:17]
                                        ; implicit-def: $sgpr36_sgpr37
                                        ; implicit-def: $sgpr38_sgpr39
                                        ; implicit-def: $sgpr0_sgpr1
                                        ; implicit-def: $sgpr40_sgpr41
                                        ; implicit-def: $sgpr44_sgpr45
	s_branch .LBB629_252
.LBB629_251:                            ;   in Loop: Header=BB629_252 Depth=1
	s_or_b64 exec, exec, s[46:47]
	s_and_b64 s[2:3], exec, s[38:39]
	s_or_b64 s[34:35], s[2:3], s[34:35]
	s_andn2_b64 s[2:3], s[44:45], exec
	s_and_b64 s[44:45], s[40:41], exec
	s_or_b64 s[44:45], s[2:3], s[44:45]
	s_andn2_b64 s[2:3], s[36:37], exec
	s_and_b64 s[36:37], s[0:1], exec
	s_or_b64 s[36:37], s[2:3], s[36:37]
	s_andn2_b64 exec, exec, s[34:35]
	s_cbranch_execz .LBB629_254
.LBB629_252:                            ; =>This Inner Loop Header: Depth=1
	global_load_ushort v8, v[2:3], off
	global_load_ushort v9, v[6:7], off
	s_andn2_b64 s[46:47], s[0:1], exec
	s_andn2_b64 s[40:41], s[40:41], exec
	s_or_b64 s[38:39], s[38:39], exec
	s_waitcnt vmcnt(0)
	v_cmp_le_i16_e64 s[0:1], v8, v9
	v_cmp_lt_i16_e32 vcc, v8, v9
	s_and_b64 s[0:1], s[0:1], s[44:45]
	s_or_b64 s[48:49], vcc, s[0:1]
	s_and_b64 s[0:1], s[48:49], exec
	v_cmp_eq_u16_e64 s[2:3], v8, v9
	s_or_b64 s[0:1], s[46:47], s[0:1]
	s_and_saveexec_b64 s[46:47], s[2:3]
	s_cbranch_execz .LBB629_251
; %bb.253:                              ;   in Loop: Header=BB629_252 Depth=1
	s_add_u32 s42, s42, -1
	s_addc_u32 s43, s43, -1
	v_add_co_u32_e32 v2, vcc, 2, v2
	s_cmp_eq_u64 s[42:43], 0
	v_addc_co_u32_e32 v3, vcc, 0, v3, vcc
	s_cselect_b64 s[2:3], -1, 0
	v_add_co_u32_e32 v6, vcc, 2, v6
	s_andn2_b64 s[40:41], s[40:41], exec
	s_and_b64 s[44:45], s[48:49], exec
	s_andn2_b64 s[38:39], s[38:39], exec
	s_and_b64 s[2:3], s[2:3], exec
	v_addc_co_u32_e32 v7, vcc, 0, v7, vcc
	s_or_b64 s[40:41], s[40:41], s[44:45]
	s_andn2_b64 s[0:1], s[0:1], exec
	s_or_b64 s[38:39], s[38:39], s[2:3]
                                        ; implicit-def: $sgpr44_sgpr45
	s_branch .LBB629_251
.LBB629_254:
	s_or_b64 exec, exec, s[34:35]
	s_xor_b64 s[0:1], s[36:37], -1
	s_branch .LBB629_256
.LBB629_255:
	s_mov_b64 s[0:1], -1
.LBB629_256:
	s_andn2_b64 s[2:3], s[26:27], exec
	s_and_b64 s[0:1], s[0:1], exec
	s_or_b64 s[26:27], s[2:3], s[0:1]
.LBB629_257:
	s_or_b64 exec, exec, s[30:31]
	v_cndmask_b32_e64 v2, v18, v17, s[26:27]
	v_cndmask_b32_e64 v3, v15, v14, s[26:27]
	v_add_u32_e32 v6, 1, v2
	v_add_u32_e32 v2, -1, v3
	v_min_u32_e32 v2, v6, v2
	v_lshl_add_u32 v2, v2, 3, v16
	ds_read_b64 v[2:3], v2
	v_cndmask_b32_e64 v19, v6, v18, s[26:27]
	v_cndmask_b32_e64 v23, v17, v6, s[26:27]
	v_cmp_lt_u32_e32 vcc, v19, v15
	s_waitcnt lgkmcnt(0)
	v_cndmask_b32_e64 v8, v3, v5, s[26:27]
	v_cndmask_b32_e64 v9, v2, v4, s[26:27]
	;; [unrolled: 1-line block ×4, first 2 shown]
	s_and_saveexec_b64 s[30:31], vcc
	s_cbranch_execz .LBB629_268
; %bb.258:
	v_cmp_lt_u32_e32 vcc, v23, v14
	s_mov_b64 s[0:1], 0
	s_and_saveexec_b64 s[28:29], vcc
	s_cbranch_execz .LBB629_267
; %bb.259:
	s_andn2_b64 vcc, exec, s[24:25]
	s_cbranch_vccnz .LBB629_265
; %bb.260:
	v_mul_lo_u32 v6, v8, s16
	v_mul_lo_u32 v7, v9, s17
	v_mad_u64_u32 v[2:3], s[0:1], v9, s16, 0
	v_add3_u32 v3, v3, v7, v6
	v_lshlrev_b64 v[2:3], 1, v[2:3]
	v_mov_b32_e32 v6, s19
	v_add_co_u32_e32 v2, vcc, s18, v2
	v_addc_co_u32_e32 v3, vcc, v6, v3, vcc
	v_mul_lo_u32 v17, v10, s16
	v_mul_lo_u32 v18, v11, s17
	v_mad_u64_u32 v[6:7], s[0:1], v11, s16, 0
	v_add3_u32 v7, v7, v18, v17
	v_lshlrev_b64 v[6:7], 1, v[6:7]
	v_mov_b32_e32 v17, s19
	v_add_co_u32_e32 v6, vcc, s18, v6
	v_addc_co_u32_e32 v7, vcc, v17, v7, vcc
	s_mov_b64 s[34:35], 0
	s_mov_b64 s[42:43], s[16:17]
                                        ; implicit-def: $sgpr36_sgpr37
                                        ; implicit-def: $sgpr38_sgpr39
                                        ; implicit-def: $sgpr0_sgpr1
                                        ; implicit-def: $sgpr40_sgpr41
                                        ; implicit-def: $sgpr44_sgpr45
	s_branch .LBB629_262
.LBB629_261:                            ;   in Loop: Header=BB629_262 Depth=1
	s_or_b64 exec, exec, s[46:47]
	s_and_b64 s[2:3], exec, s[38:39]
	s_or_b64 s[34:35], s[2:3], s[34:35]
	s_andn2_b64 s[2:3], s[44:45], exec
	s_and_b64 s[44:45], s[40:41], exec
	s_or_b64 s[44:45], s[2:3], s[44:45]
	s_andn2_b64 s[2:3], s[36:37], exec
	s_and_b64 s[36:37], s[0:1], exec
	s_or_b64 s[36:37], s[2:3], s[36:37]
	s_andn2_b64 exec, exec, s[34:35]
	s_cbranch_execz .LBB629_264
.LBB629_262:                            ; =>This Inner Loop Header: Depth=1
	global_load_ushort v17, v[2:3], off
	global_load_ushort v18, v[6:7], off
	s_andn2_b64 s[46:47], s[0:1], exec
	s_andn2_b64 s[40:41], s[40:41], exec
	s_or_b64 s[38:39], s[38:39], exec
	s_waitcnt vmcnt(0)
	v_cmp_le_i16_e64 s[0:1], v17, v18
	v_cmp_lt_i16_e32 vcc, v17, v18
	s_and_b64 s[0:1], s[0:1], s[44:45]
	s_or_b64 s[48:49], vcc, s[0:1]
	s_and_b64 s[0:1], s[48:49], exec
	v_cmp_eq_u16_e64 s[2:3], v17, v18
	s_or_b64 s[0:1], s[46:47], s[0:1]
	s_and_saveexec_b64 s[46:47], s[2:3]
	s_cbranch_execz .LBB629_261
; %bb.263:                              ;   in Loop: Header=BB629_262 Depth=1
	s_add_u32 s42, s42, -1
	s_addc_u32 s43, s43, -1
	v_add_co_u32_e32 v2, vcc, 2, v2
	s_cmp_eq_u64 s[42:43], 0
	v_addc_co_u32_e32 v3, vcc, 0, v3, vcc
	s_cselect_b64 s[2:3], -1, 0
	v_add_co_u32_e32 v6, vcc, 2, v6
	s_andn2_b64 s[40:41], s[40:41], exec
	s_and_b64 s[44:45], s[48:49], exec
	s_andn2_b64 s[38:39], s[38:39], exec
	s_and_b64 s[2:3], s[2:3], exec
	v_addc_co_u32_e32 v7, vcc, 0, v7, vcc
	s_or_b64 s[40:41], s[40:41], s[44:45]
	s_andn2_b64 s[0:1], s[0:1], exec
	s_or_b64 s[38:39], s[38:39], s[2:3]
                                        ; implicit-def: $sgpr44_sgpr45
	s_branch .LBB629_261
.LBB629_264:
	s_or_b64 exec, exec, s[34:35]
	s_xor_b64 s[0:1], s[36:37], -1
	s_branch .LBB629_266
.LBB629_265:
	s_mov_b64 s[0:1], -1
.LBB629_266:
	s_and_b64 s[0:1], s[0:1], exec
.LBB629_267:
	s_or_b64 exec, exec, s[28:29]
	s_orn2_b64 s[28:29], s[0:1], exec
.LBB629_268:
	s_or_b64 exec, exec, s[30:31]
	v_cndmask_b32_e64 v2, v19, v23, s[28:29]
	v_cndmask_b32_e64 v3, v15, v14, s[28:29]
	v_add_u32_e32 v6, 1, v2
	v_add_u32_e32 v2, -1, v3
	v_min_u32_e32 v2, v6, v2
	v_lshl_add_u32 v2, v2, 3, v16
	ds_read_b64 v[2:3], v2
	v_cndmask_b32_e64 v20, v6, v19, s[28:29]
	v_cndmask_b32_e64 v19, v23, v6, s[28:29]
	v_cmp_lt_u32_e32 vcc, v20, v15
	s_mov_b64 s[0:1], -1
	s_waitcnt lgkmcnt(0)
	v_cndmask_b32_e64 v17, v3, v8, s[28:29]
	v_cndmask_b32_e64 v18, v2, v9, s[28:29]
	;; [unrolled: 1-line block ×4, first 2 shown]
	s_and_saveexec_b64 s[30:31], vcc
	s_cbranch_execz .LBB629_279
; %bb.269:
	v_cmp_lt_u32_e32 vcc, v19, v14
	s_mov_b64 s[0:1], 0
	s_and_saveexec_b64 s[34:35], vcc
	s_cbranch_execz .LBB629_278
; %bb.270:
	s_andn2_b64 vcc, exec, s[24:25]
	s_cbranch_vccnz .LBB629_276
; %bb.271:
	v_mul_lo_u32 v6, v17, s16
	v_mul_lo_u32 v7, v18, s17
	v_mad_u64_u32 v[2:3], s[0:1], v18, s16, 0
	v_add3_u32 v3, v3, v7, v6
	v_lshlrev_b64 v[2:3], 1, v[2:3]
	v_mov_b32_e32 v6, s19
	v_add_co_u32_e32 v2, vcc, s18, v2
	v_addc_co_u32_e32 v3, vcc, v6, v3, vcc
	v_mul_lo_u32 v23, v21, s16
	v_mul_lo_u32 v24, v22, s17
	v_mad_u64_u32 v[6:7], s[0:1], v22, s16, 0
	v_add3_u32 v7, v7, v24, v23
	v_lshlrev_b64 v[6:7], 1, v[6:7]
	v_mov_b32_e32 v23, s19
	v_add_co_u32_e32 v6, vcc, s18, v6
	v_addc_co_u32_e32 v7, vcc, v23, v7, vcc
	s_mov_b64 s[36:37], 0
	s_mov_b64 s[44:45], s[16:17]
                                        ; implicit-def: $sgpr38_sgpr39
                                        ; implicit-def: $sgpr40_sgpr41
                                        ; implicit-def: $sgpr0_sgpr1
                                        ; implicit-def: $sgpr42_sgpr43
                                        ; implicit-def: $sgpr46_sgpr47
	s_branch .LBB629_273
.LBB629_272:                            ;   in Loop: Header=BB629_273 Depth=1
	s_or_b64 exec, exec, s[48:49]
	s_and_b64 s[2:3], exec, s[40:41]
	s_or_b64 s[36:37], s[2:3], s[36:37]
	s_andn2_b64 s[2:3], s[46:47], exec
	s_and_b64 s[46:47], s[42:43], exec
	s_or_b64 s[46:47], s[2:3], s[46:47]
	s_andn2_b64 s[2:3], s[38:39], exec
	s_and_b64 s[38:39], s[0:1], exec
	s_or_b64 s[38:39], s[2:3], s[38:39]
	s_andn2_b64 exec, exec, s[36:37]
	s_cbranch_execz .LBB629_275
.LBB629_273:                            ; =>This Inner Loop Header: Depth=1
	global_load_ushort v23, v[2:3], off
	global_load_ushort v24, v[6:7], off
	s_andn2_b64 s[48:49], s[0:1], exec
	s_andn2_b64 s[42:43], s[42:43], exec
	s_or_b64 s[40:41], s[40:41], exec
	s_waitcnt vmcnt(0)
	v_cmp_le_i16_e64 s[0:1], v23, v24
	v_cmp_lt_i16_e32 vcc, v23, v24
	s_and_b64 s[0:1], s[0:1], s[46:47]
	s_or_b64 s[50:51], vcc, s[0:1]
	s_and_b64 s[0:1], s[50:51], exec
	v_cmp_eq_u16_e64 s[2:3], v23, v24
	s_or_b64 s[0:1], s[48:49], s[0:1]
	s_and_saveexec_b64 s[48:49], s[2:3]
	s_cbranch_execz .LBB629_272
; %bb.274:                              ;   in Loop: Header=BB629_273 Depth=1
	s_add_u32 s44, s44, -1
	s_addc_u32 s45, s45, -1
	v_add_co_u32_e32 v2, vcc, 2, v2
	s_cmp_eq_u64 s[44:45], 0
	v_addc_co_u32_e32 v3, vcc, 0, v3, vcc
	s_cselect_b64 s[2:3], -1, 0
	v_add_co_u32_e32 v6, vcc, 2, v6
	s_andn2_b64 s[42:43], s[42:43], exec
	s_and_b64 s[46:47], s[50:51], exec
	s_andn2_b64 s[40:41], s[40:41], exec
	s_and_b64 s[2:3], s[2:3], exec
	v_addc_co_u32_e32 v7, vcc, 0, v7, vcc
	s_or_b64 s[42:43], s[42:43], s[46:47]
	s_andn2_b64 s[0:1], s[0:1], exec
	s_or_b64 s[40:41], s[40:41], s[2:3]
                                        ; implicit-def: $sgpr46_sgpr47
	s_branch .LBB629_272
.LBB629_275:
	s_or_b64 exec, exec, s[36:37]
	s_xor_b64 s[0:1], s[38:39], -1
	s_branch .LBB629_277
.LBB629_276:
	s_mov_b64 s[0:1], -1
.LBB629_277:
	s_and_b64 s[0:1], s[0:1], exec
.LBB629_278:
	s_or_b64 exec, exec, s[34:35]
	s_orn2_b64 s[0:1], s[0:1], exec
.LBB629_279:
	s_or_b64 exec, exec, s[30:31]
	v_cndmask_b32_e64 v6, v20, v19, s[0:1]
	v_cndmask_b32_e64 v7, v15, v14, s[0:1]
	v_cndmask_b32_e64 v3, v8, v10, s[28:29]
	v_add_u32_e32 v10, 1, v6
	v_add_u32_e32 v6, -1, v7
	v_min_u32_e32 v6, v10, v6
	v_lshl_add_u32 v6, v6, 3, v16
	v_cndmask_b32_e64 v2, v9, v11, s[28:29]
	ds_read_b64 v[8:9], v6
	v_cndmask_b32_e64 v11, v10, v20, s[0:1]
	v_cndmask_b32_e64 v1, v5, v1, s[26:27]
	;; [unrolled: 1-line block ×5, first 2 shown]
	s_waitcnt lgkmcnt(0)
	v_cndmask_b32_e64 v7, v21, v9, s[0:1]
	v_cndmask_b32_e64 v6, v22, v8, s[0:1]
	v_cmp_lt_u32_e32 vcc, v11, v15
	s_and_saveexec_b64 s[26:27], vcc
	s_cbranch_execz .LBB629_289
; %bb.280:
	v_cndmask_b32_e64 v10, v19, v10, s[0:1]
	v_cndmask_b32_e64 v9, v9, v17, s[0:1]
	;; [unrolled: 1-line block ×3, first 2 shown]
	v_cmp_lt_u32_e32 vcc, v10, v14
	s_and_saveexec_b64 s[28:29], vcc
	s_cbranch_execz .LBB629_288
; %bb.281:
	s_andn2_b64 vcc, exec, s[24:25]
	s_cbranch_vccnz .LBB629_287
; %bb.282:
	v_mul_lo_u32 v14, v9, s16
	v_mul_lo_u32 v15, v8, s17
	v_mad_u64_u32 v[10:11], s[0:1], v8, s16, 0
	v_add3_u32 v11, v11, v15, v14
	v_lshlrev_b64 v[10:11], 1, v[10:11]
	v_mov_b32_e32 v14, s19
	v_add_co_u32_e32 v10, vcc, s18, v10
	v_addc_co_u32_e32 v11, vcc, v14, v11, vcc
	v_mul_lo_u32 v16, v7, s16
	v_mul_lo_u32 v17, v6, s17
	v_mad_u64_u32 v[14:15], s[0:1], v6, s16, 0
	v_add3_u32 v15, v15, v17, v16
	v_lshlrev_b64 v[14:15], 1, v[14:15]
	v_mov_b32_e32 v16, s19
	v_add_co_u32_e32 v14, vcc, s18, v14
	v_addc_co_u32_e32 v15, vcc, v16, v15, vcc
	s_mov_b64 s[30:31], 0
	s_mov_b64 s[40:41], s[16:17]
                                        ; implicit-def: $sgpr34_sgpr35
                                        ; implicit-def: $sgpr36_sgpr37
                                        ; implicit-def: $sgpr0_sgpr1
                                        ; implicit-def: $sgpr38_sgpr39
                                        ; implicit-def: $sgpr42_sgpr43
	s_branch .LBB629_284
.LBB629_283:                            ;   in Loop: Header=BB629_284 Depth=1
	s_or_b64 exec, exec, s[44:45]
	s_and_b64 s[2:3], exec, s[36:37]
	s_or_b64 s[30:31], s[2:3], s[30:31]
	s_andn2_b64 s[2:3], s[42:43], exec
	s_and_b64 s[42:43], s[38:39], exec
	s_or_b64 s[42:43], s[2:3], s[42:43]
	s_andn2_b64 s[2:3], s[34:35], exec
	s_and_b64 s[34:35], s[0:1], exec
	s_or_b64 s[34:35], s[2:3], s[34:35]
	s_andn2_b64 exec, exec, s[30:31]
	s_cbranch_execz .LBB629_286
.LBB629_284:                            ; =>This Inner Loop Header: Depth=1
	global_load_ushort v16, v[10:11], off
	global_load_ushort v17, v[14:15], off
	s_andn2_b64 s[44:45], s[0:1], exec
	s_andn2_b64 s[38:39], s[38:39], exec
	s_or_b64 s[36:37], s[36:37], exec
	s_waitcnt vmcnt(0)
	v_cmp_le_i16_e64 s[0:1], v16, v17
	v_cmp_lt_i16_e32 vcc, v16, v17
	s_and_b64 s[0:1], s[0:1], s[42:43]
	s_or_b64 s[46:47], vcc, s[0:1]
	s_and_b64 s[0:1], s[46:47], exec
	v_cmp_eq_u16_e64 s[2:3], v16, v17
	s_or_b64 s[0:1], s[44:45], s[0:1]
	s_and_saveexec_b64 s[44:45], s[2:3]
	s_cbranch_execz .LBB629_283
; %bb.285:                              ;   in Loop: Header=BB629_284 Depth=1
	s_add_u32 s40, s40, -1
	s_addc_u32 s41, s41, -1
	v_add_co_u32_e32 v10, vcc, 2, v10
	s_cmp_eq_u64 s[40:41], 0
	v_addc_co_u32_e32 v11, vcc, 0, v11, vcc
	s_cselect_b64 s[2:3], -1, 0
	v_add_co_u32_e32 v14, vcc, 2, v14
	s_andn2_b64 s[38:39], s[38:39], exec
	s_and_b64 s[42:43], s[46:47], exec
	s_andn2_b64 s[36:37], s[36:37], exec
	s_and_b64 s[2:3], s[2:3], exec
	v_addc_co_u32_e32 v15, vcc, 0, v15, vcc
	s_or_b64 s[38:39], s[38:39], s[42:43]
	s_andn2_b64 s[0:1], s[0:1], exec
	s_or_b64 s[36:37], s[36:37], s[2:3]
                                        ; implicit-def: $sgpr42_sgpr43
	s_branch .LBB629_283
.LBB629_286:
	s_or_b64 exec, exec, s[30:31]
	v_cndmask_b32_e64 v7, v7, v9, s[34:35]
	v_cndmask_b32_e64 v6, v6, v8, s[34:35]
.LBB629_287:
	v_pk_mov_b32 v[8:9], v[6:7], v[6:7] op_sel:[0,1]
.LBB629_288:
	s_or_b64 exec, exec, s[28:29]
	v_pk_mov_b32 v[6:7], v[8:9], v[8:9] op_sel:[0,1]
.LBB629_289:
	s_or_b64 exec, exec, s[26:27]
.LBB629_290:
	s_or_b64 exec, exec, s[4:5]
	v_and_b32_e32 v17, 0xf80, v27
	v_or_b32_e32 v8, 64, v17
	v_min_u32_e32 v14, 0x400, v8
	v_min_u32_e32 v8, 0x3c0, v8
	v_add_u32_e32 v15, 64, v8
	v_and_b32_e32 v18, 0x7c, v27
	v_sub_u32_e32 v8, v14, v17
	v_sub_u32_e32 v9, v15, v14
	v_sub_u32_e64 v20, v18, v9 clamp
	v_min_u32_e32 v21, v18, v8
	v_lshlrev_b32_e32 v16, 3, v27
	v_lshlrev_b32_e32 v19, 3, v17
	v_cmp_lt_u32_e32 vcc, v20, v21
	; wave barrier
	s_waitcnt lgkmcnt(0)
	s_barrier
	ds_write_b128 v16, v[0:3]
	ds_write_b128 v16, v[4:7] offset:16
	s_waitcnt lgkmcnt(0)
	s_barrier
	s_and_saveexec_b64 s[26:27], vcc
	s_cbranch_execz .LBB629_300
; %bb.291:
	v_lshlrev_b32_e32 v8, 3, v18
	v_lshl_add_u32 v22, v14, 3, v8
	v_cndmask_b32_e64 v8, 0, 1, s[24:25]
	s_lshl_b64 s[30:31], s[16:17], 1
	s_mov_b64 s[28:29], 0
	v_cmp_ne_u32_e64 s[0:1], 1, v8
	s_branch .LBB629_294
.LBB629_292:                            ;   in Loop: Header=BB629_294 Depth=1
	s_or_b64 exec, exec, s[36:37]
.LBB629_293:                            ;   in Loop: Header=BB629_294 Depth=1
	v_add_u32_e32 v8, 1, v23
	v_cndmask_b32_e64 v21, v21, v23, s[34:35]
	v_cndmask_b32_e64 v20, v8, v20, s[34:35]
	v_cmp_ge_u32_e32 vcc, v20, v21
	s_or_b64 s[28:29], vcc, s[28:29]
	s_andn2_b64 exec, exec, s[28:29]
	s_cbranch_execz .LBB629_299
.LBB629_294:                            ; =>This Loop Header: Depth=1
                                        ;     Child Loop BB629_297 Depth 2
	v_add_u32_e32 v8, v21, v20
	v_lshrrev_b32_e32 v23, 1, v8
	s_and_b64 vcc, exec, s[0:1]
	s_mov_b64 s[34:35], 0
	s_cbranch_vccnz .LBB629_293
; %bb.295:                              ;   in Loop: Header=BB629_294 Depth=1
	v_not_b32_e32 v8, v23
	v_lshl_add_u32 v8, v8, 3, v22
	ds_read_b64 v[8:9], v8
	v_lshl_add_u32 v24, v23, 3, v19
	ds_read_b64 v[24:25], v24
	v_pk_mov_b32 v[10:11], s[18:19], s[18:19] op_sel:[0,1]
	s_mov_b64 s[36:37], 0
	s_waitcnt lgkmcnt(1)
	v_mul_lo_u32 v37, s30, v9
	v_mul_lo_u32 v38, s31, v8
	v_mad_u64_u32 v[8:9], s[2:3], s30, v8, v[10:11]
	v_add3_u32 v9, v38, v9, v37
	s_waitcnt lgkmcnt(0)
	v_mul_lo_u32 v25, s30, v25
	v_mul_lo_u32 v37, s31, v24
	v_mad_u64_u32 v[10:11], s[2:3], s30, v24, v[10:11]
	v_add3_u32 v11, v37, v11, v25
	s_mov_b64 s[42:43], s[16:17]
                                        ; implicit-def: $sgpr34_sgpr35
                                        ; implicit-def: $sgpr38_sgpr39
                                        ; implicit-def: $sgpr40_sgpr41
                                        ; implicit-def: $sgpr2_sgpr3
                                        ; implicit-def: $sgpr44_sgpr45
	s_branch .LBB629_297
.LBB629_296:                            ;   in Loop: Header=BB629_297 Depth=2
	s_or_b64 exec, exec, s[46:47]
	s_and_b64 s[4:5], exec, s[38:39]
	s_or_b64 s[36:37], s[4:5], s[36:37]
	s_andn2_b64 s[4:5], s[44:45], exec
	s_and_b64 s[44:45], s[40:41], exec
	s_or_b64 s[44:45], s[4:5], s[44:45]
	s_andn2_b64 s[4:5], s[34:35], exec
	s_and_b64 s[34:35], s[2:3], exec
	s_or_b64 s[34:35], s[4:5], s[34:35]
	s_andn2_b64 exec, exec, s[36:37]
	s_cbranch_execz .LBB629_292
.LBB629_297:                            ;   Parent Loop BB629_294 Depth=1
                                        ; =>  This Inner Loop Header: Depth=2
	global_load_ushort v24, v[8:9], off
	global_load_ushort v25, v[10:11], off
	s_andn2_b64 s[46:47], s[2:3], exec
	s_andn2_b64 s[40:41], s[40:41], exec
	s_or_b64 s[38:39], s[38:39], exec
	s_waitcnt vmcnt(0)
	v_cmp_le_i16_e64 s[2:3], v24, v25
	v_cmp_lt_i16_e32 vcc, v24, v25
	s_and_b64 s[2:3], s[2:3], s[44:45]
	s_or_b64 s[48:49], vcc, s[2:3]
	s_and_b64 s[2:3], s[48:49], exec
	v_cmp_eq_u16_e64 s[4:5], v24, v25
	s_or_b64 s[2:3], s[46:47], s[2:3]
	s_and_saveexec_b64 s[46:47], s[4:5]
	s_cbranch_execz .LBB629_296
; %bb.298:                              ;   in Loop: Header=BB629_297 Depth=2
	s_add_u32 s42, s42, -1
	s_addc_u32 s43, s43, -1
	v_add_co_u32_e32 v8, vcc, 2, v8
	s_cmp_eq_u64 s[42:43], 0
	v_addc_co_u32_e32 v9, vcc, 0, v9, vcc
	s_cselect_b64 s[4:5], -1, 0
	v_add_co_u32_e32 v10, vcc, 2, v10
	s_andn2_b64 s[40:41], s[40:41], exec
	s_and_b64 s[44:45], s[48:49], exec
	s_andn2_b64 s[38:39], s[38:39], exec
	s_and_b64 s[4:5], s[4:5], exec
	v_addc_co_u32_e32 v11, vcc, 0, v11, vcc
	s_andn2_b64 s[2:3], s[2:3], exec
	s_or_b64 s[40:41], s[40:41], s[44:45]
	s_or_b64 s[38:39], s[38:39], s[4:5]
                                        ; implicit-def: $sgpr44_sgpr45
	s_branch .LBB629_296
.LBB629_299:
	s_or_b64 exec, exec, s[28:29]
.LBB629_300:
	s_or_b64 exec, exec, s[26:27]
	v_sub_u32_e32 v8, v18, v20
	v_add_u32_e32 v17, v20, v17
	v_add_u32_e32 v18, v8, v14
	v_cmp_le_u32_e32 vcc, v17, v14
	v_cmp_le_u32_e64 s[0:1], v18, v15
	s_or_b64 s[0:1], vcc, s[0:1]
	s_and_saveexec_b64 s[4:5], s[0:1]
	s_cbranch_execz .LBB629_347
; %bb.301:
	v_cmp_ge_u32_e32 vcc, v17, v14
	v_cmp_lt_u32_e64 s[0:1], v17, v14
                                        ; implicit-def: $vgpr0_vgpr1
	s_and_saveexec_b64 s[2:3], s[0:1]
	s_cbranch_execz .LBB629_303
; %bb.302:
	v_lshl_add_u32 v0, v20, 3, v19
	ds_read_b64 v[0:1], v0
.LBB629_303:
	s_or_b64 exec, exec, s[2:3]
	v_cmp_ge_u32_e64 s[26:27], v18, v15
	v_cmp_lt_u32_e64 s[0:1], v18, v15
                                        ; implicit-def: $vgpr4_vgpr5
	s_and_saveexec_b64 s[2:3], s[0:1]
	s_cbranch_execz .LBB629_305
; %bb.304:
	v_lshlrev_b32_e32 v2, 3, v18
	ds_read_b64 v[4:5], v2
.LBB629_305:
	s_or_b64 exec, exec, s[2:3]
	s_or_b64 s[0:1], vcc, s[26:27]
	s_mov_b64 s[28:29], -1
	s_xor_b64 s[0:1], s[0:1], -1
	s_and_saveexec_b64 s[30:31], s[0:1]
	s_cbranch_execz .LBB629_314
; %bb.306:
	s_andn2_b64 vcc, exec, s[24:25]
	s_cbranch_vccnz .LBB629_312
; %bb.307:
	s_waitcnt lgkmcnt(0)
	v_mul_lo_u32 v6, v5, s16
	v_mul_lo_u32 v7, v4, s17
	v_mad_u64_u32 v[2:3], s[0:1], v4, s16, 0
	v_add3_u32 v3, v3, v7, v6
	v_lshlrev_b64 v[2:3], 1, v[2:3]
	v_mov_b32_e32 v6, s19
	v_add_co_u32_e32 v2, vcc, s18, v2
	v_addc_co_u32_e32 v3, vcc, v6, v3, vcc
	v_mul_lo_u32 v8, v1, s16
	v_mul_lo_u32 v9, v0, s17
	v_mad_u64_u32 v[6:7], s[0:1], v0, s16, 0
	v_add3_u32 v7, v7, v9, v8
	v_lshlrev_b64 v[6:7], 1, v[6:7]
	v_mov_b32_e32 v8, s19
	v_add_co_u32_e32 v6, vcc, s18, v6
	v_addc_co_u32_e32 v7, vcc, v8, v7, vcc
	s_mov_b64 s[34:35], 0
	s_mov_b64 s[42:43], s[16:17]
                                        ; implicit-def: $sgpr36_sgpr37
                                        ; implicit-def: $sgpr38_sgpr39
                                        ; implicit-def: $sgpr0_sgpr1
                                        ; implicit-def: $sgpr40_sgpr41
                                        ; implicit-def: $sgpr44_sgpr45
	s_branch .LBB629_309
.LBB629_308:                            ;   in Loop: Header=BB629_309 Depth=1
	s_or_b64 exec, exec, s[46:47]
	s_and_b64 s[2:3], exec, s[38:39]
	s_or_b64 s[34:35], s[2:3], s[34:35]
	s_andn2_b64 s[2:3], s[44:45], exec
	s_and_b64 s[44:45], s[40:41], exec
	s_or_b64 s[44:45], s[2:3], s[44:45]
	s_andn2_b64 s[2:3], s[36:37], exec
	s_and_b64 s[36:37], s[0:1], exec
	s_or_b64 s[36:37], s[2:3], s[36:37]
	s_andn2_b64 exec, exec, s[34:35]
	s_cbranch_execz .LBB629_311
.LBB629_309:                            ; =>This Inner Loop Header: Depth=1
	global_load_ushort v8, v[2:3], off
	global_load_ushort v9, v[6:7], off
	s_andn2_b64 s[46:47], s[0:1], exec
	s_andn2_b64 s[40:41], s[40:41], exec
	s_or_b64 s[38:39], s[38:39], exec
	s_waitcnt vmcnt(0)
	v_cmp_le_i16_e64 s[0:1], v8, v9
	v_cmp_lt_i16_e32 vcc, v8, v9
	s_and_b64 s[0:1], s[0:1], s[44:45]
	s_or_b64 s[48:49], vcc, s[0:1]
	s_and_b64 s[0:1], s[48:49], exec
	v_cmp_eq_u16_e64 s[2:3], v8, v9
	s_or_b64 s[0:1], s[46:47], s[0:1]
	s_and_saveexec_b64 s[46:47], s[2:3]
	s_cbranch_execz .LBB629_308
; %bb.310:                              ;   in Loop: Header=BB629_309 Depth=1
	s_add_u32 s42, s42, -1
	s_addc_u32 s43, s43, -1
	v_add_co_u32_e32 v2, vcc, 2, v2
	s_cmp_eq_u64 s[42:43], 0
	v_addc_co_u32_e32 v3, vcc, 0, v3, vcc
	s_cselect_b64 s[2:3], -1, 0
	v_add_co_u32_e32 v6, vcc, 2, v6
	s_andn2_b64 s[40:41], s[40:41], exec
	s_and_b64 s[44:45], s[48:49], exec
	s_andn2_b64 s[38:39], s[38:39], exec
	s_and_b64 s[2:3], s[2:3], exec
	v_addc_co_u32_e32 v7, vcc, 0, v7, vcc
	s_or_b64 s[40:41], s[40:41], s[44:45]
	s_andn2_b64 s[0:1], s[0:1], exec
	s_or_b64 s[38:39], s[38:39], s[2:3]
                                        ; implicit-def: $sgpr44_sgpr45
	s_branch .LBB629_308
.LBB629_311:
	s_or_b64 exec, exec, s[34:35]
	s_xor_b64 s[0:1], s[36:37], -1
	s_branch .LBB629_313
.LBB629_312:
	s_mov_b64 s[0:1], -1
.LBB629_313:
	s_andn2_b64 s[2:3], s[26:27], exec
	s_and_b64 s[0:1], s[0:1], exec
	s_or_b64 s[26:27], s[2:3], s[0:1]
.LBB629_314:
	s_or_b64 exec, exec, s[30:31]
	v_cndmask_b32_e64 v2, v18, v17, s[26:27]
	v_cndmask_b32_e64 v3, v15, v14, s[26:27]
	v_add_u32_e32 v6, 1, v2
	v_add_u32_e32 v2, -1, v3
	v_min_u32_e32 v2, v6, v2
	v_lshlrev_b32_e32 v2, 3, v2
	ds_read_b64 v[2:3], v2
	v_cndmask_b32_e64 v19, v6, v18, s[26:27]
	v_cndmask_b32_e64 v23, v17, v6, s[26:27]
	v_cmp_lt_u32_e32 vcc, v19, v15
	s_waitcnt lgkmcnt(0)
	v_cndmask_b32_e64 v8, v3, v5, s[26:27]
	v_cndmask_b32_e64 v9, v2, v4, s[26:27]
	;; [unrolled: 1-line block ×4, first 2 shown]
	s_and_saveexec_b64 s[30:31], vcc
	s_cbranch_execz .LBB629_325
; %bb.315:
	v_cmp_lt_u32_e32 vcc, v23, v14
	s_mov_b64 s[0:1], 0
	s_and_saveexec_b64 s[28:29], vcc
	s_cbranch_execz .LBB629_324
; %bb.316:
	s_andn2_b64 vcc, exec, s[24:25]
	s_cbranch_vccnz .LBB629_322
; %bb.317:
	v_mul_lo_u32 v6, v8, s16
	v_mul_lo_u32 v7, v9, s17
	v_mad_u64_u32 v[2:3], s[0:1], v9, s16, 0
	v_add3_u32 v3, v3, v7, v6
	v_lshlrev_b64 v[2:3], 1, v[2:3]
	v_mov_b32_e32 v6, s19
	v_add_co_u32_e32 v2, vcc, s18, v2
	v_addc_co_u32_e32 v3, vcc, v6, v3, vcc
	v_mul_lo_u32 v17, v10, s16
	v_mul_lo_u32 v18, v11, s17
	v_mad_u64_u32 v[6:7], s[0:1], v11, s16, 0
	v_add3_u32 v7, v7, v18, v17
	v_lshlrev_b64 v[6:7], 1, v[6:7]
	v_mov_b32_e32 v17, s19
	v_add_co_u32_e32 v6, vcc, s18, v6
	v_addc_co_u32_e32 v7, vcc, v17, v7, vcc
	s_mov_b64 s[34:35], 0
	s_mov_b64 s[42:43], s[16:17]
                                        ; implicit-def: $sgpr36_sgpr37
                                        ; implicit-def: $sgpr38_sgpr39
                                        ; implicit-def: $sgpr0_sgpr1
                                        ; implicit-def: $sgpr40_sgpr41
                                        ; implicit-def: $sgpr44_sgpr45
	s_branch .LBB629_319
.LBB629_318:                            ;   in Loop: Header=BB629_319 Depth=1
	s_or_b64 exec, exec, s[46:47]
	s_and_b64 s[2:3], exec, s[38:39]
	s_or_b64 s[34:35], s[2:3], s[34:35]
	s_andn2_b64 s[2:3], s[44:45], exec
	s_and_b64 s[44:45], s[40:41], exec
	s_or_b64 s[44:45], s[2:3], s[44:45]
	s_andn2_b64 s[2:3], s[36:37], exec
	s_and_b64 s[36:37], s[0:1], exec
	s_or_b64 s[36:37], s[2:3], s[36:37]
	s_andn2_b64 exec, exec, s[34:35]
	s_cbranch_execz .LBB629_321
.LBB629_319:                            ; =>This Inner Loop Header: Depth=1
	global_load_ushort v17, v[2:3], off
	global_load_ushort v18, v[6:7], off
	s_andn2_b64 s[46:47], s[0:1], exec
	s_andn2_b64 s[40:41], s[40:41], exec
	s_or_b64 s[38:39], s[38:39], exec
	s_waitcnt vmcnt(0)
	v_cmp_le_i16_e64 s[0:1], v17, v18
	v_cmp_lt_i16_e32 vcc, v17, v18
	s_and_b64 s[0:1], s[0:1], s[44:45]
	s_or_b64 s[48:49], vcc, s[0:1]
	s_and_b64 s[0:1], s[48:49], exec
	v_cmp_eq_u16_e64 s[2:3], v17, v18
	s_or_b64 s[0:1], s[46:47], s[0:1]
	s_and_saveexec_b64 s[46:47], s[2:3]
	s_cbranch_execz .LBB629_318
; %bb.320:                              ;   in Loop: Header=BB629_319 Depth=1
	s_add_u32 s42, s42, -1
	s_addc_u32 s43, s43, -1
	v_add_co_u32_e32 v2, vcc, 2, v2
	s_cmp_eq_u64 s[42:43], 0
	v_addc_co_u32_e32 v3, vcc, 0, v3, vcc
	s_cselect_b64 s[2:3], -1, 0
	v_add_co_u32_e32 v6, vcc, 2, v6
	s_andn2_b64 s[40:41], s[40:41], exec
	s_and_b64 s[44:45], s[48:49], exec
	s_andn2_b64 s[38:39], s[38:39], exec
	s_and_b64 s[2:3], s[2:3], exec
	v_addc_co_u32_e32 v7, vcc, 0, v7, vcc
	s_or_b64 s[40:41], s[40:41], s[44:45]
	s_andn2_b64 s[0:1], s[0:1], exec
	s_or_b64 s[38:39], s[38:39], s[2:3]
                                        ; implicit-def: $sgpr44_sgpr45
	s_branch .LBB629_318
.LBB629_321:
	s_or_b64 exec, exec, s[34:35]
	s_xor_b64 s[0:1], s[36:37], -1
	s_branch .LBB629_323
.LBB629_322:
	s_mov_b64 s[0:1], -1
.LBB629_323:
	s_and_b64 s[0:1], s[0:1], exec
.LBB629_324:
	s_or_b64 exec, exec, s[28:29]
	s_orn2_b64 s[28:29], s[0:1], exec
.LBB629_325:
	s_or_b64 exec, exec, s[30:31]
	v_cndmask_b32_e64 v2, v19, v23, s[28:29]
	v_cndmask_b32_e64 v3, v15, v14, s[28:29]
	v_add_u32_e32 v6, 1, v2
	v_add_u32_e32 v2, -1, v3
	v_min_u32_e32 v2, v6, v2
	v_lshlrev_b32_e32 v2, 3, v2
	ds_read_b64 v[2:3], v2
	v_cndmask_b32_e64 v20, v6, v19, s[28:29]
	v_cndmask_b32_e64 v19, v23, v6, s[28:29]
	v_cmp_lt_u32_e32 vcc, v20, v15
	s_mov_b64 s[0:1], -1
	s_waitcnt lgkmcnt(0)
	v_cndmask_b32_e64 v17, v3, v8, s[28:29]
	v_cndmask_b32_e64 v18, v2, v9, s[28:29]
	;; [unrolled: 1-line block ×4, first 2 shown]
	s_and_saveexec_b64 s[30:31], vcc
	s_cbranch_execz .LBB629_336
; %bb.326:
	v_cmp_lt_u32_e32 vcc, v19, v14
	s_mov_b64 s[0:1], 0
	s_and_saveexec_b64 s[34:35], vcc
	s_cbranch_execz .LBB629_335
; %bb.327:
	s_andn2_b64 vcc, exec, s[24:25]
	s_cbranch_vccnz .LBB629_333
; %bb.328:
	v_mul_lo_u32 v6, v17, s16
	v_mul_lo_u32 v7, v18, s17
	v_mad_u64_u32 v[2:3], s[0:1], v18, s16, 0
	v_add3_u32 v3, v3, v7, v6
	v_lshlrev_b64 v[2:3], 1, v[2:3]
	v_mov_b32_e32 v6, s19
	v_add_co_u32_e32 v2, vcc, s18, v2
	v_addc_co_u32_e32 v3, vcc, v6, v3, vcc
	v_mul_lo_u32 v23, v21, s16
	v_mul_lo_u32 v24, v22, s17
	v_mad_u64_u32 v[6:7], s[0:1], v22, s16, 0
	v_add3_u32 v7, v7, v24, v23
	v_lshlrev_b64 v[6:7], 1, v[6:7]
	v_mov_b32_e32 v23, s19
	v_add_co_u32_e32 v6, vcc, s18, v6
	v_addc_co_u32_e32 v7, vcc, v23, v7, vcc
	s_mov_b64 s[36:37], 0
	s_mov_b64 s[44:45], s[16:17]
                                        ; implicit-def: $sgpr38_sgpr39
                                        ; implicit-def: $sgpr40_sgpr41
                                        ; implicit-def: $sgpr0_sgpr1
                                        ; implicit-def: $sgpr42_sgpr43
                                        ; implicit-def: $sgpr46_sgpr47
	s_branch .LBB629_330
.LBB629_329:                            ;   in Loop: Header=BB629_330 Depth=1
	s_or_b64 exec, exec, s[48:49]
	s_and_b64 s[2:3], exec, s[40:41]
	s_or_b64 s[36:37], s[2:3], s[36:37]
	s_andn2_b64 s[2:3], s[46:47], exec
	s_and_b64 s[46:47], s[42:43], exec
	s_or_b64 s[46:47], s[2:3], s[46:47]
	s_andn2_b64 s[2:3], s[38:39], exec
	s_and_b64 s[38:39], s[0:1], exec
	s_or_b64 s[38:39], s[2:3], s[38:39]
	s_andn2_b64 exec, exec, s[36:37]
	s_cbranch_execz .LBB629_332
.LBB629_330:                            ; =>This Inner Loop Header: Depth=1
	global_load_ushort v23, v[2:3], off
	global_load_ushort v24, v[6:7], off
	s_andn2_b64 s[48:49], s[0:1], exec
	s_andn2_b64 s[42:43], s[42:43], exec
	s_or_b64 s[40:41], s[40:41], exec
	s_waitcnt vmcnt(0)
	v_cmp_le_i16_e64 s[0:1], v23, v24
	v_cmp_lt_i16_e32 vcc, v23, v24
	s_and_b64 s[0:1], s[0:1], s[46:47]
	s_or_b64 s[50:51], vcc, s[0:1]
	s_and_b64 s[0:1], s[50:51], exec
	v_cmp_eq_u16_e64 s[2:3], v23, v24
	s_or_b64 s[0:1], s[48:49], s[0:1]
	s_and_saveexec_b64 s[48:49], s[2:3]
	s_cbranch_execz .LBB629_329
; %bb.331:                              ;   in Loop: Header=BB629_330 Depth=1
	s_add_u32 s44, s44, -1
	s_addc_u32 s45, s45, -1
	v_add_co_u32_e32 v2, vcc, 2, v2
	s_cmp_eq_u64 s[44:45], 0
	v_addc_co_u32_e32 v3, vcc, 0, v3, vcc
	s_cselect_b64 s[2:3], -1, 0
	v_add_co_u32_e32 v6, vcc, 2, v6
	s_andn2_b64 s[42:43], s[42:43], exec
	s_and_b64 s[46:47], s[50:51], exec
	s_andn2_b64 s[40:41], s[40:41], exec
	s_and_b64 s[2:3], s[2:3], exec
	v_addc_co_u32_e32 v7, vcc, 0, v7, vcc
	s_or_b64 s[42:43], s[42:43], s[46:47]
	s_andn2_b64 s[0:1], s[0:1], exec
	s_or_b64 s[40:41], s[40:41], s[2:3]
                                        ; implicit-def: $sgpr46_sgpr47
	s_branch .LBB629_329
.LBB629_332:
	s_or_b64 exec, exec, s[36:37]
	s_xor_b64 s[0:1], s[38:39], -1
	s_branch .LBB629_334
.LBB629_333:
	s_mov_b64 s[0:1], -1
.LBB629_334:
	s_and_b64 s[0:1], s[0:1], exec
.LBB629_335:
	s_or_b64 exec, exec, s[34:35]
	s_orn2_b64 s[0:1], s[0:1], exec
.LBB629_336:
	s_or_b64 exec, exec, s[30:31]
	v_cndmask_b32_e64 v6, v20, v19, s[0:1]
	v_cndmask_b32_e64 v7, v15, v14, s[0:1]
	;; [unrolled: 1-line block ×3, first 2 shown]
	v_add_u32_e32 v10, 1, v6
	v_add_u32_e32 v6, -1, v7
	v_min_u32_e32 v6, v10, v6
	v_lshlrev_b32_e32 v6, 3, v6
	v_cndmask_b32_e64 v2, v9, v11, s[28:29]
	ds_read_b64 v[8:9], v6
	v_cndmask_b32_e64 v11, v10, v20, s[0:1]
	v_cndmask_b32_e64 v1, v5, v1, s[26:27]
	;; [unrolled: 1-line block ×5, first 2 shown]
	s_waitcnt lgkmcnt(0)
	v_cndmask_b32_e64 v7, v21, v9, s[0:1]
	v_cndmask_b32_e64 v6, v22, v8, s[0:1]
	v_cmp_lt_u32_e32 vcc, v11, v15
	s_and_saveexec_b64 s[26:27], vcc
	s_cbranch_execz .LBB629_346
; %bb.337:
	v_cndmask_b32_e64 v10, v19, v10, s[0:1]
	v_cndmask_b32_e64 v9, v9, v17, s[0:1]
	v_cndmask_b32_e64 v8, v8, v18, s[0:1]
	v_cmp_lt_u32_e32 vcc, v10, v14
	s_and_saveexec_b64 s[28:29], vcc
	s_cbranch_execz .LBB629_345
; %bb.338:
	s_andn2_b64 vcc, exec, s[24:25]
	s_cbranch_vccnz .LBB629_344
; %bb.339:
	v_mul_lo_u32 v14, v9, s16
	v_mul_lo_u32 v15, v8, s17
	v_mad_u64_u32 v[10:11], s[0:1], v8, s16, 0
	v_add3_u32 v11, v11, v15, v14
	v_lshlrev_b64 v[10:11], 1, v[10:11]
	v_mov_b32_e32 v14, s19
	v_add_co_u32_e32 v10, vcc, s18, v10
	v_addc_co_u32_e32 v11, vcc, v14, v11, vcc
	v_mul_lo_u32 v17, v7, s16
	v_mul_lo_u32 v18, v6, s17
	v_mad_u64_u32 v[14:15], s[0:1], v6, s16, 0
	v_add3_u32 v15, v15, v18, v17
	v_lshlrev_b64 v[14:15], 1, v[14:15]
	v_mov_b32_e32 v17, s19
	v_add_co_u32_e32 v14, vcc, s18, v14
	v_addc_co_u32_e32 v15, vcc, v17, v15, vcc
	s_mov_b64 s[30:31], 0
	s_mov_b64 s[40:41], s[16:17]
                                        ; implicit-def: $sgpr34_sgpr35
                                        ; implicit-def: $sgpr36_sgpr37
                                        ; implicit-def: $sgpr0_sgpr1
                                        ; implicit-def: $sgpr38_sgpr39
                                        ; implicit-def: $sgpr42_sgpr43
	s_branch .LBB629_341
.LBB629_340:                            ;   in Loop: Header=BB629_341 Depth=1
	s_or_b64 exec, exec, s[44:45]
	s_and_b64 s[2:3], exec, s[36:37]
	s_or_b64 s[30:31], s[2:3], s[30:31]
	s_andn2_b64 s[2:3], s[42:43], exec
	s_and_b64 s[42:43], s[38:39], exec
	s_or_b64 s[42:43], s[2:3], s[42:43]
	s_andn2_b64 s[2:3], s[34:35], exec
	s_and_b64 s[34:35], s[0:1], exec
	s_or_b64 s[34:35], s[2:3], s[34:35]
	s_andn2_b64 exec, exec, s[30:31]
	s_cbranch_execz .LBB629_343
.LBB629_341:                            ; =>This Inner Loop Header: Depth=1
	global_load_ushort v17, v[10:11], off
	global_load_ushort v18, v[14:15], off
	s_andn2_b64 s[44:45], s[0:1], exec
	s_andn2_b64 s[38:39], s[38:39], exec
	s_or_b64 s[36:37], s[36:37], exec
	s_waitcnt vmcnt(0)
	v_cmp_le_i16_e64 s[0:1], v17, v18
	v_cmp_lt_i16_e32 vcc, v17, v18
	s_and_b64 s[0:1], s[0:1], s[42:43]
	s_or_b64 s[46:47], vcc, s[0:1]
	s_and_b64 s[0:1], s[46:47], exec
	v_cmp_eq_u16_e64 s[2:3], v17, v18
	s_or_b64 s[0:1], s[44:45], s[0:1]
	s_and_saveexec_b64 s[44:45], s[2:3]
	s_cbranch_execz .LBB629_340
; %bb.342:                              ;   in Loop: Header=BB629_341 Depth=1
	s_add_u32 s40, s40, -1
	s_addc_u32 s41, s41, -1
	v_add_co_u32_e32 v10, vcc, 2, v10
	s_cmp_eq_u64 s[40:41], 0
	v_addc_co_u32_e32 v11, vcc, 0, v11, vcc
	s_cselect_b64 s[2:3], -1, 0
	v_add_co_u32_e32 v14, vcc, 2, v14
	s_andn2_b64 s[38:39], s[38:39], exec
	s_and_b64 s[42:43], s[46:47], exec
	s_andn2_b64 s[36:37], s[36:37], exec
	s_and_b64 s[2:3], s[2:3], exec
	v_addc_co_u32_e32 v15, vcc, 0, v15, vcc
	s_or_b64 s[38:39], s[38:39], s[42:43]
	s_andn2_b64 s[0:1], s[0:1], exec
	s_or_b64 s[36:37], s[36:37], s[2:3]
                                        ; implicit-def: $sgpr42_sgpr43
	s_branch .LBB629_340
.LBB629_343:
	s_or_b64 exec, exec, s[30:31]
	v_cndmask_b32_e64 v7, v7, v9, s[34:35]
	v_cndmask_b32_e64 v6, v6, v8, s[34:35]
.LBB629_344:
	v_pk_mov_b32 v[8:9], v[6:7], v[6:7] op_sel:[0,1]
.LBB629_345:
	s_or_b64 exec, exec, s[28:29]
	v_pk_mov_b32 v[6:7], v[8:9], v[8:9] op_sel:[0,1]
.LBB629_346:
	s_or_b64 exec, exec, s[26:27]
.LBB629_347:
	s_or_b64 exec, exec, s[4:5]
	v_and_b32_e32 v17, 0xf00, v27
	v_or_b32_e32 v8, 0x80, v17
	v_min_u32_e32 v14, 0x400, v8
	v_min_u32_e32 v8, 0x380, v8
	v_add_u32_e32 v15, 0x80, v8
	v_and_b32_e32 v18, 0xfc, v27
	v_sub_u32_e32 v8, v14, v17
	v_sub_u32_e32 v9, v15, v14
	v_sub_u32_e64 v20, v18, v9 clamp
	v_min_u32_e32 v21, v18, v8
	v_lshlrev_b32_e32 v19, 3, v17
	v_cmp_lt_u32_e32 vcc, v20, v21
	s_barrier
	ds_write_b128 v16, v[0:3]
	ds_write_b128 v16, v[4:7] offset:16
	s_waitcnt lgkmcnt(0)
	s_barrier
	s_and_saveexec_b64 s[26:27], vcc
	s_cbranch_execz .LBB629_357
; %bb.348:
	v_lshlrev_b32_e32 v8, 3, v18
	v_lshl_add_u32 v22, v14, 3, v8
	v_cndmask_b32_e64 v8, 0, 1, s[24:25]
	s_lshl_b64 s[30:31], s[16:17], 1
	s_mov_b64 s[28:29], 0
	v_cmp_ne_u32_e64 s[0:1], 1, v8
	s_branch .LBB629_351
.LBB629_349:                            ;   in Loop: Header=BB629_351 Depth=1
	s_or_b64 exec, exec, s[36:37]
.LBB629_350:                            ;   in Loop: Header=BB629_351 Depth=1
	v_add_u32_e32 v8, 1, v23
	v_cndmask_b32_e64 v21, v21, v23, s[34:35]
	v_cndmask_b32_e64 v20, v8, v20, s[34:35]
	v_cmp_ge_u32_e32 vcc, v20, v21
	s_or_b64 s[28:29], vcc, s[28:29]
	s_andn2_b64 exec, exec, s[28:29]
	s_cbranch_execz .LBB629_356
.LBB629_351:                            ; =>This Loop Header: Depth=1
                                        ;     Child Loop BB629_354 Depth 2
	v_add_u32_e32 v8, v21, v20
	v_lshrrev_b32_e32 v23, 1, v8
	s_and_b64 vcc, exec, s[0:1]
	s_mov_b64 s[34:35], 0
	s_cbranch_vccnz .LBB629_350
; %bb.352:                              ;   in Loop: Header=BB629_351 Depth=1
	v_not_b32_e32 v8, v23
	v_lshl_add_u32 v8, v8, 3, v22
	ds_read_b64 v[8:9], v8
	v_lshl_add_u32 v24, v23, 3, v19
	ds_read_b64 v[24:25], v24
	v_pk_mov_b32 v[10:11], s[18:19], s[18:19] op_sel:[0,1]
	s_mov_b64 s[36:37], 0
	s_waitcnt lgkmcnt(1)
	v_mul_lo_u32 v37, s30, v9
	v_mul_lo_u32 v38, s31, v8
	v_mad_u64_u32 v[8:9], s[2:3], s30, v8, v[10:11]
	v_add3_u32 v9, v38, v9, v37
	s_waitcnt lgkmcnt(0)
	v_mul_lo_u32 v25, s30, v25
	v_mul_lo_u32 v37, s31, v24
	v_mad_u64_u32 v[10:11], s[2:3], s30, v24, v[10:11]
	v_add3_u32 v11, v37, v11, v25
	s_mov_b64 s[42:43], s[16:17]
                                        ; implicit-def: $sgpr34_sgpr35
                                        ; implicit-def: $sgpr38_sgpr39
                                        ; implicit-def: $sgpr40_sgpr41
                                        ; implicit-def: $sgpr2_sgpr3
                                        ; implicit-def: $sgpr44_sgpr45
	s_branch .LBB629_354
.LBB629_353:                            ;   in Loop: Header=BB629_354 Depth=2
	s_or_b64 exec, exec, s[46:47]
	s_and_b64 s[4:5], exec, s[38:39]
	s_or_b64 s[36:37], s[4:5], s[36:37]
	s_andn2_b64 s[4:5], s[44:45], exec
	s_and_b64 s[44:45], s[40:41], exec
	s_or_b64 s[44:45], s[4:5], s[44:45]
	s_andn2_b64 s[4:5], s[34:35], exec
	s_and_b64 s[34:35], s[2:3], exec
	s_or_b64 s[34:35], s[4:5], s[34:35]
	s_andn2_b64 exec, exec, s[36:37]
	s_cbranch_execz .LBB629_349
.LBB629_354:                            ;   Parent Loop BB629_351 Depth=1
                                        ; =>  This Inner Loop Header: Depth=2
	global_load_ushort v24, v[8:9], off
	global_load_ushort v25, v[10:11], off
	s_andn2_b64 s[46:47], s[2:3], exec
	s_andn2_b64 s[40:41], s[40:41], exec
	s_or_b64 s[38:39], s[38:39], exec
	s_waitcnt vmcnt(0)
	v_cmp_le_i16_e64 s[2:3], v24, v25
	v_cmp_lt_i16_e32 vcc, v24, v25
	s_and_b64 s[2:3], s[2:3], s[44:45]
	s_or_b64 s[48:49], vcc, s[2:3]
	s_and_b64 s[2:3], s[48:49], exec
	v_cmp_eq_u16_e64 s[4:5], v24, v25
	s_or_b64 s[2:3], s[46:47], s[2:3]
	s_and_saveexec_b64 s[46:47], s[4:5]
	s_cbranch_execz .LBB629_353
; %bb.355:                              ;   in Loop: Header=BB629_354 Depth=2
	s_add_u32 s42, s42, -1
	s_addc_u32 s43, s43, -1
	v_add_co_u32_e32 v8, vcc, 2, v8
	s_cmp_eq_u64 s[42:43], 0
	v_addc_co_u32_e32 v9, vcc, 0, v9, vcc
	s_cselect_b64 s[4:5], -1, 0
	v_add_co_u32_e32 v10, vcc, 2, v10
	s_andn2_b64 s[40:41], s[40:41], exec
	s_and_b64 s[44:45], s[48:49], exec
	s_andn2_b64 s[38:39], s[38:39], exec
	s_and_b64 s[4:5], s[4:5], exec
	v_addc_co_u32_e32 v11, vcc, 0, v11, vcc
	s_andn2_b64 s[2:3], s[2:3], exec
	s_or_b64 s[40:41], s[40:41], s[44:45]
	s_or_b64 s[38:39], s[38:39], s[4:5]
                                        ; implicit-def: $sgpr44_sgpr45
	s_branch .LBB629_353
.LBB629_356:
	s_or_b64 exec, exec, s[28:29]
.LBB629_357:
	s_or_b64 exec, exec, s[26:27]
	v_sub_u32_e32 v8, v18, v20
	v_add_u32_e32 v17, v20, v17
	v_add_u32_e32 v18, v8, v14
	v_cmp_le_u32_e32 vcc, v17, v14
	v_cmp_le_u32_e64 s[0:1], v18, v15
	s_or_b64 s[0:1], vcc, s[0:1]
	s_and_saveexec_b64 s[4:5], s[0:1]
	s_cbranch_execz .LBB629_404
; %bb.358:
	v_cmp_ge_u32_e32 vcc, v17, v14
	v_cmp_lt_u32_e64 s[0:1], v17, v14
                                        ; implicit-def: $vgpr0_vgpr1
	s_and_saveexec_b64 s[2:3], s[0:1]
	s_cbranch_execz .LBB629_360
; %bb.359:
	v_lshl_add_u32 v0, v20, 3, v19
	ds_read_b64 v[0:1], v0
.LBB629_360:
	s_or_b64 exec, exec, s[2:3]
	v_cmp_ge_u32_e64 s[26:27], v18, v15
	v_cmp_lt_u32_e64 s[0:1], v18, v15
                                        ; implicit-def: $vgpr4_vgpr5
	s_and_saveexec_b64 s[2:3], s[0:1]
	s_cbranch_execz .LBB629_362
; %bb.361:
	v_lshlrev_b32_e32 v2, 3, v18
	ds_read_b64 v[4:5], v2
.LBB629_362:
	s_or_b64 exec, exec, s[2:3]
	s_or_b64 s[0:1], vcc, s[26:27]
	s_mov_b64 s[28:29], -1
	s_xor_b64 s[0:1], s[0:1], -1
	s_and_saveexec_b64 s[30:31], s[0:1]
	s_cbranch_execz .LBB629_371
; %bb.363:
	s_andn2_b64 vcc, exec, s[24:25]
	s_cbranch_vccnz .LBB629_369
; %bb.364:
	s_waitcnt lgkmcnt(0)
	v_mul_lo_u32 v6, v5, s16
	v_mul_lo_u32 v7, v4, s17
	v_mad_u64_u32 v[2:3], s[0:1], v4, s16, 0
	v_add3_u32 v3, v3, v7, v6
	v_lshlrev_b64 v[2:3], 1, v[2:3]
	v_mov_b32_e32 v6, s19
	v_add_co_u32_e32 v2, vcc, s18, v2
	v_addc_co_u32_e32 v3, vcc, v6, v3, vcc
	v_mul_lo_u32 v8, v1, s16
	v_mul_lo_u32 v9, v0, s17
	v_mad_u64_u32 v[6:7], s[0:1], v0, s16, 0
	v_add3_u32 v7, v7, v9, v8
	v_lshlrev_b64 v[6:7], 1, v[6:7]
	v_mov_b32_e32 v8, s19
	v_add_co_u32_e32 v6, vcc, s18, v6
	v_addc_co_u32_e32 v7, vcc, v8, v7, vcc
	s_mov_b64 s[34:35], 0
	s_mov_b64 s[42:43], s[16:17]
                                        ; implicit-def: $sgpr36_sgpr37
                                        ; implicit-def: $sgpr38_sgpr39
                                        ; implicit-def: $sgpr0_sgpr1
                                        ; implicit-def: $sgpr40_sgpr41
                                        ; implicit-def: $sgpr44_sgpr45
	s_branch .LBB629_366
.LBB629_365:                            ;   in Loop: Header=BB629_366 Depth=1
	s_or_b64 exec, exec, s[46:47]
	s_and_b64 s[2:3], exec, s[38:39]
	s_or_b64 s[34:35], s[2:3], s[34:35]
	s_andn2_b64 s[2:3], s[44:45], exec
	s_and_b64 s[44:45], s[40:41], exec
	s_or_b64 s[44:45], s[2:3], s[44:45]
	s_andn2_b64 s[2:3], s[36:37], exec
	s_and_b64 s[36:37], s[0:1], exec
	s_or_b64 s[36:37], s[2:3], s[36:37]
	s_andn2_b64 exec, exec, s[34:35]
	s_cbranch_execz .LBB629_368
.LBB629_366:                            ; =>This Inner Loop Header: Depth=1
	global_load_ushort v8, v[2:3], off
	global_load_ushort v9, v[6:7], off
	s_andn2_b64 s[46:47], s[0:1], exec
	s_andn2_b64 s[40:41], s[40:41], exec
	s_or_b64 s[38:39], s[38:39], exec
	s_waitcnt vmcnt(0)
	v_cmp_le_i16_e64 s[0:1], v8, v9
	v_cmp_lt_i16_e32 vcc, v8, v9
	s_and_b64 s[0:1], s[0:1], s[44:45]
	s_or_b64 s[48:49], vcc, s[0:1]
	s_and_b64 s[0:1], s[48:49], exec
	v_cmp_eq_u16_e64 s[2:3], v8, v9
	s_or_b64 s[0:1], s[46:47], s[0:1]
	s_and_saveexec_b64 s[46:47], s[2:3]
	s_cbranch_execz .LBB629_365
; %bb.367:                              ;   in Loop: Header=BB629_366 Depth=1
	s_add_u32 s42, s42, -1
	s_addc_u32 s43, s43, -1
	v_add_co_u32_e32 v2, vcc, 2, v2
	s_cmp_eq_u64 s[42:43], 0
	v_addc_co_u32_e32 v3, vcc, 0, v3, vcc
	s_cselect_b64 s[2:3], -1, 0
	v_add_co_u32_e32 v6, vcc, 2, v6
	s_andn2_b64 s[40:41], s[40:41], exec
	s_and_b64 s[44:45], s[48:49], exec
	s_andn2_b64 s[38:39], s[38:39], exec
	s_and_b64 s[2:3], s[2:3], exec
	v_addc_co_u32_e32 v7, vcc, 0, v7, vcc
	s_or_b64 s[40:41], s[40:41], s[44:45]
	s_andn2_b64 s[0:1], s[0:1], exec
	s_or_b64 s[38:39], s[38:39], s[2:3]
                                        ; implicit-def: $sgpr44_sgpr45
	s_branch .LBB629_365
.LBB629_368:
	s_or_b64 exec, exec, s[34:35]
	s_xor_b64 s[0:1], s[36:37], -1
	s_branch .LBB629_370
.LBB629_369:
	s_mov_b64 s[0:1], -1
.LBB629_370:
	s_andn2_b64 s[2:3], s[26:27], exec
	s_and_b64 s[0:1], s[0:1], exec
	s_or_b64 s[26:27], s[2:3], s[0:1]
.LBB629_371:
	s_or_b64 exec, exec, s[30:31]
	v_cndmask_b32_e64 v2, v18, v17, s[26:27]
	v_cndmask_b32_e64 v3, v15, v14, s[26:27]
	v_add_u32_e32 v6, 1, v2
	v_add_u32_e32 v2, -1, v3
	v_min_u32_e32 v2, v6, v2
	v_lshlrev_b32_e32 v2, 3, v2
	ds_read_b64 v[2:3], v2
	v_cndmask_b32_e64 v19, v6, v18, s[26:27]
	v_cndmask_b32_e64 v23, v17, v6, s[26:27]
	v_cmp_lt_u32_e32 vcc, v19, v15
	s_waitcnt lgkmcnt(0)
	v_cndmask_b32_e64 v8, v3, v5, s[26:27]
	v_cndmask_b32_e64 v9, v2, v4, s[26:27]
	;; [unrolled: 1-line block ×4, first 2 shown]
	s_and_saveexec_b64 s[30:31], vcc
	s_cbranch_execz .LBB629_382
; %bb.372:
	v_cmp_lt_u32_e32 vcc, v23, v14
	s_mov_b64 s[0:1], 0
	s_and_saveexec_b64 s[28:29], vcc
	s_cbranch_execz .LBB629_381
; %bb.373:
	s_andn2_b64 vcc, exec, s[24:25]
	s_cbranch_vccnz .LBB629_379
; %bb.374:
	v_mul_lo_u32 v6, v8, s16
	v_mul_lo_u32 v7, v9, s17
	v_mad_u64_u32 v[2:3], s[0:1], v9, s16, 0
	v_add3_u32 v3, v3, v7, v6
	v_lshlrev_b64 v[2:3], 1, v[2:3]
	v_mov_b32_e32 v6, s19
	v_add_co_u32_e32 v2, vcc, s18, v2
	v_addc_co_u32_e32 v3, vcc, v6, v3, vcc
	v_mul_lo_u32 v17, v10, s16
	v_mul_lo_u32 v18, v11, s17
	v_mad_u64_u32 v[6:7], s[0:1], v11, s16, 0
	v_add3_u32 v7, v7, v18, v17
	v_lshlrev_b64 v[6:7], 1, v[6:7]
	v_mov_b32_e32 v17, s19
	v_add_co_u32_e32 v6, vcc, s18, v6
	v_addc_co_u32_e32 v7, vcc, v17, v7, vcc
	s_mov_b64 s[34:35], 0
	s_mov_b64 s[42:43], s[16:17]
                                        ; implicit-def: $sgpr36_sgpr37
                                        ; implicit-def: $sgpr38_sgpr39
                                        ; implicit-def: $sgpr0_sgpr1
                                        ; implicit-def: $sgpr40_sgpr41
                                        ; implicit-def: $sgpr44_sgpr45
	s_branch .LBB629_376
.LBB629_375:                            ;   in Loop: Header=BB629_376 Depth=1
	s_or_b64 exec, exec, s[46:47]
	s_and_b64 s[2:3], exec, s[38:39]
	s_or_b64 s[34:35], s[2:3], s[34:35]
	s_andn2_b64 s[2:3], s[44:45], exec
	s_and_b64 s[44:45], s[40:41], exec
	s_or_b64 s[44:45], s[2:3], s[44:45]
	s_andn2_b64 s[2:3], s[36:37], exec
	s_and_b64 s[36:37], s[0:1], exec
	s_or_b64 s[36:37], s[2:3], s[36:37]
	s_andn2_b64 exec, exec, s[34:35]
	s_cbranch_execz .LBB629_378
.LBB629_376:                            ; =>This Inner Loop Header: Depth=1
	global_load_ushort v17, v[2:3], off
	global_load_ushort v18, v[6:7], off
	s_andn2_b64 s[46:47], s[0:1], exec
	s_andn2_b64 s[40:41], s[40:41], exec
	s_or_b64 s[38:39], s[38:39], exec
	s_waitcnt vmcnt(0)
	v_cmp_le_i16_e64 s[0:1], v17, v18
	v_cmp_lt_i16_e32 vcc, v17, v18
	s_and_b64 s[0:1], s[0:1], s[44:45]
	s_or_b64 s[48:49], vcc, s[0:1]
	s_and_b64 s[0:1], s[48:49], exec
	v_cmp_eq_u16_e64 s[2:3], v17, v18
	s_or_b64 s[0:1], s[46:47], s[0:1]
	s_and_saveexec_b64 s[46:47], s[2:3]
	s_cbranch_execz .LBB629_375
; %bb.377:                              ;   in Loop: Header=BB629_376 Depth=1
	s_add_u32 s42, s42, -1
	s_addc_u32 s43, s43, -1
	v_add_co_u32_e32 v2, vcc, 2, v2
	s_cmp_eq_u64 s[42:43], 0
	v_addc_co_u32_e32 v3, vcc, 0, v3, vcc
	s_cselect_b64 s[2:3], -1, 0
	v_add_co_u32_e32 v6, vcc, 2, v6
	s_andn2_b64 s[40:41], s[40:41], exec
	s_and_b64 s[44:45], s[48:49], exec
	s_andn2_b64 s[38:39], s[38:39], exec
	s_and_b64 s[2:3], s[2:3], exec
	v_addc_co_u32_e32 v7, vcc, 0, v7, vcc
	s_or_b64 s[40:41], s[40:41], s[44:45]
	s_andn2_b64 s[0:1], s[0:1], exec
	s_or_b64 s[38:39], s[38:39], s[2:3]
                                        ; implicit-def: $sgpr44_sgpr45
	s_branch .LBB629_375
.LBB629_378:
	s_or_b64 exec, exec, s[34:35]
	s_xor_b64 s[0:1], s[36:37], -1
	s_branch .LBB629_380
.LBB629_379:
	s_mov_b64 s[0:1], -1
.LBB629_380:
	s_and_b64 s[0:1], s[0:1], exec
.LBB629_381:
	s_or_b64 exec, exec, s[28:29]
	s_orn2_b64 s[28:29], s[0:1], exec
.LBB629_382:
	s_or_b64 exec, exec, s[30:31]
	v_cndmask_b32_e64 v2, v19, v23, s[28:29]
	v_cndmask_b32_e64 v3, v15, v14, s[28:29]
	v_add_u32_e32 v6, 1, v2
	v_add_u32_e32 v2, -1, v3
	v_min_u32_e32 v2, v6, v2
	v_lshlrev_b32_e32 v2, 3, v2
	ds_read_b64 v[2:3], v2
	v_cndmask_b32_e64 v20, v6, v19, s[28:29]
	v_cndmask_b32_e64 v19, v23, v6, s[28:29]
	v_cmp_lt_u32_e32 vcc, v20, v15
	s_mov_b64 s[0:1], -1
	s_waitcnt lgkmcnt(0)
	v_cndmask_b32_e64 v17, v3, v8, s[28:29]
	v_cndmask_b32_e64 v18, v2, v9, s[28:29]
	;; [unrolled: 1-line block ×4, first 2 shown]
	s_and_saveexec_b64 s[30:31], vcc
	s_cbranch_execz .LBB629_393
; %bb.383:
	v_cmp_lt_u32_e32 vcc, v19, v14
	s_mov_b64 s[0:1], 0
	s_and_saveexec_b64 s[34:35], vcc
	s_cbranch_execz .LBB629_392
; %bb.384:
	s_andn2_b64 vcc, exec, s[24:25]
	s_cbranch_vccnz .LBB629_390
; %bb.385:
	v_mul_lo_u32 v6, v17, s16
	v_mul_lo_u32 v7, v18, s17
	v_mad_u64_u32 v[2:3], s[0:1], v18, s16, 0
	v_add3_u32 v3, v3, v7, v6
	v_lshlrev_b64 v[2:3], 1, v[2:3]
	v_mov_b32_e32 v6, s19
	v_add_co_u32_e32 v2, vcc, s18, v2
	v_addc_co_u32_e32 v3, vcc, v6, v3, vcc
	v_mul_lo_u32 v23, v21, s16
	v_mul_lo_u32 v24, v22, s17
	v_mad_u64_u32 v[6:7], s[0:1], v22, s16, 0
	v_add3_u32 v7, v7, v24, v23
	v_lshlrev_b64 v[6:7], 1, v[6:7]
	v_mov_b32_e32 v23, s19
	v_add_co_u32_e32 v6, vcc, s18, v6
	v_addc_co_u32_e32 v7, vcc, v23, v7, vcc
	s_mov_b64 s[36:37], 0
	s_mov_b64 s[44:45], s[16:17]
                                        ; implicit-def: $sgpr38_sgpr39
                                        ; implicit-def: $sgpr40_sgpr41
                                        ; implicit-def: $sgpr0_sgpr1
                                        ; implicit-def: $sgpr42_sgpr43
                                        ; implicit-def: $sgpr46_sgpr47
	s_branch .LBB629_387
.LBB629_386:                            ;   in Loop: Header=BB629_387 Depth=1
	s_or_b64 exec, exec, s[48:49]
	s_and_b64 s[2:3], exec, s[40:41]
	s_or_b64 s[36:37], s[2:3], s[36:37]
	s_andn2_b64 s[2:3], s[46:47], exec
	s_and_b64 s[46:47], s[42:43], exec
	s_or_b64 s[46:47], s[2:3], s[46:47]
	s_andn2_b64 s[2:3], s[38:39], exec
	s_and_b64 s[38:39], s[0:1], exec
	s_or_b64 s[38:39], s[2:3], s[38:39]
	s_andn2_b64 exec, exec, s[36:37]
	s_cbranch_execz .LBB629_389
.LBB629_387:                            ; =>This Inner Loop Header: Depth=1
	global_load_ushort v23, v[2:3], off
	global_load_ushort v24, v[6:7], off
	s_andn2_b64 s[48:49], s[0:1], exec
	s_andn2_b64 s[42:43], s[42:43], exec
	s_or_b64 s[40:41], s[40:41], exec
	s_waitcnt vmcnt(0)
	v_cmp_le_i16_e64 s[0:1], v23, v24
	v_cmp_lt_i16_e32 vcc, v23, v24
	s_and_b64 s[0:1], s[0:1], s[46:47]
	s_or_b64 s[50:51], vcc, s[0:1]
	s_and_b64 s[0:1], s[50:51], exec
	v_cmp_eq_u16_e64 s[2:3], v23, v24
	s_or_b64 s[0:1], s[48:49], s[0:1]
	s_and_saveexec_b64 s[48:49], s[2:3]
	s_cbranch_execz .LBB629_386
; %bb.388:                              ;   in Loop: Header=BB629_387 Depth=1
	s_add_u32 s44, s44, -1
	s_addc_u32 s45, s45, -1
	v_add_co_u32_e32 v2, vcc, 2, v2
	s_cmp_eq_u64 s[44:45], 0
	v_addc_co_u32_e32 v3, vcc, 0, v3, vcc
	s_cselect_b64 s[2:3], -1, 0
	v_add_co_u32_e32 v6, vcc, 2, v6
	s_andn2_b64 s[42:43], s[42:43], exec
	s_and_b64 s[46:47], s[50:51], exec
	s_andn2_b64 s[40:41], s[40:41], exec
	s_and_b64 s[2:3], s[2:3], exec
	v_addc_co_u32_e32 v7, vcc, 0, v7, vcc
	s_or_b64 s[42:43], s[42:43], s[46:47]
	s_andn2_b64 s[0:1], s[0:1], exec
	s_or_b64 s[40:41], s[40:41], s[2:3]
                                        ; implicit-def: $sgpr46_sgpr47
	s_branch .LBB629_386
.LBB629_389:
	s_or_b64 exec, exec, s[36:37]
	s_xor_b64 s[0:1], s[38:39], -1
	s_branch .LBB629_391
.LBB629_390:
	s_mov_b64 s[0:1], -1
.LBB629_391:
	s_and_b64 s[0:1], s[0:1], exec
.LBB629_392:
	s_or_b64 exec, exec, s[34:35]
	s_orn2_b64 s[0:1], s[0:1], exec
.LBB629_393:
	s_or_b64 exec, exec, s[30:31]
	v_cndmask_b32_e64 v6, v20, v19, s[0:1]
	v_cndmask_b32_e64 v7, v15, v14, s[0:1]
	v_cndmask_b32_e64 v3, v8, v10, s[28:29]
	v_add_u32_e32 v10, 1, v6
	v_add_u32_e32 v6, -1, v7
	v_min_u32_e32 v6, v10, v6
	v_lshlrev_b32_e32 v6, 3, v6
	v_cndmask_b32_e64 v2, v9, v11, s[28:29]
	ds_read_b64 v[8:9], v6
	v_cndmask_b32_e64 v11, v10, v20, s[0:1]
	v_cndmask_b32_e64 v1, v5, v1, s[26:27]
	;; [unrolled: 1-line block ×5, first 2 shown]
	s_waitcnt lgkmcnt(0)
	v_cndmask_b32_e64 v7, v21, v9, s[0:1]
	v_cndmask_b32_e64 v6, v22, v8, s[0:1]
	v_cmp_lt_u32_e32 vcc, v11, v15
	s_and_saveexec_b64 s[26:27], vcc
	s_cbranch_execz .LBB629_403
; %bb.394:
	v_cndmask_b32_e64 v10, v19, v10, s[0:1]
	v_cndmask_b32_e64 v9, v9, v17, s[0:1]
	;; [unrolled: 1-line block ×3, first 2 shown]
	v_cmp_lt_u32_e32 vcc, v10, v14
	s_and_saveexec_b64 s[28:29], vcc
	s_cbranch_execz .LBB629_402
; %bb.395:
	s_andn2_b64 vcc, exec, s[24:25]
	s_cbranch_vccnz .LBB629_401
; %bb.396:
	v_mul_lo_u32 v14, v9, s16
	v_mul_lo_u32 v15, v8, s17
	v_mad_u64_u32 v[10:11], s[0:1], v8, s16, 0
	v_add3_u32 v11, v11, v15, v14
	v_lshlrev_b64 v[10:11], 1, v[10:11]
	v_mov_b32_e32 v14, s19
	v_add_co_u32_e32 v10, vcc, s18, v10
	v_addc_co_u32_e32 v11, vcc, v14, v11, vcc
	v_mul_lo_u32 v17, v7, s16
	v_mul_lo_u32 v18, v6, s17
	v_mad_u64_u32 v[14:15], s[0:1], v6, s16, 0
	v_add3_u32 v15, v15, v18, v17
	v_lshlrev_b64 v[14:15], 1, v[14:15]
	v_mov_b32_e32 v17, s19
	v_add_co_u32_e32 v14, vcc, s18, v14
	v_addc_co_u32_e32 v15, vcc, v17, v15, vcc
	s_mov_b64 s[30:31], 0
	s_mov_b64 s[40:41], s[16:17]
                                        ; implicit-def: $sgpr34_sgpr35
                                        ; implicit-def: $sgpr36_sgpr37
                                        ; implicit-def: $sgpr0_sgpr1
                                        ; implicit-def: $sgpr38_sgpr39
                                        ; implicit-def: $sgpr42_sgpr43
	s_branch .LBB629_398
.LBB629_397:                            ;   in Loop: Header=BB629_398 Depth=1
	s_or_b64 exec, exec, s[44:45]
	s_and_b64 s[2:3], exec, s[36:37]
	s_or_b64 s[30:31], s[2:3], s[30:31]
	s_andn2_b64 s[2:3], s[42:43], exec
	s_and_b64 s[42:43], s[38:39], exec
	s_or_b64 s[42:43], s[2:3], s[42:43]
	s_andn2_b64 s[2:3], s[34:35], exec
	s_and_b64 s[34:35], s[0:1], exec
	s_or_b64 s[34:35], s[2:3], s[34:35]
	s_andn2_b64 exec, exec, s[30:31]
	s_cbranch_execz .LBB629_400
.LBB629_398:                            ; =>This Inner Loop Header: Depth=1
	global_load_ushort v17, v[10:11], off
	global_load_ushort v18, v[14:15], off
	s_andn2_b64 s[44:45], s[0:1], exec
	s_andn2_b64 s[38:39], s[38:39], exec
	s_or_b64 s[36:37], s[36:37], exec
	s_waitcnt vmcnt(0)
	v_cmp_le_i16_e64 s[0:1], v17, v18
	v_cmp_lt_i16_e32 vcc, v17, v18
	s_and_b64 s[0:1], s[0:1], s[42:43]
	s_or_b64 s[46:47], vcc, s[0:1]
	s_and_b64 s[0:1], s[46:47], exec
	v_cmp_eq_u16_e64 s[2:3], v17, v18
	s_or_b64 s[0:1], s[44:45], s[0:1]
	s_and_saveexec_b64 s[44:45], s[2:3]
	s_cbranch_execz .LBB629_397
; %bb.399:                              ;   in Loop: Header=BB629_398 Depth=1
	s_add_u32 s40, s40, -1
	s_addc_u32 s41, s41, -1
	v_add_co_u32_e32 v10, vcc, 2, v10
	s_cmp_eq_u64 s[40:41], 0
	v_addc_co_u32_e32 v11, vcc, 0, v11, vcc
	s_cselect_b64 s[2:3], -1, 0
	v_add_co_u32_e32 v14, vcc, 2, v14
	s_andn2_b64 s[38:39], s[38:39], exec
	s_and_b64 s[42:43], s[46:47], exec
	s_andn2_b64 s[36:37], s[36:37], exec
	s_and_b64 s[2:3], s[2:3], exec
	v_addc_co_u32_e32 v15, vcc, 0, v15, vcc
	s_or_b64 s[38:39], s[38:39], s[42:43]
	s_andn2_b64 s[0:1], s[0:1], exec
	s_or_b64 s[36:37], s[36:37], s[2:3]
                                        ; implicit-def: $sgpr42_sgpr43
	s_branch .LBB629_397
.LBB629_400:
	s_or_b64 exec, exec, s[30:31]
	v_cndmask_b32_e64 v7, v7, v9, s[34:35]
	v_cndmask_b32_e64 v6, v6, v8, s[34:35]
.LBB629_401:
	v_pk_mov_b32 v[8:9], v[6:7], v[6:7] op_sel:[0,1]
.LBB629_402:
	s_or_b64 exec, exec, s[28:29]
	v_pk_mov_b32 v[6:7], v[8:9], v[8:9] op_sel:[0,1]
.LBB629_403:
	s_or_b64 exec, exec, s[26:27]
.LBB629_404:
	s_or_b64 exec, exec, s[4:5]
	v_and_b32_e32 v17, 0xe00, v27
	v_or_b32_e32 v8, 0x100, v17
	v_min_u32_e32 v14, 0x400, v8
	v_min_u32_e32 v8, 0x300, v8
	v_add_u32_e32 v15, 0x100, v8
	v_and_b32_e32 v18, 0x1fc, v27
	v_sub_u32_e32 v8, v14, v17
	v_sub_u32_e32 v9, v15, v14
	v_sub_u32_e64 v20, v18, v9 clamp
	v_min_u32_e32 v21, v18, v8
	v_lshlrev_b32_e32 v19, 3, v17
	v_cmp_lt_u32_e32 vcc, v20, v21
	s_barrier
	ds_write_b128 v16, v[0:3]
	ds_write_b128 v16, v[4:7] offset:16
	s_waitcnt lgkmcnt(0)
	s_barrier
	s_and_saveexec_b64 s[26:27], vcc
	s_cbranch_execz .LBB629_414
; %bb.405:
	v_lshlrev_b32_e32 v8, 3, v18
	v_lshl_add_u32 v22, v14, 3, v8
	v_cndmask_b32_e64 v8, 0, 1, s[24:25]
	s_lshl_b64 s[30:31], s[16:17], 1
	s_mov_b64 s[28:29], 0
	v_cmp_ne_u32_e64 s[0:1], 1, v8
	s_branch .LBB629_408
.LBB629_406:                            ;   in Loop: Header=BB629_408 Depth=1
	s_or_b64 exec, exec, s[36:37]
.LBB629_407:                            ;   in Loop: Header=BB629_408 Depth=1
	v_add_u32_e32 v8, 1, v23
	v_cndmask_b32_e64 v21, v21, v23, s[34:35]
	v_cndmask_b32_e64 v20, v8, v20, s[34:35]
	v_cmp_ge_u32_e32 vcc, v20, v21
	s_or_b64 s[28:29], vcc, s[28:29]
	s_andn2_b64 exec, exec, s[28:29]
	s_cbranch_execz .LBB629_413
.LBB629_408:                            ; =>This Loop Header: Depth=1
                                        ;     Child Loop BB629_411 Depth 2
	v_add_u32_e32 v8, v21, v20
	v_lshrrev_b32_e32 v23, 1, v8
	s_and_b64 vcc, exec, s[0:1]
	s_mov_b64 s[34:35], 0
	s_cbranch_vccnz .LBB629_407
; %bb.409:                              ;   in Loop: Header=BB629_408 Depth=1
	v_not_b32_e32 v8, v23
	v_lshl_add_u32 v8, v8, 3, v22
	ds_read_b64 v[8:9], v8
	v_lshl_add_u32 v24, v23, 3, v19
	ds_read_b64 v[24:25], v24
	v_pk_mov_b32 v[10:11], s[18:19], s[18:19] op_sel:[0,1]
	s_mov_b64 s[36:37], 0
	s_waitcnt lgkmcnt(1)
	v_mul_lo_u32 v37, s30, v9
	v_mul_lo_u32 v38, s31, v8
	v_mad_u64_u32 v[8:9], s[2:3], s30, v8, v[10:11]
	v_add3_u32 v9, v38, v9, v37
	s_waitcnt lgkmcnt(0)
	v_mul_lo_u32 v25, s30, v25
	v_mul_lo_u32 v37, s31, v24
	v_mad_u64_u32 v[10:11], s[2:3], s30, v24, v[10:11]
	v_add3_u32 v11, v37, v11, v25
	s_mov_b64 s[42:43], s[16:17]
                                        ; implicit-def: $sgpr34_sgpr35
                                        ; implicit-def: $sgpr38_sgpr39
                                        ; implicit-def: $sgpr40_sgpr41
                                        ; implicit-def: $sgpr2_sgpr3
                                        ; implicit-def: $sgpr44_sgpr45
	s_branch .LBB629_411
.LBB629_410:                            ;   in Loop: Header=BB629_411 Depth=2
	s_or_b64 exec, exec, s[46:47]
	s_and_b64 s[4:5], exec, s[38:39]
	s_or_b64 s[36:37], s[4:5], s[36:37]
	s_andn2_b64 s[4:5], s[44:45], exec
	s_and_b64 s[44:45], s[40:41], exec
	s_or_b64 s[44:45], s[4:5], s[44:45]
	s_andn2_b64 s[4:5], s[34:35], exec
	s_and_b64 s[34:35], s[2:3], exec
	s_or_b64 s[34:35], s[4:5], s[34:35]
	s_andn2_b64 exec, exec, s[36:37]
	s_cbranch_execz .LBB629_406
.LBB629_411:                            ;   Parent Loop BB629_408 Depth=1
                                        ; =>  This Inner Loop Header: Depth=2
	global_load_ushort v24, v[8:9], off
	global_load_ushort v25, v[10:11], off
	s_andn2_b64 s[46:47], s[2:3], exec
	s_andn2_b64 s[40:41], s[40:41], exec
	s_or_b64 s[38:39], s[38:39], exec
	s_waitcnt vmcnt(0)
	v_cmp_le_i16_e64 s[2:3], v24, v25
	v_cmp_lt_i16_e32 vcc, v24, v25
	s_and_b64 s[2:3], s[2:3], s[44:45]
	s_or_b64 s[48:49], vcc, s[2:3]
	s_and_b64 s[2:3], s[48:49], exec
	v_cmp_eq_u16_e64 s[4:5], v24, v25
	s_or_b64 s[2:3], s[46:47], s[2:3]
	s_and_saveexec_b64 s[46:47], s[4:5]
	s_cbranch_execz .LBB629_410
; %bb.412:                              ;   in Loop: Header=BB629_411 Depth=2
	s_add_u32 s42, s42, -1
	s_addc_u32 s43, s43, -1
	v_add_co_u32_e32 v8, vcc, 2, v8
	s_cmp_eq_u64 s[42:43], 0
	v_addc_co_u32_e32 v9, vcc, 0, v9, vcc
	s_cselect_b64 s[4:5], -1, 0
	v_add_co_u32_e32 v10, vcc, 2, v10
	s_andn2_b64 s[40:41], s[40:41], exec
	s_and_b64 s[44:45], s[48:49], exec
	s_andn2_b64 s[38:39], s[38:39], exec
	s_and_b64 s[4:5], s[4:5], exec
	v_addc_co_u32_e32 v11, vcc, 0, v11, vcc
	s_andn2_b64 s[2:3], s[2:3], exec
	s_or_b64 s[40:41], s[40:41], s[44:45]
	s_or_b64 s[38:39], s[38:39], s[4:5]
                                        ; implicit-def: $sgpr44_sgpr45
	s_branch .LBB629_410
.LBB629_413:
	s_or_b64 exec, exec, s[28:29]
.LBB629_414:
	s_or_b64 exec, exec, s[26:27]
	v_sub_u32_e32 v8, v18, v20
	v_add_u32_e32 v17, v20, v17
	v_add_u32_e32 v18, v8, v14
	v_cmp_le_u32_e32 vcc, v17, v14
	v_cmp_le_u32_e64 s[0:1], v18, v15
	s_or_b64 s[0:1], vcc, s[0:1]
	s_and_saveexec_b64 s[4:5], s[0:1]
	s_cbranch_execz .LBB629_461
; %bb.415:
	v_cmp_ge_u32_e32 vcc, v17, v14
	v_cmp_lt_u32_e64 s[0:1], v17, v14
                                        ; implicit-def: $vgpr0_vgpr1
	s_and_saveexec_b64 s[2:3], s[0:1]
	s_cbranch_execz .LBB629_417
; %bb.416:
	v_lshl_add_u32 v0, v20, 3, v19
	ds_read_b64 v[0:1], v0
.LBB629_417:
	s_or_b64 exec, exec, s[2:3]
	v_cmp_ge_u32_e64 s[26:27], v18, v15
	v_cmp_lt_u32_e64 s[0:1], v18, v15
                                        ; implicit-def: $vgpr4_vgpr5
	s_and_saveexec_b64 s[2:3], s[0:1]
	s_cbranch_execz .LBB629_419
; %bb.418:
	v_lshlrev_b32_e32 v2, 3, v18
	ds_read_b64 v[4:5], v2
.LBB629_419:
	s_or_b64 exec, exec, s[2:3]
	s_or_b64 s[0:1], vcc, s[26:27]
	s_mov_b64 s[28:29], -1
	s_xor_b64 s[0:1], s[0:1], -1
	s_and_saveexec_b64 s[30:31], s[0:1]
	s_cbranch_execz .LBB629_428
; %bb.420:
	s_andn2_b64 vcc, exec, s[24:25]
	s_cbranch_vccnz .LBB629_426
; %bb.421:
	s_waitcnt lgkmcnt(0)
	v_mul_lo_u32 v6, v5, s16
	v_mul_lo_u32 v7, v4, s17
	v_mad_u64_u32 v[2:3], s[0:1], v4, s16, 0
	v_add3_u32 v3, v3, v7, v6
	v_lshlrev_b64 v[2:3], 1, v[2:3]
	v_mov_b32_e32 v6, s19
	v_add_co_u32_e32 v2, vcc, s18, v2
	v_addc_co_u32_e32 v3, vcc, v6, v3, vcc
	v_mul_lo_u32 v8, v1, s16
	v_mul_lo_u32 v9, v0, s17
	v_mad_u64_u32 v[6:7], s[0:1], v0, s16, 0
	v_add3_u32 v7, v7, v9, v8
	v_lshlrev_b64 v[6:7], 1, v[6:7]
	v_mov_b32_e32 v8, s19
	v_add_co_u32_e32 v6, vcc, s18, v6
	v_addc_co_u32_e32 v7, vcc, v8, v7, vcc
	s_mov_b64 s[34:35], 0
	s_mov_b64 s[42:43], s[16:17]
                                        ; implicit-def: $sgpr36_sgpr37
                                        ; implicit-def: $sgpr38_sgpr39
                                        ; implicit-def: $sgpr0_sgpr1
                                        ; implicit-def: $sgpr40_sgpr41
                                        ; implicit-def: $sgpr44_sgpr45
	s_branch .LBB629_423
.LBB629_422:                            ;   in Loop: Header=BB629_423 Depth=1
	s_or_b64 exec, exec, s[46:47]
	s_and_b64 s[2:3], exec, s[38:39]
	s_or_b64 s[34:35], s[2:3], s[34:35]
	s_andn2_b64 s[2:3], s[44:45], exec
	s_and_b64 s[44:45], s[40:41], exec
	s_or_b64 s[44:45], s[2:3], s[44:45]
	s_andn2_b64 s[2:3], s[36:37], exec
	s_and_b64 s[36:37], s[0:1], exec
	s_or_b64 s[36:37], s[2:3], s[36:37]
	s_andn2_b64 exec, exec, s[34:35]
	s_cbranch_execz .LBB629_425
.LBB629_423:                            ; =>This Inner Loop Header: Depth=1
	global_load_ushort v8, v[2:3], off
	global_load_ushort v9, v[6:7], off
	s_andn2_b64 s[46:47], s[0:1], exec
	s_andn2_b64 s[40:41], s[40:41], exec
	s_or_b64 s[38:39], s[38:39], exec
	s_waitcnt vmcnt(0)
	v_cmp_le_i16_e64 s[0:1], v8, v9
	v_cmp_lt_i16_e32 vcc, v8, v9
	s_and_b64 s[0:1], s[0:1], s[44:45]
	s_or_b64 s[48:49], vcc, s[0:1]
	s_and_b64 s[0:1], s[48:49], exec
	v_cmp_eq_u16_e64 s[2:3], v8, v9
	s_or_b64 s[0:1], s[46:47], s[0:1]
	s_and_saveexec_b64 s[46:47], s[2:3]
	s_cbranch_execz .LBB629_422
; %bb.424:                              ;   in Loop: Header=BB629_423 Depth=1
	s_add_u32 s42, s42, -1
	s_addc_u32 s43, s43, -1
	v_add_co_u32_e32 v2, vcc, 2, v2
	s_cmp_eq_u64 s[42:43], 0
	v_addc_co_u32_e32 v3, vcc, 0, v3, vcc
	s_cselect_b64 s[2:3], -1, 0
	v_add_co_u32_e32 v6, vcc, 2, v6
	s_andn2_b64 s[40:41], s[40:41], exec
	s_and_b64 s[44:45], s[48:49], exec
	s_andn2_b64 s[38:39], s[38:39], exec
	s_and_b64 s[2:3], s[2:3], exec
	v_addc_co_u32_e32 v7, vcc, 0, v7, vcc
	s_or_b64 s[40:41], s[40:41], s[44:45]
	s_andn2_b64 s[0:1], s[0:1], exec
	s_or_b64 s[38:39], s[38:39], s[2:3]
                                        ; implicit-def: $sgpr44_sgpr45
	s_branch .LBB629_422
.LBB629_425:
	s_or_b64 exec, exec, s[34:35]
	s_xor_b64 s[0:1], s[36:37], -1
	s_branch .LBB629_427
.LBB629_426:
	s_mov_b64 s[0:1], -1
.LBB629_427:
	s_andn2_b64 s[2:3], s[26:27], exec
	s_and_b64 s[0:1], s[0:1], exec
	s_or_b64 s[26:27], s[2:3], s[0:1]
.LBB629_428:
	s_or_b64 exec, exec, s[30:31]
	v_cndmask_b32_e64 v2, v18, v17, s[26:27]
	v_cndmask_b32_e64 v3, v15, v14, s[26:27]
	v_add_u32_e32 v6, 1, v2
	v_add_u32_e32 v2, -1, v3
	v_min_u32_e32 v2, v6, v2
	v_lshlrev_b32_e32 v2, 3, v2
	ds_read_b64 v[2:3], v2
	v_cndmask_b32_e64 v19, v6, v18, s[26:27]
	v_cndmask_b32_e64 v23, v17, v6, s[26:27]
	v_cmp_lt_u32_e32 vcc, v19, v15
	s_waitcnt lgkmcnt(0)
	v_cndmask_b32_e64 v8, v3, v5, s[26:27]
	v_cndmask_b32_e64 v9, v2, v4, s[26:27]
	;; [unrolled: 1-line block ×4, first 2 shown]
	s_and_saveexec_b64 s[30:31], vcc
	s_cbranch_execz .LBB629_439
; %bb.429:
	v_cmp_lt_u32_e32 vcc, v23, v14
	s_mov_b64 s[0:1], 0
	s_and_saveexec_b64 s[28:29], vcc
	s_cbranch_execz .LBB629_438
; %bb.430:
	s_andn2_b64 vcc, exec, s[24:25]
	s_cbranch_vccnz .LBB629_436
; %bb.431:
	v_mul_lo_u32 v6, v8, s16
	v_mul_lo_u32 v7, v9, s17
	v_mad_u64_u32 v[2:3], s[0:1], v9, s16, 0
	v_add3_u32 v3, v3, v7, v6
	v_lshlrev_b64 v[2:3], 1, v[2:3]
	v_mov_b32_e32 v6, s19
	v_add_co_u32_e32 v2, vcc, s18, v2
	v_addc_co_u32_e32 v3, vcc, v6, v3, vcc
	v_mul_lo_u32 v17, v10, s16
	v_mul_lo_u32 v18, v11, s17
	v_mad_u64_u32 v[6:7], s[0:1], v11, s16, 0
	v_add3_u32 v7, v7, v18, v17
	v_lshlrev_b64 v[6:7], 1, v[6:7]
	v_mov_b32_e32 v17, s19
	v_add_co_u32_e32 v6, vcc, s18, v6
	v_addc_co_u32_e32 v7, vcc, v17, v7, vcc
	s_mov_b64 s[34:35], 0
	s_mov_b64 s[42:43], s[16:17]
                                        ; implicit-def: $sgpr36_sgpr37
                                        ; implicit-def: $sgpr38_sgpr39
                                        ; implicit-def: $sgpr0_sgpr1
                                        ; implicit-def: $sgpr40_sgpr41
                                        ; implicit-def: $sgpr44_sgpr45
	s_branch .LBB629_433
.LBB629_432:                            ;   in Loop: Header=BB629_433 Depth=1
	s_or_b64 exec, exec, s[46:47]
	s_and_b64 s[2:3], exec, s[38:39]
	s_or_b64 s[34:35], s[2:3], s[34:35]
	s_andn2_b64 s[2:3], s[44:45], exec
	s_and_b64 s[44:45], s[40:41], exec
	s_or_b64 s[44:45], s[2:3], s[44:45]
	s_andn2_b64 s[2:3], s[36:37], exec
	s_and_b64 s[36:37], s[0:1], exec
	s_or_b64 s[36:37], s[2:3], s[36:37]
	s_andn2_b64 exec, exec, s[34:35]
	s_cbranch_execz .LBB629_435
.LBB629_433:                            ; =>This Inner Loop Header: Depth=1
	global_load_ushort v17, v[2:3], off
	global_load_ushort v18, v[6:7], off
	s_andn2_b64 s[46:47], s[0:1], exec
	s_andn2_b64 s[40:41], s[40:41], exec
	s_or_b64 s[38:39], s[38:39], exec
	s_waitcnt vmcnt(0)
	v_cmp_le_i16_e64 s[0:1], v17, v18
	v_cmp_lt_i16_e32 vcc, v17, v18
	s_and_b64 s[0:1], s[0:1], s[44:45]
	s_or_b64 s[48:49], vcc, s[0:1]
	s_and_b64 s[0:1], s[48:49], exec
	v_cmp_eq_u16_e64 s[2:3], v17, v18
	s_or_b64 s[0:1], s[46:47], s[0:1]
	s_and_saveexec_b64 s[46:47], s[2:3]
	s_cbranch_execz .LBB629_432
; %bb.434:                              ;   in Loop: Header=BB629_433 Depth=1
	s_add_u32 s42, s42, -1
	s_addc_u32 s43, s43, -1
	v_add_co_u32_e32 v2, vcc, 2, v2
	s_cmp_eq_u64 s[42:43], 0
	v_addc_co_u32_e32 v3, vcc, 0, v3, vcc
	s_cselect_b64 s[2:3], -1, 0
	v_add_co_u32_e32 v6, vcc, 2, v6
	s_andn2_b64 s[40:41], s[40:41], exec
	s_and_b64 s[44:45], s[48:49], exec
	s_andn2_b64 s[38:39], s[38:39], exec
	s_and_b64 s[2:3], s[2:3], exec
	v_addc_co_u32_e32 v7, vcc, 0, v7, vcc
	s_or_b64 s[40:41], s[40:41], s[44:45]
	s_andn2_b64 s[0:1], s[0:1], exec
	s_or_b64 s[38:39], s[38:39], s[2:3]
                                        ; implicit-def: $sgpr44_sgpr45
	s_branch .LBB629_432
.LBB629_435:
	s_or_b64 exec, exec, s[34:35]
	s_xor_b64 s[0:1], s[36:37], -1
	s_branch .LBB629_437
.LBB629_436:
	s_mov_b64 s[0:1], -1
.LBB629_437:
	s_and_b64 s[0:1], s[0:1], exec
.LBB629_438:
	s_or_b64 exec, exec, s[28:29]
	s_orn2_b64 s[28:29], s[0:1], exec
.LBB629_439:
	s_or_b64 exec, exec, s[30:31]
	v_cndmask_b32_e64 v2, v19, v23, s[28:29]
	v_cndmask_b32_e64 v3, v15, v14, s[28:29]
	v_add_u32_e32 v6, 1, v2
	v_add_u32_e32 v2, -1, v3
	v_min_u32_e32 v2, v6, v2
	v_lshlrev_b32_e32 v2, 3, v2
	ds_read_b64 v[2:3], v2
	v_cndmask_b32_e64 v20, v6, v19, s[28:29]
	v_cndmask_b32_e64 v19, v23, v6, s[28:29]
	v_cmp_lt_u32_e32 vcc, v20, v15
	s_mov_b64 s[0:1], -1
	s_waitcnt lgkmcnt(0)
	v_cndmask_b32_e64 v17, v3, v8, s[28:29]
	v_cndmask_b32_e64 v18, v2, v9, s[28:29]
	;; [unrolled: 1-line block ×4, first 2 shown]
	s_and_saveexec_b64 s[30:31], vcc
	s_cbranch_execz .LBB629_450
; %bb.440:
	v_cmp_lt_u32_e32 vcc, v19, v14
	s_mov_b64 s[0:1], 0
	s_and_saveexec_b64 s[34:35], vcc
	s_cbranch_execz .LBB629_449
; %bb.441:
	s_andn2_b64 vcc, exec, s[24:25]
	s_cbranch_vccnz .LBB629_447
; %bb.442:
	v_mul_lo_u32 v6, v17, s16
	v_mul_lo_u32 v7, v18, s17
	v_mad_u64_u32 v[2:3], s[0:1], v18, s16, 0
	v_add3_u32 v3, v3, v7, v6
	v_lshlrev_b64 v[2:3], 1, v[2:3]
	v_mov_b32_e32 v6, s19
	v_add_co_u32_e32 v2, vcc, s18, v2
	v_addc_co_u32_e32 v3, vcc, v6, v3, vcc
	v_mul_lo_u32 v23, v21, s16
	v_mul_lo_u32 v24, v22, s17
	v_mad_u64_u32 v[6:7], s[0:1], v22, s16, 0
	v_add3_u32 v7, v7, v24, v23
	v_lshlrev_b64 v[6:7], 1, v[6:7]
	v_mov_b32_e32 v23, s19
	v_add_co_u32_e32 v6, vcc, s18, v6
	v_addc_co_u32_e32 v7, vcc, v23, v7, vcc
	s_mov_b64 s[36:37], 0
	s_mov_b64 s[44:45], s[16:17]
                                        ; implicit-def: $sgpr38_sgpr39
                                        ; implicit-def: $sgpr40_sgpr41
                                        ; implicit-def: $sgpr0_sgpr1
                                        ; implicit-def: $sgpr42_sgpr43
                                        ; implicit-def: $sgpr46_sgpr47
	s_branch .LBB629_444
.LBB629_443:                            ;   in Loop: Header=BB629_444 Depth=1
	s_or_b64 exec, exec, s[48:49]
	s_and_b64 s[2:3], exec, s[40:41]
	s_or_b64 s[36:37], s[2:3], s[36:37]
	s_andn2_b64 s[2:3], s[46:47], exec
	s_and_b64 s[46:47], s[42:43], exec
	s_or_b64 s[46:47], s[2:3], s[46:47]
	s_andn2_b64 s[2:3], s[38:39], exec
	s_and_b64 s[38:39], s[0:1], exec
	s_or_b64 s[38:39], s[2:3], s[38:39]
	s_andn2_b64 exec, exec, s[36:37]
	s_cbranch_execz .LBB629_446
.LBB629_444:                            ; =>This Inner Loop Header: Depth=1
	global_load_ushort v23, v[2:3], off
	global_load_ushort v24, v[6:7], off
	s_andn2_b64 s[48:49], s[0:1], exec
	s_andn2_b64 s[42:43], s[42:43], exec
	s_or_b64 s[40:41], s[40:41], exec
	s_waitcnt vmcnt(0)
	v_cmp_le_i16_e64 s[0:1], v23, v24
	v_cmp_lt_i16_e32 vcc, v23, v24
	s_and_b64 s[0:1], s[0:1], s[46:47]
	s_or_b64 s[50:51], vcc, s[0:1]
	s_and_b64 s[0:1], s[50:51], exec
	v_cmp_eq_u16_e64 s[2:3], v23, v24
	s_or_b64 s[0:1], s[48:49], s[0:1]
	s_and_saveexec_b64 s[48:49], s[2:3]
	s_cbranch_execz .LBB629_443
; %bb.445:                              ;   in Loop: Header=BB629_444 Depth=1
	s_add_u32 s44, s44, -1
	s_addc_u32 s45, s45, -1
	v_add_co_u32_e32 v2, vcc, 2, v2
	s_cmp_eq_u64 s[44:45], 0
	v_addc_co_u32_e32 v3, vcc, 0, v3, vcc
	s_cselect_b64 s[2:3], -1, 0
	v_add_co_u32_e32 v6, vcc, 2, v6
	s_andn2_b64 s[42:43], s[42:43], exec
	s_and_b64 s[46:47], s[50:51], exec
	s_andn2_b64 s[40:41], s[40:41], exec
	s_and_b64 s[2:3], s[2:3], exec
	v_addc_co_u32_e32 v7, vcc, 0, v7, vcc
	s_or_b64 s[42:43], s[42:43], s[46:47]
	s_andn2_b64 s[0:1], s[0:1], exec
	s_or_b64 s[40:41], s[40:41], s[2:3]
                                        ; implicit-def: $sgpr46_sgpr47
	s_branch .LBB629_443
.LBB629_446:
	s_or_b64 exec, exec, s[36:37]
	s_xor_b64 s[0:1], s[38:39], -1
	s_branch .LBB629_448
.LBB629_447:
	s_mov_b64 s[0:1], -1
.LBB629_448:
	s_and_b64 s[0:1], s[0:1], exec
.LBB629_449:
	s_or_b64 exec, exec, s[34:35]
	s_orn2_b64 s[0:1], s[0:1], exec
.LBB629_450:
	s_or_b64 exec, exec, s[30:31]
	v_cndmask_b32_e64 v6, v20, v19, s[0:1]
	v_cndmask_b32_e64 v7, v15, v14, s[0:1]
	;; [unrolled: 1-line block ×3, first 2 shown]
	v_add_u32_e32 v10, 1, v6
	v_add_u32_e32 v6, -1, v7
	v_min_u32_e32 v6, v10, v6
	v_lshlrev_b32_e32 v6, 3, v6
	v_cndmask_b32_e64 v2, v9, v11, s[28:29]
	ds_read_b64 v[8:9], v6
	v_cndmask_b32_e64 v11, v10, v20, s[0:1]
	v_cndmask_b32_e64 v1, v5, v1, s[26:27]
	;; [unrolled: 1-line block ×5, first 2 shown]
	s_waitcnt lgkmcnt(0)
	v_cndmask_b32_e64 v7, v21, v9, s[0:1]
	v_cndmask_b32_e64 v6, v22, v8, s[0:1]
	v_cmp_lt_u32_e32 vcc, v11, v15
	s_and_saveexec_b64 s[26:27], vcc
	s_cbranch_execz .LBB629_460
; %bb.451:
	v_cndmask_b32_e64 v10, v19, v10, s[0:1]
	v_cndmask_b32_e64 v9, v9, v17, s[0:1]
	v_cndmask_b32_e64 v8, v8, v18, s[0:1]
	v_cmp_lt_u32_e32 vcc, v10, v14
	s_and_saveexec_b64 s[28:29], vcc
	s_cbranch_execz .LBB629_459
; %bb.452:
	s_andn2_b64 vcc, exec, s[24:25]
	s_cbranch_vccnz .LBB629_458
; %bb.453:
	v_mul_lo_u32 v14, v9, s16
	v_mul_lo_u32 v15, v8, s17
	v_mad_u64_u32 v[10:11], s[0:1], v8, s16, 0
	v_add3_u32 v11, v11, v15, v14
	v_lshlrev_b64 v[10:11], 1, v[10:11]
	v_mov_b32_e32 v14, s19
	v_add_co_u32_e32 v10, vcc, s18, v10
	v_addc_co_u32_e32 v11, vcc, v14, v11, vcc
	v_mul_lo_u32 v17, v7, s16
	v_mul_lo_u32 v18, v6, s17
	v_mad_u64_u32 v[14:15], s[0:1], v6, s16, 0
	v_add3_u32 v15, v15, v18, v17
	v_lshlrev_b64 v[14:15], 1, v[14:15]
	v_mov_b32_e32 v17, s19
	v_add_co_u32_e32 v14, vcc, s18, v14
	v_addc_co_u32_e32 v15, vcc, v17, v15, vcc
	s_mov_b64 s[30:31], 0
	s_mov_b64 s[40:41], s[16:17]
                                        ; implicit-def: $sgpr34_sgpr35
                                        ; implicit-def: $sgpr36_sgpr37
                                        ; implicit-def: $sgpr0_sgpr1
                                        ; implicit-def: $sgpr38_sgpr39
                                        ; implicit-def: $sgpr42_sgpr43
	s_branch .LBB629_455
.LBB629_454:                            ;   in Loop: Header=BB629_455 Depth=1
	s_or_b64 exec, exec, s[44:45]
	s_and_b64 s[2:3], exec, s[36:37]
	s_or_b64 s[30:31], s[2:3], s[30:31]
	s_andn2_b64 s[2:3], s[42:43], exec
	s_and_b64 s[42:43], s[38:39], exec
	s_or_b64 s[42:43], s[2:3], s[42:43]
	s_andn2_b64 s[2:3], s[34:35], exec
	s_and_b64 s[34:35], s[0:1], exec
	s_or_b64 s[34:35], s[2:3], s[34:35]
	s_andn2_b64 exec, exec, s[30:31]
	s_cbranch_execz .LBB629_457
.LBB629_455:                            ; =>This Inner Loop Header: Depth=1
	global_load_ushort v17, v[10:11], off
	global_load_ushort v18, v[14:15], off
	s_andn2_b64 s[44:45], s[0:1], exec
	s_andn2_b64 s[38:39], s[38:39], exec
	s_or_b64 s[36:37], s[36:37], exec
	s_waitcnt vmcnt(0)
	v_cmp_le_i16_e64 s[0:1], v17, v18
	v_cmp_lt_i16_e32 vcc, v17, v18
	s_and_b64 s[0:1], s[0:1], s[42:43]
	s_or_b64 s[46:47], vcc, s[0:1]
	s_and_b64 s[0:1], s[46:47], exec
	v_cmp_eq_u16_e64 s[2:3], v17, v18
	s_or_b64 s[0:1], s[44:45], s[0:1]
	s_and_saveexec_b64 s[44:45], s[2:3]
	s_cbranch_execz .LBB629_454
; %bb.456:                              ;   in Loop: Header=BB629_455 Depth=1
	s_add_u32 s40, s40, -1
	s_addc_u32 s41, s41, -1
	v_add_co_u32_e32 v10, vcc, 2, v10
	s_cmp_eq_u64 s[40:41], 0
	v_addc_co_u32_e32 v11, vcc, 0, v11, vcc
	s_cselect_b64 s[2:3], -1, 0
	v_add_co_u32_e32 v14, vcc, 2, v14
	s_andn2_b64 s[38:39], s[38:39], exec
	s_and_b64 s[42:43], s[46:47], exec
	s_andn2_b64 s[36:37], s[36:37], exec
	s_and_b64 s[2:3], s[2:3], exec
	v_addc_co_u32_e32 v15, vcc, 0, v15, vcc
	s_or_b64 s[38:39], s[38:39], s[42:43]
	s_andn2_b64 s[0:1], s[0:1], exec
	s_or_b64 s[36:37], s[36:37], s[2:3]
                                        ; implicit-def: $sgpr42_sgpr43
	s_branch .LBB629_454
.LBB629_457:
	s_or_b64 exec, exec, s[30:31]
	v_cndmask_b32_e64 v7, v7, v9, s[34:35]
	v_cndmask_b32_e64 v6, v6, v8, s[34:35]
.LBB629_458:
	v_pk_mov_b32 v[8:9], v[6:7], v[6:7] op_sel:[0,1]
.LBB629_459:
	s_or_b64 exec, exec, s[28:29]
	v_pk_mov_b32 v[6:7], v[8:9], v[8:9] op_sel:[0,1]
.LBB629_460:
	s_or_b64 exec, exec, s[26:27]
.LBB629_461:
	s_or_b64 exec, exec, s[4:5]
	s_barrier
	ds_write_b128 v16, v[0:3]
	ds_write_b128 v16, v[4:7] offset:16
	v_and_b32_e32 v16, 0xc00, v27
	v_or_b32_e32 v8, 0x200, v16
	v_min_u32_e32 v14, 0x400, v8
	v_and_b32_e32 v17, 0x3fc, v27
	v_sub_u32_e32 v8, v14, v16
	v_sub_u32_e32 v9, 0x400, v14
	v_sub_u32_e64 v18, v17, v9 clamp
	v_min_u32_e32 v19, v17, v8
	v_lshlrev_b32_e32 v15, 3, v16
	v_cmp_lt_u32_e32 vcc, v18, v19
	s_waitcnt lgkmcnt(0)
	s_barrier
	s_and_saveexec_b64 s[26:27], vcc
	s_cbranch_execz .LBB629_471
; %bb.462:
	v_lshlrev_b32_e32 v8, 3, v17
	v_lshl_add_u32 v20, v14, 3, v8
	v_cndmask_b32_e64 v8, 0, 1, s[24:25]
	s_lshl_b64 s[30:31], s[16:17], 1
	s_mov_b64 s[28:29], 0
	v_cmp_ne_u32_e64 s[0:1], 1, v8
	s_branch .LBB629_465
.LBB629_463:                            ;   in Loop: Header=BB629_465 Depth=1
	s_or_b64 exec, exec, s[36:37]
.LBB629_464:                            ;   in Loop: Header=BB629_465 Depth=1
	v_add_u32_e32 v8, 1, v21
	v_cndmask_b32_e64 v19, v19, v21, s[34:35]
	v_cndmask_b32_e64 v18, v8, v18, s[34:35]
	v_cmp_ge_u32_e32 vcc, v18, v19
	s_or_b64 s[28:29], vcc, s[28:29]
	s_andn2_b64 exec, exec, s[28:29]
	s_cbranch_execz .LBB629_470
.LBB629_465:                            ; =>This Loop Header: Depth=1
                                        ;     Child Loop BB629_468 Depth 2
	v_add_u32_e32 v8, v19, v18
	v_lshrrev_b32_e32 v21, 1, v8
	s_and_b64 vcc, exec, s[0:1]
	s_mov_b64 s[34:35], 0
	s_cbranch_vccnz .LBB629_464
; %bb.466:                              ;   in Loop: Header=BB629_465 Depth=1
	v_not_b32_e32 v8, v21
	v_lshl_add_u32 v8, v8, 3, v20
	ds_read_b64 v[8:9], v8
	v_lshl_add_u32 v22, v21, 3, v15
	ds_read_b64 v[22:23], v22
	v_pk_mov_b32 v[10:11], s[18:19], s[18:19] op_sel:[0,1]
	s_mov_b64 s[36:37], 0
	s_waitcnt lgkmcnt(1)
	v_mul_lo_u32 v24, s30, v9
	v_mul_lo_u32 v25, s31, v8
	v_mad_u64_u32 v[8:9], s[2:3], s30, v8, v[10:11]
	v_add3_u32 v9, v25, v9, v24
	s_waitcnt lgkmcnt(0)
	v_mul_lo_u32 v23, s30, v23
	v_mul_lo_u32 v24, s31, v22
	v_mad_u64_u32 v[10:11], s[2:3], s30, v22, v[10:11]
	v_add3_u32 v11, v24, v11, v23
	s_mov_b64 s[42:43], s[16:17]
                                        ; implicit-def: $sgpr34_sgpr35
                                        ; implicit-def: $sgpr38_sgpr39
                                        ; implicit-def: $sgpr40_sgpr41
                                        ; implicit-def: $sgpr2_sgpr3
                                        ; implicit-def: $sgpr44_sgpr45
	s_branch .LBB629_468
.LBB629_467:                            ;   in Loop: Header=BB629_468 Depth=2
	s_or_b64 exec, exec, s[46:47]
	s_and_b64 s[4:5], exec, s[38:39]
	s_or_b64 s[36:37], s[4:5], s[36:37]
	s_andn2_b64 s[4:5], s[44:45], exec
	s_and_b64 s[44:45], s[40:41], exec
	s_or_b64 s[44:45], s[4:5], s[44:45]
	s_andn2_b64 s[4:5], s[34:35], exec
	s_and_b64 s[34:35], s[2:3], exec
	s_or_b64 s[34:35], s[4:5], s[34:35]
	s_andn2_b64 exec, exec, s[36:37]
	s_cbranch_execz .LBB629_463
.LBB629_468:                            ;   Parent Loop BB629_465 Depth=1
                                        ; =>  This Inner Loop Header: Depth=2
	global_load_ushort v22, v[8:9], off
	global_load_ushort v23, v[10:11], off
	s_andn2_b64 s[46:47], s[2:3], exec
	s_andn2_b64 s[40:41], s[40:41], exec
	s_or_b64 s[38:39], s[38:39], exec
	s_waitcnt vmcnt(0)
	v_cmp_le_i16_e64 s[2:3], v22, v23
	v_cmp_lt_i16_e32 vcc, v22, v23
	s_and_b64 s[2:3], s[2:3], s[44:45]
	s_or_b64 s[48:49], vcc, s[2:3]
	s_and_b64 s[2:3], s[48:49], exec
	v_cmp_eq_u16_e64 s[4:5], v22, v23
	s_or_b64 s[2:3], s[46:47], s[2:3]
	s_and_saveexec_b64 s[46:47], s[4:5]
	s_cbranch_execz .LBB629_467
; %bb.469:                              ;   in Loop: Header=BB629_468 Depth=2
	s_add_u32 s42, s42, -1
	s_addc_u32 s43, s43, -1
	v_add_co_u32_e32 v8, vcc, 2, v8
	s_cmp_eq_u64 s[42:43], 0
	v_addc_co_u32_e32 v9, vcc, 0, v9, vcc
	s_cselect_b64 s[4:5], -1, 0
	v_add_co_u32_e32 v10, vcc, 2, v10
	s_andn2_b64 s[40:41], s[40:41], exec
	s_and_b64 s[44:45], s[48:49], exec
	s_andn2_b64 s[38:39], s[38:39], exec
	s_and_b64 s[4:5], s[4:5], exec
	v_addc_co_u32_e32 v11, vcc, 0, v11, vcc
	s_andn2_b64 s[2:3], s[2:3], exec
	s_or_b64 s[40:41], s[40:41], s[44:45]
	s_or_b64 s[38:39], s[38:39], s[4:5]
                                        ; implicit-def: $sgpr44_sgpr45
	s_branch .LBB629_467
.LBB629_470:
	s_or_b64 exec, exec, s[28:29]
.LBB629_471:
	s_or_b64 exec, exec, s[26:27]
	v_sub_u32_e32 v8, v17, v18
	v_add_u32_e32 v16, v18, v16
	v_add_u32_e32 v17, v8, v14
	s_movk_i32 s0, 0x401
	v_cmp_le_u32_e32 vcc, v16, v14
	v_cmp_gt_u32_e64 s[0:1], s0, v17
	s_or_b64 s[0:1], vcc, s[0:1]
	s_and_saveexec_b64 s[4:5], s[0:1]
	s_cbranch_execz .LBB629_518
; %bb.472:
	v_cmp_ge_u32_e32 vcc, v16, v14
	v_cmp_lt_u32_e64 s[0:1], v16, v14
                                        ; implicit-def: $vgpr0_vgpr1
	s_and_saveexec_b64 s[2:3], s[0:1]
	s_cbranch_execz .LBB629_474
; %bb.473:
	v_lshl_add_u32 v0, v18, 3, v15
	ds_read_b64 v[0:1], v0
.LBB629_474:
	s_or_b64 exec, exec, s[2:3]
	s_movk_i32 s0, 0x3ff
	v_cmp_lt_u32_e64 s[26:27], s0, v17
	s_movk_i32 s0, 0x400
	v_cmp_gt_u32_e64 s[0:1], s0, v17
                                        ; implicit-def: $vgpr4_vgpr5
	s_and_saveexec_b64 s[2:3], s[0:1]
	s_cbranch_execz .LBB629_476
; %bb.475:
	v_lshlrev_b32_e32 v2, 3, v17
	ds_read_b64 v[4:5], v2
.LBB629_476:
	s_or_b64 exec, exec, s[2:3]
	s_or_b64 s[0:1], vcc, s[26:27]
	s_mov_b64 s[28:29], -1
	s_xor_b64 s[0:1], s[0:1], -1
	s_and_saveexec_b64 s[30:31], s[0:1]
	s_cbranch_execz .LBB629_485
; %bb.477:
	s_andn2_b64 vcc, exec, s[24:25]
	s_cbranch_vccnz .LBB629_483
; %bb.478:
	s_waitcnt lgkmcnt(0)
	v_mul_lo_u32 v6, v5, s16
	v_mul_lo_u32 v7, v4, s17
	v_mad_u64_u32 v[2:3], s[0:1], v4, s16, 0
	v_add3_u32 v3, v3, v7, v6
	v_lshlrev_b64 v[2:3], 1, v[2:3]
	v_mov_b32_e32 v6, s19
	v_add_co_u32_e32 v2, vcc, s18, v2
	v_addc_co_u32_e32 v3, vcc, v6, v3, vcc
	v_mul_lo_u32 v8, v1, s16
	v_mul_lo_u32 v9, v0, s17
	v_mad_u64_u32 v[6:7], s[0:1], v0, s16, 0
	v_add3_u32 v7, v7, v9, v8
	v_lshlrev_b64 v[6:7], 1, v[6:7]
	v_mov_b32_e32 v8, s19
	v_add_co_u32_e32 v6, vcc, s18, v6
	v_addc_co_u32_e32 v7, vcc, v8, v7, vcc
	s_mov_b64 s[34:35], 0
	s_mov_b64 s[42:43], s[16:17]
                                        ; implicit-def: $sgpr36_sgpr37
                                        ; implicit-def: $sgpr38_sgpr39
                                        ; implicit-def: $sgpr0_sgpr1
                                        ; implicit-def: $sgpr40_sgpr41
                                        ; implicit-def: $sgpr44_sgpr45
	s_branch .LBB629_480
.LBB629_479:                            ;   in Loop: Header=BB629_480 Depth=1
	s_or_b64 exec, exec, s[46:47]
	s_and_b64 s[2:3], exec, s[38:39]
	s_or_b64 s[34:35], s[2:3], s[34:35]
	s_andn2_b64 s[2:3], s[44:45], exec
	s_and_b64 s[44:45], s[40:41], exec
	s_or_b64 s[44:45], s[2:3], s[44:45]
	s_andn2_b64 s[2:3], s[36:37], exec
	s_and_b64 s[36:37], s[0:1], exec
	s_or_b64 s[36:37], s[2:3], s[36:37]
	s_andn2_b64 exec, exec, s[34:35]
	s_cbranch_execz .LBB629_482
.LBB629_480:                            ; =>This Inner Loop Header: Depth=1
	global_load_ushort v8, v[2:3], off
	global_load_ushort v9, v[6:7], off
	s_andn2_b64 s[46:47], s[0:1], exec
	s_andn2_b64 s[40:41], s[40:41], exec
	s_or_b64 s[38:39], s[38:39], exec
	s_waitcnt vmcnt(0)
	v_cmp_le_i16_e64 s[0:1], v8, v9
	v_cmp_lt_i16_e32 vcc, v8, v9
	s_and_b64 s[0:1], s[0:1], s[44:45]
	s_or_b64 s[48:49], vcc, s[0:1]
	s_and_b64 s[0:1], s[48:49], exec
	v_cmp_eq_u16_e64 s[2:3], v8, v9
	s_or_b64 s[0:1], s[46:47], s[0:1]
	s_and_saveexec_b64 s[46:47], s[2:3]
	s_cbranch_execz .LBB629_479
; %bb.481:                              ;   in Loop: Header=BB629_480 Depth=1
	s_add_u32 s42, s42, -1
	s_addc_u32 s43, s43, -1
	v_add_co_u32_e32 v2, vcc, 2, v2
	s_cmp_eq_u64 s[42:43], 0
	v_addc_co_u32_e32 v3, vcc, 0, v3, vcc
	s_cselect_b64 s[2:3], -1, 0
	v_add_co_u32_e32 v6, vcc, 2, v6
	s_andn2_b64 s[40:41], s[40:41], exec
	s_and_b64 s[44:45], s[48:49], exec
	s_andn2_b64 s[38:39], s[38:39], exec
	s_and_b64 s[2:3], s[2:3], exec
	v_addc_co_u32_e32 v7, vcc, 0, v7, vcc
	s_or_b64 s[40:41], s[40:41], s[44:45]
	s_andn2_b64 s[0:1], s[0:1], exec
	s_or_b64 s[38:39], s[38:39], s[2:3]
                                        ; implicit-def: $sgpr44_sgpr45
	s_branch .LBB629_479
.LBB629_482:
	s_or_b64 exec, exec, s[34:35]
	s_xor_b64 s[0:1], s[36:37], -1
	s_branch .LBB629_484
.LBB629_483:
	s_mov_b64 s[0:1], -1
.LBB629_484:
	s_andn2_b64 s[2:3], s[26:27], exec
	s_and_b64 s[0:1], s[0:1], exec
	s_or_b64 s[26:27], s[2:3], s[0:1]
.LBB629_485:
	s_or_b64 exec, exec, s[30:31]
	v_cndmask_b32_e64 v2, v17, v16, s[26:27]
	v_add_u32_e32 v8, -1, v14
	v_mov_b32_e32 v18, 0x3ff
	v_add_u32_e32 v6, 1, v2
	v_cndmask_b32_e64 v2, v18, v8, s[26:27]
	v_min_u32_e32 v2, v6, v2
	v_lshlrev_b32_e32 v2, 3, v2
	ds_read_b64 v[2:3], v2
	v_cndmask_b32_e64 v19, v6, v17, s[26:27]
	s_movk_i32 s7, 0x400
	v_cndmask_b32_e64 v22, v16, v6, s[26:27]
	v_cmp_gt_u32_e32 vcc, s7, v19
	s_waitcnt lgkmcnt(0)
	v_cndmask_b32_e64 v9, v3, v5, s[26:27]
	v_cndmask_b32_e64 v10, v2, v4, s[26:27]
	;; [unrolled: 1-line block ×4, first 2 shown]
	s_and_saveexec_b64 s[30:31], vcc
	s_cbranch_execz .LBB629_496
; %bb.486:
	v_cmp_lt_u32_e32 vcc, v22, v14
	s_mov_b64 s[0:1], 0
	s_and_saveexec_b64 s[28:29], vcc
	s_cbranch_execz .LBB629_495
; %bb.487:
	s_andn2_b64 vcc, exec, s[24:25]
	s_cbranch_vccnz .LBB629_493
; %bb.488:
	v_mul_lo_u32 v6, v9, s16
	v_mul_lo_u32 v7, v10, s17
	v_mad_u64_u32 v[2:3], s[0:1], v10, s16, 0
	v_add3_u32 v3, v3, v7, v6
	v_lshlrev_b64 v[2:3], 1, v[2:3]
	v_mov_b32_e32 v6, s19
	v_add_co_u32_e32 v2, vcc, s18, v2
	v_addc_co_u32_e32 v3, vcc, v6, v3, vcc
	v_mul_lo_u32 v16, v11, s16
	v_mul_lo_u32 v17, v15, s17
	v_mad_u64_u32 v[6:7], s[0:1], v15, s16, 0
	v_add3_u32 v7, v7, v17, v16
	v_lshlrev_b64 v[6:7], 1, v[6:7]
	v_mov_b32_e32 v16, s19
	v_add_co_u32_e32 v6, vcc, s18, v6
	v_addc_co_u32_e32 v7, vcc, v16, v7, vcc
	s_mov_b64 s[34:35], 0
	s_mov_b64 s[42:43], s[16:17]
                                        ; implicit-def: $sgpr36_sgpr37
                                        ; implicit-def: $sgpr38_sgpr39
                                        ; implicit-def: $sgpr0_sgpr1
                                        ; implicit-def: $sgpr40_sgpr41
                                        ; implicit-def: $sgpr44_sgpr45
	s_branch .LBB629_490
.LBB629_489:                            ;   in Loop: Header=BB629_490 Depth=1
	s_or_b64 exec, exec, s[46:47]
	s_and_b64 s[2:3], exec, s[38:39]
	s_or_b64 s[34:35], s[2:3], s[34:35]
	s_andn2_b64 s[2:3], s[44:45], exec
	s_and_b64 s[44:45], s[40:41], exec
	s_or_b64 s[44:45], s[2:3], s[44:45]
	s_andn2_b64 s[2:3], s[36:37], exec
	s_and_b64 s[36:37], s[0:1], exec
	s_or_b64 s[36:37], s[2:3], s[36:37]
	s_andn2_b64 exec, exec, s[34:35]
	s_cbranch_execz .LBB629_492
.LBB629_490:                            ; =>This Inner Loop Header: Depth=1
	global_load_ushort v16, v[2:3], off
	global_load_ushort v17, v[6:7], off
	s_andn2_b64 s[46:47], s[0:1], exec
	s_andn2_b64 s[40:41], s[40:41], exec
	s_or_b64 s[38:39], s[38:39], exec
	s_waitcnt vmcnt(0)
	v_cmp_le_i16_e64 s[0:1], v16, v17
	v_cmp_lt_i16_e32 vcc, v16, v17
	s_and_b64 s[0:1], s[0:1], s[44:45]
	s_or_b64 s[48:49], vcc, s[0:1]
	s_and_b64 s[0:1], s[48:49], exec
	v_cmp_eq_u16_e64 s[2:3], v16, v17
	s_or_b64 s[0:1], s[46:47], s[0:1]
	s_and_saveexec_b64 s[46:47], s[2:3]
	s_cbranch_execz .LBB629_489
; %bb.491:                              ;   in Loop: Header=BB629_490 Depth=1
	s_add_u32 s42, s42, -1
	s_addc_u32 s43, s43, -1
	v_add_co_u32_e32 v2, vcc, 2, v2
	s_cmp_eq_u64 s[42:43], 0
	v_addc_co_u32_e32 v3, vcc, 0, v3, vcc
	s_cselect_b64 s[2:3], -1, 0
	v_add_co_u32_e32 v6, vcc, 2, v6
	s_andn2_b64 s[40:41], s[40:41], exec
	s_and_b64 s[44:45], s[48:49], exec
	s_andn2_b64 s[38:39], s[38:39], exec
	s_and_b64 s[2:3], s[2:3], exec
	v_addc_co_u32_e32 v7, vcc, 0, v7, vcc
	s_or_b64 s[40:41], s[40:41], s[44:45]
	s_andn2_b64 s[0:1], s[0:1], exec
	s_or_b64 s[38:39], s[38:39], s[2:3]
                                        ; implicit-def: $sgpr44_sgpr45
	s_branch .LBB629_489
.LBB629_492:
	s_or_b64 exec, exec, s[34:35]
	s_xor_b64 s[0:1], s[36:37], -1
	s_branch .LBB629_494
.LBB629_493:
	s_mov_b64 s[0:1], -1
.LBB629_494:
	s_and_b64 s[0:1], s[0:1], exec
.LBB629_495:
	s_or_b64 exec, exec, s[28:29]
	s_orn2_b64 s[28:29], s[0:1], exec
.LBB629_496:
	s_or_b64 exec, exec, s[30:31]
	v_cndmask_b32_e64 v2, v19, v22, s[28:29]
	v_add_u32_e32 v6, 1, v2
	v_cndmask_b32_e64 v2, v18, v8, s[28:29]
	v_min_u32_e32 v2, v6, v2
	v_lshlrev_b32_e32 v2, 3, v2
	ds_read_b64 v[2:3], v2
	v_cndmask_b32_e64 v19, v6, v19, s[28:29]
	v_cndmask_b32_e64 v18, v22, v6, s[28:29]
	v_cmp_gt_u32_e32 vcc, s7, v19
	s_mov_b64 s[0:1], -1
	s_waitcnt lgkmcnt(0)
	v_cndmask_b32_e64 v16, v3, v9, s[28:29]
	v_cndmask_b32_e64 v17, v2, v10, s[28:29]
	;; [unrolled: 1-line block ×4, first 2 shown]
	s_and_saveexec_b64 s[30:31], vcc
	s_cbranch_execz .LBB629_507
; %bb.497:
	v_cmp_lt_u32_e32 vcc, v18, v14
	s_mov_b64 s[0:1], 0
	s_and_saveexec_b64 s[34:35], vcc
	s_cbranch_execz .LBB629_506
; %bb.498:
	s_andn2_b64 vcc, exec, s[24:25]
	s_cbranch_vccnz .LBB629_504
; %bb.499:
	v_mul_lo_u32 v6, v16, s16
	v_mul_lo_u32 v7, v17, s17
	v_mad_u64_u32 v[2:3], s[0:1], v17, s16, 0
	v_add3_u32 v3, v3, v7, v6
	v_lshlrev_b64 v[2:3], 1, v[2:3]
	v_mov_b32_e32 v6, s19
	v_add_co_u32_e32 v2, vcc, s18, v2
	v_addc_co_u32_e32 v3, vcc, v6, v3, vcc
	v_mul_lo_u32 v22, v20, s16
	v_mul_lo_u32 v23, v21, s17
	v_mad_u64_u32 v[6:7], s[0:1], v21, s16, 0
	v_add3_u32 v7, v7, v23, v22
	v_lshlrev_b64 v[6:7], 1, v[6:7]
	v_mov_b32_e32 v22, s19
	v_add_co_u32_e32 v6, vcc, s18, v6
	v_addc_co_u32_e32 v7, vcc, v22, v7, vcc
	s_mov_b64 s[36:37], 0
	s_mov_b64 s[44:45], s[16:17]
                                        ; implicit-def: $sgpr38_sgpr39
                                        ; implicit-def: $sgpr40_sgpr41
                                        ; implicit-def: $sgpr0_sgpr1
                                        ; implicit-def: $sgpr42_sgpr43
                                        ; implicit-def: $sgpr46_sgpr47
	s_branch .LBB629_501
.LBB629_500:                            ;   in Loop: Header=BB629_501 Depth=1
	s_or_b64 exec, exec, s[48:49]
	s_and_b64 s[2:3], exec, s[40:41]
	s_or_b64 s[36:37], s[2:3], s[36:37]
	s_andn2_b64 s[2:3], s[46:47], exec
	s_and_b64 s[46:47], s[42:43], exec
	s_or_b64 s[46:47], s[2:3], s[46:47]
	s_andn2_b64 s[2:3], s[38:39], exec
	s_and_b64 s[38:39], s[0:1], exec
	s_or_b64 s[38:39], s[2:3], s[38:39]
	s_andn2_b64 exec, exec, s[36:37]
	s_cbranch_execz .LBB629_503
.LBB629_501:                            ; =>This Inner Loop Header: Depth=1
	global_load_ushort v22, v[2:3], off
	global_load_ushort v23, v[6:7], off
	s_andn2_b64 s[48:49], s[0:1], exec
	s_andn2_b64 s[42:43], s[42:43], exec
	s_or_b64 s[40:41], s[40:41], exec
	s_waitcnt vmcnt(0)
	v_cmp_le_i16_e64 s[0:1], v22, v23
	v_cmp_lt_i16_e32 vcc, v22, v23
	s_and_b64 s[0:1], s[0:1], s[46:47]
	s_or_b64 s[50:51], vcc, s[0:1]
	s_and_b64 s[0:1], s[50:51], exec
	v_cmp_eq_u16_e64 s[2:3], v22, v23
	s_or_b64 s[0:1], s[48:49], s[0:1]
	s_and_saveexec_b64 s[48:49], s[2:3]
	s_cbranch_execz .LBB629_500
; %bb.502:                              ;   in Loop: Header=BB629_501 Depth=1
	s_add_u32 s44, s44, -1
	s_addc_u32 s45, s45, -1
	v_add_co_u32_e32 v2, vcc, 2, v2
	s_cmp_eq_u64 s[44:45], 0
	v_addc_co_u32_e32 v3, vcc, 0, v3, vcc
	s_cselect_b64 s[2:3], -1, 0
	v_add_co_u32_e32 v6, vcc, 2, v6
	s_andn2_b64 s[42:43], s[42:43], exec
	s_and_b64 s[46:47], s[50:51], exec
	s_andn2_b64 s[40:41], s[40:41], exec
	s_and_b64 s[2:3], s[2:3], exec
	v_addc_co_u32_e32 v7, vcc, 0, v7, vcc
	s_or_b64 s[42:43], s[42:43], s[46:47]
	s_andn2_b64 s[0:1], s[0:1], exec
	s_or_b64 s[40:41], s[40:41], s[2:3]
                                        ; implicit-def: $sgpr46_sgpr47
	s_branch .LBB629_500
.LBB629_503:
	s_or_b64 exec, exec, s[36:37]
	s_xor_b64 s[0:1], s[38:39], -1
	s_branch .LBB629_505
.LBB629_504:
	s_mov_b64 s[0:1], -1
.LBB629_505:
	s_and_b64 s[0:1], s[0:1], exec
.LBB629_506:
	s_or_b64 exec, exec, s[34:35]
	s_orn2_b64 s[0:1], s[0:1], exec
.LBB629_507:
	s_or_b64 exec, exec, s[30:31]
	v_cndmask_b32_e64 v6, v19, v18, s[0:1]
	v_cndmask_b32_e64 v2, v10, v15, s[28:29]
	v_add_u32_e32 v10, 1, v6
	v_mov_b32_e32 v6, 0x3ff
	v_cndmask_b32_e64 v6, v6, v8, s[0:1]
	v_min_u32_e32 v6, v10, v6
	v_lshlrev_b32_e32 v6, 3, v6
	v_cndmask_b32_e64 v3, v9, v11, s[28:29]
	ds_read_b64 v[8:9], v6
	v_cndmask_b32_e64 v11, v10, v19, s[0:1]
	s_movk_i32 s2, 0x400
	v_cndmask_b32_e64 v1, v5, v1, s[26:27]
	v_cndmask_b32_e64 v0, v4, v0, s[26:27]
	;; [unrolled: 1-line block ×4, first 2 shown]
	s_waitcnt lgkmcnt(0)
	v_cndmask_b32_e64 v7, v20, v9, s[0:1]
	v_cndmask_b32_e64 v6, v21, v8, s[0:1]
	v_cmp_gt_u32_e32 vcc, s2, v11
	s_and_saveexec_b64 s[26:27], vcc
	s_cbranch_execz .LBB629_517
; %bb.508:
	v_cndmask_b32_e64 v10, v18, v10, s[0:1]
	v_cndmask_b32_e64 v9, v9, v16, s[0:1]
	v_cndmask_b32_e64 v8, v8, v17, s[0:1]
	v_cmp_lt_u32_e32 vcc, v10, v14
	s_and_saveexec_b64 s[28:29], vcc
	s_cbranch_execz .LBB629_516
; %bb.509:
	s_andn2_b64 vcc, exec, s[24:25]
	s_cbranch_vccnz .LBB629_515
; %bb.510:
	v_mul_lo_u32 v14, v9, s16
	v_mul_lo_u32 v15, v8, s17
	v_mad_u64_u32 v[10:11], s[0:1], v8, s16, 0
	v_add3_u32 v11, v11, v15, v14
	v_lshlrev_b64 v[10:11], 1, v[10:11]
	v_mov_b32_e32 v14, s19
	v_add_co_u32_e32 v10, vcc, s18, v10
	v_addc_co_u32_e32 v11, vcc, v14, v11, vcc
	v_mul_lo_u32 v16, v7, s16
	v_mul_lo_u32 v17, v6, s17
	v_mad_u64_u32 v[14:15], s[0:1], v6, s16, 0
	v_add3_u32 v15, v15, v17, v16
	v_lshlrev_b64 v[14:15], 1, v[14:15]
	v_mov_b32_e32 v16, s19
	v_add_co_u32_e32 v14, vcc, s18, v14
	v_addc_co_u32_e32 v15, vcc, v16, v15, vcc
	s_mov_b64 s[24:25], 0
	s_mov_b64 s[38:39], s[16:17]
                                        ; implicit-def: $sgpr30_sgpr31
                                        ; implicit-def: $sgpr34_sgpr35
                                        ; implicit-def: $sgpr0_sgpr1
                                        ; implicit-def: $sgpr36_sgpr37
                                        ; implicit-def: $sgpr40_sgpr41
	s_branch .LBB629_512
.LBB629_511:                            ;   in Loop: Header=BB629_512 Depth=1
	s_or_b64 exec, exec, s[42:43]
	s_and_b64 s[2:3], exec, s[34:35]
	s_or_b64 s[24:25], s[2:3], s[24:25]
	s_andn2_b64 s[2:3], s[40:41], exec
	s_and_b64 s[40:41], s[36:37], exec
	s_or_b64 s[40:41], s[2:3], s[40:41]
	s_andn2_b64 s[2:3], s[30:31], exec
	s_and_b64 s[30:31], s[0:1], exec
	s_or_b64 s[30:31], s[2:3], s[30:31]
	s_andn2_b64 exec, exec, s[24:25]
	s_cbranch_execz .LBB629_514
.LBB629_512:                            ; =>This Inner Loop Header: Depth=1
	global_load_ushort v16, v[10:11], off
	global_load_ushort v17, v[14:15], off
	s_andn2_b64 s[42:43], s[0:1], exec
	s_andn2_b64 s[36:37], s[36:37], exec
	s_or_b64 s[34:35], s[34:35], exec
	s_waitcnt vmcnt(0)
	v_cmp_le_i16_e64 s[0:1], v16, v17
	v_cmp_lt_i16_e32 vcc, v16, v17
	s_and_b64 s[0:1], s[0:1], s[40:41]
	s_or_b64 s[44:45], vcc, s[0:1]
	s_and_b64 s[0:1], s[44:45], exec
	v_cmp_eq_u16_e64 s[2:3], v16, v17
	s_or_b64 s[0:1], s[42:43], s[0:1]
	s_and_saveexec_b64 s[42:43], s[2:3]
	s_cbranch_execz .LBB629_511
; %bb.513:                              ;   in Loop: Header=BB629_512 Depth=1
	s_add_u32 s38, s38, -1
	s_addc_u32 s39, s39, -1
	v_add_co_u32_e32 v10, vcc, 2, v10
	s_cmp_eq_u64 s[38:39], 0
	v_addc_co_u32_e32 v11, vcc, 0, v11, vcc
	s_cselect_b64 s[2:3], -1, 0
	v_add_co_u32_e32 v14, vcc, 2, v14
	s_andn2_b64 s[36:37], s[36:37], exec
	s_and_b64 s[40:41], s[44:45], exec
	s_andn2_b64 s[34:35], s[34:35], exec
	s_and_b64 s[2:3], s[2:3], exec
	v_addc_co_u32_e32 v15, vcc, 0, v15, vcc
	s_or_b64 s[36:37], s[36:37], s[40:41]
	s_andn2_b64 s[0:1], s[0:1], exec
	s_or_b64 s[34:35], s[34:35], s[2:3]
                                        ; implicit-def: $sgpr40_sgpr41
	s_branch .LBB629_511
.LBB629_514:
	s_or_b64 exec, exec, s[24:25]
	v_cndmask_b32_e64 v7, v7, v9, s[30:31]
	v_cndmask_b32_e64 v6, v6, v8, s[30:31]
.LBB629_515:
	v_pk_mov_b32 v[8:9], v[6:7], v[6:7] op_sel:[0,1]
.LBB629_516:
	s_or_b64 exec, exec, s[28:29]
	v_pk_mov_b32 v[6:7], v[8:9], v[8:9] op_sel:[0,1]
.LBB629_517:
	s_or_b64 exec, exec, s[26:27]
.LBB629_518:
	s_or_b64 exec, exec, s[4:5]
	s_barrier
	s_barrier
	ds_write2_b64 v33, v[0:1], v[2:3] offset1:1
	ds_write2_b64 v33, v[4:5], v[6:7] offset0:2 offset1:3
	s_waitcnt lgkmcnt(0)
	s_barrier
	ds_read_b64 v[2:3], v32
	ds_read_b64 v[4:5], v34 offset:2048
	ds_read_b64 v[6:7], v35 offset:4096
	;; [unrolled: 1-line block ×3, first 2 shown]
	v_mov_b32_e32 v8, s21
	v_add_co_u32_e32 v9, vcc, s20, v26
	v_addc_co_u32_e32 v8, vcc, 0, v8, vcc
	s_waitcnt lgkmcnt(3)
	global_store_dwordx2 v26, v[2:3], s[20:21]
	s_waitcnt lgkmcnt(2)
	global_store_dwordx2 v26, v[4:5], s[20:21] offset:2048
	v_add_co_u32_e32 v2, vcc, 0x1000, v9
	v_addc_co_u32_e32 v3, vcc, 0, v8, vcc
	s_waitcnt lgkmcnt(1)
	global_store_dwordx2 v[2:3], v[6:7], off
	s_mov_b64 s[24:25], -1
	s_branch .LBB629_874
.LBB629_519:
	s_lshl_b64 s[0:1], s[14:15], 10
	s_sub_i32 s33, s22, s0
	v_cmp_gt_u32_e64 s[0:1], s33, v12
                                        ; implicit-def: $vgpr0_vgpr1_vgpr2_vgpr3_vgpr4_vgpr5_vgpr6_vgpr7
	s_and_saveexec_b64 s[2:3], s[0:1]
	s_cbranch_execz .LBB629_521
; %bb.520:
	s_waitcnt lgkmcnt(0)
	global_load_dwordx2 v[0:1], v26, s[8:9]
.LBB629_521:
	s_or_b64 exec, exec, s[2:3]
	v_add_u32_e32 v8, 0x100, v12
	v_cmp_gt_u32_e64 s[2:3], s33, v8
	s_and_saveexec_b64 s[4:5], s[2:3]
	s_cbranch_execz .LBB629_523
; %bb.522:
	global_load_dwordx2 v[2:3], v26, s[8:9] offset:2048
.LBB629_523:
	s_or_b64 exec, exec, s[4:5]
	v_add_u32_e32 v9, 0x200, v12
	v_cmp_gt_u32_e64 s[4:5], s33, v9
	s_and_saveexec_b64 s[14:15], s[4:5]
	s_cbranch_execz .LBB629_525
; %bb.524:
	v_lshlrev_b32_e32 v4, 3, v9
	global_load_dwordx2 v[4:5], v4, s[8:9]
.LBB629_525:
	s_or_b64 exec, exec, s[14:15]
	v_add_u32_e32 v10, 0x300, v12
	v_cmp_gt_u32_e64 s[24:25], s33, v10
	s_and_saveexec_b64 s[14:15], s[24:25]
	s_cbranch_execz .LBB629_527
; %bb.526:
	v_lshlrev_b32_e32 v6, 3, v10
	global_load_dwordx2 v[6:7], v6, s[8:9]
.LBB629_527:
	s_or_b64 exec, exec, s[14:15]
	v_and_b32_e32 v11, 0xf8, v31
	v_add_u32_e32 v14, v11, v26
	s_waitcnt vmcnt(0) lgkmcnt(0)
	ds_write_b64 v14, v[0:1]
	v_lshrrev_b32_e32 v0, 2, v8
	v_and_b32_e32 v0, 0x1f8, v0
	v_add_u32_e32 v13, v0, v26
	v_lshrrev_b32_e32 v0, 2, v9
	v_and_b32_e32 v0, 0x1f8, v0
	v_add_u32_e32 v15, v0, v26
	;; [unrolled: 3-line block ×3, first 2 shown]
	v_add_lshl_u32 v17, v30, v27, 3
	ds_write_b64 v13, v[2:3] offset:2048
	ds_write_b64 v15, v[4:5] offset:4096
	;; [unrolled: 1-line block ×3, first 2 shown]
	s_waitcnt lgkmcnt(0)
	s_barrier
	ds_read2_b64 v[0:3], v17 offset1:1
	ds_read2_b64 v[4:7], v17 offset0:2 offset1:3
	s_waitcnt lgkmcnt(0)
	s_barrier
	s_load_dword s7, s[10:11], 0xc
	v_mov_b32_e32 v8, 0
	v_cmp_gt_i64_e64 s[22:23], s[16:17], 0
	s_waitcnt lgkmcnt(0)
	s_lshr_b32 s8, s7, 16
	s_cmp_lt_u32 s6, s12
	s_cselect_b32 s6, 12, 18
	s_add_u32 s6, s10, s6
	s_addc_u32 s7, s11, 0
	global_load_ushort v8, v8, s[6:7]
	v_mad_u32_u24 v9, v29, s8, v28
	s_waitcnt vmcnt(0)
	v_mul_lo_u32 v8, v9, v8
	v_add_lshl_u32 v18, v8, v12, 2
	v_sub_u32_e64 v19, s33, v18 clamp
	v_cmp_lt_u32_e64 s[6:7], 1, v19
	s_and_saveexec_b64 s[12:13], s[6:7]
	s_cbranch_execz .LBB629_536
; %bb.528:
	s_andn2_b64 vcc, exec, s[22:23]
	s_cbranch_vccnz .LBB629_536
; %bb.529:
	v_mul_lo_u32 v10, v3, s16
	v_mul_lo_u32 v11, v2, s17
	v_mad_u64_u32 v[8:9], s[8:9], v2, s16, 0
	v_add3_u32 v9, v9, v11, v10
	v_lshlrev_b64 v[8:9], 1, v[8:9]
	v_mov_b32_e32 v10, s19
	v_add_co_u32_e32 v8, vcc, s18, v8
	v_addc_co_u32_e32 v9, vcc, v10, v9, vcc
	v_mul_lo_u32 v20, v1, s16
	v_mul_lo_u32 v21, v0, s17
	v_mad_u64_u32 v[10:11], s[8:9], v0, s16, 0
	v_add3_u32 v11, v11, v21, v20
	v_lshlrev_b64 v[10:11], 1, v[10:11]
	v_mov_b32_e32 v20, s19
	v_add_co_u32_e32 v10, vcc, s18, v10
	v_addc_co_u32_e32 v11, vcc, v20, v11, vcc
	s_mov_b64 s[26:27], 0
	s_mov_b64 s[38:39], s[16:17]
                                        ; implicit-def: $sgpr14_sgpr15
                                        ; implicit-def: $sgpr28_sgpr29
                                        ; implicit-def: $sgpr34_sgpr35
                                        ; implicit-def: $sgpr30_sgpr31
                                        ; implicit-def: $sgpr36_sgpr37
                                        ; implicit-def: $sgpr40_sgpr41
	s_branch .LBB629_531
.LBB629_530:                            ;   in Loop: Header=BB629_531 Depth=1
	s_or_b64 exec, exec, s[42:43]
	s_and_b64 s[10:11], exec, s[34:35]
	s_or_b64 s[26:27], s[10:11], s[26:27]
	s_andn2_b64 s[10:11], s[40:41], exec
	s_and_b64 s[40:41], s[36:37], exec
	s_or_b64 s[40:41], s[10:11], s[40:41]
	s_andn2_b64 s[10:11], s[28:29], exec
	s_and_b64 s[28:29], s[30:31], exec
	s_or_b64 s[28:29], s[10:11], s[28:29]
	s_andn2_b64 s[10:11], s[14:15], exec
	s_and_b64 s[8:9], s[8:9], exec
	s_or_b64 s[14:15], s[10:11], s[8:9]
	s_andn2_b64 exec, exec, s[26:27]
	s_cbranch_execz .LBB629_533
.LBB629_531:                            ; =>This Inner Loop Header: Depth=1
	global_load_ushort v20, v[8:9], off
	global_load_ushort v21, v[10:11], off
	s_andn2_b64 s[36:37], s[36:37], exec
	s_or_b64 s[30:31], s[30:31], exec
	s_or_b64 s[34:35], s[34:35], exec
	s_waitcnt vmcnt(0)
	v_cmp_le_i16_e64 s[8:9], v20, v21
	v_cmp_lt_i16_e32 vcc, v20, v21
	s_and_b64 s[8:9], s[8:9], s[40:41]
	v_cmp_eq_u16_e64 s[10:11], v20, v21
	s_or_b64 s[8:9], vcc, s[8:9]
	s_and_saveexec_b64 s[42:43], s[10:11]
	s_cbranch_execz .LBB629_530
; %bb.532:                              ;   in Loop: Header=BB629_531 Depth=1
	s_add_u32 s38, s38, -1
	s_addc_u32 s39, s39, -1
	v_add_co_u32_e32 v8, vcc, 2, v8
	s_cmp_eq_u64 s[38:39], 0
	v_addc_co_u32_e32 v9, vcc, 0, v9, vcc
	s_cselect_b64 s[10:11], -1, 0
	v_add_co_u32_e32 v10, vcc, 2, v10
	s_andn2_b64 s[36:37], s[36:37], exec
	s_and_b64 s[40:41], s[8:9], exec
	s_andn2_b64 s[34:35], s[34:35], exec
	s_and_b64 s[10:11], s[10:11], exec
	v_addc_co_u32_e32 v11, vcc, 0, v11, vcc
	s_or_b64 s[36:37], s[36:37], s[40:41]
	s_andn2_b64 s[30:31], s[30:31], exec
	s_or_b64 s[34:35], s[34:35], s[10:11]
                                        ; implicit-def: $sgpr40_sgpr41
	s_branch .LBB629_530
.LBB629_533:
	s_or_b64 exec, exec, s[26:27]
	s_and_saveexec_b64 s[8:9], s[28:29]
	s_xor_b64 s[8:9], exec, s[8:9]
	s_cbranch_execz .LBB629_535
; %bb.534:
	v_cndmask_b32_e64 v29, v1, v3, s[14:15]
	v_cndmask_b32_e64 v28, v0, v2, s[14:15]
	;; [unrolled: 1-line block ×4, first 2 shown]
	v_mov_b32_e32 v32, v4
	v_mov_b32_e32 v33, v5
	;; [unrolled: 1-line block ×4, first 2 shown]
	v_pk_mov_b32 v[0:1], v[28:29], v[28:29] op_sel:[0,1]
	v_pk_mov_b32 v[2:3], v[30:31], v[30:31] op_sel:[0,1]
	;; [unrolled: 1-line block ×4, first 2 shown]
.LBB629_535:
	s_or_b64 exec, exec, s[8:9]
.LBB629_536:
	s_or_b64 exec, exec, s[12:13]
	v_cmp_lt_u32_e64 s[8:9], 3, v19
	s_and_saveexec_b64 s[14:15], s[8:9]
	s_cbranch_execz .LBB629_545
; %bb.537:
	s_andn2_b64 vcc, exec, s[22:23]
	s_cbranch_vccnz .LBB629_545
; %bb.538:
	v_mul_lo_u32 v10, v7, s16
	v_mul_lo_u32 v11, v6, s17
	v_mad_u64_u32 v[8:9], s[10:11], v6, s16, 0
	v_add3_u32 v9, v9, v11, v10
	v_lshlrev_b64 v[8:9], 1, v[8:9]
	v_mov_b32_e32 v10, s19
	v_add_co_u32_e32 v8, vcc, s18, v8
	v_addc_co_u32_e32 v9, vcc, v10, v9, vcc
	v_mul_lo_u32 v20, v5, s16
	v_mul_lo_u32 v21, v4, s17
	v_mad_u64_u32 v[10:11], s[10:11], v4, s16, 0
	v_add3_u32 v11, v11, v21, v20
	v_lshlrev_b64 v[10:11], 1, v[10:11]
	v_mov_b32_e32 v20, s19
	v_add_co_u32_e32 v10, vcc, s18, v10
	v_addc_co_u32_e32 v11, vcc, v20, v11, vcc
	s_mov_b64 s[28:29], 0
	s_mov_b64 s[40:41], s[16:17]
                                        ; implicit-def: $sgpr26_sgpr27
                                        ; implicit-def: $sgpr30_sgpr31
                                        ; implicit-def: $sgpr36_sgpr37
                                        ; implicit-def: $sgpr34_sgpr35
                                        ; implicit-def: $sgpr38_sgpr39
                                        ; implicit-def: $sgpr42_sgpr43
	s_branch .LBB629_540
.LBB629_539:                            ;   in Loop: Header=BB629_540 Depth=1
	s_or_b64 exec, exec, s[44:45]
	s_and_b64 s[12:13], exec, s[36:37]
	s_or_b64 s[28:29], s[12:13], s[28:29]
	s_andn2_b64 s[12:13], s[42:43], exec
	s_and_b64 s[42:43], s[38:39], exec
	s_or_b64 s[42:43], s[12:13], s[42:43]
	s_andn2_b64 s[12:13], s[30:31], exec
	s_and_b64 s[30:31], s[34:35], exec
	;; [unrolled: 3-line block ×3, first 2 shown]
	s_or_b64 s[26:27], s[12:13], s[10:11]
	s_andn2_b64 exec, exec, s[28:29]
	s_cbranch_execz .LBB629_542
.LBB629_540:                            ; =>This Inner Loop Header: Depth=1
	global_load_ushort v20, v[8:9], off
	global_load_ushort v21, v[10:11], off
	s_andn2_b64 s[38:39], s[38:39], exec
	s_or_b64 s[34:35], s[34:35], exec
	s_or_b64 s[36:37], s[36:37], exec
	s_waitcnt vmcnt(0)
	v_cmp_le_i16_e64 s[10:11], v20, v21
	v_cmp_lt_i16_e32 vcc, v20, v21
	s_and_b64 s[10:11], s[10:11], s[42:43]
	v_cmp_eq_u16_e64 s[12:13], v20, v21
	s_or_b64 s[10:11], vcc, s[10:11]
	s_and_saveexec_b64 s[44:45], s[12:13]
	s_cbranch_execz .LBB629_539
; %bb.541:                              ;   in Loop: Header=BB629_540 Depth=1
	s_add_u32 s40, s40, -1
	s_addc_u32 s41, s41, -1
	v_add_co_u32_e32 v8, vcc, 2, v8
	s_cmp_eq_u64 s[40:41], 0
	v_addc_co_u32_e32 v9, vcc, 0, v9, vcc
	s_cselect_b64 s[12:13], -1, 0
	v_add_co_u32_e32 v10, vcc, 2, v10
	s_andn2_b64 s[38:39], s[38:39], exec
	s_and_b64 s[42:43], s[10:11], exec
	s_andn2_b64 s[36:37], s[36:37], exec
	s_and_b64 s[12:13], s[12:13], exec
	v_addc_co_u32_e32 v11, vcc, 0, v11, vcc
	s_or_b64 s[38:39], s[38:39], s[42:43]
	s_andn2_b64 s[34:35], s[34:35], exec
	s_or_b64 s[36:37], s[36:37], s[12:13]
                                        ; implicit-def: $sgpr42_sgpr43
	s_branch .LBB629_539
.LBB629_542:
	s_or_b64 exec, exec, s[28:29]
	s_and_saveexec_b64 s[10:11], s[30:31]
	s_xor_b64 s[10:11], exec, s[10:11]
; %bb.543:
	v_cndmask_b32_e64 v8, v7, v5, s[26:27]
	v_cndmask_b32_e64 v9, v6, v4, s[26:27]
	;; [unrolled: 1-line block ×4, first 2 shown]
	v_mov_b32_e32 v6, v9
	v_mov_b32_e32 v7, v8
; %bb.544:
	s_or_b64 exec, exec, s[10:11]
.LBB629_545:
	s_or_b64 exec, exec, s[14:15]
	v_cmp_lt_u32_e64 s[10:11], 2, v19
	s_and_saveexec_b64 s[12:13], s[10:11]
	s_xor_b64 s[26:27], exec, s[12:13]
	s_cbranch_execz .LBB629_554
; %bb.546:
	s_andn2_b64 vcc, exec, s[22:23]
	s_cbranch_vccnz .LBB629_554
; %bb.547:
	v_mul_lo_u32 v10, v5, s16
	v_mul_lo_u32 v11, v4, s17
	v_mad_u64_u32 v[8:9], s[12:13], v4, s16, 0
	v_add3_u32 v9, v9, v11, v10
	v_lshlrev_b64 v[8:9], 1, v[8:9]
	v_mov_b32_e32 v10, s19
	v_add_co_u32_e32 v8, vcc, s18, v8
	v_addc_co_u32_e32 v9, vcc, v10, v9, vcc
	v_mul_lo_u32 v19, v3, s16
	v_mul_lo_u32 v20, v2, s17
	v_mad_u64_u32 v[10:11], s[12:13], v2, s16, 0
	v_add3_u32 v11, v11, v20, v19
	v_lshlrev_b64 v[10:11], 1, v[10:11]
	v_mov_b32_e32 v19, s19
	v_add_co_u32_e32 v10, vcc, s18, v10
	v_addc_co_u32_e32 v11, vcc, v19, v11, vcc
	s_mov_b64 s[30:31], 0
	s_mov_b64 s[42:43], s[16:17]
                                        ; implicit-def: $sgpr28_sgpr29
                                        ; implicit-def: $sgpr34_sgpr35
                                        ; implicit-def: $sgpr38_sgpr39
                                        ; implicit-def: $sgpr36_sgpr37
                                        ; implicit-def: $sgpr40_sgpr41
                                        ; implicit-def: $sgpr44_sgpr45
	s_branch .LBB629_549
.LBB629_548:                            ;   in Loop: Header=BB629_549 Depth=1
	s_or_b64 exec, exec, s[46:47]
	s_and_b64 s[14:15], exec, s[38:39]
	s_or_b64 s[30:31], s[14:15], s[30:31]
	s_andn2_b64 s[14:15], s[44:45], exec
	s_and_b64 s[44:45], s[40:41], exec
	s_or_b64 s[44:45], s[14:15], s[44:45]
	s_andn2_b64 s[14:15], s[34:35], exec
	s_and_b64 s[34:35], s[36:37], exec
	;; [unrolled: 3-line block ×3, first 2 shown]
	s_or_b64 s[28:29], s[14:15], s[12:13]
	s_andn2_b64 exec, exec, s[30:31]
	s_cbranch_execz .LBB629_551
.LBB629_549:                            ; =>This Inner Loop Header: Depth=1
	global_load_ushort v19, v[8:9], off
	global_load_ushort v20, v[10:11], off
	s_andn2_b64 s[40:41], s[40:41], exec
	s_or_b64 s[36:37], s[36:37], exec
	s_or_b64 s[38:39], s[38:39], exec
	s_waitcnt vmcnt(0)
	v_cmp_le_i16_e64 s[12:13], v19, v20
	v_cmp_lt_i16_e32 vcc, v19, v20
	s_and_b64 s[12:13], s[12:13], s[44:45]
	v_cmp_eq_u16_e64 s[14:15], v19, v20
	s_or_b64 s[12:13], vcc, s[12:13]
	s_and_saveexec_b64 s[46:47], s[14:15]
	s_cbranch_execz .LBB629_548
; %bb.550:                              ;   in Loop: Header=BB629_549 Depth=1
	s_add_u32 s42, s42, -1
	s_addc_u32 s43, s43, -1
	v_add_co_u32_e32 v8, vcc, 2, v8
	s_cmp_eq_u64 s[42:43], 0
	v_addc_co_u32_e32 v9, vcc, 0, v9, vcc
	s_cselect_b64 s[14:15], -1, 0
	v_add_co_u32_e32 v10, vcc, 2, v10
	s_andn2_b64 s[40:41], s[40:41], exec
	s_and_b64 s[44:45], s[12:13], exec
	s_andn2_b64 s[38:39], s[38:39], exec
	s_and_b64 s[14:15], s[14:15], exec
	v_addc_co_u32_e32 v11, vcc, 0, v11, vcc
	s_or_b64 s[40:41], s[40:41], s[44:45]
	s_andn2_b64 s[36:37], s[36:37], exec
	s_or_b64 s[38:39], s[38:39], s[14:15]
                                        ; implicit-def: $sgpr44_sgpr45
	s_branch .LBB629_548
.LBB629_551:
	s_or_b64 exec, exec, s[30:31]
	s_and_saveexec_b64 s[12:13], s[34:35]
	s_xor_b64 s[12:13], exec, s[12:13]
; %bb.552:
	v_cndmask_b32_e64 v8, v5, v3, s[28:29]
	v_cndmask_b32_e64 v9, v4, v2, s[28:29]
	;; [unrolled: 1-line block ×4, first 2 shown]
	v_mov_b32_e32 v4, v9
	v_mov_b32_e32 v5, v8
; %bb.553:
	s_or_b64 exec, exec, s[12:13]
.LBB629_554:
	s_or_b64 exec, exec, s[26:27]
	s_and_saveexec_b64 s[14:15], s[6:7]
	s_cbranch_execz .LBB629_563
; %bb.555:
	s_andn2_b64 vcc, exec, s[22:23]
	s_cbranch_vccnz .LBB629_563
; %bb.556:
	v_mul_lo_u32 v10, v3, s16
	v_mul_lo_u32 v11, v2, s17
	v_mad_u64_u32 v[8:9], s[6:7], v2, s16, 0
	v_add3_u32 v9, v9, v11, v10
	v_lshlrev_b64 v[8:9], 1, v[8:9]
	v_mov_b32_e32 v10, s19
	v_add_co_u32_e32 v8, vcc, s18, v8
	v_addc_co_u32_e32 v9, vcc, v10, v9, vcc
	v_mul_lo_u32 v19, v1, s16
	v_mul_lo_u32 v20, v0, s17
	v_mad_u64_u32 v[10:11], s[6:7], v0, s16, 0
	v_add3_u32 v11, v11, v20, v19
	v_lshlrev_b64 v[10:11], 1, v[10:11]
	v_mov_b32_e32 v19, s19
	v_add_co_u32_e32 v10, vcc, s18, v10
	v_addc_co_u32_e32 v11, vcc, v19, v11, vcc
	s_mov_b64 s[28:29], 0
	s_mov_b64 s[40:41], s[16:17]
                                        ; implicit-def: $sgpr26_sgpr27
                                        ; implicit-def: $sgpr30_sgpr31
                                        ; implicit-def: $sgpr36_sgpr37
                                        ; implicit-def: $sgpr34_sgpr35
                                        ; implicit-def: $sgpr38_sgpr39
                                        ; implicit-def: $sgpr42_sgpr43
	s_branch .LBB629_558
.LBB629_557:                            ;   in Loop: Header=BB629_558 Depth=1
	s_or_b64 exec, exec, s[44:45]
	s_and_b64 s[12:13], exec, s[36:37]
	s_or_b64 s[28:29], s[12:13], s[28:29]
	s_andn2_b64 s[12:13], s[42:43], exec
	s_and_b64 s[42:43], s[38:39], exec
	s_or_b64 s[42:43], s[12:13], s[42:43]
	s_andn2_b64 s[12:13], s[30:31], exec
	s_and_b64 s[30:31], s[34:35], exec
	;; [unrolled: 3-line block ×3, first 2 shown]
	s_or_b64 s[26:27], s[12:13], s[6:7]
	s_andn2_b64 exec, exec, s[28:29]
	s_cbranch_execz .LBB629_560
.LBB629_558:                            ; =>This Inner Loop Header: Depth=1
	global_load_ushort v19, v[8:9], off
	global_load_ushort v20, v[10:11], off
	s_andn2_b64 s[38:39], s[38:39], exec
	s_or_b64 s[34:35], s[34:35], exec
	s_or_b64 s[36:37], s[36:37], exec
	s_waitcnt vmcnt(0)
	v_cmp_le_i16_e64 s[6:7], v19, v20
	v_cmp_lt_i16_e32 vcc, v19, v20
	s_and_b64 s[6:7], s[6:7], s[42:43]
	v_cmp_eq_u16_e64 s[12:13], v19, v20
	s_or_b64 s[6:7], vcc, s[6:7]
	s_and_saveexec_b64 s[44:45], s[12:13]
	s_cbranch_execz .LBB629_557
; %bb.559:                              ;   in Loop: Header=BB629_558 Depth=1
	s_add_u32 s40, s40, -1
	s_addc_u32 s41, s41, -1
	v_add_co_u32_e32 v8, vcc, 2, v8
	s_cmp_eq_u64 s[40:41], 0
	v_addc_co_u32_e32 v9, vcc, 0, v9, vcc
	s_cselect_b64 s[12:13], -1, 0
	v_add_co_u32_e32 v10, vcc, 2, v10
	s_andn2_b64 s[38:39], s[38:39], exec
	s_and_b64 s[42:43], s[6:7], exec
	s_andn2_b64 s[36:37], s[36:37], exec
	s_and_b64 s[12:13], s[12:13], exec
	v_addc_co_u32_e32 v11, vcc, 0, v11, vcc
	s_or_b64 s[38:39], s[38:39], s[42:43]
	s_andn2_b64 s[34:35], s[34:35], exec
	s_or_b64 s[36:37], s[36:37], s[12:13]
                                        ; implicit-def: $sgpr42_sgpr43
	s_branch .LBB629_557
.LBB629_560:
	s_or_b64 exec, exec, s[28:29]
	s_and_saveexec_b64 s[6:7], s[30:31]
	s_xor_b64 s[6:7], exec, s[6:7]
	s_cbranch_execz .LBB629_562
; %bb.561:
	v_cndmask_b32_e64 v29, v1, v3, s[26:27]
	v_cndmask_b32_e64 v28, v0, v2, s[26:27]
	;; [unrolled: 1-line block ×4, first 2 shown]
	v_mov_b32_e32 v32, v4
	v_mov_b32_e32 v33, v5
	;; [unrolled: 1-line block ×4, first 2 shown]
	v_pk_mov_b32 v[0:1], v[28:29], v[28:29] op_sel:[0,1]
	v_pk_mov_b32 v[2:3], v[30:31], v[30:31] op_sel:[0,1]
	;; [unrolled: 1-line block ×4, first 2 shown]
.LBB629_562:
	s_or_b64 exec, exec, s[6:7]
.LBB629_563:
	s_or_b64 exec, exec, s[14:15]
	s_and_saveexec_b64 s[12:13], s[8:9]
	s_cbranch_execz .LBB629_572
; %bb.564:
	s_andn2_b64 vcc, exec, s[22:23]
	s_cbranch_vccnz .LBB629_572
; %bb.565:
	v_mul_lo_u32 v10, v7, s16
	v_mul_lo_u32 v11, v6, s17
	v_mad_u64_u32 v[8:9], s[6:7], v6, s16, 0
	v_add3_u32 v9, v9, v11, v10
	v_lshlrev_b64 v[8:9], 1, v[8:9]
	v_mov_b32_e32 v10, s19
	v_add_co_u32_e32 v8, vcc, s18, v8
	v_addc_co_u32_e32 v9, vcc, v10, v9, vcc
	v_mul_lo_u32 v19, v5, s16
	v_mul_lo_u32 v20, v4, s17
	v_mad_u64_u32 v[10:11], s[6:7], v4, s16, 0
	v_add3_u32 v11, v11, v20, v19
	v_lshlrev_b64 v[10:11], 1, v[10:11]
	v_mov_b32_e32 v19, s19
	v_add_co_u32_e32 v10, vcc, s18, v10
	v_addc_co_u32_e32 v11, vcc, v19, v11, vcc
	s_mov_b64 s[26:27], 0
	s_mov_b64 s[38:39], s[16:17]
                                        ; implicit-def: $sgpr14_sgpr15
                                        ; implicit-def: $sgpr28_sgpr29
                                        ; implicit-def: $sgpr34_sgpr35
                                        ; implicit-def: $sgpr30_sgpr31
                                        ; implicit-def: $sgpr36_sgpr37
                                        ; implicit-def: $sgpr40_sgpr41
	s_branch .LBB629_567
.LBB629_566:                            ;   in Loop: Header=BB629_567 Depth=1
	s_or_b64 exec, exec, s[42:43]
	s_and_b64 s[8:9], exec, s[34:35]
	s_or_b64 s[26:27], s[8:9], s[26:27]
	s_andn2_b64 s[8:9], s[40:41], exec
	s_and_b64 s[40:41], s[36:37], exec
	s_or_b64 s[40:41], s[8:9], s[40:41]
	s_andn2_b64 s[8:9], s[28:29], exec
	s_and_b64 s[28:29], s[30:31], exec
	;; [unrolled: 3-line block ×3, first 2 shown]
	s_or_b64 s[14:15], s[8:9], s[6:7]
	s_andn2_b64 exec, exec, s[26:27]
	s_cbranch_execz .LBB629_569
.LBB629_567:                            ; =>This Inner Loop Header: Depth=1
	global_load_ushort v19, v[8:9], off
	global_load_ushort v20, v[10:11], off
	s_andn2_b64 s[36:37], s[36:37], exec
	s_or_b64 s[30:31], s[30:31], exec
	s_or_b64 s[34:35], s[34:35], exec
	s_waitcnt vmcnt(0)
	v_cmp_le_i16_e64 s[6:7], v19, v20
	v_cmp_lt_i16_e32 vcc, v19, v20
	s_and_b64 s[6:7], s[6:7], s[40:41]
	v_cmp_eq_u16_e64 s[8:9], v19, v20
	s_or_b64 s[6:7], vcc, s[6:7]
	s_and_saveexec_b64 s[42:43], s[8:9]
	s_cbranch_execz .LBB629_566
; %bb.568:                              ;   in Loop: Header=BB629_567 Depth=1
	s_add_u32 s38, s38, -1
	s_addc_u32 s39, s39, -1
	v_add_co_u32_e32 v8, vcc, 2, v8
	s_cmp_eq_u64 s[38:39], 0
	v_addc_co_u32_e32 v9, vcc, 0, v9, vcc
	s_cselect_b64 s[8:9], -1, 0
	v_add_co_u32_e32 v10, vcc, 2, v10
	s_andn2_b64 s[36:37], s[36:37], exec
	s_and_b64 s[40:41], s[6:7], exec
	s_andn2_b64 s[34:35], s[34:35], exec
	s_and_b64 s[8:9], s[8:9], exec
	v_addc_co_u32_e32 v11, vcc, 0, v11, vcc
	s_or_b64 s[36:37], s[36:37], s[40:41]
	s_andn2_b64 s[30:31], s[30:31], exec
	s_or_b64 s[34:35], s[34:35], s[8:9]
                                        ; implicit-def: $sgpr40_sgpr41
	s_branch .LBB629_566
.LBB629_569:
	s_or_b64 exec, exec, s[26:27]
	s_and_saveexec_b64 s[6:7], s[28:29]
	s_xor_b64 s[6:7], exec, s[6:7]
; %bb.570:
	v_cndmask_b32_e64 v8, v7, v5, s[14:15]
	v_cndmask_b32_e64 v9, v6, v4, s[14:15]
	;; [unrolled: 1-line block ×4, first 2 shown]
	v_mov_b32_e32 v6, v9
	v_mov_b32_e32 v7, v8
; %bb.571:
	s_or_b64 exec, exec, s[6:7]
.LBB629_572:
	s_or_b64 exec, exec, s[12:13]
	s_and_saveexec_b64 s[12:13], s[10:11]
	s_cbranch_execz .LBB629_581
; %bb.573:
	s_andn2_b64 vcc, exec, s[22:23]
	s_cbranch_vccnz .LBB629_581
; %bb.574:
	v_mul_lo_u32 v10, v5, s16
	v_mul_lo_u32 v11, v4, s17
	v_mad_u64_u32 v[8:9], s[6:7], v4, s16, 0
	v_add3_u32 v9, v9, v11, v10
	v_lshlrev_b64 v[8:9], 1, v[8:9]
	v_mov_b32_e32 v10, s19
	v_add_co_u32_e32 v8, vcc, s18, v8
	v_addc_co_u32_e32 v9, vcc, v10, v9, vcc
	v_mul_lo_u32 v19, v3, s16
	v_mul_lo_u32 v20, v2, s17
	v_mad_u64_u32 v[10:11], s[6:7], v2, s16, 0
	v_add3_u32 v11, v11, v20, v19
	v_lshlrev_b64 v[10:11], 1, v[10:11]
	v_mov_b32_e32 v19, s19
	v_add_co_u32_e32 v10, vcc, s18, v10
	v_addc_co_u32_e32 v11, vcc, v19, v11, vcc
	s_mov_b64 s[14:15], 0
	s_mov_b64 s[36:37], s[16:17]
                                        ; implicit-def: $sgpr10_sgpr11
                                        ; implicit-def: $sgpr26_sgpr27
                                        ; implicit-def: $sgpr30_sgpr31
                                        ; implicit-def: $sgpr28_sgpr29
                                        ; implicit-def: $sgpr34_sgpr35
                                        ; implicit-def: $sgpr38_sgpr39
	s_branch .LBB629_576
.LBB629_575:                            ;   in Loop: Header=BB629_576 Depth=1
	s_or_b64 exec, exec, s[40:41]
	s_and_b64 s[8:9], exec, s[30:31]
	s_or_b64 s[14:15], s[8:9], s[14:15]
	s_andn2_b64 s[8:9], s[38:39], exec
	s_and_b64 s[38:39], s[34:35], exec
	s_or_b64 s[38:39], s[8:9], s[38:39]
	s_andn2_b64 s[8:9], s[26:27], exec
	s_and_b64 s[26:27], s[28:29], exec
	;; [unrolled: 3-line block ×3, first 2 shown]
	s_or_b64 s[10:11], s[8:9], s[6:7]
	s_andn2_b64 exec, exec, s[14:15]
	s_cbranch_execz .LBB629_578
.LBB629_576:                            ; =>This Inner Loop Header: Depth=1
	global_load_ushort v19, v[8:9], off
	global_load_ushort v20, v[10:11], off
	s_andn2_b64 s[34:35], s[34:35], exec
	s_or_b64 s[28:29], s[28:29], exec
	s_or_b64 s[30:31], s[30:31], exec
	s_waitcnt vmcnt(0)
	v_cmp_le_i16_e64 s[6:7], v19, v20
	v_cmp_lt_i16_e32 vcc, v19, v20
	s_and_b64 s[6:7], s[6:7], s[38:39]
	v_cmp_eq_u16_e64 s[8:9], v19, v20
	s_or_b64 s[6:7], vcc, s[6:7]
	s_and_saveexec_b64 s[40:41], s[8:9]
	s_cbranch_execz .LBB629_575
; %bb.577:                              ;   in Loop: Header=BB629_576 Depth=1
	s_add_u32 s36, s36, -1
	s_addc_u32 s37, s37, -1
	v_add_co_u32_e32 v8, vcc, 2, v8
	s_cmp_eq_u64 s[36:37], 0
	v_addc_co_u32_e32 v9, vcc, 0, v9, vcc
	s_cselect_b64 s[8:9], -1, 0
	v_add_co_u32_e32 v10, vcc, 2, v10
	s_andn2_b64 s[34:35], s[34:35], exec
	s_and_b64 s[38:39], s[6:7], exec
	s_andn2_b64 s[30:31], s[30:31], exec
	s_and_b64 s[8:9], s[8:9], exec
	v_addc_co_u32_e32 v11, vcc, 0, v11, vcc
	s_or_b64 s[34:35], s[34:35], s[38:39]
	s_andn2_b64 s[28:29], s[28:29], exec
	s_or_b64 s[30:31], s[30:31], s[8:9]
                                        ; implicit-def: $sgpr38_sgpr39
	s_branch .LBB629_575
.LBB629_578:
	s_or_b64 exec, exec, s[14:15]
	s_and_saveexec_b64 s[6:7], s[26:27]
	s_xor_b64 s[6:7], exec, s[6:7]
; %bb.579:
	v_cndmask_b32_e64 v8, v5, v3, s[10:11]
	v_cndmask_b32_e64 v9, v4, v2, s[10:11]
	;; [unrolled: 1-line block ×4, first 2 shown]
	v_mov_b32_e32 v4, v9
	v_mov_b32_e32 v5, v8
; %bb.580:
	s_or_b64 exec, exec, s[6:7]
.LBB629_581:
	s_or_b64 exec, exec, s[12:13]
	v_mbcnt_lo_u32_b32 v8, -1, 0
	v_mbcnt_hi_u32_b32 v8, -1, v8
	v_and_b32_e32 v9, 0xffffff00, v18
	v_lshlrev_b32_e32 v18, 3, v9
	v_lshlrev_b32_e32 v20, 2, v8
	v_sub_u32_e64 v19, s33, v9 clamp
	v_lshl_add_u32 v21, v8, 5, v18
	v_or_b32_e32 v8, 4, v20
	v_min_u32_e32 v22, v19, v8
	v_add_u32_e32 v8, 4, v22
	v_and_b32_e32 v28, 0x1f8, v20
	v_min_u32_e32 v23, v19, v8
	v_and_b32_e32 v8, 4, v20
	v_min_u32_e32 v29, v19, v8
	v_sub_u32_e32 v8, v22, v28
	v_sub_u32_e32 v9, v23, v22
	v_sub_u32_e64 v25, v29, v9 clamp
	v_min_u32_e32 v30, v29, v8
	v_lshl_add_u32 v24, v28, 3, v18
	v_cmp_lt_u32_e32 vcc, v25, v30
	ds_write_b128 v21, v[0:3]
	ds_write_b128 v21, v[4:7] offset:16
	; wave barrier
	s_and_saveexec_b64 s[12:13], vcc
	s_cbranch_execz .LBB629_591
; %bb.582:
	v_lshlrev_b32_e32 v8, 3, v22
	v_lshlrev_b32_e32 v9, 3, v29
	v_add3_u32 v31, v18, v8, v9
	v_cndmask_b32_e64 v8, 0, 1, s[22:23]
	s_lshl_b64 s[26:27], s[16:17], 1
	s_mov_b64 s[14:15], 0
	v_cmp_ne_u32_e64 s[6:7], 1, v8
	s_branch .LBB629_585
.LBB629_583:                            ;   in Loop: Header=BB629_585 Depth=1
	s_or_b64 exec, exec, s[30:31]
.LBB629_584:                            ;   in Loop: Header=BB629_585 Depth=1
	v_add_u32_e32 v8, 1, v32
	v_cndmask_b32_e64 v30, v30, v32, s[28:29]
	v_cndmask_b32_e64 v25, v8, v25, s[28:29]
	v_cmp_ge_u32_e32 vcc, v25, v30
	s_or_b64 s[14:15], vcc, s[14:15]
	s_andn2_b64 exec, exec, s[14:15]
	s_cbranch_execz .LBB629_590
.LBB629_585:                            ; =>This Loop Header: Depth=1
                                        ;     Child Loop BB629_588 Depth 2
	v_add_u32_e32 v8, v30, v25
	v_lshrrev_b32_e32 v32, 1, v8
	s_and_b64 vcc, exec, s[6:7]
	s_mov_b64 s[28:29], 0
	s_cbranch_vccnz .LBB629_584
; %bb.586:                              ;   in Loop: Header=BB629_585 Depth=1
	v_not_b32_e32 v8, v32
	v_lshl_add_u32 v8, v8, 3, v31
	ds_read_b64 v[8:9], v8
	v_lshl_add_u32 v33, v32, 3, v24
	ds_read_b64 v[34:35], v33
	v_pk_mov_b32 v[10:11], s[18:19], s[18:19] op_sel:[0,1]
	s_mov_b64 s[30:31], 0
	s_waitcnt lgkmcnt(1)
	v_mul_lo_u32 v33, s26, v9
	v_mul_lo_u32 v36, s27, v8
	v_mad_u64_u32 v[8:9], s[8:9], s26, v8, v[10:11]
	v_add3_u32 v9, v36, v9, v33
	s_waitcnt lgkmcnt(0)
	v_mul_lo_u32 v33, s26, v35
	v_mul_lo_u32 v35, s27, v34
	v_mad_u64_u32 v[10:11], s[8:9], s26, v34, v[10:11]
	v_add3_u32 v11, v35, v11, v33
	s_mov_b64 s[38:39], s[16:17]
                                        ; implicit-def: $sgpr28_sgpr29
                                        ; implicit-def: $sgpr34_sgpr35
                                        ; implicit-def: $sgpr36_sgpr37
                                        ; implicit-def: $sgpr8_sgpr9
                                        ; implicit-def: $sgpr40_sgpr41
	s_branch .LBB629_588
.LBB629_587:                            ;   in Loop: Header=BB629_588 Depth=2
	s_or_b64 exec, exec, s[42:43]
	s_and_b64 s[10:11], exec, s[34:35]
	s_or_b64 s[30:31], s[10:11], s[30:31]
	s_andn2_b64 s[10:11], s[40:41], exec
	s_and_b64 s[40:41], s[36:37], exec
	s_or_b64 s[40:41], s[10:11], s[40:41]
	s_andn2_b64 s[10:11], s[28:29], exec
	s_and_b64 s[28:29], s[8:9], exec
	s_or_b64 s[28:29], s[10:11], s[28:29]
	s_andn2_b64 exec, exec, s[30:31]
	s_cbranch_execz .LBB629_583
.LBB629_588:                            ;   Parent Loop BB629_585 Depth=1
                                        ; =>  This Inner Loop Header: Depth=2
	global_load_ushort v33, v[8:9], off
	global_load_ushort v34, v[10:11], off
	s_andn2_b64 s[42:43], s[8:9], exec
	s_andn2_b64 s[36:37], s[36:37], exec
	s_or_b64 s[34:35], s[34:35], exec
	s_waitcnt vmcnt(0)
	v_cmp_le_i16_e64 s[8:9], v33, v34
	v_cmp_lt_i16_e32 vcc, v33, v34
	s_and_b64 s[8:9], s[8:9], s[40:41]
	s_or_b64 s[44:45], vcc, s[8:9]
	s_and_b64 s[8:9], s[44:45], exec
	v_cmp_eq_u16_e64 s[10:11], v33, v34
	s_or_b64 s[8:9], s[42:43], s[8:9]
	s_and_saveexec_b64 s[42:43], s[10:11]
	s_cbranch_execz .LBB629_587
; %bb.589:                              ;   in Loop: Header=BB629_588 Depth=2
	s_add_u32 s38, s38, -1
	s_addc_u32 s39, s39, -1
	v_add_co_u32_e32 v8, vcc, 2, v8
	s_cmp_eq_u64 s[38:39], 0
	v_addc_co_u32_e32 v9, vcc, 0, v9, vcc
	s_cselect_b64 s[10:11], -1, 0
	v_add_co_u32_e32 v10, vcc, 2, v10
	s_andn2_b64 s[36:37], s[36:37], exec
	s_and_b64 s[40:41], s[44:45], exec
	s_andn2_b64 s[34:35], s[34:35], exec
	s_and_b64 s[10:11], s[10:11], exec
	v_addc_co_u32_e32 v11, vcc, 0, v11, vcc
	s_andn2_b64 s[8:9], s[8:9], exec
	s_or_b64 s[36:37], s[36:37], s[40:41]
	s_or_b64 s[34:35], s[34:35], s[10:11]
                                        ; implicit-def: $sgpr40_sgpr41
	s_branch .LBB629_587
.LBB629_590:
	s_or_b64 exec, exec, s[14:15]
.LBB629_591:
	s_or_b64 exec, exec, s[12:13]
	v_add_u32_e32 v9, v22, v29
	v_add_u32_e32 v8, v25, v28
	v_sub_u32_e32 v9, v9, v25
	v_cmp_le_u32_e32 vcc, v8, v22
	v_cmp_le_u32_e64 s[6:7], v9, v23
	s_or_b64 s[6:7], vcc, s[6:7]
	s_and_saveexec_b64 s[10:11], s[6:7]
	s_cbranch_execz .LBB629_638
; %bb.592:
	v_cmp_ge_u32_e32 vcc, v8, v22
	v_cmp_lt_u32_e64 s[6:7], v8, v22
                                        ; implicit-def: $vgpr0_vgpr1
	s_and_saveexec_b64 s[8:9], s[6:7]
	s_cbranch_execz .LBB629_594
; %bb.593:
	v_lshl_add_u32 v0, v25, 3, v24
	ds_read_b64 v[0:1], v0
.LBB629_594:
	s_or_b64 exec, exec, s[8:9]
	v_cmp_ge_u32_e64 s[12:13], v9, v23
	v_cmp_lt_u32_e64 s[6:7], v9, v23
                                        ; implicit-def: $vgpr2_vgpr3
	s_and_saveexec_b64 s[8:9], s[6:7]
	s_cbranch_execz .LBB629_596
; %bb.595:
	v_lshl_add_u32 v2, v9, 3, v18
	ds_read_b64 v[2:3], v2
.LBB629_596:
	s_or_b64 exec, exec, s[8:9]
	s_or_b64 s[6:7], vcc, s[12:13]
	s_mov_b64 s[14:15], -1
	s_xor_b64 s[6:7], s[6:7], -1
	s_and_saveexec_b64 s[26:27], s[6:7]
	s_cbranch_execz .LBB629_605
; %bb.597:
	s_andn2_b64 vcc, exec, s[22:23]
	s_cbranch_vccnz .LBB629_603
; %bb.598:
	s_waitcnt lgkmcnt(0)
	v_mul_lo_u32 v6, v3, s16
	v_mul_lo_u32 v7, v2, s17
	v_mad_u64_u32 v[4:5], s[6:7], v2, s16, 0
	v_add3_u32 v5, v5, v7, v6
	v_lshlrev_b64 v[4:5], 1, v[4:5]
	v_mov_b32_e32 v6, s19
	v_add_co_u32_e32 v4, vcc, s18, v4
	v_addc_co_u32_e32 v5, vcc, v6, v5, vcc
	v_mul_lo_u32 v10, v1, s16
	v_mul_lo_u32 v11, v0, s17
	v_mad_u64_u32 v[6:7], s[6:7], v0, s16, 0
	v_add3_u32 v7, v7, v11, v10
	v_lshlrev_b64 v[6:7], 1, v[6:7]
	v_mov_b32_e32 v10, s19
	v_add_co_u32_e32 v6, vcc, s18, v6
	v_addc_co_u32_e32 v7, vcc, v10, v7, vcc
	s_mov_b64 s[28:29], 0
	s_mov_b64 s[38:39], s[16:17]
                                        ; implicit-def: $sgpr30_sgpr31
                                        ; implicit-def: $sgpr34_sgpr35
                                        ; implicit-def: $sgpr6_sgpr7
                                        ; implicit-def: $sgpr36_sgpr37
                                        ; implicit-def: $sgpr40_sgpr41
	s_branch .LBB629_600
.LBB629_599:                            ;   in Loop: Header=BB629_600 Depth=1
	s_or_b64 exec, exec, s[42:43]
	s_and_b64 s[8:9], exec, s[34:35]
	s_or_b64 s[28:29], s[8:9], s[28:29]
	s_andn2_b64 s[8:9], s[40:41], exec
	s_and_b64 s[40:41], s[36:37], exec
	s_or_b64 s[40:41], s[8:9], s[40:41]
	s_andn2_b64 s[8:9], s[30:31], exec
	s_and_b64 s[30:31], s[6:7], exec
	s_or_b64 s[30:31], s[8:9], s[30:31]
	s_andn2_b64 exec, exec, s[28:29]
	s_cbranch_execz .LBB629_602
.LBB629_600:                            ; =>This Inner Loop Header: Depth=1
	global_load_ushort v10, v[4:5], off
	global_load_ushort v11, v[6:7], off
	s_andn2_b64 s[42:43], s[6:7], exec
	s_andn2_b64 s[36:37], s[36:37], exec
	s_or_b64 s[34:35], s[34:35], exec
	s_waitcnt vmcnt(0)
	v_cmp_le_i16_e64 s[6:7], v10, v11
	v_cmp_lt_i16_e32 vcc, v10, v11
	s_and_b64 s[6:7], s[6:7], s[40:41]
	s_or_b64 s[44:45], vcc, s[6:7]
	s_and_b64 s[6:7], s[44:45], exec
	v_cmp_eq_u16_e64 s[8:9], v10, v11
	s_or_b64 s[6:7], s[42:43], s[6:7]
	s_and_saveexec_b64 s[42:43], s[8:9]
	s_cbranch_execz .LBB629_599
; %bb.601:                              ;   in Loop: Header=BB629_600 Depth=1
	s_add_u32 s38, s38, -1
	s_addc_u32 s39, s39, -1
	v_add_co_u32_e32 v4, vcc, 2, v4
	s_cmp_eq_u64 s[38:39], 0
	v_addc_co_u32_e32 v5, vcc, 0, v5, vcc
	s_cselect_b64 s[8:9], -1, 0
	v_add_co_u32_e32 v6, vcc, 2, v6
	s_andn2_b64 s[36:37], s[36:37], exec
	s_and_b64 s[40:41], s[44:45], exec
	s_andn2_b64 s[34:35], s[34:35], exec
	s_and_b64 s[8:9], s[8:9], exec
	v_addc_co_u32_e32 v7, vcc, 0, v7, vcc
	s_or_b64 s[36:37], s[36:37], s[40:41]
	s_andn2_b64 s[6:7], s[6:7], exec
	s_or_b64 s[34:35], s[34:35], s[8:9]
                                        ; implicit-def: $sgpr40_sgpr41
	s_branch .LBB629_599
.LBB629_602:
	s_or_b64 exec, exec, s[28:29]
	s_xor_b64 s[6:7], s[30:31], -1
	s_branch .LBB629_604
.LBB629_603:
	s_mov_b64 s[6:7], -1
.LBB629_604:
	s_andn2_b64 s[8:9], s[12:13], exec
	s_and_b64 s[6:7], s[6:7], exec
	s_or_b64 s[12:13], s[8:9], s[6:7]
.LBB629_605:
	s_or_b64 exec, exec, s[26:27]
	v_cndmask_b32_e64 v4, v9, v8, s[12:13]
	v_cndmask_b32_e64 v5, v23, v22, s[12:13]
	v_add_u32_e32 v6, 1, v4
	v_add_u32_e32 v4, -1, v5
	v_min_u32_e32 v4, v6, v4
	v_lshl_add_u32 v4, v4, 3, v18
	ds_read_b64 v[4:5], v4
	v_cndmask_b32_e64 v9, v6, v9, s[12:13]
	v_cndmask_b32_e64 v8, v8, v6, s[12:13]
	v_cmp_lt_u32_e32 vcc, v9, v23
	s_waitcnt lgkmcnt(0)
	v_cndmask_b32_e64 v24, v5, v3, s[12:13]
	v_cndmask_b32_e64 v25, v4, v2, s[12:13]
	;; [unrolled: 1-line block ×4, first 2 shown]
	s_and_saveexec_b64 s[26:27], vcc
	s_cbranch_execz .LBB629_616
; %bb.606:
	v_cmp_lt_u32_e32 vcc, v8, v22
	s_mov_b64 s[6:7], 0
	s_and_saveexec_b64 s[14:15], vcc
	s_cbranch_execz .LBB629_615
; %bb.607:
	s_andn2_b64 vcc, exec, s[22:23]
	s_cbranch_vccnz .LBB629_613
; %bb.608:
	v_mul_lo_u32 v6, v24, s16
	v_mul_lo_u32 v7, v25, s17
	v_mad_u64_u32 v[4:5], s[6:7], v25, s16, 0
	v_add3_u32 v5, v5, v7, v6
	v_lshlrev_b64 v[4:5], 1, v[4:5]
	v_mov_b32_e32 v6, s19
	v_add_co_u32_e32 v4, vcc, s18, v4
	v_addc_co_u32_e32 v5, vcc, v6, v5, vcc
	v_mul_lo_u32 v10, v28, s16
	v_mul_lo_u32 v11, v29, s17
	v_mad_u64_u32 v[6:7], s[6:7], v29, s16, 0
	v_add3_u32 v7, v7, v11, v10
	v_lshlrev_b64 v[6:7], 1, v[6:7]
	v_mov_b32_e32 v10, s19
	v_add_co_u32_e32 v6, vcc, s18, v6
	v_addc_co_u32_e32 v7, vcc, v10, v7, vcc
	s_mov_b64 s[28:29], 0
	s_mov_b64 s[38:39], s[16:17]
                                        ; implicit-def: $sgpr30_sgpr31
                                        ; implicit-def: $sgpr34_sgpr35
                                        ; implicit-def: $sgpr6_sgpr7
                                        ; implicit-def: $sgpr36_sgpr37
                                        ; implicit-def: $sgpr40_sgpr41
	s_branch .LBB629_610
.LBB629_609:                            ;   in Loop: Header=BB629_610 Depth=1
	s_or_b64 exec, exec, s[42:43]
	s_and_b64 s[8:9], exec, s[34:35]
	s_or_b64 s[28:29], s[8:9], s[28:29]
	s_andn2_b64 s[8:9], s[40:41], exec
	s_and_b64 s[40:41], s[36:37], exec
	s_or_b64 s[40:41], s[8:9], s[40:41]
	s_andn2_b64 s[8:9], s[30:31], exec
	s_and_b64 s[30:31], s[6:7], exec
	s_or_b64 s[30:31], s[8:9], s[30:31]
	s_andn2_b64 exec, exec, s[28:29]
	s_cbranch_execz .LBB629_612
.LBB629_610:                            ; =>This Inner Loop Header: Depth=1
	global_load_ushort v10, v[4:5], off
	global_load_ushort v11, v[6:7], off
	s_andn2_b64 s[42:43], s[6:7], exec
	s_andn2_b64 s[36:37], s[36:37], exec
	s_or_b64 s[34:35], s[34:35], exec
	s_waitcnt vmcnt(0)
	v_cmp_le_i16_e64 s[6:7], v10, v11
	v_cmp_lt_i16_e32 vcc, v10, v11
	s_and_b64 s[6:7], s[6:7], s[40:41]
	s_or_b64 s[44:45], vcc, s[6:7]
	s_and_b64 s[6:7], s[44:45], exec
	v_cmp_eq_u16_e64 s[8:9], v10, v11
	s_or_b64 s[6:7], s[42:43], s[6:7]
	s_and_saveexec_b64 s[42:43], s[8:9]
	s_cbranch_execz .LBB629_609
; %bb.611:                              ;   in Loop: Header=BB629_610 Depth=1
	s_add_u32 s38, s38, -1
	s_addc_u32 s39, s39, -1
	v_add_co_u32_e32 v4, vcc, 2, v4
	s_cmp_eq_u64 s[38:39], 0
	v_addc_co_u32_e32 v5, vcc, 0, v5, vcc
	s_cselect_b64 s[8:9], -1, 0
	v_add_co_u32_e32 v6, vcc, 2, v6
	s_andn2_b64 s[36:37], s[36:37], exec
	s_and_b64 s[40:41], s[44:45], exec
	s_andn2_b64 s[34:35], s[34:35], exec
	s_and_b64 s[8:9], s[8:9], exec
	v_addc_co_u32_e32 v7, vcc, 0, v7, vcc
	s_or_b64 s[36:37], s[36:37], s[40:41]
	s_andn2_b64 s[6:7], s[6:7], exec
	s_or_b64 s[34:35], s[34:35], s[8:9]
                                        ; implicit-def: $sgpr40_sgpr41
	s_branch .LBB629_609
.LBB629_612:
	s_or_b64 exec, exec, s[28:29]
	s_xor_b64 s[6:7], s[30:31], -1
	s_branch .LBB629_614
.LBB629_613:
	s_mov_b64 s[6:7], -1
.LBB629_614:
	s_and_b64 s[6:7], s[6:7], exec
.LBB629_615:
	s_or_b64 exec, exec, s[14:15]
	s_orn2_b64 s[14:15], s[6:7], exec
.LBB629_616:
	s_or_b64 exec, exec, s[26:27]
	v_cndmask_b32_e64 v4, v9, v8, s[14:15]
	v_cndmask_b32_e64 v5, v23, v22, s[14:15]
	v_add_u32_e32 v6, 1, v4
	v_add_u32_e32 v4, -1, v5
	v_min_u32_e32 v4, v6, v4
	v_lshl_add_u32 v4, v4, 3, v18
	ds_read_b64 v[4:5], v4
	v_cndmask_b32_e64 v9, v6, v9, s[14:15]
	v_cndmask_b32_e64 v8, v8, v6, s[14:15]
	v_cmp_lt_u32_e32 vcc, v9, v23
	s_mov_b64 s[26:27], -1
	s_waitcnt lgkmcnt(0)
	v_cndmask_b32_e64 v30, v5, v24, s[14:15]
	v_cndmask_b32_e64 v31, v4, v25, s[14:15]
	;; [unrolled: 1-line block ×4, first 2 shown]
	s_and_saveexec_b64 s[28:29], vcc
	s_cbranch_execz .LBB629_627
; %bb.617:
	v_cmp_lt_u32_e32 vcc, v8, v22
	s_mov_b64 s[6:7], 0
	s_and_saveexec_b64 s[26:27], vcc
	s_cbranch_execz .LBB629_626
; %bb.618:
	s_andn2_b64 vcc, exec, s[22:23]
	s_cbranch_vccnz .LBB629_624
; %bb.619:
	v_mul_lo_u32 v6, v30, s16
	v_mul_lo_u32 v7, v31, s17
	v_mad_u64_u32 v[4:5], s[6:7], v31, s16, 0
	v_add3_u32 v5, v5, v7, v6
	v_lshlrev_b64 v[4:5], 1, v[4:5]
	v_mov_b32_e32 v6, s19
	v_add_co_u32_e32 v4, vcc, s18, v4
	v_addc_co_u32_e32 v5, vcc, v6, v5, vcc
	v_mul_lo_u32 v10, v32, s16
	v_mul_lo_u32 v11, v33, s17
	v_mad_u64_u32 v[6:7], s[6:7], v33, s16, 0
	v_add3_u32 v7, v7, v11, v10
	v_lshlrev_b64 v[6:7], 1, v[6:7]
	v_mov_b32_e32 v10, s19
	v_add_co_u32_e32 v6, vcc, s18, v6
	v_addc_co_u32_e32 v7, vcc, v10, v7, vcc
	s_mov_b64 s[30:31], 0
	s_mov_b64 s[40:41], s[16:17]
                                        ; implicit-def: $sgpr34_sgpr35
                                        ; implicit-def: $sgpr36_sgpr37
                                        ; implicit-def: $sgpr6_sgpr7
                                        ; implicit-def: $sgpr38_sgpr39
                                        ; implicit-def: $sgpr42_sgpr43
	s_branch .LBB629_621
.LBB629_620:                            ;   in Loop: Header=BB629_621 Depth=1
	s_or_b64 exec, exec, s[44:45]
	s_and_b64 s[8:9], exec, s[36:37]
	s_or_b64 s[30:31], s[8:9], s[30:31]
	s_andn2_b64 s[8:9], s[42:43], exec
	s_and_b64 s[42:43], s[38:39], exec
	s_or_b64 s[42:43], s[8:9], s[42:43]
	s_andn2_b64 s[8:9], s[34:35], exec
	s_and_b64 s[34:35], s[6:7], exec
	s_or_b64 s[34:35], s[8:9], s[34:35]
	s_andn2_b64 exec, exec, s[30:31]
	s_cbranch_execz .LBB629_623
.LBB629_621:                            ; =>This Inner Loop Header: Depth=1
	global_load_ushort v10, v[4:5], off
	global_load_ushort v11, v[6:7], off
	s_andn2_b64 s[44:45], s[6:7], exec
	s_andn2_b64 s[38:39], s[38:39], exec
	s_or_b64 s[36:37], s[36:37], exec
	s_waitcnt vmcnt(0)
	v_cmp_le_i16_e64 s[6:7], v10, v11
	v_cmp_lt_i16_e32 vcc, v10, v11
	s_and_b64 s[6:7], s[6:7], s[42:43]
	s_or_b64 s[46:47], vcc, s[6:7]
	s_and_b64 s[6:7], s[46:47], exec
	v_cmp_eq_u16_e64 s[8:9], v10, v11
	s_or_b64 s[6:7], s[44:45], s[6:7]
	s_and_saveexec_b64 s[44:45], s[8:9]
	s_cbranch_execz .LBB629_620
; %bb.622:                              ;   in Loop: Header=BB629_621 Depth=1
	s_add_u32 s40, s40, -1
	s_addc_u32 s41, s41, -1
	v_add_co_u32_e32 v4, vcc, 2, v4
	s_cmp_eq_u64 s[40:41], 0
	v_addc_co_u32_e32 v5, vcc, 0, v5, vcc
	s_cselect_b64 s[8:9], -1, 0
	v_add_co_u32_e32 v6, vcc, 2, v6
	s_andn2_b64 s[38:39], s[38:39], exec
	s_and_b64 s[42:43], s[46:47], exec
	s_andn2_b64 s[36:37], s[36:37], exec
	s_and_b64 s[8:9], s[8:9], exec
	v_addc_co_u32_e32 v7, vcc, 0, v7, vcc
	s_or_b64 s[38:39], s[38:39], s[42:43]
	s_andn2_b64 s[6:7], s[6:7], exec
	s_or_b64 s[36:37], s[36:37], s[8:9]
                                        ; implicit-def: $sgpr42_sgpr43
	s_branch .LBB629_620
.LBB629_623:
	s_or_b64 exec, exec, s[30:31]
	s_xor_b64 s[6:7], s[34:35], -1
	s_branch .LBB629_625
.LBB629_624:
	s_mov_b64 s[6:7], -1
.LBB629_625:
	s_and_b64 s[6:7], s[6:7], exec
.LBB629_626:
	s_or_b64 exec, exec, s[26:27]
	s_orn2_b64 s[26:27], s[6:7], exec
.LBB629_627:
	s_or_b64 exec, exec, s[28:29]
	v_cndmask_b32_e64 v4, v9, v8, s[26:27]
	v_cndmask_b32_e64 v5, v23, v22, s[26:27]
	v_add_u32_e32 v10, 1, v4
	v_add_u32_e32 v4, -1, v5
	v_min_u32_e32 v4, v10, v4
	v_lshl_add_u32 v4, v4, 3, v18
	ds_read_b64 v[4:5], v4
	v_cndmask_b32_e64 v9, v10, v9, s[26:27]
	v_cmp_lt_u32_e32 vcc, v9, v23
	s_waitcnt lgkmcnt(0)
	v_cndmask_b32_e64 v7, v32, v5, s[26:27]
	v_cndmask_b32_e64 v6, v33, v4, s[26:27]
	s_and_saveexec_b64 s[28:29], vcc
	s_cbranch_execz .LBB629_637
; %bb.628:
	v_cndmask_b32_e64 v8, v8, v10, s[26:27]
	v_cndmask_b32_e64 v5, v5, v30, s[26:27]
	;; [unrolled: 1-line block ×3, first 2 shown]
	v_cmp_lt_u32_e32 vcc, v8, v22
	s_and_saveexec_b64 s[30:31], vcc
	s_cbranch_execz .LBB629_636
; %bb.629:
	s_andn2_b64 vcc, exec, s[22:23]
	s_cbranch_vccnz .LBB629_635
; %bb.630:
	v_mul_lo_u32 v10, v5, s16
	v_mul_lo_u32 v11, v4, s17
	v_mad_u64_u32 v[8:9], s[6:7], v4, s16, 0
	v_add3_u32 v9, v9, v11, v10
	v_lshlrev_b64 v[8:9], 1, v[8:9]
	v_mov_b32_e32 v10, s19
	v_add_co_u32_e32 v8, vcc, s18, v8
	v_addc_co_u32_e32 v9, vcc, v10, v9, vcc
	v_mul_lo_u32 v22, v7, s16
	v_mul_lo_u32 v23, v6, s17
	v_mad_u64_u32 v[10:11], s[6:7], v6, s16, 0
	v_add3_u32 v11, v11, v23, v22
	v_lshlrev_b64 v[10:11], 1, v[10:11]
	v_mov_b32_e32 v22, s19
	v_add_co_u32_e32 v10, vcc, s18, v10
	v_addc_co_u32_e32 v11, vcc, v22, v11, vcc
	s_mov_b64 s[34:35], 0
	s_mov_b64 s[42:43], s[16:17]
                                        ; implicit-def: $sgpr36_sgpr37
                                        ; implicit-def: $sgpr38_sgpr39
                                        ; implicit-def: $sgpr6_sgpr7
                                        ; implicit-def: $sgpr40_sgpr41
                                        ; implicit-def: $sgpr44_sgpr45
	s_branch .LBB629_632
.LBB629_631:                            ;   in Loop: Header=BB629_632 Depth=1
	s_or_b64 exec, exec, s[46:47]
	s_and_b64 s[8:9], exec, s[38:39]
	s_or_b64 s[34:35], s[8:9], s[34:35]
	s_andn2_b64 s[8:9], s[44:45], exec
	s_and_b64 s[44:45], s[40:41], exec
	s_or_b64 s[44:45], s[8:9], s[44:45]
	s_andn2_b64 s[8:9], s[36:37], exec
	s_and_b64 s[36:37], s[6:7], exec
	s_or_b64 s[36:37], s[8:9], s[36:37]
	s_andn2_b64 exec, exec, s[34:35]
	s_cbranch_execz .LBB629_634
.LBB629_632:                            ; =>This Inner Loop Header: Depth=1
	global_load_ushort v22, v[8:9], off
	global_load_ushort v23, v[10:11], off
	s_andn2_b64 s[46:47], s[6:7], exec
	s_andn2_b64 s[40:41], s[40:41], exec
	s_or_b64 s[38:39], s[38:39], exec
	s_waitcnt vmcnt(0)
	v_cmp_le_i16_e64 s[6:7], v22, v23
	v_cmp_lt_i16_e32 vcc, v22, v23
	s_and_b64 s[6:7], s[6:7], s[44:45]
	s_or_b64 s[48:49], vcc, s[6:7]
	s_and_b64 s[6:7], s[48:49], exec
	v_cmp_eq_u16_e64 s[8:9], v22, v23
	s_or_b64 s[6:7], s[46:47], s[6:7]
	s_and_saveexec_b64 s[46:47], s[8:9]
	s_cbranch_execz .LBB629_631
; %bb.633:                              ;   in Loop: Header=BB629_632 Depth=1
	s_add_u32 s42, s42, -1
	s_addc_u32 s43, s43, -1
	v_add_co_u32_e32 v8, vcc, 2, v8
	s_cmp_eq_u64 s[42:43], 0
	v_addc_co_u32_e32 v9, vcc, 0, v9, vcc
	s_cselect_b64 s[8:9], -1, 0
	v_add_co_u32_e32 v10, vcc, 2, v10
	s_andn2_b64 s[40:41], s[40:41], exec
	s_and_b64 s[44:45], s[48:49], exec
	s_andn2_b64 s[38:39], s[38:39], exec
	s_and_b64 s[8:9], s[8:9], exec
	v_addc_co_u32_e32 v11, vcc, 0, v11, vcc
	s_or_b64 s[40:41], s[40:41], s[44:45]
	s_andn2_b64 s[6:7], s[6:7], exec
	s_or_b64 s[38:39], s[38:39], s[8:9]
                                        ; implicit-def: $sgpr44_sgpr45
	s_branch .LBB629_631
.LBB629_634:
	s_or_b64 exec, exec, s[34:35]
	v_cndmask_b32_e64 v7, v7, v5, s[36:37]
	v_cndmask_b32_e64 v6, v6, v4, s[36:37]
.LBB629_635:
	v_pk_mov_b32 v[4:5], v[6:7], v[6:7] op_sel:[0,1]
.LBB629_636:
	s_or_b64 exec, exec, s[30:31]
	v_pk_mov_b32 v[6:7], v[4:5], v[4:5] op_sel:[0,1]
.LBB629_637:
	s_or_b64 exec, exec, s[28:29]
	v_cndmask_b32_e64 v1, v3, v1, s[12:13]
	v_cndmask_b32_e64 v0, v2, v0, s[12:13]
	;; [unrolled: 1-line block ×6, first 2 shown]
.LBB629_638:
	s_or_b64 exec, exec, s[10:11]
	v_and_b32_e32 v28, 0x1f0, v20
	v_or_b32_e32 v8, 8, v28
	v_min_u32_e32 v22, v19, v8
	v_add_u32_e32 v8, 8, v22
	v_min_u32_e32 v23, v19, v8
	v_and_b32_e32 v8, 12, v20
	v_min_u32_e32 v29, v19, v8
	v_sub_u32_e32 v8, v22, v28
	v_sub_u32_e32 v9, v23, v22
	v_sub_u32_e64 v25, v29, v9 clamp
	v_min_u32_e32 v30, v29, v8
	v_lshl_add_u32 v24, v28, 3, v18
	v_cmp_lt_u32_e32 vcc, v25, v30
	; wave barrier
	ds_write_b128 v21, v[0:3]
	ds_write_b128 v21, v[4:7] offset:16
	; wave barrier
	s_and_saveexec_b64 s[12:13], vcc
	s_cbranch_execz .LBB629_648
; %bb.639:
	v_lshlrev_b32_e32 v8, 3, v22
	v_lshlrev_b32_e32 v9, 3, v29
	v_add3_u32 v31, v18, v8, v9
	v_cndmask_b32_e64 v8, 0, 1, s[22:23]
	s_lshl_b64 s[26:27], s[16:17], 1
	s_mov_b64 s[14:15], 0
	v_cmp_ne_u32_e64 s[6:7], 1, v8
	s_branch .LBB629_642
.LBB629_640:                            ;   in Loop: Header=BB629_642 Depth=1
	s_or_b64 exec, exec, s[30:31]
.LBB629_641:                            ;   in Loop: Header=BB629_642 Depth=1
	v_add_u32_e32 v8, 1, v32
	v_cndmask_b32_e64 v30, v30, v32, s[28:29]
	v_cndmask_b32_e64 v25, v8, v25, s[28:29]
	v_cmp_ge_u32_e32 vcc, v25, v30
	s_or_b64 s[14:15], vcc, s[14:15]
	s_andn2_b64 exec, exec, s[14:15]
	s_cbranch_execz .LBB629_647
.LBB629_642:                            ; =>This Loop Header: Depth=1
                                        ;     Child Loop BB629_645 Depth 2
	v_add_u32_e32 v8, v30, v25
	v_lshrrev_b32_e32 v32, 1, v8
	s_and_b64 vcc, exec, s[6:7]
	s_mov_b64 s[28:29], 0
	s_cbranch_vccnz .LBB629_641
; %bb.643:                              ;   in Loop: Header=BB629_642 Depth=1
	v_not_b32_e32 v8, v32
	v_lshl_add_u32 v8, v8, 3, v31
	ds_read_b64 v[8:9], v8
	v_lshl_add_u32 v33, v32, 3, v24
	ds_read_b64 v[34:35], v33
	v_pk_mov_b32 v[10:11], s[18:19], s[18:19] op_sel:[0,1]
	s_mov_b64 s[30:31], 0
	s_waitcnt lgkmcnt(1)
	v_mul_lo_u32 v33, s26, v9
	v_mul_lo_u32 v36, s27, v8
	v_mad_u64_u32 v[8:9], s[8:9], s26, v8, v[10:11]
	v_add3_u32 v9, v36, v9, v33
	s_waitcnt lgkmcnt(0)
	v_mul_lo_u32 v33, s26, v35
	v_mul_lo_u32 v35, s27, v34
	v_mad_u64_u32 v[10:11], s[8:9], s26, v34, v[10:11]
	v_add3_u32 v11, v35, v11, v33
	s_mov_b64 s[38:39], s[16:17]
                                        ; implicit-def: $sgpr28_sgpr29
                                        ; implicit-def: $sgpr34_sgpr35
                                        ; implicit-def: $sgpr36_sgpr37
                                        ; implicit-def: $sgpr8_sgpr9
                                        ; implicit-def: $sgpr40_sgpr41
	s_branch .LBB629_645
.LBB629_644:                            ;   in Loop: Header=BB629_645 Depth=2
	s_or_b64 exec, exec, s[42:43]
	s_and_b64 s[10:11], exec, s[34:35]
	s_or_b64 s[30:31], s[10:11], s[30:31]
	s_andn2_b64 s[10:11], s[40:41], exec
	s_and_b64 s[40:41], s[36:37], exec
	s_or_b64 s[40:41], s[10:11], s[40:41]
	s_andn2_b64 s[10:11], s[28:29], exec
	s_and_b64 s[28:29], s[8:9], exec
	s_or_b64 s[28:29], s[10:11], s[28:29]
	s_andn2_b64 exec, exec, s[30:31]
	s_cbranch_execz .LBB629_640
.LBB629_645:                            ;   Parent Loop BB629_642 Depth=1
                                        ; =>  This Inner Loop Header: Depth=2
	global_load_ushort v33, v[8:9], off
	global_load_ushort v34, v[10:11], off
	s_andn2_b64 s[42:43], s[8:9], exec
	s_andn2_b64 s[36:37], s[36:37], exec
	s_or_b64 s[34:35], s[34:35], exec
	s_waitcnt vmcnt(0)
	v_cmp_le_i16_e64 s[8:9], v33, v34
	v_cmp_lt_i16_e32 vcc, v33, v34
	s_and_b64 s[8:9], s[8:9], s[40:41]
	s_or_b64 s[44:45], vcc, s[8:9]
	s_and_b64 s[8:9], s[44:45], exec
	v_cmp_eq_u16_e64 s[10:11], v33, v34
	s_or_b64 s[8:9], s[42:43], s[8:9]
	s_and_saveexec_b64 s[42:43], s[10:11]
	s_cbranch_execz .LBB629_644
; %bb.646:                              ;   in Loop: Header=BB629_645 Depth=2
	s_add_u32 s38, s38, -1
	s_addc_u32 s39, s39, -1
	v_add_co_u32_e32 v8, vcc, 2, v8
	s_cmp_eq_u64 s[38:39], 0
	v_addc_co_u32_e32 v9, vcc, 0, v9, vcc
	s_cselect_b64 s[10:11], -1, 0
	v_add_co_u32_e32 v10, vcc, 2, v10
	s_andn2_b64 s[36:37], s[36:37], exec
	s_and_b64 s[40:41], s[44:45], exec
	s_andn2_b64 s[34:35], s[34:35], exec
	s_and_b64 s[10:11], s[10:11], exec
	v_addc_co_u32_e32 v11, vcc, 0, v11, vcc
	s_andn2_b64 s[8:9], s[8:9], exec
	s_or_b64 s[36:37], s[36:37], s[40:41]
	s_or_b64 s[34:35], s[34:35], s[10:11]
                                        ; implicit-def: $sgpr40_sgpr41
	s_branch .LBB629_644
.LBB629_647:
	s_or_b64 exec, exec, s[14:15]
.LBB629_648:
	s_or_b64 exec, exec, s[12:13]
	v_add_u32_e32 v9, v22, v29
	v_add_u32_e32 v8, v25, v28
	v_sub_u32_e32 v9, v9, v25
	v_cmp_le_u32_e32 vcc, v8, v22
	v_cmp_le_u32_e64 s[6:7], v9, v23
	s_or_b64 s[6:7], vcc, s[6:7]
	s_and_saveexec_b64 s[10:11], s[6:7]
	s_cbranch_execz .LBB629_695
; %bb.649:
	v_cmp_ge_u32_e32 vcc, v8, v22
	v_cmp_lt_u32_e64 s[6:7], v8, v22
                                        ; implicit-def: $vgpr0_vgpr1
	s_and_saveexec_b64 s[8:9], s[6:7]
	s_cbranch_execz .LBB629_651
; %bb.650:
	v_lshl_add_u32 v0, v25, 3, v24
	ds_read_b64 v[0:1], v0
.LBB629_651:
	s_or_b64 exec, exec, s[8:9]
	v_cmp_ge_u32_e64 s[12:13], v9, v23
	v_cmp_lt_u32_e64 s[6:7], v9, v23
                                        ; implicit-def: $vgpr2_vgpr3
	s_and_saveexec_b64 s[8:9], s[6:7]
	s_cbranch_execz .LBB629_653
; %bb.652:
	v_lshl_add_u32 v2, v9, 3, v18
	ds_read_b64 v[2:3], v2
.LBB629_653:
	s_or_b64 exec, exec, s[8:9]
	s_or_b64 s[6:7], vcc, s[12:13]
	s_mov_b64 s[14:15], -1
	s_xor_b64 s[6:7], s[6:7], -1
	s_and_saveexec_b64 s[26:27], s[6:7]
	s_cbranch_execz .LBB629_662
; %bb.654:
	s_andn2_b64 vcc, exec, s[22:23]
	s_cbranch_vccnz .LBB629_660
; %bb.655:
	s_waitcnt lgkmcnt(0)
	v_mul_lo_u32 v6, v3, s16
	v_mul_lo_u32 v7, v2, s17
	v_mad_u64_u32 v[4:5], s[6:7], v2, s16, 0
	v_add3_u32 v5, v5, v7, v6
	v_lshlrev_b64 v[4:5], 1, v[4:5]
	v_mov_b32_e32 v6, s19
	v_add_co_u32_e32 v4, vcc, s18, v4
	v_addc_co_u32_e32 v5, vcc, v6, v5, vcc
	v_mul_lo_u32 v10, v1, s16
	v_mul_lo_u32 v11, v0, s17
	v_mad_u64_u32 v[6:7], s[6:7], v0, s16, 0
	v_add3_u32 v7, v7, v11, v10
	v_lshlrev_b64 v[6:7], 1, v[6:7]
	v_mov_b32_e32 v10, s19
	v_add_co_u32_e32 v6, vcc, s18, v6
	v_addc_co_u32_e32 v7, vcc, v10, v7, vcc
	s_mov_b64 s[28:29], 0
	s_mov_b64 s[38:39], s[16:17]
                                        ; implicit-def: $sgpr30_sgpr31
                                        ; implicit-def: $sgpr34_sgpr35
                                        ; implicit-def: $sgpr6_sgpr7
                                        ; implicit-def: $sgpr36_sgpr37
                                        ; implicit-def: $sgpr40_sgpr41
	s_branch .LBB629_657
.LBB629_656:                            ;   in Loop: Header=BB629_657 Depth=1
	s_or_b64 exec, exec, s[42:43]
	s_and_b64 s[8:9], exec, s[34:35]
	s_or_b64 s[28:29], s[8:9], s[28:29]
	s_andn2_b64 s[8:9], s[40:41], exec
	s_and_b64 s[40:41], s[36:37], exec
	s_or_b64 s[40:41], s[8:9], s[40:41]
	s_andn2_b64 s[8:9], s[30:31], exec
	s_and_b64 s[30:31], s[6:7], exec
	s_or_b64 s[30:31], s[8:9], s[30:31]
	s_andn2_b64 exec, exec, s[28:29]
	s_cbranch_execz .LBB629_659
.LBB629_657:                            ; =>This Inner Loop Header: Depth=1
	global_load_ushort v10, v[4:5], off
	global_load_ushort v11, v[6:7], off
	s_andn2_b64 s[42:43], s[6:7], exec
	s_andn2_b64 s[36:37], s[36:37], exec
	s_or_b64 s[34:35], s[34:35], exec
	s_waitcnt vmcnt(0)
	v_cmp_le_i16_e64 s[6:7], v10, v11
	v_cmp_lt_i16_e32 vcc, v10, v11
	s_and_b64 s[6:7], s[6:7], s[40:41]
	s_or_b64 s[44:45], vcc, s[6:7]
	s_and_b64 s[6:7], s[44:45], exec
	v_cmp_eq_u16_e64 s[8:9], v10, v11
	s_or_b64 s[6:7], s[42:43], s[6:7]
	s_and_saveexec_b64 s[42:43], s[8:9]
	s_cbranch_execz .LBB629_656
; %bb.658:                              ;   in Loop: Header=BB629_657 Depth=1
	s_add_u32 s38, s38, -1
	s_addc_u32 s39, s39, -1
	v_add_co_u32_e32 v4, vcc, 2, v4
	s_cmp_eq_u64 s[38:39], 0
	v_addc_co_u32_e32 v5, vcc, 0, v5, vcc
	s_cselect_b64 s[8:9], -1, 0
	v_add_co_u32_e32 v6, vcc, 2, v6
	s_andn2_b64 s[36:37], s[36:37], exec
	s_and_b64 s[40:41], s[44:45], exec
	s_andn2_b64 s[34:35], s[34:35], exec
	s_and_b64 s[8:9], s[8:9], exec
	v_addc_co_u32_e32 v7, vcc, 0, v7, vcc
	s_or_b64 s[36:37], s[36:37], s[40:41]
	s_andn2_b64 s[6:7], s[6:7], exec
	s_or_b64 s[34:35], s[34:35], s[8:9]
                                        ; implicit-def: $sgpr40_sgpr41
	s_branch .LBB629_656
.LBB629_659:
	s_or_b64 exec, exec, s[28:29]
	s_xor_b64 s[6:7], s[30:31], -1
	s_branch .LBB629_661
.LBB629_660:
	s_mov_b64 s[6:7], -1
.LBB629_661:
	s_andn2_b64 s[8:9], s[12:13], exec
	s_and_b64 s[6:7], s[6:7], exec
	s_or_b64 s[12:13], s[8:9], s[6:7]
.LBB629_662:
	s_or_b64 exec, exec, s[26:27]
	v_cndmask_b32_e64 v4, v9, v8, s[12:13]
	v_cndmask_b32_e64 v5, v23, v22, s[12:13]
	v_add_u32_e32 v6, 1, v4
	v_add_u32_e32 v4, -1, v5
	v_min_u32_e32 v4, v6, v4
	v_lshl_add_u32 v4, v4, 3, v18
	ds_read_b64 v[4:5], v4
	v_cndmask_b32_e64 v9, v6, v9, s[12:13]
	v_cndmask_b32_e64 v8, v8, v6, s[12:13]
	v_cmp_lt_u32_e32 vcc, v9, v23
	s_waitcnt lgkmcnt(0)
	v_cndmask_b32_e64 v24, v5, v3, s[12:13]
	v_cndmask_b32_e64 v25, v4, v2, s[12:13]
	;; [unrolled: 1-line block ×4, first 2 shown]
	s_and_saveexec_b64 s[26:27], vcc
	s_cbranch_execz .LBB629_673
; %bb.663:
	v_cmp_lt_u32_e32 vcc, v8, v22
	s_mov_b64 s[6:7], 0
	s_and_saveexec_b64 s[14:15], vcc
	s_cbranch_execz .LBB629_672
; %bb.664:
	s_andn2_b64 vcc, exec, s[22:23]
	s_cbranch_vccnz .LBB629_670
; %bb.665:
	v_mul_lo_u32 v6, v24, s16
	v_mul_lo_u32 v7, v25, s17
	v_mad_u64_u32 v[4:5], s[6:7], v25, s16, 0
	v_add3_u32 v5, v5, v7, v6
	v_lshlrev_b64 v[4:5], 1, v[4:5]
	v_mov_b32_e32 v6, s19
	v_add_co_u32_e32 v4, vcc, s18, v4
	v_addc_co_u32_e32 v5, vcc, v6, v5, vcc
	v_mul_lo_u32 v10, v28, s16
	v_mul_lo_u32 v11, v29, s17
	v_mad_u64_u32 v[6:7], s[6:7], v29, s16, 0
	v_add3_u32 v7, v7, v11, v10
	v_lshlrev_b64 v[6:7], 1, v[6:7]
	v_mov_b32_e32 v10, s19
	v_add_co_u32_e32 v6, vcc, s18, v6
	v_addc_co_u32_e32 v7, vcc, v10, v7, vcc
	s_mov_b64 s[28:29], 0
	s_mov_b64 s[38:39], s[16:17]
                                        ; implicit-def: $sgpr30_sgpr31
                                        ; implicit-def: $sgpr34_sgpr35
                                        ; implicit-def: $sgpr6_sgpr7
                                        ; implicit-def: $sgpr36_sgpr37
                                        ; implicit-def: $sgpr40_sgpr41
	s_branch .LBB629_667
.LBB629_666:                            ;   in Loop: Header=BB629_667 Depth=1
	s_or_b64 exec, exec, s[42:43]
	s_and_b64 s[8:9], exec, s[34:35]
	s_or_b64 s[28:29], s[8:9], s[28:29]
	s_andn2_b64 s[8:9], s[40:41], exec
	s_and_b64 s[40:41], s[36:37], exec
	s_or_b64 s[40:41], s[8:9], s[40:41]
	s_andn2_b64 s[8:9], s[30:31], exec
	s_and_b64 s[30:31], s[6:7], exec
	s_or_b64 s[30:31], s[8:9], s[30:31]
	s_andn2_b64 exec, exec, s[28:29]
	s_cbranch_execz .LBB629_669
.LBB629_667:                            ; =>This Inner Loop Header: Depth=1
	global_load_ushort v10, v[4:5], off
	global_load_ushort v11, v[6:7], off
	s_andn2_b64 s[42:43], s[6:7], exec
	s_andn2_b64 s[36:37], s[36:37], exec
	s_or_b64 s[34:35], s[34:35], exec
	s_waitcnt vmcnt(0)
	v_cmp_le_i16_e64 s[6:7], v10, v11
	v_cmp_lt_i16_e32 vcc, v10, v11
	s_and_b64 s[6:7], s[6:7], s[40:41]
	s_or_b64 s[44:45], vcc, s[6:7]
	s_and_b64 s[6:7], s[44:45], exec
	v_cmp_eq_u16_e64 s[8:9], v10, v11
	s_or_b64 s[6:7], s[42:43], s[6:7]
	s_and_saveexec_b64 s[42:43], s[8:9]
	s_cbranch_execz .LBB629_666
; %bb.668:                              ;   in Loop: Header=BB629_667 Depth=1
	s_add_u32 s38, s38, -1
	s_addc_u32 s39, s39, -1
	v_add_co_u32_e32 v4, vcc, 2, v4
	s_cmp_eq_u64 s[38:39], 0
	v_addc_co_u32_e32 v5, vcc, 0, v5, vcc
	s_cselect_b64 s[8:9], -1, 0
	v_add_co_u32_e32 v6, vcc, 2, v6
	s_andn2_b64 s[36:37], s[36:37], exec
	s_and_b64 s[40:41], s[44:45], exec
	s_andn2_b64 s[34:35], s[34:35], exec
	s_and_b64 s[8:9], s[8:9], exec
	v_addc_co_u32_e32 v7, vcc, 0, v7, vcc
	s_or_b64 s[36:37], s[36:37], s[40:41]
	s_andn2_b64 s[6:7], s[6:7], exec
	s_or_b64 s[34:35], s[34:35], s[8:9]
                                        ; implicit-def: $sgpr40_sgpr41
	s_branch .LBB629_666
.LBB629_669:
	s_or_b64 exec, exec, s[28:29]
	s_xor_b64 s[6:7], s[30:31], -1
	s_branch .LBB629_671
.LBB629_670:
	s_mov_b64 s[6:7], -1
.LBB629_671:
	s_and_b64 s[6:7], s[6:7], exec
.LBB629_672:
	s_or_b64 exec, exec, s[14:15]
	s_orn2_b64 s[14:15], s[6:7], exec
.LBB629_673:
	s_or_b64 exec, exec, s[26:27]
	v_cndmask_b32_e64 v4, v9, v8, s[14:15]
	v_cndmask_b32_e64 v5, v23, v22, s[14:15]
	v_add_u32_e32 v6, 1, v4
	v_add_u32_e32 v4, -1, v5
	v_min_u32_e32 v4, v6, v4
	v_lshl_add_u32 v4, v4, 3, v18
	ds_read_b64 v[4:5], v4
	v_cndmask_b32_e64 v9, v6, v9, s[14:15]
	v_cndmask_b32_e64 v8, v8, v6, s[14:15]
	v_cmp_lt_u32_e32 vcc, v9, v23
	s_mov_b64 s[26:27], -1
	s_waitcnt lgkmcnt(0)
	v_cndmask_b32_e64 v30, v5, v24, s[14:15]
	v_cndmask_b32_e64 v31, v4, v25, s[14:15]
	;; [unrolled: 1-line block ×4, first 2 shown]
	s_and_saveexec_b64 s[28:29], vcc
	s_cbranch_execz .LBB629_684
; %bb.674:
	v_cmp_lt_u32_e32 vcc, v8, v22
	s_mov_b64 s[6:7], 0
	s_and_saveexec_b64 s[26:27], vcc
	s_cbranch_execz .LBB629_683
; %bb.675:
	s_andn2_b64 vcc, exec, s[22:23]
	s_cbranch_vccnz .LBB629_681
; %bb.676:
	v_mul_lo_u32 v6, v30, s16
	v_mul_lo_u32 v7, v31, s17
	v_mad_u64_u32 v[4:5], s[6:7], v31, s16, 0
	v_add3_u32 v5, v5, v7, v6
	v_lshlrev_b64 v[4:5], 1, v[4:5]
	v_mov_b32_e32 v6, s19
	v_add_co_u32_e32 v4, vcc, s18, v4
	v_addc_co_u32_e32 v5, vcc, v6, v5, vcc
	v_mul_lo_u32 v10, v32, s16
	v_mul_lo_u32 v11, v33, s17
	v_mad_u64_u32 v[6:7], s[6:7], v33, s16, 0
	v_add3_u32 v7, v7, v11, v10
	v_lshlrev_b64 v[6:7], 1, v[6:7]
	v_mov_b32_e32 v10, s19
	v_add_co_u32_e32 v6, vcc, s18, v6
	v_addc_co_u32_e32 v7, vcc, v10, v7, vcc
	s_mov_b64 s[30:31], 0
	s_mov_b64 s[40:41], s[16:17]
                                        ; implicit-def: $sgpr34_sgpr35
                                        ; implicit-def: $sgpr36_sgpr37
                                        ; implicit-def: $sgpr6_sgpr7
                                        ; implicit-def: $sgpr38_sgpr39
                                        ; implicit-def: $sgpr42_sgpr43
	s_branch .LBB629_678
.LBB629_677:                            ;   in Loop: Header=BB629_678 Depth=1
	s_or_b64 exec, exec, s[44:45]
	s_and_b64 s[8:9], exec, s[36:37]
	s_or_b64 s[30:31], s[8:9], s[30:31]
	s_andn2_b64 s[8:9], s[42:43], exec
	s_and_b64 s[42:43], s[38:39], exec
	s_or_b64 s[42:43], s[8:9], s[42:43]
	s_andn2_b64 s[8:9], s[34:35], exec
	s_and_b64 s[34:35], s[6:7], exec
	s_or_b64 s[34:35], s[8:9], s[34:35]
	s_andn2_b64 exec, exec, s[30:31]
	s_cbranch_execz .LBB629_680
.LBB629_678:                            ; =>This Inner Loop Header: Depth=1
	global_load_ushort v10, v[4:5], off
	global_load_ushort v11, v[6:7], off
	s_andn2_b64 s[44:45], s[6:7], exec
	s_andn2_b64 s[38:39], s[38:39], exec
	s_or_b64 s[36:37], s[36:37], exec
	s_waitcnt vmcnt(0)
	v_cmp_le_i16_e64 s[6:7], v10, v11
	v_cmp_lt_i16_e32 vcc, v10, v11
	s_and_b64 s[6:7], s[6:7], s[42:43]
	s_or_b64 s[46:47], vcc, s[6:7]
	s_and_b64 s[6:7], s[46:47], exec
	v_cmp_eq_u16_e64 s[8:9], v10, v11
	s_or_b64 s[6:7], s[44:45], s[6:7]
	s_and_saveexec_b64 s[44:45], s[8:9]
	s_cbranch_execz .LBB629_677
; %bb.679:                              ;   in Loop: Header=BB629_678 Depth=1
	s_add_u32 s40, s40, -1
	s_addc_u32 s41, s41, -1
	v_add_co_u32_e32 v4, vcc, 2, v4
	s_cmp_eq_u64 s[40:41], 0
	v_addc_co_u32_e32 v5, vcc, 0, v5, vcc
	s_cselect_b64 s[8:9], -1, 0
	v_add_co_u32_e32 v6, vcc, 2, v6
	s_andn2_b64 s[38:39], s[38:39], exec
	s_and_b64 s[42:43], s[46:47], exec
	s_andn2_b64 s[36:37], s[36:37], exec
	s_and_b64 s[8:9], s[8:9], exec
	v_addc_co_u32_e32 v7, vcc, 0, v7, vcc
	s_or_b64 s[38:39], s[38:39], s[42:43]
	s_andn2_b64 s[6:7], s[6:7], exec
	s_or_b64 s[36:37], s[36:37], s[8:9]
                                        ; implicit-def: $sgpr42_sgpr43
	s_branch .LBB629_677
.LBB629_680:
	s_or_b64 exec, exec, s[30:31]
	s_xor_b64 s[6:7], s[34:35], -1
	s_branch .LBB629_682
.LBB629_681:
	s_mov_b64 s[6:7], -1
.LBB629_682:
	s_and_b64 s[6:7], s[6:7], exec
.LBB629_683:
	s_or_b64 exec, exec, s[26:27]
	s_orn2_b64 s[26:27], s[6:7], exec
.LBB629_684:
	s_or_b64 exec, exec, s[28:29]
	v_cndmask_b32_e64 v4, v9, v8, s[26:27]
	v_cndmask_b32_e64 v5, v23, v22, s[26:27]
	v_add_u32_e32 v10, 1, v4
	v_add_u32_e32 v4, -1, v5
	v_min_u32_e32 v4, v10, v4
	v_lshl_add_u32 v4, v4, 3, v18
	ds_read_b64 v[4:5], v4
	v_cndmask_b32_e64 v9, v10, v9, s[26:27]
	v_cmp_lt_u32_e32 vcc, v9, v23
	s_waitcnt lgkmcnt(0)
	v_cndmask_b32_e64 v7, v32, v5, s[26:27]
	v_cndmask_b32_e64 v6, v33, v4, s[26:27]
	s_and_saveexec_b64 s[28:29], vcc
	s_cbranch_execz .LBB629_694
; %bb.685:
	v_cndmask_b32_e64 v8, v8, v10, s[26:27]
	v_cndmask_b32_e64 v5, v5, v30, s[26:27]
	;; [unrolled: 1-line block ×3, first 2 shown]
	v_cmp_lt_u32_e32 vcc, v8, v22
	s_and_saveexec_b64 s[30:31], vcc
	s_cbranch_execz .LBB629_693
; %bb.686:
	s_andn2_b64 vcc, exec, s[22:23]
	s_cbranch_vccnz .LBB629_692
; %bb.687:
	v_mul_lo_u32 v10, v5, s16
	v_mul_lo_u32 v11, v4, s17
	v_mad_u64_u32 v[8:9], s[6:7], v4, s16, 0
	v_add3_u32 v9, v9, v11, v10
	v_lshlrev_b64 v[8:9], 1, v[8:9]
	v_mov_b32_e32 v10, s19
	v_add_co_u32_e32 v8, vcc, s18, v8
	v_addc_co_u32_e32 v9, vcc, v10, v9, vcc
	v_mul_lo_u32 v22, v7, s16
	v_mul_lo_u32 v23, v6, s17
	v_mad_u64_u32 v[10:11], s[6:7], v6, s16, 0
	v_add3_u32 v11, v11, v23, v22
	v_lshlrev_b64 v[10:11], 1, v[10:11]
	v_mov_b32_e32 v22, s19
	v_add_co_u32_e32 v10, vcc, s18, v10
	v_addc_co_u32_e32 v11, vcc, v22, v11, vcc
	s_mov_b64 s[34:35], 0
	s_mov_b64 s[42:43], s[16:17]
                                        ; implicit-def: $sgpr36_sgpr37
                                        ; implicit-def: $sgpr38_sgpr39
                                        ; implicit-def: $sgpr6_sgpr7
                                        ; implicit-def: $sgpr40_sgpr41
                                        ; implicit-def: $sgpr44_sgpr45
	s_branch .LBB629_689
.LBB629_688:                            ;   in Loop: Header=BB629_689 Depth=1
	s_or_b64 exec, exec, s[46:47]
	s_and_b64 s[8:9], exec, s[38:39]
	s_or_b64 s[34:35], s[8:9], s[34:35]
	s_andn2_b64 s[8:9], s[44:45], exec
	s_and_b64 s[44:45], s[40:41], exec
	s_or_b64 s[44:45], s[8:9], s[44:45]
	s_andn2_b64 s[8:9], s[36:37], exec
	s_and_b64 s[36:37], s[6:7], exec
	s_or_b64 s[36:37], s[8:9], s[36:37]
	s_andn2_b64 exec, exec, s[34:35]
	s_cbranch_execz .LBB629_691
.LBB629_689:                            ; =>This Inner Loop Header: Depth=1
	global_load_ushort v22, v[8:9], off
	global_load_ushort v23, v[10:11], off
	s_andn2_b64 s[46:47], s[6:7], exec
	s_andn2_b64 s[40:41], s[40:41], exec
	s_or_b64 s[38:39], s[38:39], exec
	s_waitcnt vmcnt(0)
	v_cmp_le_i16_e64 s[6:7], v22, v23
	v_cmp_lt_i16_e32 vcc, v22, v23
	s_and_b64 s[6:7], s[6:7], s[44:45]
	s_or_b64 s[48:49], vcc, s[6:7]
	s_and_b64 s[6:7], s[48:49], exec
	v_cmp_eq_u16_e64 s[8:9], v22, v23
	s_or_b64 s[6:7], s[46:47], s[6:7]
	s_and_saveexec_b64 s[46:47], s[8:9]
	s_cbranch_execz .LBB629_688
; %bb.690:                              ;   in Loop: Header=BB629_689 Depth=1
	s_add_u32 s42, s42, -1
	s_addc_u32 s43, s43, -1
	v_add_co_u32_e32 v8, vcc, 2, v8
	s_cmp_eq_u64 s[42:43], 0
	v_addc_co_u32_e32 v9, vcc, 0, v9, vcc
	s_cselect_b64 s[8:9], -1, 0
	v_add_co_u32_e32 v10, vcc, 2, v10
	s_andn2_b64 s[40:41], s[40:41], exec
	s_and_b64 s[44:45], s[48:49], exec
	s_andn2_b64 s[38:39], s[38:39], exec
	s_and_b64 s[8:9], s[8:9], exec
	v_addc_co_u32_e32 v11, vcc, 0, v11, vcc
	s_or_b64 s[40:41], s[40:41], s[44:45]
	s_andn2_b64 s[6:7], s[6:7], exec
	s_or_b64 s[38:39], s[38:39], s[8:9]
                                        ; implicit-def: $sgpr44_sgpr45
	s_branch .LBB629_688
.LBB629_691:
	s_or_b64 exec, exec, s[34:35]
	v_cndmask_b32_e64 v7, v7, v5, s[36:37]
	v_cndmask_b32_e64 v6, v6, v4, s[36:37]
.LBB629_692:
	v_pk_mov_b32 v[4:5], v[6:7], v[6:7] op_sel:[0,1]
.LBB629_693:
	s_or_b64 exec, exec, s[30:31]
	v_pk_mov_b32 v[6:7], v[4:5], v[4:5] op_sel:[0,1]
.LBB629_694:
	s_or_b64 exec, exec, s[28:29]
	v_cndmask_b32_e64 v1, v3, v1, s[12:13]
	v_cndmask_b32_e64 v0, v2, v0, s[12:13]
	;; [unrolled: 1-line block ×6, first 2 shown]
.LBB629_695:
	s_or_b64 exec, exec, s[10:11]
	v_and_b32_e32 v28, 0x1e0, v20
	v_or_b32_e32 v8, 16, v28
	v_min_u32_e32 v22, v19, v8
	v_add_u32_e32 v8, 16, v22
	v_min_u32_e32 v23, v19, v8
	v_and_b32_e32 v8, 28, v20
	v_min_u32_e32 v29, v19, v8
	v_sub_u32_e32 v8, v22, v28
	v_sub_u32_e32 v9, v23, v22
	v_sub_u32_e64 v25, v29, v9 clamp
	v_min_u32_e32 v30, v29, v8
	v_lshl_add_u32 v24, v28, 3, v18
	v_cmp_lt_u32_e32 vcc, v25, v30
	; wave barrier
	ds_write_b128 v21, v[0:3]
	ds_write_b128 v21, v[4:7] offset:16
	; wave barrier
	s_and_saveexec_b64 s[12:13], vcc
	s_cbranch_execz .LBB629_705
; %bb.696:
	v_lshlrev_b32_e32 v8, 3, v22
	v_lshlrev_b32_e32 v9, 3, v29
	v_add3_u32 v31, v18, v8, v9
	v_cndmask_b32_e64 v8, 0, 1, s[22:23]
	s_lshl_b64 s[26:27], s[16:17], 1
	s_mov_b64 s[14:15], 0
	v_cmp_ne_u32_e64 s[6:7], 1, v8
	s_branch .LBB629_699
.LBB629_697:                            ;   in Loop: Header=BB629_699 Depth=1
	s_or_b64 exec, exec, s[30:31]
.LBB629_698:                            ;   in Loop: Header=BB629_699 Depth=1
	v_add_u32_e32 v8, 1, v32
	v_cndmask_b32_e64 v30, v30, v32, s[28:29]
	v_cndmask_b32_e64 v25, v8, v25, s[28:29]
	v_cmp_ge_u32_e32 vcc, v25, v30
	s_or_b64 s[14:15], vcc, s[14:15]
	s_andn2_b64 exec, exec, s[14:15]
	s_cbranch_execz .LBB629_704
.LBB629_699:                            ; =>This Loop Header: Depth=1
                                        ;     Child Loop BB629_702 Depth 2
	v_add_u32_e32 v8, v30, v25
	v_lshrrev_b32_e32 v32, 1, v8
	s_and_b64 vcc, exec, s[6:7]
	s_mov_b64 s[28:29], 0
	s_cbranch_vccnz .LBB629_698
; %bb.700:                              ;   in Loop: Header=BB629_699 Depth=1
	v_not_b32_e32 v8, v32
	v_lshl_add_u32 v8, v8, 3, v31
	ds_read_b64 v[8:9], v8
	v_lshl_add_u32 v33, v32, 3, v24
	ds_read_b64 v[34:35], v33
	v_pk_mov_b32 v[10:11], s[18:19], s[18:19] op_sel:[0,1]
	s_mov_b64 s[30:31], 0
	s_waitcnt lgkmcnt(1)
	v_mul_lo_u32 v33, s26, v9
	v_mul_lo_u32 v36, s27, v8
	v_mad_u64_u32 v[8:9], s[8:9], s26, v8, v[10:11]
	v_add3_u32 v9, v36, v9, v33
	s_waitcnt lgkmcnt(0)
	v_mul_lo_u32 v33, s26, v35
	v_mul_lo_u32 v35, s27, v34
	v_mad_u64_u32 v[10:11], s[8:9], s26, v34, v[10:11]
	v_add3_u32 v11, v35, v11, v33
	s_mov_b64 s[38:39], s[16:17]
                                        ; implicit-def: $sgpr28_sgpr29
                                        ; implicit-def: $sgpr34_sgpr35
                                        ; implicit-def: $sgpr36_sgpr37
                                        ; implicit-def: $sgpr8_sgpr9
                                        ; implicit-def: $sgpr40_sgpr41
	s_branch .LBB629_702
.LBB629_701:                            ;   in Loop: Header=BB629_702 Depth=2
	s_or_b64 exec, exec, s[42:43]
	s_and_b64 s[10:11], exec, s[34:35]
	s_or_b64 s[30:31], s[10:11], s[30:31]
	s_andn2_b64 s[10:11], s[40:41], exec
	s_and_b64 s[40:41], s[36:37], exec
	s_or_b64 s[40:41], s[10:11], s[40:41]
	s_andn2_b64 s[10:11], s[28:29], exec
	s_and_b64 s[28:29], s[8:9], exec
	s_or_b64 s[28:29], s[10:11], s[28:29]
	s_andn2_b64 exec, exec, s[30:31]
	s_cbranch_execz .LBB629_697
.LBB629_702:                            ;   Parent Loop BB629_699 Depth=1
                                        ; =>  This Inner Loop Header: Depth=2
	global_load_ushort v33, v[8:9], off
	global_load_ushort v34, v[10:11], off
	s_andn2_b64 s[42:43], s[8:9], exec
	s_andn2_b64 s[36:37], s[36:37], exec
	s_or_b64 s[34:35], s[34:35], exec
	s_waitcnt vmcnt(0)
	v_cmp_le_i16_e64 s[8:9], v33, v34
	v_cmp_lt_i16_e32 vcc, v33, v34
	s_and_b64 s[8:9], s[8:9], s[40:41]
	s_or_b64 s[44:45], vcc, s[8:9]
	s_and_b64 s[8:9], s[44:45], exec
	v_cmp_eq_u16_e64 s[10:11], v33, v34
	s_or_b64 s[8:9], s[42:43], s[8:9]
	s_and_saveexec_b64 s[42:43], s[10:11]
	s_cbranch_execz .LBB629_701
; %bb.703:                              ;   in Loop: Header=BB629_702 Depth=2
	s_add_u32 s38, s38, -1
	s_addc_u32 s39, s39, -1
	v_add_co_u32_e32 v8, vcc, 2, v8
	s_cmp_eq_u64 s[38:39], 0
	v_addc_co_u32_e32 v9, vcc, 0, v9, vcc
	s_cselect_b64 s[10:11], -1, 0
	v_add_co_u32_e32 v10, vcc, 2, v10
	s_andn2_b64 s[36:37], s[36:37], exec
	s_and_b64 s[40:41], s[44:45], exec
	s_andn2_b64 s[34:35], s[34:35], exec
	s_and_b64 s[10:11], s[10:11], exec
	v_addc_co_u32_e32 v11, vcc, 0, v11, vcc
	s_andn2_b64 s[8:9], s[8:9], exec
	s_or_b64 s[36:37], s[36:37], s[40:41]
	s_or_b64 s[34:35], s[34:35], s[10:11]
                                        ; implicit-def: $sgpr40_sgpr41
	s_branch .LBB629_701
.LBB629_704:
	s_or_b64 exec, exec, s[14:15]
.LBB629_705:
	s_or_b64 exec, exec, s[12:13]
	v_add_u32_e32 v9, v22, v29
	v_add_u32_e32 v8, v25, v28
	v_sub_u32_e32 v9, v9, v25
	v_cmp_le_u32_e32 vcc, v8, v22
	v_cmp_le_u32_e64 s[6:7], v9, v23
	s_or_b64 s[6:7], vcc, s[6:7]
	s_and_saveexec_b64 s[10:11], s[6:7]
	s_cbranch_execz .LBB629_752
; %bb.706:
	v_cmp_ge_u32_e32 vcc, v8, v22
	v_cmp_lt_u32_e64 s[6:7], v8, v22
                                        ; implicit-def: $vgpr0_vgpr1
	s_and_saveexec_b64 s[8:9], s[6:7]
	s_cbranch_execz .LBB629_708
; %bb.707:
	v_lshl_add_u32 v0, v25, 3, v24
	ds_read_b64 v[0:1], v0
.LBB629_708:
	s_or_b64 exec, exec, s[8:9]
	v_cmp_ge_u32_e64 s[12:13], v9, v23
	v_cmp_lt_u32_e64 s[6:7], v9, v23
                                        ; implicit-def: $vgpr2_vgpr3
	s_and_saveexec_b64 s[8:9], s[6:7]
	s_cbranch_execz .LBB629_710
; %bb.709:
	v_lshl_add_u32 v2, v9, 3, v18
	ds_read_b64 v[2:3], v2
.LBB629_710:
	s_or_b64 exec, exec, s[8:9]
	s_or_b64 s[6:7], vcc, s[12:13]
	s_mov_b64 s[14:15], -1
	s_xor_b64 s[6:7], s[6:7], -1
	s_and_saveexec_b64 s[26:27], s[6:7]
	s_cbranch_execz .LBB629_719
; %bb.711:
	s_andn2_b64 vcc, exec, s[22:23]
	s_cbranch_vccnz .LBB629_717
; %bb.712:
	s_waitcnt lgkmcnt(0)
	v_mul_lo_u32 v6, v3, s16
	v_mul_lo_u32 v7, v2, s17
	v_mad_u64_u32 v[4:5], s[6:7], v2, s16, 0
	v_add3_u32 v5, v5, v7, v6
	v_lshlrev_b64 v[4:5], 1, v[4:5]
	v_mov_b32_e32 v6, s19
	v_add_co_u32_e32 v4, vcc, s18, v4
	v_addc_co_u32_e32 v5, vcc, v6, v5, vcc
	v_mul_lo_u32 v10, v1, s16
	v_mul_lo_u32 v11, v0, s17
	v_mad_u64_u32 v[6:7], s[6:7], v0, s16, 0
	v_add3_u32 v7, v7, v11, v10
	v_lshlrev_b64 v[6:7], 1, v[6:7]
	v_mov_b32_e32 v10, s19
	v_add_co_u32_e32 v6, vcc, s18, v6
	v_addc_co_u32_e32 v7, vcc, v10, v7, vcc
	s_mov_b64 s[28:29], 0
	s_mov_b64 s[38:39], s[16:17]
                                        ; implicit-def: $sgpr30_sgpr31
                                        ; implicit-def: $sgpr34_sgpr35
                                        ; implicit-def: $sgpr6_sgpr7
                                        ; implicit-def: $sgpr36_sgpr37
                                        ; implicit-def: $sgpr40_sgpr41
	s_branch .LBB629_714
.LBB629_713:                            ;   in Loop: Header=BB629_714 Depth=1
	s_or_b64 exec, exec, s[42:43]
	s_and_b64 s[8:9], exec, s[34:35]
	s_or_b64 s[28:29], s[8:9], s[28:29]
	s_andn2_b64 s[8:9], s[40:41], exec
	s_and_b64 s[40:41], s[36:37], exec
	s_or_b64 s[40:41], s[8:9], s[40:41]
	s_andn2_b64 s[8:9], s[30:31], exec
	s_and_b64 s[30:31], s[6:7], exec
	s_or_b64 s[30:31], s[8:9], s[30:31]
	s_andn2_b64 exec, exec, s[28:29]
	s_cbranch_execz .LBB629_716
.LBB629_714:                            ; =>This Inner Loop Header: Depth=1
	global_load_ushort v10, v[4:5], off
	global_load_ushort v11, v[6:7], off
	s_andn2_b64 s[42:43], s[6:7], exec
	s_andn2_b64 s[36:37], s[36:37], exec
	s_or_b64 s[34:35], s[34:35], exec
	s_waitcnt vmcnt(0)
	v_cmp_le_i16_e64 s[6:7], v10, v11
	v_cmp_lt_i16_e32 vcc, v10, v11
	s_and_b64 s[6:7], s[6:7], s[40:41]
	s_or_b64 s[44:45], vcc, s[6:7]
	s_and_b64 s[6:7], s[44:45], exec
	v_cmp_eq_u16_e64 s[8:9], v10, v11
	s_or_b64 s[6:7], s[42:43], s[6:7]
	s_and_saveexec_b64 s[42:43], s[8:9]
	s_cbranch_execz .LBB629_713
; %bb.715:                              ;   in Loop: Header=BB629_714 Depth=1
	s_add_u32 s38, s38, -1
	s_addc_u32 s39, s39, -1
	v_add_co_u32_e32 v4, vcc, 2, v4
	s_cmp_eq_u64 s[38:39], 0
	v_addc_co_u32_e32 v5, vcc, 0, v5, vcc
	s_cselect_b64 s[8:9], -1, 0
	v_add_co_u32_e32 v6, vcc, 2, v6
	s_andn2_b64 s[36:37], s[36:37], exec
	s_and_b64 s[40:41], s[44:45], exec
	s_andn2_b64 s[34:35], s[34:35], exec
	s_and_b64 s[8:9], s[8:9], exec
	v_addc_co_u32_e32 v7, vcc, 0, v7, vcc
	s_or_b64 s[36:37], s[36:37], s[40:41]
	s_andn2_b64 s[6:7], s[6:7], exec
	s_or_b64 s[34:35], s[34:35], s[8:9]
                                        ; implicit-def: $sgpr40_sgpr41
	s_branch .LBB629_713
.LBB629_716:
	s_or_b64 exec, exec, s[28:29]
	s_xor_b64 s[6:7], s[30:31], -1
	s_branch .LBB629_718
.LBB629_717:
	s_mov_b64 s[6:7], -1
.LBB629_718:
	s_andn2_b64 s[8:9], s[12:13], exec
	s_and_b64 s[6:7], s[6:7], exec
	s_or_b64 s[12:13], s[8:9], s[6:7]
.LBB629_719:
	s_or_b64 exec, exec, s[26:27]
	v_cndmask_b32_e64 v4, v9, v8, s[12:13]
	v_cndmask_b32_e64 v5, v23, v22, s[12:13]
	v_add_u32_e32 v6, 1, v4
	v_add_u32_e32 v4, -1, v5
	v_min_u32_e32 v4, v6, v4
	v_lshl_add_u32 v4, v4, 3, v18
	ds_read_b64 v[4:5], v4
	v_cndmask_b32_e64 v9, v6, v9, s[12:13]
	v_cndmask_b32_e64 v8, v8, v6, s[12:13]
	v_cmp_lt_u32_e32 vcc, v9, v23
	s_waitcnt lgkmcnt(0)
	v_cndmask_b32_e64 v24, v5, v3, s[12:13]
	v_cndmask_b32_e64 v25, v4, v2, s[12:13]
	v_cndmask_b32_e64 v28, v1, v5, s[12:13]
	v_cndmask_b32_e64 v29, v0, v4, s[12:13]
	s_and_saveexec_b64 s[26:27], vcc
	s_cbranch_execz .LBB629_730
; %bb.720:
	v_cmp_lt_u32_e32 vcc, v8, v22
	s_mov_b64 s[6:7], 0
	s_and_saveexec_b64 s[14:15], vcc
	s_cbranch_execz .LBB629_729
; %bb.721:
	s_andn2_b64 vcc, exec, s[22:23]
	s_cbranch_vccnz .LBB629_727
; %bb.722:
	v_mul_lo_u32 v6, v24, s16
	v_mul_lo_u32 v7, v25, s17
	v_mad_u64_u32 v[4:5], s[6:7], v25, s16, 0
	v_add3_u32 v5, v5, v7, v6
	v_lshlrev_b64 v[4:5], 1, v[4:5]
	v_mov_b32_e32 v6, s19
	v_add_co_u32_e32 v4, vcc, s18, v4
	v_addc_co_u32_e32 v5, vcc, v6, v5, vcc
	v_mul_lo_u32 v10, v28, s16
	v_mul_lo_u32 v11, v29, s17
	v_mad_u64_u32 v[6:7], s[6:7], v29, s16, 0
	v_add3_u32 v7, v7, v11, v10
	v_lshlrev_b64 v[6:7], 1, v[6:7]
	v_mov_b32_e32 v10, s19
	v_add_co_u32_e32 v6, vcc, s18, v6
	v_addc_co_u32_e32 v7, vcc, v10, v7, vcc
	s_mov_b64 s[28:29], 0
	s_mov_b64 s[38:39], s[16:17]
                                        ; implicit-def: $sgpr30_sgpr31
                                        ; implicit-def: $sgpr34_sgpr35
                                        ; implicit-def: $sgpr6_sgpr7
                                        ; implicit-def: $sgpr36_sgpr37
                                        ; implicit-def: $sgpr40_sgpr41
	s_branch .LBB629_724
.LBB629_723:                            ;   in Loop: Header=BB629_724 Depth=1
	s_or_b64 exec, exec, s[42:43]
	s_and_b64 s[8:9], exec, s[34:35]
	s_or_b64 s[28:29], s[8:9], s[28:29]
	s_andn2_b64 s[8:9], s[40:41], exec
	s_and_b64 s[40:41], s[36:37], exec
	s_or_b64 s[40:41], s[8:9], s[40:41]
	s_andn2_b64 s[8:9], s[30:31], exec
	s_and_b64 s[30:31], s[6:7], exec
	s_or_b64 s[30:31], s[8:9], s[30:31]
	s_andn2_b64 exec, exec, s[28:29]
	s_cbranch_execz .LBB629_726
.LBB629_724:                            ; =>This Inner Loop Header: Depth=1
	global_load_ushort v10, v[4:5], off
	global_load_ushort v11, v[6:7], off
	s_andn2_b64 s[42:43], s[6:7], exec
	s_andn2_b64 s[36:37], s[36:37], exec
	s_or_b64 s[34:35], s[34:35], exec
	s_waitcnt vmcnt(0)
	v_cmp_le_i16_e64 s[6:7], v10, v11
	v_cmp_lt_i16_e32 vcc, v10, v11
	s_and_b64 s[6:7], s[6:7], s[40:41]
	s_or_b64 s[44:45], vcc, s[6:7]
	s_and_b64 s[6:7], s[44:45], exec
	v_cmp_eq_u16_e64 s[8:9], v10, v11
	s_or_b64 s[6:7], s[42:43], s[6:7]
	s_and_saveexec_b64 s[42:43], s[8:9]
	s_cbranch_execz .LBB629_723
; %bb.725:                              ;   in Loop: Header=BB629_724 Depth=1
	s_add_u32 s38, s38, -1
	s_addc_u32 s39, s39, -1
	v_add_co_u32_e32 v4, vcc, 2, v4
	s_cmp_eq_u64 s[38:39], 0
	v_addc_co_u32_e32 v5, vcc, 0, v5, vcc
	s_cselect_b64 s[8:9], -1, 0
	v_add_co_u32_e32 v6, vcc, 2, v6
	s_andn2_b64 s[36:37], s[36:37], exec
	s_and_b64 s[40:41], s[44:45], exec
	s_andn2_b64 s[34:35], s[34:35], exec
	s_and_b64 s[8:9], s[8:9], exec
	v_addc_co_u32_e32 v7, vcc, 0, v7, vcc
	s_or_b64 s[36:37], s[36:37], s[40:41]
	s_andn2_b64 s[6:7], s[6:7], exec
	s_or_b64 s[34:35], s[34:35], s[8:9]
                                        ; implicit-def: $sgpr40_sgpr41
	s_branch .LBB629_723
.LBB629_726:
	s_or_b64 exec, exec, s[28:29]
	s_xor_b64 s[6:7], s[30:31], -1
	s_branch .LBB629_728
.LBB629_727:
	s_mov_b64 s[6:7], -1
.LBB629_728:
	s_and_b64 s[6:7], s[6:7], exec
.LBB629_729:
	s_or_b64 exec, exec, s[14:15]
	s_orn2_b64 s[14:15], s[6:7], exec
.LBB629_730:
	s_or_b64 exec, exec, s[26:27]
	v_cndmask_b32_e64 v4, v9, v8, s[14:15]
	v_cndmask_b32_e64 v5, v23, v22, s[14:15]
	v_add_u32_e32 v6, 1, v4
	v_add_u32_e32 v4, -1, v5
	v_min_u32_e32 v4, v6, v4
	v_lshl_add_u32 v4, v4, 3, v18
	ds_read_b64 v[4:5], v4
	v_cndmask_b32_e64 v9, v6, v9, s[14:15]
	v_cndmask_b32_e64 v8, v8, v6, s[14:15]
	v_cmp_lt_u32_e32 vcc, v9, v23
	s_mov_b64 s[26:27], -1
	s_waitcnt lgkmcnt(0)
	v_cndmask_b32_e64 v30, v5, v24, s[14:15]
	v_cndmask_b32_e64 v31, v4, v25, s[14:15]
	;; [unrolled: 1-line block ×4, first 2 shown]
	s_and_saveexec_b64 s[28:29], vcc
	s_cbranch_execz .LBB629_741
; %bb.731:
	v_cmp_lt_u32_e32 vcc, v8, v22
	s_mov_b64 s[6:7], 0
	s_and_saveexec_b64 s[26:27], vcc
	s_cbranch_execz .LBB629_740
; %bb.732:
	s_andn2_b64 vcc, exec, s[22:23]
	s_cbranch_vccnz .LBB629_738
; %bb.733:
	v_mul_lo_u32 v6, v30, s16
	v_mul_lo_u32 v7, v31, s17
	v_mad_u64_u32 v[4:5], s[6:7], v31, s16, 0
	v_add3_u32 v5, v5, v7, v6
	v_lshlrev_b64 v[4:5], 1, v[4:5]
	v_mov_b32_e32 v6, s19
	v_add_co_u32_e32 v4, vcc, s18, v4
	v_addc_co_u32_e32 v5, vcc, v6, v5, vcc
	v_mul_lo_u32 v10, v32, s16
	v_mul_lo_u32 v11, v33, s17
	v_mad_u64_u32 v[6:7], s[6:7], v33, s16, 0
	v_add3_u32 v7, v7, v11, v10
	v_lshlrev_b64 v[6:7], 1, v[6:7]
	v_mov_b32_e32 v10, s19
	v_add_co_u32_e32 v6, vcc, s18, v6
	v_addc_co_u32_e32 v7, vcc, v10, v7, vcc
	s_mov_b64 s[30:31], 0
	s_mov_b64 s[40:41], s[16:17]
                                        ; implicit-def: $sgpr34_sgpr35
                                        ; implicit-def: $sgpr36_sgpr37
                                        ; implicit-def: $sgpr6_sgpr7
                                        ; implicit-def: $sgpr38_sgpr39
                                        ; implicit-def: $sgpr42_sgpr43
	s_branch .LBB629_735
.LBB629_734:                            ;   in Loop: Header=BB629_735 Depth=1
	s_or_b64 exec, exec, s[44:45]
	s_and_b64 s[8:9], exec, s[36:37]
	s_or_b64 s[30:31], s[8:9], s[30:31]
	s_andn2_b64 s[8:9], s[42:43], exec
	s_and_b64 s[42:43], s[38:39], exec
	s_or_b64 s[42:43], s[8:9], s[42:43]
	s_andn2_b64 s[8:9], s[34:35], exec
	s_and_b64 s[34:35], s[6:7], exec
	s_or_b64 s[34:35], s[8:9], s[34:35]
	s_andn2_b64 exec, exec, s[30:31]
	s_cbranch_execz .LBB629_737
.LBB629_735:                            ; =>This Inner Loop Header: Depth=1
	global_load_ushort v10, v[4:5], off
	global_load_ushort v11, v[6:7], off
	s_andn2_b64 s[44:45], s[6:7], exec
	s_andn2_b64 s[38:39], s[38:39], exec
	s_or_b64 s[36:37], s[36:37], exec
	s_waitcnt vmcnt(0)
	v_cmp_le_i16_e64 s[6:7], v10, v11
	v_cmp_lt_i16_e32 vcc, v10, v11
	s_and_b64 s[6:7], s[6:7], s[42:43]
	s_or_b64 s[46:47], vcc, s[6:7]
	s_and_b64 s[6:7], s[46:47], exec
	v_cmp_eq_u16_e64 s[8:9], v10, v11
	s_or_b64 s[6:7], s[44:45], s[6:7]
	s_and_saveexec_b64 s[44:45], s[8:9]
	s_cbranch_execz .LBB629_734
; %bb.736:                              ;   in Loop: Header=BB629_735 Depth=1
	s_add_u32 s40, s40, -1
	s_addc_u32 s41, s41, -1
	v_add_co_u32_e32 v4, vcc, 2, v4
	s_cmp_eq_u64 s[40:41], 0
	v_addc_co_u32_e32 v5, vcc, 0, v5, vcc
	s_cselect_b64 s[8:9], -1, 0
	v_add_co_u32_e32 v6, vcc, 2, v6
	s_andn2_b64 s[38:39], s[38:39], exec
	s_and_b64 s[42:43], s[46:47], exec
	s_andn2_b64 s[36:37], s[36:37], exec
	s_and_b64 s[8:9], s[8:9], exec
	v_addc_co_u32_e32 v7, vcc, 0, v7, vcc
	s_or_b64 s[38:39], s[38:39], s[42:43]
	s_andn2_b64 s[6:7], s[6:7], exec
	s_or_b64 s[36:37], s[36:37], s[8:9]
                                        ; implicit-def: $sgpr42_sgpr43
	s_branch .LBB629_734
.LBB629_737:
	s_or_b64 exec, exec, s[30:31]
	s_xor_b64 s[6:7], s[34:35], -1
	s_branch .LBB629_739
.LBB629_738:
	s_mov_b64 s[6:7], -1
.LBB629_739:
	s_and_b64 s[6:7], s[6:7], exec
.LBB629_740:
	s_or_b64 exec, exec, s[26:27]
	s_orn2_b64 s[26:27], s[6:7], exec
.LBB629_741:
	s_or_b64 exec, exec, s[28:29]
	v_cndmask_b32_e64 v4, v9, v8, s[26:27]
	v_cndmask_b32_e64 v5, v23, v22, s[26:27]
	v_add_u32_e32 v10, 1, v4
	v_add_u32_e32 v4, -1, v5
	v_min_u32_e32 v4, v10, v4
	v_lshl_add_u32 v4, v4, 3, v18
	ds_read_b64 v[4:5], v4
	v_cndmask_b32_e64 v9, v10, v9, s[26:27]
	v_cmp_lt_u32_e32 vcc, v9, v23
	s_waitcnt lgkmcnt(0)
	v_cndmask_b32_e64 v7, v32, v5, s[26:27]
	v_cndmask_b32_e64 v6, v33, v4, s[26:27]
	s_and_saveexec_b64 s[28:29], vcc
	s_cbranch_execz .LBB629_751
; %bb.742:
	v_cndmask_b32_e64 v8, v8, v10, s[26:27]
	v_cndmask_b32_e64 v5, v5, v30, s[26:27]
	;; [unrolled: 1-line block ×3, first 2 shown]
	v_cmp_lt_u32_e32 vcc, v8, v22
	s_and_saveexec_b64 s[30:31], vcc
	s_cbranch_execz .LBB629_750
; %bb.743:
	s_andn2_b64 vcc, exec, s[22:23]
	s_cbranch_vccnz .LBB629_749
; %bb.744:
	v_mul_lo_u32 v10, v5, s16
	v_mul_lo_u32 v11, v4, s17
	v_mad_u64_u32 v[8:9], s[6:7], v4, s16, 0
	v_add3_u32 v9, v9, v11, v10
	v_lshlrev_b64 v[8:9], 1, v[8:9]
	v_mov_b32_e32 v10, s19
	v_add_co_u32_e32 v8, vcc, s18, v8
	v_addc_co_u32_e32 v9, vcc, v10, v9, vcc
	v_mul_lo_u32 v22, v7, s16
	v_mul_lo_u32 v23, v6, s17
	v_mad_u64_u32 v[10:11], s[6:7], v6, s16, 0
	v_add3_u32 v11, v11, v23, v22
	v_lshlrev_b64 v[10:11], 1, v[10:11]
	v_mov_b32_e32 v22, s19
	v_add_co_u32_e32 v10, vcc, s18, v10
	v_addc_co_u32_e32 v11, vcc, v22, v11, vcc
	s_mov_b64 s[34:35], 0
	s_mov_b64 s[42:43], s[16:17]
                                        ; implicit-def: $sgpr36_sgpr37
                                        ; implicit-def: $sgpr38_sgpr39
                                        ; implicit-def: $sgpr6_sgpr7
                                        ; implicit-def: $sgpr40_sgpr41
                                        ; implicit-def: $sgpr44_sgpr45
	s_branch .LBB629_746
.LBB629_745:                            ;   in Loop: Header=BB629_746 Depth=1
	s_or_b64 exec, exec, s[46:47]
	s_and_b64 s[8:9], exec, s[38:39]
	s_or_b64 s[34:35], s[8:9], s[34:35]
	s_andn2_b64 s[8:9], s[44:45], exec
	s_and_b64 s[44:45], s[40:41], exec
	s_or_b64 s[44:45], s[8:9], s[44:45]
	s_andn2_b64 s[8:9], s[36:37], exec
	s_and_b64 s[36:37], s[6:7], exec
	s_or_b64 s[36:37], s[8:9], s[36:37]
	s_andn2_b64 exec, exec, s[34:35]
	s_cbranch_execz .LBB629_748
.LBB629_746:                            ; =>This Inner Loop Header: Depth=1
	global_load_ushort v22, v[8:9], off
	global_load_ushort v23, v[10:11], off
	s_andn2_b64 s[46:47], s[6:7], exec
	s_andn2_b64 s[40:41], s[40:41], exec
	s_or_b64 s[38:39], s[38:39], exec
	s_waitcnt vmcnt(0)
	v_cmp_le_i16_e64 s[6:7], v22, v23
	v_cmp_lt_i16_e32 vcc, v22, v23
	s_and_b64 s[6:7], s[6:7], s[44:45]
	s_or_b64 s[48:49], vcc, s[6:7]
	s_and_b64 s[6:7], s[48:49], exec
	v_cmp_eq_u16_e64 s[8:9], v22, v23
	s_or_b64 s[6:7], s[46:47], s[6:7]
	s_and_saveexec_b64 s[46:47], s[8:9]
	s_cbranch_execz .LBB629_745
; %bb.747:                              ;   in Loop: Header=BB629_746 Depth=1
	s_add_u32 s42, s42, -1
	s_addc_u32 s43, s43, -1
	v_add_co_u32_e32 v8, vcc, 2, v8
	s_cmp_eq_u64 s[42:43], 0
	v_addc_co_u32_e32 v9, vcc, 0, v9, vcc
	s_cselect_b64 s[8:9], -1, 0
	v_add_co_u32_e32 v10, vcc, 2, v10
	s_andn2_b64 s[40:41], s[40:41], exec
	s_and_b64 s[44:45], s[48:49], exec
	s_andn2_b64 s[38:39], s[38:39], exec
	s_and_b64 s[8:9], s[8:9], exec
	v_addc_co_u32_e32 v11, vcc, 0, v11, vcc
	s_or_b64 s[40:41], s[40:41], s[44:45]
	s_andn2_b64 s[6:7], s[6:7], exec
	s_or_b64 s[38:39], s[38:39], s[8:9]
                                        ; implicit-def: $sgpr44_sgpr45
	s_branch .LBB629_745
.LBB629_748:
	s_or_b64 exec, exec, s[34:35]
	v_cndmask_b32_e64 v7, v7, v5, s[36:37]
	v_cndmask_b32_e64 v6, v6, v4, s[36:37]
.LBB629_749:
	v_pk_mov_b32 v[4:5], v[6:7], v[6:7] op_sel:[0,1]
.LBB629_750:
	s_or_b64 exec, exec, s[30:31]
	v_pk_mov_b32 v[6:7], v[4:5], v[4:5] op_sel:[0,1]
.LBB629_751:
	s_or_b64 exec, exec, s[28:29]
	v_cndmask_b32_e64 v1, v3, v1, s[12:13]
	v_cndmask_b32_e64 v0, v2, v0, s[12:13]
	;; [unrolled: 1-line block ×6, first 2 shown]
.LBB629_752:
	s_or_b64 exec, exec, s[10:11]
	v_and_b32_e32 v23, 0x1c0, v20
	v_or_b32_e32 v8, 32, v23
	; wave barrier
	ds_write_b128 v21, v[0:3]
	ds_write_b128 v21, v[4:7] offset:16
	v_min_u32_e32 v21, v19, v8
	v_add_u32_e32 v8, 32, v21
	v_min_u32_e32 v22, v19, v8
	v_and_b32_e32 v8, 60, v20
	v_min_u32_e32 v24, v19, v8
	v_sub_u32_e32 v8, v21, v23
	v_sub_u32_e32 v9, v22, v21
	v_sub_u32_e64 v20, v24, v9 clamp
	v_min_u32_e32 v25, v24, v8
	v_lshl_add_u32 v19, v23, 3, v18
	v_cmp_lt_u32_e32 vcc, v20, v25
	; wave barrier
	s_and_saveexec_b64 s[12:13], vcc
	s_cbranch_execz .LBB629_762
; %bb.753:
	v_lshlrev_b32_e32 v8, 3, v21
	v_lshlrev_b32_e32 v9, 3, v24
	v_add3_u32 v28, v18, v8, v9
	v_cndmask_b32_e64 v8, 0, 1, s[22:23]
	s_lshl_b64 s[26:27], s[16:17], 1
	s_mov_b64 s[14:15], 0
	v_cmp_ne_u32_e64 s[6:7], 1, v8
	s_branch .LBB629_756
.LBB629_754:                            ;   in Loop: Header=BB629_756 Depth=1
	s_or_b64 exec, exec, s[30:31]
.LBB629_755:                            ;   in Loop: Header=BB629_756 Depth=1
	v_add_u32_e32 v8, 1, v29
	v_cndmask_b32_e64 v25, v25, v29, s[28:29]
	v_cndmask_b32_e64 v20, v8, v20, s[28:29]
	v_cmp_ge_u32_e32 vcc, v20, v25
	s_or_b64 s[14:15], vcc, s[14:15]
	s_andn2_b64 exec, exec, s[14:15]
	s_cbranch_execz .LBB629_761
.LBB629_756:                            ; =>This Loop Header: Depth=1
                                        ;     Child Loop BB629_759 Depth 2
	v_add_u32_e32 v8, v25, v20
	v_lshrrev_b32_e32 v29, 1, v8
	s_and_b64 vcc, exec, s[6:7]
	s_mov_b64 s[28:29], 0
	s_cbranch_vccnz .LBB629_755
; %bb.757:                              ;   in Loop: Header=BB629_756 Depth=1
	v_not_b32_e32 v8, v29
	v_lshl_add_u32 v8, v8, 3, v28
	ds_read_b64 v[8:9], v8
	v_lshl_add_u32 v30, v29, 3, v19
	ds_read_b64 v[30:31], v30
	v_pk_mov_b32 v[10:11], s[18:19], s[18:19] op_sel:[0,1]
	s_mov_b64 s[30:31], 0
	s_waitcnt lgkmcnt(1)
	v_mul_lo_u32 v32, s26, v9
	v_mul_lo_u32 v33, s27, v8
	v_mad_u64_u32 v[8:9], s[8:9], s26, v8, v[10:11]
	v_add3_u32 v9, v33, v9, v32
	s_waitcnt lgkmcnt(0)
	v_mul_lo_u32 v31, s26, v31
	v_mul_lo_u32 v32, s27, v30
	v_mad_u64_u32 v[10:11], s[8:9], s26, v30, v[10:11]
	v_add3_u32 v11, v32, v11, v31
	s_mov_b64 s[38:39], s[16:17]
                                        ; implicit-def: $sgpr28_sgpr29
                                        ; implicit-def: $sgpr34_sgpr35
                                        ; implicit-def: $sgpr36_sgpr37
                                        ; implicit-def: $sgpr8_sgpr9
                                        ; implicit-def: $sgpr40_sgpr41
	s_branch .LBB629_759
.LBB629_758:                            ;   in Loop: Header=BB629_759 Depth=2
	s_or_b64 exec, exec, s[42:43]
	s_and_b64 s[10:11], exec, s[34:35]
	s_or_b64 s[30:31], s[10:11], s[30:31]
	s_andn2_b64 s[10:11], s[40:41], exec
	s_and_b64 s[40:41], s[36:37], exec
	s_or_b64 s[40:41], s[10:11], s[40:41]
	s_andn2_b64 s[10:11], s[28:29], exec
	s_and_b64 s[28:29], s[8:9], exec
	s_or_b64 s[28:29], s[10:11], s[28:29]
	s_andn2_b64 exec, exec, s[30:31]
	s_cbranch_execz .LBB629_754
.LBB629_759:                            ;   Parent Loop BB629_756 Depth=1
                                        ; =>  This Inner Loop Header: Depth=2
	global_load_ushort v30, v[8:9], off
	global_load_ushort v31, v[10:11], off
	s_andn2_b64 s[42:43], s[8:9], exec
	s_andn2_b64 s[36:37], s[36:37], exec
	s_or_b64 s[34:35], s[34:35], exec
	s_waitcnt vmcnt(0)
	v_cmp_le_i16_e64 s[8:9], v30, v31
	v_cmp_lt_i16_e32 vcc, v30, v31
	s_and_b64 s[8:9], s[8:9], s[40:41]
	s_or_b64 s[44:45], vcc, s[8:9]
	s_and_b64 s[8:9], s[44:45], exec
	v_cmp_eq_u16_e64 s[10:11], v30, v31
	s_or_b64 s[8:9], s[42:43], s[8:9]
	s_and_saveexec_b64 s[42:43], s[10:11]
	s_cbranch_execz .LBB629_758
; %bb.760:                              ;   in Loop: Header=BB629_759 Depth=2
	s_add_u32 s38, s38, -1
	s_addc_u32 s39, s39, -1
	v_add_co_u32_e32 v8, vcc, 2, v8
	s_cmp_eq_u64 s[38:39], 0
	v_addc_co_u32_e32 v9, vcc, 0, v9, vcc
	s_cselect_b64 s[10:11], -1, 0
	v_add_co_u32_e32 v10, vcc, 2, v10
	s_andn2_b64 s[36:37], s[36:37], exec
	s_and_b64 s[40:41], s[44:45], exec
	s_andn2_b64 s[34:35], s[34:35], exec
	s_and_b64 s[10:11], s[10:11], exec
	v_addc_co_u32_e32 v11, vcc, 0, v11, vcc
	s_andn2_b64 s[8:9], s[8:9], exec
	s_or_b64 s[36:37], s[36:37], s[40:41]
	s_or_b64 s[34:35], s[34:35], s[10:11]
                                        ; implicit-def: $sgpr40_sgpr41
	s_branch .LBB629_758
.LBB629_761:
	s_or_b64 exec, exec, s[14:15]
.LBB629_762:
	s_or_b64 exec, exec, s[12:13]
	v_add_u32_e32 v9, v21, v24
	v_add_u32_e32 v8, v20, v23
	v_sub_u32_e32 v9, v9, v20
	v_cmp_le_u32_e32 vcc, v8, v21
	v_cmp_le_u32_e64 s[6:7], v9, v22
	s_or_b64 s[6:7], vcc, s[6:7]
	s_and_saveexec_b64 s[10:11], s[6:7]
	s_cbranch_execz .LBB629_809
; %bb.763:
	v_cmp_ge_u32_e32 vcc, v8, v21
	v_cmp_lt_u32_e64 s[6:7], v8, v21
                                        ; implicit-def: $vgpr0_vgpr1
	s_and_saveexec_b64 s[8:9], s[6:7]
	s_cbranch_execz .LBB629_765
; %bb.764:
	v_lshl_add_u32 v0, v20, 3, v19
	ds_read_b64 v[0:1], v0
.LBB629_765:
	s_or_b64 exec, exec, s[8:9]
	v_cmp_ge_u32_e64 s[12:13], v9, v22
	v_cmp_lt_u32_e64 s[6:7], v9, v22
                                        ; implicit-def: $vgpr2_vgpr3
	s_and_saveexec_b64 s[8:9], s[6:7]
	s_cbranch_execz .LBB629_767
; %bb.766:
	v_lshl_add_u32 v2, v9, 3, v18
	ds_read_b64 v[2:3], v2
.LBB629_767:
	s_or_b64 exec, exec, s[8:9]
	s_or_b64 s[6:7], vcc, s[12:13]
	s_mov_b64 s[14:15], -1
	s_xor_b64 s[6:7], s[6:7], -1
	s_and_saveexec_b64 s[26:27], s[6:7]
	s_cbranch_execz .LBB629_776
; %bb.768:
	s_andn2_b64 vcc, exec, s[22:23]
	s_cbranch_vccnz .LBB629_774
; %bb.769:
	s_waitcnt lgkmcnt(0)
	v_mul_lo_u32 v6, v3, s16
	v_mul_lo_u32 v7, v2, s17
	v_mad_u64_u32 v[4:5], s[6:7], v2, s16, 0
	v_add3_u32 v5, v5, v7, v6
	v_lshlrev_b64 v[4:5], 1, v[4:5]
	v_mov_b32_e32 v6, s19
	v_add_co_u32_e32 v4, vcc, s18, v4
	v_addc_co_u32_e32 v5, vcc, v6, v5, vcc
	v_mul_lo_u32 v10, v1, s16
	v_mul_lo_u32 v11, v0, s17
	v_mad_u64_u32 v[6:7], s[6:7], v0, s16, 0
	v_add3_u32 v7, v7, v11, v10
	v_lshlrev_b64 v[6:7], 1, v[6:7]
	v_mov_b32_e32 v10, s19
	v_add_co_u32_e32 v6, vcc, s18, v6
	v_addc_co_u32_e32 v7, vcc, v10, v7, vcc
	s_mov_b64 s[28:29], 0
	s_mov_b64 s[38:39], s[16:17]
                                        ; implicit-def: $sgpr30_sgpr31
                                        ; implicit-def: $sgpr34_sgpr35
                                        ; implicit-def: $sgpr6_sgpr7
                                        ; implicit-def: $sgpr36_sgpr37
                                        ; implicit-def: $sgpr40_sgpr41
	s_branch .LBB629_771
.LBB629_770:                            ;   in Loop: Header=BB629_771 Depth=1
	s_or_b64 exec, exec, s[42:43]
	s_and_b64 s[8:9], exec, s[34:35]
	s_or_b64 s[28:29], s[8:9], s[28:29]
	s_andn2_b64 s[8:9], s[40:41], exec
	s_and_b64 s[40:41], s[36:37], exec
	s_or_b64 s[40:41], s[8:9], s[40:41]
	s_andn2_b64 s[8:9], s[30:31], exec
	s_and_b64 s[30:31], s[6:7], exec
	s_or_b64 s[30:31], s[8:9], s[30:31]
	s_andn2_b64 exec, exec, s[28:29]
	s_cbranch_execz .LBB629_773
.LBB629_771:                            ; =>This Inner Loop Header: Depth=1
	global_load_ushort v10, v[4:5], off
	global_load_ushort v11, v[6:7], off
	s_andn2_b64 s[42:43], s[6:7], exec
	s_andn2_b64 s[36:37], s[36:37], exec
	s_or_b64 s[34:35], s[34:35], exec
	s_waitcnt vmcnt(0)
	v_cmp_le_i16_e64 s[6:7], v10, v11
	v_cmp_lt_i16_e32 vcc, v10, v11
	s_and_b64 s[6:7], s[6:7], s[40:41]
	s_or_b64 s[44:45], vcc, s[6:7]
	s_and_b64 s[6:7], s[44:45], exec
	v_cmp_eq_u16_e64 s[8:9], v10, v11
	s_or_b64 s[6:7], s[42:43], s[6:7]
	s_and_saveexec_b64 s[42:43], s[8:9]
	s_cbranch_execz .LBB629_770
; %bb.772:                              ;   in Loop: Header=BB629_771 Depth=1
	s_add_u32 s38, s38, -1
	s_addc_u32 s39, s39, -1
	v_add_co_u32_e32 v4, vcc, 2, v4
	s_cmp_eq_u64 s[38:39], 0
	v_addc_co_u32_e32 v5, vcc, 0, v5, vcc
	s_cselect_b64 s[8:9], -1, 0
	v_add_co_u32_e32 v6, vcc, 2, v6
	s_andn2_b64 s[36:37], s[36:37], exec
	s_and_b64 s[40:41], s[44:45], exec
	s_andn2_b64 s[34:35], s[34:35], exec
	s_and_b64 s[8:9], s[8:9], exec
	v_addc_co_u32_e32 v7, vcc, 0, v7, vcc
	s_or_b64 s[36:37], s[36:37], s[40:41]
	s_andn2_b64 s[6:7], s[6:7], exec
	s_or_b64 s[34:35], s[34:35], s[8:9]
                                        ; implicit-def: $sgpr40_sgpr41
	s_branch .LBB629_770
.LBB629_773:
	s_or_b64 exec, exec, s[28:29]
	s_xor_b64 s[6:7], s[30:31], -1
	s_branch .LBB629_775
.LBB629_774:
	s_mov_b64 s[6:7], -1
.LBB629_775:
	s_andn2_b64 s[8:9], s[12:13], exec
	s_and_b64 s[6:7], s[6:7], exec
	s_or_b64 s[12:13], s[8:9], s[6:7]
.LBB629_776:
	s_or_b64 exec, exec, s[26:27]
	v_cndmask_b32_e64 v4, v9, v8, s[12:13]
	v_cndmask_b32_e64 v5, v22, v21, s[12:13]
	v_add_u32_e32 v6, 1, v4
	v_add_u32_e32 v4, -1, v5
	v_min_u32_e32 v4, v6, v4
	v_lshl_add_u32 v4, v4, 3, v18
	ds_read_b64 v[4:5], v4
	v_cndmask_b32_e64 v9, v6, v9, s[12:13]
	v_cndmask_b32_e64 v8, v8, v6, s[12:13]
	v_cmp_lt_u32_e32 vcc, v9, v22
	s_waitcnt lgkmcnt(0)
	v_cndmask_b32_e64 v19, v5, v3, s[12:13]
	v_cndmask_b32_e64 v20, v4, v2, s[12:13]
	;; [unrolled: 1-line block ×4, first 2 shown]
	s_and_saveexec_b64 s[26:27], vcc
	s_cbranch_execz .LBB629_787
; %bb.777:
	v_cmp_lt_u32_e32 vcc, v8, v21
	s_mov_b64 s[6:7], 0
	s_and_saveexec_b64 s[14:15], vcc
	s_cbranch_execz .LBB629_786
; %bb.778:
	s_andn2_b64 vcc, exec, s[22:23]
	s_cbranch_vccnz .LBB629_784
; %bb.779:
	v_mul_lo_u32 v6, v19, s16
	v_mul_lo_u32 v7, v20, s17
	v_mad_u64_u32 v[4:5], s[6:7], v20, s16, 0
	v_add3_u32 v5, v5, v7, v6
	v_lshlrev_b64 v[4:5], 1, v[4:5]
	v_mov_b32_e32 v6, s19
	v_add_co_u32_e32 v4, vcc, s18, v4
	v_addc_co_u32_e32 v5, vcc, v6, v5, vcc
	v_mul_lo_u32 v10, v23, s16
	v_mul_lo_u32 v11, v24, s17
	v_mad_u64_u32 v[6:7], s[6:7], v24, s16, 0
	v_add3_u32 v7, v7, v11, v10
	v_lshlrev_b64 v[6:7], 1, v[6:7]
	v_mov_b32_e32 v10, s19
	v_add_co_u32_e32 v6, vcc, s18, v6
	v_addc_co_u32_e32 v7, vcc, v10, v7, vcc
	s_mov_b64 s[28:29], 0
	s_mov_b64 s[38:39], s[16:17]
                                        ; implicit-def: $sgpr30_sgpr31
                                        ; implicit-def: $sgpr34_sgpr35
                                        ; implicit-def: $sgpr6_sgpr7
                                        ; implicit-def: $sgpr36_sgpr37
                                        ; implicit-def: $sgpr40_sgpr41
	s_branch .LBB629_781
.LBB629_780:                            ;   in Loop: Header=BB629_781 Depth=1
	s_or_b64 exec, exec, s[42:43]
	s_and_b64 s[8:9], exec, s[34:35]
	s_or_b64 s[28:29], s[8:9], s[28:29]
	s_andn2_b64 s[8:9], s[40:41], exec
	s_and_b64 s[40:41], s[36:37], exec
	s_or_b64 s[40:41], s[8:9], s[40:41]
	s_andn2_b64 s[8:9], s[30:31], exec
	s_and_b64 s[30:31], s[6:7], exec
	s_or_b64 s[30:31], s[8:9], s[30:31]
	s_andn2_b64 exec, exec, s[28:29]
	s_cbranch_execz .LBB629_783
.LBB629_781:                            ; =>This Inner Loop Header: Depth=1
	global_load_ushort v10, v[4:5], off
	global_load_ushort v11, v[6:7], off
	s_andn2_b64 s[42:43], s[6:7], exec
	s_andn2_b64 s[36:37], s[36:37], exec
	s_or_b64 s[34:35], s[34:35], exec
	s_waitcnt vmcnt(0)
	v_cmp_le_i16_e64 s[6:7], v10, v11
	v_cmp_lt_i16_e32 vcc, v10, v11
	s_and_b64 s[6:7], s[6:7], s[40:41]
	s_or_b64 s[44:45], vcc, s[6:7]
	s_and_b64 s[6:7], s[44:45], exec
	v_cmp_eq_u16_e64 s[8:9], v10, v11
	s_or_b64 s[6:7], s[42:43], s[6:7]
	s_and_saveexec_b64 s[42:43], s[8:9]
	s_cbranch_execz .LBB629_780
; %bb.782:                              ;   in Loop: Header=BB629_781 Depth=1
	s_add_u32 s38, s38, -1
	s_addc_u32 s39, s39, -1
	v_add_co_u32_e32 v4, vcc, 2, v4
	s_cmp_eq_u64 s[38:39], 0
	v_addc_co_u32_e32 v5, vcc, 0, v5, vcc
	s_cselect_b64 s[8:9], -1, 0
	v_add_co_u32_e32 v6, vcc, 2, v6
	s_andn2_b64 s[36:37], s[36:37], exec
	s_and_b64 s[40:41], s[44:45], exec
	s_andn2_b64 s[34:35], s[34:35], exec
	s_and_b64 s[8:9], s[8:9], exec
	v_addc_co_u32_e32 v7, vcc, 0, v7, vcc
	s_or_b64 s[36:37], s[36:37], s[40:41]
	s_andn2_b64 s[6:7], s[6:7], exec
	s_or_b64 s[34:35], s[34:35], s[8:9]
                                        ; implicit-def: $sgpr40_sgpr41
	s_branch .LBB629_780
.LBB629_783:
	s_or_b64 exec, exec, s[28:29]
	s_xor_b64 s[6:7], s[30:31], -1
	s_branch .LBB629_785
.LBB629_784:
	s_mov_b64 s[6:7], -1
.LBB629_785:
	s_and_b64 s[6:7], s[6:7], exec
.LBB629_786:
	s_or_b64 exec, exec, s[14:15]
	s_orn2_b64 s[14:15], s[6:7], exec
.LBB629_787:
	s_or_b64 exec, exec, s[26:27]
	v_cndmask_b32_e64 v4, v9, v8, s[14:15]
	v_cndmask_b32_e64 v5, v22, v21, s[14:15]
	v_add_u32_e32 v6, 1, v4
	v_add_u32_e32 v4, -1, v5
	v_min_u32_e32 v4, v6, v4
	v_lshl_add_u32 v4, v4, 3, v18
	ds_read_b64 v[4:5], v4
	v_cndmask_b32_e64 v9, v6, v9, s[14:15]
	v_cndmask_b32_e64 v8, v8, v6, s[14:15]
	v_cmp_lt_u32_e32 vcc, v9, v22
	s_mov_b64 s[26:27], -1
	s_waitcnt lgkmcnt(0)
	v_cndmask_b32_e64 v25, v5, v19, s[14:15]
	v_cndmask_b32_e64 v28, v4, v20, s[14:15]
	;; [unrolled: 1-line block ×4, first 2 shown]
	s_and_saveexec_b64 s[28:29], vcc
	s_cbranch_execz .LBB629_798
; %bb.788:
	v_cmp_lt_u32_e32 vcc, v8, v21
	s_mov_b64 s[6:7], 0
	s_and_saveexec_b64 s[26:27], vcc
	s_cbranch_execz .LBB629_797
; %bb.789:
	s_andn2_b64 vcc, exec, s[22:23]
	s_cbranch_vccnz .LBB629_795
; %bb.790:
	v_mul_lo_u32 v6, v25, s16
	v_mul_lo_u32 v7, v28, s17
	v_mad_u64_u32 v[4:5], s[6:7], v28, s16, 0
	v_add3_u32 v5, v5, v7, v6
	v_lshlrev_b64 v[4:5], 1, v[4:5]
	v_mov_b32_e32 v6, s19
	v_add_co_u32_e32 v4, vcc, s18, v4
	v_addc_co_u32_e32 v5, vcc, v6, v5, vcc
	v_mul_lo_u32 v10, v29, s16
	v_mul_lo_u32 v11, v30, s17
	v_mad_u64_u32 v[6:7], s[6:7], v30, s16, 0
	v_add3_u32 v7, v7, v11, v10
	v_lshlrev_b64 v[6:7], 1, v[6:7]
	v_mov_b32_e32 v10, s19
	v_add_co_u32_e32 v6, vcc, s18, v6
	v_addc_co_u32_e32 v7, vcc, v10, v7, vcc
	s_mov_b64 s[30:31], 0
	s_mov_b64 s[40:41], s[16:17]
                                        ; implicit-def: $sgpr34_sgpr35
                                        ; implicit-def: $sgpr36_sgpr37
                                        ; implicit-def: $sgpr6_sgpr7
                                        ; implicit-def: $sgpr38_sgpr39
                                        ; implicit-def: $sgpr42_sgpr43
	s_branch .LBB629_792
.LBB629_791:                            ;   in Loop: Header=BB629_792 Depth=1
	s_or_b64 exec, exec, s[44:45]
	s_and_b64 s[8:9], exec, s[36:37]
	s_or_b64 s[30:31], s[8:9], s[30:31]
	s_andn2_b64 s[8:9], s[42:43], exec
	s_and_b64 s[42:43], s[38:39], exec
	s_or_b64 s[42:43], s[8:9], s[42:43]
	s_andn2_b64 s[8:9], s[34:35], exec
	s_and_b64 s[34:35], s[6:7], exec
	s_or_b64 s[34:35], s[8:9], s[34:35]
	s_andn2_b64 exec, exec, s[30:31]
	s_cbranch_execz .LBB629_794
.LBB629_792:                            ; =>This Inner Loop Header: Depth=1
	global_load_ushort v10, v[4:5], off
	global_load_ushort v11, v[6:7], off
	s_andn2_b64 s[44:45], s[6:7], exec
	s_andn2_b64 s[38:39], s[38:39], exec
	s_or_b64 s[36:37], s[36:37], exec
	s_waitcnt vmcnt(0)
	v_cmp_le_i16_e64 s[6:7], v10, v11
	v_cmp_lt_i16_e32 vcc, v10, v11
	s_and_b64 s[6:7], s[6:7], s[42:43]
	s_or_b64 s[46:47], vcc, s[6:7]
	s_and_b64 s[6:7], s[46:47], exec
	v_cmp_eq_u16_e64 s[8:9], v10, v11
	s_or_b64 s[6:7], s[44:45], s[6:7]
	s_and_saveexec_b64 s[44:45], s[8:9]
	s_cbranch_execz .LBB629_791
; %bb.793:                              ;   in Loop: Header=BB629_792 Depth=1
	s_add_u32 s40, s40, -1
	s_addc_u32 s41, s41, -1
	v_add_co_u32_e32 v4, vcc, 2, v4
	s_cmp_eq_u64 s[40:41], 0
	v_addc_co_u32_e32 v5, vcc, 0, v5, vcc
	s_cselect_b64 s[8:9], -1, 0
	v_add_co_u32_e32 v6, vcc, 2, v6
	s_andn2_b64 s[38:39], s[38:39], exec
	s_and_b64 s[42:43], s[46:47], exec
	s_andn2_b64 s[36:37], s[36:37], exec
	s_and_b64 s[8:9], s[8:9], exec
	v_addc_co_u32_e32 v7, vcc, 0, v7, vcc
	s_or_b64 s[38:39], s[38:39], s[42:43]
	s_andn2_b64 s[6:7], s[6:7], exec
	s_or_b64 s[36:37], s[36:37], s[8:9]
                                        ; implicit-def: $sgpr42_sgpr43
	s_branch .LBB629_791
.LBB629_794:
	s_or_b64 exec, exec, s[30:31]
	s_xor_b64 s[6:7], s[34:35], -1
	s_branch .LBB629_796
.LBB629_795:
	s_mov_b64 s[6:7], -1
.LBB629_796:
	s_and_b64 s[6:7], s[6:7], exec
.LBB629_797:
	s_or_b64 exec, exec, s[26:27]
	s_orn2_b64 s[26:27], s[6:7], exec
.LBB629_798:
	s_or_b64 exec, exec, s[28:29]
	v_cndmask_b32_e64 v4, v9, v8, s[26:27]
	v_cndmask_b32_e64 v5, v22, v21, s[26:27]
	v_add_u32_e32 v10, 1, v4
	v_add_u32_e32 v4, -1, v5
	v_min_u32_e32 v4, v10, v4
	v_lshl_add_u32 v4, v4, 3, v18
	ds_read_b64 v[4:5], v4
	v_cndmask_b32_e64 v9, v10, v9, s[26:27]
	v_cmp_lt_u32_e32 vcc, v9, v22
	s_waitcnt lgkmcnt(0)
	v_cndmask_b32_e64 v7, v29, v5, s[26:27]
	v_cndmask_b32_e64 v6, v30, v4, s[26:27]
	s_and_saveexec_b64 s[28:29], vcc
	s_cbranch_execz .LBB629_808
; %bb.799:
	v_cndmask_b32_e64 v8, v8, v10, s[26:27]
	v_cndmask_b32_e64 v5, v5, v25, s[26:27]
	;; [unrolled: 1-line block ×3, first 2 shown]
	v_cmp_lt_u32_e32 vcc, v8, v21
	s_and_saveexec_b64 s[30:31], vcc
	s_cbranch_execz .LBB629_807
; %bb.800:
	s_andn2_b64 vcc, exec, s[22:23]
	s_cbranch_vccnz .LBB629_806
; %bb.801:
	v_mul_lo_u32 v10, v5, s16
	v_mul_lo_u32 v11, v4, s17
	v_mad_u64_u32 v[8:9], s[6:7], v4, s16, 0
	v_add3_u32 v9, v9, v11, v10
	v_lshlrev_b64 v[8:9], 1, v[8:9]
	v_mov_b32_e32 v10, s19
	v_add_co_u32_e32 v8, vcc, s18, v8
	v_addc_co_u32_e32 v9, vcc, v10, v9, vcc
	v_mul_lo_u32 v18, v7, s16
	v_mul_lo_u32 v21, v6, s17
	v_mad_u64_u32 v[10:11], s[6:7], v6, s16, 0
	v_add3_u32 v11, v11, v21, v18
	v_lshlrev_b64 v[10:11], 1, v[10:11]
	v_mov_b32_e32 v18, s19
	v_add_co_u32_e32 v10, vcc, s18, v10
	v_addc_co_u32_e32 v11, vcc, v18, v11, vcc
	s_mov_b64 s[34:35], 0
	s_mov_b64 s[42:43], s[16:17]
                                        ; implicit-def: $sgpr36_sgpr37
                                        ; implicit-def: $sgpr38_sgpr39
                                        ; implicit-def: $sgpr6_sgpr7
                                        ; implicit-def: $sgpr40_sgpr41
                                        ; implicit-def: $sgpr44_sgpr45
	s_branch .LBB629_803
.LBB629_802:                            ;   in Loop: Header=BB629_803 Depth=1
	s_or_b64 exec, exec, s[46:47]
	s_and_b64 s[8:9], exec, s[38:39]
	s_or_b64 s[34:35], s[8:9], s[34:35]
	s_andn2_b64 s[8:9], s[44:45], exec
	s_and_b64 s[44:45], s[40:41], exec
	s_or_b64 s[44:45], s[8:9], s[44:45]
	s_andn2_b64 s[8:9], s[36:37], exec
	s_and_b64 s[36:37], s[6:7], exec
	s_or_b64 s[36:37], s[8:9], s[36:37]
	s_andn2_b64 exec, exec, s[34:35]
	s_cbranch_execz .LBB629_805
.LBB629_803:                            ; =>This Inner Loop Header: Depth=1
	global_load_ushort v18, v[8:9], off
	global_load_ushort v21, v[10:11], off
	s_andn2_b64 s[46:47], s[6:7], exec
	s_andn2_b64 s[40:41], s[40:41], exec
	s_or_b64 s[38:39], s[38:39], exec
	s_waitcnt vmcnt(0)
	v_cmp_le_i16_e64 s[6:7], v18, v21
	v_cmp_lt_i16_e32 vcc, v18, v21
	s_and_b64 s[6:7], s[6:7], s[44:45]
	s_or_b64 s[48:49], vcc, s[6:7]
	s_and_b64 s[6:7], s[48:49], exec
	v_cmp_eq_u16_e64 s[8:9], v18, v21
	s_or_b64 s[6:7], s[46:47], s[6:7]
	s_and_saveexec_b64 s[46:47], s[8:9]
	s_cbranch_execz .LBB629_802
; %bb.804:                              ;   in Loop: Header=BB629_803 Depth=1
	s_add_u32 s42, s42, -1
	s_addc_u32 s43, s43, -1
	v_add_co_u32_e32 v8, vcc, 2, v8
	s_cmp_eq_u64 s[42:43], 0
	v_addc_co_u32_e32 v9, vcc, 0, v9, vcc
	s_cselect_b64 s[8:9], -1, 0
	v_add_co_u32_e32 v10, vcc, 2, v10
	s_andn2_b64 s[40:41], s[40:41], exec
	s_and_b64 s[44:45], s[48:49], exec
	s_andn2_b64 s[38:39], s[38:39], exec
	s_and_b64 s[8:9], s[8:9], exec
	v_addc_co_u32_e32 v11, vcc, 0, v11, vcc
	s_or_b64 s[40:41], s[40:41], s[44:45]
	s_andn2_b64 s[6:7], s[6:7], exec
	s_or_b64 s[38:39], s[38:39], s[8:9]
                                        ; implicit-def: $sgpr44_sgpr45
	s_branch .LBB629_802
.LBB629_805:
	s_or_b64 exec, exec, s[34:35]
	v_cndmask_b32_e64 v7, v7, v5, s[36:37]
	v_cndmask_b32_e64 v6, v6, v4, s[36:37]
.LBB629_806:
	v_pk_mov_b32 v[4:5], v[6:7], v[6:7] op_sel:[0,1]
.LBB629_807:
	s_or_b64 exec, exec, s[30:31]
	v_pk_mov_b32 v[6:7], v[4:5], v[4:5] op_sel:[0,1]
.LBB629_808:
	s_or_b64 exec, exec, s[28:29]
	v_cndmask_b32_e64 v1, v3, v1, s[12:13]
	v_cndmask_b32_e64 v0, v2, v0, s[12:13]
	;; [unrolled: 1-line block ×6, first 2 shown]
.LBB629_809:
	s_or_b64 exec, exec, s[10:11]
	s_cmpk_lt_u32 s33, 0x41
	; wave barrier
	s_waitcnt lgkmcnt(0)
	s_barrier
	s_cbranch_scc1 .LBB629_869
; %bb.810:
	v_cndmask_b32_e64 v8, 0, 1, s[22:23]
	v_lshlrev_b32_e32 v18, 3, v27
	s_lshl_b64 s[12:13], s[16:17], 1
	s_mov_b32 s52, 64
	v_cmp_ne_u32_e64 s[6:7], 1, v8
	s_branch .LBB629_816
.LBB629_811:                            ;   in Loop: Header=BB629_816 Depth=1
	s_or_b64 exec, exec, s[36:37]
	v_cndmask_b32_e64 v7, v7, v5, s[38:39]
	v_cndmask_b32_e64 v6, v6, v4, s[38:39]
.LBB629_812:                            ;   in Loop: Header=BB629_816 Depth=1
	v_pk_mov_b32 v[4:5], v[6:7], v[6:7] op_sel:[0,1]
.LBB629_813:                            ;   in Loop: Header=BB629_816 Depth=1
	s_or_b64 exec, exec, s[34:35]
	v_pk_mov_b32 v[6:7], v[4:5], v[4:5] op_sel:[0,1]
.LBB629_814:                            ;   in Loop: Header=BB629_816 Depth=1
	s_or_b64 exec, exec, s[30:31]
	v_cndmask_b32_e64 v1, v3, v1, s[22:23]
	v_cndmask_b32_e64 v0, v2, v0, s[22:23]
	;; [unrolled: 1-line block ×6, first 2 shown]
.LBB629_815:                            ;   in Loop: Header=BB629_816 Depth=1
	s_or_b64 exec, exec, s[14:15]
	s_cmp_lt_u32 s52, s33
	s_barrier
	s_cbranch_scc0 .LBB629_869
.LBB629_816:                            ; =>This Loop Header: Depth=1
                                        ;     Child Loop BB629_820 Depth 2
                                        ;       Child Loop BB629_823 Depth 3
                                        ;     Child Loop BB629_835 Depth 2
                                        ;     Child Loop BB629_845 Depth 2
	;; [unrolled: 1-line block ×4, first 2 shown]
	s_mov_b32 s8, s52
	s_lshl_b32 s52, s52, 1
	s_sub_i32 s10, 0, s52
	v_and_b32_e32 v23, s10, v27
	v_add_u32_e32 v8, s8, v23
	v_min_u32_e32 v19, s33, v8
	s_add_i32 s9, s52, -1
	v_add_u32_e32 v8, s8, v19
	v_min_u32_e32 v20, s33, v8
	v_and_b32_e32 v8, s9, v27
	v_min_u32_e32 v24, s33, v8
	v_sub_u32_e32 v8, v19, v23
	v_sub_u32_e32 v9, v20, v19
	v_sub_u32_e64 v22, v24, v9 clamp
	v_min_u32_e32 v25, v24, v8
	v_lshlrev_b32_e32 v21, 3, v23
	v_cmp_lt_u32_e32 vcc, v22, v25
	ds_write_b128 v18, v[0:3]
	ds_write_b128 v18, v[4:7] offset:16
	s_waitcnt lgkmcnt(0)
	s_barrier
	s_and_saveexec_b64 s[14:15], vcc
	s_cbranch_execz .LBB629_826
; %bb.817:                              ;   in Loop: Header=BB629_816 Depth=1
	v_lshlrev_b32_e32 v8, 3, v24
	v_lshl_add_u32 v28, v19, 3, v8
	s_mov_b64 s[22:23], 0
	s_branch .LBB629_820
.LBB629_818:                            ;   in Loop: Header=BB629_820 Depth=2
	s_or_b64 exec, exec, s[28:29]
.LBB629_819:                            ;   in Loop: Header=BB629_820 Depth=2
	v_add_u32_e32 v8, 1, v29
	v_cndmask_b32_e64 v25, v25, v29, s[26:27]
	v_cndmask_b32_e64 v22, v8, v22, s[26:27]
	v_cmp_ge_u32_e32 vcc, v22, v25
	s_or_b64 s[22:23], vcc, s[22:23]
	s_andn2_b64 exec, exec, s[22:23]
	s_cbranch_execz .LBB629_825
.LBB629_820:                            ;   Parent Loop BB629_816 Depth=1
                                        ; =>  This Loop Header: Depth=2
                                        ;       Child Loop BB629_823 Depth 3
	v_add_u32_e32 v8, v25, v22
	v_lshrrev_b32_e32 v29, 1, v8
	s_and_b64 vcc, exec, s[6:7]
	s_mov_b64 s[26:27], 0
	s_cbranch_vccnz .LBB629_819
; %bb.821:                              ;   in Loop: Header=BB629_820 Depth=2
	v_not_b32_e32 v8, v29
	v_lshl_add_u32 v8, v8, 3, v28
	ds_read_b64 v[8:9], v8
	v_lshl_add_u32 v30, v29, 3, v21
	ds_read_b64 v[30:31], v30
	v_pk_mov_b32 v[10:11], s[18:19], s[18:19] op_sel:[0,1]
	s_mov_b64 s[28:29], 0
	s_waitcnt lgkmcnt(1)
	v_mul_lo_u32 v32, s12, v9
	v_mul_lo_u32 v33, s13, v8
	v_mad_u64_u32 v[8:9], s[8:9], s12, v8, v[10:11]
	v_add3_u32 v9, v33, v9, v32
	s_waitcnt lgkmcnt(0)
	v_mul_lo_u32 v31, s12, v31
	v_mul_lo_u32 v32, s13, v30
	v_mad_u64_u32 v[10:11], s[8:9], s12, v30, v[10:11]
	v_add3_u32 v11, v32, v11, v31
	s_mov_b64 s[36:37], s[16:17]
                                        ; implicit-def: $sgpr26_sgpr27
                                        ; implicit-def: $sgpr30_sgpr31
                                        ; implicit-def: $sgpr34_sgpr35
                                        ; implicit-def: $sgpr8_sgpr9
                                        ; implicit-def: $sgpr38_sgpr39
	s_branch .LBB629_823
.LBB629_822:                            ;   in Loop: Header=BB629_823 Depth=3
	s_or_b64 exec, exec, s[40:41]
	s_and_b64 s[10:11], exec, s[30:31]
	s_or_b64 s[28:29], s[10:11], s[28:29]
	s_andn2_b64 s[10:11], s[38:39], exec
	s_and_b64 s[38:39], s[34:35], exec
	s_or_b64 s[38:39], s[10:11], s[38:39]
	s_andn2_b64 s[10:11], s[26:27], exec
	s_and_b64 s[26:27], s[8:9], exec
	s_or_b64 s[26:27], s[10:11], s[26:27]
	s_andn2_b64 exec, exec, s[28:29]
	s_cbranch_execz .LBB629_818
.LBB629_823:                            ;   Parent Loop BB629_816 Depth=1
                                        ;     Parent Loop BB629_820 Depth=2
                                        ; =>    This Inner Loop Header: Depth=3
	global_load_ushort v30, v[8:9], off
	global_load_ushort v31, v[10:11], off
	s_andn2_b64 s[40:41], s[8:9], exec
	s_andn2_b64 s[34:35], s[34:35], exec
	s_or_b64 s[30:31], s[30:31], exec
	s_waitcnt vmcnt(0)
	v_cmp_le_i16_e64 s[8:9], v30, v31
	v_cmp_lt_i16_e32 vcc, v30, v31
	s_and_b64 s[8:9], s[8:9], s[38:39]
	s_or_b64 s[42:43], vcc, s[8:9]
	s_and_b64 s[8:9], s[42:43], exec
	v_cmp_eq_u16_e64 s[10:11], v30, v31
	s_or_b64 s[8:9], s[40:41], s[8:9]
	s_and_saveexec_b64 s[40:41], s[10:11]
	s_cbranch_execz .LBB629_822
; %bb.824:                              ;   in Loop: Header=BB629_823 Depth=3
	s_add_u32 s36, s36, -1
	s_addc_u32 s37, s37, -1
	v_add_co_u32_e32 v8, vcc, 2, v8
	s_cmp_eq_u64 s[36:37], 0
	v_addc_co_u32_e32 v9, vcc, 0, v9, vcc
	s_cselect_b64 s[10:11], -1, 0
	v_add_co_u32_e32 v10, vcc, 2, v10
	s_andn2_b64 s[34:35], s[34:35], exec
	s_and_b64 s[38:39], s[42:43], exec
	s_andn2_b64 s[30:31], s[30:31], exec
	s_and_b64 s[10:11], s[10:11], exec
	v_addc_co_u32_e32 v11, vcc, 0, v11, vcc
	s_andn2_b64 s[8:9], s[8:9], exec
	s_or_b64 s[34:35], s[34:35], s[38:39]
	s_or_b64 s[30:31], s[30:31], s[10:11]
                                        ; implicit-def: $sgpr38_sgpr39
	s_branch .LBB629_822
.LBB629_825:                            ;   in Loop: Header=BB629_816 Depth=1
	s_or_b64 exec, exec, s[22:23]
.LBB629_826:                            ;   in Loop: Header=BB629_816 Depth=1
	s_or_b64 exec, exec, s[14:15]
	v_sub_u32_e32 v9, v24, v22
	v_add_u32_e32 v8, v22, v23
	v_add_u32_e32 v9, v9, v19
	v_cmp_le_u32_e32 vcc, v8, v19
	v_cmp_le_u32_e64 s[8:9], v9, v20
	s_or_b64 s[8:9], vcc, s[8:9]
	s_and_saveexec_b64 s[14:15], s[8:9]
	s_cbranch_execz .LBB629_815
; %bb.827:                              ;   in Loop: Header=BB629_816 Depth=1
	v_cmp_ge_u32_e32 vcc, v8, v19
	v_cmp_lt_u32_e64 s[8:9], v8, v19
                                        ; implicit-def: $vgpr0_vgpr1
	s_and_saveexec_b64 s[10:11], s[8:9]
	s_cbranch_execz .LBB629_829
; %bb.828:                              ;   in Loop: Header=BB629_816 Depth=1
	v_lshl_add_u32 v0, v22, 3, v21
	ds_read_b64 v[0:1], v0
.LBB629_829:                            ;   in Loop: Header=BB629_816 Depth=1
	s_or_b64 exec, exec, s[10:11]
	v_cmp_ge_u32_e64 s[22:23], v9, v20
	v_cmp_lt_u32_e64 s[8:9], v9, v20
                                        ; implicit-def: $vgpr2_vgpr3
	s_and_saveexec_b64 s[10:11], s[8:9]
	s_cbranch_execz .LBB629_831
; %bb.830:                              ;   in Loop: Header=BB629_816 Depth=1
	v_lshlrev_b32_e32 v2, 3, v9
	ds_read_b64 v[2:3], v2
.LBB629_831:                            ;   in Loop: Header=BB629_816 Depth=1
	s_or_b64 exec, exec, s[10:11]
	s_or_b64 s[8:9], vcc, s[22:23]
	s_xor_b64 s[8:9], s[8:9], -1
	s_and_saveexec_b64 s[26:27], s[8:9]
	s_cbranch_execz .LBB629_840
; %bb.832:                              ;   in Loop: Header=BB629_816 Depth=1
	s_and_b64 vcc, exec, s[6:7]
	s_cbranch_vccnz .LBB629_838
; %bb.833:                              ;   in Loop: Header=BB629_816 Depth=1
	v_pk_mov_b32 v[6:7], s[18:19], s[18:19] op_sel:[0,1]
	s_waitcnt lgkmcnt(0)
	v_mad_u64_u32 v[4:5], s[8:9], s12, v2, v[6:7]
	v_mul_lo_u32 v10, s12, v3
	v_mul_lo_u32 v11, s13, v2
	v_add3_u32 v5, v11, v5, v10
	v_mad_u64_u32 v[6:7], s[8:9], s12, v0, v[6:7]
	v_mul_lo_u32 v10, s12, v1
	v_mul_lo_u32 v11, s13, v0
	v_add3_u32 v7, v11, v7, v10
	s_mov_b64 s[28:29], 0
	s_mov_b64 s[38:39], s[16:17]
                                        ; implicit-def: $sgpr30_sgpr31
                                        ; implicit-def: $sgpr34_sgpr35
                                        ; implicit-def: $sgpr8_sgpr9
                                        ; implicit-def: $sgpr36_sgpr37
                                        ; implicit-def: $sgpr40_sgpr41
	s_branch .LBB629_835
.LBB629_834:                            ;   in Loop: Header=BB629_835 Depth=2
	s_or_b64 exec, exec, s[42:43]
	s_and_b64 s[10:11], exec, s[34:35]
	s_or_b64 s[28:29], s[10:11], s[28:29]
	s_andn2_b64 s[10:11], s[40:41], exec
	s_and_b64 s[40:41], s[36:37], exec
	s_or_b64 s[40:41], s[10:11], s[40:41]
	s_andn2_b64 s[10:11], s[30:31], exec
	s_and_b64 s[30:31], s[8:9], exec
	s_or_b64 s[30:31], s[10:11], s[30:31]
	s_andn2_b64 exec, exec, s[28:29]
	s_cbranch_execz .LBB629_837
.LBB629_835:                            ;   Parent Loop BB629_816 Depth=1
                                        ; =>  This Inner Loop Header: Depth=2
	global_load_ushort v10, v[4:5], off
	global_load_ushort v11, v[6:7], off
	s_andn2_b64 s[42:43], s[8:9], exec
	s_andn2_b64 s[36:37], s[36:37], exec
	s_or_b64 s[34:35], s[34:35], exec
	s_waitcnt vmcnt(0)
	v_cmp_le_i16_e64 s[8:9], v10, v11
	v_cmp_lt_i16_e32 vcc, v10, v11
	s_and_b64 s[8:9], s[8:9], s[40:41]
	s_or_b64 s[44:45], vcc, s[8:9]
	s_and_b64 s[8:9], s[44:45], exec
	v_cmp_eq_u16_e64 s[10:11], v10, v11
	s_or_b64 s[8:9], s[42:43], s[8:9]
	s_and_saveexec_b64 s[42:43], s[10:11]
	s_cbranch_execz .LBB629_834
; %bb.836:                              ;   in Loop: Header=BB629_835 Depth=2
	s_add_u32 s38, s38, -1
	s_addc_u32 s39, s39, -1
	v_add_co_u32_e32 v4, vcc, 2, v4
	s_cmp_eq_u64 s[38:39], 0
	v_addc_co_u32_e32 v5, vcc, 0, v5, vcc
	s_cselect_b64 s[10:11], -1, 0
	v_add_co_u32_e32 v6, vcc, 2, v6
	s_andn2_b64 s[36:37], s[36:37], exec
	s_and_b64 s[40:41], s[44:45], exec
	s_andn2_b64 s[34:35], s[34:35], exec
	s_and_b64 s[10:11], s[10:11], exec
	v_addc_co_u32_e32 v7, vcc, 0, v7, vcc
	s_or_b64 s[36:37], s[36:37], s[40:41]
	s_andn2_b64 s[8:9], s[8:9], exec
	s_or_b64 s[34:35], s[34:35], s[10:11]
                                        ; implicit-def: $sgpr40_sgpr41
	s_branch .LBB629_834
.LBB629_837:                            ;   in Loop: Header=BB629_816 Depth=1
	s_or_b64 exec, exec, s[28:29]
	s_xor_b64 s[8:9], s[30:31], -1
	s_branch .LBB629_839
.LBB629_838:                            ;   in Loop: Header=BB629_816 Depth=1
	s_mov_b64 s[8:9], -1
.LBB629_839:                            ;   in Loop: Header=BB629_816 Depth=1
	s_andn2_b64 s[10:11], s[22:23], exec
	s_and_b64 s[8:9], s[8:9], exec
	s_or_b64 s[22:23], s[10:11], s[8:9]
.LBB629_840:                            ;   in Loop: Header=BB629_816 Depth=1
	s_or_b64 exec, exec, s[26:27]
	v_cndmask_b32_e64 v4, v9, v8, s[22:23]
	v_cndmask_b32_e64 v5, v20, v19, s[22:23]
	v_add_u32_e32 v6, 1, v4
	v_add_u32_e32 v4, -1, v5
	v_min_u32_e32 v4, v6, v4
	v_lshlrev_b32_e32 v4, 3, v4
	ds_read_b64 v[4:5], v4
	v_cndmask_b32_e64 v9, v6, v9, s[22:23]
	v_cndmask_b32_e64 v8, v8, v6, s[22:23]
	v_cmp_lt_u32_e32 vcc, v9, v20
	s_mov_b64 s[26:27], -1
	s_waitcnt lgkmcnt(0)
	v_cndmask_b32_e64 v21, v5, v3, s[22:23]
	v_cndmask_b32_e64 v22, v4, v2, s[22:23]
	;; [unrolled: 1-line block ×4, first 2 shown]
	s_mov_b64 s[28:29], -1
	s_and_saveexec_b64 s[30:31], vcc
	s_cbranch_execz .LBB629_851
; %bb.841:                              ;   in Loop: Header=BB629_816 Depth=1
	v_cmp_lt_u32_e32 vcc, v8, v19
	s_mov_b64 s[8:9], 0
	s_and_saveexec_b64 s[28:29], vcc
	s_cbranch_execz .LBB629_850
; %bb.842:                              ;   in Loop: Header=BB629_816 Depth=1
	s_and_b64 vcc, exec, s[6:7]
	s_cbranch_vccnz .LBB629_848
; %bb.843:                              ;   in Loop: Header=BB629_816 Depth=1
	v_pk_mov_b32 v[6:7], s[18:19], s[18:19] op_sel:[0,1]
	v_mad_u64_u32 v[4:5], s[8:9], s12, v22, v[6:7]
	v_mul_lo_u32 v10, s12, v21
	v_mul_lo_u32 v11, s13, v22
	v_add3_u32 v5, v11, v5, v10
	v_mad_u64_u32 v[6:7], s[8:9], s12, v24, v[6:7]
	v_mul_lo_u32 v10, s12, v23
	v_mul_lo_u32 v11, s13, v24
	v_add3_u32 v7, v11, v7, v10
	s_mov_b64 s[34:35], 0
	s_mov_b64 s[42:43], s[16:17]
                                        ; implicit-def: $sgpr36_sgpr37
                                        ; implicit-def: $sgpr38_sgpr39
                                        ; implicit-def: $sgpr8_sgpr9
                                        ; implicit-def: $sgpr40_sgpr41
                                        ; implicit-def: $sgpr44_sgpr45
	s_branch .LBB629_845
.LBB629_844:                            ;   in Loop: Header=BB629_845 Depth=2
	s_or_b64 exec, exec, s[46:47]
	s_and_b64 s[10:11], exec, s[38:39]
	s_or_b64 s[34:35], s[10:11], s[34:35]
	s_andn2_b64 s[10:11], s[44:45], exec
	s_and_b64 s[44:45], s[40:41], exec
	s_or_b64 s[44:45], s[10:11], s[44:45]
	s_andn2_b64 s[10:11], s[36:37], exec
	s_and_b64 s[36:37], s[8:9], exec
	s_or_b64 s[36:37], s[10:11], s[36:37]
	s_andn2_b64 exec, exec, s[34:35]
	s_cbranch_execz .LBB629_847
.LBB629_845:                            ;   Parent Loop BB629_816 Depth=1
                                        ; =>  This Inner Loop Header: Depth=2
	global_load_ushort v10, v[4:5], off
	global_load_ushort v11, v[6:7], off
	s_andn2_b64 s[46:47], s[8:9], exec
	s_andn2_b64 s[40:41], s[40:41], exec
	s_or_b64 s[38:39], s[38:39], exec
	s_waitcnt vmcnt(0)
	v_cmp_le_i16_e64 s[8:9], v10, v11
	v_cmp_lt_i16_e32 vcc, v10, v11
	s_and_b64 s[8:9], s[8:9], s[44:45]
	s_or_b64 s[48:49], vcc, s[8:9]
	s_and_b64 s[8:9], s[48:49], exec
	v_cmp_eq_u16_e64 s[10:11], v10, v11
	s_or_b64 s[8:9], s[46:47], s[8:9]
	s_and_saveexec_b64 s[46:47], s[10:11]
	s_cbranch_execz .LBB629_844
; %bb.846:                              ;   in Loop: Header=BB629_845 Depth=2
	s_add_u32 s42, s42, -1
	s_addc_u32 s43, s43, -1
	v_add_co_u32_e32 v4, vcc, 2, v4
	s_cmp_eq_u64 s[42:43], 0
	v_addc_co_u32_e32 v5, vcc, 0, v5, vcc
	s_cselect_b64 s[10:11], -1, 0
	v_add_co_u32_e32 v6, vcc, 2, v6
	s_andn2_b64 s[40:41], s[40:41], exec
	s_and_b64 s[44:45], s[48:49], exec
	s_andn2_b64 s[38:39], s[38:39], exec
	s_and_b64 s[10:11], s[10:11], exec
	v_addc_co_u32_e32 v7, vcc, 0, v7, vcc
	s_or_b64 s[40:41], s[40:41], s[44:45]
	s_andn2_b64 s[8:9], s[8:9], exec
	s_or_b64 s[38:39], s[38:39], s[10:11]
                                        ; implicit-def: $sgpr44_sgpr45
	s_branch .LBB629_844
.LBB629_847:                            ;   in Loop: Header=BB629_816 Depth=1
	s_or_b64 exec, exec, s[34:35]
	s_xor_b64 s[8:9], s[36:37], -1
	s_branch .LBB629_849
.LBB629_848:                            ;   in Loop: Header=BB629_816 Depth=1
	s_mov_b64 s[8:9], -1
.LBB629_849:                            ;   in Loop: Header=BB629_816 Depth=1
	s_and_b64 s[8:9], s[8:9], exec
.LBB629_850:                            ;   in Loop: Header=BB629_816 Depth=1
	s_or_b64 exec, exec, s[28:29]
	s_orn2_b64 s[28:29], s[8:9], exec
.LBB629_851:                            ;   in Loop: Header=BB629_816 Depth=1
	s_or_b64 exec, exec, s[30:31]
	v_cndmask_b32_e64 v4, v9, v8, s[28:29]
	v_cndmask_b32_e64 v5, v20, v19, s[28:29]
	v_add_u32_e32 v6, 1, v4
	v_add_u32_e32 v4, -1, v5
	v_min_u32_e32 v4, v6, v4
	v_lshlrev_b32_e32 v4, 3, v4
	ds_read_b64 v[4:5], v4
	v_cndmask_b32_e64 v9, v6, v9, s[28:29]
	v_cndmask_b32_e64 v8, v8, v6, s[28:29]
	v_cmp_lt_u32_e32 vcc, v9, v20
	s_waitcnt lgkmcnt(0)
	v_cndmask_b32_e64 v25, v5, v21, s[28:29]
	v_cndmask_b32_e64 v28, v4, v22, s[28:29]
	;; [unrolled: 1-line block ×4, first 2 shown]
	s_and_saveexec_b64 s[30:31], vcc
	s_cbranch_execz .LBB629_862
; %bb.852:                              ;   in Loop: Header=BB629_816 Depth=1
	v_cmp_lt_u32_e32 vcc, v8, v19
	s_mov_b64 s[8:9], 0
	s_and_saveexec_b64 s[26:27], vcc
	s_cbranch_execz .LBB629_861
; %bb.853:                              ;   in Loop: Header=BB629_816 Depth=1
	s_and_b64 vcc, exec, s[6:7]
	s_cbranch_vccnz .LBB629_859
; %bb.854:                              ;   in Loop: Header=BB629_816 Depth=1
	v_pk_mov_b32 v[6:7], s[18:19], s[18:19] op_sel:[0,1]
	v_mad_u64_u32 v[4:5], s[8:9], s12, v28, v[6:7]
	v_mul_lo_u32 v10, s12, v25
	v_mul_lo_u32 v11, s13, v28
	v_add3_u32 v5, v11, v5, v10
	v_mad_u64_u32 v[6:7], s[8:9], s12, v30, v[6:7]
	v_mul_lo_u32 v10, s12, v29
	v_mul_lo_u32 v11, s13, v30
	v_add3_u32 v7, v11, v7, v10
	s_mov_b64 s[34:35], 0
	s_mov_b64 s[42:43], s[16:17]
                                        ; implicit-def: $sgpr36_sgpr37
                                        ; implicit-def: $sgpr38_sgpr39
                                        ; implicit-def: $sgpr8_sgpr9
                                        ; implicit-def: $sgpr40_sgpr41
                                        ; implicit-def: $sgpr44_sgpr45
	s_branch .LBB629_856
.LBB629_855:                            ;   in Loop: Header=BB629_856 Depth=2
	s_or_b64 exec, exec, s[46:47]
	s_and_b64 s[10:11], exec, s[38:39]
	s_or_b64 s[34:35], s[10:11], s[34:35]
	s_andn2_b64 s[10:11], s[44:45], exec
	s_and_b64 s[44:45], s[40:41], exec
	s_or_b64 s[44:45], s[10:11], s[44:45]
	s_andn2_b64 s[10:11], s[36:37], exec
	s_and_b64 s[36:37], s[8:9], exec
	s_or_b64 s[36:37], s[10:11], s[36:37]
	s_andn2_b64 exec, exec, s[34:35]
	s_cbranch_execz .LBB629_858
.LBB629_856:                            ;   Parent Loop BB629_816 Depth=1
                                        ; =>  This Inner Loop Header: Depth=2
	global_load_ushort v10, v[4:5], off
	global_load_ushort v11, v[6:7], off
	s_andn2_b64 s[46:47], s[8:9], exec
	s_andn2_b64 s[40:41], s[40:41], exec
	s_or_b64 s[38:39], s[38:39], exec
	s_waitcnt vmcnt(0)
	v_cmp_le_i16_e64 s[8:9], v10, v11
	v_cmp_lt_i16_e32 vcc, v10, v11
	s_and_b64 s[8:9], s[8:9], s[44:45]
	s_or_b64 s[48:49], vcc, s[8:9]
	s_and_b64 s[8:9], s[48:49], exec
	v_cmp_eq_u16_e64 s[10:11], v10, v11
	s_or_b64 s[8:9], s[46:47], s[8:9]
	s_and_saveexec_b64 s[46:47], s[10:11]
	s_cbranch_execz .LBB629_855
; %bb.857:                              ;   in Loop: Header=BB629_856 Depth=2
	s_add_u32 s42, s42, -1
	s_addc_u32 s43, s43, -1
	v_add_co_u32_e32 v4, vcc, 2, v4
	s_cmp_eq_u64 s[42:43], 0
	v_addc_co_u32_e32 v5, vcc, 0, v5, vcc
	s_cselect_b64 s[10:11], -1, 0
	v_add_co_u32_e32 v6, vcc, 2, v6
	s_andn2_b64 s[40:41], s[40:41], exec
	s_and_b64 s[44:45], s[48:49], exec
	s_andn2_b64 s[38:39], s[38:39], exec
	s_and_b64 s[10:11], s[10:11], exec
	v_addc_co_u32_e32 v7, vcc, 0, v7, vcc
	s_or_b64 s[40:41], s[40:41], s[44:45]
	s_andn2_b64 s[8:9], s[8:9], exec
	s_or_b64 s[38:39], s[38:39], s[10:11]
                                        ; implicit-def: $sgpr44_sgpr45
	s_branch .LBB629_855
.LBB629_858:                            ;   in Loop: Header=BB629_816 Depth=1
	s_or_b64 exec, exec, s[34:35]
	s_xor_b64 s[8:9], s[36:37], -1
	s_branch .LBB629_860
.LBB629_859:                            ;   in Loop: Header=BB629_816 Depth=1
	s_mov_b64 s[8:9], -1
.LBB629_860:                            ;   in Loop: Header=BB629_816 Depth=1
	s_and_b64 s[8:9], s[8:9], exec
.LBB629_861:                            ;   in Loop: Header=BB629_816 Depth=1
	s_or_b64 exec, exec, s[26:27]
	s_orn2_b64 s[26:27], s[8:9], exec
.LBB629_862:                            ;   in Loop: Header=BB629_816 Depth=1
	s_or_b64 exec, exec, s[30:31]
	v_cndmask_b32_e64 v4, v9, v8, s[26:27]
	v_cndmask_b32_e64 v5, v20, v19, s[26:27]
	v_add_u32_e32 v10, 1, v4
	v_add_u32_e32 v4, -1, v5
	v_min_u32_e32 v4, v10, v4
	v_lshlrev_b32_e32 v4, 3, v4
	ds_read_b64 v[4:5], v4
	v_cndmask_b32_e64 v9, v10, v9, s[26:27]
	v_cmp_lt_u32_e32 vcc, v9, v20
	s_waitcnt lgkmcnt(0)
	v_cndmask_b32_e64 v7, v29, v5, s[26:27]
	v_cndmask_b32_e64 v6, v30, v4, s[26:27]
	s_and_saveexec_b64 s[30:31], vcc
	s_cbranch_execz .LBB629_814
; %bb.863:                              ;   in Loop: Header=BB629_816 Depth=1
	v_cndmask_b32_e64 v8, v8, v10, s[26:27]
	v_cndmask_b32_e64 v5, v5, v25, s[26:27]
	;; [unrolled: 1-line block ×3, first 2 shown]
	v_cmp_lt_u32_e32 vcc, v8, v19
	s_and_saveexec_b64 s[34:35], vcc
	s_cbranch_execz .LBB629_813
; %bb.864:                              ;   in Loop: Header=BB629_816 Depth=1
	s_and_b64 vcc, exec, s[6:7]
	s_cbranch_vccnz .LBB629_812
; %bb.865:                              ;   in Loop: Header=BB629_816 Depth=1
	v_pk_mov_b32 v[10:11], s[18:19], s[18:19] op_sel:[0,1]
	v_mad_u64_u32 v[8:9], s[8:9], s12, v4, v[10:11]
	v_mul_lo_u32 v19, s12, v5
	v_mul_lo_u32 v20, s13, v4
	v_add3_u32 v9, v20, v9, v19
	v_mad_u64_u32 v[10:11], s[8:9], s12, v6, v[10:11]
	v_mul_lo_u32 v19, s12, v7
	v_mul_lo_u32 v20, s13, v6
	v_add3_u32 v11, v20, v11, v19
	s_mov_b64 s[36:37], 0
	s_mov_b64 s[44:45], s[16:17]
                                        ; implicit-def: $sgpr38_sgpr39
                                        ; implicit-def: $sgpr40_sgpr41
                                        ; implicit-def: $sgpr8_sgpr9
                                        ; implicit-def: $sgpr42_sgpr43
                                        ; implicit-def: $sgpr46_sgpr47
	s_branch .LBB629_867
.LBB629_866:                            ;   in Loop: Header=BB629_867 Depth=2
	s_or_b64 exec, exec, s[48:49]
	s_and_b64 s[10:11], exec, s[40:41]
	s_or_b64 s[36:37], s[10:11], s[36:37]
	s_andn2_b64 s[10:11], s[46:47], exec
	s_and_b64 s[46:47], s[42:43], exec
	s_or_b64 s[46:47], s[10:11], s[46:47]
	s_andn2_b64 s[10:11], s[38:39], exec
	s_and_b64 s[38:39], s[8:9], exec
	s_or_b64 s[38:39], s[10:11], s[38:39]
	s_andn2_b64 exec, exec, s[36:37]
	s_cbranch_execz .LBB629_811
.LBB629_867:                            ;   Parent Loop BB629_816 Depth=1
                                        ; =>  This Inner Loop Header: Depth=2
	global_load_ushort v19, v[8:9], off
	global_load_ushort v20, v[10:11], off
	s_andn2_b64 s[48:49], s[8:9], exec
	s_andn2_b64 s[42:43], s[42:43], exec
	s_or_b64 s[40:41], s[40:41], exec
	s_waitcnt vmcnt(0)
	v_cmp_le_i16_e64 s[8:9], v19, v20
	v_cmp_lt_i16_e32 vcc, v19, v20
	s_and_b64 s[8:9], s[8:9], s[46:47]
	s_or_b64 s[50:51], vcc, s[8:9]
	s_and_b64 s[8:9], s[50:51], exec
	v_cmp_eq_u16_e64 s[10:11], v19, v20
	s_or_b64 s[8:9], s[48:49], s[8:9]
	s_and_saveexec_b64 s[48:49], s[10:11]
	s_cbranch_execz .LBB629_866
; %bb.868:                              ;   in Loop: Header=BB629_867 Depth=2
	s_add_u32 s44, s44, -1
	s_addc_u32 s45, s45, -1
	v_add_co_u32_e32 v8, vcc, 2, v8
	s_cmp_eq_u64 s[44:45], 0
	v_addc_co_u32_e32 v9, vcc, 0, v9, vcc
	s_cselect_b64 s[10:11], -1, 0
	v_add_co_u32_e32 v10, vcc, 2, v10
	s_andn2_b64 s[42:43], s[42:43], exec
	s_and_b64 s[46:47], s[50:51], exec
	s_andn2_b64 s[40:41], s[40:41], exec
	s_and_b64 s[10:11], s[10:11], exec
	v_addc_co_u32_e32 v11, vcc, 0, v11, vcc
	s_or_b64 s[42:43], s[42:43], s[46:47]
	s_andn2_b64 s[8:9], s[8:9], exec
	s_or_b64 s[40:41], s[40:41], s[10:11]
                                        ; implicit-def: $sgpr46_sgpr47
	s_branch .LBB629_866
.LBB629_869:
	s_barrier
	ds_write2_b64 v17, v[0:1], v[2:3] offset1:1
	ds_write2_b64 v17, v[4:5], v[6:7] offset0:2 offset1:3
	s_waitcnt lgkmcnt(0)
	s_barrier
	ds_read_b64 v[6:7], v13 offset:2048
	ds_read_b64 v[2:3], v15 offset:4096
	;; [unrolled: 1-line block ×3, first 2 shown]
	v_mov_b32_e32 v5, s21
	v_add_co_u32_e32 v4, vcc, s20, v26
	v_mov_b32_e32 v13, 0
	v_addc_co_u32_e32 v5, vcc, 0, v5, vcc
	s_and_saveexec_b64 s[6:7], s[0:1]
	s_cbranch_execnz .LBB629_877
; %bb.870:
	s_or_b64 exec, exec, s[6:7]
	s_and_saveexec_b64 s[0:1], s[2:3]
	s_cbranch_execnz .LBB629_878
.LBB629_871:
	s_or_b64 exec, exec, s[0:1]
	s_and_saveexec_b64 s[0:1], s[4:5]
	s_cbranch_execz .LBB629_873
.LBB629_872:
	v_add_co_u32_e32 v4, vcc, 0x1000, v4
	v_addc_co_u32_e32 v5, vcc, 0, v5, vcc
	s_waitcnt lgkmcnt(1)
	global_store_dwordx2 v[4:5], v[2:3], off
.LBB629_873:
	s_or_b64 exec, exec, s[0:1]
.LBB629_874:
	s_and_saveexec_b64 s[0:1], s[24:25]
	s_cbranch_execz .LBB629_876
; %bb.875:
	s_waitcnt lgkmcnt(1)
	v_lshlrev_b64 v[2:3], 3, v[12:13]
	v_mov_b32_e32 v4, s21
	v_add_co_u32_e32 v2, vcc, s20, v2
	v_addc_co_u32_e32 v3, vcc, v4, v3, vcc
	v_add_co_u32_e32 v2, vcc, 0x1000, v2
	v_addc_co_u32_e32 v3, vcc, 0, v3, vcc
	s_waitcnt lgkmcnt(0)
	global_store_dwordx2 v[2:3], v[0:1], off offset:2048
.LBB629_876:
	s_endpgm
.LBB629_877:
	ds_read_b64 v[8:9], v14
	s_waitcnt lgkmcnt(0)
	global_store_dwordx2 v[4:5], v[8:9], off
	s_or_b64 exec, exec, s[6:7]
	s_and_saveexec_b64 s[0:1], s[2:3]
	s_cbranch_execz .LBB629_871
.LBB629_878:
	s_waitcnt lgkmcnt(2)
	global_store_dwordx2 v[4:5], v[6:7], off offset:2048
	s_or_b64 exec, exec, s[0:1]
	s_and_saveexec_b64 s[0:1], s[4:5]
	s_cbranch_execnz .LBB629_872
	s_branch .LBB629_873
	.section	.rodata,"a",@progbits
	.p2align	6, 0x0
	.amdhsa_kernel _ZN7rocprim17ROCPRIM_400000_NS6detail17trampoline_kernelINS0_14default_configENS1_37merge_sort_block_sort_config_selectorIlNS0_10empty_typeEEEZNS1_21merge_sort_block_sortIS3_PlS8_PS5_S9_ZN2at6native12_GLOBAL__N_124unique_dim_cuda_templateIsEESt5tupleIJNSA_6TensorESF_SF_EERKSF_lbbbEUlllE_EE10hipError_tT0_T1_T2_T3_mRjT4_P12ihipStream_tbNS1_7vsmem_tEEUlT_E_NS1_11comp_targetILNS1_3genE4ELNS1_11target_archE910ELNS1_3gpuE8ELNS1_3repE0EEENS1_30default_config_static_selectorELNS0_4arch9wavefront6targetE1EEEvSM_
		.amdhsa_group_segment_fixed_size 8448
		.amdhsa_private_segment_fixed_size 0
		.amdhsa_kernarg_size 328
		.amdhsa_user_sgpr_count 6
		.amdhsa_user_sgpr_private_segment_buffer 1
		.amdhsa_user_sgpr_dispatch_ptr 0
		.amdhsa_user_sgpr_queue_ptr 0
		.amdhsa_user_sgpr_kernarg_segment_ptr 1
		.amdhsa_user_sgpr_dispatch_id 0
		.amdhsa_user_sgpr_flat_scratch_init 0
		.amdhsa_user_sgpr_kernarg_preload_length 0
		.amdhsa_user_sgpr_kernarg_preload_offset 0
		.amdhsa_user_sgpr_private_segment_size 0
		.amdhsa_uses_dynamic_stack 0
		.amdhsa_system_sgpr_private_segment_wavefront_offset 0
		.amdhsa_system_sgpr_workgroup_id_x 1
		.amdhsa_system_sgpr_workgroup_id_y 1
		.amdhsa_system_sgpr_workgroup_id_z 1
		.amdhsa_system_sgpr_workgroup_info 0
		.amdhsa_system_vgpr_workitem_id 2
		.amdhsa_next_free_vgpr 46
		.amdhsa_next_free_sgpr 54
		.amdhsa_accum_offset 48
		.amdhsa_reserve_vcc 1
		.amdhsa_reserve_flat_scratch 0
		.amdhsa_float_round_mode_32 0
		.amdhsa_float_round_mode_16_64 0
		.amdhsa_float_denorm_mode_32 3
		.amdhsa_float_denorm_mode_16_64 3
		.amdhsa_dx10_clamp 1
		.amdhsa_ieee_mode 1
		.amdhsa_fp16_overflow 0
		.amdhsa_tg_split 0
		.amdhsa_exception_fp_ieee_invalid_op 0
		.amdhsa_exception_fp_denorm_src 0
		.amdhsa_exception_fp_ieee_div_zero 0
		.amdhsa_exception_fp_ieee_overflow 0
		.amdhsa_exception_fp_ieee_underflow 0
		.amdhsa_exception_fp_ieee_inexact 0
		.amdhsa_exception_int_div_zero 0
	.end_amdhsa_kernel
	.section	.text._ZN7rocprim17ROCPRIM_400000_NS6detail17trampoline_kernelINS0_14default_configENS1_37merge_sort_block_sort_config_selectorIlNS0_10empty_typeEEEZNS1_21merge_sort_block_sortIS3_PlS8_PS5_S9_ZN2at6native12_GLOBAL__N_124unique_dim_cuda_templateIsEESt5tupleIJNSA_6TensorESF_SF_EERKSF_lbbbEUlllE_EE10hipError_tT0_T1_T2_T3_mRjT4_P12ihipStream_tbNS1_7vsmem_tEEUlT_E_NS1_11comp_targetILNS1_3genE4ELNS1_11target_archE910ELNS1_3gpuE8ELNS1_3repE0EEENS1_30default_config_static_selectorELNS0_4arch9wavefront6targetE1EEEvSM_,"axG",@progbits,_ZN7rocprim17ROCPRIM_400000_NS6detail17trampoline_kernelINS0_14default_configENS1_37merge_sort_block_sort_config_selectorIlNS0_10empty_typeEEEZNS1_21merge_sort_block_sortIS3_PlS8_PS5_S9_ZN2at6native12_GLOBAL__N_124unique_dim_cuda_templateIsEESt5tupleIJNSA_6TensorESF_SF_EERKSF_lbbbEUlllE_EE10hipError_tT0_T1_T2_T3_mRjT4_P12ihipStream_tbNS1_7vsmem_tEEUlT_E_NS1_11comp_targetILNS1_3genE4ELNS1_11target_archE910ELNS1_3gpuE8ELNS1_3repE0EEENS1_30default_config_static_selectorELNS0_4arch9wavefront6targetE1EEEvSM_,comdat
.Lfunc_end629:
	.size	_ZN7rocprim17ROCPRIM_400000_NS6detail17trampoline_kernelINS0_14default_configENS1_37merge_sort_block_sort_config_selectorIlNS0_10empty_typeEEEZNS1_21merge_sort_block_sortIS3_PlS8_PS5_S9_ZN2at6native12_GLOBAL__N_124unique_dim_cuda_templateIsEESt5tupleIJNSA_6TensorESF_SF_EERKSF_lbbbEUlllE_EE10hipError_tT0_T1_T2_T3_mRjT4_P12ihipStream_tbNS1_7vsmem_tEEUlT_E_NS1_11comp_targetILNS1_3genE4ELNS1_11target_archE910ELNS1_3gpuE8ELNS1_3repE0EEENS1_30default_config_static_selectorELNS0_4arch9wavefront6targetE1EEEvSM_, .Lfunc_end629-_ZN7rocprim17ROCPRIM_400000_NS6detail17trampoline_kernelINS0_14default_configENS1_37merge_sort_block_sort_config_selectorIlNS0_10empty_typeEEEZNS1_21merge_sort_block_sortIS3_PlS8_PS5_S9_ZN2at6native12_GLOBAL__N_124unique_dim_cuda_templateIsEESt5tupleIJNSA_6TensorESF_SF_EERKSF_lbbbEUlllE_EE10hipError_tT0_T1_T2_T3_mRjT4_P12ihipStream_tbNS1_7vsmem_tEEUlT_E_NS1_11comp_targetILNS1_3genE4ELNS1_11target_archE910ELNS1_3gpuE8ELNS1_3repE0EEENS1_30default_config_static_selectorELNS0_4arch9wavefront6targetE1EEEvSM_
                                        ; -- End function
	.section	.AMDGPU.csdata,"",@progbits
; Kernel info:
; codeLenInByte = 37876
; NumSgprs: 58
; NumVgprs: 46
; NumAgprs: 0
; TotalNumVgprs: 46
; ScratchSize: 0
; MemoryBound: 0
; FloatMode: 240
; IeeeMode: 1
; LDSByteSize: 8448 bytes/workgroup (compile time only)
; SGPRBlocks: 7
; VGPRBlocks: 5
; NumSGPRsForWavesPerEU: 58
; NumVGPRsForWavesPerEU: 46
; AccumOffset: 48
; Occupancy: 7
; WaveLimiterHint : 1
; COMPUTE_PGM_RSRC2:SCRATCH_EN: 0
; COMPUTE_PGM_RSRC2:USER_SGPR: 6
; COMPUTE_PGM_RSRC2:TRAP_HANDLER: 0
; COMPUTE_PGM_RSRC2:TGID_X_EN: 1
; COMPUTE_PGM_RSRC2:TGID_Y_EN: 1
; COMPUTE_PGM_RSRC2:TGID_Z_EN: 1
; COMPUTE_PGM_RSRC2:TIDIG_COMP_CNT: 2
; COMPUTE_PGM_RSRC3_GFX90A:ACCUM_OFFSET: 11
; COMPUTE_PGM_RSRC3_GFX90A:TG_SPLIT: 0
	.section	.text._ZN7rocprim17ROCPRIM_400000_NS6detail17trampoline_kernelINS0_14default_configENS1_37merge_sort_block_sort_config_selectorIlNS0_10empty_typeEEEZNS1_21merge_sort_block_sortIS3_PlS8_PS5_S9_ZN2at6native12_GLOBAL__N_124unique_dim_cuda_templateIsEESt5tupleIJNSA_6TensorESF_SF_EERKSF_lbbbEUlllE_EE10hipError_tT0_T1_T2_T3_mRjT4_P12ihipStream_tbNS1_7vsmem_tEEUlT_E_NS1_11comp_targetILNS1_3genE3ELNS1_11target_archE908ELNS1_3gpuE7ELNS1_3repE0EEENS1_30default_config_static_selectorELNS0_4arch9wavefront6targetE1EEEvSM_,"axG",@progbits,_ZN7rocprim17ROCPRIM_400000_NS6detail17trampoline_kernelINS0_14default_configENS1_37merge_sort_block_sort_config_selectorIlNS0_10empty_typeEEEZNS1_21merge_sort_block_sortIS3_PlS8_PS5_S9_ZN2at6native12_GLOBAL__N_124unique_dim_cuda_templateIsEESt5tupleIJNSA_6TensorESF_SF_EERKSF_lbbbEUlllE_EE10hipError_tT0_T1_T2_T3_mRjT4_P12ihipStream_tbNS1_7vsmem_tEEUlT_E_NS1_11comp_targetILNS1_3genE3ELNS1_11target_archE908ELNS1_3gpuE7ELNS1_3repE0EEENS1_30default_config_static_selectorELNS0_4arch9wavefront6targetE1EEEvSM_,comdat
	.globl	_ZN7rocprim17ROCPRIM_400000_NS6detail17trampoline_kernelINS0_14default_configENS1_37merge_sort_block_sort_config_selectorIlNS0_10empty_typeEEEZNS1_21merge_sort_block_sortIS3_PlS8_PS5_S9_ZN2at6native12_GLOBAL__N_124unique_dim_cuda_templateIsEESt5tupleIJNSA_6TensorESF_SF_EERKSF_lbbbEUlllE_EE10hipError_tT0_T1_T2_T3_mRjT4_P12ihipStream_tbNS1_7vsmem_tEEUlT_E_NS1_11comp_targetILNS1_3genE3ELNS1_11target_archE908ELNS1_3gpuE7ELNS1_3repE0EEENS1_30default_config_static_selectorELNS0_4arch9wavefront6targetE1EEEvSM_ ; -- Begin function _ZN7rocprim17ROCPRIM_400000_NS6detail17trampoline_kernelINS0_14default_configENS1_37merge_sort_block_sort_config_selectorIlNS0_10empty_typeEEEZNS1_21merge_sort_block_sortIS3_PlS8_PS5_S9_ZN2at6native12_GLOBAL__N_124unique_dim_cuda_templateIsEESt5tupleIJNSA_6TensorESF_SF_EERKSF_lbbbEUlllE_EE10hipError_tT0_T1_T2_T3_mRjT4_P12ihipStream_tbNS1_7vsmem_tEEUlT_E_NS1_11comp_targetILNS1_3genE3ELNS1_11target_archE908ELNS1_3gpuE7ELNS1_3repE0EEENS1_30default_config_static_selectorELNS0_4arch9wavefront6targetE1EEEvSM_
	.p2align	8
	.type	_ZN7rocprim17ROCPRIM_400000_NS6detail17trampoline_kernelINS0_14default_configENS1_37merge_sort_block_sort_config_selectorIlNS0_10empty_typeEEEZNS1_21merge_sort_block_sortIS3_PlS8_PS5_S9_ZN2at6native12_GLOBAL__N_124unique_dim_cuda_templateIsEESt5tupleIJNSA_6TensorESF_SF_EERKSF_lbbbEUlllE_EE10hipError_tT0_T1_T2_T3_mRjT4_P12ihipStream_tbNS1_7vsmem_tEEUlT_E_NS1_11comp_targetILNS1_3genE3ELNS1_11target_archE908ELNS1_3gpuE7ELNS1_3repE0EEENS1_30default_config_static_selectorELNS0_4arch9wavefront6targetE1EEEvSM_,@function
_ZN7rocprim17ROCPRIM_400000_NS6detail17trampoline_kernelINS0_14default_configENS1_37merge_sort_block_sort_config_selectorIlNS0_10empty_typeEEEZNS1_21merge_sort_block_sortIS3_PlS8_PS5_S9_ZN2at6native12_GLOBAL__N_124unique_dim_cuda_templateIsEESt5tupleIJNSA_6TensorESF_SF_EERKSF_lbbbEUlllE_EE10hipError_tT0_T1_T2_T3_mRjT4_P12ihipStream_tbNS1_7vsmem_tEEUlT_E_NS1_11comp_targetILNS1_3genE3ELNS1_11target_archE908ELNS1_3gpuE7ELNS1_3repE0EEENS1_30default_config_static_selectorELNS0_4arch9wavefront6targetE1EEEvSM_: ; @_ZN7rocprim17ROCPRIM_400000_NS6detail17trampoline_kernelINS0_14default_configENS1_37merge_sort_block_sort_config_selectorIlNS0_10empty_typeEEEZNS1_21merge_sort_block_sortIS3_PlS8_PS5_S9_ZN2at6native12_GLOBAL__N_124unique_dim_cuda_templateIsEESt5tupleIJNSA_6TensorESF_SF_EERKSF_lbbbEUlllE_EE10hipError_tT0_T1_T2_T3_mRjT4_P12ihipStream_tbNS1_7vsmem_tEEUlT_E_NS1_11comp_targetILNS1_3genE3ELNS1_11target_archE908ELNS1_3gpuE7ELNS1_3repE0EEENS1_30default_config_static_selectorELNS0_4arch9wavefront6targetE1EEEvSM_
; %bb.0:
	.section	.rodata,"a",@progbits
	.p2align	6, 0x0
	.amdhsa_kernel _ZN7rocprim17ROCPRIM_400000_NS6detail17trampoline_kernelINS0_14default_configENS1_37merge_sort_block_sort_config_selectorIlNS0_10empty_typeEEEZNS1_21merge_sort_block_sortIS3_PlS8_PS5_S9_ZN2at6native12_GLOBAL__N_124unique_dim_cuda_templateIsEESt5tupleIJNSA_6TensorESF_SF_EERKSF_lbbbEUlllE_EE10hipError_tT0_T1_T2_T3_mRjT4_P12ihipStream_tbNS1_7vsmem_tEEUlT_E_NS1_11comp_targetILNS1_3genE3ELNS1_11target_archE908ELNS1_3gpuE7ELNS1_3repE0EEENS1_30default_config_static_selectorELNS0_4arch9wavefront6targetE1EEEvSM_
		.amdhsa_group_segment_fixed_size 0
		.amdhsa_private_segment_fixed_size 0
		.amdhsa_kernarg_size 72
		.amdhsa_user_sgpr_count 6
		.amdhsa_user_sgpr_private_segment_buffer 1
		.amdhsa_user_sgpr_dispatch_ptr 0
		.amdhsa_user_sgpr_queue_ptr 0
		.amdhsa_user_sgpr_kernarg_segment_ptr 1
		.amdhsa_user_sgpr_dispatch_id 0
		.amdhsa_user_sgpr_flat_scratch_init 0
		.amdhsa_user_sgpr_kernarg_preload_length 0
		.amdhsa_user_sgpr_kernarg_preload_offset 0
		.amdhsa_user_sgpr_private_segment_size 0
		.amdhsa_uses_dynamic_stack 0
		.amdhsa_system_sgpr_private_segment_wavefront_offset 0
		.amdhsa_system_sgpr_workgroup_id_x 1
		.amdhsa_system_sgpr_workgroup_id_y 0
		.amdhsa_system_sgpr_workgroup_id_z 0
		.amdhsa_system_sgpr_workgroup_info 0
		.amdhsa_system_vgpr_workitem_id 0
		.amdhsa_next_free_vgpr 1
		.amdhsa_next_free_sgpr 0
		.amdhsa_accum_offset 4
		.amdhsa_reserve_vcc 0
		.amdhsa_reserve_flat_scratch 0
		.amdhsa_float_round_mode_32 0
		.amdhsa_float_round_mode_16_64 0
		.amdhsa_float_denorm_mode_32 3
		.amdhsa_float_denorm_mode_16_64 3
		.amdhsa_dx10_clamp 1
		.amdhsa_ieee_mode 1
		.amdhsa_fp16_overflow 0
		.amdhsa_tg_split 0
		.amdhsa_exception_fp_ieee_invalid_op 0
		.amdhsa_exception_fp_denorm_src 0
		.amdhsa_exception_fp_ieee_div_zero 0
		.amdhsa_exception_fp_ieee_overflow 0
		.amdhsa_exception_fp_ieee_underflow 0
		.amdhsa_exception_fp_ieee_inexact 0
		.amdhsa_exception_int_div_zero 0
	.end_amdhsa_kernel
	.section	.text._ZN7rocprim17ROCPRIM_400000_NS6detail17trampoline_kernelINS0_14default_configENS1_37merge_sort_block_sort_config_selectorIlNS0_10empty_typeEEEZNS1_21merge_sort_block_sortIS3_PlS8_PS5_S9_ZN2at6native12_GLOBAL__N_124unique_dim_cuda_templateIsEESt5tupleIJNSA_6TensorESF_SF_EERKSF_lbbbEUlllE_EE10hipError_tT0_T1_T2_T3_mRjT4_P12ihipStream_tbNS1_7vsmem_tEEUlT_E_NS1_11comp_targetILNS1_3genE3ELNS1_11target_archE908ELNS1_3gpuE7ELNS1_3repE0EEENS1_30default_config_static_selectorELNS0_4arch9wavefront6targetE1EEEvSM_,"axG",@progbits,_ZN7rocprim17ROCPRIM_400000_NS6detail17trampoline_kernelINS0_14default_configENS1_37merge_sort_block_sort_config_selectorIlNS0_10empty_typeEEEZNS1_21merge_sort_block_sortIS3_PlS8_PS5_S9_ZN2at6native12_GLOBAL__N_124unique_dim_cuda_templateIsEESt5tupleIJNSA_6TensorESF_SF_EERKSF_lbbbEUlllE_EE10hipError_tT0_T1_T2_T3_mRjT4_P12ihipStream_tbNS1_7vsmem_tEEUlT_E_NS1_11comp_targetILNS1_3genE3ELNS1_11target_archE908ELNS1_3gpuE7ELNS1_3repE0EEENS1_30default_config_static_selectorELNS0_4arch9wavefront6targetE1EEEvSM_,comdat
.Lfunc_end630:
	.size	_ZN7rocprim17ROCPRIM_400000_NS6detail17trampoline_kernelINS0_14default_configENS1_37merge_sort_block_sort_config_selectorIlNS0_10empty_typeEEEZNS1_21merge_sort_block_sortIS3_PlS8_PS5_S9_ZN2at6native12_GLOBAL__N_124unique_dim_cuda_templateIsEESt5tupleIJNSA_6TensorESF_SF_EERKSF_lbbbEUlllE_EE10hipError_tT0_T1_T2_T3_mRjT4_P12ihipStream_tbNS1_7vsmem_tEEUlT_E_NS1_11comp_targetILNS1_3genE3ELNS1_11target_archE908ELNS1_3gpuE7ELNS1_3repE0EEENS1_30default_config_static_selectorELNS0_4arch9wavefront6targetE1EEEvSM_, .Lfunc_end630-_ZN7rocprim17ROCPRIM_400000_NS6detail17trampoline_kernelINS0_14default_configENS1_37merge_sort_block_sort_config_selectorIlNS0_10empty_typeEEEZNS1_21merge_sort_block_sortIS3_PlS8_PS5_S9_ZN2at6native12_GLOBAL__N_124unique_dim_cuda_templateIsEESt5tupleIJNSA_6TensorESF_SF_EERKSF_lbbbEUlllE_EE10hipError_tT0_T1_T2_T3_mRjT4_P12ihipStream_tbNS1_7vsmem_tEEUlT_E_NS1_11comp_targetILNS1_3genE3ELNS1_11target_archE908ELNS1_3gpuE7ELNS1_3repE0EEENS1_30default_config_static_selectorELNS0_4arch9wavefront6targetE1EEEvSM_
                                        ; -- End function
	.section	.AMDGPU.csdata,"",@progbits
; Kernel info:
; codeLenInByte = 0
; NumSgprs: 4
; NumVgprs: 0
; NumAgprs: 0
; TotalNumVgprs: 0
; ScratchSize: 0
; MemoryBound: 0
; FloatMode: 240
; IeeeMode: 1
; LDSByteSize: 0 bytes/workgroup (compile time only)
; SGPRBlocks: 0
; VGPRBlocks: 0
; NumSGPRsForWavesPerEU: 4
; NumVGPRsForWavesPerEU: 1
; AccumOffset: 4
; Occupancy: 8
; WaveLimiterHint : 0
; COMPUTE_PGM_RSRC2:SCRATCH_EN: 0
; COMPUTE_PGM_RSRC2:USER_SGPR: 6
; COMPUTE_PGM_RSRC2:TRAP_HANDLER: 0
; COMPUTE_PGM_RSRC2:TGID_X_EN: 1
; COMPUTE_PGM_RSRC2:TGID_Y_EN: 0
; COMPUTE_PGM_RSRC2:TGID_Z_EN: 0
; COMPUTE_PGM_RSRC2:TIDIG_COMP_CNT: 0
; COMPUTE_PGM_RSRC3_GFX90A:ACCUM_OFFSET: 0
; COMPUTE_PGM_RSRC3_GFX90A:TG_SPLIT: 0
	.section	.text._ZN7rocprim17ROCPRIM_400000_NS6detail17trampoline_kernelINS0_14default_configENS1_37merge_sort_block_sort_config_selectorIlNS0_10empty_typeEEEZNS1_21merge_sort_block_sortIS3_PlS8_PS5_S9_ZN2at6native12_GLOBAL__N_124unique_dim_cuda_templateIsEESt5tupleIJNSA_6TensorESF_SF_EERKSF_lbbbEUlllE_EE10hipError_tT0_T1_T2_T3_mRjT4_P12ihipStream_tbNS1_7vsmem_tEEUlT_E_NS1_11comp_targetILNS1_3genE2ELNS1_11target_archE906ELNS1_3gpuE6ELNS1_3repE0EEENS1_30default_config_static_selectorELNS0_4arch9wavefront6targetE1EEEvSM_,"axG",@progbits,_ZN7rocprim17ROCPRIM_400000_NS6detail17trampoline_kernelINS0_14default_configENS1_37merge_sort_block_sort_config_selectorIlNS0_10empty_typeEEEZNS1_21merge_sort_block_sortIS3_PlS8_PS5_S9_ZN2at6native12_GLOBAL__N_124unique_dim_cuda_templateIsEESt5tupleIJNSA_6TensorESF_SF_EERKSF_lbbbEUlllE_EE10hipError_tT0_T1_T2_T3_mRjT4_P12ihipStream_tbNS1_7vsmem_tEEUlT_E_NS1_11comp_targetILNS1_3genE2ELNS1_11target_archE906ELNS1_3gpuE6ELNS1_3repE0EEENS1_30default_config_static_selectorELNS0_4arch9wavefront6targetE1EEEvSM_,comdat
	.globl	_ZN7rocprim17ROCPRIM_400000_NS6detail17trampoline_kernelINS0_14default_configENS1_37merge_sort_block_sort_config_selectorIlNS0_10empty_typeEEEZNS1_21merge_sort_block_sortIS3_PlS8_PS5_S9_ZN2at6native12_GLOBAL__N_124unique_dim_cuda_templateIsEESt5tupleIJNSA_6TensorESF_SF_EERKSF_lbbbEUlllE_EE10hipError_tT0_T1_T2_T3_mRjT4_P12ihipStream_tbNS1_7vsmem_tEEUlT_E_NS1_11comp_targetILNS1_3genE2ELNS1_11target_archE906ELNS1_3gpuE6ELNS1_3repE0EEENS1_30default_config_static_selectorELNS0_4arch9wavefront6targetE1EEEvSM_ ; -- Begin function _ZN7rocprim17ROCPRIM_400000_NS6detail17trampoline_kernelINS0_14default_configENS1_37merge_sort_block_sort_config_selectorIlNS0_10empty_typeEEEZNS1_21merge_sort_block_sortIS3_PlS8_PS5_S9_ZN2at6native12_GLOBAL__N_124unique_dim_cuda_templateIsEESt5tupleIJNSA_6TensorESF_SF_EERKSF_lbbbEUlllE_EE10hipError_tT0_T1_T2_T3_mRjT4_P12ihipStream_tbNS1_7vsmem_tEEUlT_E_NS1_11comp_targetILNS1_3genE2ELNS1_11target_archE906ELNS1_3gpuE6ELNS1_3repE0EEENS1_30default_config_static_selectorELNS0_4arch9wavefront6targetE1EEEvSM_
	.p2align	8
	.type	_ZN7rocprim17ROCPRIM_400000_NS6detail17trampoline_kernelINS0_14default_configENS1_37merge_sort_block_sort_config_selectorIlNS0_10empty_typeEEEZNS1_21merge_sort_block_sortIS3_PlS8_PS5_S9_ZN2at6native12_GLOBAL__N_124unique_dim_cuda_templateIsEESt5tupleIJNSA_6TensorESF_SF_EERKSF_lbbbEUlllE_EE10hipError_tT0_T1_T2_T3_mRjT4_P12ihipStream_tbNS1_7vsmem_tEEUlT_E_NS1_11comp_targetILNS1_3genE2ELNS1_11target_archE906ELNS1_3gpuE6ELNS1_3repE0EEENS1_30default_config_static_selectorELNS0_4arch9wavefront6targetE1EEEvSM_,@function
_ZN7rocprim17ROCPRIM_400000_NS6detail17trampoline_kernelINS0_14default_configENS1_37merge_sort_block_sort_config_selectorIlNS0_10empty_typeEEEZNS1_21merge_sort_block_sortIS3_PlS8_PS5_S9_ZN2at6native12_GLOBAL__N_124unique_dim_cuda_templateIsEESt5tupleIJNSA_6TensorESF_SF_EERKSF_lbbbEUlllE_EE10hipError_tT0_T1_T2_T3_mRjT4_P12ihipStream_tbNS1_7vsmem_tEEUlT_E_NS1_11comp_targetILNS1_3genE2ELNS1_11target_archE906ELNS1_3gpuE6ELNS1_3repE0EEENS1_30default_config_static_selectorELNS0_4arch9wavefront6targetE1EEEvSM_: ; @_ZN7rocprim17ROCPRIM_400000_NS6detail17trampoline_kernelINS0_14default_configENS1_37merge_sort_block_sort_config_selectorIlNS0_10empty_typeEEEZNS1_21merge_sort_block_sortIS3_PlS8_PS5_S9_ZN2at6native12_GLOBAL__N_124unique_dim_cuda_templateIsEESt5tupleIJNSA_6TensorESF_SF_EERKSF_lbbbEUlllE_EE10hipError_tT0_T1_T2_T3_mRjT4_P12ihipStream_tbNS1_7vsmem_tEEUlT_E_NS1_11comp_targetILNS1_3genE2ELNS1_11target_archE906ELNS1_3gpuE6ELNS1_3repE0EEENS1_30default_config_static_selectorELNS0_4arch9wavefront6targetE1EEEvSM_
; %bb.0:
	.section	.rodata,"a",@progbits
	.p2align	6, 0x0
	.amdhsa_kernel _ZN7rocprim17ROCPRIM_400000_NS6detail17trampoline_kernelINS0_14default_configENS1_37merge_sort_block_sort_config_selectorIlNS0_10empty_typeEEEZNS1_21merge_sort_block_sortIS3_PlS8_PS5_S9_ZN2at6native12_GLOBAL__N_124unique_dim_cuda_templateIsEESt5tupleIJNSA_6TensorESF_SF_EERKSF_lbbbEUlllE_EE10hipError_tT0_T1_T2_T3_mRjT4_P12ihipStream_tbNS1_7vsmem_tEEUlT_E_NS1_11comp_targetILNS1_3genE2ELNS1_11target_archE906ELNS1_3gpuE6ELNS1_3repE0EEENS1_30default_config_static_selectorELNS0_4arch9wavefront6targetE1EEEvSM_
		.amdhsa_group_segment_fixed_size 0
		.amdhsa_private_segment_fixed_size 0
		.amdhsa_kernarg_size 72
		.amdhsa_user_sgpr_count 6
		.amdhsa_user_sgpr_private_segment_buffer 1
		.amdhsa_user_sgpr_dispatch_ptr 0
		.amdhsa_user_sgpr_queue_ptr 0
		.amdhsa_user_sgpr_kernarg_segment_ptr 1
		.amdhsa_user_sgpr_dispatch_id 0
		.amdhsa_user_sgpr_flat_scratch_init 0
		.amdhsa_user_sgpr_kernarg_preload_length 0
		.amdhsa_user_sgpr_kernarg_preload_offset 0
		.amdhsa_user_sgpr_private_segment_size 0
		.amdhsa_uses_dynamic_stack 0
		.amdhsa_system_sgpr_private_segment_wavefront_offset 0
		.amdhsa_system_sgpr_workgroup_id_x 1
		.amdhsa_system_sgpr_workgroup_id_y 0
		.amdhsa_system_sgpr_workgroup_id_z 0
		.amdhsa_system_sgpr_workgroup_info 0
		.amdhsa_system_vgpr_workitem_id 0
		.amdhsa_next_free_vgpr 1
		.amdhsa_next_free_sgpr 0
		.amdhsa_accum_offset 4
		.amdhsa_reserve_vcc 0
		.amdhsa_reserve_flat_scratch 0
		.amdhsa_float_round_mode_32 0
		.amdhsa_float_round_mode_16_64 0
		.amdhsa_float_denorm_mode_32 3
		.amdhsa_float_denorm_mode_16_64 3
		.amdhsa_dx10_clamp 1
		.amdhsa_ieee_mode 1
		.amdhsa_fp16_overflow 0
		.amdhsa_tg_split 0
		.amdhsa_exception_fp_ieee_invalid_op 0
		.amdhsa_exception_fp_denorm_src 0
		.amdhsa_exception_fp_ieee_div_zero 0
		.amdhsa_exception_fp_ieee_overflow 0
		.amdhsa_exception_fp_ieee_underflow 0
		.amdhsa_exception_fp_ieee_inexact 0
		.amdhsa_exception_int_div_zero 0
	.end_amdhsa_kernel
	.section	.text._ZN7rocprim17ROCPRIM_400000_NS6detail17trampoline_kernelINS0_14default_configENS1_37merge_sort_block_sort_config_selectorIlNS0_10empty_typeEEEZNS1_21merge_sort_block_sortIS3_PlS8_PS5_S9_ZN2at6native12_GLOBAL__N_124unique_dim_cuda_templateIsEESt5tupleIJNSA_6TensorESF_SF_EERKSF_lbbbEUlllE_EE10hipError_tT0_T1_T2_T3_mRjT4_P12ihipStream_tbNS1_7vsmem_tEEUlT_E_NS1_11comp_targetILNS1_3genE2ELNS1_11target_archE906ELNS1_3gpuE6ELNS1_3repE0EEENS1_30default_config_static_selectorELNS0_4arch9wavefront6targetE1EEEvSM_,"axG",@progbits,_ZN7rocprim17ROCPRIM_400000_NS6detail17trampoline_kernelINS0_14default_configENS1_37merge_sort_block_sort_config_selectorIlNS0_10empty_typeEEEZNS1_21merge_sort_block_sortIS3_PlS8_PS5_S9_ZN2at6native12_GLOBAL__N_124unique_dim_cuda_templateIsEESt5tupleIJNSA_6TensorESF_SF_EERKSF_lbbbEUlllE_EE10hipError_tT0_T1_T2_T3_mRjT4_P12ihipStream_tbNS1_7vsmem_tEEUlT_E_NS1_11comp_targetILNS1_3genE2ELNS1_11target_archE906ELNS1_3gpuE6ELNS1_3repE0EEENS1_30default_config_static_selectorELNS0_4arch9wavefront6targetE1EEEvSM_,comdat
.Lfunc_end631:
	.size	_ZN7rocprim17ROCPRIM_400000_NS6detail17trampoline_kernelINS0_14default_configENS1_37merge_sort_block_sort_config_selectorIlNS0_10empty_typeEEEZNS1_21merge_sort_block_sortIS3_PlS8_PS5_S9_ZN2at6native12_GLOBAL__N_124unique_dim_cuda_templateIsEESt5tupleIJNSA_6TensorESF_SF_EERKSF_lbbbEUlllE_EE10hipError_tT0_T1_T2_T3_mRjT4_P12ihipStream_tbNS1_7vsmem_tEEUlT_E_NS1_11comp_targetILNS1_3genE2ELNS1_11target_archE906ELNS1_3gpuE6ELNS1_3repE0EEENS1_30default_config_static_selectorELNS0_4arch9wavefront6targetE1EEEvSM_, .Lfunc_end631-_ZN7rocprim17ROCPRIM_400000_NS6detail17trampoline_kernelINS0_14default_configENS1_37merge_sort_block_sort_config_selectorIlNS0_10empty_typeEEEZNS1_21merge_sort_block_sortIS3_PlS8_PS5_S9_ZN2at6native12_GLOBAL__N_124unique_dim_cuda_templateIsEESt5tupleIJNSA_6TensorESF_SF_EERKSF_lbbbEUlllE_EE10hipError_tT0_T1_T2_T3_mRjT4_P12ihipStream_tbNS1_7vsmem_tEEUlT_E_NS1_11comp_targetILNS1_3genE2ELNS1_11target_archE906ELNS1_3gpuE6ELNS1_3repE0EEENS1_30default_config_static_selectorELNS0_4arch9wavefront6targetE1EEEvSM_
                                        ; -- End function
	.section	.AMDGPU.csdata,"",@progbits
; Kernel info:
; codeLenInByte = 0
; NumSgprs: 4
; NumVgprs: 0
; NumAgprs: 0
; TotalNumVgprs: 0
; ScratchSize: 0
; MemoryBound: 0
; FloatMode: 240
; IeeeMode: 1
; LDSByteSize: 0 bytes/workgroup (compile time only)
; SGPRBlocks: 0
; VGPRBlocks: 0
; NumSGPRsForWavesPerEU: 4
; NumVGPRsForWavesPerEU: 1
; AccumOffset: 4
; Occupancy: 8
; WaveLimiterHint : 0
; COMPUTE_PGM_RSRC2:SCRATCH_EN: 0
; COMPUTE_PGM_RSRC2:USER_SGPR: 6
; COMPUTE_PGM_RSRC2:TRAP_HANDLER: 0
; COMPUTE_PGM_RSRC2:TGID_X_EN: 1
; COMPUTE_PGM_RSRC2:TGID_Y_EN: 0
; COMPUTE_PGM_RSRC2:TGID_Z_EN: 0
; COMPUTE_PGM_RSRC2:TIDIG_COMP_CNT: 0
; COMPUTE_PGM_RSRC3_GFX90A:ACCUM_OFFSET: 0
; COMPUTE_PGM_RSRC3_GFX90A:TG_SPLIT: 0
	.section	.text._ZN7rocprim17ROCPRIM_400000_NS6detail17trampoline_kernelINS0_14default_configENS1_37merge_sort_block_sort_config_selectorIlNS0_10empty_typeEEEZNS1_21merge_sort_block_sortIS3_PlS8_PS5_S9_ZN2at6native12_GLOBAL__N_124unique_dim_cuda_templateIsEESt5tupleIJNSA_6TensorESF_SF_EERKSF_lbbbEUlllE_EE10hipError_tT0_T1_T2_T3_mRjT4_P12ihipStream_tbNS1_7vsmem_tEEUlT_E_NS1_11comp_targetILNS1_3genE10ELNS1_11target_archE1201ELNS1_3gpuE5ELNS1_3repE0EEENS1_30default_config_static_selectorELNS0_4arch9wavefront6targetE1EEEvSM_,"axG",@progbits,_ZN7rocprim17ROCPRIM_400000_NS6detail17trampoline_kernelINS0_14default_configENS1_37merge_sort_block_sort_config_selectorIlNS0_10empty_typeEEEZNS1_21merge_sort_block_sortIS3_PlS8_PS5_S9_ZN2at6native12_GLOBAL__N_124unique_dim_cuda_templateIsEESt5tupleIJNSA_6TensorESF_SF_EERKSF_lbbbEUlllE_EE10hipError_tT0_T1_T2_T3_mRjT4_P12ihipStream_tbNS1_7vsmem_tEEUlT_E_NS1_11comp_targetILNS1_3genE10ELNS1_11target_archE1201ELNS1_3gpuE5ELNS1_3repE0EEENS1_30default_config_static_selectorELNS0_4arch9wavefront6targetE1EEEvSM_,comdat
	.globl	_ZN7rocprim17ROCPRIM_400000_NS6detail17trampoline_kernelINS0_14default_configENS1_37merge_sort_block_sort_config_selectorIlNS0_10empty_typeEEEZNS1_21merge_sort_block_sortIS3_PlS8_PS5_S9_ZN2at6native12_GLOBAL__N_124unique_dim_cuda_templateIsEESt5tupleIJNSA_6TensorESF_SF_EERKSF_lbbbEUlllE_EE10hipError_tT0_T1_T2_T3_mRjT4_P12ihipStream_tbNS1_7vsmem_tEEUlT_E_NS1_11comp_targetILNS1_3genE10ELNS1_11target_archE1201ELNS1_3gpuE5ELNS1_3repE0EEENS1_30default_config_static_selectorELNS0_4arch9wavefront6targetE1EEEvSM_ ; -- Begin function _ZN7rocprim17ROCPRIM_400000_NS6detail17trampoline_kernelINS0_14default_configENS1_37merge_sort_block_sort_config_selectorIlNS0_10empty_typeEEEZNS1_21merge_sort_block_sortIS3_PlS8_PS5_S9_ZN2at6native12_GLOBAL__N_124unique_dim_cuda_templateIsEESt5tupleIJNSA_6TensorESF_SF_EERKSF_lbbbEUlllE_EE10hipError_tT0_T1_T2_T3_mRjT4_P12ihipStream_tbNS1_7vsmem_tEEUlT_E_NS1_11comp_targetILNS1_3genE10ELNS1_11target_archE1201ELNS1_3gpuE5ELNS1_3repE0EEENS1_30default_config_static_selectorELNS0_4arch9wavefront6targetE1EEEvSM_
	.p2align	8
	.type	_ZN7rocprim17ROCPRIM_400000_NS6detail17trampoline_kernelINS0_14default_configENS1_37merge_sort_block_sort_config_selectorIlNS0_10empty_typeEEEZNS1_21merge_sort_block_sortIS3_PlS8_PS5_S9_ZN2at6native12_GLOBAL__N_124unique_dim_cuda_templateIsEESt5tupleIJNSA_6TensorESF_SF_EERKSF_lbbbEUlllE_EE10hipError_tT0_T1_T2_T3_mRjT4_P12ihipStream_tbNS1_7vsmem_tEEUlT_E_NS1_11comp_targetILNS1_3genE10ELNS1_11target_archE1201ELNS1_3gpuE5ELNS1_3repE0EEENS1_30default_config_static_selectorELNS0_4arch9wavefront6targetE1EEEvSM_,@function
_ZN7rocprim17ROCPRIM_400000_NS6detail17trampoline_kernelINS0_14default_configENS1_37merge_sort_block_sort_config_selectorIlNS0_10empty_typeEEEZNS1_21merge_sort_block_sortIS3_PlS8_PS5_S9_ZN2at6native12_GLOBAL__N_124unique_dim_cuda_templateIsEESt5tupleIJNSA_6TensorESF_SF_EERKSF_lbbbEUlllE_EE10hipError_tT0_T1_T2_T3_mRjT4_P12ihipStream_tbNS1_7vsmem_tEEUlT_E_NS1_11comp_targetILNS1_3genE10ELNS1_11target_archE1201ELNS1_3gpuE5ELNS1_3repE0EEENS1_30default_config_static_selectorELNS0_4arch9wavefront6targetE1EEEvSM_: ; @_ZN7rocprim17ROCPRIM_400000_NS6detail17trampoline_kernelINS0_14default_configENS1_37merge_sort_block_sort_config_selectorIlNS0_10empty_typeEEEZNS1_21merge_sort_block_sortIS3_PlS8_PS5_S9_ZN2at6native12_GLOBAL__N_124unique_dim_cuda_templateIsEESt5tupleIJNSA_6TensorESF_SF_EERKSF_lbbbEUlllE_EE10hipError_tT0_T1_T2_T3_mRjT4_P12ihipStream_tbNS1_7vsmem_tEEUlT_E_NS1_11comp_targetILNS1_3genE10ELNS1_11target_archE1201ELNS1_3gpuE5ELNS1_3repE0EEENS1_30default_config_static_selectorELNS0_4arch9wavefront6targetE1EEEvSM_
; %bb.0:
	.section	.rodata,"a",@progbits
	.p2align	6, 0x0
	.amdhsa_kernel _ZN7rocprim17ROCPRIM_400000_NS6detail17trampoline_kernelINS0_14default_configENS1_37merge_sort_block_sort_config_selectorIlNS0_10empty_typeEEEZNS1_21merge_sort_block_sortIS3_PlS8_PS5_S9_ZN2at6native12_GLOBAL__N_124unique_dim_cuda_templateIsEESt5tupleIJNSA_6TensorESF_SF_EERKSF_lbbbEUlllE_EE10hipError_tT0_T1_T2_T3_mRjT4_P12ihipStream_tbNS1_7vsmem_tEEUlT_E_NS1_11comp_targetILNS1_3genE10ELNS1_11target_archE1201ELNS1_3gpuE5ELNS1_3repE0EEENS1_30default_config_static_selectorELNS0_4arch9wavefront6targetE1EEEvSM_
		.amdhsa_group_segment_fixed_size 0
		.amdhsa_private_segment_fixed_size 0
		.amdhsa_kernarg_size 72
		.amdhsa_user_sgpr_count 6
		.amdhsa_user_sgpr_private_segment_buffer 1
		.amdhsa_user_sgpr_dispatch_ptr 0
		.amdhsa_user_sgpr_queue_ptr 0
		.amdhsa_user_sgpr_kernarg_segment_ptr 1
		.amdhsa_user_sgpr_dispatch_id 0
		.amdhsa_user_sgpr_flat_scratch_init 0
		.amdhsa_user_sgpr_kernarg_preload_length 0
		.amdhsa_user_sgpr_kernarg_preload_offset 0
		.amdhsa_user_sgpr_private_segment_size 0
		.amdhsa_uses_dynamic_stack 0
		.amdhsa_system_sgpr_private_segment_wavefront_offset 0
		.amdhsa_system_sgpr_workgroup_id_x 1
		.amdhsa_system_sgpr_workgroup_id_y 0
		.amdhsa_system_sgpr_workgroup_id_z 0
		.amdhsa_system_sgpr_workgroup_info 0
		.amdhsa_system_vgpr_workitem_id 0
		.amdhsa_next_free_vgpr 1
		.amdhsa_next_free_sgpr 0
		.amdhsa_accum_offset 4
		.amdhsa_reserve_vcc 0
		.amdhsa_reserve_flat_scratch 0
		.amdhsa_float_round_mode_32 0
		.amdhsa_float_round_mode_16_64 0
		.amdhsa_float_denorm_mode_32 3
		.amdhsa_float_denorm_mode_16_64 3
		.amdhsa_dx10_clamp 1
		.amdhsa_ieee_mode 1
		.amdhsa_fp16_overflow 0
		.amdhsa_tg_split 0
		.amdhsa_exception_fp_ieee_invalid_op 0
		.amdhsa_exception_fp_denorm_src 0
		.amdhsa_exception_fp_ieee_div_zero 0
		.amdhsa_exception_fp_ieee_overflow 0
		.amdhsa_exception_fp_ieee_underflow 0
		.amdhsa_exception_fp_ieee_inexact 0
		.amdhsa_exception_int_div_zero 0
	.end_amdhsa_kernel
	.section	.text._ZN7rocprim17ROCPRIM_400000_NS6detail17trampoline_kernelINS0_14default_configENS1_37merge_sort_block_sort_config_selectorIlNS0_10empty_typeEEEZNS1_21merge_sort_block_sortIS3_PlS8_PS5_S9_ZN2at6native12_GLOBAL__N_124unique_dim_cuda_templateIsEESt5tupleIJNSA_6TensorESF_SF_EERKSF_lbbbEUlllE_EE10hipError_tT0_T1_T2_T3_mRjT4_P12ihipStream_tbNS1_7vsmem_tEEUlT_E_NS1_11comp_targetILNS1_3genE10ELNS1_11target_archE1201ELNS1_3gpuE5ELNS1_3repE0EEENS1_30default_config_static_selectorELNS0_4arch9wavefront6targetE1EEEvSM_,"axG",@progbits,_ZN7rocprim17ROCPRIM_400000_NS6detail17trampoline_kernelINS0_14default_configENS1_37merge_sort_block_sort_config_selectorIlNS0_10empty_typeEEEZNS1_21merge_sort_block_sortIS3_PlS8_PS5_S9_ZN2at6native12_GLOBAL__N_124unique_dim_cuda_templateIsEESt5tupleIJNSA_6TensorESF_SF_EERKSF_lbbbEUlllE_EE10hipError_tT0_T1_T2_T3_mRjT4_P12ihipStream_tbNS1_7vsmem_tEEUlT_E_NS1_11comp_targetILNS1_3genE10ELNS1_11target_archE1201ELNS1_3gpuE5ELNS1_3repE0EEENS1_30default_config_static_selectorELNS0_4arch9wavefront6targetE1EEEvSM_,comdat
.Lfunc_end632:
	.size	_ZN7rocprim17ROCPRIM_400000_NS6detail17trampoline_kernelINS0_14default_configENS1_37merge_sort_block_sort_config_selectorIlNS0_10empty_typeEEEZNS1_21merge_sort_block_sortIS3_PlS8_PS5_S9_ZN2at6native12_GLOBAL__N_124unique_dim_cuda_templateIsEESt5tupleIJNSA_6TensorESF_SF_EERKSF_lbbbEUlllE_EE10hipError_tT0_T1_T2_T3_mRjT4_P12ihipStream_tbNS1_7vsmem_tEEUlT_E_NS1_11comp_targetILNS1_3genE10ELNS1_11target_archE1201ELNS1_3gpuE5ELNS1_3repE0EEENS1_30default_config_static_selectorELNS0_4arch9wavefront6targetE1EEEvSM_, .Lfunc_end632-_ZN7rocprim17ROCPRIM_400000_NS6detail17trampoline_kernelINS0_14default_configENS1_37merge_sort_block_sort_config_selectorIlNS0_10empty_typeEEEZNS1_21merge_sort_block_sortIS3_PlS8_PS5_S9_ZN2at6native12_GLOBAL__N_124unique_dim_cuda_templateIsEESt5tupleIJNSA_6TensorESF_SF_EERKSF_lbbbEUlllE_EE10hipError_tT0_T1_T2_T3_mRjT4_P12ihipStream_tbNS1_7vsmem_tEEUlT_E_NS1_11comp_targetILNS1_3genE10ELNS1_11target_archE1201ELNS1_3gpuE5ELNS1_3repE0EEENS1_30default_config_static_selectorELNS0_4arch9wavefront6targetE1EEEvSM_
                                        ; -- End function
	.section	.AMDGPU.csdata,"",@progbits
; Kernel info:
; codeLenInByte = 0
; NumSgprs: 4
; NumVgprs: 0
; NumAgprs: 0
; TotalNumVgprs: 0
; ScratchSize: 0
; MemoryBound: 0
; FloatMode: 240
; IeeeMode: 1
; LDSByteSize: 0 bytes/workgroup (compile time only)
; SGPRBlocks: 0
; VGPRBlocks: 0
; NumSGPRsForWavesPerEU: 4
; NumVGPRsForWavesPerEU: 1
; AccumOffset: 4
; Occupancy: 8
; WaveLimiterHint : 0
; COMPUTE_PGM_RSRC2:SCRATCH_EN: 0
; COMPUTE_PGM_RSRC2:USER_SGPR: 6
; COMPUTE_PGM_RSRC2:TRAP_HANDLER: 0
; COMPUTE_PGM_RSRC2:TGID_X_EN: 1
; COMPUTE_PGM_RSRC2:TGID_Y_EN: 0
; COMPUTE_PGM_RSRC2:TGID_Z_EN: 0
; COMPUTE_PGM_RSRC2:TIDIG_COMP_CNT: 0
; COMPUTE_PGM_RSRC3_GFX90A:ACCUM_OFFSET: 0
; COMPUTE_PGM_RSRC3_GFX90A:TG_SPLIT: 0
	.section	.text._ZN7rocprim17ROCPRIM_400000_NS6detail17trampoline_kernelINS0_14default_configENS1_37merge_sort_block_sort_config_selectorIlNS0_10empty_typeEEEZNS1_21merge_sort_block_sortIS3_PlS8_PS5_S9_ZN2at6native12_GLOBAL__N_124unique_dim_cuda_templateIsEESt5tupleIJNSA_6TensorESF_SF_EERKSF_lbbbEUlllE_EE10hipError_tT0_T1_T2_T3_mRjT4_P12ihipStream_tbNS1_7vsmem_tEEUlT_E_NS1_11comp_targetILNS1_3genE10ELNS1_11target_archE1200ELNS1_3gpuE4ELNS1_3repE0EEENS1_30default_config_static_selectorELNS0_4arch9wavefront6targetE1EEEvSM_,"axG",@progbits,_ZN7rocprim17ROCPRIM_400000_NS6detail17trampoline_kernelINS0_14default_configENS1_37merge_sort_block_sort_config_selectorIlNS0_10empty_typeEEEZNS1_21merge_sort_block_sortIS3_PlS8_PS5_S9_ZN2at6native12_GLOBAL__N_124unique_dim_cuda_templateIsEESt5tupleIJNSA_6TensorESF_SF_EERKSF_lbbbEUlllE_EE10hipError_tT0_T1_T2_T3_mRjT4_P12ihipStream_tbNS1_7vsmem_tEEUlT_E_NS1_11comp_targetILNS1_3genE10ELNS1_11target_archE1200ELNS1_3gpuE4ELNS1_3repE0EEENS1_30default_config_static_selectorELNS0_4arch9wavefront6targetE1EEEvSM_,comdat
	.globl	_ZN7rocprim17ROCPRIM_400000_NS6detail17trampoline_kernelINS0_14default_configENS1_37merge_sort_block_sort_config_selectorIlNS0_10empty_typeEEEZNS1_21merge_sort_block_sortIS3_PlS8_PS5_S9_ZN2at6native12_GLOBAL__N_124unique_dim_cuda_templateIsEESt5tupleIJNSA_6TensorESF_SF_EERKSF_lbbbEUlllE_EE10hipError_tT0_T1_T2_T3_mRjT4_P12ihipStream_tbNS1_7vsmem_tEEUlT_E_NS1_11comp_targetILNS1_3genE10ELNS1_11target_archE1200ELNS1_3gpuE4ELNS1_3repE0EEENS1_30default_config_static_selectorELNS0_4arch9wavefront6targetE1EEEvSM_ ; -- Begin function _ZN7rocprim17ROCPRIM_400000_NS6detail17trampoline_kernelINS0_14default_configENS1_37merge_sort_block_sort_config_selectorIlNS0_10empty_typeEEEZNS1_21merge_sort_block_sortIS3_PlS8_PS5_S9_ZN2at6native12_GLOBAL__N_124unique_dim_cuda_templateIsEESt5tupleIJNSA_6TensorESF_SF_EERKSF_lbbbEUlllE_EE10hipError_tT0_T1_T2_T3_mRjT4_P12ihipStream_tbNS1_7vsmem_tEEUlT_E_NS1_11comp_targetILNS1_3genE10ELNS1_11target_archE1200ELNS1_3gpuE4ELNS1_3repE0EEENS1_30default_config_static_selectorELNS0_4arch9wavefront6targetE1EEEvSM_
	.p2align	8
	.type	_ZN7rocprim17ROCPRIM_400000_NS6detail17trampoline_kernelINS0_14default_configENS1_37merge_sort_block_sort_config_selectorIlNS0_10empty_typeEEEZNS1_21merge_sort_block_sortIS3_PlS8_PS5_S9_ZN2at6native12_GLOBAL__N_124unique_dim_cuda_templateIsEESt5tupleIJNSA_6TensorESF_SF_EERKSF_lbbbEUlllE_EE10hipError_tT0_T1_T2_T3_mRjT4_P12ihipStream_tbNS1_7vsmem_tEEUlT_E_NS1_11comp_targetILNS1_3genE10ELNS1_11target_archE1200ELNS1_3gpuE4ELNS1_3repE0EEENS1_30default_config_static_selectorELNS0_4arch9wavefront6targetE1EEEvSM_,@function
_ZN7rocprim17ROCPRIM_400000_NS6detail17trampoline_kernelINS0_14default_configENS1_37merge_sort_block_sort_config_selectorIlNS0_10empty_typeEEEZNS1_21merge_sort_block_sortIS3_PlS8_PS5_S9_ZN2at6native12_GLOBAL__N_124unique_dim_cuda_templateIsEESt5tupleIJNSA_6TensorESF_SF_EERKSF_lbbbEUlllE_EE10hipError_tT0_T1_T2_T3_mRjT4_P12ihipStream_tbNS1_7vsmem_tEEUlT_E_NS1_11comp_targetILNS1_3genE10ELNS1_11target_archE1200ELNS1_3gpuE4ELNS1_3repE0EEENS1_30default_config_static_selectorELNS0_4arch9wavefront6targetE1EEEvSM_: ; @_ZN7rocprim17ROCPRIM_400000_NS6detail17trampoline_kernelINS0_14default_configENS1_37merge_sort_block_sort_config_selectorIlNS0_10empty_typeEEEZNS1_21merge_sort_block_sortIS3_PlS8_PS5_S9_ZN2at6native12_GLOBAL__N_124unique_dim_cuda_templateIsEESt5tupleIJNSA_6TensorESF_SF_EERKSF_lbbbEUlllE_EE10hipError_tT0_T1_T2_T3_mRjT4_P12ihipStream_tbNS1_7vsmem_tEEUlT_E_NS1_11comp_targetILNS1_3genE10ELNS1_11target_archE1200ELNS1_3gpuE4ELNS1_3repE0EEENS1_30default_config_static_selectorELNS0_4arch9wavefront6targetE1EEEvSM_
; %bb.0:
	.section	.rodata,"a",@progbits
	.p2align	6, 0x0
	.amdhsa_kernel _ZN7rocprim17ROCPRIM_400000_NS6detail17trampoline_kernelINS0_14default_configENS1_37merge_sort_block_sort_config_selectorIlNS0_10empty_typeEEEZNS1_21merge_sort_block_sortIS3_PlS8_PS5_S9_ZN2at6native12_GLOBAL__N_124unique_dim_cuda_templateIsEESt5tupleIJNSA_6TensorESF_SF_EERKSF_lbbbEUlllE_EE10hipError_tT0_T1_T2_T3_mRjT4_P12ihipStream_tbNS1_7vsmem_tEEUlT_E_NS1_11comp_targetILNS1_3genE10ELNS1_11target_archE1200ELNS1_3gpuE4ELNS1_3repE0EEENS1_30default_config_static_selectorELNS0_4arch9wavefront6targetE1EEEvSM_
		.amdhsa_group_segment_fixed_size 0
		.amdhsa_private_segment_fixed_size 0
		.amdhsa_kernarg_size 72
		.amdhsa_user_sgpr_count 6
		.amdhsa_user_sgpr_private_segment_buffer 1
		.amdhsa_user_sgpr_dispatch_ptr 0
		.amdhsa_user_sgpr_queue_ptr 0
		.amdhsa_user_sgpr_kernarg_segment_ptr 1
		.amdhsa_user_sgpr_dispatch_id 0
		.amdhsa_user_sgpr_flat_scratch_init 0
		.amdhsa_user_sgpr_kernarg_preload_length 0
		.amdhsa_user_sgpr_kernarg_preload_offset 0
		.amdhsa_user_sgpr_private_segment_size 0
		.amdhsa_uses_dynamic_stack 0
		.amdhsa_system_sgpr_private_segment_wavefront_offset 0
		.amdhsa_system_sgpr_workgroup_id_x 1
		.amdhsa_system_sgpr_workgroup_id_y 0
		.amdhsa_system_sgpr_workgroup_id_z 0
		.amdhsa_system_sgpr_workgroup_info 0
		.amdhsa_system_vgpr_workitem_id 0
		.amdhsa_next_free_vgpr 1
		.amdhsa_next_free_sgpr 0
		.amdhsa_accum_offset 4
		.amdhsa_reserve_vcc 0
		.amdhsa_reserve_flat_scratch 0
		.amdhsa_float_round_mode_32 0
		.amdhsa_float_round_mode_16_64 0
		.amdhsa_float_denorm_mode_32 3
		.amdhsa_float_denorm_mode_16_64 3
		.amdhsa_dx10_clamp 1
		.amdhsa_ieee_mode 1
		.amdhsa_fp16_overflow 0
		.amdhsa_tg_split 0
		.amdhsa_exception_fp_ieee_invalid_op 0
		.amdhsa_exception_fp_denorm_src 0
		.amdhsa_exception_fp_ieee_div_zero 0
		.amdhsa_exception_fp_ieee_overflow 0
		.amdhsa_exception_fp_ieee_underflow 0
		.amdhsa_exception_fp_ieee_inexact 0
		.amdhsa_exception_int_div_zero 0
	.end_amdhsa_kernel
	.section	.text._ZN7rocprim17ROCPRIM_400000_NS6detail17trampoline_kernelINS0_14default_configENS1_37merge_sort_block_sort_config_selectorIlNS0_10empty_typeEEEZNS1_21merge_sort_block_sortIS3_PlS8_PS5_S9_ZN2at6native12_GLOBAL__N_124unique_dim_cuda_templateIsEESt5tupleIJNSA_6TensorESF_SF_EERKSF_lbbbEUlllE_EE10hipError_tT0_T1_T2_T3_mRjT4_P12ihipStream_tbNS1_7vsmem_tEEUlT_E_NS1_11comp_targetILNS1_3genE10ELNS1_11target_archE1200ELNS1_3gpuE4ELNS1_3repE0EEENS1_30default_config_static_selectorELNS0_4arch9wavefront6targetE1EEEvSM_,"axG",@progbits,_ZN7rocprim17ROCPRIM_400000_NS6detail17trampoline_kernelINS0_14default_configENS1_37merge_sort_block_sort_config_selectorIlNS0_10empty_typeEEEZNS1_21merge_sort_block_sortIS3_PlS8_PS5_S9_ZN2at6native12_GLOBAL__N_124unique_dim_cuda_templateIsEESt5tupleIJNSA_6TensorESF_SF_EERKSF_lbbbEUlllE_EE10hipError_tT0_T1_T2_T3_mRjT4_P12ihipStream_tbNS1_7vsmem_tEEUlT_E_NS1_11comp_targetILNS1_3genE10ELNS1_11target_archE1200ELNS1_3gpuE4ELNS1_3repE0EEENS1_30default_config_static_selectorELNS0_4arch9wavefront6targetE1EEEvSM_,comdat
.Lfunc_end633:
	.size	_ZN7rocprim17ROCPRIM_400000_NS6detail17trampoline_kernelINS0_14default_configENS1_37merge_sort_block_sort_config_selectorIlNS0_10empty_typeEEEZNS1_21merge_sort_block_sortIS3_PlS8_PS5_S9_ZN2at6native12_GLOBAL__N_124unique_dim_cuda_templateIsEESt5tupleIJNSA_6TensorESF_SF_EERKSF_lbbbEUlllE_EE10hipError_tT0_T1_T2_T3_mRjT4_P12ihipStream_tbNS1_7vsmem_tEEUlT_E_NS1_11comp_targetILNS1_3genE10ELNS1_11target_archE1200ELNS1_3gpuE4ELNS1_3repE0EEENS1_30default_config_static_selectorELNS0_4arch9wavefront6targetE1EEEvSM_, .Lfunc_end633-_ZN7rocprim17ROCPRIM_400000_NS6detail17trampoline_kernelINS0_14default_configENS1_37merge_sort_block_sort_config_selectorIlNS0_10empty_typeEEEZNS1_21merge_sort_block_sortIS3_PlS8_PS5_S9_ZN2at6native12_GLOBAL__N_124unique_dim_cuda_templateIsEESt5tupleIJNSA_6TensorESF_SF_EERKSF_lbbbEUlllE_EE10hipError_tT0_T1_T2_T3_mRjT4_P12ihipStream_tbNS1_7vsmem_tEEUlT_E_NS1_11comp_targetILNS1_3genE10ELNS1_11target_archE1200ELNS1_3gpuE4ELNS1_3repE0EEENS1_30default_config_static_selectorELNS0_4arch9wavefront6targetE1EEEvSM_
                                        ; -- End function
	.section	.AMDGPU.csdata,"",@progbits
; Kernel info:
; codeLenInByte = 0
; NumSgprs: 4
; NumVgprs: 0
; NumAgprs: 0
; TotalNumVgprs: 0
; ScratchSize: 0
; MemoryBound: 0
; FloatMode: 240
; IeeeMode: 1
; LDSByteSize: 0 bytes/workgroup (compile time only)
; SGPRBlocks: 0
; VGPRBlocks: 0
; NumSGPRsForWavesPerEU: 4
; NumVGPRsForWavesPerEU: 1
; AccumOffset: 4
; Occupancy: 8
; WaveLimiterHint : 0
; COMPUTE_PGM_RSRC2:SCRATCH_EN: 0
; COMPUTE_PGM_RSRC2:USER_SGPR: 6
; COMPUTE_PGM_RSRC2:TRAP_HANDLER: 0
; COMPUTE_PGM_RSRC2:TGID_X_EN: 1
; COMPUTE_PGM_RSRC2:TGID_Y_EN: 0
; COMPUTE_PGM_RSRC2:TGID_Z_EN: 0
; COMPUTE_PGM_RSRC2:TIDIG_COMP_CNT: 0
; COMPUTE_PGM_RSRC3_GFX90A:ACCUM_OFFSET: 0
; COMPUTE_PGM_RSRC3_GFX90A:TG_SPLIT: 0
	.section	.text._ZN7rocprim17ROCPRIM_400000_NS6detail17trampoline_kernelINS0_14default_configENS1_37merge_sort_block_sort_config_selectorIlNS0_10empty_typeEEEZNS1_21merge_sort_block_sortIS3_PlS8_PS5_S9_ZN2at6native12_GLOBAL__N_124unique_dim_cuda_templateIsEESt5tupleIJNSA_6TensorESF_SF_EERKSF_lbbbEUlllE_EE10hipError_tT0_T1_T2_T3_mRjT4_P12ihipStream_tbNS1_7vsmem_tEEUlT_E_NS1_11comp_targetILNS1_3genE9ELNS1_11target_archE1100ELNS1_3gpuE3ELNS1_3repE0EEENS1_30default_config_static_selectorELNS0_4arch9wavefront6targetE1EEEvSM_,"axG",@progbits,_ZN7rocprim17ROCPRIM_400000_NS6detail17trampoline_kernelINS0_14default_configENS1_37merge_sort_block_sort_config_selectorIlNS0_10empty_typeEEEZNS1_21merge_sort_block_sortIS3_PlS8_PS5_S9_ZN2at6native12_GLOBAL__N_124unique_dim_cuda_templateIsEESt5tupleIJNSA_6TensorESF_SF_EERKSF_lbbbEUlllE_EE10hipError_tT0_T1_T2_T3_mRjT4_P12ihipStream_tbNS1_7vsmem_tEEUlT_E_NS1_11comp_targetILNS1_3genE9ELNS1_11target_archE1100ELNS1_3gpuE3ELNS1_3repE0EEENS1_30default_config_static_selectorELNS0_4arch9wavefront6targetE1EEEvSM_,comdat
	.globl	_ZN7rocprim17ROCPRIM_400000_NS6detail17trampoline_kernelINS0_14default_configENS1_37merge_sort_block_sort_config_selectorIlNS0_10empty_typeEEEZNS1_21merge_sort_block_sortIS3_PlS8_PS5_S9_ZN2at6native12_GLOBAL__N_124unique_dim_cuda_templateIsEESt5tupleIJNSA_6TensorESF_SF_EERKSF_lbbbEUlllE_EE10hipError_tT0_T1_T2_T3_mRjT4_P12ihipStream_tbNS1_7vsmem_tEEUlT_E_NS1_11comp_targetILNS1_3genE9ELNS1_11target_archE1100ELNS1_3gpuE3ELNS1_3repE0EEENS1_30default_config_static_selectorELNS0_4arch9wavefront6targetE1EEEvSM_ ; -- Begin function _ZN7rocprim17ROCPRIM_400000_NS6detail17trampoline_kernelINS0_14default_configENS1_37merge_sort_block_sort_config_selectorIlNS0_10empty_typeEEEZNS1_21merge_sort_block_sortIS3_PlS8_PS5_S9_ZN2at6native12_GLOBAL__N_124unique_dim_cuda_templateIsEESt5tupleIJNSA_6TensorESF_SF_EERKSF_lbbbEUlllE_EE10hipError_tT0_T1_T2_T3_mRjT4_P12ihipStream_tbNS1_7vsmem_tEEUlT_E_NS1_11comp_targetILNS1_3genE9ELNS1_11target_archE1100ELNS1_3gpuE3ELNS1_3repE0EEENS1_30default_config_static_selectorELNS0_4arch9wavefront6targetE1EEEvSM_
	.p2align	8
	.type	_ZN7rocprim17ROCPRIM_400000_NS6detail17trampoline_kernelINS0_14default_configENS1_37merge_sort_block_sort_config_selectorIlNS0_10empty_typeEEEZNS1_21merge_sort_block_sortIS3_PlS8_PS5_S9_ZN2at6native12_GLOBAL__N_124unique_dim_cuda_templateIsEESt5tupleIJNSA_6TensorESF_SF_EERKSF_lbbbEUlllE_EE10hipError_tT0_T1_T2_T3_mRjT4_P12ihipStream_tbNS1_7vsmem_tEEUlT_E_NS1_11comp_targetILNS1_3genE9ELNS1_11target_archE1100ELNS1_3gpuE3ELNS1_3repE0EEENS1_30default_config_static_selectorELNS0_4arch9wavefront6targetE1EEEvSM_,@function
_ZN7rocprim17ROCPRIM_400000_NS6detail17trampoline_kernelINS0_14default_configENS1_37merge_sort_block_sort_config_selectorIlNS0_10empty_typeEEEZNS1_21merge_sort_block_sortIS3_PlS8_PS5_S9_ZN2at6native12_GLOBAL__N_124unique_dim_cuda_templateIsEESt5tupleIJNSA_6TensorESF_SF_EERKSF_lbbbEUlllE_EE10hipError_tT0_T1_T2_T3_mRjT4_P12ihipStream_tbNS1_7vsmem_tEEUlT_E_NS1_11comp_targetILNS1_3genE9ELNS1_11target_archE1100ELNS1_3gpuE3ELNS1_3repE0EEENS1_30default_config_static_selectorELNS0_4arch9wavefront6targetE1EEEvSM_: ; @_ZN7rocprim17ROCPRIM_400000_NS6detail17trampoline_kernelINS0_14default_configENS1_37merge_sort_block_sort_config_selectorIlNS0_10empty_typeEEEZNS1_21merge_sort_block_sortIS3_PlS8_PS5_S9_ZN2at6native12_GLOBAL__N_124unique_dim_cuda_templateIsEESt5tupleIJNSA_6TensorESF_SF_EERKSF_lbbbEUlllE_EE10hipError_tT0_T1_T2_T3_mRjT4_P12ihipStream_tbNS1_7vsmem_tEEUlT_E_NS1_11comp_targetILNS1_3genE9ELNS1_11target_archE1100ELNS1_3gpuE3ELNS1_3repE0EEENS1_30default_config_static_selectorELNS0_4arch9wavefront6targetE1EEEvSM_
; %bb.0:
	.section	.rodata,"a",@progbits
	.p2align	6, 0x0
	.amdhsa_kernel _ZN7rocprim17ROCPRIM_400000_NS6detail17trampoline_kernelINS0_14default_configENS1_37merge_sort_block_sort_config_selectorIlNS0_10empty_typeEEEZNS1_21merge_sort_block_sortIS3_PlS8_PS5_S9_ZN2at6native12_GLOBAL__N_124unique_dim_cuda_templateIsEESt5tupleIJNSA_6TensorESF_SF_EERKSF_lbbbEUlllE_EE10hipError_tT0_T1_T2_T3_mRjT4_P12ihipStream_tbNS1_7vsmem_tEEUlT_E_NS1_11comp_targetILNS1_3genE9ELNS1_11target_archE1100ELNS1_3gpuE3ELNS1_3repE0EEENS1_30default_config_static_selectorELNS0_4arch9wavefront6targetE1EEEvSM_
		.amdhsa_group_segment_fixed_size 0
		.amdhsa_private_segment_fixed_size 0
		.amdhsa_kernarg_size 72
		.amdhsa_user_sgpr_count 6
		.amdhsa_user_sgpr_private_segment_buffer 1
		.amdhsa_user_sgpr_dispatch_ptr 0
		.amdhsa_user_sgpr_queue_ptr 0
		.amdhsa_user_sgpr_kernarg_segment_ptr 1
		.amdhsa_user_sgpr_dispatch_id 0
		.amdhsa_user_sgpr_flat_scratch_init 0
		.amdhsa_user_sgpr_kernarg_preload_length 0
		.amdhsa_user_sgpr_kernarg_preload_offset 0
		.amdhsa_user_sgpr_private_segment_size 0
		.amdhsa_uses_dynamic_stack 0
		.amdhsa_system_sgpr_private_segment_wavefront_offset 0
		.amdhsa_system_sgpr_workgroup_id_x 1
		.amdhsa_system_sgpr_workgroup_id_y 0
		.amdhsa_system_sgpr_workgroup_id_z 0
		.amdhsa_system_sgpr_workgroup_info 0
		.amdhsa_system_vgpr_workitem_id 0
		.amdhsa_next_free_vgpr 1
		.amdhsa_next_free_sgpr 0
		.amdhsa_accum_offset 4
		.amdhsa_reserve_vcc 0
		.amdhsa_reserve_flat_scratch 0
		.amdhsa_float_round_mode_32 0
		.amdhsa_float_round_mode_16_64 0
		.amdhsa_float_denorm_mode_32 3
		.amdhsa_float_denorm_mode_16_64 3
		.amdhsa_dx10_clamp 1
		.amdhsa_ieee_mode 1
		.amdhsa_fp16_overflow 0
		.amdhsa_tg_split 0
		.amdhsa_exception_fp_ieee_invalid_op 0
		.amdhsa_exception_fp_denorm_src 0
		.amdhsa_exception_fp_ieee_div_zero 0
		.amdhsa_exception_fp_ieee_overflow 0
		.amdhsa_exception_fp_ieee_underflow 0
		.amdhsa_exception_fp_ieee_inexact 0
		.amdhsa_exception_int_div_zero 0
	.end_amdhsa_kernel
	.section	.text._ZN7rocprim17ROCPRIM_400000_NS6detail17trampoline_kernelINS0_14default_configENS1_37merge_sort_block_sort_config_selectorIlNS0_10empty_typeEEEZNS1_21merge_sort_block_sortIS3_PlS8_PS5_S9_ZN2at6native12_GLOBAL__N_124unique_dim_cuda_templateIsEESt5tupleIJNSA_6TensorESF_SF_EERKSF_lbbbEUlllE_EE10hipError_tT0_T1_T2_T3_mRjT4_P12ihipStream_tbNS1_7vsmem_tEEUlT_E_NS1_11comp_targetILNS1_3genE9ELNS1_11target_archE1100ELNS1_3gpuE3ELNS1_3repE0EEENS1_30default_config_static_selectorELNS0_4arch9wavefront6targetE1EEEvSM_,"axG",@progbits,_ZN7rocprim17ROCPRIM_400000_NS6detail17trampoline_kernelINS0_14default_configENS1_37merge_sort_block_sort_config_selectorIlNS0_10empty_typeEEEZNS1_21merge_sort_block_sortIS3_PlS8_PS5_S9_ZN2at6native12_GLOBAL__N_124unique_dim_cuda_templateIsEESt5tupleIJNSA_6TensorESF_SF_EERKSF_lbbbEUlllE_EE10hipError_tT0_T1_T2_T3_mRjT4_P12ihipStream_tbNS1_7vsmem_tEEUlT_E_NS1_11comp_targetILNS1_3genE9ELNS1_11target_archE1100ELNS1_3gpuE3ELNS1_3repE0EEENS1_30default_config_static_selectorELNS0_4arch9wavefront6targetE1EEEvSM_,comdat
.Lfunc_end634:
	.size	_ZN7rocprim17ROCPRIM_400000_NS6detail17trampoline_kernelINS0_14default_configENS1_37merge_sort_block_sort_config_selectorIlNS0_10empty_typeEEEZNS1_21merge_sort_block_sortIS3_PlS8_PS5_S9_ZN2at6native12_GLOBAL__N_124unique_dim_cuda_templateIsEESt5tupleIJNSA_6TensorESF_SF_EERKSF_lbbbEUlllE_EE10hipError_tT0_T1_T2_T3_mRjT4_P12ihipStream_tbNS1_7vsmem_tEEUlT_E_NS1_11comp_targetILNS1_3genE9ELNS1_11target_archE1100ELNS1_3gpuE3ELNS1_3repE0EEENS1_30default_config_static_selectorELNS0_4arch9wavefront6targetE1EEEvSM_, .Lfunc_end634-_ZN7rocprim17ROCPRIM_400000_NS6detail17trampoline_kernelINS0_14default_configENS1_37merge_sort_block_sort_config_selectorIlNS0_10empty_typeEEEZNS1_21merge_sort_block_sortIS3_PlS8_PS5_S9_ZN2at6native12_GLOBAL__N_124unique_dim_cuda_templateIsEESt5tupleIJNSA_6TensorESF_SF_EERKSF_lbbbEUlllE_EE10hipError_tT0_T1_T2_T3_mRjT4_P12ihipStream_tbNS1_7vsmem_tEEUlT_E_NS1_11comp_targetILNS1_3genE9ELNS1_11target_archE1100ELNS1_3gpuE3ELNS1_3repE0EEENS1_30default_config_static_selectorELNS0_4arch9wavefront6targetE1EEEvSM_
                                        ; -- End function
	.section	.AMDGPU.csdata,"",@progbits
; Kernel info:
; codeLenInByte = 0
; NumSgprs: 4
; NumVgprs: 0
; NumAgprs: 0
; TotalNumVgprs: 0
; ScratchSize: 0
; MemoryBound: 0
; FloatMode: 240
; IeeeMode: 1
; LDSByteSize: 0 bytes/workgroup (compile time only)
; SGPRBlocks: 0
; VGPRBlocks: 0
; NumSGPRsForWavesPerEU: 4
; NumVGPRsForWavesPerEU: 1
; AccumOffset: 4
; Occupancy: 8
; WaveLimiterHint : 0
; COMPUTE_PGM_RSRC2:SCRATCH_EN: 0
; COMPUTE_PGM_RSRC2:USER_SGPR: 6
; COMPUTE_PGM_RSRC2:TRAP_HANDLER: 0
; COMPUTE_PGM_RSRC2:TGID_X_EN: 1
; COMPUTE_PGM_RSRC2:TGID_Y_EN: 0
; COMPUTE_PGM_RSRC2:TGID_Z_EN: 0
; COMPUTE_PGM_RSRC2:TIDIG_COMP_CNT: 0
; COMPUTE_PGM_RSRC3_GFX90A:ACCUM_OFFSET: 0
; COMPUTE_PGM_RSRC3_GFX90A:TG_SPLIT: 0
	.section	.text._ZN7rocprim17ROCPRIM_400000_NS6detail17trampoline_kernelINS0_14default_configENS1_37merge_sort_block_sort_config_selectorIlNS0_10empty_typeEEEZNS1_21merge_sort_block_sortIS3_PlS8_PS5_S9_ZN2at6native12_GLOBAL__N_124unique_dim_cuda_templateIsEESt5tupleIJNSA_6TensorESF_SF_EERKSF_lbbbEUlllE_EE10hipError_tT0_T1_T2_T3_mRjT4_P12ihipStream_tbNS1_7vsmem_tEEUlT_E_NS1_11comp_targetILNS1_3genE8ELNS1_11target_archE1030ELNS1_3gpuE2ELNS1_3repE0EEENS1_30default_config_static_selectorELNS0_4arch9wavefront6targetE1EEEvSM_,"axG",@progbits,_ZN7rocprim17ROCPRIM_400000_NS6detail17trampoline_kernelINS0_14default_configENS1_37merge_sort_block_sort_config_selectorIlNS0_10empty_typeEEEZNS1_21merge_sort_block_sortIS3_PlS8_PS5_S9_ZN2at6native12_GLOBAL__N_124unique_dim_cuda_templateIsEESt5tupleIJNSA_6TensorESF_SF_EERKSF_lbbbEUlllE_EE10hipError_tT0_T1_T2_T3_mRjT4_P12ihipStream_tbNS1_7vsmem_tEEUlT_E_NS1_11comp_targetILNS1_3genE8ELNS1_11target_archE1030ELNS1_3gpuE2ELNS1_3repE0EEENS1_30default_config_static_selectorELNS0_4arch9wavefront6targetE1EEEvSM_,comdat
	.globl	_ZN7rocprim17ROCPRIM_400000_NS6detail17trampoline_kernelINS0_14default_configENS1_37merge_sort_block_sort_config_selectorIlNS0_10empty_typeEEEZNS1_21merge_sort_block_sortIS3_PlS8_PS5_S9_ZN2at6native12_GLOBAL__N_124unique_dim_cuda_templateIsEESt5tupleIJNSA_6TensorESF_SF_EERKSF_lbbbEUlllE_EE10hipError_tT0_T1_T2_T3_mRjT4_P12ihipStream_tbNS1_7vsmem_tEEUlT_E_NS1_11comp_targetILNS1_3genE8ELNS1_11target_archE1030ELNS1_3gpuE2ELNS1_3repE0EEENS1_30default_config_static_selectorELNS0_4arch9wavefront6targetE1EEEvSM_ ; -- Begin function _ZN7rocprim17ROCPRIM_400000_NS6detail17trampoline_kernelINS0_14default_configENS1_37merge_sort_block_sort_config_selectorIlNS0_10empty_typeEEEZNS1_21merge_sort_block_sortIS3_PlS8_PS5_S9_ZN2at6native12_GLOBAL__N_124unique_dim_cuda_templateIsEESt5tupleIJNSA_6TensorESF_SF_EERKSF_lbbbEUlllE_EE10hipError_tT0_T1_T2_T3_mRjT4_P12ihipStream_tbNS1_7vsmem_tEEUlT_E_NS1_11comp_targetILNS1_3genE8ELNS1_11target_archE1030ELNS1_3gpuE2ELNS1_3repE0EEENS1_30default_config_static_selectorELNS0_4arch9wavefront6targetE1EEEvSM_
	.p2align	8
	.type	_ZN7rocprim17ROCPRIM_400000_NS6detail17trampoline_kernelINS0_14default_configENS1_37merge_sort_block_sort_config_selectorIlNS0_10empty_typeEEEZNS1_21merge_sort_block_sortIS3_PlS8_PS5_S9_ZN2at6native12_GLOBAL__N_124unique_dim_cuda_templateIsEESt5tupleIJNSA_6TensorESF_SF_EERKSF_lbbbEUlllE_EE10hipError_tT0_T1_T2_T3_mRjT4_P12ihipStream_tbNS1_7vsmem_tEEUlT_E_NS1_11comp_targetILNS1_3genE8ELNS1_11target_archE1030ELNS1_3gpuE2ELNS1_3repE0EEENS1_30default_config_static_selectorELNS0_4arch9wavefront6targetE1EEEvSM_,@function
_ZN7rocprim17ROCPRIM_400000_NS6detail17trampoline_kernelINS0_14default_configENS1_37merge_sort_block_sort_config_selectorIlNS0_10empty_typeEEEZNS1_21merge_sort_block_sortIS3_PlS8_PS5_S9_ZN2at6native12_GLOBAL__N_124unique_dim_cuda_templateIsEESt5tupleIJNSA_6TensorESF_SF_EERKSF_lbbbEUlllE_EE10hipError_tT0_T1_T2_T3_mRjT4_P12ihipStream_tbNS1_7vsmem_tEEUlT_E_NS1_11comp_targetILNS1_3genE8ELNS1_11target_archE1030ELNS1_3gpuE2ELNS1_3repE0EEENS1_30default_config_static_selectorELNS0_4arch9wavefront6targetE1EEEvSM_: ; @_ZN7rocprim17ROCPRIM_400000_NS6detail17trampoline_kernelINS0_14default_configENS1_37merge_sort_block_sort_config_selectorIlNS0_10empty_typeEEEZNS1_21merge_sort_block_sortIS3_PlS8_PS5_S9_ZN2at6native12_GLOBAL__N_124unique_dim_cuda_templateIsEESt5tupleIJNSA_6TensorESF_SF_EERKSF_lbbbEUlllE_EE10hipError_tT0_T1_T2_T3_mRjT4_P12ihipStream_tbNS1_7vsmem_tEEUlT_E_NS1_11comp_targetILNS1_3genE8ELNS1_11target_archE1030ELNS1_3gpuE2ELNS1_3repE0EEENS1_30default_config_static_selectorELNS0_4arch9wavefront6targetE1EEEvSM_
; %bb.0:
	.section	.rodata,"a",@progbits
	.p2align	6, 0x0
	.amdhsa_kernel _ZN7rocprim17ROCPRIM_400000_NS6detail17trampoline_kernelINS0_14default_configENS1_37merge_sort_block_sort_config_selectorIlNS0_10empty_typeEEEZNS1_21merge_sort_block_sortIS3_PlS8_PS5_S9_ZN2at6native12_GLOBAL__N_124unique_dim_cuda_templateIsEESt5tupleIJNSA_6TensorESF_SF_EERKSF_lbbbEUlllE_EE10hipError_tT0_T1_T2_T3_mRjT4_P12ihipStream_tbNS1_7vsmem_tEEUlT_E_NS1_11comp_targetILNS1_3genE8ELNS1_11target_archE1030ELNS1_3gpuE2ELNS1_3repE0EEENS1_30default_config_static_selectorELNS0_4arch9wavefront6targetE1EEEvSM_
		.amdhsa_group_segment_fixed_size 0
		.amdhsa_private_segment_fixed_size 0
		.amdhsa_kernarg_size 72
		.amdhsa_user_sgpr_count 6
		.amdhsa_user_sgpr_private_segment_buffer 1
		.amdhsa_user_sgpr_dispatch_ptr 0
		.amdhsa_user_sgpr_queue_ptr 0
		.amdhsa_user_sgpr_kernarg_segment_ptr 1
		.amdhsa_user_sgpr_dispatch_id 0
		.amdhsa_user_sgpr_flat_scratch_init 0
		.amdhsa_user_sgpr_kernarg_preload_length 0
		.amdhsa_user_sgpr_kernarg_preload_offset 0
		.amdhsa_user_sgpr_private_segment_size 0
		.amdhsa_uses_dynamic_stack 0
		.amdhsa_system_sgpr_private_segment_wavefront_offset 0
		.amdhsa_system_sgpr_workgroup_id_x 1
		.amdhsa_system_sgpr_workgroup_id_y 0
		.amdhsa_system_sgpr_workgroup_id_z 0
		.amdhsa_system_sgpr_workgroup_info 0
		.amdhsa_system_vgpr_workitem_id 0
		.amdhsa_next_free_vgpr 1
		.amdhsa_next_free_sgpr 0
		.amdhsa_accum_offset 4
		.amdhsa_reserve_vcc 0
		.amdhsa_reserve_flat_scratch 0
		.amdhsa_float_round_mode_32 0
		.amdhsa_float_round_mode_16_64 0
		.amdhsa_float_denorm_mode_32 3
		.amdhsa_float_denorm_mode_16_64 3
		.amdhsa_dx10_clamp 1
		.amdhsa_ieee_mode 1
		.amdhsa_fp16_overflow 0
		.amdhsa_tg_split 0
		.amdhsa_exception_fp_ieee_invalid_op 0
		.amdhsa_exception_fp_denorm_src 0
		.amdhsa_exception_fp_ieee_div_zero 0
		.amdhsa_exception_fp_ieee_overflow 0
		.amdhsa_exception_fp_ieee_underflow 0
		.amdhsa_exception_fp_ieee_inexact 0
		.amdhsa_exception_int_div_zero 0
	.end_amdhsa_kernel
	.section	.text._ZN7rocprim17ROCPRIM_400000_NS6detail17trampoline_kernelINS0_14default_configENS1_37merge_sort_block_sort_config_selectorIlNS0_10empty_typeEEEZNS1_21merge_sort_block_sortIS3_PlS8_PS5_S9_ZN2at6native12_GLOBAL__N_124unique_dim_cuda_templateIsEESt5tupleIJNSA_6TensorESF_SF_EERKSF_lbbbEUlllE_EE10hipError_tT0_T1_T2_T3_mRjT4_P12ihipStream_tbNS1_7vsmem_tEEUlT_E_NS1_11comp_targetILNS1_3genE8ELNS1_11target_archE1030ELNS1_3gpuE2ELNS1_3repE0EEENS1_30default_config_static_selectorELNS0_4arch9wavefront6targetE1EEEvSM_,"axG",@progbits,_ZN7rocprim17ROCPRIM_400000_NS6detail17trampoline_kernelINS0_14default_configENS1_37merge_sort_block_sort_config_selectorIlNS0_10empty_typeEEEZNS1_21merge_sort_block_sortIS3_PlS8_PS5_S9_ZN2at6native12_GLOBAL__N_124unique_dim_cuda_templateIsEESt5tupleIJNSA_6TensorESF_SF_EERKSF_lbbbEUlllE_EE10hipError_tT0_T1_T2_T3_mRjT4_P12ihipStream_tbNS1_7vsmem_tEEUlT_E_NS1_11comp_targetILNS1_3genE8ELNS1_11target_archE1030ELNS1_3gpuE2ELNS1_3repE0EEENS1_30default_config_static_selectorELNS0_4arch9wavefront6targetE1EEEvSM_,comdat
.Lfunc_end635:
	.size	_ZN7rocprim17ROCPRIM_400000_NS6detail17trampoline_kernelINS0_14default_configENS1_37merge_sort_block_sort_config_selectorIlNS0_10empty_typeEEEZNS1_21merge_sort_block_sortIS3_PlS8_PS5_S9_ZN2at6native12_GLOBAL__N_124unique_dim_cuda_templateIsEESt5tupleIJNSA_6TensorESF_SF_EERKSF_lbbbEUlllE_EE10hipError_tT0_T1_T2_T3_mRjT4_P12ihipStream_tbNS1_7vsmem_tEEUlT_E_NS1_11comp_targetILNS1_3genE8ELNS1_11target_archE1030ELNS1_3gpuE2ELNS1_3repE0EEENS1_30default_config_static_selectorELNS0_4arch9wavefront6targetE1EEEvSM_, .Lfunc_end635-_ZN7rocprim17ROCPRIM_400000_NS6detail17trampoline_kernelINS0_14default_configENS1_37merge_sort_block_sort_config_selectorIlNS0_10empty_typeEEEZNS1_21merge_sort_block_sortIS3_PlS8_PS5_S9_ZN2at6native12_GLOBAL__N_124unique_dim_cuda_templateIsEESt5tupleIJNSA_6TensorESF_SF_EERKSF_lbbbEUlllE_EE10hipError_tT0_T1_T2_T3_mRjT4_P12ihipStream_tbNS1_7vsmem_tEEUlT_E_NS1_11comp_targetILNS1_3genE8ELNS1_11target_archE1030ELNS1_3gpuE2ELNS1_3repE0EEENS1_30default_config_static_selectorELNS0_4arch9wavefront6targetE1EEEvSM_
                                        ; -- End function
	.section	.AMDGPU.csdata,"",@progbits
; Kernel info:
; codeLenInByte = 0
; NumSgprs: 4
; NumVgprs: 0
; NumAgprs: 0
; TotalNumVgprs: 0
; ScratchSize: 0
; MemoryBound: 0
; FloatMode: 240
; IeeeMode: 1
; LDSByteSize: 0 bytes/workgroup (compile time only)
; SGPRBlocks: 0
; VGPRBlocks: 0
; NumSGPRsForWavesPerEU: 4
; NumVGPRsForWavesPerEU: 1
; AccumOffset: 4
; Occupancy: 8
; WaveLimiterHint : 0
; COMPUTE_PGM_RSRC2:SCRATCH_EN: 0
; COMPUTE_PGM_RSRC2:USER_SGPR: 6
; COMPUTE_PGM_RSRC2:TRAP_HANDLER: 0
; COMPUTE_PGM_RSRC2:TGID_X_EN: 1
; COMPUTE_PGM_RSRC2:TGID_Y_EN: 0
; COMPUTE_PGM_RSRC2:TGID_Z_EN: 0
; COMPUTE_PGM_RSRC2:TIDIG_COMP_CNT: 0
; COMPUTE_PGM_RSRC3_GFX90A:ACCUM_OFFSET: 0
; COMPUTE_PGM_RSRC3_GFX90A:TG_SPLIT: 0
	.section	.text._ZN7rocprim17ROCPRIM_400000_NS6detail17trampoline_kernelINS0_14default_configENS1_38merge_sort_block_merge_config_selectorIlNS0_10empty_typeEEEZZNS1_27merge_sort_block_merge_implIS3_PlPS5_mZN2at6native12_GLOBAL__N_124unique_dim_cuda_templateIsEESt5tupleIJNSA_6TensorESF_SF_EERKSF_lbbbEUlllE_EE10hipError_tT0_T1_T2_jT3_P12ihipStream_tbPNSt15iterator_traitsISL_E10value_typeEPNSR_ISM_E10value_typeEPSN_NS1_7vsmem_tEENKUlT_SL_SM_SN_E_clIS8_S8_S9_S9_EESK_S10_SL_SM_SN_EUlS10_E_NS1_11comp_targetILNS1_3genE0ELNS1_11target_archE4294967295ELNS1_3gpuE0ELNS1_3repE0EEENS1_48merge_mergepath_partition_config_static_selectorELNS0_4arch9wavefront6targetE1EEEvSM_,"axG",@progbits,_ZN7rocprim17ROCPRIM_400000_NS6detail17trampoline_kernelINS0_14default_configENS1_38merge_sort_block_merge_config_selectorIlNS0_10empty_typeEEEZZNS1_27merge_sort_block_merge_implIS3_PlPS5_mZN2at6native12_GLOBAL__N_124unique_dim_cuda_templateIsEESt5tupleIJNSA_6TensorESF_SF_EERKSF_lbbbEUlllE_EE10hipError_tT0_T1_T2_jT3_P12ihipStream_tbPNSt15iterator_traitsISL_E10value_typeEPNSR_ISM_E10value_typeEPSN_NS1_7vsmem_tEENKUlT_SL_SM_SN_E_clIS8_S8_S9_S9_EESK_S10_SL_SM_SN_EUlS10_E_NS1_11comp_targetILNS1_3genE0ELNS1_11target_archE4294967295ELNS1_3gpuE0ELNS1_3repE0EEENS1_48merge_mergepath_partition_config_static_selectorELNS0_4arch9wavefront6targetE1EEEvSM_,comdat
	.globl	_ZN7rocprim17ROCPRIM_400000_NS6detail17trampoline_kernelINS0_14default_configENS1_38merge_sort_block_merge_config_selectorIlNS0_10empty_typeEEEZZNS1_27merge_sort_block_merge_implIS3_PlPS5_mZN2at6native12_GLOBAL__N_124unique_dim_cuda_templateIsEESt5tupleIJNSA_6TensorESF_SF_EERKSF_lbbbEUlllE_EE10hipError_tT0_T1_T2_jT3_P12ihipStream_tbPNSt15iterator_traitsISL_E10value_typeEPNSR_ISM_E10value_typeEPSN_NS1_7vsmem_tEENKUlT_SL_SM_SN_E_clIS8_S8_S9_S9_EESK_S10_SL_SM_SN_EUlS10_E_NS1_11comp_targetILNS1_3genE0ELNS1_11target_archE4294967295ELNS1_3gpuE0ELNS1_3repE0EEENS1_48merge_mergepath_partition_config_static_selectorELNS0_4arch9wavefront6targetE1EEEvSM_ ; -- Begin function _ZN7rocprim17ROCPRIM_400000_NS6detail17trampoline_kernelINS0_14default_configENS1_38merge_sort_block_merge_config_selectorIlNS0_10empty_typeEEEZZNS1_27merge_sort_block_merge_implIS3_PlPS5_mZN2at6native12_GLOBAL__N_124unique_dim_cuda_templateIsEESt5tupleIJNSA_6TensorESF_SF_EERKSF_lbbbEUlllE_EE10hipError_tT0_T1_T2_jT3_P12ihipStream_tbPNSt15iterator_traitsISL_E10value_typeEPNSR_ISM_E10value_typeEPSN_NS1_7vsmem_tEENKUlT_SL_SM_SN_E_clIS8_S8_S9_S9_EESK_S10_SL_SM_SN_EUlS10_E_NS1_11comp_targetILNS1_3genE0ELNS1_11target_archE4294967295ELNS1_3gpuE0ELNS1_3repE0EEENS1_48merge_mergepath_partition_config_static_selectorELNS0_4arch9wavefront6targetE1EEEvSM_
	.p2align	8
	.type	_ZN7rocprim17ROCPRIM_400000_NS6detail17trampoline_kernelINS0_14default_configENS1_38merge_sort_block_merge_config_selectorIlNS0_10empty_typeEEEZZNS1_27merge_sort_block_merge_implIS3_PlPS5_mZN2at6native12_GLOBAL__N_124unique_dim_cuda_templateIsEESt5tupleIJNSA_6TensorESF_SF_EERKSF_lbbbEUlllE_EE10hipError_tT0_T1_T2_jT3_P12ihipStream_tbPNSt15iterator_traitsISL_E10value_typeEPNSR_ISM_E10value_typeEPSN_NS1_7vsmem_tEENKUlT_SL_SM_SN_E_clIS8_S8_S9_S9_EESK_S10_SL_SM_SN_EUlS10_E_NS1_11comp_targetILNS1_3genE0ELNS1_11target_archE4294967295ELNS1_3gpuE0ELNS1_3repE0EEENS1_48merge_mergepath_partition_config_static_selectorELNS0_4arch9wavefront6targetE1EEEvSM_,@function
_ZN7rocprim17ROCPRIM_400000_NS6detail17trampoline_kernelINS0_14default_configENS1_38merge_sort_block_merge_config_selectorIlNS0_10empty_typeEEEZZNS1_27merge_sort_block_merge_implIS3_PlPS5_mZN2at6native12_GLOBAL__N_124unique_dim_cuda_templateIsEESt5tupleIJNSA_6TensorESF_SF_EERKSF_lbbbEUlllE_EE10hipError_tT0_T1_T2_jT3_P12ihipStream_tbPNSt15iterator_traitsISL_E10value_typeEPNSR_ISM_E10value_typeEPSN_NS1_7vsmem_tEENKUlT_SL_SM_SN_E_clIS8_S8_S9_S9_EESK_S10_SL_SM_SN_EUlS10_E_NS1_11comp_targetILNS1_3genE0ELNS1_11target_archE4294967295ELNS1_3gpuE0ELNS1_3repE0EEENS1_48merge_mergepath_partition_config_static_selectorELNS0_4arch9wavefront6targetE1EEEvSM_: ; @_ZN7rocprim17ROCPRIM_400000_NS6detail17trampoline_kernelINS0_14default_configENS1_38merge_sort_block_merge_config_selectorIlNS0_10empty_typeEEEZZNS1_27merge_sort_block_merge_implIS3_PlPS5_mZN2at6native12_GLOBAL__N_124unique_dim_cuda_templateIsEESt5tupleIJNSA_6TensorESF_SF_EERKSF_lbbbEUlllE_EE10hipError_tT0_T1_T2_jT3_P12ihipStream_tbPNSt15iterator_traitsISL_E10value_typeEPNSR_ISM_E10value_typeEPSN_NS1_7vsmem_tEENKUlT_SL_SM_SN_E_clIS8_S8_S9_S9_EESK_S10_SL_SM_SN_EUlS10_E_NS1_11comp_targetILNS1_3genE0ELNS1_11target_archE4294967295ELNS1_3gpuE0ELNS1_3repE0EEENS1_48merge_mergepath_partition_config_static_selectorELNS0_4arch9wavefront6targetE1EEEvSM_
; %bb.0:
	.section	.rodata,"a",@progbits
	.p2align	6, 0x0
	.amdhsa_kernel _ZN7rocprim17ROCPRIM_400000_NS6detail17trampoline_kernelINS0_14default_configENS1_38merge_sort_block_merge_config_selectorIlNS0_10empty_typeEEEZZNS1_27merge_sort_block_merge_implIS3_PlPS5_mZN2at6native12_GLOBAL__N_124unique_dim_cuda_templateIsEESt5tupleIJNSA_6TensorESF_SF_EERKSF_lbbbEUlllE_EE10hipError_tT0_T1_T2_jT3_P12ihipStream_tbPNSt15iterator_traitsISL_E10value_typeEPNSR_ISM_E10value_typeEPSN_NS1_7vsmem_tEENKUlT_SL_SM_SN_E_clIS8_S8_S9_S9_EESK_S10_SL_SM_SN_EUlS10_E_NS1_11comp_targetILNS1_3genE0ELNS1_11target_archE4294967295ELNS1_3gpuE0ELNS1_3repE0EEENS1_48merge_mergepath_partition_config_static_selectorELNS0_4arch9wavefront6targetE1EEEvSM_
		.amdhsa_group_segment_fixed_size 0
		.amdhsa_private_segment_fixed_size 0
		.amdhsa_kernarg_size 56
		.amdhsa_user_sgpr_count 6
		.amdhsa_user_sgpr_private_segment_buffer 1
		.amdhsa_user_sgpr_dispatch_ptr 0
		.amdhsa_user_sgpr_queue_ptr 0
		.amdhsa_user_sgpr_kernarg_segment_ptr 1
		.amdhsa_user_sgpr_dispatch_id 0
		.amdhsa_user_sgpr_flat_scratch_init 0
		.amdhsa_user_sgpr_kernarg_preload_length 0
		.amdhsa_user_sgpr_kernarg_preload_offset 0
		.amdhsa_user_sgpr_private_segment_size 0
		.amdhsa_uses_dynamic_stack 0
		.amdhsa_system_sgpr_private_segment_wavefront_offset 0
		.amdhsa_system_sgpr_workgroup_id_x 1
		.amdhsa_system_sgpr_workgroup_id_y 0
		.amdhsa_system_sgpr_workgroup_id_z 0
		.amdhsa_system_sgpr_workgroup_info 0
		.amdhsa_system_vgpr_workitem_id 0
		.amdhsa_next_free_vgpr 1
		.amdhsa_next_free_sgpr 0
		.amdhsa_accum_offset 4
		.amdhsa_reserve_vcc 0
		.amdhsa_reserve_flat_scratch 0
		.amdhsa_float_round_mode_32 0
		.amdhsa_float_round_mode_16_64 0
		.amdhsa_float_denorm_mode_32 3
		.amdhsa_float_denorm_mode_16_64 3
		.amdhsa_dx10_clamp 1
		.amdhsa_ieee_mode 1
		.amdhsa_fp16_overflow 0
		.amdhsa_tg_split 0
		.amdhsa_exception_fp_ieee_invalid_op 0
		.amdhsa_exception_fp_denorm_src 0
		.amdhsa_exception_fp_ieee_div_zero 0
		.amdhsa_exception_fp_ieee_overflow 0
		.amdhsa_exception_fp_ieee_underflow 0
		.amdhsa_exception_fp_ieee_inexact 0
		.amdhsa_exception_int_div_zero 0
	.end_amdhsa_kernel
	.section	.text._ZN7rocprim17ROCPRIM_400000_NS6detail17trampoline_kernelINS0_14default_configENS1_38merge_sort_block_merge_config_selectorIlNS0_10empty_typeEEEZZNS1_27merge_sort_block_merge_implIS3_PlPS5_mZN2at6native12_GLOBAL__N_124unique_dim_cuda_templateIsEESt5tupleIJNSA_6TensorESF_SF_EERKSF_lbbbEUlllE_EE10hipError_tT0_T1_T2_jT3_P12ihipStream_tbPNSt15iterator_traitsISL_E10value_typeEPNSR_ISM_E10value_typeEPSN_NS1_7vsmem_tEENKUlT_SL_SM_SN_E_clIS8_S8_S9_S9_EESK_S10_SL_SM_SN_EUlS10_E_NS1_11comp_targetILNS1_3genE0ELNS1_11target_archE4294967295ELNS1_3gpuE0ELNS1_3repE0EEENS1_48merge_mergepath_partition_config_static_selectorELNS0_4arch9wavefront6targetE1EEEvSM_,"axG",@progbits,_ZN7rocprim17ROCPRIM_400000_NS6detail17trampoline_kernelINS0_14default_configENS1_38merge_sort_block_merge_config_selectorIlNS0_10empty_typeEEEZZNS1_27merge_sort_block_merge_implIS3_PlPS5_mZN2at6native12_GLOBAL__N_124unique_dim_cuda_templateIsEESt5tupleIJNSA_6TensorESF_SF_EERKSF_lbbbEUlllE_EE10hipError_tT0_T1_T2_jT3_P12ihipStream_tbPNSt15iterator_traitsISL_E10value_typeEPNSR_ISM_E10value_typeEPSN_NS1_7vsmem_tEENKUlT_SL_SM_SN_E_clIS8_S8_S9_S9_EESK_S10_SL_SM_SN_EUlS10_E_NS1_11comp_targetILNS1_3genE0ELNS1_11target_archE4294967295ELNS1_3gpuE0ELNS1_3repE0EEENS1_48merge_mergepath_partition_config_static_selectorELNS0_4arch9wavefront6targetE1EEEvSM_,comdat
.Lfunc_end636:
	.size	_ZN7rocprim17ROCPRIM_400000_NS6detail17trampoline_kernelINS0_14default_configENS1_38merge_sort_block_merge_config_selectorIlNS0_10empty_typeEEEZZNS1_27merge_sort_block_merge_implIS3_PlPS5_mZN2at6native12_GLOBAL__N_124unique_dim_cuda_templateIsEESt5tupleIJNSA_6TensorESF_SF_EERKSF_lbbbEUlllE_EE10hipError_tT0_T1_T2_jT3_P12ihipStream_tbPNSt15iterator_traitsISL_E10value_typeEPNSR_ISM_E10value_typeEPSN_NS1_7vsmem_tEENKUlT_SL_SM_SN_E_clIS8_S8_S9_S9_EESK_S10_SL_SM_SN_EUlS10_E_NS1_11comp_targetILNS1_3genE0ELNS1_11target_archE4294967295ELNS1_3gpuE0ELNS1_3repE0EEENS1_48merge_mergepath_partition_config_static_selectorELNS0_4arch9wavefront6targetE1EEEvSM_, .Lfunc_end636-_ZN7rocprim17ROCPRIM_400000_NS6detail17trampoline_kernelINS0_14default_configENS1_38merge_sort_block_merge_config_selectorIlNS0_10empty_typeEEEZZNS1_27merge_sort_block_merge_implIS3_PlPS5_mZN2at6native12_GLOBAL__N_124unique_dim_cuda_templateIsEESt5tupleIJNSA_6TensorESF_SF_EERKSF_lbbbEUlllE_EE10hipError_tT0_T1_T2_jT3_P12ihipStream_tbPNSt15iterator_traitsISL_E10value_typeEPNSR_ISM_E10value_typeEPSN_NS1_7vsmem_tEENKUlT_SL_SM_SN_E_clIS8_S8_S9_S9_EESK_S10_SL_SM_SN_EUlS10_E_NS1_11comp_targetILNS1_3genE0ELNS1_11target_archE4294967295ELNS1_3gpuE0ELNS1_3repE0EEENS1_48merge_mergepath_partition_config_static_selectorELNS0_4arch9wavefront6targetE1EEEvSM_
                                        ; -- End function
	.section	.AMDGPU.csdata,"",@progbits
; Kernel info:
; codeLenInByte = 0
; NumSgprs: 4
; NumVgprs: 0
; NumAgprs: 0
; TotalNumVgprs: 0
; ScratchSize: 0
; MemoryBound: 0
; FloatMode: 240
; IeeeMode: 1
; LDSByteSize: 0 bytes/workgroup (compile time only)
; SGPRBlocks: 0
; VGPRBlocks: 0
; NumSGPRsForWavesPerEU: 4
; NumVGPRsForWavesPerEU: 1
; AccumOffset: 4
; Occupancy: 8
; WaveLimiterHint : 0
; COMPUTE_PGM_RSRC2:SCRATCH_EN: 0
; COMPUTE_PGM_RSRC2:USER_SGPR: 6
; COMPUTE_PGM_RSRC2:TRAP_HANDLER: 0
; COMPUTE_PGM_RSRC2:TGID_X_EN: 1
; COMPUTE_PGM_RSRC2:TGID_Y_EN: 0
; COMPUTE_PGM_RSRC2:TGID_Z_EN: 0
; COMPUTE_PGM_RSRC2:TIDIG_COMP_CNT: 0
; COMPUTE_PGM_RSRC3_GFX90A:ACCUM_OFFSET: 0
; COMPUTE_PGM_RSRC3_GFX90A:TG_SPLIT: 0
	.section	.text._ZN7rocprim17ROCPRIM_400000_NS6detail17trampoline_kernelINS0_14default_configENS1_38merge_sort_block_merge_config_selectorIlNS0_10empty_typeEEEZZNS1_27merge_sort_block_merge_implIS3_PlPS5_mZN2at6native12_GLOBAL__N_124unique_dim_cuda_templateIsEESt5tupleIJNSA_6TensorESF_SF_EERKSF_lbbbEUlllE_EE10hipError_tT0_T1_T2_jT3_P12ihipStream_tbPNSt15iterator_traitsISL_E10value_typeEPNSR_ISM_E10value_typeEPSN_NS1_7vsmem_tEENKUlT_SL_SM_SN_E_clIS8_S8_S9_S9_EESK_S10_SL_SM_SN_EUlS10_E_NS1_11comp_targetILNS1_3genE10ELNS1_11target_archE1201ELNS1_3gpuE5ELNS1_3repE0EEENS1_48merge_mergepath_partition_config_static_selectorELNS0_4arch9wavefront6targetE1EEEvSM_,"axG",@progbits,_ZN7rocprim17ROCPRIM_400000_NS6detail17trampoline_kernelINS0_14default_configENS1_38merge_sort_block_merge_config_selectorIlNS0_10empty_typeEEEZZNS1_27merge_sort_block_merge_implIS3_PlPS5_mZN2at6native12_GLOBAL__N_124unique_dim_cuda_templateIsEESt5tupleIJNSA_6TensorESF_SF_EERKSF_lbbbEUlllE_EE10hipError_tT0_T1_T2_jT3_P12ihipStream_tbPNSt15iterator_traitsISL_E10value_typeEPNSR_ISM_E10value_typeEPSN_NS1_7vsmem_tEENKUlT_SL_SM_SN_E_clIS8_S8_S9_S9_EESK_S10_SL_SM_SN_EUlS10_E_NS1_11comp_targetILNS1_3genE10ELNS1_11target_archE1201ELNS1_3gpuE5ELNS1_3repE0EEENS1_48merge_mergepath_partition_config_static_selectorELNS0_4arch9wavefront6targetE1EEEvSM_,comdat
	.globl	_ZN7rocprim17ROCPRIM_400000_NS6detail17trampoline_kernelINS0_14default_configENS1_38merge_sort_block_merge_config_selectorIlNS0_10empty_typeEEEZZNS1_27merge_sort_block_merge_implIS3_PlPS5_mZN2at6native12_GLOBAL__N_124unique_dim_cuda_templateIsEESt5tupleIJNSA_6TensorESF_SF_EERKSF_lbbbEUlllE_EE10hipError_tT0_T1_T2_jT3_P12ihipStream_tbPNSt15iterator_traitsISL_E10value_typeEPNSR_ISM_E10value_typeEPSN_NS1_7vsmem_tEENKUlT_SL_SM_SN_E_clIS8_S8_S9_S9_EESK_S10_SL_SM_SN_EUlS10_E_NS1_11comp_targetILNS1_3genE10ELNS1_11target_archE1201ELNS1_3gpuE5ELNS1_3repE0EEENS1_48merge_mergepath_partition_config_static_selectorELNS0_4arch9wavefront6targetE1EEEvSM_ ; -- Begin function _ZN7rocprim17ROCPRIM_400000_NS6detail17trampoline_kernelINS0_14default_configENS1_38merge_sort_block_merge_config_selectorIlNS0_10empty_typeEEEZZNS1_27merge_sort_block_merge_implIS3_PlPS5_mZN2at6native12_GLOBAL__N_124unique_dim_cuda_templateIsEESt5tupleIJNSA_6TensorESF_SF_EERKSF_lbbbEUlllE_EE10hipError_tT0_T1_T2_jT3_P12ihipStream_tbPNSt15iterator_traitsISL_E10value_typeEPNSR_ISM_E10value_typeEPSN_NS1_7vsmem_tEENKUlT_SL_SM_SN_E_clIS8_S8_S9_S9_EESK_S10_SL_SM_SN_EUlS10_E_NS1_11comp_targetILNS1_3genE10ELNS1_11target_archE1201ELNS1_3gpuE5ELNS1_3repE0EEENS1_48merge_mergepath_partition_config_static_selectorELNS0_4arch9wavefront6targetE1EEEvSM_
	.p2align	8
	.type	_ZN7rocprim17ROCPRIM_400000_NS6detail17trampoline_kernelINS0_14default_configENS1_38merge_sort_block_merge_config_selectorIlNS0_10empty_typeEEEZZNS1_27merge_sort_block_merge_implIS3_PlPS5_mZN2at6native12_GLOBAL__N_124unique_dim_cuda_templateIsEESt5tupleIJNSA_6TensorESF_SF_EERKSF_lbbbEUlllE_EE10hipError_tT0_T1_T2_jT3_P12ihipStream_tbPNSt15iterator_traitsISL_E10value_typeEPNSR_ISM_E10value_typeEPSN_NS1_7vsmem_tEENKUlT_SL_SM_SN_E_clIS8_S8_S9_S9_EESK_S10_SL_SM_SN_EUlS10_E_NS1_11comp_targetILNS1_3genE10ELNS1_11target_archE1201ELNS1_3gpuE5ELNS1_3repE0EEENS1_48merge_mergepath_partition_config_static_selectorELNS0_4arch9wavefront6targetE1EEEvSM_,@function
_ZN7rocprim17ROCPRIM_400000_NS6detail17trampoline_kernelINS0_14default_configENS1_38merge_sort_block_merge_config_selectorIlNS0_10empty_typeEEEZZNS1_27merge_sort_block_merge_implIS3_PlPS5_mZN2at6native12_GLOBAL__N_124unique_dim_cuda_templateIsEESt5tupleIJNSA_6TensorESF_SF_EERKSF_lbbbEUlllE_EE10hipError_tT0_T1_T2_jT3_P12ihipStream_tbPNSt15iterator_traitsISL_E10value_typeEPNSR_ISM_E10value_typeEPSN_NS1_7vsmem_tEENKUlT_SL_SM_SN_E_clIS8_S8_S9_S9_EESK_S10_SL_SM_SN_EUlS10_E_NS1_11comp_targetILNS1_3genE10ELNS1_11target_archE1201ELNS1_3gpuE5ELNS1_3repE0EEENS1_48merge_mergepath_partition_config_static_selectorELNS0_4arch9wavefront6targetE1EEEvSM_: ; @_ZN7rocprim17ROCPRIM_400000_NS6detail17trampoline_kernelINS0_14default_configENS1_38merge_sort_block_merge_config_selectorIlNS0_10empty_typeEEEZZNS1_27merge_sort_block_merge_implIS3_PlPS5_mZN2at6native12_GLOBAL__N_124unique_dim_cuda_templateIsEESt5tupleIJNSA_6TensorESF_SF_EERKSF_lbbbEUlllE_EE10hipError_tT0_T1_T2_jT3_P12ihipStream_tbPNSt15iterator_traitsISL_E10value_typeEPNSR_ISM_E10value_typeEPSN_NS1_7vsmem_tEENKUlT_SL_SM_SN_E_clIS8_S8_S9_S9_EESK_S10_SL_SM_SN_EUlS10_E_NS1_11comp_targetILNS1_3genE10ELNS1_11target_archE1201ELNS1_3gpuE5ELNS1_3repE0EEENS1_48merge_mergepath_partition_config_static_selectorELNS0_4arch9wavefront6targetE1EEEvSM_
; %bb.0:
	.section	.rodata,"a",@progbits
	.p2align	6, 0x0
	.amdhsa_kernel _ZN7rocprim17ROCPRIM_400000_NS6detail17trampoline_kernelINS0_14default_configENS1_38merge_sort_block_merge_config_selectorIlNS0_10empty_typeEEEZZNS1_27merge_sort_block_merge_implIS3_PlPS5_mZN2at6native12_GLOBAL__N_124unique_dim_cuda_templateIsEESt5tupleIJNSA_6TensorESF_SF_EERKSF_lbbbEUlllE_EE10hipError_tT0_T1_T2_jT3_P12ihipStream_tbPNSt15iterator_traitsISL_E10value_typeEPNSR_ISM_E10value_typeEPSN_NS1_7vsmem_tEENKUlT_SL_SM_SN_E_clIS8_S8_S9_S9_EESK_S10_SL_SM_SN_EUlS10_E_NS1_11comp_targetILNS1_3genE10ELNS1_11target_archE1201ELNS1_3gpuE5ELNS1_3repE0EEENS1_48merge_mergepath_partition_config_static_selectorELNS0_4arch9wavefront6targetE1EEEvSM_
		.amdhsa_group_segment_fixed_size 0
		.amdhsa_private_segment_fixed_size 0
		.amdhsa_kernarg_size 56
		.amdhsa_user_sgpr_count 6
		.amdhsa_user_sgpr_private_segment_buffer 1
		.amdhsa_user_sgpr_dispatch_ptr 0
		.amdhsa_user_sgpr_queue_ptr 0
		.amdhsa_user_sgpr_kernarg_segment_ptr 1
		.amdhsa_user_sgpr_dispatch_id 0
		.amdhsa_user_sgpr_flat_scratch_init 0
		.amdhsa_user_sgpr_kernarg_preload_length 0
		.amdhsa_user_sgpr_kernarg_preload_offset 0
		.amdhsa_user_sgpr_private_segment_size 0
		.amdhsa_uses_dynamic_stack 0
		.amdhsa_system_sgpr_private_segment_wavefront_offset 0
		.amdhsa_system_sgpr_workgroup_id_x 1
		.amdhsa_system_sgpr_workgroup_id_y 0
		.amdhsa_system_sgpr_workgroup_id_z 0
		.amdhsa_system_sgpr_workgroup_info 0
		.amdhsa_system_vgpr_workitem_id 0
		.amdhsa_next_free_vgpr 1
		.amdhsa_next_free_sgpr 0
		.amdhsa_accum_offset 4
		.amdhsa_reserve_vcc 0
		.amdhsa_reserve_flat_scratch 0
		.amdhsa_float_round_mode_32 0
		.amdhsa_float_round_mode_16_64 0
		.amdhsa_float_denorm_mode_32 3
		.amdhsa_float_denorm_mode_16_64 3
		.amdhsa_dx10_clamp 1
		.amdhsa_ieee_mode 1
		.amdhsa_fp16_overflow 0
		.amdhsa_tg_split 0
		.amdhsa_exception_fp_ieee_invalid_op 0
		.amdhsa_exception_fp_denorm_src 0
		.amdhsa_exception_fp_ieee_div_zero 0
		.amdhsa_exception_fp_ieee_overflow 0
		.amdhsa_exception_fp_ieee_underflow 0
		.amdhsa_exception_fp_ieee_inexact 0
		.amdhsa_exception_int_div_zero 0
	.end_amdhsa_kernel
	.section	.text._ZN7rocprim17ROCPRIM_400000_NS6detail17trampoline_kernelINS0_14default_configENS1_38merge_sort_block_merge_config_selectorIlNS0_10empty_typeEEEZZNS1_27merge_sort_block_merge_implIS3_PlPS5_mZN2at6native12_GLOBAL__N_124unique_dim_cuda_templateIsEESt5tupleIJNSA_6TensorESF_SF_EERKSF_lbbbEUlllE_EE10hipError_tT0_T1_T2_jT3_P12ihipStream_tbPNSt15iterator_traitsISL_E10value_typeEPNSR_ISM_E10value_typeEPSN_NS1_7vsmem_tEENKUlT_SL_SM_SN_E_clIS8_S8_S9_S9_EESK_S10_SL_SM_SN_EUlS10_E_NS1_11comp_targetILNS1_3genE10ELNS1_11target_archE1201ELNS1_3gpuE5ELNS1_3repE0EEENS1_48merge_mergepath_partition_config_static_selectorELNS0_4arch9wavefront6targetE1EEEvSM_,"axG",@progbits,_ZN7rocprim17ROCPRIM_400000_NS6detail17trampoline_kernelINS0_14default_configENS1_38merge_sort_block_merge_config_selectorIlNS0_10empty_typeEEEZZNS1_27merge_sort_block_merge_implIS3_PlPS5_mZN2at6native12_GLOBAL__N_124unique_dim_cuda_templateIsEESt5tupleIJNSA_6TensorESF_SF_EERKSF_lbbbEUlllE_EE10hipError_tT0_T1_T2_jT3_P12ihipStream_tbPNSt15iterator_traitsISL_E10value_typeEPNSR_ISM_E10value_typeEPSN_NS1_7vsmem_tEENKUlT_SL_SM_SN_E_clIS8_S8_S9_S9_EESK_S10_SL_SM_SN_EUlS10_E_NS1_11comp_targetILNS1_3genE10ELNS1_11target_archE1201ELNS1_3gpuE5ELNS1_3repE0EEENS1_48merge_mergepath_partition_config_static_selectorELNS0_4arch9wavefront6targetE1EEEvSM_,comdat
.Lfunc_end637:
	.size	_ZN7rocprim17ROCPRIM_400000_NS6detail17trampoline_kernelINS0_14default_configENS1_38merge_sort_block_merge_config_selectorIlNS0_10empty_typeEEEZZNS1_27merge_sort_block_merge_implIS3_PlPS5_mZN2at6native12_GLOBAL__N_124unique_dim_cuda_templateIsEESt5tupleIJNSA_6TensorESF_SF_EERKSF_lbbbEUlllE_EE10hipError_tT0_T1_T2_jT3_P12ihipStream_tbPNSt15iterator_traitsISL_E10value_typeEPNSR_ISM_E10value_typeEPSN_NS1_7vsmem_tEENKUlT_SL_SM_SN_E_clIS8_S8_S9_S9_EESK_S10_SL_SM_SN_EUlS10_E_NS1_11comp_targetILNS1_3genE10ELNS1_11target_archE1201ELNS1_3gpuE5ELNS1_3repE0EEENS1_48merge_mergepath_partition_config_static_selectorELNS0_4arch9wavefront6targetE1EEEvSM_, .Lfunc_end637-_ZN7rocprim17ROCPRIM_400000_NS6detail17trampoline_kernelINS0_14default_configENS1_38merge_sort_block_merge_config_selectorIlNS0_10empty_typeEEEZZNS1_27merge_sort_block_merge_implIS3_PlPS5_mZN2at6native12_GLOBAL__N_124unique_dim_cuda_templateIsEESt5tupleIJNSA_6TensorESF_SF_EERKSF_lbbbEUlllE_EE10hipError_tT0_T1_T2_jT3_P12ihipStream_tbPNSt15iterator_traitsISL_E10value_typeEPNSR_ISM_E10value_typeEPSN_NS1_7vsmem_tEENKUlT_SL_SM_SN_E_clIS8_S8_S9_S9_EESK_S10_SL_SM_SN_EUlS10_E_NS1_11comp_targetILNS1_3genE10ELNS1_11target_archE1201ELNS1_3gpuE5ELNS1_3repE0EEENS1_48merge_mergepath_partition_config_static_selectorELNS0_4arch9wavefront6targetE1EEEvSM_
                                        ; -- End function
	.section	.AMDGPU.csdata,"",@progbits
; Kernel info:
; codeLenInByte = 0
; NumSgprs: 4
; NumVgprs: 0
; NumAgprs: 0
; TotalNumVgprs: 0
; ScratchSize: 0
; MemoryBound: 0
; FloatMode: 240
; IeeeMode: 1
; LDSByteSize: 0 bytes/workgroup (compile time only)
; SGPRBlocks: 0
; VGPRBlocks: 0
; NumSGPRsForWavesPerEU: 4
; NumVGPRsForWavesPerEU: 1
; AccumOffset: 4
; Occupancy: 8
; WaveLimiterHint : 0
; COMPUTE_PGM_RSRC2:SCRATCH_EN: 0
; COMPUTE_PGM_RSRC2:USER_SGPR: 6
; COMPUTE_PGM_RSRC2:TRAP_HANDLER: 0
; COMPUTE_PGM_RSRC2:TGID_X_EN: 1
; COMPUTE_PGM_RSRC2:TGID_Y_EN: 0
; COMPUTE_PGM_RSRC2:TGID_Z_EN: 0
; COMPUTE_PGM_RSRC2:TIDIG_COMP_CNT: 0
; COMPUTE_PGM_RSRC3_GFX90A:ACCUM_OFFSET: 0
; COMPUTE_PGM_RSRC3_GFX90A:TG_SPLIT: 0
	.section	.text._ZN7rocprim17ROCPRIM_400000_NS6detail17trampoline_kernelINS0_14default_configENS1_38merge_sort_block_merge_config_selectorIlNS0_10empty_typeEEEZZNS1_27merge_sort_block_merge_implIS3_PlPS5_mZN2at6native12_GLOBAL__N_124unique_dim_cuda_templateIsEESt5tupleIJNSA_6TensorESF_SF_EERKSF_lbbbEUlllE_EE10hipError_tT0_T1_T2_jT3_P12ihipStream_tbPNSt15iterator_traitsISL_E10value_typeEPNSR_ISM_E10value_typeEPSN_NS1_7vsmem_tEENKUlT_SL_SM_SN_E_clIS8_S8_S9_S9_EESK_S10_SL_SM_SN_EUlS10_E_NS1_11comp_targetILNS1_3genE5ELNS1_11target_archE942ELNS1_3gpuE9ELNS1_3repE0EEENS1_48merge_mergepath_partition_config_static_selectorELNS0_4arch9wavefront6targetE1EEEvSM_,"axG",@progbits,_ZN7rocprim17ROCPRIM_400000_NS6detail17trampoline_kernelINS0_14default_configENS1_38merge_sort_block_merge_config_selectorIlNS0_10empty_typeEEEZZNS1_27merge_sort_block_merge_implIS3_PlPS5_mZN2at6native12_GLOBAL__N_124unique_dim_cuda_templateIsEESt5tupleIJNSA_6TensorESF_SF_EERKSF_lbbbEUlllE_EE10hipError_tT0_T1_T2_jT3_P12ihipStream_tbPNSt15iterator_traitsISL_E10value_typeEPNSR_ISM_E10value_typeEPSN_NS1_7vsmem_tEENKUlT_SL_SM_SN_E_clIS8_S8_S9_S9_EESK_S10_SL_SM_SN_EUlS10_E_NS1_11comp_targetILNS1_3genE5ELNS1_11target_archE942ELNS1_3gpuE9ELNS1_3repE0EEENS1_48merge_mergepath_partition_config_static_selectorELNS0_4arch9wavefront6targetE1EEEvSM_,comdat
	.globl	_ZN7rocprim17ROCPRIM_400000_NS6detail17trampoline_kernelINS0_14default_configENS1_38merge_sort_block_merge_config_selectorIlNS0_10empty_typeEEEZZNS1_27merge_sort_block_merge_implIS3_PlPS5_mZN2at6native12_GLOBAL__N_124unique_dim_cuda_templateIsEESt5tupleIJNSA_6TensorESF_SF_EERKSF_lbbbEUlllE_EE10hipError_tT0_T1_T2_jT3_P12ihipStream_tbPNSt15iterator_traitsISL_E10value_typeEPNSR_ISM_E10value_typeEPSN_NS1_7vsmem_tEENKUlT_SL_SM_SN_E_clIS8_S8_S9_S9_EESK_S10_SL_SM_SN_EUlS10_E_NS1_11comp_targetILNS1_3genE5ELNS1_11target_archE942ELNS1_3gpuE9ELNS1_3repE0EEENS1_48merge_mergepath_partition_config_static_selectorELNS0_4arch9wavefront6targetE1EEEvSM_ ; -- Begin function _ZN7rocprim17ROCPRIM_400000_NS6detail17trampoline_kernelINS0_14default_configENS1_38merge_sort_block_merge_config_selectorIlNS0_10empty_typeEEEZZNS1_27merge_sort_block_merge_implIS3_PlPS5_mZN2at6native12_GLOBAL__N_124unique_dim_cuda_templateIsEESt5tupleIJNSA_6TensorESF_SF_EERKSF_lbbbEUlllE_EE10hipError_tT0_T1_T2_jT3_P12ihipStream_tbPNSt15iterator_traitsISL_E10value_typeEPNSR_ISM_E10value_typeEPSN_NS1_7vsmem_tEENKUlT_SL_SM_SN_E_clIS8_S8_S9_S9_EESK_S10_SL_SM_SN_EUlS10_E_NS1_11comp_targetILNS1_3genE5ELNS1_11target_archE942ELNS1_3gpuE9ELNS1_3repE0EEENS1_48merge_mergepath_partition_config_static_selectorELNS0_4arch9wavefront6targetE1EEEvSM_
	.p2align	8
	.type	_ZN7rocprim17ROCPRIM_400000_NS6detail17trampoline_kernelINS0_14default_configENS1_38merge_sort_block_merge_config_selectorIlNS0_10empty_typeEEEZZNS1_27merge_sort_block_merge_implIS3_PlPS5_mZN2at6native12_GLOBAL__N_124unique_dim_cuda_templateIsEESt5tupleIJNSA_6TensorESF_SF_EERKSF_lbbbEUlllE_EE10hipError_tT0_T1_T2_jT3_P12ihipStream_tbPNSt15iterator_traitsISL_E10value_typeEPNSR_ISM_E10value_typeEPSN_NS1_7vsmem_tEENKUlT_SL_SM_SN_E_clIS8_S8_S9_S9_EESK_S10_SL_SM_SN_EUlS10_E_NS1_11comp_targetILNS1_3genE5ELNS1_11target_archE942ELNS1_3gpuE9ELNS1_3repE0EEENS1_48merge_mergepath_partition_config_static_selectorELNS0_4arch9wavefront6targetE1EEEvSM_,@function
_ZN7rocprim17ROCPRIM_400000_NS6detail17trampoline_kernelINS0_14default_configENS1_38merge_sort_block_merge_config_selectorIlNS0_10empty_typeEEEZZNS1_27merge_sort_block_merge_implIS3_PlPS5_mZN2at6native12_GLOBAL__N_124unique_dim_cuda_templateIsEESt5tupleIJNSA_6TensorESF_SF_EERKSF_lbbbEUlllE_EE10hipError_tT0_T1_T2_jT3_P12ihipStream_tbPNSt15iterator_traitsISL_E10value_typeEPNSR_ISM_E10value_typeEPSN_NS1_7vsmem_tEENKUlT_SL_SM_SN_E_clIS8_S8_S9_S9_EESK_S10_SL_SM_SN_EUlS10_E_NS1_11comp_targetILNS1_3genE5ELNS1_11target_archE942ELNS1_3gpuE9ELNS1_3repE0EEENS1_48merge_mergepath_partition_config_static_selectorELNS0_4arch9wavefront6targetE1EEEvSM_: ; @_ZN7rocprim17ROCPRIM_400000_NS6detail17trampoline_kernelINS0_14default_configENS1_38merge_sort_block_merge_config_selectorIlNS0_10empty_typeEEEZZNS1_27merge_sort_block_merge_implIS3_PlPS5_mZN2at6native12_GLOBAL__N_124unique_dim_cuda_templateIsEESt5tupleIJNSA_6TensorESF_SF_EERKSF_lbbbEUlllE_EE10hipError_tT0_T1_T2_jT3_P12ihipStream_tbPNSt15iterator_traitsISL_E10value_typeEPNSR_ISM_E10value_typeEPSN_NS1_7vsmem_tEENKUlT_SL_SM_SN_E_clIS8_S8_S9_S9_EESK_S10_SL_SM_SN_EUlS10_E_NS1_11comp_targetILNS1_3genE5ELNS1_11target_archE942ELNS1_3gpuE9ELNS1_3repE0EEENS1_48merge_mergepath_partition_config_static_selectorELNS0_4arch9wavefront6targetE1EEEvSM_
; %bb.0:
	.section	.rodata,"a",@progbits
	.p2align	6, 0x0
	.amdhsa_kernel _ZN7rocprim17ROCPRIM_400000_NS6detail17trampoline_kernelINS0_14default_configENS1_38merge_sort_block_merge_config_selectorIlNS0_10empty_typeEEEZZNS1_27merge_sort_block_merge_implIS3_PlPS5_mZN2at6native12_GLOBAL__N_124unique_dim_cuda_templateIsEESt5tupleIJNSA_6TensorESF_SF_EERKSF_lbbbEUlllE_EE10hipError_tT0_T1_T2_jT3_P12ihipStream_tbPNSt15iterator_traitsISL_E10value_typeEPNSR_ISM_E10value_typeEPSN_NS1_7vsmem_tEENKUlT_SL_SM_SN_E_clIS8_S8_S9_S9_EESK_S10_SL_SM_SN_EUlS10_E_NS1_11comp_targetILNS1_3genE5ELNS1_11target_archE942ELNS1_3gpuE9ELNS1_3repE0EEENS1_48merge_mergepath_partition_config_static_selectorELNS0_4arch9wavefront6targetE1EEEvSM_
		.amdhsa_group_segment_fixed_size 0
		.amdhsa_private_segment_fixed_size 0
		.amdhsa_kernarg_size 56
		.amdhsa_user_sgpr_count 6
		.amdhsa_user_sgpr_private_segment_buffer 1
		.amdhsa_user_sgpr_dispatch_ptr 0
		.amdhsa_user_sgpr_queue_ptr 0
		.amdhsa_user_sgpr_kernarg_segment_ptr 1
		.amdhsa_user_sgpr_dispatch_id 0
		.amdhsa_user_sgpr_flat_scratch_init 0
		.amdhsa_user_sgpr_kernarg_preload_length 0
		.amdhsa_user_sgpr_kernarg_preload_offset 0
		.amdhsa_user_sgpr_private_segment_size 0
		.amdhsa_uses_dynamic_stack 0
		.amdhsa_system_sgpr_private_segment_wavefront_offset 0
		.amdhsa_system_sgpr_workgroup_id_x 1
		.amdhsa_system_sgpr_workgroup_id_y 0
		.amdhsa_system_sgpr_workgroup_id_z 0
		.amdhsa_system_sgpr_workgroup_info 0
		.amdhsa_system_vgpr_workitem_id 0
		.amdhsa_next_free_vgpr 1
		.amdhsa_next_free_sgpr 0
		.amdhsa_accum_offset 4
		.amdhsa_reserve_vcc 0
		.amdhsa_reserve_flat_scratch 0
		.amdhsa_float_round_mode_32 0
		.amdhsa_float_round_mode_16_64 0
		.amdhsa_float_denorm_mode_32 3
		.amdhsa_float_denorm_mode_16_64 3
		.amdhsa_dx10_clamp 1
		.amdhsa_ieee_mode 1
		.amdhsa_fp16_overflow 0
		.amdhsa_tg_split 0
		.amdhsa_exception_fp_ieee_invalid_op 0
		.amdhsa_exception_fp_denorm_src 0
		.amdhsa_exception_fp_ieee_div_zero 0
		.amdhsa_exception_fp_ieee_overflow 0
		.amdhsa_exception_fp_ieee_underflow 0
		.amdhsa_exception_fp_ieee_inexact 0
		.amdhsa_exception_int_div_zero 0
	.end_amdhsa_kernel
	.section	.text._ZN7rocprim17ROCPRIM_400000_NS6detail17trampoline_kernelINS0_14default_configENS1_38merge_sort_block_merge_config_selectorIlNS0_10empty_typeEEEZZNS1_27merge_sort_block_merge_implIS3_PlPS5_mZN2at6native12_GLOBAL__N_124unique_dim_cuda_templateIsEESt5tupleIJNSA_6TensorESF_SF_EERKSF_lbbbEUlllE_EE10hipError_tT0_T1_T2_jT3_P12ihipStream_tbPNSt15iterator_traitsISL_E10value_typeEPNSR_ISM_E10value_typeEPSN_NS1_7vsmem_tEENKUlT_SL_SM_SN_E_clIS8_S8_S9_S9_EESK_S10_SL_SM_SN_EUlS10_E_NS1_11comp_targetILNS1_3genE5ELNS1_11target_archE942ELNS1_3gpuE9ELNS1_3repE0EEENS1_48merge_mergepath_partition_config_static_selectorELNS0_4arch9wavefront6targetE1EEEvSM_,"axG",@progbits,_ZN7rocprim17ROCPRIM_400000_NS6detail17trampoline_kernelINS0_14default_configENS1_38merge_sort_block_merge_config_selectorIlNS0_10empty_typeEEEZZNS1_27merge_sort_block_merge_implIS3_PlPS5_mZN2at6native12_GLOBAL__N_124unique_dim_cuda_templateIsEESt5tupleIJNSA_6TensorESF_SF_EERKSF_lbbbEUlllE_EE10hipError_tT0_T1_T2_jT3_P12ihipStream_tbPNSt15iterator_traitsISL_E10value_typeEPNSR_ISM_E10value_typeEPSN_NS1_7vsmem_tEENKUlT_SL_SM_SN_E_clIS8_S8_S9_S9_EESK_S10_SL_SM_SN_EUlS10_E_NS1_11comp_targetILNS1_3genE5ELNS1_11target_archE942ELNS1_3gpuE9ELNS1_3repE0EEENS1_48merge_mergepath_partition_config_static_selectorELNS0_4arch9wavefront6targetE1EEEvSM_,comdat
.Lfunc_end638:
	.size	_ZN7rocprim17ROCPRIM_400000_NS6detail17trampoline_kernelINS0_14default_configENS1_38merge_sort_block_merge_config_selectorIlNS0_10empty_typeEEEZZNS1_27merge_sort_block_merge_implIS3_PlPS5_mZN2at6native12_GLOBAL__N_124unique_dim_cuda_templateIsEESt5tupleIJNSA_6TensorESF_SF_EERKSF_lbbbEUlllE_EE10hipError_tT0_T1_T2_jT3_P12ihipStream_tbPNSt15iterator_traitsISL_E10value_typeEPNSR_ISM_E10value_typeEPSN_NS1_7vsmem_tEENKUlT_SL_SM_SN_E_clIS8_S8_S9_S9_EESK_S10_SL_SM_SN_EUlS10_E_NS1_11comp_targetILNS1_3genE5ELNS1_11target_archE942ELNS1_3gpuE9ELNS1_3repE0EEENS1_48merge_mergepath_partition_config_static_selectorELNS0_4arch9wavefront6targetE1EEEvSM_, .Lfunc_end638-_ZN7rocprim17ROCPRIM_400000_NS6detail17trampoline_kernelINS0_14default_configENS1_38merge_sort_block_merge_config_selectorIlNS0_10empty_typeEEEZZNS1_27merge_sort_block_merge_implIS3_PlPS5_mZN2at6native12_GLOBAL__N_124unique_dim_cuda_templateIsEESt5tupleIJNSA_6TensorESF_SF_EERKSF_lbbbEUlllE_EE10hipError_tT0_T1_T2_jT3_P12ihipStream_tbPNSt15iterator_traitsISL_E10value_typeEPNSR_ISM_E10value_typeEPSN_NS1_7vsmem_tEENKUlT_SL_SM_SN_E_clIS8_S8_S9_S9_EESK_S10_SL_SM_SN_EUlS10_E_NS1_11comp_targetILNS1_3genE5ELNS1_11target_archE942ELNS1_3gpuE9ELNS1_3repE0EEENS1_48merge_mergepath_partition_config_static_selectorELNS0_4arch9wavefront6targetE1EEEvSM_
                                        ; -- End function
	.section	.AMDGPU.csdata,"",@progbits
; Kernel info:
; codeLenInByte = 0
; NumSgprs: 4
; NumVgprs: 0
; NumAgprs: 0
; TotalNumVgprs: 0
; ScratchSize: 0
; MemoryBound: 0
; FloatMode: 240
; IeeeMode: 1
; LDSByteSize: 0 bytes/workgroup (compile time only)
; SGPRBlocks: 0
; VGPRBlocks: 0
; NumSGPRsForWavesPerEU: 4
; NumVGPRsForWavesPerEU: 1
; AccumOffset: 4
; Occupancy: 8
; WaveLimiterHint : 0
; COMPUTE_PGM_RSRC2:SCRATCH_EN: 0
; COMPUTE_PGM_RSRC2:USER_SGPR: 6
; COMPUTE_PGM_RSRC2:TRAP_HANDLER: 0
; COMPUTE_PGM_RSRC2:TGID_X_EN: 1
; COMPUTE_PGM_RSRC2:TGID_Y_EN: 0
; COMPUTE_PGM_RSRC2:TGID_Z_EN: 0
; COMPUTE_PGM_RSRC2:TIDIG_COMP_CNT: 0
; COMPUTE_PGM_RSRC3_GFX90A:ACCUM_OFFSET: 0
; COMPUTE_PGM_RSRC3_GFX90A:TG_SPLIT: 0
	.section	.text._ZN7rocprim17ROCPRIM_400000_NS6detail17trampoline_kernelINS0_14default_configENS1_38merge_sort_block_merge_config_selectorIlNS0_10empty_typeEEEZZNS1_27merge_sort_block_merge_implIS3_PlPS5_mZN2at6native12_GLOBAL__N_124unique_dim_cuda_templateIsEESt5tupleIJNSA_6TensorESF_SF_EERKSF_lbbbEUlllE_EE10hipError_tT0_T1_T2_jT3_P12ihipStream_tbPNSt15iterator_traitsISL_E10value_typeEPNSR_ISM_E10value_typeEPSN_NS1_7vsmem_tEENKUlT_SL_SM_SN_E_clIS8_S8_S9_S9_EESK_S10_SL_SM_SN_EUlS10_E_NS1_11comp_targetILNS1_3genE4ELNS1_11target_archE910ELNS1_3gpuE8ELNS1_3repE0EEENS1_48merge_mergepath_partition_config_static_selectorELNS0_4arch9wavefront6targetE1EEEvSM_,"axG",@progbits,_ZN7rocprim17ROCPRIM_400000_NS6detail17trampoline_kernelINS0_14default_configENS1_38merge_sort_block_merge_config_selectorIlNS0_10empty_typeEEEZZNS1_27merge_sort_block_merge_implIS3_PlPS5_mZN2at6native12_GLOBAL__N_124unique_dim_cuda_templateIsEESt5tupleIJNSA_6TensorESF_SF_EERKSF_lbbbEUlllE_EE10hipError_tT0_T1_T2_jT3_P12ihipStream_tbPNSt15iterator_traitsISL_E10value_typeEPNSR_ISM_E10value_typeEPSN_NS1_7vsmem_tEENKUlT_SL_SM_SN_E_clIS8_S8_S9_S9_EESK_S10_SL_SM_SN_EUlS10_E_NS1_11comp_targetILNS1_3genE4ELNS1_11target_archE910ELNS1_3gpuE8ELNS1_3repE0EEENS1_48merge_mergepath_partition_config_static_selectorELNS0_4arch9wavefront6targetE1EEEvSM_,comdat
	.globl	_ZN7rocprim17ROCPRIM_400000_NS6detail17trampoline_kernelINS0_14default_configENS1_38merge_sort_block_merge_config_selectorIlNS0_10empty_typeEEEZZNS1_27merge_sort_block_merge_implIS3_PlPS5_mZN2at6native12_GLOBAL__N_124unique_dim_cuda_templateIsEESt5tupleIJNSA_6TensorESF_SF_EERKSF_lbbbEUlllE_EE10hipError_tT0_T1_T2_jT3_P12ihipStream_tbPNSt15iterator_traitsISL_E10value_typeEPNSR_ISM_E10value_typeEPSN_NS1_7vsmem_tEENKUlT_SL_SM_SN_E_clIS8_S8_S9_S9_EESK_S10_SL_SM_SN_EUlS10_E_NS1_11comp_targetILNS1_3genE4ELNS1_11target_archE910ELNS1_3gpuE8ELNS1_3repE0EEENS1_48merge_mergepath_partition_config_static_selectorELNS0_4arch9wavefront6targetE1EEEvSM_ ; -- Begin function _ZN7rocprim17ROCPRIM_400000_NS6detail17trampoline_kernelINS0_14default_configENS1_38merge_sort_block_merge_config_selectorIlNS0_10empty_typeEEEZZNS1_27merge_sort_block_merge_implIS3_PlPS5_mZN2at6native12_GLOBAL__N_124unique_dim_cuda_templateIsEESt5tupleIJNSA_6TensorESF_SF_EERKSF_lbbbEUlllE_EE10hipError_tT0_T1_T2_jT3_P12ihipStream_tbPNSt15iterator_traitsISL_E10value_typeEPNSR_ISM_E10value_typeEPSN_NS1_7vsmem_tEENKUlT_SL_SM_SN_E_clIS8_S8_S9_S9_EESK_S10_SL_SM_SN_EUlS10_E_NS1_11comp_targetILNS1_3genE4ELNS1_11target_archE910ELNS1_3gpuE8ELNS1_3repE0EEENS1_48merge_mergepath_partition_config_static_selectorELNS0_4arch9wavefront6targetE1EEEvSM_
	.p2align	8
	.type	_ZN7rocprim17ROCPRIM_400000_NS6detail17trampoline_kernelINS0_14default_configENS1_38merge_sort_block_merge_config_selectorIlNS0_10empty_typeEEEZZNS1_27merge_sort_block_merge_implIS3_PlPS5_mZN2at6native12_GLOBAL__N_124unique_dim_cuda_templateIsEESt5tupleIJNSA_6TensorESF_SF_EERKSF_lbbbEUlllE_EE10hipError_tT0_T1_T2_jT3_P12ihipStream_tbPNSt15iterator_traitsISL_E10value_typeEPNSR_ISM_E10value_typeEPSN_NS1_7vsmem_tEENKUlT_SL_SM_SN_E_clIS8_S8_S9_S9_EESK_S10_SL_SM_SN_EUlS10_E_NS1_11comp_targetILNS1_3genE4ELNS1_11target_archE910ELNS1_3gpuE8ELNS1_3repE0EEENS1_48merge_mergepath_partition_config_static_selectorELNS0_4arch9wavefront6targetE1EEEvSM_,@function
_ZN7rocprim17ROCPRIM_400000_NS6detail17trampoline_kernelINS0_14default_configENS1_38merge_sort_block_merge_config_selectorIlNS0_10empty_typeEEEZZNS1_27merge_sort_block_merge_implIS3_PlPS5_mZN2at6native12_GLOBAL__N_124unique_dim_cuda_templateIsEESt5tupleIJNSA_6TensorESF_SF_EERKSF_lbbbEUlllE_EE10hipError_tT0_T1_T2_jT3_P12ihipStream_tbPNSt15iterator_traitsISL_E10value_typeEPNSR_ISM_E10value_typeEPSN_NS1_7vsmem_tEENKUlT_SL_SM_SN_E_clIS8_S8_S9_S9_EESK_S10_SL_SM_SN_EUlS10_E_NS1_11comp_targetILNS1_3genE4ELNS1_11target_archE910ELNS1_3gpuE8ELNS1_3repE0EEENS1_48merge_mergepath_partition_config_static_selectorELNS0_4arch9wavefront6targetE1EEEvSM_: ; @_ZN7rocprim17ROCPRIM_400000_NS6detail17trampoline_kernelINS0_14default_configENS1_38merge_sort_block_merge_config_selectorIlNS0_10empty_typeEEEZZNS1_27merge_sort_block_merge_implIS3_PlPS5_mZN2at6native12_GLOBAL__N_124unique_dim_cuda_templateIsEESt5tupleIJNSA_6TensorESF_SF_EERKSF_lbbbEUlllE_EE10hipError_tT0_T1_T2_jT3_P12ihipStream_tbPNSt15iterator_traitsISL_E10value_typeEPNSR_ISM_E10value_typeEPSN_NS1_7vsmem_tEENKUlT_SL_SM_SN_E_clIS8_S8_S9_S9_EESK_S10_SL_SM_SN_EUlS10_E_NS1_11comp_targetILNS1_3genE4ELNS1_11target_archE910ELNS1_3gpuE8ELNS1_3repE0EEENS1_48merge_mergepath_partition_config_static_selectorELNS0_4arch9wavefront6targetE1EEEvSM_
; %bb.0:
	s_load_dword s0, s[4:5], 0x0
	v_lshl_or_b32 v0, s6, 7, v0
	s_waitcnt lgkmcnt(0)
	v_cmp_gt_u32_e32 vcc, s0, v0
	s_and_saveexec_b64 s[0:1], vcc
	s_cbranch_execz .LBB639_12
; %bb.1:
	s_load_dwordx4 s[0:3], s[4:5], 0x8
	s_load_dwordx8 s[8:15], s[4:5], 0x18
	v_mov_b32_e32 v5, 0
	s_waitcnt lgkmcnt(0)
	v_mov_b32_e32 v1, s0
	v_alignbit_b32 v1, s1, v1, 9
	v_and_b32_e32 v1, -2, v1
	v_add_u32_e32 v2, -1, v1
	v_sub_u32_e32 v1, 0, v1
	v_and_b32_e32 v4, v0, v1
	v_lshlrev_b64 v[8:9], 10, v[4:5]
	v_mov_b32_e32 v1, s3
	v_cmp_lt_u64_e32 vcc, s[2:3], v[8:9]
	v_mov_b32_e32 v4, s2
	v_and_b32_e32 v6, v2, v0
	v_cndmask_b32_e32 v3, v9, v1, vcc
	v_cndmask_b32_e32 v2, v8, v4, vcc
	v_mov_b32_e32 v7, s1
	v_add_co_u32_e32 v8, vcc, s0, v8
	v_addc_co_u32_e32 v9, vcc, v9, v7, vcc
	v_cmp_lt_u64_e32 vcc, s[2:3], v[8:9]
	v_cndmask_b32_e32 v8, v8, v4, vcc
	v_cndmask_b32_e32 v9, v9, v1, vcc
	v_add_co_u32_e32 v10, vcc, s0, v8
	v_addc_co_u32_e32 v11, vcc, v9, v7, vcc
	v_cmp_lt_u64_e32 vcc, s[2:3], v[10:11]
	v_cndmask_b32_e32 v12, v10, v4, vcc
	v_cndmask_b32_e32 v1, v11, v1, vcc
	v_sub_co_u32_e32 v10, vcc, v12, v2
	v_mov_b32_e32 v7, v5
	v_subb_co_u32_e32 v11, vcc, v1, v3, vcc
	v_lshlrev_b64 v[4:5], 10, v[6:7]
	v_cmp_lt_u64_e32 vcc, v[10:11], v[4:5]
	v_cndmask_b32_e32 v11, v5, v11, vcc
	v_cndmask_b32_e32 v10, v4, v10, vcc
	v_sub_co_u32_e32 v6, vcc, v8, v2
	v_subb_co_u32_e32 v7, vcc, v9, v3, vcc
	v_sub_co_u32_e32 v4, vcc, v8, v12
	v_subb_co_u32_e32 v1, vcc, v9, v1, vcc
	v_add_co_u32_e32 v4, vcc, v10, v4
	v_addc_co_u32_e32 v5, vcc, v11, v1, vcc
	v_cmp_gt_u64_e32 vcc, v[4:5], v[10:11]
	v_cndmask_b32_e64 v5, v5, 0, vcc
	v_cndmask_b32_e64 v4, v4, 0, vcc
	v_cmp_lt_u64_e32 vcc, v[10:11], v[6:7]
	v_cndmask_b32_e32 v7, v7, v11, vcc
	v_cndmask_b32_e32 v6, v6, v10, vcc
	v_cmp_lt_u64_e32 vcc, v[4:5], v[6:7]
	s_and_saveexec_b64 s[6:7], vcc
	s_cbranch_execz .LBB639_11
; %bb.2:
	v_lshlrev_b64 v[12:13], 3, v[2:3]
	v_mov_b32_e32 v14, s9
	v_add_co_u32_e32 v1, vcc, s8, v12
	v_addc_co_u32_e32 v14, vcc, v14, v13, vcc
	v_lshlrev_b64 v[8:9], 3, v[8:9]
	v_mov_b32_e32 v12, s9
	v_add_co_u32_e32 v13, vcc, s8, v8
	v_addc_co_u32_e32 v12, vcc, v12, v9, vcc
	v_lshlrev_b64 v[8:9], 3, v[10:11]
	v_cmp_gt_i64_e64 s[0:1], s[10:11], 0
	v_add_co_u32_e32 v15, vcc, v13, v8
	v_cndmask_b32_e64 v8, 0, 1, s[0:1]
	v_addc_co_u32_e32 v16, vcc, v12, v9, vcc
	s_mov_b64 s[8:9], 0
	s_lshl_b64 s[16:17], s[10:11], 1
	v_cmp_ne_u32_e64 s[0:1], 1, v8
	s_branch .LBB639_5
.LBB639_3:                              ;   in Loop: Header=BB639_5 Depth=1
	s_or_b64 exec, exec, s[20:21]
.LBB639_4:                              ;   in Loop: Header=BB639_5 Depth=1
	v_add_co_u32_e32 v10, vcc, 1, v8
	v_addc_co_u32_e32 v11, vcc, 0, v9, vcc
	v_cndmask_b32_e64 v7, v7, v9, s[18:19]
	v_cndmask_b32_e64 v6, v6, v8, s[18:19]
	;; [unrolled: 1-line block ×4, first 2 shown]
	v_cmp_ge_u64_e32 vcc, v[4:5], v[6:7]
	s_or_b64 s[8:9], vcc, s[8:9]
	s_andn2_b64 exec, exec, s[8:9]
	s_cbranch_execz .LBB639_10
.LBB639_5:                              ; =>This Loop Header: Depth=1
                                        ;     Child Loop BB639_8 Depth 2
	v_add_co_u32_e32 v8, vcc, v6, v4
	v_addc_co_u32_e32 v9, vcc, v7, v5, vcc
	v_lshrrev_b64 v[8:9], 1, v[8:9]
	s_and_b64 vcc, exec, s[0:1]
	s_mov_b64 s[18:19], 0
	s_cbranch_vccnz .LBB639_4
; %bb.6:                                ;   in Loop: Header=BB639_5 Depth=1
	v_not_b32_e32 v11, v9
	v_not_b32_e32 v10, v8
	v_lshlrev_b64 v[10:11], 3, v[10:11]
	v_add_co_u32_e32 v10, vcc, v15, v10
	v_addc_co_u32_e32 v11, vcc, v16, v11, vcc
	v_lshlrev_b64 v[12:13], 3, v[8:9]
	v_add_co_u32_e32 v12, vcc, v1, v12
	v_addc_co_u32_e32 v13, vcc, v14, v13, vcc
	global_load_dwordx2 v[10:11], v[10:11], off
	v_pk_mov_b32 v[18:19], s[12:13], s[12:13] op_sel:[0,1]
	global_load_dwordx2 v[12:13], v[12:13], off
	s_mov_b64 s[20:21], 0
	s_mov_b64 s[26:27], s[10:11]
                                        ; implicit-def: $sgpr18_sgpr19
                                        ; implicit-def: $sgpr22_sgpr23
                                        ; implicit-def: $sgpr24_sgpr25
                                        ; implicit-def: $sgpr2_sgpr3
                                        ; implicit-def: $sgpr28_sgpr29
	s_waitcnt vmcnt(1)
	v_mul_lo_u32 v17, s16, v11
	v_mul_lo_u32 v20, s17, v10
	v_mad_u64_u32 v[10:11], s[4:5], s16, v10, v[18:19]
	s_waitcnt vmcnt(0)
	v_mul_lo_u32 v21, s16, v13
	v_mul_lo_u32 v22, s17, v12
	v_mad_u64_u32 v[12:13], s[4:5], s16, v12, v[18:19]
	v_add3_u32 v11, v20, v11, v17
	v_add3_u32 v13, v22, v13, v21
	s_branch .LBB639_8
.LBB639_7:                              ;   in Loop: Header=BB639_8 Depth=2
	s_or_b64 exec, exec, s[30:31]
	s_and_b64 s[4:5], exec, s[22:23]
	s_or_b64 s[20:21], s[4:5], s[20:21]
	s_andn2_b64 s[4:5], s[28:29], exec
	s_and_b64 s[28:29], s[24:25], exec
	s_or_b64 s[28:29], s[4:5], s[28:29]
	s_andn2_b64 s[4:5], s[18:19], exec
	s_and_b64 s[18:19], s[2:3], exec
	s_or_b64 s[18:19], s[4:5], s[18:19]
	s_andn2_b64 exec, exec, s[20:21]
	s_cbranch_execz .LBB639_3
.LBB639_8:                              ;   Parent Loop BB639_5 Depth=1
                                        ; =>  This Inner Loop Header: Depth=2
	global_load_ushort v17, v[10:11], off
	global_load_ushort v18, v[12:13], off
	s_andn2_b64 s[30:31], s[2:3], exec
	s_andn2_b64 s[24:25], s[24:25], exec
	s_or_b64 s[22:23], s[22:23], exec
	s_waitcnt vmcnt(0)
	v_cmp_le_i16_e64 s[2:3], v17, v18
	v_cmp_lt_i16_e32 vcc, v17, v18
	s_and_b64 s[2:3], s[2:3], s[28:29]
	s_or_b64 s[34:35], vcc, s[2:3]
	s_and_b64 s[2:3], s[34:35], exec
	v_cmp_eq_u16_e64 s[4:5], v17, v18
	s_or_b64 s[2:3], s[30:31], s[2:3]
	s_and_saveexec_b64 s[30:31], s[4:5]
	s_cbranch_execz .LBB639_7
; %bb.9:                                ;   in Loop: Header=BB639_8 Depth=2
	s_add_u32 s26, s26, -1
	s_addc_u32 s27, s27, -1
	v_add_co_u32_e32 v10, vcc, 2, v10
	s_cmp_eq_u64 s[26:27], 0
	v_addc_co_u32_e32 v11, vcc, 0, v11, vcc
	s_cselect_b64 s[4:5], -1, 0
	v_add_co_u32_e32 v12, vcc, 2, v12
	s_andn2_b64 s[24:25], s[24:25], exec
	s_and_b64 s[28:29], s[34:35], exec
	s_andn2_b64 s[22:23], s[22:23], exec
	s_and_b64 s[4:5], s[4:5], exec
	v_addc_co_u32_e32 v13, vcc, 0, v13, vcc
	s_andn2_b64 s[2:3], s[2:3], exec
	s_or_b64 s[24:25], s[24:25], s[28:29]
	s_or_b64 s[22:23], s[22:23], s[4:5]
                                        ; implicit-def: $sgpr28_sgpr29
	s_branch .LBB639_7
.LBB639_10:
	s_or_b64 exec, exec, s[8:9]
.LBB639_11:
	s_or_b64 exec, exec, s[6:7]
	v_add_co_u32_e32 v2, vcc, v4, v2
	v_mov_b32_e32 v1, 0
	v_addc_co_u32_e32 v3, vcc, v5, v3, vcc
	v_lshlrev_b64 v[0:1], 3, v[0:1]
	v_mov_b32_e32 v4, s15
	v_add_co_u32_e32 v0, vcc, s14, v0
	v_addc_co_u32_e32 v1, vcc, v4, v1, vcc
	global_store_dwordx2 v[0:1], v[2:3], off
.LBB639_12:
	s_endpgm
	.section	.rodata,"a",@progbits
	.p2align	6, 0x0
	.amdhsa_kernel _ZN7rocprim17ROCPRIM_400000_NS6detail17trampoline_kernelINS0_14default_configENS1_38merge_sort_block_merge_config_selectorIlNS0_10empty_typeEEEZZNS1_27merge_sort_block_merge_implIS3_PlPS5_mZN2at6native12_GLOBAL__N_124unique_dim_cuda_templateIsEESt5tupleIJNSA_6TensorESF_SF_EERKSF_lbbbEUlllE_EE10hipError_tT0_T1_T2_jT3_P12ihipStream_tbPNSt15iterator_traitsISL_E10value_typeEPNSR_ISM_E10value_typeEPSN_NS1_7vsmem_tEENKUlT_SL_SM_SN_E_clIS8_S8_S9_S9_EESK_S10_SL_SM_SN_EUlS10_E_NS1_11comp_targetILNS1_3genE4ELNS1_11target_archE910ELNS1_3gpuE8ELNS1_3repE0EEENS1_48merge_mergepath_partition_config_static_selectorELNS0_4arch9wavefront6targetE1EEEvSM_
		.amdhsa_group_segment_fixed_size 0
		.amdhsa_private_segment_fixed_size 0
		.amdhsa_kernarg_size 56
		.amdhsa_user_sgpr_count 6
		.amdhsa_user_sgpr_private_segment_buffer 1
		.amdhsa_user_sgpr_dispatch_ptr 0
		.amdhsa_user_sgpr_queue_ptr 0
		.amdhsa_user_sgpr_kernarg_segment_ptr 1
		.amdhsa_user_sgpr_dispatch_id 0
		.amdhsa_user_sgpr_flat_scratch_init 0
		.amdhsa_user_sgpr_kernarg_preload_length 0
		.amdhsa_user_sgpr_kernarg_preload_offset 0
		.amdhsa_user_sgpr_private_segment_size 0
		.amdhsa_uses_dynamic_stack 0
		.amdhsa_system_sgpr_private_segment_wavefront_offset 0
		.amdhsa_system_sgpr_workgroup_id_x 1
		.amdhsa_system_sgpr_workgroup_id_y 0
		.amdhsa_system_sgpr_workgroup_id_z 0
		.amdhsa_system_sgpr_workgroup_info 0
		.amdhsa_system_vgpr_workitem_id 0
		.amdhsa_next_free_vgpr 23
		.amdhsa_next_free_sgpr 36
		.amdhsa_accum_offset 24
		.amdhsa_reserve_vcc 1
		.amdhsa_reserve_flat_scratch 0
		.amdhsa_float_round_mode_32 0
		.amdhsa_float_round_mode_16_64 0
		.amdhsa_float_denorm_mode_32 3
		.amdhsa_float_denorm_mode_16_64 3
		.amdhsa_dx10_clamp 1
		.amdhsa_ieee_mode 1
		.amdhsa_fp16_overflow 0
		.amdhsa_tg_split 0
		.amdhsa_exception_fp_ieee_invalid_op 0
		.amdhsa_exception_fp_denorm_src 0
		.amdhsa_exception_fp_ieee_div_zero 0
		.amdhsa_exception_fp_ieee_overflow 0
		.amdhsa_exception_fp_ieee_underflow 0
		.amdhsa_exception_fp_ieee_inexact 0
		.amdhsa_exception_int_div_zero 0
	.end_amdhsa_kernel
	.section	.text._ZN7rocprim17ROCPRIM_400000_NS6detail17trampoline_kernelINS0_14default_configENS1_38merge_sort_block_merge_config_selectorIlNS0_10empty_typeEEEZZNS1_27merge_sort_block_merge_implIS3_PlPS5_mZN2at6native12_GLOBAL__N_124unique_dim_cuda_templateIsEESt5tupleIJNSA_6TensorESF_SF_EERKSF_lbbbEUlllE_EE10hipError_tT0_T1_T2_jT3_P12ihipStream_tbPNSt15iterator_traitsISL_E10value_typeEPNSR_ISM_E10value_typeEPSN_NS1_7vsmem_tEENKUlT_SL_SM_SN_E_clIS8_S8_S9_S9_EESK_S10_SL_SM_SN_EUlS10_E_NS1_11comp_targetILNS1_3genE4ELNS1_11target_archE910ELNS1_3gpuE8ELNS1_3repE0EEENS1_48merge_mergepath_partition_config_static_selectorELNS0_4arch9wavefront6targetE1EEEvSM_,"axG",@progbits,_ZN7rocprim17ROCPRIM_400000_NS6detail17trampoline_kernelINS0_14default_configENS1_38merge_sort_block_merge_config_selectorIlNS0_10empty_typeEEEZZNS1_27merge_sort_block_merge_implIS3_PlPS5_mZN2at6native12_GLOBAL__N_124unique_dim_cuda_templateIsEESt5tupleIJNSA_6TensorESF_SF_EERKSF_lbbbEUlllE_EE10hipError_tT0_T1_T2_jT3_P12ihipStream_tbPNSt15iterator_traitsISL_E10value_typeEPNSR_ISM_E10value_typeEPSN_NS1_7vsmem_tEENKUlT_SL_SM_SN_E_clIS8_S8_S9_S9_EESK_S10_SL_SM_SN_EUlS10_E_NS1_11comp_targetILNS1_3genE4ELNS1_11target_archE910ELNS1_3gpuE8ELNS1_3repE0EEENS1_48merge_mergepath_partition_config_static_selectorELNS0_4arch9wavefront6targetE1EEEvSM_,comdat
.Lfunc_end639:
	.size	_ZN7rocprim17ROCPRIM_400000_NS6detail17trampoline_kernelINS0_14default_configENS1_38merge_sort_block_merge_config_selectorIlNS0_10empty_typeEEEZZNS1_27merge_sort_block_merge_implIS3_PlPS5_mZN2at6native12_GLOBAL__N_124unique_dim_cuda_templateIsEESt5tupleIJNSA_6TensorESF_SF_EERKSF_lbbbEUlllE_EE10hipError_tT0_T1_T2_jT3_P12ihipStream_tbPNSt15iterator_traitsISL_E10value_typeEPNSR_ISM_E10value_typeEPSN_NS1_7vsmem_tEENKUlT_SL_SM_SN_E_clIS8_S8_S9_S9_EESK_S10_SL_SM_SN_EUlS10_E_NS1_11comp_targetILNS1_3genE4ELNS1_11target_archE910ELNS1_3gpuE8ELNS1_3repE0EEENS1_48merge_mergepath_partition_config_static_selectorELNS0_4arch9wavefront6targetE1EEEvSM_, .Lfunc_end639-_ZN7rocprim17ROCPRIM_400000_NS6detail17trampoline_kernelINS0_14default_configENS1_38merge_sort_block_merge_config_selectorIlNS0_10empty_typeEEEZZNS1_27merge_sort_block_merge_implIS3_PlPS5_mZN2at6native12_GLOBAL__N_124unique_dim_cuda_templateIsEESt5tupleIJNSA_6TensorESF_SF_EERKSF_lbbbEUlllE_EE10hipError_tT0_T1_T2_jT3_P12ihipStream_tbPNSt15iterator_traitsISL_E10value_typeEPNSR_ISM_E10value_typeEPSN_NS1_7vsmem_tEENKUlT_SL_SM_SN_E_clIS8_S8_S9_S9_EESK_S10_SL_SM_SN_EUlS10_E_NS1_11comp_targetILNS1_3genE4ELNS1_11target_archE910ELNS1_3gpuE8ELNS1_3repE0EEENS1_48merge_mergepath_partition_config_static_selectorELNS0_4arch9wavefront6targetE1EEEvSM_
                                        ; -- End function
	.section	.AMDGPU.csdata,"",@progbits
; Kernel info:
; codeLenInByte = 824
; NumSgprs: 40
; NumVgprs: 23
; NumAgprs: 0
; TotalNumVgprs: 23
; ScratchSize: 0
; MemoryBound: 0
; FloatMode: 240
; IeeeMode: 1
; LDSByteSize: 0 bytes/workgroup (compile time only)
; SGPRBlocks: 4
; VGPRBlocks: 2
; NumSGPRsForWavesPerEU: 40
; NumVGPRsForWavesPerEU: 23
; AccumOffset: 24
; Occupancy: 8
; WaveLimiterHint : 0
; COMPUTE_PGM_RSRC2:SCRATCH_EN: 0
; COMPUTE_PGM_RSRC2:USER_SGPR: 6
; COMPUTE_PGM_RSRC2:TRAP_HANDLER: 0
; COMPUTE_PGM_RSRC2:TGID_X_EN: 1
; COMPUTE_PGM_RSRC2:TGID_Y_EN: 0
; COMPUTE_PGM_RSRC2:TGID_Z_EN: 0
; COMPUTE_PGM_RSRC2:TIDIG_COMP_CNT: 0
; COMPUTE_PGM_RSRC3_GFX90A:ACCUM_OFFSET: 5
; COMPUTE_PGM_RSRC3_GFX90A:TG_SPLIT: 0
	.section	.text._ZN7rocprim17ROCPRIM_400000_NS6detail17trampoline_kernelINS0_14default_configENS1_38merge_sort_block_merge_config_selectorIlNS0_10empty_typeEEEZZNS1_27merge_sort_block_merge_implIS3_PlPS5_mZN2at6native12_GLOBAL__N_124unique_dim_cuda_templateIsEESt5tupleIJNSA_6TensorESF_SF_EERKSF_lbbbEUlllE_EE10hipError_tT0_T1_T2_jT3_P12ihipStream_tbPNSt15iterator_traitsISL_E10value_typeEPNSR_ISM_E10value_typeEPSN_NS1_7vsmem_tEENKUlT_SL_SM_SN_E_clIS8_S8_S9_S9_EESK_S10_SL_SM_SN_EUlS10_E_NS1_11comp_targetILNS1_3genE3ELNS1_11target_archE908ELNS1_3gpuE7ELNS1_3repE0EEENS1_48merge_mergepath_partition_config_static_selectorELNS0_4arch9wavefront6targetE1EEEvSM_,"axG",@progbits,_ZN7rocprim17ROCPRIM_400000_NS6detail17trampoline_kernelINS0_14default_configENS1_38merge_sort_block_merge_config_selectorIlNS0_10empty_typeEEEZZNS1_27merge_sort_block_merge_implIS3_PlPS5_mZN2at6native12_GLOBAL__N_124unique_dim_cuda_templateIsEESt5tupleIJNSA_6TensorESF_SF_EERKSF_lbbbEUlllE_EE10hipError_tT0_T1_T2_jT3_P12ihipStream_tbPNSt15iterator_traitsISL_E10value_typeEPNSR_ISM_E10value_typeEPSN_NS1_7vsmem_tEENKUlT_SL_SM_SN_E_clIS8_S8_S9_S9_EESK_S10_SL_SM_SN_EUlS10_E_NS1_11comp_targetILNS1_3genE3ELNS1_11target_archE908ELNS1_3gpuE7ELNS1_3repE0EEENS1_48merge_mergepath_partition_config_static_selectorELNS0_4arch9wavefront6targetE1EEEvSM_,comdat
	.globl	_ZN7rocprim17ROCPRIM_400000_NS6detail17trampoline_kernelINS0_14default_configENS1_38merge_sort_block_merge_config_selectorIlNS0_10empty_typeEEEZZNS1_27merge_sort_block_merge_implIS3_PlPS5_mZN2at6native12_GLOBAL__N_124unique_dim_cuda_templateIsEESt5tupleIJNSA_6TensorESF_SF_EERKSF_lbbbEUlllE_EE10hipError_tT0_T1_T2_jT3_P12ihipStream_tbPNSt15iterator_traitsISL_E10value_typeEPNSR_ISM_E10value_typeEPSN_NS1_7vsmem_tEENKUlT_SL_SM_SN_E_clIS8_S8_S9_S9_EESK_S10_SL_SM_SN_EUlS10_E_NS1_11comp_targetILNS1_3genE3ELNS1_11target_archE908ELNS1_3gpuE7ELNS1_3repE0EEENS1_48merge_mergepath_partition_config_static_selectorELNS0_4arch9wavefront6targetE1EEEvSM_ ; -- Begin function _ZN7rocprim17ROCPRIM_400000_NS6detail17trampoline_kernelINS0_14default_configENS1_38merge_sort_block_merge_config_selectorIlNS0_10empty_typeEEEZZNS1_27merge_sort_block_merge_implIS3_PlPS5_mZN2at6native12_GLOBAL__N_124unique_dim_cuda_templateIsEESt5tupleIJNSA_6TensorESF_SF_EERKSF_lbbbEUlllE_EE10hipError_tT0_T1_T2_jT3_P12ihipStream_tbPNSt15iterator_traitsISL_E10value_typeEPNSR_ISM_E10value_typeEPSN_NS1_7vsmem_tEENKUlT_SL_SM_SN_E_clIS8_S8_S9_S9_EESK_S10_SL_SM_SN_EUlS10_E_NS1_11comp_targetILNS1_3genE3ELNS1_11target_archE908ELNS1_3gpuE7ELNS1_3repE0EEENS1_48merge_mergepath_partition_config_static_selectorELNS0_4arch9wavefront6targetE1EEEvSM_
	.p2align	8
	.type	_ZN7rocprim17ROCPRIM_400000_NS6detail17trampoline_kernelINS0_14default_configENS1_38merge_sort_block_merge_config_selectorIlNS0_10empty_typeEEEZZNS1_27merge_sort_block_merge_implIS3_PlPS5_mZN2at6native12_GLOBAL__N_124unique_dim_cuda_templateIsEESt5tupleIJNSA_6TensorESF_SF_EERKSF_lbbbEUlllE_EE10hipError_tT0_T1_T2_jT3_P12ihipStream_tbPNSt15iterator_traitsISL_E10value_typeEPNSR_ISM_E10value_typeEPSN_NS1_7vsmem_tEENKUlT_SL_SM_SN_E_clIS8_S8_S9_S9_EESK_S10_SL_SM_SN_EUlS10_E_NS1_11comp_targetILNS1_3genE3ELNS1_11target_archE908ELNS1_3gpuE7ELNS1_3repE0EEENS1_48merge_mergepath_partition_config_static_selectorELNS0_4arch9wavefront6targetE1EEEvSM_,@function
_ZN7rocprim17ROCPRIM_400000_NS6detail17trampoline_kernelINS0_14default_configENS1_38merge_sort_block_merge_config_selectorIlNS0_10empty_typeEEEZZNS1_27merge_sort_block_merge_implIS3_PlPS5_mZN2at6native12_GLOBAL__N_124unique_dim_cuda_templateIsEESt5tupleIJNSA_6TensorESF_SF_EERKSF_lbbbEUlllE_EE10hipError_tT0_T1_T2_jT3_P12ihipStream_tbPNSt15iterator_traitsISL_E10value_typeEPNSR_ISM_E10value_typeEPSN_NS1_7vsmem_tEENKUlT_SL_SM_SN_E_clIS8_S8_S9_S9_EESK_S10_SL_SM_SN_EUlS10_E_NS1_11comp_targetILNS1_3genE3ELNS1_11target_archE908ELNS1_3gpuE7ELNS1_3repE0EEENS1_48merge_mergepath_partition_config_static_selectorELNS0_4arch9wavefront6targetE1EEEvSM_: ; @_ZN7rocprim17ROCPRIM_400000_NS6detail17trampoline_kernelINS0_14default_configENS1_38merge_sort_block_merge_config_selectorIlNS0_10empty_typeEEEZZNS1_27merge_sort_block_merge_implIS3_PlPS5_mZN2at6native12_GLOBAL__N_124unique_dim_cuda_templateIsEESt5tupleIJNSA_6TensorESF_SF_EERKSF_lbbbEUlllE_EE10hipError_tT0_T1_T2_jT3_P12ihipStream_tbPNSt15iterator_traitsISL_E10value_typeEPNSR_ISM_E10value_typeEPSN_NS1_7vsmem_tEENKUlT_SL_SM_SN_E_clIS8_S8_S9_S9_EESK_S10_SL_SM_SN_EUlS10_E_NS1_11comp_targetILNS1_3genE3ELNS1_11target_archE908ELNS1_3gpuE7ELNS1_3repE0EEENS1_48merge_mergepath_partition_config_static_selectorELNS0_4arch9wavefront6targetE1EEEvSM_
; %bb.0:
	.section	.rodata,"a",@progbits
	.p2align	6, 0x0
	.amdhsa_kernel _ZN7rocprim17ROCPRIM_400000_NS6detail17trampoline_kernelINS0_14default_configENS1_38merge_sort_block_merge_config_selectorIlNS0_10empty_typeEEEZZNS1_27merge_sort_block_merge_implIS3_PlPS5_mZN2at6native12_GLOBAL__N_124unique_dim_cuda_templateIsEESt5tupleIJNSA_6TensorESF_SF_EERKSF_lbbbEUlllE_EE10hipError_tT0_T1_T2_jT3_P12ihipStream_tbPNSt15iterator_traitsISL_E10value_typeEPNSR_ISM_E10value_typeEPSN_NS1_7vsmem_tEENKUlT_SL_SM_SN_E_clIS8_S8_S9_S9_EESK_S10_SL_SM_SN_EUlS10_E_NS1_11comp_targetILNS1_3genE3ELNS1_11target_archE908ELNS1_3gpuE7ELNS1_3repE0EEENS1_48merge_mergepath_partition_config_static_selectorELNS0_4arch9wavefront6targetE1EEEvSM_
		.amdhsa_group_segment_fixed_size 0
		.amdhsa_private_segment_fixed_size 0
		.amdhsa_kernarg_size 56
		.amdhsa_user_sgpr_count 6
		.amdhsa_user_sgpr_private_segment_buffer 1
		.amdhsa_user_sgpr_dispatch_ptr 0
		.amdhsa_user_sgpr_queue_ptr 0
		.amdhsa_user_sgpr_kernarg_segment_ptr 1
		.amdhsa_user_sgpr_dispatch_id 0
		.amdhsa_user_sgpr_flat_scratch_init 0
		.amdhsa_user_sgpr_kernarg_preload_length 0
		.amdhsa_user_sgpr_kernarg_preload_offset 0
		.amdhsa_user_sgpr_private_segment_size 0
		.amdhsa_uses_dynamic_stack 0
		.amdhsa_system_sgpr_private_segment_wavefront_offset 0
		.amdhsa_system_sgpr_workgroup_id_x 1
		.amdhsa_system_sgpr_workgroup_id_y 0
		.amdhsa_system_sgpr_workgroup_id_z 0
		.amdhsa_system_sgpr_workgroup_info 0
		.amdhsa_system_vgpr_workitem_id 0
		.amdhsa_next_free_vgpr 1
		.amdhsa_next_free_sgpr 0
		.amdhsa_accum_offset 4
		.amdhsa_reserve_vcc 0
		.amdhsa_reserve_flat_scratch 0
		.amdhsa_float_round_mode_32 0
		.amdhsa_float_round_mode_16_64 0
		.amdhsa_float_denorm_mode_32 3
		.amdhsa_float_denorm_mode_16_64 3
		.amdhsa_dx10_clamp 1
		.amdhsa_ieee_mode 1
		.amdhsa_fp16_overflow 0
		.amdhsa_tg_split 0
		.amdhsa_exception_fp_ieee_invalid_op 0
		.amdhsa_exception_fp_denorm_src 0
		.amdhsa_exception_fp_ieee_div_zero 0
		.amdhsa_exception_fp_ieee_overflow 0
		.amdhsa_exception_fp_ieee_underflow 0
		.amdhsa_exception_fp_ieee_inexact 0
		.amdhsa_exception_int_div_zero 0
	.end_amdhsa_kernel
	.section	.text._ZN7rocprim17ROCPRIM_400000_NS6detail17trampoline_kernelINS0_14default_configENS1_38merge_sort_block_merge_config_selectorIlNS0_10empty_typeEEEZZNS1_27merge_sort_block_merge_implIS3_PlPS5_mZN2at6native12_GLOBAL__N_124unique_dim_cuda_templateIsEESt5tupleIJNSA_6TensorESF_SF_EERKSF_lbbbEUlllE_EE10hipError_tT0_T1_T2_jT3_P12ihipStream_tbPNSt15iterator_traitsISL_E10value_typeEPNSR_ISM_E10value_typeEPSN_NS1_7vsmem_tEENKUlT_SL_SM_SN_E_clIS8_S8_S9_S9_EESK_S10_SL_SM_SN_EUlS10_E_NS1_11comp_targetILNS1_3genE3ELNS1_11target_archE908ELNS1_3gpuE7ELNS1_3repE0EEENS1_48merge_mergepath_partition_config_static_selectorELNS0_4arch9wavefront6targetE1EEEvSM_,"axG",@progbits,_ZN7rocprim17ROCPRIM_400000_NS6detail17trampoline_kernelINS0_14default_configENS1_38merge_sort_block_merge_config_selectorIlNS0_10empty_typeEEEZZNS1_27merge_sort_block_merge_implIS3_PlPS5_mZN2at6native12_GLOBAL__N_124unique_dim_cuda_templateIsEESt5tupleIJNSA_6TensorESF_SF_EERKSF_lbbbEUlllE_EE10hipError_tT0_T1_T2_jT3_P12ihipStream_tbPNSt15iterator_traitsISL_E10value_typeEPNSR_ISM_E10value_typeEPSN_NS1_7vsmem_tEENKUlT_SL_SM_SN_E_clIS8_S8_S9_S9_EESK_S10_SL_SM_SN_EUlS10_E_NS1_11comp_targetILNS1_3genE3ELNS1_11target_archE908ELNS1_3gpuE7ELNS1_3repE0EEENS1_48merge_mergepath_partition_config_static_selectorELNS0_4arch9wavefront6targetE1EEEvSM_,comdat
.Lfunc_end640:
	.size	_ZN7rocprim17ROCPRIM_400000_NS6detail17trampoline_kernelINS0_14default_configENS1_38merge_sort_block_merge_config_selectorIlNS0_10empty_typeEEEZZNS1_27merge_sort_block_merge_implIS3_PlPS5_mZN2at6native12_GLOBAL__N_124unique_dim_cuda_templateIsEESt5tupleIJNSA_6TensorESF_SF_EERKSF_lbbbEUlllE_EE10hipError_tT0_T1_T2_jT3_P12ihipStream_tbPNSt15iterator_traitsISL_E10value_typeEPNSR_ISM_E10value_typeEPSN_NS1_7vsmem_tEENKUlT_SL_SM_SN_E_clIS8_S8_S9_S9_EESK_S10_SL_SM_SN_EUlS10_E_NS1_11comp_targetILNS1_3genE3ELNS1_11target_archE908ELNS1_3gpuE7ELNS1_3repE0EEENS1_48merge_mergepath_partition_config_static_selectorELNS0_4arch9wavefront6targetE1EEEvSM_, .Lfunc_end640-_ZN7rocprim17ROCPRIM_400000_NS6detail17trampoline_kernelINS0_14default_configENS1_38merge_sort_block_merge_config_selectorIlNS0_10empty_typeEEEZZNS1_27merge_sort_block_merge_implIS3_PlPS5_mZN2at6native12_GLOBAL__N_124unique_dim_cuda_templateIsEESt5tupleIJNSA_6TensorESF_SF_EERKSF_lbbbEUlllE_EE10hipError_tT0_T1_T2_jT3_P12ihipStream_tbPNSt15iterator_traitsISL_E10value_typeEPNSR_ISM_E10value_typeEPSN_NS1_7vsmem_tEENKUlT_SL_SM_SN_E_clIS8_S8_S9_S9_EESK_S10_SL_SM_SN_EUlS10_E_NS1_11comp_targetILNS1_3genE3ELNS1_11target_archE908ELNS1_3gpuE7ELNS1_3repE0EEENS1_48merge_mergepath_partition_config_static_selectorELNS0_4arch9wavefront6targetE1EEEvSM_
                                        ; -- End function
	.section	.AMDGPU.csdata,"",@progbits
; Kernel info:
; codeLenInByte = 0
; NumSgprs: 4
; NumVgprs: 0
; NumAgprs: 0
; TotalNumVgprs: 0
; ScratchSize: 0
; MemoryBound: 0
; FloatMode: 240
; IeeeMode: 1
; LDSByteSize: 0 bytes/workgroup (compile time only)
; SGPRBlocks: 0
; VGPRBlocks: 0
; NumSGPRsForWavesPerEU: 4
; NumVGPRsForWavesPerEU: 1
; AccumOffset: 4
; Occupancy: 8
; WaveLimiterHint : 0
; COMPUTE_PGM_RSRC2:SCRATCH_EN: 0
; COMPUTE_PGM_RSRC2:USER_SGPR: 6
; COMPUTE_PGM_RSRC2:TRAP_HANDLER: 0
; COMPUTE_PGM_RSRC2:TGID_X_EN: 1
; COMPUTE_PGM_RSRC2:TGID_Y_EN: 0
; COMPUTE_PGM_RSRC2:TGID_Z_EN: 0
; COMPUTE_PGM_RSRC2:TIDIG_COMP_CNT: 0
; COMPUTE_PGM_RSRC3_GFX90A:ACCUM_OFFSET: 0
; COMPUTE_PGM_RSRC3_GFX90A:TG_SPLIT: 0
	.section	.text._ZN7rocprim17ROCPRIM_400000_NS6detail17trampoline_kernelINS0_14default_configENS1_38merge_sort_block_merge_config_selectorIlNS0_10empty_typeEEEZZNS1_27merge_sort_block_merge_implIS3_PlPS5_mZN2at6native12_GLOBAL__N_124unique_dim_cuda_templateIsEESt5tupleIJNSA_6TensorESF_SF_EERKSF_lbbbEUlllE_EE10hipError_tT0_T1_T2_jT3_P12ihipStream_tbPNSt15iterator_traitsISL_E10value_typeEPNSR_ISM_E10value_typeEPSN_NS1_7vsmem_tEENKUlT_SL_SM_SN_E_clIS8_S8_S9_S9_EESK_S10_SL_SM_SN_EUlS10_E_NS1_11comp_targetILNS1_3genE2ELNS1_11target_archE906ELNS1_3gpuE6ELNS1_3repE0EEENS1_48merge_mergepath_partition_config_static_selectorELNS0_4arch9wavefront6targetE1EEEvSM_,"axG",@progbits,_ZN7rocprim17ROCPRIM_400000_NS6detail17trampoline_kernelINS0_14default_configENS1_38merge_sort_block_merge_config_selectorIlNS0_10empty_typeEEEZZNS1_27merge_sort_block_merge_implIS3_PlPS5_mZN2at6native12_GLOBAL__N_124unique_dim_cuda_templateIsEESt5tupleIJNSA_6TensorESF_SF_EERKSF_lbbbEUlllE_EE10hipError_tT0_T1_T2_jT3_P12ihipStream_tbPNSt15iterator_traitsISL_E10value_typeEPNSR_ISM_E10value_typeEPSN_NS1_7vsmem_tEENKUlT_SL_SM_SN_E_clIS8_S8_S9_S9_EESK_S10_SL_SM_SN_EUlS10_E_NS1_11comp_targetILNS1_3genE2ELNS1_11target_archE906ELNS1_3gpuE6ELNS1_3repE0EEENS1_48merge_mergepath_partition_config_static_selectorELNS0_4arch9wavefront6targetE1EEEvSM_,comdat
	.globl	_ZN7rocprim17ROCPRIM_400000_NS6detail17trampoline_kernelINS0_14default_configENS1_38merge_sort_block_merge_config_selectorIlNS0_10empty_typeEEEZZNS1_27merge_sort_block_merge_implIS3_PlPS5_mZN2at6native12_GLOBAL__N_124unique_dim_cuda_templateIsEESt5tupleIJNSA_6TensorESF_SF_EERKSF_lbbbEUlllE_EE10hipError_tT0_T1_T2_jT3_P12ihipStream_tbPNSt15iterator_traitsISL_E10value_typeEPNSR_ISM_E10value_typeEPSN_NS1_7vsmem_tEENKUlT_SL_SM_SN_E_clIS8_S8_S9_S9_EESK_S10_SL_SM_SN_EUlS10_E_NS1_11comp_targetILNS1_3genE2ELNS1_11target_archE906ELNS1_3gpuE6ELNS1_3repE0EEENS1_48merge_mergepath_partition_config_static_selectorELNS0_4arch9wavefront6targetE1EEEvSM_ ; -- Begin function _ZN7rocprim17ROCPRIM_400000_NS6detail17trampoline_kernelINS0_14default_configENS1_38merge_sort_block_merge_config_selectorIlNS0_10empty_typeEEEZZNS1_27merge_sort_block_merge_implIS3_PlPS5_mZN2at6native12_GLOBAL__N_124unique_dim_cuda_templateIsEESt5tupleIJNSA_6TensorESF_SF_EERKSF_lbbbEUlllE_EE10hipError_tT0_T1_T2_jT3_P12ihipStream_tbPNSt15iterator_traitsISL_E10value_typeEPNSR_ISM_E10value_typeEPSN_NS1_7vsmem_tEENKUlT_SL_SM_SN_E_clIS8_S8_S9_S9_EESK_S10_SL_SM_SN_EUlS10_E_NS1_11comp_targetILNS1_3genE2ELNS1_11target_archE906ELNS1_3gpuE6ELNS1_3repE0EEENS1_48merge_mergepath_partition_config_static_selectorELNS0_4arch9wavefront6targetE1EEEvSM_
	.p2align	8
	.type	_ZN7rocprim17ROCPRIM_400000_NS6detail17trampoline_kernelINS0_14default_configENS1_38merge_sort_block_merge_config_selectorIlNS0_10empty_typeEEEZZNS1_27merge_sort_block_merge_implIS3_PlPS5_mZN2at6native12_GLOBAL__N_124unique_dim_cuda_templateIsEESt5tupleIJNSA_6TensorESF_SF_EERKSF_lbbbEUlllE_EE10hipError_tT0_T1_T2_jT3_P12ihipStream_tbPNSt15iterator_traitsISL_E10value_typeEPNSR_ISM_E10value_typeEPSN_NS1_7vsmem_tEENKUlT_SL_SM_SN_E_clIS8_S8_S9_S9_EESK_S10_SL_SM_SN_EUlS10_E_NS1_11comp_targetILNS1_3genE2ELNS1_11target_archE906ELNS1_3gpuE6ELNS1_3repE0EEENS1_48merge_mergepath_partition_config_static_selectorELNS0_4arch9wavefront6targetE1EEEvSM_,@function
_ZN7rocprim17ROCPRIM_400000_NS6detail17trampoline_kernelINS0_14default_configENS1_38merge_sort_block_merge_config_selectorIlNS0_10empty_typeEEEZZNS1_27merge_sort_block_merge_implIS3_PlPS5_mZN2at6native12_GLOBAL__N_124unique_dim_cuda_templateIsEESt5tupleIJNSA_6TensorESF_SF_EERKSF_lbbbEUlllE_EE10hipError_tT0_T1_T2_jT3_P12ihipStream_tbPNSt15iterator_traitsISL_E10value_typeEPNSR_ISM_E10value_typeEPSN_NS1_7vsmem_tEENKUlT_SL_SM_SN_E_clIS8_S8_S9_S9_EESK_S10_SL_SM_SN_EUlS10_E_NS1_11comp_targetILNS1_3genE2ELNS1_11target_archE906ELNS1_3gpuE6ELNS1_3repE0EEENS1_48merge_mergepath_partition_config_static_selectorELNS0_4arch9wavefront6targetE1EEEvSM_: ; @_ZN7rocprim17ROCPRIM_400000_NS6detail17trampoline_kernelINS0_14default_configENS1_38merge_sort_block_merge_config_selectorIlNS0_10empty_typeEEEZZNS1_27merge_sort_block_merge_implIS3_PlPS5_mZN2at6native12_GLOBAL__N_124unique_dim_cuda_templateIsEESt5tupleIJNSA_6TensorESF_SF_EERKSF_lbbbEUlllE_EE10hipError_tT0_T1_T2_jT3_P12ihipStream_tbPNSt15iterator_traitsISL_E10value_typeEPNSR_ISM_E10value_typeEPSN_NS1_7vsmem_tEENKUlT_SL_SM_SN_E_clIS8_S8_S9_S9_EESK_S10_SL_SM_SN_EUlS10_E_NS1_11comp_targetILNS1_3genE2ELNS1_11target_archE906ELNS1_3gpuE6ELNS1_3repE0EEENS1_48merge_mergepath_partition_config_static_selectorELNS0_4arch9wavefront6targetE1EEEvSM_
; %bb.0:
	.section	.rodata,"a",@progbits
	.p2align	6, 0x0
	.amdhsa_kernel _ZN7rocprim17ROCPRIM_400000_NS6detail17trampoline_kernelINS0_14default_configENS1_38merge_sort_block_merge_config_selectorIlNS0_10empty_typeEEEZZNS1_27merge_sort_block_merge_implIS3_PlPS5_mZN2at6native12_GLOBAL__N_124unique_dim_cuda_templateIsEESt5tupleIJNSA_6TensorESF_SF_EERKSF_lbbbEUlllE_EE10hipError_tT0_T1_T2_jT3_P12ihipStream_tbPNSt15iterator_traitsISL_E10value_typeEPNSR_ISM_E10value_typeEPSN_NS1_7vsmem_tEENKUlT_SL_SM_SN_E_clIS8_S8_S9_S9_EESK_S10_SL_SM_SN_EUlS10_E_NS1_11comp_targetILNS1_3genE2ELNS1_11target_archE906ELNS1_3gpuE6ELNS1_3repE0EEENS1_48merge_mergepath_partition_config_static_selectorELNS0_4arch9wavefront6targetE1EEEvSM_
		.amdhsa_group_segment_fixed_size 0
		.amdhsa_private_segment_fixed_size 0
		.amdhsa_kernarg_size 56
		.amdhsa_user_sgpr_count 6
		.amdhsa_user_sgpr_private_segment_buffer 1
		.amdhsa_user_sgpr_dispatch_ptr 0
		.amdhsa_user_sgpr_queue_ptr 0
		.amdhsa_user_sgpr_kernarg_segment_ptr 1
		.amdhsa_user_sgpr_dispatch_id 0
		.amdhsa_user_sgpr_flat_scratch_init 0
		.amdhsa_user_sgpr_kernarg_preload_length 0
		.amdhsa_user_sgpr_kernarg_preload_offset 0
		.amdhsa_user_sgpr_private_segment_size 0
		.amdhsa_uses_dynamic_stack 0
		.amdhsa_system_sgpr_private_segment_wavefront_offset 0
		.amdhsa_system_sgpr_workgroup_id_x 1
		.amdhsa_system_sgpr_workgroup_id_y 0
		.amdhsa_system_sgpr_workgroup_id_z 0
		.amdhsa_system_sgpr_workgroup_info 0
		.amdhsa_system_vgpr_workitem_id 0
		.amdhsa_next_free_vgpr 1
		.amdhsa_next_free_sgpr 0
		.amdhsa_accum_offset 4
		.amdhsa_reserve_vcc 0
		.amdhsa_reserve_flat_scratch 0
		.amdhsa_float_round_mode_32 0
		.amdhsa_float_round_mode_16_64 0
		.amdhsa_float_denorm_mode_32 3
		.amdhsa_float_denorm_mode_16_64 3
		.amdhsa_dx10_clamp 1
		.amdhsa_ieee_mode 1
		.amdhsa_fp16_overflow 0
		.amdhsa_tg_split 0
		.amdhsa_exception_fp_ieee_invalid_op 0
		.amdhsa_exception_fp_denorm_src 0
		.amdhsa_exception_fp_ieee_div_zero 0
		.amdhsa_exception_fp_ieee_overflow 0
		.amdhsa_exception_fp_ieee_underflow 0
		.amdhsa_exception_fp_ieee_inexact 0
		.amdhsa_exception_int_div_zero 0
	.end_amdhsa_kernel
	.section	.text._ZN7rocprim17ROCPRIM_400000_NS6detail17trampoline_kernelINS0_14default_configENS1_38merge_sort_block_merge_config_selectorIlNS0_10empty_typeEEEZZNS1_27merge_sort_block_merge_implIS3_PlPS5_mZN2at6native12_GLOBAL__N_124unique_dim_cuda_templateIsEESt5tupleIJNSA_6TensorESF_SF_EERKSF_lbbbEUlllE_EE10hipError_tT0_T1_T2_jT3_P12ihipStream_tbPNSt15iterator_traitsISL_E10value_typeEPNSR_ISM_E10value_typeEPSN_NS1_7vsmem_tEENKUlT_SL_SM_SN_E_clIS8_S8_S9_S9_EESK_S10_SL_SM_SN_EUlS10_E_NS1_11comp_targetILNS1_3genE2ELNS1_11target_archE906ELNS1_3gpuE6ELNS1_3repE0EEENS1_48merge_mergepath_partition_config_static_selectorELNS0_4arch9wavefront6targetE1EEEvSM_,"axG",@progbits,_ZN7rocprim17ROCPRIM_400000_NS6detail17trampoline_kernelINS0_14default_configENS1_38merge_sort_block_merge_config_selectorIlNS0_10empty_typeEEEZZNS1_27merge_sort_block_merge_implIS3_PlPS5_mZN2at6native12_GLOBAL__N_124unique_dim_cuda_templateIsEESt5tupleIJNSA_6TensorESF_SF_EERKSF_lbbbEUlllE_EE10hipError_tT0_T1_T2_jT3_P12ihipStream_tbPNSt15iterator_traitsISL_E10value_typeEPNSR_ISM_E10value_typeEPSN_NS1_7vsmem_tEENKUlT_SL_SM_SN_E_clIS8_S8_S9_S9_EESK_S10_SL_SM_SN_EUlS10_E_NS1_11comp_targetILNS1_3genE2ELNS1_11target_archE906ELNS1_3gpuE6ELNS1_3repE0EEENS1_48merge_mergepath_partition_config_static_selectorELNS0_4arch9wavefront6targetE1EEEvSM_,comdat
.Lfunc_end641:
	.size	_ZN7rocprim17ROCPRIM_400000_NS6detail17trampoline_kernelINS0_14default_configENS1_38merge_sort_block_merge_config_selectorIlNS0_10empty_typeEEEZZNS1_27merge_sort_block_merge_implIS3_PlPS5_mZN2at6native12_GLOBAL__N_124unique_dim_cuda_templateIsEESt5tupleIJNSA_6TensorESF_SF_EERKSF_lbbbEUlllE_EE10hipError_tT0_T1_T2_jT3_P12ihipStream_tbPNSt15iterator_traitsISL_E10value_typeEPNSR_ISM_E10value_typeEPSN_NS1_7vsmem_tEENKUlT_SL_SM_SN_E_clIS8_S8_S9_S9_EESK_S10_SL_SM_SN_EUlS10_E_NS1_11comp_targetILNS1_3genE2ELNS1_11target_archE906ELNS1_3gpuE6ELNS1_3repE0EEENS1_48merge_mergepath_partition_config_static_selectorELNS0_4arch9wavefront6targetE1EEEvSM_, .Lfunc_end641-_ZN7rocprim17ROCPRIM_400000_NS6detail17trampoline_kernelINS0_14default_configENS1_38merge_sort_block_merge_config_selectorIlNS0_10empty_typeEEEZZNS1_27merge_sort_block_merge_implIS3_PlPS5_mZN2at6native12_GLOBAL__N_124unique_dim_cuda_templateIsEESt5tupleIJNSA_6TensorESF_SF_EERKSF_lbbbEUlllE_EE10hipError_tT0_T1_T2_jT3_P12ihipStream_tbPNSt15iterator_traitsISL_E10value_typeEPNSR_ISM_E10value_typeEPSN_NS1_7vsmem_tEENKUlT_SL_SM_SN_E_clIS8_S8_S9_S9_EESK_S10_SL_SM_SN_EUlS10_E_NS1_11comp_targetILNS1_3genE2ELNS1_11target_archE906ELNS1_3gpuE6ELNS1_3repE0EEENS1_48merge_mergepath_partition_config_static_selectorELNS0_4arch9wavefront6targetE1EEEvSM_
                                        ; -- End function
	.section	.AMDGPU.csdata,"",@progbits
; Kernel info:
; codeLenInByte = 0
; NumSgprs: 4
; NumVgprs: 0
; NumAgprs: 0
; TotalNumVgprs: 0
; ScratchSize: 0
; MemoryBound: 0
; FloatMode: 240
; IeeeMode: 1
; LDSByteSize: 0 bytes/workgroup (compile time only)
; SGPRBlocks: 0
; VGPRBlocks: 0
; NumSGPRsForWavesPerEU: 4
; NumVGPRsForWavesPerEU: 1
; AccumOffset: 4
; Occupancy: 8
; WaveLimiterHint : 0
; COMPUTE_PGM_RSRC2:SCRATCH_EN: 0
; COMPUTE_PGM_RSRC2:USER_SGPR: 6
; COMPUTE_PGM_RSRC2:TRAP_HANDLER: 0
; COMPUTE_PGM_RSRC2:TGID_X_EN: 1
; COMPUTE_PGM_RSRC2:TGID_Y_EN: 0
; COMPUTE_PGM_RSRC2:TGID_Z_EN: 0
; COMPUTE_PGM_RSRC2:TIDIG_COMP_CNT: 0
; COMPUTE_PGM_RSRC3_GFX90A:ACCUM_OFFSET: 0
; COMPUTE_PGM_RSRC3_GFX90A:TG_SPLIT: 0
	.section	.text._ZN7rocprim17ROCPRIM_400000_NS6detail17trampoline_kernelINS0_14default_configENS1_38merge_sort_block_merge_config_selectorIlNS0_10empty_typeEEEZZNS1_27merge_sort_block_merge_implIS3_PlPS5_mZN2at6native12_GLOBAL__N_124unique_dim_cuda_templateIsEESt5tupleIJNSA_6TensorESF_SF_EERKSF_lbbbEUlllE_EE10hipError_tT0_T1_T2_jT3_P12ihipStream_tbPNSt15iterator_traitsISL_E10value_typeEPNSR_ISM_E10value_typeEPSN_NS1_7vsmem_tEENKUlT_SL_SM_SN_E_clIS8_S8_S9_S9_EESK_S10_SL_SM_SN_EUlS10_E_NS1_11comp_targetILNS1_3genE9ELNS1_11target_archE1100ELNS1_3gpuE3ELNS1_3repE0EEENS1_48merge_mergepath_partition_config_static_selectorELNS0_4arch9wavefront6targetE1EEEvSM_,"axG",@progbits,_ZN7rocprim17ROCPRIM_400000_NS6detail17trampoline_kernelINS0_14default_configENS1_38merge_sort_block_merge_config_selectorIlNS0_10empty_typeEEEZZNS1_27merge_sort_block_merge_implIS3_PlPS5_mZN2at6native12_GLOBAL__N_124unique_dim_cuda_templateIsEESt5tupleIJNSA_6TensorESF_SF_EERKSF_lbbbEUlllE_EE10hipError_tT0_T1_T2_jT3_P12ihipStream_tbPNSt15iterator_traitsISL_E10value_typeEPNSR_ISM_E10value_typeEPSN_NS1_7vsmem_tEENKUlT_SL_SM_SN_E_clIS8_S8_S9_S9_EESK_S10_SL_SM_SN_EUlS10_E_NS1_11comp_targetILNS1_3genE9ELNS1_11target_archE1100ELNS1_3gpuE3ELNS1_3repE0EEENS1_48merge_mergepath_partition_config_static_selectorELNS0_4arch9wavefront6targetE1EEEvSM_,comdat
	.globl	_ZN7rocprim17ROCPRIM_400000_NS6detail17trampoline_kernelINS0_14default_configENS1_38merge_sort_block_merge_config_selectorIlNS0_10empty_typeEEEZZNS1_27merge_sort_block_merge_implIS3_PlPS5_mZN2at6native12_GLOBAL__N_124unique_dim_cuda_templateIsEESt5tupleIJNSA_6TensorESF_SF_EERKSF_lbbbEUlllE_EE10hipError_tT0_T1_T2_jT3_P12ihipStream_tbPNSt15iterator_traitsISL_E10value_typeEPNSR_ISM_E10value_typeEPSN_NS1_7vsmem_tEENKUlT_SL_SM_SN_E_clIS8_S8_S9_S9_EESK_S10_SL_SM_SN_EUlS10_E_NS1_11comp_targetILNS1_3genE9ELNS1_11target_archE1100ELNS1_3gpuE3ELNS1_3repE0EEENS1_48merge_mergepath_partition_config_static_selectorELNS0_4arch9wavefront6targetE1EEEvSM_ ; -- Begin function _ZN7rocprim17ROCPRIM_400000_NS6detail17trampoline_kernelINS0_14default_configENS1_38merge_sort_block_merge_config_selectorIlNS0_10empty_typeEEEZZNS1_27merge_sort_block_merge_implIS3_PlPS5_mZN2at6native12_GLOBAL__N_124unique_dim_cuda_templateIsEESt5tupleIJNSA_6TensorESF_SF_EERKSF_lbbbEUlllE_EE10hipError_tT0_T1_T2_jT3_P12ihipStream_tbPNSt15iterator_traitsISL_E10value_typeEPNSR_ISM_E10value_typeEPSN_NS1_7vsmem_tEENKUlT_SL_SM_SN_E_clIS8_S8_S9_S9_EESK_S10_SL_SM_SN_EUlS10_E_NS1_11comp_targetILNS1_3genE9ELNS1_11target_archE1100ELNS1_3gpuE3ELNS1_3repE0EEENS1_48merge_mergepath_partition_config_static_selectorELNS0_4arch9wavefront6targetE1EEEvSM_
	.p2align	8
	.type	_ZN7rocprim17ROCPRIM_400000_NS6detail17trampoline_kernelINS0_14default_configENS1_38merge_sort_block_merge_config_selectorIlNS0_10empty_typeEEEZZNS1_27merge_sort_block_merge_implIS3_PlPS5_mZN2at6native12_GLOBAL__N_124unique_dim_cuda_templateIsEESt5tupleIJNSA_6TensorESF_SF_EERKSF_lbbbEUlllE_EE10hipError_tT0_T1_T2_jT3_P12ihipStream_tbPNSt15iterator_traitsISL_E10value_typeEPNSR_ISM_E10value_typeEPSN_NS1_7vsmem_tEENKUlT_SL_SM_SN_E_clIS8_S8_S9_S9_EESK_S10_SL_SM_SN_EUlS10_E_NS1_11comp_targetILNS1_3genE9ELNS1_11target_archE1100ELNS1_3gpuE3ELNS1_3repE0EEENS1_48merge_mergepath_partition_config_static_selectorELNS0_4arch9wavefront6targetE1EEEvSM_,@function
_ZN7rocprim17ROCPRIM_400000_NS6detail17trampoline_kernelINS0_14default_configENS1_38merge_sort_block_merge_config_selectorIlNS0_10empty_typeEEEZZNS1_27merge_sort_block_merge_implIS3_PlPS5_mZN2at6native12_GLOBAL__N_124unique_dim_cuda_templateIsEESt5tupleIJNSA_6TensorESF_SF_EERKSF_lbbbEUlllE_EE10hipError_tT0_T1_T2_jT3_P12ihipStream_tbPNSt15iterator_traitsISL_E10value_typeEPNSR_ISM_E10value_typeEPSN_NS1_7vsmem_tEENKUlT_SL_SM_SN_E_clIS8_S8_S9_S9_EESK_S10_SL_SM_SN_EUlS10_E_NS1_11comp_targetILNS1_3genE9ELNS1_11target_archE1100ELNS1_3gpuE3ELNS1_3repE0EEENS1_48merge_mergepath_partition_config_static_selectorELNS0_4arch9wavefront6targetE1EEEvSM_: ; @_ZN7rocprim17ROCPRIM_400000_NS6detail17trampoline_kernelINS0_14default_configENS1_38merge_sort_block_merge_config_selectorIlNS0_10empty_typeEEEZZNS1_27merge_sort_block_merge_implIS3_PlPS5_mZN2at6native12_GLOBAL__N_124unique_dim_cuda_templateIsEESt5tupleIJNSA_6TensorESF_SF_EERKSF_lbbbEUlllE_EE10hipError_tT0_T1_T2_jT3_P12ihipStream_tbPNSt15iterator_traitsISL_E10value_typeEPNSR_ISM_E10value_typeEPSN_NS1_7vsmem_tEENKUlT_SL_SM_SN_E_clIS8_S8_S9_S9_EESK_S10_SL_SM_SN_EUlS10_E_NS1_11comp_targetILNS1_3genE9ELNS1_11target_archE1100ELNS1_3gpuE3ELNS1_3repE0EEENS1_48merge_mergepath_partition_config_static_selectorELNS0_4arch9wavefront6targetE1EEEvSM_
; %bb.0:
	.section	.rodata,"a",@progbits
	.p2align	6, 0x0
	.amdhsa_kernel _ZN7rocprim17ROCPRIM_400000_NS6detail17trampoline_kernelINS0_14default_configENS1_38merge_sort_block_merge_config_selectorIlNS0_10empty_typeEEEZZNS1_27merge_sort_block_merge_implIS3_PlPS5_mZN2at6native12_GLOBAL__N_124unique_dim_cuda_templateIsEESt5tupleIJNSA_6TensorESF_SF_EERKSF_lbbbEUlllE_EE10hipError_tT0_T1_T2_jT3_P12ihipStream_tbPNSt15iterator_traitsISL_E10value_typeEPNSR_ISM_E10value_typeEPSN_NS1_7vsmem_tEENKUlT_SL_SM_SN_E_clIS8_S8_S9_S9_EESK_S10_SL_SM_SN_EUlS10_E_NS1_11comp_targetILNS1_3genE9ELNS1_11target_archE1100ELNS1_3gpuE3ELNS1_3repE0EEENS1_48merge_mergepath_partition_config_static_selectorELNS0_4arch9wavefront6targetE1EEEvSM_
		.amdhsa_group_segment_fixed_size 0
		.amdhsa_private_segment_fixed_size 0
		.amdhsa_kernarg_size 56
		.amdhsa_user_sgpr_count 6
		.amdhsa_user_sgpr_private_segment_buffer 1
		.amdhsa_user_sgpr_dispatch_ptr 0
		.amdhsa_user_sgpr_queue_ptr 0
		.amdhsa_user_sgpr_kernarg_segment_ptr 1
		.amdhsa_user_sgpr_dispatch_id 0
		.amdhsa_user_sgpr_flat_scratch_init 0
		.amdhsa_user_sgpr_kernarg_preload_length 0
		.amdhsa_user_sgpr_kernarg_preload_offset 0
		.amdhsa_user_sgpr_private_segment_size 0
		.amdhsa_uses_dynamic_stack 0
		.amdhsa_system_sgpr_private_segment_wavefront_offset 0
		.amdhsa_system_sgpr_workgroup_id_x 1
		.amdhsa_system_sgpr_workgroup_id_y 0
		.amdhsa_system_sgpr_workgroup_id_z 0
		.amdhsa_system_sgpr_workgroup_info 0
		.amdhsa_system_vgpr_workitem_id 0
		.amdhsa_next_free_vgpr 1
		.amdhsa_next_free_sgpr 0
		.amdhsa_accum_offset 4
		.amdhsa_reserve_vcc 0
		.amdhsa_reserve_flat_scratch 0
		.amdhsa_float_round_mode_32 0
		.amdhsa_float_round_mode_16_64 0
		.amdhsa_float_denorm_mode_32 3
		.amdhsa_float_denorm_mode_16_64 3
		.amdhsa_dx10_clamp 1
		.amdhsa_ieee_mode 1
		.amdhsa_fp16_overflow 0
		.amdhsa_tg_split 0
		.amdhsa_exception_fp_ieee_invalid_op 0
		.amdhsa_exception_fp_denorm_src 0
		.amdhsa_exception_fp_ieee_div_zero 0
		.amdhsa_exception_fp_ieee_overflow 0
		.amdhsa_exception_fp_ieee_underflow 0
		.amdhsa_exception_fp_ieee_inexact 0
		.amdhsa_exception_int_div_zero 0
	.end_amdhsa_kernel
	.section	.text._ZN7rocprim17ROCPRIM_400000_NS6detail17trampoline_kernelINS0_14default_configENS1_38merge_sort_block_merge_config_selectorIlNS0_10empty_typeEEEZZNS1_27merge_sort_block_merge_implIS3_PlPS5_mZN2at6native12_GLOBAL__N_124unique_dim_cuda_templateIsEESt5tupleIJNSA_6TensorESF_SF_EERKSF_lbbbEUlllE_EE10hipError_tT0_T1_T2_jT3_P12ihipStream_tbPNSt15iterator_traitsISL_E10value_typeEPNSR_ISM_E10value_typeEPSN_NS1_7vsmem_tEENKUlT_SL_SM_SN_E_clIS8_S8_S9_S9_EESK_S10_SL_SM_SN_EUlS10_E_NS1_11comp_targetILNS1_3genE9ELNS1_11target_archE1100ELNS1_3gpuE3ELNS1_3repE0EEENS1_48merge_mergepath_partition_config_static_selectorELNS0_4arch9wavefront6targetE1EEEvSM_,"axG",@progbits,_ZN7rocprim17ROCPRIM_400000_NS6detail17trampoline_kernelINS0_14default_configENS1_38merge_sort_block_merge_config_selectorIlNS0_10empty_typeEEEZZNS1_27merge_sort_block_merge_implIS3_PlPS5_mZN2at6native12_GLOBAL__N_124unique_dim_cuda_templateIsEESt5tupleIJNSA_6TensorESF_SF_EERKSF_lbbbEUlllE_EE10hipError_tT0_T1_T2_jT3_P12ihipStream_tbPNSt15iterator_traitsISL_E10value_typeEPNSR_ISM_E10value_typeEPSN_NS1_7vsmem_tEENKUlT_SL_SM_SN_E_clIS8_S8_S9_S9_EESK_S10_SL_SM_SN_EUlS10_E_NS1_11comp_targetILNS1_3genE9ELNS1_11target_archE1100ELNS1_3gpuE3ELNS1_3repE0EEENS1_48merge_mergepath_partition_config_static_selectorELNS0_4arch9wavefront6targetE1EEEvSM_,comdat
.Lfunc_end642:
	.size	_ZN7rocprim17ROCPRIM_400000_NS6detail17trampoline_kernelINS0_14default_configENS1_38merge_sort_block_merge_config_selectorIlNS0_10empty_typeEEEZZNS1_27merge_sort_block_merge_implIS3_PlPS5_mZN2at6native12_GLOBAL__N_124unique_dim_cuda_templateIsEESt5tupleIJNSA_6TensorESF_SF_EERKSF_lbbbEUlllE_EE10hipError_tT0_T1_T2_jT3_P12ihipStream_tbPNSt15iterator_traitsISL_E10value_typeEPNSR_ISM_E10value_typeEPSN_NS1_7vsmem_tEENKUlT_SL_SM_SN_E_clIS8_S8_S9_S9_EESK_S10_SL_SM_SN_EUlS10_E_NS1_11comp_targetILNS1_3genE9ELNS1_11target_archE1100ELNS1_3gpuE3ELNS1_3repE0EEENS1_48merge_mergepath_partition_config_static_selectorELNS0_4arch9wavefront6targetE1EEEvSM_, .Lfunc_end642-_ZN7rocprim17ROCPRIM_400000_NS6detail17trampoline_kernelINS0_14default_configENS1_38merge_sort_block_merge_config_selectorIlNS0_10empty_typeEEEZZNS1_27merge_sort_block_merge_implIS3_PlPS5_mZN2at6native12_GLOBAL__N_124unique_dim_cuda_templateIsEESt5tupleIJNSA_6TensorESF_SF_EERKSF_lbbbEUlllE_EE10hipError_tT0_T1_T2_jT3_P12ihipStream_tbPNSt15iterator_traitsISL_E10value_typeEPNSR_ISM_E10value_typeEPSN_NS1_7vsmem_tEENKUlT_SL_SM_SN_E_clIS8_S8_S9_S9_EESK_S10_SL_SM_SN_EUlS10_E_NS1_11comp_targetILNS1_3genE9ELNS1_11target_archE1100ELNS1_3gpuE3ELNS1_3repE0EEENS1_48merge_mergepath_partition_config_static_selectorELNS0_4arch9wavefront6targetE1EEEvSM_
                                        ; -- End function
	.section	.AMDGPU.csdata,"",@progbits
; Kernel info:
; codeLenInByte = 0
; NumSgprs: 4
; NumVgprs: 0
; NumAgprs: 0
; TotalNumVgprs: 0
; ScratchSize: 0
; MemoryBound: 0
; FloatMode: 240
; IeeeMode: 1
; LDSByteSize: 0 bytes/workgroup (compile time only)
; SGPRBlocks: 0
; VGPRBlocks: 0
; NumSGPRsForWavesPerEU: 4
; NumVGPRsForWavesPerEU: 1
; AccumOffset: 4
; Occupancy: 8
; WaveLimiterHint : 0
; COMPUTE_PGM_RSRC2:SCRATCH_EN: 0
; COMPUTE_PGM_RSRC2:USER_SGPR: 6
; COMPUTE_PGM_RSRC2:TRAP_HANDLER: 0
; COMPUTE_PGM_RSRC2:TGID_X_EN: 1
; COMPUTE_PGM_RSRC2:TGID_Y_EN: 0
; COMPUTE_PGM_RSRC2:TGID_Z_EN: 0
; COMPUTE_PGM_RSRC2:TIDIG_COMP_CNT: 0
; COMPUTE_PGM_RSRC3_GFX90A:ACCUM_OFFSET: 0
; COMPUTE_PGM_RSRC3_GFX90A:TG_SPLIT: 0
	.section	.text._ZN7rocprim17ROCPRIM_400000_NS6detail17trampoline_kernelINS0_14default_configENS1_38merge_sort_block_merge_config_selectorIlNS0_10empty_typeEEEZZNS1_27merge_sort_block_merge_implIS3_PlPS5_mZN2at6native12_GLOBAL__N_124unique_dim_cuda_templateIsEESt5tupleIJNSA_6TensorESF_SF_EERKSF_lbbbEUlllE_EE10hipError_tT0_T1_T2_jT3_P12ihipStream_tbPNSt15iterator_traitsISL_E10value_typeEPNSR_ISM_E10value_typeEPSN_NS1_7vsmem_tEENKUlT_SL_SM_SN_E_clIS8_S8_S9_S9_EESK_S10_SL_SM_SN_EUlS10_E_NS1_11comp_targetILNS1_3genE8ELNS1_11target_archE1030ELNS1_3gpuE2ELNS1_3repE0EEENS1_48merge_mergepath_partition_config_static_selectorELNS0_4arch9wavefront6targetE1EEEvSM_,"axG",@progbits,_ZN7rocprim17ROCPRIM_400000_NS6detail17trampoline_kernelINS0_14default_configENS1_38merge_sort_block_merge_config_selectorIlNS0_10empty_typeEEEZZNS1_27merge_sort_block_merge_implIS3_PlPS5_mZN2at6native12_GLOBAL__N_124unique_dim_cuda_templateIsEESt5tupleIJNSA_6TensorESF_SF_EERKSF_lbbbEUlllE_EE10hipError_tT0_T1_T2_jT3_P12ihipStream_tbPNSt15iterator_traitsISL_E10value_typeEPNSR_ISM_E10value_typeEPSN_NS1_7vsmem_tEENKUlT_SL_SM_SN_E_clIS8_S8_S9_S9_EESK_S10_SL_SM_SN_EUlS10_E_NS1_11comp_targetILNS1_3genE8ELNS1_11target_archE1030ELNS1_3gpuE2ELNS1_3repE0EEENS1_48merge_mergepath_partition_config_static_selectorELNS0_4arch9wavefront6targetE1EEEvSM_,comdat
	.globl	_ZN7rocprim17ROCPRIM_400000_NS6detail17trampoline_kernelINS0_14default_configENS1_38merge_sort_block_merge_config_selectorIlNS0_10empty_typeEEEZZNS1_27merge_sort_block_merge_implIS3_PlPS5_mZN2at6native12_GLOBAL__N_124unique_dim_cuda_templateIsEESt5tupleIJNSA_6TensorESF_SF_EERKSF_lbbbEUlllE_EE10hipError_tT0_T1_T2_jT3_P12ihipStream_tbPNSt15iterator_traitsISL_E10value_typeEPNSR_ISM_E10value_typeEPSN_NS1_7vsmem_tEENKUlT_SL_SM_SN_E_clIS8_S8_S9_S9_EESK_S10_SL_SM_SN_EUlS10_E_NS1_11comp_targetILNS1_3genE8ELNS1_11target_archE1030ELNS1_3gpuE2ELNS1_3repE0EEENS1_48merge_mergepath_partition_config_static_selectorELNS0_4arch9wavefront6targetE1EEEvSM_ ; -- Begin function _ZN7rocprim17ROCPRIM_400000_NS6detail17trampoline_kernelINS0_14default_configENS1_38merge_sort_block_merge_config_selectorIlNS0_10empty_typeEEEZZNS1_27merge_sort_block_merge_implIS3_PlPS5_mZN2at6native12_GLOBAL__N_124unique_dim_cuda_templateIsEESt5tupleIJNSA_6TensorESF_SF_EERKSF_lbbbEUlllE_EE10hipError_tT0_T1_T2_jT3_P12ihipStream_tbPNSt15iterator_traitsISL_E10value_typeEPNSR_ISM_E10value_typeEPSN_NS1_7vsmem_tEENKUlT_SL_SM_SN_E_clIS8_S8_S9_S9_EESK_S10_SL_SM_SN_EUlS10_E_NS1_11comp_targetILNS1_3genE8ELNS1_11target_archE1030ELNS1_3gpuE2ELNS1_3repE0EEENS1_48merge_mergepath_partition_config_static_selectorELNS0_4arch9wavefront6targetE1EEEvSM_
	.p2align	8
	.type	_ZN7rocprim17ROCPRIM_400000_NS6detail17trampoline_kernelINS0_14default_configENS1_38merge_sort_block_merge_config_selectorIlNS0_10empty_typeEEEZZNS1_27merge_sort_block_merge_implIS3_PlPS5_mZN2at6native12_GLOBAL__N_124unique_dim_cuda_templateIsEESt5tupleIJNSA_6TensorESF_SF_EERKSF_lbbbEUlllE_EE10hipError_tT0_T1_T2_jT3_P12ihipStream_tbPNSt15iterator_traitsISL_E10value_typeEPNSR_ISM_E10value_typeEPSN_NS1_7vsmem_tEENKUlT_SL_SM_SN_E_clIS8_S8_S9_S9_EESK_S10_SL_SM_SN_EUlS10_E_NS1_11comp_targetILNS1_3genE8ELNS1_11target_archE1030ELNS1_3gpuE2ELNS1_3repE0EEENS1_48merge_mergepath_partition_config_static_selectorELNS0_4arch9wavefront6targetE1EEEvSM_,@function
_ZN7rocprim17ROCPRIM_400000_NS6detail17trampoline_kernelINS0_14default_configENS1_38merge_sort_block_merge_config_selectorIlNS0_10empty_typeEEEZZNS1_27merge_sort_block_merge_implIS3_PlPS5_mZN2at6native12_GLOBAL__N_124unique_dim_cuda_templateIsEESt5tupleIJNSA_6TensorESF_SF_EERKSF_lbbbEUlllE_EE10hipError_tT0_T1_T2_jT3_P12ihipStream_tbPNSt15iterator_traitsISL_E10value_typeEPNSR_ISM_E10value_typeEPSN_NS1_7vsmem_tEENKUlT_SL_SM_SN_E_clIS8_S8_S9_S9_EESK_S10_SL_SM_SN_EUlS10_E_NS1_11comp_targetILNS1_3genE8ELNS1_11target_archE1030ELNS1_3gpuE2ELNS1_3repE0EEENS1_48merge_mergepath_partition_config_static_selectorELNS0_4arch9wavefront6targetE1EEEvSM_: ; @_ZN7rocprim17ROCPRIM_400000_NS6detail17trampoline_kernelINS0_14default_configENS1_38merge_sort_block_merge_config_selectorIlNS0_10empty_typeEEEZZNS1_27merge_sort_block_merge_implIS3_PlPS5_mZN2at6native12_GLOBAL__N_124unique_dim_cuda_templateIsEESt5tupleIJNSA_6TensorESF_SF_EERKSF_lbbbEUlllE_EE10hipError_tT0_T1_T2_jT3_P12ihipStream_tbPNSt15iterator_traitsISL_E10value_typeEPNSR_ISM_E10value_typeEPSN_NS1_7vsmem_tEENKUlT_SL_SM_SN_E_clIS8_S8_S9_S9_EESK_S10_SL_SM_SN_EUlS10_E_NS1_11comp_targetILNS1_3genE8ELNS1_11target_archE1030ELNS1_3gpuE2ELNS1_3repE0EEENS1_48merge_mergepath_partition_config_static_selectorELNS0_4arch9wavefront6targetE1EEEvSM_
; %bb.0:
	.section	.rodata,"a",@progbits
	.p2align	6, 0x0
	.amdhsa_kernel _ZN7rocprim17ROCPRIM_400000_NS6detail17trampoline_kernelINS0_14default_configENS1_38merge_sort_block_merge_config_selectorIlNS0_10empty_typeEEEZZNS1_27merge_sort_block_merge_implIS3_PlPS5_mZN2at6native12_GLOBAL__N_124unique_dim_cuda_templateIsEESt5tupleIJNSA_6TensorESF_SF_EERKSF_lbbbEUlllE_EE10hipError_tT0_T1_T2_jT3_P12ihipStream_tbPNSt15iterator_traitsISL_E10value_typeEPNSR_ISM_E10value_typeEPSN_NS1_7vsmem_tEENKUlT_SL_SM_SN_E_clIS8_S8_S9_S9_EESK_S10_SL_SM_SN_EUlS10_E_NS1_11comp_targetILNS1_3genE8ELNS1_11target_archE1030ELNS1_3gpuE2ELNS1_3repE0EEENS1_48merge_mergepath_partition_config_static_selectorELNS0_4arch9wavefront6targetE1EEEvSM_
		.amdhsa_group_segment_fixed_size 0
		.amdhsa_private_segment_fixed_size 0
		.amdhsa_kernarg_size 56
		.amdhsa_user_sgpr_count 6
		.amdhsa_user_sgpr_private_segment_buffer 1
		.amdhsa_user_sgpr_dispatch_ptr 0
		.amdhsa_user_sgpr_queue_ptr 0
		.amdhsa_user_sgpr_kernarg_segment_ptr 1
		.amdhsa_user_sgpr_dispatch_id 0
		.amdhsa_user_sgpr_flat_scratch_init 0
		.amdhsa_user_sgpr_kernarg_preload_length 0
		.amdhsa_user_sgpr_kernarg_preload_offset 0
		.amdhsa_user_sgpr_private_segment_size 0
		.amdhsa_uses_dynamic_stack 0
		.amdhsa_system_sgpr_private_segment_wavefront_offset 0
		.amdhsa_system_sgpr_workgroup_id_x 1
		.amdhsa_system_sgpr_workgroup_id_y 0
		.amdhsa_system_sgpr_workgroup_id_z 0
		.amdhsa_system_sgpr_workgroup_info 0
		.amdhsa_system_vgpr_workitem_id 0
		.amdhsa_next_free_vgpr 1
		.amdhsa_next_free_sgpr 0
		.amdhsa_accum_offset 4
		.amdhsa_reserve_vcc 0
		.amdhsa_reserve_flat_scratch 0
		.amdhsa_float_round_mode_32 0
		.amdhsa_float_round_mode_16_64 0
		.amdhsa_float_denorm_mode_32 3
		.amdhsa_float_denorm_mode_16_64 3
		.amdhsa_dx10_clamp 1
		.amdhsa_ieee_mode 1
		.amdhsa_fp16_overflow 0
		.amdhsa_tg_split 0
		.amdhsa_exception_fp_ieee_invalid_op 0
		.amdhsa_exception_fp_denorm_src 0
		.amdhsa_exception_fp_ieee_div_zero 0
		.amdhsa_exception_fp_ieee_overflow 0
		.amdhsa_exception_fp_ieee_underflow 0
		.amdhsa_exception_fp_ieee_inexact 0
		.amdhsa_exception_int_div_zero 0
	.end_amdhsa_kernel
	.section	.text._ZN7rocprim17ROCPRIM_400000_NS6detail17trampoline_kernelINS0_14default_configENS1_38merge_sort_block_merge_config_selectorIlNS0_10empty_typeEEEZZNS1_27merge_sort_block_merge_implIS3_PlPS5_mZN2at6native12_GLOBAL__N_124unique_dim_cuda_templateIsEESt5tupleIJNSA_6TensorESF_SF_EERKSF_lbbbEUlllE_EE10hipError_tT0_T1_T2_jT3_P12ihipStream_tbPNSt15iterator_traitsISL_E10value_typeEPNSR_ISM_E10value_typeEPSN_NS1_7vsmem_tEENKUlT_SL_SM_SN_E_clIS8_S8_S9_S9_EESK_S10_SL_SM_SN_EUlS10_E_NS1_11comp_targetILNS1_3genE8ELNS1_11target_archE1030ELNS1_3gpuE2ELNS1_3repE0EEENS1_48merge_mergepath_partition_config_static_selectorELNS0_4arch9wavefront6targetE1EEEvSM_,"axG",@progbits,_ZN7rocprim17ROCPRIM_400000_NS6detail17trampoline_kernelINS0_14default_configENS1_38merge_sort_block_merge_config_selectorIlNS0_10empty_typeEEEZZNS1_27merge_sort_block_merge_implIS3_PlPS5_mZN2at6native12_GLOBAL__N_124unique_dim_cuda_templateIsEESt5tupleIJNSA_6TensorESF_SF_EERKSF_lbbbEUlllE_EE10hipError_tT0_T1_T2_jT3_P12ihipStream_tbPNSt15iterator_traitsISL_E10value_typeEPNSR_ISM_E10value_typeEPSN_NS1_7vsmem_tEENKUlT_SL_SM_SN_E_clIS8_S8_S9_S9_EESK_S10_SL_SM_SN_EUlS10_E_NS1_11comp_targetILNS1_3genE8ELNS1_11target_archE1030ELNS1_3gpuE2ELNS1_3repE0EEENS1_48merge_mergepath_partition_config_static_selectorELNS0_4arch9wavefront6targetE1EEEvSM_,comdat
.Lfunc_end643:
	.size	_ZN7rocprim17ROCPRIM_400000_NS6detail17trampoline_kernelINS0_14default_configENS1_38merge_sort_block_merge_config_selectorIlNS0_10empty_typeEEEZZNS1_27merge_sort_block_merge_implIS3_PlPS5_mZN2at6native12_GLOBAL__N_124unique_dim_cuda_templateIsEESt5tupleIJNSA_6TensorESF_SF_EERKSF_lbbbEUlllE_EE10hipError_tT0_T1_T2_jT3_P12ihipStream_tbPNSt15iterator_traitsISL_E10value_typeEPNSR_ISM_E10value_typeEPSN_NS1_7vsmem_tEENKUlT_SL_SM_SN_E_clIS8_S8_S9_S9_EESK_S10_SL_SM_SN_EUlS10_E_NS1_11comp_targetILNS1_3genE8ELNS1_11target_archE1030ELNS1_3gpuE2ELNS1_3repE0EEENS1_48merge_mergepath_partition_config_static_selectorELNS0_4arch9wavefront6targetE1EEEvSM_, .Lfunc_end643-_ZN7rocprim17ROCPRIM_400000_NS6detail17trampoline_kernelINS0_14default_configENS1_38merge_sort_block_merge_config_selectorIlNS0_10empty_typeEEEZZNS1_27merge_sort_block_merge_implIS3_PlPS5_mZN2at6native12_GLOBAL__N_124unique_dim_cuda_templateIsEESt5tupleIJNSA_6TensorESF_SF_EERKSF_lbbbEUlllE_EE10hipError_tT0_T1_T2_jT3_P12ihipStream_tbPNSt15iterator_traitsISL_E10value_typeEPNSR_ISM_E10value_typeEPSN_NS1_7vsmem_tEENKUlT_SL_SM_SN_E_clIS8_S8_S9_S9_EESK_S10_SL_SM_SN_EUlS10_E_NS1_11comp_targetILNS1_3genE8ELNS1_11target_archE1030ELNS1_3gpuE2ELNS1_3repE0EEENS1_48merge_mergepath_partition_config_static_selectorELNS0_4arch9wavefront6targetE1EEEvSM_
                                        ; -- End function
	.section	.AMDGPU.csdata,"",@progbits
; Kernel info:
; codeLenInByte = 0
; NumSgprs: 4
; NumVgprs: 0
; NumAgprs: 0
; TotalNumVgprs: 0
; ScratchSize: 0
; MemoryBound: 0
; FloatMode: 240
; IeeeMode: 1
; LDSByteSize: 0 bytes/workgroup (compile time only)
; SGPRBlocks: 0
; VGPRBlocks: 0
; NumSGPRsForWavesPerEU: 4
; NumVGPRsForWavesPerEU: 1
; AccumOffset: 4
; Occupancy: 8
; WaveLimiterHint : 0
; COMPUTE_PGM_RSRC2:SCRATCH_EN: 0
; COMPUTE_PGM_RSRC2:USER_SGPR: 6
; COMPUTE_PGM_RSRC2:TRAP_HANDLER: 0
; COMPUTE_PGM_RSRC2:TGID_X_EN: 1
; COMPUTE_PGM_RSRC2:TGID_Y_EN: 0
; COMPUTE_PGM_RSRC2:TGID_Z_EN: 0
; COMPUTE_PGM_RSRC2:TIDIG_COMP_CNT: 0
; COMPUTE_PGM_RSRC3_GFX90A:ACCUM_OFFSET: 0
; COMPUTE_PGM_RSRC3_GFX90A:TG_SPLIT: 0
	.section	.text._ZN7rocprim17ROCPRIM_400000_NS6detail17trampoline_kernelINS0_14default_configENS1_38merge_sort_block_merge_config_selectorIlNS0_10empty_typeEEEZZNS1_27merge_sort_block_merge_implIS3_PlPS5_mZN2at6native12_GLOBAL__N_124unique_dim_cuda_templateIsEESt5tupleIJNSA_6TensorESF_SF_EERKSF_lbbbEUlllE_EE10hipError_tT0_T1_T2_jT3_P12ihipStream_tbPNSt15iterator_traitsISL_E10value_typeEPNSR_ISM_E10value_typeEPSN_NS1_7vsmem_tEENKUlT_SL_SM_SN_E_clIS8_S8_S9_S9_EESK_S10_SL_SM_SN_EUlS10_E0_NS1_11comp_targetILNS1_3genE0ELNS1_11target_archE4294967295ELNS1_3gpuE0ELNS1_3repE0EEENS1_38merge_mergepath_config_static_selectorELNS0_4arch9wavefront6targetE1EEEvSM_,"axG",@progbits,_ZN7rocprim17ROCPRIM_400000_NS6detail17trampoline_kernelINS0_14default_configENS1_38merge_sort_block_merge_config_selectorIlNS0_10empty_typeEEEZZNS1_27merge_sort_block_merge_implIS3_PlPS5_mZN2at6native12_GLOBAL__N_124unique_dim_cuda_templateIsEESt5tupleIJNSA_6TensorESF_SF_EERKSF_lbbbEUlllE_EE10hipError_tT0_T1_T2_jT3_P12ihipStream_tbPNSt15iterator_traitsISL_E10value_typeEPNSR_ISM_E10value_typeEPSN_NS1_7vsmem_tEENKUlT_SL_SM_SN_E_clIS8_S8_S9_S9_EESK_S10_SL_SM_SN_EUlS10_E0_NS1_11comp_targetILNS1_3genE0ELNS1_11target_archE4294967295ELNS1_3gpuE0ELNS1_3repE0EEENS1_38merge_mergepath_config_static_selectorELNS0_4arch9wavefront6targetE1EEEvSM_,comdat
	.globl	_ZN7rocprim17ROCPRIM_400000_NS6detail17trampoline_kernelINS0_14default_configENS1_38merge_sort_block_merge_config_selectorIlNS0_10empty_typeEEEZZNS1_27merge_sort_block_merge_implIS3_PlPS5_mZN2at6native12_GLOBAL__N_124unique_dim_cuda_templateIsEESt5tupleIJNSA_6TensorESF_SF_EERKSF_lbbbEUlllE_EE10hipError_tT0_T1_T2_jT3_P12ihipStream_tbPNSt15iterator_traitsISL_E10value_typeEPNSR_ISM_E10value_typeEPSN_NS1_7vsmem_tEENKUlT_SL_SM_SN_E_clIS8_S8_S9_S9_EESK_S10_SL_SM_SN_EUlS10_E0_NS1_11comp_targetILNS1_3genE0ELNS1_11target_archE4294967295ELNS1_3gpuE0ELNS1_3repE0EEENS1_38merge_mergepath_config_static_selectorELNS0_4arch9wavefront6targetE1EEEvSM_ ; -- Begin function _ZN7rocprim17ROCPRIM_400000_NS6detail17trampoline_kernelINS0_14default_configENS1_38merge_sort_block_merge_config_selectorIlNS0_10empty_typeEEEZZNS1_27merge_sort_block_merge_implIS3_PlPS5_mZN2at6native12_GLOBAL__N_124unique_dim_cuda_templateIsEESt5tupleIJNSA_6TensorESF_SF_EERKSF_lbbbEUlllE_EE10hipError_tT0_T1_T2_jT3_P12ihipStream_tbPNSt15iterator_traitsISL_E10value_typeEPNSR_ISM_E10value_typeEPSN_NS1_7vsmem_tEENKUlT_SL_SM_SN_E_clIS8_S8_S9_S9_EESK_S10_SL_SM_SN_EUlS10_E0_NS1_11comp_targetILNS1_3genE0ELNS1_11target_archE4294967295ELNS1_3gpuE0ELNS1_3repE0EEENS1_38merge_mergepath_config_static_selectorELNS0_4arch9wavefront6targetE1EEEvSM_
	.p2align	8
	.type	_ZN7rocprim17ROCPRIM_400000_NS6detail17trampoline_kernelINS0_14default_configENS1_38merge_sort_block_merge_config_selectorIlNS0_10empty_typeEEEZZNS1_27merge_sort_block_merge_implIS3_PlPS5_mZN2at6native12_GLOBAL__N_124unique_dim_cuda_templateIsEESt5tupleIJNSA_6TensorESF_SF_EERKSF_lbbbEUlllE_EE10hipError_tT0_T1_T2_jT3_P12ihipStream_tbPNSt15iterator_traitsISL_E10value_typeEPNSR_ISM_E10value_typeEPSN_NS1_7vsmem_tEENKUlT_SL_SM_SN_E_clIS8_S8_S9_S9_EESK_S10_SL_SM_SN_EUlS10_E0_NS1_11comp_targetILNS1_3genE0ELNS1_11target_archE4294967295ELNS1_3gpuE0ELNS1_3repE0EEENS1_38merge_mergepath_config_static_selectorELNS0_4arch9wavefront6targetE1EEEvSM_,@function
_ZN7rocprim17ROCPRIM_400000_NS6detail17trampoline_kernelINS0_14default_configENS1_38merge_sort_block_merge_config_selectorIlNS0_10empty_typeEEEZZNS1_27merge_sort_block_merge_implIS3_PlPS5_mZN2at6native12_GLOBAL__N_124unique_dim_cuda_templateIsEESt5tupleIJNSA_6TensorESF_SF_EERKSF_lbbbEUlllE_EE10hipError_tT0_T1_T2_jT3_P12ihipStream_tbPNSt15iterator_traitsISL_E10value_typeEPNSR_ISM_E10value_typeEPSN_NS1_7vsmem_tEENKUlT_SL_SM_SN_E_clIS8_S8_S9_S9_EESK_S10_SL_SM_SN_EUlS10_E0_NS1_11comp_targetILNS1_3genE0ELNS1_11target_archE4294967295ELNS1_3gpuE0ELNS1_3repE0EEENS1_38merge_mergepath_config_static_selectorELNS0_4arch9wavefront6targetE1EEEvSM_: ; @_ZN7rocprim17ROCPRIM_400000_NS6detail17trampoline_kernelINS0_14default_configENS1_38merge_sort_block_merge_config_selectorIlNS0_10empty_typeEEEZZNS1_27merge_sort_block_merge_implIS3_PlPS5_mZN2at6native12_GLOBAL__N_124unique_dim_cuda_templateIsEESt5tupleIJNSA_6TensorESF_SF_EERKSF_lbbbEUlllE_EE10hipError_tT0_T1_T2_jT3_P12ihipStream_tbPNSt15iterator_traitsISL_E10value_typeEPNSR_ISM_E10value_typeEPSN_NS1_7vsmem_tEENKUlT_SL_SM_SN_E_clIS8_S8_S9_S9_EESK_S10_SL_SM_SN_EUlS10_E0_NS1_11comp_targetILNS1_3genE0ELNS1_11target_archE4294967295ELNS1_3gpuE0ELNS1_3repE0EEENS1_38merge_mergepath_config_static_selectorELNS0_4arch9wavefront6targetE1EEEvSM_
; %bb.0:
	.section	.rodata,"a",@progbits
	.p2align	6, 0x0
	.amdhsa_kernel _ZN7rocprim17ROCPRIM_400000_NS6detail17trampoline_kernelINS0_14default_configENS1_38merge_sort_block_merge_config_selectorIlNS0_10empty_typeEEEZZNS1_27merge_sort_block_merge_implIS3_PlPS5_mZN2at6native12_GLOBAL__N_124unique_dim_cuda_templateIsEESt5tupleIJNSA_6TensorESF_SF_EERKSF_lbbbEUlllE_EE10hipError_tT0_T1_T2_jT3_P12ihipStream_tbPNSt15iterator_traitsISL_E10value_typeEPNSR_ISM_E10value_typeEPSN_NS1_7vsmem_tEENKUlT_SL_SM_SN_E_clIS8_S8_S9_S9_EESK_S10_SL_SM_SN_EUlS10_E0_NS1_11comp_targetILNS1_3genE0ELNS1_11target_archE4294967295ELNS1_3gpuE0ELNS1_3repE0EEENS1_38merge_mergepath_config_static_selectorELNS0_4arch9wavefront6targetE1EEEvSM_
		.amdhsa_group_segment_fixed_size 0
		.amdhsa_private_segment_fixed_size 0
		.amdhsa_kernarg_size 88
		.amdhsa_user_sgpr_count 6
		.amdhsa_user_sgpr_private_segment_buffer 1
		.amdhsa_user_sgpr_dispatch_ptr 0
		.amdhsa_user_sgpr_queue_ptr 0
		.amdhsa_user_sgpr_kernarg_segment_ptr 1
		.amdhsa_user_sgpr_dispatch_id 0
		.amdhsa_user_sgpr_flat_scratch_init 0
		.amdhsa_user_sgpr_kernarg_preload_length 0
		.amdhsa_user_sgpr_kernarg_preload_offset 0
		.amdhsa_user_sgpr_private_segment_size 0
		.amdhsa_uses_dynamic_stack 0
		.amdhsa_system_sgpr_private_segment_wavefront_offset 0
		.amdhsa_system_sgpr_workgroup_id_x 1
		.amdhsa_system_sgpr_workgroup_id_y 0
		.amdhsa_system_sgpr_workgroup_id_z 0
		.amdhsa_system_sgpr_workgroup_info 0
		.amdhsa_system_vgpr_workitem_id 0
		.amdhsa_next_free_vgpr 1
		.amdhsa_next_free_sgpr 0
		.amdhsa_accum_offset 4
		.amdhsa_reserve_vcc 0
		.amdhsa_reserve_flat_scratch 0
		.amdhsa_float_round_mode_32 0
		.amdhsa_float_round_mode_16_64 0
		.amdhsa_float_denorm_mode_32 3
		.amdhsa_float_denorm_mode_16_64 3
		.amdhsa_dx10_clamp 1
		.amdhsa_ieee_mode 1
		.amdhsa_fp16_overflow 0
		.amdhsa_tg_split 0
		.amdhsa_exception_fp_ieee_invalid_op 0
		.amdhsa_exception_fp_denorm_src 0
		.amdhsa_exception_fp_ieee_div_zero 0
		.amdhsa_exception_fp_ieee_overflow 0
		.amdhsa_exception_fp_ieee_underflow 0
		.amdhsa_exception_fp_ieee_inexact 0
		.amdhsa_exception_int_div_zero 0
	.end_amdhsa_kernel
	.section	.text._ZN7rocprim17ROCPRIM_400000_NS6detail17trampoline_kernelINS0_14default_configENS1_38merge_sort_block_merge_config_selectorIlNS0_10empty_typeEEEZZNS1_27merge_sort_block_merge_implIS3_PlPS5_mZN2at6native12_GLOBAL__N_124unique_dim_cuda_templateIsEESt5tupleIJNSA_6TensorESF_SF_EERKSF_lbbbEUlllE_EE10hipError_tT0_T1_T2_jT3_P12ihipStream_tbPNSt15iterator_traitsISL_E10value_typeEPNSR_ISM_E10value_typeEPSN_NS1_7vsmem_tEENKUlT_SL_SM_SN_E_clIS8_S8_S9_S9_EESK_S10_SL_SM_SN_EUlS10_E0_NS1_11comp_targetILNS1_3genE0ELNS1_11target_archE4294967295ELNS1_3gpuE0ELNS1_3repE0EEENS1_38merge_mergepath_config_static_selectorELNS0_4arch9wavefront6targetE1EEEvSM_,"axG",@progbits,_ZN7rocprim17ROCPRIM_400000_NS6detail17trampoline_kernelINS0_14default_configENS1_38merge_sort_block_merge_config_selectorIlNS0_10empty_typeEEEZZNS1_27merge_sort_block_merge_implIS3_PlPS5_mZN2at6native12_GLOBAL__N_124unique_dim_cuda_templateIsEESt5tupleIJNSA_6TensorESF_SF_EERKSF_lbbbEUlllE_EE10hipError_tT0_T1_T2_jT3_P12ihipStream_tbPNSt15iterator_traitsISL_E10value_typeEPNSR_ISM_E10value_typeEPSN_NS1_7vsmem_tEENKUlT_SL_SM_SN_E_clIS8_S8_S9_S9_EESK_S10_SL_SM_SN_EUlS10_E0_NS1_11comp_targetILNS1_3genE0ELNS1_11target_archE4294967295ELNS1_3gpuE0ELNS1_3repE0EEENS1_38merge_mergepath_config_static_selectorELNS0_4arch9wavefront6targetE1EEEvSM_,comdat
.Lfunc_end644:
	.size	_ZN7rocprim17ROCPRIM_400000_NS6detail17trampoline_kernelINS0_14default_configENS1_38merge_sort_block_merge_config_selectorIlNS0_10empty_typeEEEZZNS1_27merge_sort_block_merge_implIS3_PlPS5_mZN2at6native12_GLOBAL__N_124unique_dim_cuda_templateIsEESt5tupleIJNSA_6TensorESF_SF_EERKSF_lbbbEUlllE_EE10hipError_tT0_T1_T2_jT3_P12ihipStream_tbPNSt15iterator_traitsISL_E10value_typeEPNSR_ISM_E10value_typeEPSN_NS1_7vsmem_tEENKUlT_SL_SM_SN_E_clIS8_S8_S9_S9_EESK_S10_SL_SM_SN_EUlS10_E0_NS1_11comp_targetILNS1_3genE0ELNS1_11target_archE4294967295ELNS1_3gpuE0ELNS1_3repE0EEENS1_38merge_mergepath_config_static_selectorELNS0_4arch9wavefront6targetE1EEEvSM_, .Lfunc_end644-_ZN7rocprim17ROCPRIM_400000_NS6detail17trampoline_kernelINS0_14default_configENS1_38merge_sort_block_merge_config_selectorIlNS0_10empty_typeEEEZZNS1_27merge_sort_block_merge_implIS3_PlPS5_mZN2at6native12_GLOBAL__N_124unique_dim_cuda_templateIsEESt5tupleIJNSA_6TensorESF_SF_EERKSF_lbbbEUlllE_EE10hipError_tT0_T1_T2_jT3_P12ihipStream_tbPNSt15iterator_traitsISL_E10value_typeEPNSR_ISM_E10value_typeEPSN_NS1_7vsmem_tEENKUlT_SL_SM_SN_E_clIS8_S8_S9_S9_EESK_S10_SL_SM_SN_EUlS10_E0_NS1_11comp_targetILNS1_3genE0ELNS1_11target_archE4294967295ELNS1_3gpuE0ELNS1_3repE0EEENS1_38merge_mergepath_config_static_selectorELNS0_4arch9wavefront6targetE1EEEvSM_
                                        ; -- End function
	.section	.AMDGPU.csdata,"",@progbits
; Kernel info:
; codeLenInByte = 0
; NumSgprs: 4
; NumVgprs: 0
; NumAgprs: 0
; TotalNumVgprs: 0
; ScratchSize: 0
; MemoryBound: 0
; FloatMode: 240
; IeeeMode: 1
; LDSByteSize: 0 bytes/workgroup (compile time only)
; SGPRBlocks: 0
; VGPRBlocks: 0
; NumSGPRsForWavesPerEU: 4
; NumVGPRsForWavesPerEU: 1
; AccumOffset: 4
; Occupancy: 8
; WaveLimiterHint : 0
; COMPUTE_PGM_RSRC2:SCRATCH_EN: 0
; COMPUTE_PGM_RSRC2:USER_SGPR: 6
; COMPUTE_PGM_RSRC2:TRAP_HANDLER: 0
; COMPUTE_PGM_RSRC2:TGID_X_EN: 1
; COMPUTE_PGM_RSRC2:TGID_Y_EN: 0
; COMPUTE_PGM_RSRC2:TGID_Z_EN: 0
; COMPUTE_PGM_RSRC2:TIDIG_COMP_CNT: 0
; COMPUTE_PGM_RSRC3_GFX90A:ACCUM_OFFSET: 0
; COMPUTE_PGM_RSRC3_GFX90A:TG_SPLIT: 0
	.section	.text._ZN7rocprim17ROCPRIM_400000_NS6detail17trampoline_kernelINS0_14default_configENS1_38merge_sort_block_merge_config_selectorIlNS0_10empty_typeEEEZZNS1_27merge_sort_block_merge_implIS3_PlPS5_mZN2at6native12_GLOBAL__N_124unique_dim_cuda_templateIsEESt5tupleIJNSA_6TensorESF_SF_EERKSF_lbbbEUlllE_EE10hipError_tT0_T1_T2_jT3_P12ihipStream_tbPNSt15iterator_traitsISL_E10value_typeEPNSR_ISM_E10value_typeEPSN_NS1_7vsmem_tEENKUlT_SL_SM_SN_E_clIS8_S8_S9_S9_EESK_S10_SL_SM_SN_EUlS10_E0_NS1_11comp_targetILNS1_3genE10ELNS1_11target_archE1201ELNS1_3gpuE5ELNS1_3repE0EEENS1_38merge_mergepath_config_static_selectorELNS0_4arch9wavefront6targetE1EEEvSM_,"axG",@progbits,_ZN7rocprim17ROCPRIM_400000_NS6detail17trampoline_kernelINS0_14default_configENS1_38merge_sort_block_merge_config_selectorIlNS0_10empty_typeEEEZZNS1_27merge_sort_block_merge_implIS3_PlPS5_mZN2at6native12_GLOBAL__N_124unique_dim_cuda_templateIsEESt5tupleIJNSA_6TensorESF_SF_EERKSF_lbbbEUlllE_EE10hipError_tT0_T1_T2_jT3_P12ihipStream_tbPNSt15iterator_traitsISL_E10value_typeEPNSR_ISM_E10value_typeEPSN_NS1_7vsmem_tEENKUlT_SL_SM_SN_E_clIS8_S8_S9_S9_EESK_S10_SL_SM_SN_EUlS10_E0_NS1_11comp_targetILNS1_3genE10ELNS1_11target_archE1201ELNS1_3gpuE5ELNS1_3repE0EEENS1_38merge_mergepath_config_static_selectorELNS0_4arch9wavefront6targetE1EEEvSM_,comdat
	.globl	_ZN7rocprim17ROCPRIM_400000_NS6detail17trampoline_kernelINS0_14default_configENS1_38merge_sort_block_merge_config_selectorIlNS0_10empty_typeEEEZZNS1_27merge_sort_block_merge_implIS3_PlPS5_mZN2at6native12_GLOBAL__N_124unique_dim_cuda_templateIsEESt5tupleIJNSA_6TensorESF_SF_EERKSF_lbbbEUlllE_EE10hipError_tT0_T1_T2_jT3_P12ihipStream_tbPNSt15iterator_traitsISL_E10value_typeEPNSR_ISM_E10value_typeEPSN_NS1_7vsmem_tEENKUlT_SL_SM_SN_E_clIS8_S8_S9_S9_EESK_S10_SL_SM_SN_EUlS10_E0_NS1_11comp_targetILNS1_3genE10ELNS1_11target_archE1201ELNS1_3gpuE5ELNS1_3repE0EEENS1_38merge_mergepath_config_static_selectorELNS0_4arch9wavefront6targetE1EEEvSM_ ; -- Begin function _ZN7rocprim17ROCPRIM_400000_NS6detail17trampoline_kernelINS0_14default_configENS1_38merge_sort_block_merge_config_selectorIlNS0_10empty_typeEEEZZNS1_27merge_sort_block_merge_implIS3_PlPS5_mZN2at6native12_GLOBAL__N_124unique_dim_cuda_templateIsEESt5tupleIJNSA_6TensorESF_SF_EERKSF_lbbbEUlllE_EE10hipError_tT0_T1_T2_jT3_P12ihipStream_tbPNSt15iterator_traitsISL_E10value_typeEPNSR_ISM_E10value_typeEPSN_NS1_7vsmem_tEENKUlT_SL_SM_SN_E_clIS8_S8_S9_S9_EESK_S10_SL_SM_SN_EUlS10_E0_NS1_11comp_targetILNS1_3genE10ELNS1_11target_archE1201ELNS1_3gpuE5ELNS1_3repE0EEENS1_38merge_mergepath_config_static_selectorELNS0_4arch9wavefront6targetE1EEEvSM_
	.p2align	8
	.type	_ZN7rocprim17ROCPRIM_400000_NS6detail17trampoline_kernelINS0_14default_configENS1_38merge_sort_block_merge_config_selectorIlNS0_10empty_typeEEEZZNS1_27merge_sort_block_merge_implIS3_PlPS5_mZN2at6native12_GLOBAL__N_124unique_dim_cuda_templateIsEESt5tupleIJNSA_6TensorESF_SF_EERKSF_lbbbEUlllE_EE10hipError_tT0_T1_T2_jT3_P12ihipStream_tbPNSt15iterator_traitsISL_E10value_typeEPNSR_ISM_E10value_typeEPSN_NS1_7vsmem_tEENKUlT_SL_SM_SN_E_clIS8_S8_S9_S9_EESK_S10_SL_SM_SN_EUlS10_E0_NS1_11comp_targetILNS1_3genE10ELNS1_11target_archE1201ELNS1_3gpuE5ELNS1_3repE0EEENS1_38merge_mergepath_config_static_selectorELNS0_4arch9wavefront6targetE1EEEvSM_,@function
_ZN7rocprim17ROCPRIM_400000_NS6detail17trampoline_kernelINS0_14default_configENS1_38merge_sort_block_merge_config_selectorIlNS0_10empty_typeEEEZZNS1_27merge_sort_block_merge_implIS3_PlPS5_mZN2at6native12_GLOBAL__N_124unique_dim_cuda_templateIsEESt5tupleIJNSA_6TensorESF_SF_EERKSF_lbbbEUlllE_EE10hipError_tT0_T1_T2_jT3_P12ihipStream_tbPNSt15iterator_traitsISL_E10value_typeEPNSR_ISM_E10value_typeEPSN_NS1_7vsmem_tEENKUlT_SL_SM_SN_E_clIS8_S8_S9_S9_EESK_S10_SL_SM_SN_EUlS10_E0_NS1_11comp_targetILNS1_3genE10ELNS1_11target_archE1201ELNS1_3gpuE5ELNS1_3repE0EEENS1_38merge_mergepath_config_static_selectorELNS0_4arch9wavefront6targetE1EEEvSM_: ; @_ZN7rocprim17ROCPRIM_400000_NS6detail17trampoline_kernelINS0_14default_configENS1_38merge_sort_block_merge_config_selectorIlNS0_10empty_typeEEEZZNS1_27merge_sort_block_merge_implIS3_PlPS5_mZN2at6native12_GLOBAL__N_124unique_dim_cuda_templateIsEESt5tupleIJNSA_6TensorESF_SF_EERKSF_lbbbEUlllE_EE10hipError_tT0_T1_T2_jT3_P12ihipStream_tbPNSt15iterator_traitsISL_E10value_typeEPNSR_ISM_E10value_typeEPSN_NS1_7vsmem_tEENKUlT_SL_SM_SN_E_clIS8_S8_S9_S9_EESK_S10_SL_SM_SN_EUlS10_E0_NS1_11comp_targetILNS1_3genE10ELNS1_11target_archE1201ELNS1_3gpuE5ELNS1_3repE0EEENS1_38merge_mergepath_config_static_selectorELNS0_4arch9wavefront6targetE1EEEvSM_
; %bb.0:
	.section	.rodata,"a",@progbits
	.p2align	6, 0x0
	.amdhsa_kernel _ZN7rocprim17ROCPRIM_400000_NS6detail17trampoline_kernelINS0_14default_configENS1_38merge_sort_block_merge_config_selectorIlNS0_10empty_typeEEEZZNS1_27merge_sort_block_merge_implIS3_PlPS5_mZN2at6native12_GLOBAL__N_124unique_dim_cuda_templateIsEESt5tupleIJNSA_6TensorESF_SF_EERKSF_lbbbEUlllE_EE10hipError_tT0_T1_T2_jT3_P12ihipStream_tbPNSt15iterator_traitsISL_E10value_typeEPNSR_ISM_E10value_typeEPSN_NS1_7vsmem_tEENKUlT_SL_SM_SN_E_clIS8_S8_S9_S9_EESK_S10_SL_SM_SN_EUlS10_E0_NS1_11comp_targetILNS1_3genE10ELNS1_11target_archE1201ELNS1_3gpuE5ELNS1_3repE0EEENS1_38merge_mergepath_config_static_selectorELNS0_4arch9wavefront6targetE1EEEvSM_
		.amdhsa_group_segment_fixed_size 0
		.amdhsa_private_segment_fixed_size 0
		.amdhsa_kernarg_size 88
		.amdhsa_user_sgpr_count 6
		.amdhsa_user_sgpr_private_segment_buffer 1
		.amdhsa_user_sgpr_dispatch_ptr 0
		.amdhsa_user_sgpr_queue_ptr 0
		.amdhsa_user_sgpr_kernarg_segment_ptr 1
		.amdhsa_user_sgpr_dispatch_id 0
		.amdhsa_user_sgpr_flat_scratch_init 0
		.amdhsa_user_sgpr_kernarg_preload_length 0
		.amdhsa_user_sgpr_kernarg_preload_offset 0
		.amdhsa_user_sgpr_private_segment_size 0
		.amdhsa_uses_dynamic_stack 0
		.amdhsa_system_sgpr_private_segment_wavefront_offset 0
		.amdhsa_system_sgpr_workgroup_id_x 1
		.amdhsa_system_sgpr_workgroup_id_y 0
		.amdhsa_system_sgpr_workgroup_id_z 0
		.amdhsa_system_sgpr_workgroup_info 0
		.amdhsa_system_vgpr_workitem_id 0
		.amdhsa_next_free_vgpr 1
		.amdhsa_next_free_sgpr 0
		.amdhsa_accum_offset 4
		.amdhsa_reserve_vcc 0
		.amdhsa_reserve_flat_scratch 0
		.amdhsa_float_round_mode_32 0
		.amdhsa_float_round_mode_16_64 0
		.amdhsa_float_denorm_mode_32 3
		.amdhsa_float_denorm_mode_16_64 3
		.amdhsa_dx10_clamp 1
		.amdhsa_ieee_mode 1
		.amdhsa_fp16_overflow 0
		.amdhsa_tg_split 0
		.amdhsa_exception_fp_ieee_invalid_op 0
		.amdhsa_exception_fp_denorm_src 0
		.amdhsa_exception_fp_ieee_div_zero 0
		.amdhsa_exception_fp_ieee_overflow 0
		.amdhsa_exception_fp_ieee_underflow 0
		.amdhsa_exception_fp_ieee_inexact 0
		.amdhsa_exception_int_div_zero 0
	.end_amdhsa_kernel
	.section	.text._ZN7rocprim17ROCPRIM_400000_NS6detail17trampoline_kernelINS0_14default_configENS1_38merge_sort_block_merge_config_selectorIlNS0_10empty_typeEEEZZNS1_27merge_sort_block_merge_implIS3_PlPS5_mZN2at6native12_GLOBAL__N_124unique_dim_cuda_templateIsEESt5tupleIJNSA_6TensorESF_SF_EERKSF_lbbbEUlllE_EE10hipError_tT0_T1_T2_jT3_P12ihipStream_tbPNSt15iterator_traitsISL_E10value_typeEPNSR_ISM_E10value_typeEPSN_NS1_7vsmem_tEENKUlT_SL_SM_SN_E_clIS8_S8_S9_S9_EESK_S10_SL_SM_SN_EUlS10_E0_NS1_11comp_targetILNS1_3genE10ELNS1_11target_archE1201ELNS1_3gpuE5ELNS1_3repE0EEENS1_38merge_mergepath_config_static_selectorELNS0_4arch9wavefront6targetE1EEEvSM_,"axG",@progbits,_ZN7rocprim17ROCPRIM_400000_NS6detail17trampoline_kernelINS0_14default_configENS1_38merge_sort_block_merge_config_selectorIlNS0_10empty_typeEEEZZNS1_27merge_sort_block_merge_implIS3_PlPS5_mZN2at6native12_GLOBAL__N_124unique_dim_cuda_templateIsEESt5tupleIJNSA_6TensorESF_SF_EERKSF_lbbbEUlllE_EE10hipError_tT0_T1_T2_jT3_P12ihipStream_tbPNSt15iterator_traitsISL_E10value_typeEPNSR_ISM_E10value_typeEPSN_NS1_7vsmem_tEENKUlT_SL_SM_SN_E_clIS8_S8_S9_S9_EESK_S10_SL_SM_SN_EUlS10_E0_NS1_11comp_targetILNS1_3genE10ELNS1_11target_archE1201ELNS1_3gpuE5ELNS1_3repE0EEENS1_38merge_mergepath_config_static_selectorELNS0_4arch9wavefront6targetE1EEEvSM_,comdat
.Lfunc_end645:
	.size	_ZN7rocprim17ROCPRIM_400000_NS6detail17trampoline_kernelINS0_14default_configENS1_38merge_sort_block_merge_config_selectorIlNS0_10empty_typeEEEZZNS1_27merge_sort_block_merge_implIS3_PlPS5_mZN2at6native12_GLOBAL__N_124unique_dim_cuda_templateIsEESt5tupleIJNSA_6TensorESF_SF_EERKSF_lbbbEUlllE_EE10hipError_tT0_T1_T2_jT3_P12ihipStream_tbPNSt15iterator_traitsISL_E10value_typeEPNSR_ISM_E10value_typeEPSN_NS1_7vsmem_tEENKUlT_SL_SM_SN_E_clIS8_S8_S9_S9_EESK_S10_SL_SM_SN_EUlS10_E0_NS1_11comp_targetILNS1_3genE10ELNS1_11target_archE1201ELNS1_3gpuE5ELNS1_3repE0EEENS1_38merge_mergepath_config_static_selectorELNS0_4arch9wavefront6targetE1EEEvSM_, .Lfunc_end645-_ZN7rocprim17ROCPRIM_400000_NS6detail17trampoline_kernelINS0_14default_configENS1_38merge_sort_block_merge_config_selectorIlNS0_10empty_typeEEEZZNS1_27merge_sort_block_merge_implIS3_PlPS5_mZN2at6native12_GLOBAL__N_124unique_dim_cuda_templateIsEESt5tupleIJNSA_6TensorESF_SF_EERKSF_lbbbEUlllE_EE10hipError_tT0_T1_T2_jT3_P12ihipStream_tbPNSt15iterator_traitsISL_E10value_typeEPNSR_ISM_E10value_typeEPSN_NS1_7vsmem_tEENKUlT_SL_SM_SN_E_clIS8_S8_S9_S9_EESK_S10_SL_SM_SN_EUlS10_E0_NS1_11comp_targetILNS1_3genE10ELNS1_11target_archE1201ELNS1_3gpuE5ELNS1_3repE0EEENS1_38merge_mergepath_config_static_selectorELNS0_4arch9wavefront6targetE1EEEvSM_
                                        ; -- End function
	.section	.AMDGPU.csdata,"",@progbits
; Kernel info:
; codeLenInByte = 0
; NumSgprs: 4
; NumVgprs: 0
; NumAgprs: 0
; TotalNumVgprs: 0
; ScratchSize: 0
; MemoryBound: 0
; FloatMode: 240
; IeeeMode: 1
; LDSByteSize: 0 bytes/workgroup (compile time only)
; SGPRBlocks: 0
; VGPRBlocks: 0
; NumSGPRsForWavesPerEU: 4
; NumVGPRsForWavesPerEU: 1
; AccumOffset: 4
; Occupancy: 8
; WaveLimiterHint : 0
; COMPUTE_PGM_RSRC2:SCRATCH_EN: 0
; COMPUTE_PGM_RSRC2:USER_SGPR: 6
; COMPUTE_PGM_RSRC2:TRAP_HANDLER: 0
; COMPUTE_PGM_RSRC2:TGID_X_EN: 1
; COMPUTE_PGM_RSRC2:TGID_Y_EN: 0
; COMPUTE_PGM_RSRC2:TGID_Z_EN: 0
; COMPUTE_PGM_RSRC2:TIDIG_COMP_CNT: 0
; COMPUTE_PGM_RSRC3_GFX90A:ACCUM_OFFSET: 0
; COMPUTE_PGM_RSRC3_GFX90A:TG_SPLIT: 0
	.section	.text._ZN7rocprim17ROCPRIM_400000_NS6detail17trampoline_kernelINS0_14default_configENS1_38merge_sort_block_merge_config_selectorIlNS0_10empty_typeEEEZZNS1_27merge_sort_block_merge_implIS3_PlPS5_mZN2at6native12_GLOBAL__N_124unique_dim_cuda_templateIsEESt5tupleIJNSA_6TensorESF_SF_EERKSF_lbbbEUlllE_EE10hipError_tT0_T1_T2_jT3_P12ihipStream_tbPNSt15iterator_traitsISL_E10value_typeEPNSR_ISM_E10value_typeEPSN_NS1_7vsmem_tEENKUlT_SL_SM_SN_E_clIS8_S8_S9_S9_EESK_S10_SL_SM_SN_EUlS10_E0_NS1_11comp_targetILNS1_3genE5ELNS1_11target_archE942ELNS1_3gpuE9ELNS1_3repE0EEENS1_38merge_mergepath_config_static_selectorELNS0_4arch9wavefront6targetE1EEEvSM_,"axG",@progbits,_ZN7rocprim17ROCPRIM_400000_NS6detail17trampoline_kernelINS0_14default_configENS1_38merge_sort_block_merge_config_selectorIlNS0_10empty_typeEEEZZNS1_27merge_sort_block_merge_implIS3_PlPS5_mZN2at6native12_GLOBAL__N_124unique_dim_cuda_templateIsEESt5tupleIJNSA_6TensorESF_SF_EERKSF_lbbbEUlllE_EE10hipError_tT0_T1_T2_jT3_P12ihipStream_tbPNSt15iterator_traitsISL_E10value_typeEPNSR_ISM_E10value_typeEPSN_NS1_7vsmem_tEENKUlT_SL_SM_SN_E_clIS8_S8_S9_S9_EESK_S10_SL_SM_SN_EUlS10_E0_NS1_11comp_targetILNS1_3genE5ELNS1_11target_archE942ELNS1_3gpuE9ELNS1_3repE0EEENS1_38merge_mergepath_config_static_selectorELNS0_4arch9wavefront6targetE1EEEvSM_,comdat
	.globl	_ZN7rocprim17ROCPRIM_400000_NS6detail17trampoline_kernelINS0_14default_configENS1_38merge_sort_block_merge_config_selectorIlNS0_10empty_typeEEEZZNS1_27merge_sort_block_merge_implIS3_PlPS5_mZN2at6native12_GLOBAL__N_124unique_dim_cuda_templateIsEESt5tupleIJNSA_6TensorESF_SF_EERKSF_lbbbEUlllE_EE10hipError_tT0_T1_T2_jT3_P12ihipStream_tbPNSt15iterator_traitsISL_E10value_typeEPNSR_ISM_E10value_typeEPSN_NS1_7vsmem_tEENKUlT_SL_SM_SN_E_clIS8_S8_S9_S9_EESK_S10_SL_SM_SN_EUlS10_E0_NS1_11comp_targetILNS1_3genE5ELNS1_11target_archE942ELNS1_3gpuE9ELNS1_3repE0EEENS1_38merge_mergepath_config_static_selectorELNS0_4arch9wavefront6targetE1EEEvSM_ ; -- Begin function _ZN7rocprim17ROCPRIM_400000_NS6detail17trampoline_kernelINS0_14default_configENS1_38merge_sort_block_merge_config_selectorIlNS0_10empty_typeEEEZZNS1_27merge_sort_block_merge_implIS3_PlPS5_mZN2at6native12_GLOBAL__N_124unique_dim_cuda_templateIsEESt5tupleIJNSA_6TensorESF_SF_EERKSF_lbbbEUlllE_EE10hipError_tT0_T1_T2_jT3_P12ihipStream_tbPNSt15iterator_traitsISL_E10value_typeEPNSR_ISM_E10value_typeEPSN_NS1_7vsmem_tEENKUlT_SL_SM_SN_E_clIS8_S8_S9_S9_EESK_S10_SL_SM_SN_EUlS10_E0_NS1_11comp_targetILNS1_3genE5ELNS1_11target_archE942ELNS1_3gpuE9ELNS1_3repE0EEENS1_38merge_mergepath_config_static_selectorELNS0_4arch9wavefront6targetE1EEEvSM_
	.p2align	8
	.type	_ZN7rocprim17ROCPRIM_400000_NS6detail17trampoline_kernelINS0_14default_configENS1_38merge_sort_block_merge_config_selectorIlNS0_10empty_typeEEEZZNS1_27merge_sort_block_merge_implIS3_PlPS5_mZN2at6native12_GLOBAL__N_124unique_dim_cuda_templateIsEESt5tupleIJNSA_6TensorESF_SF_EERKSF_lbbbEUlllE_EE10hipError_tT0_T1_T2_jT3_P12ihipStream_tbPNSt15iterator_traitsISL_E10value_typeEPNSR_ISM_E10value_typeEPSN_NS1_7vsmem_tEENKUlT_SL_SM_SN_E_clIS8_S8_S9_S9_EESK_S10_SL_SM_SN_EUlS10_E0_NS1_11comp_targetILNS1_3genE5ELNS1_11target_archE942ELNS1_3gpuE9ELNS1_3repE0EEENS1_38merge_mergepath_config_static_selectorELNS0_4arch9wavefront6targetE1EEEvSM_,@function
_ZN7rocprim17ROCPRIM_400000_NS6detail17trampoline_kernelINS0_14default_configENS1_38merge_sort_block_merge_config_selectorIlNS0_10empty_typeEEEZZNS1_27merge_sort_block_merge_implIS3_PlPS5_mZN2at6native12_GLOBAL__N_124unique_dim_cuda_templateIsEESt5tupleIJNSA_6TensorESF_SF_EERKSF_lbbbEUlllE_EE10hipError_tT0_T1_T2_jT3_P12ihipStream_tbPNSt15iterator_traitsISL_E10value_typeEPNSR_ISM_E10value_typeEPSN_NS1_7vsmem_tEENKUlT_SL_SM_SN_E_clIS8_S8_S9_S9_EESK_S10_SL_SM_SN_EUlS10_E0_NS1_11comp_targetILNS1_3genE5ELNS1_11target_archE942ELNS1_3gpuE9ELNS1_3repE0EEENS1_38merge_mergepath_config_static_selectorELNS0_4arch9wavefront6targetE1EEEvSM_: ; @_ZN7rocprim17ROCPRIM_400000_NS6detail17trampoline_kernelINS0_14default_configENS1_38merge_sort_block_merge_config_selectorIlNS0_10empty_typeEEEZZNS1_27merge_sort_block_merge_implIS3_PlPS5_mZN2at6native12_GLOBAL__N_124unique_dim_cuda_templateIsEESt5tupleIJNSA_6TensorESF_SF_EERKSF_lbbbEUlllE_EE10hipError_tT0_T1_T2_jT3_P12ihipStream_tbPNSt15iterator_traitsISL_E10value_typeEPNSR_ISM_E10value_typeEPSN_NS1_7vsmem_tEENKUlT_SL_SM_SN_E_clIS8_S8_S9_S9_EESK_S10_SL_SM_SN_EUlS10_E0_NS1_11comp_targetILNS1_3genE5ELNS1_11target_archE942ELNS1_3gpuE9ELNS1_3repE0EEENS1_38merge_mergepath_config_static_selectorELNS0_4arch9wavefront6targetE1EEEvSM_
; %bb.0:
	.section	.rodata,"a",@progbits
	.p2align	6, 0x0
	.amdhsa_kernel _ZN7rocprim17ROCPRIM_400000_NS6detail17trampoline_kernelINS0_14default_configENS1_38merge_sort_block_merge_config_selectorIlNS0_10empty_typeEEEZZNS1_27merge_sort_block_merge_implIS3_PlPS5_mZN2at6native12_GLOBAL__N_124unique_dim_cuda_templateIsEESt5tupleIJNSA_6TensorESF_SF_EERKSF_lbbbEUlllE_EE10hipError_tT0_T1_T2_jT3_P12ihipStream_tbPNSt15iterator_traitsISL_E10value_typeEPNSR_ISM_E10value_typeEPSN_NS1_7vsmem_tEENKUlT_SL_SM_SN_E_clIS8_S8_S9_S9_EESK_S10_SL_SM_SN_EUlS10_E0_NS1_11comp_targetILNS1_3genE5ELNS1_11target_archE942ELNS1_3gpuE9ELNS1_3repE0EEENS1_38merge_mergepath_config_static_selectorELNS0_4arch9wavefront6targetE1EEEvSM_
		.amdhsa_group_segment_fixed_size 0
		.amdhsa_private_segment_fixed_size 0
		.amdhsa_kernarg_size 88
		.amdhsa_user_sgpr_count 6
		.amdhsa_user_sgpr_private_segment_buffer 1
		.amdhsa_user_sgpr_dispatch_ptr 0
		.amdhsa_user_sgpr_queue_ptr 0
		.amdhsa_user_sgpr_kernarg_segment_ptr 1
		.amdhsa_user_sgpr_dispatch_id 0
		.amdhsa_user_sgpr_flat_scratch_init 0
		.amdhsa_user_sgpr_kernarg_preload_length 0
		.amdhsa_user_sgpr_kernarg_preload_offset 0
		.amdhsa_user_sgpr_private_segment_size 0
		.amdhsa_uses_dynamic_stack 0
		.amdhsa_system_sgpr_private_segment_wavefront_offset 0
		.amdhsa_system_sgpr_workgroup_id_x 1
		.amdhsa_system_sgpr_workgroup_id_y 0
		.amdhsa_system_sgpr_workgroup_id_z 0
		.amdhsa_system_sgpr_workgroup_info 0
		.amdhsa_system_vgpr_workitem_id 0
		.amdhsa_next_free_vgpr 1
		.amdhsa_next_free_sgpr 0
		.amdhsa_accum_offset 4
		.amdhsa_reserve_vcc 0
		.amdhsa_reserve_flat_scratch 0
		.amdhsa_float_round_mode_32 0
		.amdhsa_float_round_mode_16_64 0
		.amdhsa_float_denorm_mode_32 3
		.amdhsa_float_denorm_mode_16_64 3
		.amdhsa_dx10_clamp 1
		.amdhsa_ieee_mode 1
		.amdhsa_fp16_overflow 0
		.amdhsa_tg_split 0
		.amdhsa_exception_fp_ieee_invalid_op 0
		.amdhsa_exception_fp_denorm_src 0
		.amdhsa_exception_fp_ieee_div_zero 0
		.amdhsa_exception_fp_ieee_overflow 0
		.amdhsa_exception_fp_ieee_underflow 0
		.amdhsa_exception_fp_ieee_inexact 0
		.amdhsa_exception_int_div_zero 0
	.end_amdhsa_kernel
	.section	.text._ZN7rocprim17ROCPRIM_400000_NS6detail17trampoline_kernelINS0_14default_configENS1_38merge_sort_block_merge_config_selectorIlNS0_10empty_typeEEEZZNS1_27merge_sort_block_merge_implIS3_PlPS5_mZN2at6native12_GLOBAL__N_124unique_dim_cuda_templateIsEESt5tupleIJNSA_6TensorESF_SF_EERKSF_lbbbEUlllE_EE10hipError_tT0_T1_T2_jT3_P12ihipStream_tbPNSt15iterator_traitsISL_E10value_typeEPNSR_ISM_E10value_typeEPSN_NS1_7vsmem_tEENKUlT_SL_SM_SN_E_clIS8_S8_S9_S9_EESK_S10_SL_SM_SN_EUlS10_E0_NS1_11comp_targetILNS1_3genE5ELNS1_11target_archE942ELNS1_3gpuE9ELNS1_3repE0EEENS1_38merge_mergepath_config_static_selectorELNS0_4arch9wavefront6targetE1EEEvSM_,"axG",@progbits,_ZN7rocprim17ROCPRIM_400000_NS6detail17trampoline_kernelINS0_14default_configENS1_38merge_sort_block_merge_config_selectorIlNS0_10empty_typeEEEZZNS1_27merge_sort_block_merge_implIS3_PlPS5_mZN2at6native12_GLOBAL__N_124unique_dim_cuda_templateIsEESt5tupleIJNSA_6TensorESF_SF_EERKSF_lbbbEUlllE_EE10hipError_tT0_T1_T2_jT3_P12ihipStream_tbPNSt15iterator_traitsISL_E10value_typeEPNSR_ISM_E10value_typeEPSN_NS1_7vsmem_tEENKUlT_SL_SM_SN_E_clIS8_S8_S9_S9_EESK_S10_SL_SM_SN_EUlS10_E0_NS1_11comp_targetILNS1_3genE5ELNS1_11target_archE942ELNS1_3gpuE9ELNS1_3repE0EEENS1_38merge_mergepath_config_static_selectorELNS0_4arch9wavefront6targetE1EEEvSM_,comdat
.Lfunc_end646:
	.size	_ZN7rocprim17ROCPRIM_400000_NS6detail17trampoline_kernelINS0_14default_configENS1_38merge_sort_block_merge_config_selectorIlNS0_10empty_typeEEEZZNS1_27merge_sort_block_merge_implIS3_PlPS5_mZN2at6native12_GLOBAL__N_124unique_dim_cuda_templateIsEESt5tupleIJNSA_6TensorESF_SF_EERKSF_lbbbEUlllE_EE10hipError_tT0_T1_T2_jT3_P12ihipStream_tbPNSt15iterator_traitsISL_E10value_typeEPNSR_ISM_E10value_typeEPSN_NS1_7vsmem_tEENKUlT_SL_SM_SN_E_clIS8_S8_S9_S9_EESK_S10_SL_SM_SN_EUlS10_E0_NS1_11comp_targetILNS1_3genE5ELNS1_11target_archE942ELNS1_3gpuE9ELNS1_3repE0EEENS1_38merge_mergepath_config_static_selectorELNS0_4arch9wavefront6targetE1EEEvSM_, .Lfunc_end646-_ZN7rocprim17ROCPRIM_400000_NS6detail17trampoline_kernelINS0_14default_configENS1_38merge_sort_block_merge_config_selectorIlNS0_10empty_typeEEEZZNS1_27merge_sort_block_merge_implIS3_PlPS5_mZN2at6native12_GLOBAL__N_124unique_dim_cuda_templateIsEESt5tupleIJNSA_6TensorESF_SF_EERKSF_lbbbEUlllE_EE10hipError_tT0_T1_T2_jT3_P12ihipStream_tbPNSt15iterator_traitsISL_E10value_typeEPNSR_ISM_E10value_typeEPSN_NS1_7vsmem_tEENKUlT_SL_SM_SN_E_clIS8_S8_S9_S9_EESK_S10_SL_SM_SN_EUlS10_E0_NS1_11comp_targetILNS1_3genE5ELNS1_11target_archE942ELNS1_3gpuE9ELNS1_3repE0EEENS1_38merge_mergepath_config_static_selectorELNS0_4arch9wavefront6targetE1EEEvSM_
                                        ; -- End function
	.section	.AMDGPU.csdata,"",@progbits
; Kernel info:
; codeLenInByte = 0
; NumSgprs: 4
; NumVgprs: 0
; NumAgprs: 0
; TotalNumVgprs: 0
; ScratchSize: 0
; MemoryBound: 0
; FloatMode: 240
; IeeeMode: 1
; LDSByteSize: 0 bytes/workgroup (compile time only)
; SGPRBlocks: 0
; VGPRBlocks: 0
; NumSGPRsForWavesPerEU: 4
; NumVGPRsForWavesPerEU: 1
; AccumOffset: 4
; Occupancy: 8
; WaveLimiterHint : 0
; COMPUTE_PGM_RSRC2:SCRATCH_EN: 0
; COMPUTE_PGM_RSRC2:USER_SGPR: 6
; COMPUTE_PGM_RSRC2:TRAP_HANDLER: 0
; COMPUTE_PGM_RSRC2:TGID_X_EN: 1
; COMPUTE_PGM_RSRC2:TGID_Y_EN: 0
; COMPUTE_PGM_RSRC2:TGID_Z_EN: 0
; COMPUTE_PGM_RSRC2:TIDIG_COMP_CNT: 0
; COMPUTE_PGM_RSRC3_GFX90A:ACCUM_OFFSET: 0
; COMPUTE_PGM_RSRC3_GFX90A:TG_SPLIT: 0
	.section	.text._ZN7rocprim17ROCPRIM_400000_NS6detail17trampoline_kernelINS0_14default_configENS1_38merge_sort_block_merge_config_selectorIlNS0_10empty_typeEEEZZNS1_27merge_sort_block_merge_implIS3_PlPS5_mZN2at6native12_GLOBAL__N_124unique_dim_cuda_templateIsEESt5tupleIJNSA_6TensorESF_SF_EERKSF_lbbbEUlllE_EE10hipError_tT0_T1_T2_jT3_P12ihipStream_tbPNSt15iterator_traitsISL_E10value_typeEPNSR_ISM_E10value_typeEPSN_NS1_7vsmem_tEENKUlT_SL_SM_SN_E_clIS8_S8_S9_S9_EESK_S10_SL_SM_SN_EUlS10_E0_NS1_11comp_targetILNS1_3genE4ELNS1_11target_archE910ELNS1_3gpuE8ELNS1_3repE0EEENS1_38merge_mergepath_config_static_selectorELNS0_4arch9wavefront6targetE1EEEvSM_,"axG",@progbits,_ZN7rocprim17ROCPRIM_400000_NS6detail17trampoline_kernelINS0_14default_configENS1_38merge_sort_block_merge_config_selectorIlNS0_10empty_typeEEEZZNS1_27merge_sort_block_merge_implIS3_PlPS5_mZN2at6native12_GLOBAL__N_124unique_dim_cuda_templateIsEESt5tupleIJNSA_6TensorESF_SF_EERKSF_lbbbEUlllE_EE10hipError_tT0_T1_T2_jT3_P12ihipStream_tbPNSt15iterator_traitsISL_E10value_typeEPNSR_ISM_E10value_typeEPSN_NS1_7vsmem_tEENKUlT_SL_SM_SN_E_clIS8_S8_S9_S9_EESK_S10_SL_SM_SN_EUlS10_E0_NS1_11comp_targetILNS1_3genE4ELNS1_11target_archE910ELNS1_3gpuE8ELNS1_3repE0EEENS1_38merge_mergepath_config_static_selectorELNS0_4arch9wavefront6targetE1EEEvSM_,comdat
	.globl	_ZN7rocprim17ROCPRIM_400000_NS6detail17trampoline_kernelINS0_14default_configENS1_38merge_sort_block_merge_config_selectorIlNS0_10empty_typeEEEZZNS1_27merge_sort_block_merge_implIS3_PlPS5_mZN2at6native12_GLOBAL__N_124unique_dim_cuda_templateIsEESt5tupleIJNSA_6TensorESF_SF_EERKSF_lbbbEUlllE_EE10hipError_tT0_T1_T2_jT3_P12ihipStream_tbPNSt15iterator_traitsISL_E10value_typeEPNSR_ISM_E10value_typeEPSN_NS1_7vsmem_tEENKUlT_SL_SM_SN_E_clIS8_S8_S9_S9_EESK_S10_SL_SM_SN_EUlS10_E0_NS1_11comp_targetILNS1_3genE4ELNS1_11target_archE910ELNS1_3gpuE8ELNS1_3repE0EEENS1_38merge_mergepath_config_static_selectorELNS0_4arch9wavefront6targetE1EEEvSM_ ; -- Begin function _ZN7rocprim17ROCPRIM_400000_NS6detail17trampoline_kernelINS0_14default_configENS1_38merge_sort_block_merge_config_selectorIlNS0_10empty_typeEEEZZNS1_27merge_sort_block_merge_implIS3_PlPS5_mZN2at6native12_GLOBAL__N_124unique_dim_cuda_templateIsEESt5tupleIJNSA_6TensorESF_SF_EERKSF_lbbbEUlllE_EE10hipError_tT0_T1_T2_jT3_P12ihipStream_tbPNSt15iterator_traitsISL_E10value_typeEPNSR_ISM_E10value_typeEPSN_NS1_7vsmem_tEENKUlT_SL_SM_SN_E_clIS8_S8_S9_S9_EESK_S10_SL_SM_SN_EUlS10_E0_NS1_11comp_targetILNS1_3genE4ELNS1_11target_archE910ELNS1_3gpuE8ELNS1_3repE0EEENS1_38merge_mergepath_config_static_selectorELNS0_4arch9wavefront6targetE1EEEvSM_
	.p2align	8
	.type	_ZN7rocprim17ROCPRIM_400000_NS6detail17trampoline_kernelINS0_14default_configENS1_38merge_sort_block_merge_config_selectorIlNS0_10empty_typeEEEZZNS1_27merge_sort_block_merge_implIS3_PlPS5_mZN2at6native12_GLOBAL__N_124unique_dim_cuda_templateIsEESt5tupleIJNSA_6TensorESF_SF_EERKSF_lbbbEUlllE_EE10hipError_tT0_T1_T2_jT3_P12ihipStream_tbPNSt15iterator_traitsISL_E10value_typeEPNSR_ISM_E10value_typeEPSN_NS1_7vsmem_tEENKUlT_SL_SM_SN_E_clIS8_S8_S9_S9_EESK_S10_SL_SM_SN_EUlS10_E0_NS1_11comp_targetILNS1_3genE4ELNS1_11target_archE910ELNS1_3gpuE8ELNS1_3repE0EEENS1_38merge_mergepath_config_static_selectorELNS0_4arch9wavefront6targetE1EEEvSM_,@function
_ZN7rocprim17ROCPRIM_400000_NS6detail17trampoline_kernelINS0_14default_configENS1_38merge_sort_block_merge_config_selectorIlNS0_10empty_typeEEEZZNS1_27merge_sort_block_merge_implIS3_PlPS5_mZN2at6native12_GLOBAL__N_124unique_dim_cuda_templateIsEESt5tupleIJNSA_6TensorESF_SF_EERKSF_lbbbEUlllE_EE10hipError_tT0_T1_T2_jT3_P12ihipStream_tbPNSt15iterator_traitsISL_E10value_typeEPNSR_ISM_E10value_typeEPSN_NS1_7vsmem_tEENKUlT_SL_SM_SN_E_clIS8_S8_S9_S9_EESK_S10_SL_SM_SN_EUlS10_E0_NS1_11comp_targetILNS1_3genE4ELNS1_11target_archE910ELNS1_3gpuE8ELNS1_3repE0EEENS1_38merge_mergepath_config_static_selectorELNS0_4arch9wavefront6targetE1EEEvSM_: ; @_ZN7rocprim17ROCPRIM_400000_NS6detail17trampoline_kernelINS0_14default_configENS1_38merge_sort_block_merge_config_selectorIlNS0_10empty_typeEEEZZNS1_27merge_sort_block_merge_implIS3_PlPS5_mZN2at6native12_GLOBAL__N_124unique_dim_cuda_templateIsEESt5tupleIJNSA_6TensorESF_SF_EERKSF_lbbbEUlllE_EE10hipError_tT0_T1_T2_jT3_P12ihipStream_tbPNSt15iterator_traitsISL_E10value_typeEPNSR_ISM_E10value_typeEPSN_NS1_7vsmem_tEENKUlT_SL_SM_SN_E_clIS8_S8_S9_S9_EESK_S10_SL_SM_SN_EUlS10_E0_NS1_11comp_targetILNS1_3genE4ELNS1_11target_archE910ELNS1_3gpuE8ELNS1_3repE0EEENS1_38merge_mergepath_config_static_selectorELNS0_4arch9wavefront6targetE1EEEvSM_
; %bb.0:
	s_load_dwordx2 s[22:23], s[4:5], 0x58
	s_load_dword s0, s[4:5], 0x38
	s_add_u32 s16, s4, 0x58
	s_addc_u32 s17, s5, 0
	s_waitcnt lgkmcnt(0)
	s_mul_i32 s1, s23, s8
	s_add_i32 s1, s1, s7
	s_mul_i32 s1, s1, s22
	s_add_i32 s18, s1, s6
	s_cmp_ge_u32 s18, s0
	s_cbranch_scc1 .LBB647_82
; %bb.1:
	s_load_dwordx2 s[0:1], s[4:5], 0x50
	s_load_dwordx4 s[12:15], s[4:5], 0x8
	s_load_dwordx4 s[8:11], s[4:5], 0x28
	s_mov_b32 s19, 0
	s_lshl_b64 s[2:3], s[18:19], 3
	s_waitcnt lgkmcnt(0)
	s_add_u32 s0, s0, s2
	s_addc_u32 s1, s1, s3
	v_mov_b32_e32 v1, s10
	v_alignbit_b32 v1, s11, v1, 9
	v_readfirstlane_b32 s7, v1
	s_and_b32 s7, s7, -2
	s_sub_i32 s33, 0, s7
	s_and_b32 s26, s18, s33
	s_mov_b32 s27, s19
	s_lshl_b64 s[24:25], s[26:27], 10
	s_lshl_b64 s[20:21], s[18:19], 10
	s_sub_u32 s7, s20, s24
	s_load_dwordx4 s[0:3], s[0:1], 0x0
	s_subb_u32 s23, s21, s25
	s_lshl_b64 s[26:27], s[26:27], 11
	s_add_u32 s26, s26, s10
	s_addc_u32 s27, s27, s11
	s_add_u32 s7, s26, s7
	s_addc_u32 s23, s27, s23
	s_waitcnt lgkmcnt(0)
	s_sub_u32 s28, s7, s2
	s_subb_u32 s3, s23, s3
	s_add_u32 s28, s28, 0x400
	s_addc_u32 s29, s3, 0
	v_pk_mov_b32 v[2:3], s[28:29], s[28:29] op_sel:[0,1]
	v_cmp_lt_u64_e32 vcc, s[8:9], v[2:3]
	s_and_b64 s[30:31], vcc, exec
	s_cselect_b32 s3, s8, s28
	s_or_b32 s28, s18, s33
	s_cmp_lg_u32 s28, -1
	s_cbranch_scc1 .LBB647_3
; %bb.2:
	s_sub_u32 s24, s26, s24
	s_subb_u32 s25, s27, s25
	v_pk_mov_b32 v[2:3], s[24:25], s[24:25] op_sel:[0,1]
	v_cmp_lt_u64_e32 vcc, s[8:9], v[2:3]
	s_and_b64 s[2:3], vcc, exec
	s_cselect_b32 s2, s8, s24
	s_add_u32 s10, s24, s10
	s_addc_u32 s11, s25, s11
	v_pk_mov_b32 v[2:3], s[10:11], s[10:11] op_sel:[0,1]
	v_cmp_lt_u64_e32 vcc, s[8:9], v[2:3]
	s_and_b64 s[24:25], vcc, exec
	s_cselect_b32 s3, s8, s10
.LBB647_3:
	s_lshr_b64 s[26:27], s[8:9], 10
	s_cmp_lg_u64 s[26:27], s[18:19]
	s_cselect_b64 s[10:11], -1, 0
	s_sub_u32 s24, s7, s0
	s_subb_u32 s25, s23, s1
	v_pk_mov_b32 v[2:3], s[24:25], s[24:25] op_sel:[0,1]
	v_cmp_lt_u64_e32 vcc, s[8:9], v[2:3]
	s_and_b64 s[28:29], vcc, exec
	s_cselect_b32 s28, s8, s24
	s_cselect_b32 s29, s9, s25
	s_sub_i32 s9, s2, s0
	s_sub_i32 s7, s3, s28
	s_lshl_b64 s[0:1], s[0:1], 3
	s_add_u32 s23, s12, s0
	s_addc_u32 s24, s13, s1
	s_lshl_b64 s[0:1], s[28:29], 3
	s_add_u32 s12, s12, s0
	s_addc_u32 s13, s13, s1
	s_cmp_lt_u32 s6, s22
	v_mov_b32_e32 v9, 0
	s_cselect_b32 s0, 12, 18
	global_load_dword v1, v9, s[16:17] offset:14
	s_add_u32 s0, s16, s0
	s_addc_u32 s1, s17, 0
	global_load_ushort v2, v9, s[0:1]
	s_cmp_eq_u64 s[26:27], s[18:19]
	s_waitcnt vmcnt(1)
	v_lshrrev_b32_e32 v3, 16, v1
	v_and_b32_e32 v1, 0xffff, v1
	v_mul_lo_u32 v1, v1, v3
	s_waitcnt vmcnt(0)
	v_mul_lo_u32 v12, v1, v2
	v_lshlrev_b32_e32 v1, 3, v0
	s_cbranch_scc1 .LBB647_5
; %bb.4:
	v_mov_b32_e32 v2, s24
	v_add_co_u32_e32 v4, vcc, s23, v1
	v_subrev_u32_e32 v8, s9, v0
	v_addc_co_u32_e32 v5, vcc, 0, v2, vcc
	v_lshlrev_b64 v[2:3], 3, v[8:9]
	v_mov_b32_e32 v6, s13
	v_add_co_u32_e32 v2, vcc, s12, v2
	v_addc_co_u32_e32 v3, vcc, v6, v3, vcc
	v_cmp_gt_u32_e32 vcc, s9, v0
	v_add_u32_e32 v8, v12, v0
	v_cndmask_b32_e32 v3, v3, v5, vcc
	v_cndmask_b32_e32 v2, v2, v4, vcc
	v_lshlrev_b64 v[4:5], 3, v[8:9]
	v_mov_b32_e32 v6, s24
	v_add_co_u32_e32 v7, vcc, s23, v4
	v_addc_co_u32_e32 v6, vcc, v6, v5, vcc
	v_subrev_u32_e32 v4, s9, v8
	v_mov_b32_e32 v5, v9
	v_lshlrev_b64 v[4:5], 3, v[4:5]
	v_mov_b32_e32 v10, s13
	v_add_co_u32_e32 v4, vcc, s12, v4
	v_addc_co_u32_e32 v5, vcc, v10, v5, vcc
	v_cmp_gt_u32_e32 vcc, s9, v8
	v_add_u32_e32 v8, v8, v12
	v_cndmask_b32_e32 v5, v5, v6, vcc
	v_cndmask_b32_e32 v4, v4, v7, vcc
	v_lshlrev_b64 v[6:7], 3, v[8:9]
	v_mov_b32_e32 v10, s24
	v_add_co_u32_e32 v11, vcc, s23, v6
	v_addc_co_u32_e32 v10, vcc, v10, v7, vcc
	v_subrev_u32_e32 v6, s9, v8
	v_mov_b32_e32 v7, v9
	v_lshlrev_b64 v[6:7], 3, v[6:7]
	v_mov_b32_e32 v13, s13
	v_add_co_u32_e32 v6, vcc, s12, v6
	v_addc_co_u32_e32 v7, vcc, v13, v7, vcc
	v_cmp_gt_u32_e32 vcc, s9, v8
	v_add_u32_e32 v8, v8, v12
	v_cndmask_b32_e32 v7, v7, v10, vcc
	v_cndmask_b32_e32 v6, v6, v11, vcc
	v_lshlrev_b64 v[10:11], 3, v[8:9]
	v_mov_b32_e32 v13, s24
	v_add_co_u32_e32 v10, vcc, s23, v10
	v_addc_co_u32_e32 v11, vcc, v13, v11, vcc
	v_cmp_gt_u32_e32 vcc, s9, v8
	v_subrev_u32_e32 v8, s9, v8
	v_lshlrev_b64 v[8:9], 3, v[8:9]
	v_mov_b32_e32 v13, s13
	v_add_co_u32_e64 v8, s[0:1], s12, v8
	v_addc_co_u32_e64 v9, s[0:1], v13, v9, s[0:1]
	v_cndmask_b32_e32 v9, v9, v11, vcc
	v_cndmask_b32_e32 v8, v8, v10, vcc
	global_load_dwordx2 v[2:3], v[2:3], off
	s_add_i32 s33, s9, s7
	global_load_dwordx2 v[4:5], v[4:5], off
	s_nop 0
	global_load_dwordx2 v[6:7], v[6:7], off
	s_nop 0
	global_load_dwordx2 v[8:9], v[8:9], off
	s_cbranch_execz .LBB647_6
	s_branch .LBB647_15
.LBB647_5:
                                        ; implicit-def: $vgpr2_vgpr3_vgpr4_vgpr5_vgpr6_vgpr7_vgpr8_vgpr9
                                        ; implicit-def: $sgpr33
.LBB647_6:
	s_add_i32 s33, s9, s7
	v_cmp_gt_u32_e32 vcc, s33, v0
                                        ; implicit-def: $vgpr2_vgpr3_vgpr4_vgpr5_vgpr6_vgpr7_vgpr8_vgpr9
	s_and_saveexec_b64 s[0:1], vcc
	s_cbranch_execz .LBB647_8
; %bb.7:
	s_waitcnt vmcnt(3)
	v_mov_b32_e32 v2, s24
	s_waitcnt vmcnt(2)
	v_add_co_u32_e32 v4, vcc, s23, v1
	v_mov_b32_e32 v3, 0
	v_addc_co_u32_e32 v5, vcc, 0, v2, vcc
	v_subrev_u32_e32 v2, s9, v0
	v_lshlrev_b64 v[2:3], 3, v[2:3]
	s_waitcnt vmcnt(1)
	v_mov_b32_e32 v6, s13
	v_add_co_u32_e32 v2, vcc, s12, v2
	v_addc_co_u32_e32 v3, vcc, v6, v3, vcc
	v_cmp_gt_u32_e32 vcc, s9, v0
	v_cndmask_b32_e32 v3, v3, v5, vcc
	v_cndmask_b32_e32 v2, v2, v4, vcc
	global_load_dwordx2 v[2:3], v[2:3], off
.LBB647_8:
	s_or_b64 exec, exec, s[0:1]
	v_add_u32_e32 v10, v12, v0
	v_cmp_gt_u32_e32 vcc, s33, v10
	s_and_saveexec_b64 s[0:1], vcc
	s_cbranch_execz .LBB647_10
; %bb.9:
	v_mov_b32_e32 v11, 0
	s_waitcnt vmcnt(2)
	v_lshlrev_b64 v[4:5], 3, v[10:11]
	v_mov_b32_e32 v13, s24
	v_add_co_u32_e32 v14, vcc, s23, v4
	v_addc_co_u32_e32 v13, vcc, v13, v5, vcc
	v_subrev_u32_e32 v4, s9, v10
	v_mov_b32_e32 v5, v11
	v_lshlrev_b64 v[4:5], 3, v[4:5]
	v_mov_b32_e32 v11, s13
	v_add_co_u32_e32 v4, vcc, s12, v4
	v_addc_co_u32_e32 v5, vcc, v11, v5, vcc
	v_cmp_gt_u32_e32 vcc, s9, v10
	v_cndmask_b32_e32 v5, v5, v13, vcc
	v_cndmask_b32_e32 v4, v4, v14, vcc
	global_load_dwordx2 v[4:5], v[4:5], off
.LBB647_10:
	s_or_b64 exec, exec, s[0:1]
	v_add_u32_e32 v10, v10, v12
	v_cmp_gt_u32_e32 vcc, s33, v10
	s_and_saveexec_b64 s[0:1], vcc
	s_cbranch_execz .LBB647_12
; %bb.11:
	v_mov_b32_e32 v11, 0
	s_waitcnt vmcnt(1)
	v_lshlrev_b64 v[6:7], 3, v[10:11]
	v_mov_b32_e32 v13, s24
	v_add_co_u32_e32 v14, vcc, s23, v6
	v_addc_co_u32_e32 v13, vcc, v13, v7, vcc
	v_subrev_u32_e32 v6, s9, v10
	v_mov_b32_e32 v7, v11
	v_lshlrev_b64 v[6:7], 3, v[6:7]
	v_mov_b32_e32 v11, s13
	v_add_co_u32_e32 v6, vcc, s12, v6
	v_addc_co_u32_e32 v7, vcc, v11, v7, vcc
	v_cmp_gt_u32_e32 vcc, s9, v10
	v_cndmask_b32_e32 v7, v7, v13, vcc
	v_cndmask_b32_e32 v6, v6, v14, vcc
	global_load_dwordx2 v[6:7], v[6:7], off
.LBB647_12:
	s_or_b64 exec, exec, s[0:1]
	v_add_u32_e32 v10, v10, v12
	v_cmp_gt_u32_e32 vcc, s33, v10
	s_and_saveexec_b64 s[2:3], vcc
	s_cbranch_execz .LBB647_14
; %bb.13:
	v_mov_b32_e32 v11, 0
	s_waitcnt vmcnt(0)
	v_lshlrev_b64 v[8:9], 3, v[10:11]
	v_mov_b32_e32 v12, s24
	v_add_co_u32_e32 v13, vcc, s23, v8
	v_addc_co_u32_e32 v12, vcc, v12, v9, vcc
	v_cmp_gt_u32_e32 vcc, s9, v10
	v_subrev_u32_e32 v10, s9, v10
	v_lshlrev_b64 v[8:9], 3, v[10:11]
	v_mov_b32_e32 v10, s13
	v_add_co_u32_e64 v8, s[0:1], s12, v8
	v_addc_co_u32_e64 v9, s[0:1], v10, v9, s[0:1]
	v_cndmask_b32_e32 v9, v9, v12, vcc
	v_cndmask_b32_e32 v8, v8, v13, vcc
	global_load_dwordx2 v[8:9], v[8:9], off
.LBB647_14:
	s_or_b64 exec, exec, s[2:3]
.LBB647_15:
	s_load_dwordx4 s[16:19], s[4:5], 0x40
	v_lshlrev_b32_e32 v16, 2, v0
	v_min_u32_e32 v15, s33, v16
	v_sub_u32_e64 v14, v15, s7 clamp
	v_min_u32_e32 v17, s9, v15
	v_cmp_lt_u32_e32 vcc, v14, v17
	s_waitcnt vmcnt(0)
	ds_write2st64_b64 v1, v[2:3], v[4:5] offset1:4
	ds_write2st64_b64 v1, v[6:7], v[8:9] offset0:8 offset1:12
	s_waitcnt lgkmcnt(0)
	s_barrier
	s_and_saveexec_b64 s[6:7], vcc
	s_cbranch_execz .LBB647_25
; %bb.16:
	v_lshlrev_b32_e32 v10, 3, v15
	v_cmp_gt_i64_e64 s[0:1], s[16:17], 0
	v_lshl_add_u32 v18, s9, 3, v10
	v_cndmask_b32_e64 v10, 0, 1, s[0:1]
	s_mov_b64 s[12:13], 0
	s_lshl_b64 s[22:23], s[16:17], 1
	v_cmp_ne_u32_e64 s[0:1], 1, v10
	s_branch .LBB647_19
.LBB647_17:                             ;   in Loop: Header=BB647_19 Depth=1
	s_or_b64 exec, exec, s[26:27]
.LBB647_18:                             ;   in Loop: Header=BB647_19 Depth=1
	v_add_u32_e32 v10, 1, v19
	v_cndmask_b32_e64 v17, v17, v19, s[24:25]
	v_cndmask_b32_e64 v14, v10, v14, s[24:25]
	v_cmp_ge_u32_e32 vcc, v14, v17
	s_or_b64 s[12:13], vcc, s[12:13]
	s_andn2_b64 exec, exec, s[12:13]
	s_cbranch_execz .LBB647_24
.LBB647_19:                             ; =>This Loop Header: Depth=1
                                        ;     Child Loop BB647_22 Depth 2
	v_add_u32_e32 v10, v17, v14
	v_lshrrev_b32_e32 v19, 1, v10
	s_and_b64 vcc, exec, s[0:1]
	s_mov_b64 s[24:25], 0
	s_cbranch_vccnz .LBB647_18
; %bb.20:                               ;   in Loop: Header=BB647_19 Depth=1
	v_not_b32_e32 v10, v19
	v_lshl_add_u32 v10, v10, 3, v18
	ds_read_b64 v[10:11], v10
	v_lshlrev_b32_e32 v20, 3, v19
	ds_read_b64 v[20:21], v20
	v_pk_mov_b32 v[12:13], s[18:19], s[18:19] op_sel:[0,1]
	s_mov_b64 s[26:27], 0
	s_waitcnt lgkmcnt(1)
	v_mul_lo_u32 v22, s22, v11
	v_mul_lo_u32 v23, s23, v10
	v_mad_u64_u32 v[10:11], s[2:3], s22, v10, v[12:13]
	v_add3_u32 v11, v23, v11, v22
	s_waitcnt lgkmcnt(0)
	v_mul_lo_u32 v21, s22, v21
	v_mul_lo_u32 v22, s23, v20
	v_mad_u64_u32 v[12:13], s[2:3], s22, v20, v[12:13]
	v_add3_u32 v13, v22, v13, v21
	s_mov_b64 s[34:35], s[16:17]
                                        ; implicit-def: $sgpr24_sgpr25
                                        ; implicit-def: $sgpr28_sgpr29
                                        ; implicit-def: $sgpr30_sgpr31
                                        ; implicit-def: $sgpr2_sgpr3
                                        ; implicit-def: $sgpr36_sgpr37
	s_branch .LBB647_22
.LBB647_21:                             ;   in Loop: Header=BB647_22 Depth=2
	s_or_b64 exec, exec, s[38:39]
	s_and_b64 s[4:5], exec, s[28:29]
	s_or_b64 s[26:27], s[4:5], s[26:27]
	s_andn2_b64 s[4:5], s[36:37], exec
	s_and_b64 s[36:37], s[30:31], exec
	s_or_b64 s[36:37], s[4:5], s[36:37]
	s_andn2_b64 s[4:5], s[24:25], exec
	s_and_b64 s[24:25], s[2:3], exec
	s_or_b64 s[24:25], s[4:5], s[24:25]
	s_andn2_b64 exec, exec, s[26:27]
	s_cbranch_execz .LBB647_17
.LBB647_22:                             ;   Parent Loop BB647_19 Depth=1
                                        ; =>  This Inner Loop Header: Depth=2
	global_load_ushort v20, v[10:11], off
	global_load_ushort v21, v[12:13], off
	s_andn2_b64 s[38:39], s[2:3], exec
	s_andn2_b64 s[30:31], s[30:31], exec
	s_or_b64 s[28:29], s[28:29], exec
	s_waitcnt vmcnt(0)
	v_cmp_le_i16_e64 s[2:3], v20, v21
	v_cmp_lt_i16_e32 vcc, v20, v21
	s_and_b64 s[2:3], s[2:3], s[36:37]
	s_or_b64 s[40:41], vcc, s[2:3]
	s_and_b64 s[2:3], s[40:41], exec
	v_cmp_eq_u16_e64 s[4:5], v20, v21
	s_or_b64 s[2:3], s[38:39], s[2:3]
	s_and_saveexec_b64 s[38:39], s[4:5]
	s_cbranch_execz .LBB647_21
; %bb.23:                               ;   in Loop: Header=BB647_22 Depth=2
	s_add_u32 s34, s34, -1
	s_addc_u32 s35, s35, -1
	v_add_co_u32_e32 v10, vcc, 2, v10
	s_cmp_eq_u64 s[34:35], 0
	v_addc_co_u32_e32 v11, vcc, 0, v11, vcc
	s_cselect_b64 s[4:5], -1, 0
	v_add_co_u32_e32 v12, vcc, 2, v12
	s_andn2_b64 s[30:31], s[30:31], exec
	s_and_b64 s[36:37], s[40:41], exec
	s_andn2_b64 s[28:29], s[28:29], exec
	s_and_b64 s[4:5], s[4:5], exec
	v_addc_co_u32_e32 v13, vcc, 0, v13, vcc
	s_andn2_b64 s[2:3], s[2:3], exec
	s_or_b64 s[30:31], s[30:31], s[36:37]
	s_or_b64 s[28:29], s[28:29], s[4:5]
                                        ; implicit-def: $sgpr36_sgpr37
	s_branch .LBB647_21
.LBB647_24:
	s_or_b64 exec, exec, s[12:13]
.LBB647_25:
	s_or_b64 exec, exec, s[6:7]
	v_sub_u32_e32 v10, v15, v14
	v_add_u32_e32 v15, s9, v10
	v_cmp_ge_u32_e32 vcc, s9, v14
	v_cmp_ge_u32_e64 s[0:1], s33, v15
	s_or_b64 s[0:1], vcc, s[0:1]
	s_and_saveexec_b64 s[4:5], s[0:1]
	s_cbranch_execz .LBB647_72
; %bb.26:
	v_cmp_le_u32_e32 vcc, s9, v14
	v_cmp_gt_u32_e64 s[0:1], s9, v14
                                        ; implicit-def: $vgpr2_vgpr3
	s_and_saveexec_b64 s[2:3], s[0:1]
	s_cbranch_execz .LBB647_28
; %bb.27:
	v_lshlrev_b32_e32 v2, 3, v14
	ds_read_b64 v[2:3], v2
.LBB647_28:
	s_or_b64 exec, exec, s[2:3]
	v_cmp_le_u32_e64 s[12:13], s33, v15
	v_cmp_gt_u32_e64 s[0:1], s33, v15
                                        ; implicit-def: $vgpr6_vgpr7
	s_and_saveexec_b64 s[2:3], s[0:1]
	s_cbranch_execz .LBB647_30
; %bb.29:
	v_lshlrev_b32_e32 v4, 3, v15
	ds_read_b64 v[6:7], v4
.LBB647_30:
	s_or_b64 exec, exec, s[2:3]
	s_or_b64 s[0:1], vcc, s[12:13]
	v_cmp_gt_i64_e64 s[6:7], s[16:17], 0
	s_mov_b64 s[22:23], -1
	s_xor_b64 s[0:1], s[0:1], -1
	s_and_saveexec_b64 s[24:25], s[0:1]
	s_cbranch_execz .LBB647_39
; %bb.31:
	s_andn2_b64 vcc, exec, s[6:7]
	s_cbranch_vccnz .LBB647_37
; %bb.32:
	s_waitcnt lgkmcnt(0)
	v_mul_lo_u32 v8, v7, s16
	v_mul_lo_u32 v9, v6, s17
	v_mad_u64_u32 v[4:5], s[0:1], v6, s16, 0
	v_add3_u32 v5, v5, v9, v8
	v_lshlrev_b64 v[4:5], 1, v[4:5]
	v_mov_b32_e32 v8, s19
	v_add_co_u32_e32 v4, vcc, s18, v4
	v_addc_co_u32_e32 v5, vcc, v8, v5, vcc
	v_mul_lo_u32 v10, v3, s16
	v_mul_lo_u32 v11, v2, s17
	v_mad_u64_u32 v[8:9], s[0:1], v2, s16, 0
	v_add3_u32 v9, v9, v11, v10
	v_lshlrev_b64 v[8:9], 1, v[8:9]
	v_mov_b32_e32 v10, s19
	v_add_co_u32_e32 v8, vcc, s18, v8
	v_addc_co_u32_e32 v9, vcc, v10, v9, vcc
	s_mov_b64 s[26:27], 0
	s_mov_b64 s[36:37], s[16:17]
                                        ; implicit-def: $sgpr28_sgpr29
                                        ; implicit-def: $sgpr30_sgpr31
                                        ; implicit-def: $sgpr0_sgpr1
                                        ; implicit-def: $sgpr34_sgpr35
                                        ; implicit-def: $sgpr38_sgpr39
	s_branch .LBB647_34
.LBB647_33:                             ;   in Loop: Header=BB647_34 Depth=1
	s_or_b64 exec, exec, s[40:41]
	s_and_b64 s[2:3], exec, s[30:31]
	s_or_b64 s[26:27], s[2:3], s[26:27]
	s_andn2_b64 s[2:3], s[38:39], exec
	s_and_b64 s[38:39], s[34:35], exec
	s_or_b64 s[38:39], s[2:3], s[38:39]
	s_andn2_b64 s[2:3], s[28:29], exec
	s_and_b64 s[28:29], s[0:1], exec
	s_or_b64 s[28:29], s[2:3], s[28:29]
	s_andn2_b64 exec, exec, s[26:27]
	s_cbranch_execz .LBB647_36
.LBB647_34:                             ; =>This Inner Loop Header: Depth=1
	global_load_ushort v10, v[4:5], off
	global_load_ushort v11, v[8:9], off
	s_andn2_b64 s[40:41], s[0:1], exec
	s_andn2_b64 s[34:35], s[34:35], exec
	s_or_b64 s[30:31], s[30:31], exec
	s_waitcnt vmcnt(0)
	v_cmp_le_i16_e64 s[0:1], v10, v11
	v_cmp_lt_i16_e32 vcc, v10, v11
	s_and_b64 s[0:1], s[0:1], s[38:39]
	s_or_b64 s[42:43], vcc, s[0:1]
	s_and_b64 s[0:1], s[42:43], exec
	v_cmp_eq_u16_e64 s[2:3], v10, v11
	s_or_b64 s[0:1], s[40:41], s[0:1]
	s_and_saveexec_b64 s[40:41], s[2:3]
	s_cbranch_execz .LBB647_33
; %bb.35:                               ;   in Loop: Header=BB647_34 Depth=1
	s_add_u32 s36, s36, -1
	s_addc_u32 s37, s37, -1
	v_add_co_u32_e32 v4, vcc, 2, v4
	s_cmp_eq_u64 s[36:37], 0
	v_addc_co_u32_e32 v5, vcc, 0, v5, vcc
	s_cselect_b64 s[2:3], -1, 0
	v_add_co_u32_e32 v8, vcc, 2, v8
	s_andn2_b64 s[34:35], s[34:35], exec
	s_and_b64 s[38:39], s[42:43], exec
	s_andn2_b64 s[30:31], s[30:31], exec
	s_and_b64 s[2:3], s[2:3], exec
	v_addc_co_u32_e32 v9, vcc, 0, v9, vcc
	s_or_b64 s[34:35], s[34:35], s[38:39]
	s_andn2_b64 s[0:1], s[0:1], exec
	s_or_b64 s[30:31], s[30:31], s[2:3]
                                        ; implicit-def: $sgpr38_sgpr39
	s_branch .LBB647_33
.LBB647_36:
	s_or_b64 exec, exec, s[26:27]
	s_xor_b64 s[0:1], s[28:29], -1
	s_branch .LBB647_38
.LBB647_37:
	s_mov_b64 s[0:1], -1
.LBB647_38:
	s_andn2_b64 s[2:3], s[12:13], exec
	s_and_b64 s[0:1], s[0:1], exec
	s_or_b64 s[12:13], s[2:3], s[0:1]
.LBB647_39:
	s_or_b64 exec, exec, s[24:25]
	v_mov_b32_e32 v5, s33
	v_mov_b32_e32 v8, s9
	v_cndmask_b32_e64 v4, v15, v14, s[12:13]
	v_cndmask_b32_e64 v5, v5, v8, s[12:13]
	v_add_u32_e32 v8, 1, v4
	v_add_u32_e32 v4, -1, v5
	v_min_u32_e32 v4, v8, v4
	v_lshlrev_b32_e32 v4, 3, v4
	ds_read_b64 v[4:5], v4
	v_cndmask_b32_e64 v17, v8, v15, s[12:13]
	v_cndmask_b32_e64 v21, v14, v8, s[12:13]
	v_cmp_gt_u32_e32 vcc, s33, v17
	s_waitcnt lgkmcnt(0)
	v_cndmask_b32_e64 v10, v5, v7, s[12:13]
	v_cndmask_b32_e64 v11, v4, v6, s[12:13]
	;; [unrolled: 1-line block ×4, first 2 shown]
	s_and_saveexec_b64 s[24:25], vcc
	s_cbranch_execz .LBB647_50
; %bb.40:
	v_cmp_gt_u32_e32 vcc, s9, v21
	s_mov_b64 s[0:1], 0
	s_and_saveexec_b64 s[22:23], vcc
	s_cbranch_execz .LBB647_49
; %bb.41:
	s_andn2_b64 vcc, exec, s[6:7]
	s_cbranch_vccnz .LBB647_47
; %bb.42:
	v_mul_lo_u32 v8, v10, s16
	v_mul_lo_u32 v9, v11, s17
	v_mad_u64_u32 v[4:5], s[0:1], v11, s16, 0
	v_add3_u32 v5, v5, v9, v8
	v_lshlrev_b64 v[4:5], 1, v[4:5]
	v_mov_b32_e32 v8, s19
	v_add_co_u32_e32 v4, vcc, s18, v4
	v_addc_co_u32_e32 v5, vcc, v8, v5, vcc
	v_mul_lo_u32 v14, v12, s16
	v_mul_lo_u32 v15, v13, s17
	v_mad_u64_u32 v[8:9], s[0:1], v13, s16, 0
	v_add3_u32 v9, v9, v15, v14
	v_lshlrev_b64 v[8:9], 1, v[8:9]
	v_mov_b32_e32 v14, s19
	v_add_co_u32_e32 v8, vcc, s18, v8
	v_addc_co_u32_e32 v9, vcc, v14, v9, vcc
	s_mov_b64 s[26:27], 0
	s_mov_b64 s[36:37], s[16:17]
                                        ; implicit-def: $sgpr28_sgpr29
                                        ; implicit-def: $sgpr30_sgpr31
                                        ; implicit-def: $sgpr0_sgpr1
                                        ; implicit-def: $sgpr34_sgpr35
                                        ; implicit-def: $sgpr38_sgpr39
	s_branch .LBB647_44
.LBB647_43:                             ;   in Loop: Header=BB647_44 Depth=1
	s_or_b64 exec, exec, s[40:41]
	s_and_b64 s[2:3], exec, s[30:31]
	s_or_b64 s[26:27], s[2:3], s[26:27]
	s_andn2_b64 s[2:3], s[38:39], exec
	s_and_b64 s[38:39], s[34:35], exec
	s_or_b64 s[38:39], s[2:3], s[38:39]
	s_andn2_b64 s[2:3], s[28:29], exec
	s_and_b64 s[28:29], s[0:1], exec
	s_or_b64 s[28:29], s[2:3], s[28:29]
	s_andn2_b64 exec, exec, s[26:27]
	s_cbranch_execz .LBB647_46
.LBB647_44:                             ; =>This Inner Loop Header: Depth=1
	global_load_ushort v14, v[4:5], off
	global_load_ushort v15, v[8:9], off
	s_andn2_b64 s[40:41], s[0:1], exec
	s_andn2_b64 s[34:35], s[34:35], exec
	s_or_b64 s[30:31], s[30:31], exec
	s_waitcnt vmcnt(0)
	v_cmp_le_i16_e64 s[0:1], v14, v15
	v_cmp_lt_i16_e32 vcc, v14, v15
	s_and_b64 s[0:1], s[0:1], s[38:39]
	s_or_b64 s[42:43], vcc, s[0:1]
	s_and_b64 s[0:1], s[42:43], exec
	v_cmp_eq_u16_e64 s[2:3], v14, v15
	s_or_b64 s[0:1], s[40:41], s[0:1]
	s_and_saveexec_b64 s[40:41], s[2:3]
	s_cbranch_execz .LBB647_43
; %bb.45:                               ;   in Loop: Header=BB647_44 Depth=1
	s_add_u32 s36, s36, -1
	s_addc_u32 s37, s37, -1
	v_add_co_u32_e32 v4, vcc, 2, v4
	s_cmp_eq_u64 s[36:37], 0
	v_addc_co_u32_e32 v5, vcc, 0, v5, vcc
	s_cselect_b64 s[2:3], -1, 0
	v_add_co_u32_e32 v8, vcc, 2, v8
	s_andn2_b64 s[34:35], s[34:35], exec
	s_and_b64 s[38:39], s[42:43], exec
	s_andn2_b64 s[30:31], s[30:31], exec
	s_and_b64 s[2:3], s[2:3], exec
	v_addc_co_u32_e32 v9, vcc, 0, v9, vcc
	s_or_b64 s[34:35], s[34:35], s[38:39]
	s_andn2_b64 s[0:1], s[0:1], exec
	s_or_b64 s[30:31], s[30:31], s[2:3]
                                        ; implicit-def: $sgpr38_sgpr39
	s_branch .LBB647_43
.LBB647_46:
	s_or_b64 exec, exec, s[26:27]
	s_xor_b64 s[0:1], s[28:29], -1
	s_branch .LBB647_48
.LBB647_47:
	s_mov_b64 s[0:1], -1
.LBB647_48:
	s_and_b64 s[0:1], s[0:1], exec
.LBB647_49:
	s_or_b64 exec, exec, s[22:23]
	s_orn2_b64 s[22:23], s[0:1], exec
.LBB647_50:
	s_or_b64 exec, exec, s[24:25]
	v_mov_b32_e32 v5, s33
	v_mov_b32_e32 v8, s9
	v_cndmask_b32_e64 v4, v17, v21, s[22:23]
	v_cndmask_b32_e64 v5, v5, v8, s[22:23]
	v_add_u32_e32 v8, 1, v4
	v_add_u32_e32 v4, -1, v5
	v_min_u32_e32 v4, v8, v4
	v_lshlrev_b32_e32 v4, 3, v4
	ds_read_b64 v[4:5], v4
	v_cndmask_b32_e64 v18, v8, v17, s[22:23]
	v_cndmask_b32_e64 v17, v21, v8, s[22:23]
	v_cmp_gt_u32_e32 vcc, s33, v18
	s_mov_b64 s[0:1], -1
	s_waitcnt lgkmcnt(0)
	v_cndmask_b32_e64 v14, v5, v10, s[22:23]
	v_cndmask_b32_e64 v15, v4, v11, s[22:23]
	;; [unrolled: 1-line block ×4, first 2 shown]
	s_and_saveexec_b64 s[24:25], vcc
	s_cbranch_execz .LBB647_61
; %bb.51:
	v_cmp_gt_u32_e32 vcc, s9, v17
	s_mov_b64 s[0:1], 0
	s_and_saveexec_b64 s[26:27], vcc
	s_cbranch_execz .LBB647_60
; %bb.52:
	s_andn2_b64 vcc, exec, s[6:7]
	s_cbranch_vccnz .LBB647_58
; %bb.53:
	v_mul_lo_u32 v8, v14, s16
	v_mul_lo_u32 v9, v15, s17
	v_mad_u64_u32 v[4:5], s[0:1], v15, s16, 0
	v_add3_u32 v5, v5, v9, v8
	v_lshlrev_b64 v[4:5], 1, v[4:5]
	v_mov_b32_e32 v8, s19
	v_add_co_u32_e32 v4, vcc, s18, v4
	v_addc_co_u32_e32 v5, vcc, v8, v5, vcc
	v_mul_lo_u32 v21, v19, s16
	v_mul_lo_u32 v22, v20, s17
	v_mad_u64_u32 v[8:9], s[0:1], v20, s16, 0
	v_add3_u32 v9, v9, v22, v21
	v_lshlrev_b64 v[8:9], 1, v[8:9]
	v_mov_b32_e32 v21, s19
	v_add_co_u32_e32 v8, vcc, s18, v8
	v_addc_co_u32_e32 v9, vcc, v21, v9, vcc
	s_mov_b64 s[28:29], 0
	s_mov_b64 s[38:39], s[16:17]
                                        ; implicit-def: $sgpr30_sgpr31
                                        ; implicit-def: $sgpr34_sgpr35
                                        ; implicit-def: $sgpr0_sgpr1
                                        ; implicit-def: $sgpr36_sgpr37
                                        ; implicit-def: $sgpr40_sgpr41
	s_branch .LBB647_55
.LBB647_54:                             ;   in Loop: Header=BB647_55 Depth=1
	s_or_b64 exec, exec, s[42:43]
	s_and_b64 s[2:3], exec, s[34:35]
	s_or_b64 s[28:29], s[2:3], s[28:29]
	s_andn2_b64 s[2:3], s[40:41], exec
	s_and_b64 s[40:41], s[36:37], exec
	s_or_b64 s[40:41], s[2:3], s[40:41]
	s_andn2_b64 s[2:3], s[30:31], exec
	s_and_b64 s[30:31], s[0:1], exec
	s_or_b64 s[30:31], s[2:3], s[30:31]
	s_andn2_b64 exec, exec, s[28:29]
	s_cbranch_execz .LBB647_57
.LBB647_55:                             ; =>This Inner Loop Header: Depth=1
	global_load_ushort v21, v[4:5], off
	global_load_ushort v22, v[8:9], off
	s_andn2_b64 s[42:43], s[0:1], exec
	s_andn2_b64 s[36:37], s[36:37], exec
	s_or_b64 s[34:35], s[34:35], exec
	s_waitcnt vmcnt(0)
	v_cmp_le_i16_e64 s[0:1], v21, v22
	v_cmp_lt_i16_e32 vcc, v21, v22
	s_and_b64 s[0:1], s[0:1], s[40:41]
	s_or_b64 s[44:45], vcc, s[0:1]
	s_and_b64 s[0:1], s[44:45], exec
	v_cmp_eq_u16_e64 s[2:3], v21, v22
	s_or_b64 s[0:1], s[42:43], s[0:1]
	s_and_saveexec_b64 s[42:43], s[2:3]
	s_cbranch_execz .LBB647_54
; %bb.56:                               ;   in Loop: Header=BB647_55 Depth=1
	s_add_u32 s38, s38, -1
	s_addc_u32 s39, s39, -1
	v_add_co_u32_e32 v4, vcc, 2, v4
	s_cmp_eq_u64 s[38:39], 0
	v_addc_co_u32_e32 v5, vcc, 0, v5, vcc
	s_cselect_b64 s[2:3], -1, 0
	v_add_co_u32_e32 v8, vcc, 2, v8
	s_andn2_b64 s[36:37], s[36:37], exec
	s_and_b64 s[40:41], s[44:45], exec
	s_andn2_b64 s[34:35], s[34:35], exec
	s_and_b64 s[2:3], s[2:3], exec
	v_addc_co_u32_e32 v9, vcc, 0, v9, vcc
	s_or_b64 s[36:37], s[36:37], s[40:41]
	s_andn2_b64 s[0:1], s[0:1], exec
	s_or_b64 s[34:35], s[34:35], s[2:3]
                                        ; implicit-def: $sgpr40_sgpr41
	s_branch .LBB647_54
.LBB647_57:
	s_or_b64 exec, exec, s[28:29]
	s_xor_b64 s[0:1], s[30:31], -1
	s_branch .LBB647_59
.LBB647_58:
	s_mov_b64 s[0:1], -1
.LBB647_59:
	s_and_b64 s[0:1], s[0:1], exec
.LBB647_60:
	s_or_b64 exec, exec, s[26:27]
	s_orn2_b64 s[0:1], s[0:1], exec
.LBB647_61:
	s_or_b64 exec, exec, s[24:25]
	v_cndmask_b32_e64 v5, v10, v12, s[22:23]
	v_mov_b32_e32 v9, s33
	v_mov_b32_e32 v10, s9
	v_cndmask_b32_e64 v8, v18, v17, s[0:1]
	v_cndmask_b32_e64 v9, v9, v10, s[0:1]
	v_add_u32_e32 v12, 1, v8
	v_add_u32_e32 v8, -1, v9
	v_min_u32_e32 v8, v12, v8
	v_lshlrev_b32_e32 v8, 3, v8
	v_cndmask_b32_e64 v4, v11, v13, s[22:23]
	ds_read_b64 v[10:11], v8
	v_cndmask_b32_e64 v13, v12, v18, s[0:1]
	v_cndmask_b32_e64 v3, v7, v3, s[12:13]
	;; [unrolled: 1-line block ×5, first 2 shown]
	s_waitcnt lgkmcnt(0)
	v_cndmask_b32_e64 v9, v19, v11, s[0:1]
	v_cndmask_b32_e64 v8, v20, v10, s[0:1]
	v_cmp_gt_u32_e32 vcc, s33, v13
	s_and_saveexec_b64 s[12:13], vcc
	s_cbranch_execz .LBB647_71
; %bb.62:
	v_cndmask_b32_e64 v12, v17, v12, s[0:1]
	v_cndmask_b32_e64 v11, v11, v14, s[0:1]
	;; [unrolled: 1-line block ×3, first 2 shown]
	v_cmp_gt_u32_e32 vcc, s9, v12
	s_and_saveexec_b64 s[22:23], vcc
	s_cbranch_execz .LBB647_70
; %bb.63:
	s_andn2_b64 vcc, exec, s[6:7]
	s_cbranch_vccnz .LBB647_69
; %bb.64:
	v_mul_lo_u32 v14, v11, s16
	v_mul_lo_u32 v15, v10, s17
	v_mad_u64_u32 v[12:13], s[0:1], v10, s16, 0
	v_add3_u32 v13, v13, v15, v14
	v_lshlrev_b64 v[12:13], 1, v[12:13]
	v_mov_b32_e32 v14, s19
	v_add_co_u32_e32 v12, vcc, s18, v12
	v_addc_co_u32_e32 v13, vcc, v14, v13, vcc
	v_mul_lo_u32 v17, v9, s16
	v_mul_lo_u32 v18, v8, s17
	v_mad_u64_u32 v[14:15], s[0:1], v8, s16, 0
	v_add3_u32 v15, v15, v18, v17
	v_lshlrev_b64 v[14:15], 1, v[14:15]
	v_mov_b32_e32 v17, s19
	v_add_co_u32_e32 v14, vcc, s18, v14
	v_addc_co_u32_e32 v15, vcc, v17, v15, vcc
	s_mov_b64 s[6:7], 0
                                        ; implicit-def: $sgpr18_sgpr19
                                        ; implicit-def: $sgpr24_sgpr25
                                        ; implicit-def: $sgpr0_sgpr1
                                        ; implicit-def: $sgpr26_sgpr27
                                        ; implicit-def: $sgpr28_sgpr29
	s_branch .LBB647_66
.LBB647_65:                             ;   in Loop: Header=BB647_66 Depth=1
	s_or_b64 exec, exec, s[30:31]
	s_and_b64 s[2:3], exec, s[24:25]
	s_or_b64 s[6:7], s[2:3], s[6:7]
	s_andn2_b64 s[2:3], s[28:29], exec
	s_and_b64 s[28:29], s[26:27], exec
	s_or_b64 s[28:29], s[2:3], s[28:29]
	s_andn2_b64 s[2:3], s[18:19], exec
	s_and_b64 s[18:19], s[0:1], exec
	s_or_b64 s[18:19], s[2:3], s[18:19]
	s_andn2_b64 exec, exec, s[6:7]
	s_cbranch_execz .LBB647_68
.LBB647_66:                             ; =>This Inner Loop Header: Depth=1
	global_load_ushort v17, v[12:13], off
	global_load_ushort v18, v[14:15], off
	s_andn2_b64 s[30:31], s[0:1], exec
	s_andn2_b64 s[26:27], s[26:27], exec
	s_or_b64 s[24:25], s[24:25], exec
	s_waitcnt vmcnt(0)
	v_cmp_le_i16_e64 s[0:1], v17, v18
	v_cmp_lt_i16_e32 vcc, v17, v18
	s_and_b64 s[0:1], s[0:1], s[28:29]
	s_or_b64 s[34:35], vcc, s[0:1]
	s_and_b64 s[0:1], s[34:35], exec
	v_cmp_eq_u16_e64 s[2:3], v17, v18
	s_or_b64 s[0:1], s[30:31], s[0:1]
	s_and_saveexec_b64 s[30:31], s[2:3]
	s_cbranch_execz .LBB647_65
; %bb.67:                               ;   in Loop: Header=BB647_66 Depth=1
	s_add_u32 s16, s16, -1
	s_addc_u32 s17, s17, -1
	v_add_co_u32_e32 v12, vcc, 2, v12
	s_cmp_eq_u64 s[16:17], 0
	v_addc_co_u32_e32 v13, vcc, 0, v13, vcc
	s_cselect_b64 s[2:3], -1, 0
	v_add_co_u32_e32 v14, vcc, 2, v14
	s_andn2_b64 s[26:27], s[26:27], exec
	s_and_b64 s[28:29], s[34:35], exec
	s_andn2_b64 s[24:25], s[24:25], exec
	s_and_b64 s[2:3], s[2:3], exec
	v_addc_co_u32_e32 v15, vcc, 0, v15, vcc
	s_or_b64 s[26:27], s[26:27], s[28:29]
	s_andn2_b64 s[0:1], s[0:1], exec
	s_or_b64 s[24:25], s[24:25], s[2:3]
                                        ; implicit-def: $sgpr28_sgpr29
	s_branch .LBB647_65
.LBB647_68:
	s_or_b64 exec, exec, s[6:7]
	v_cndmask_b32_e64 v9, v9, v11, s[18:19]
	v_cndmask_b32_e64 v8, v8, v10, s[18:19]
.LBB647_69:
	v_pk_mov_b32 v[10:11], v[8:9], v[8:9] op_sel:[0,1]
.LBB647_70:
	s_or_b64 exec, exec, s[22:23]
	v_pk_mov_b32 v[8:9], v[10:11], v[10:11] op_sel:[0,1]
.LBB647_71:
	s_or_b64 exec, exec, s[12:13]
.LBB647_72:
	s_or_b64 exec, exec, s[4:5]
	v_and_b32_e32 v10, 0xf8, v0
	v_lshl_add_u32 v10, v16, 3, v10
	s_barrier
	s_barrier
	ds_write2_b64 v10, v[2:3], v[4:5] offset1:1
	ds_write2_b64 v10, v[6:7], v[8:9] offset0:2 offset1:3
	v_lshrrev_b32_e32 v2, 2, v0
	v_and_b32_e32 v2, 56, v2
	v_or_b32_e32 v12, 0x100, v0
	v_add_u32_e32 v13, v1, v2
	v_lshrrev_b32_e32 v2, 2, v12
	v_and_b32_e32 v2, 0x78, v2
	v_or_b32_e32 v11, 0x200, v0
	v_add_u32_e32 v6, v1, v2
	v_lshrrev_b32_e32 v2, 2, v11
	s_lshl_b64 s[0:1], s[20:21], 3
	v_and_b32_e32 v2, 0xb8, v2
	v_or_b32_e32 v10, 0x300, v0
	s_add_u32 s0, s14, s0
	v_add_u32_e32 v7, v1, v2
	v_lshrrev_b32_e32 v2, 2, v10
	s_addc_u32 s1, s15, s1
	v_and_b32_e32 v2, 0xf8, v2
	v_add_u32_e32 v14, v1, v2
	v_mov_b32_e32 v3, s1
	v_add_co_u32_e32 v2, vcc, s0, v1
	v_addc_co_u32_e32 v3, vcc, 0, v3, vcc
	s_and_b64 vcc, exec, s[10:11]
	s_waitcnt lgkmcnt(0)
	s_cbranch_vccz .LBB647_74
; %bb.73:
	s_barrier
	ds_read_b64 v[8:9], v13
	ds_read_b64 v[16:17], v6 offset:2048
	ds_read_b64 v[18:19], v7 offset:4096
	;; [unrolled: 1-line block ×3, first 2 shown]
	s_waitcnt lgkmcnt(3)
	global_store_dwordx2 v[2:3], v[8:9], off
	s_waitcnt lgkmcnt(2)
	global_store_dwordx2 v[2:3], v[16:17], off offset:2048
	v_add_co_u32_e32 v8, vcc, 0x1000, v2
	v_addc_co_u32_e32 v9, vcc, 0, v3, vcc
	s_waitcnt lgkmcnt(1)
	global_store_dwordx2 v[8:9], v[18:19], off
	s_mov_b64 s[0:1], -1
	s_cbranch_execz .LBB647_75
	s_branch .LBB647_80
.LBB647_74:
	s_mov_b64 s[0:1], 0
                                        ; implicit-def: $vgpr4_vgpr5
.LBB647_75:
	s_barrier
	s_waitcnt lgkmcnt(0)
	ds_read_b64 v[8:9], v6 offset:2048
	ds_read_b64 v[6:7], v7 offset:4096
	;; [unrolled: 1-line block ×3, first 2 shown]
	s_sub_i32 s2, s8, s20
	v_cmp_gt_u32_e32 vcc, s2, v0
	s_and_saveexec_b64 s[0:1], vcc
	s_cbranch_execnz .LBB647_83
; %bb.76:
	s_or_b64 exec, exec, s[0:1]
	v_cmp_gt_u32_e32 vcc, s2, v12
	s_and_saveexec_b64 s[0:1], vcc
	s_cbranch_execnz .LBB647_84
.LBB647_77:
	s_or_b64 exec, exec, s[0:1]
	v_cmp_gt_u32_e32 vcc, s2, v11
	s_and_saveexec_b64 s[0:1], vcc
	s_cbranch_execz .LBB647_79
.LBB647_78:
	v_add_co_u32_e32 v0, vcc, 0x1000, v2
	v_addc_co_u32_e32 v1, vcc, 0, v3, vcc
	s_waitcnt lgkmcnt(1)
	global_store_dwordx2 v[0:1], v[6:7], off
.LBB647_79:
	s_or_b64 exec, exec, s[0:1]
	v_cmp_gt_u32_e64 s[0:1], s2, v10
.LBB647_80:
	s_and_saveexec_b64 s[2:3], s[0:1]
	s_cbranch_execz .LBB647_82
; %bb.81:
	v_add_co_u32_e32 v0, vcc, 0x1000, v2
	v_addc_co_u32_e32 v1, vcc, 0, v3, vcc
	s_waitcnt lgkmcnt(0)
	global_store_dwordx2 v[0:1], v[4:5], off offset:2048
.LBB647_82:
	s_endpgm
.LBB647_83:
	ds_read_b64 v[0:1], v13
	s_waitcnt lgkmcnt(0)
	global_store_dwordx2 v[2:3], v[0:1], off
	s_or_b64 exec, exec, s[0:1]
	v_cmp_gt_u32_e32 vcc, s2, v12
	s_and_saveexec_b64 s[0:1], vcc
	s_cbranch_execz .LBB647_77
.LBB647_84:
	s_waitcnt lgkmcnt(2)
	global_store_dwordx2 v[2:3], v[8:9], off offset:2048
	s_or_b64 exec, exec, s[0:1]
	v_cmp_gt_u32_e32 vcc, s2, v11
	s_and_saveexec_b64 s[0:1], vcc
	s_cbranch_execnz .LBB647_78
	s_branch .LBB647_79
	.section	.rodata,"a",@progbits
	.p2align	6, 0x0
	.amdhsa_kernel _ZN7rocprim17ROCPRIM_400000_NS6detail17trampoline_kernelINS0_14default_configENS1_38merge_sort_block_merge_config_selectorIlNS0_10empty_typeEEEZZNS1_27merge_sort_block_merge_implIS3_PlPS5_mZN2at6native12_GLOBAL__N_124unique_dim_cuda_templateIsEESt5tupleIJNSA_6TensorESF_SF_EERKSF_lbbbEUlllE_EE10hipError_tT0_T1_T2_jT3_P12ihipStream_tbPNSt15iterator_traitsISL_E10value_typeEPNSR_ISM_E10value_typeEPSN_NS1_7vsmem_tEENKUlT_SL_SM_SN_E_clIS8_S8_S9_S9_EESK_S10_SL_SM_SN_EUlS10_E0_NS1_11comp_targetILNS1_3genE4ELNS1_11target_archE910ELNS1_3gpuE8ELNS1_3repE0EEENS1_38merge_mergepath_config_static_selectorELNS0_4arch9wavefront6targetE1EEEvSM_
		.amdhsa_group_segment_fixed_size 8448
		.amdhsa_private_segment_fixed_size 0
		.amdhsa_kernarg_size 344
		.amdhsa_user_sgpr_count 6
		.amdhsa_user_sgpr_private_segment_buffer 1
		.amdhsa_user_sgpr_dispatch_ptr 0
		.amdhsa_user_sgpr_queue_ptr 0
		.amdhsa_user_sgpr_kernarg_segment_ptr 1
		.amdhsa_user_sgpr_dispatch_id 0
		.amdhsa_user_sgpr_flat_scratch_init 0
		.amdhsa_user_sgpr_kernarg_preload_length 0
		.amdhsa_user_sgpr_kernarg_preload_offset 0
		.amdhsa_user_sgpr_private_segment_size 0
		.amdhsa_uses_dynamic_stack 0
		.amdhsa_system_sgpr_private_segment_wavefront_offset 0
		.amdhsa_system_sgpr_workgroup_id_x 1
		.amdhsa_system_sgpr_workgroup_id_y 1
		.amdhsa_system_sgpr_workgroup_id_z 1
		.amdhsa_system_sgpr_workgroup_info 0
		.amdhsa_system_vgpr_workitem_id 0
		.amdhsa_next_free_vgpr 24
		.amdhsa_next_free_sgpr 46
		.amdhsa_accum_offset 24
		.amdhsa_reserve_vcc 1
		.amdhsa_reserve_flat_scratch 0
		.amdhsa_float_round_mode_32 0
		.amdhsa_float_round_mode_16_64 0
		.amdhsa_float_denorm_mode_32 3
		.amdhsa_float_denorm_mode_16_64 3
		.amdhsa_dx10_clamp 1
		.amdhsa_ieee_mode 1
		.amdhsa_fp16_overflow 0
		.amdhsa_tg_split 0
		.amdhsa_exception_fp_ieee_invalid_op 0
		.amdhsa_exception_fp_denorm_src 0
		.amdhsa_exception_fp_ieee_div_zero 0
		.amdhsa_exception_fp_ieee_overflow 0
		.amdhsa_exception_fp_ieee_underflow 0
		.amdhsa_exception_fp_ieee_inexact 0
		.amdhsa_exception_int_div_zero 0
	.end_amdhsa_kernel
	.section	.text._ZN7rocprim17ROCPRIM_400000_NS6detail17trampoline_kernelINS0_14default_configENS1_38merge_sort_block_merge_config_selectorIlNS0_10empty_typeEEEZZNS1_27merge_sort_block_merge_implIS3_PlPS5_mZN2at6native12_GLOBAL__N_124unique_dim_cuda_templateIsEESt5tupleIJNSA_6TensorESF_SF_EERKSF_lbbbEUlllE_EE10hipError_tT0_T1_T2_jT3_P12ihipStream_tbPNSt15iterator_traitsISL_E10value_typeEPNSR_ISM_E10value_typeEPSN_NS1_7vsmem_tEENKUlT_SL_SM_SN_E_clIS8_S8_S9_S9_EESK_S10_SL_SM_SN_EUlS10_E0_NS1_11comp_targetILNS1_3genE4ELNS1_11target_archE910ELNS1_3gpuE8ELNS1_3repE0EEENS1_38merge_mergepath_config_static_selectorELNS0_4arch9wavefront6targetE1EEEvSM_,"axG",@progbits,_ZN7rocprim17ROCPRIM_400000_NS6detail17trampoline_kernelINS0_14default_configENS1_38merge_sort_block_merge_config_selectorIlNS0_10empty_typeEEEZZNS1_27merge_sort_block_merge_implIS3_PlPS5_mZN2at6native12_GLOBAL__N_124unique_dim_cuda_templateIsEESt5tupleIJNSA_6TensorESF_SF_EERKSF_lbbbEUlllE_EE10hipError_tT0_T1_T2_jT3_P12ihipStream_tbPNSt15iterator_traitsISL_E10value_typeEPNSR_ISM_E10value_typeEPSN_NS1_7vsmem_tEENKUlT_SL_SM_SN_E_clIS8_S8_S9_S9_EESK_S10_SL_SM_SN_EUlS10_E0_NS1_11comp_targetILNS1_3genE4ELNS1_11target_archE910ELNS1_3gpuE8ELNS1_3repE0EEENS1_38merge_mergepath_config_static_selectorELNS0_4arch9wavefront6targetE1EEEvSM_,comdat
.Lfunc_end647:
	.size	_ZN7rocprim17ROCPRIM_400000_NS6detail17trampoline_kernelINS0_14default_configENS1_38merge_sort_block_merge_config_selectorIlNS0_10empty_typeEEEZZNS1_27merge_sort_block_merge_implIS3_PlPS5_mZN2at6native12_GLOBAL__N_124unique_dim_cuda_templateIsEESt5tupleIJNSA_6TensorESF_SF_EERKSF_lbbbEUlllE_EE10hipError_tT0_T1_T2_jT3_P12ihipStream_tbPNSt15iterator_traitsISL_E10value_typeEPNSR_ISM_E10value_typeEPSN_NS1_7vsmem_tEENKUlT_SL_SM_SN_E_clIS8_S8_S9_S9_EESK_S10_SL_SM_SN_EUlS10_E0_NS1_11comp_targetILNS1_3genE4ELNS1_11target_archE910ELNS1_3gpuE8ELNS1_3repE0EEENS1_38merge_mergepath_config_static_selectorELNS0_4arch9wavefront6targetE1EEEvSM_, .Lfunc_end647-_ZN7rocprim17ROCPRIM_400000_NS6detail17trampoline_kernelINS0_14default_configENS1_38merge_sort_block_merge_config_selectorIlNS0_10empty_typeEEEZZNS1_27merge_sort_block_merge_implIS3_PlPS5_mZN2at6native12_GLOBAL__N_124unique_dim_cuda_templateIsEESt5tupleIJNSA_6TensorESF_SF_EERKSF_lbbbEUlllE_EE10hipError_tT0_T1_T2_jT3_P12ihipStream_tbPNSt15iterator_traitsISL_E10value_typeEPNSR_ISM_E10value_typeEPSN_NS1_7vsmem_tEENKUlT_SL_SM_SN_E_clIS8_S8_S9_S9_EESK_S10_SL_SM_SN_EUlS10_E0_NS1_11comp_targetILNS1_3genE4ELNS1_11target_archE910ELNS1_3gpuE8ELNS1_3repE0EEENS1_38merge_mergepath_config_static_selectorELNS0_4arch9wavefront6targetE1EEEvSM_
                                        ; -- End function
	.section	.AMDGPU.csdata,"",@progbits
; Kernel info:
; codeLenInByte = 4044
; NumSgprs: 50
; NumVgprs: 24
; NumAgprs: 0
; TotalNumVgprs: 24
; ScratchSize: 0
; MemoryBound: 0
; FloatMode: 240
; IeeeMode: 1
; LDSByteSize: 8448 bytes/workgroup (compile time only)
; SGPRBlocks: 6
; VGPRBlocks: 2
; NumSGPRsForWavesPerEU: 50
; NumVGPRsForWavesPerEU: 24
; AccumOffset: 24
; Occupancy: 7
; WaveLimiterHint : 1
; COMPUTE_PGM_RSRC2:SCRATCH_EN: 0
; COMPUTE_PGM_RSRC2:USER_SGPR: 6
; COMPUTE_PGM_RSRC2:TRAP_HANDLER: 0
; COMPUTE_PGM_RSRC2:TGID_X_EN: 1
; COMPUTE_PGM_RSRC2:TGID_Y_EN: 1
; COMPUTE_PGM_RSRC2:TGID_Z_EN: 1
; COMPUTE_PGM_RSRC2:TIDIG_COMP_CNT: 0
; COMPUTE_PGM_RSRC3_GFX90A:ACCUM_OFFSET: 5
; COMPUTE_PGM_RSRC3_GFX90A:TG_SPLIT: 0
	.section	.text._ZN7rocprim17ROCPRIM_400000_NS6detail17trampoline_kernelINS0_14default_configENS1_38merge_sort_block_merge_config_selectorIlNS0_10empty_typeEEEZZNS1_27merge_sort_block_merge_implIS3_PlPS5_mZN2at6native12_GLOBAL__N_124unique_dim_cuda_templateIsEESt5tupleIJNSA_6TensorESF_SF_EERKSF_lbbbEUlllE_EE10hipError_tT0_T1_T2_jT3_P12ihipStream_tbPNSt15iterator_traitsISL_E10value_typeEPNSR_ISM_E10value_typeEPSN_NS1_7vsmem_tEENKUlT_SL_SM_SN_E_clIS8_S8_S9_S9_EESK_S10_SL_SM_SN_EUlS10_E0_NS1_11comp_targetILNS1_3genE3ELNS1_11target_archE908ELNS1_3gpuE7ELNS1_3repE0EEENS1_38merge_mergepath_config_static_selectorELNS0_4arch9wavefront6targetE1EEEvSM_,"axG",@progbits,_ZN7rocprim17ROCPRIM_400000_NS6detail17trampoline_kernelINS0_14default_configENS1_38merge_sort_block_merge_config_selectorIlNS0_10empty_typeEEEZZNS1_27merge_sort_block_merge_implIS3_PlPS5_mZN2at6native12_GLOBAL__N_124unique_dim_cuda_templateIsEESt5tupleIJNSA_6TensorESF_SF_EERKSF_lbbbEUlllE_EE10hipError_tT0_T1_T2_jT3_P12ihipStream_tbPNSt15iterator_traitsISL_E10value_typeEPNSR_ISM_E10value_typeEPSN_NS1_7vsmem_tEENKUlT_SL_SM_SN_E_clIS8_S8_S9_S9_EESK_S10_SL_SM_SN_EUlS10_E0_NS1_11comp_targetILNS1_3genE3ELNS1_11target_archE908ELNS1_3gpuE7ELNS1_3repE0EEENS1_38merge_mergepath_config_static_selectorELNS0_4arch9wavefront6targetE1EEEvSM_,comdat
	.globl	_ZN7rocprim17ROCPRIM_400000_NS6detail17trampoline_kernelINS0_14default_configENS1_38merge_sort_block_merge_config_selectorIlNS0_10empty_typeEEEZZNS1_27merge_sort_block_merge_implIS3_PlPS5_mZN2at6native12_GLOBAL__N_124unique_dim_cuda_templateIsEESt5tupleIJNSA_6TensorESF_SF_EERKSF_lbbbEUlllE_EE10hipError_tT0_T1_T2_jT3_P12ihipStream_tbPNSt15iterator_traitsISL_E10value_typeEPNSR_ISM_E10value_typeEPSN_NS1_7vsmem_tEENKUlT_SL_SM_SN_E_clIS8_S8_S9_S9_EESK_S10_SL_SM_SN_EUlS10_E0_NS1_11comp_targetILNS1_3genE3ELNS1_11target_archE908ELNS1_3gpuE7ELNS1_3repE0EEENS1_38merge_mergepath_config_static_selectorELNS0_4arch9wavefront6targetE1EEEvSM_ ; -- Begin function _ZN7rocprim17ROCPRIM_400000_NS6detail17trampoline_kernelINS0_14default_configENS1_38merge_sort_block_merge_config_selectorIlNS0_10empty_typeEEEZZNS1_27merge_sort_block_merge_implIS3_PlPS5_mZN2at6native12_GLOBAL__N_124unique_dim_cuda_templateIsEESt5tupleIJNSA_6TensorESF_SF_EERKSF_lbbbEUlllE_EE10hipError_tT0_T1_T2_jT3_P12ihipStream_tbPNSt15iterator_traitsISL_E10value_typeEPNSR_ISM_E10value_typeEPSN_NS1_7vsmem_tEENKUlT_SL_SM_SN_E_clIS8_S8_S9_S9_EESK_S10_SL_SM_SN_EUlS10_E0_NS1_11comp_targetILNS1_3genE3ELNS1_11target_archE908ELNS1_3gpuE7ELNS1_3repE0EEENS1_38merge_mergepath_config_static_selectorELNS0_4arch9wavefront6targetE1EEEvSM_
	.p2align	8
	.type	_ZN7rocprim17ROCPRIM_400000_NS6detail17trampoline_kernelINS0_14default_configENS1_38merge_sort_block_merge_config_selectorIlNS0_10empty_typeEEEZZNS1_27merge_sort_block_merge_implIS3_PlPS5_mZN2at6native12_GLOBAL__N_124unique_dim_cuda_templateIsEESt5tupleIJNSA_6TensorESF_SF_EERKSF_lbbbEUlllE_EE10hipError_tT0_T1_T2_jT3_P12ihipStream_tbPNSt15iterator_traitsISL_E10value_typeEPNSR_ISM_E10value_typeEPSN_NS1_7vsmem_tEENKUlT_SL_SM_SN_E_clIS8_S8_S9_S9_EESK_S10_SL_SM_SN_EUlS10_E0_NS1_11comp_targetILNS1_3genE3ELNS1_11target_archE908ELNS1_3gpuE7ELNS1_3repE0EEENS1_38merge_mergepath_config_static_selectorELNS0_4arch9wavefront6targetE1EEEvSM_,@function
_ZN7rocprim17ROCPRIM_400000_NS6detail17trampoline_kernelINS0_14default_configENS1_38merge_sort_block_merge_config_selectorIlNS0_10empty_typeEEEZZNS1_27merge_sort_block_merge_implIS3_PlPS5_mZN2at6native12_GLOBAL__N_124unique_dim_cuda_templateIsEESt5tupleIJNSA_6TensorESF_SF_EERKSF_lbbbEUlllE_EE10hipError_tT0_T1_T2_jT3_P12ihipStream_tbPNSt15iterator_traitsISL_E10value_typeEPNSR_ISM_E10value_typeEPSN_NS1_7vsmem_tEENKUlT_SL_SM_SN_E_clIS8_S8_S9_S9_EESK_S10_SL_SM_SN_EUlS10_E0_NS1_11comp_targetILNS1_3genE3ELNS1_11target_archE908ELNS1_3gpuE7ELNS1_3repE0EEENS1_38merge_mergepath_config_static_selectorELNS0_4arch9wavefront6targetE1EEEvSM_: ; @_ZN7rocprim17ROCPRIM_400000_NS6detail17trampoline_kernelINS0_14default_configENS1_38merge_sort_block_merge_config_selectorIlNS0_10empty_typeEEEZZNS1_27merge_sort_block_merge_implIS3_PlPS5_mZN2at6native12_GLOBAL__N_124unique_dim_cuda_templateIsEESt5tupleIJNSA_6TensorESF_SF_EERKSF_lbbbEUlllE_EE10hipError_tT0_T1_T2_jT3_P12ihipStream_tbPNSt15iterator_traitsISL_E10value_typeEPNSR_ISM_E10value_typeEPSN_NS1_7vsmem_tEENKUlT_SL_SM_SN_E_clIS8_S8_S9_S9_EESK_S10_SL_SM_SN_EUlS10_E0_NS1_11comp_targetILNS1_3genE3ELNS1_11target_archE908ELNS1_3gpuE7ELNS1_3repE0EEENS1_38merge_mergepath_config_static_selectorELNS0_4arch9wavefront6targetE1EEEvSM_
; %bb.0:
	.section	.rodata,"a",@progbits
	.p2align	6, 0x0
	.amdhsa_kernel _ZN7rocprim17ROCPRIM_400000_NS6detail17trampoline_kernelINS0_14default_configENS1_38merge_sort_block_merge_config_selectorIlNS0_10empty_typeEEEZZNS1_27merge_sort_block_merge_implIS3_PlPS5_mZN2at6native12_GLOBAL__N_124unique_dim_cuda_templateIsEESt5tupleIJNSA_6TensorESF_SF_EERKSF_lbbbEUlllE_EE10hipError_tT0_T1_T2_jT3_P12ihipStream_tbPNSt15iterator_traitsISL_E10value_typeEPNSR_ISM_E10value_typeEPSN_NS1_7vsmem_tEENKUlT_SL_SM_SN_E_clIS8_S8_S9_S9_EESK_S10_SL_SM_SN_EUlS10_E0_NS1_11comp_targetILNS1_3genE3ELNS1_11target_archE908ELNS1_3gpuE7ELNS1_3repE0EEENS1_38merge_mergepath_config_static_selectorELNS0_4arch9wavefront6targetE1EEEvSM_
		.amdhsa_group_segment_fixed_size 0
		.amdhsa_private_segment_fixed_size 0
		.amdhsa_kernarg_size 88
		.amdhsa_user_sgpr_count 6
		.amdhsa_user_sgpr_private_segment_buffer 1
		.amdhsa_user_sgpr_dispatch_ptr 0
		.amdhsa_user_sgpr_queue_ptr 0
		.amdhsa_user_sgpr_kernarg_segment_ptr 1
		.amdhsa_user_sgpr_dispatch_id 0
		.amdhsa_user_sgpr_flat_scratch_init 0
		.amdhsa_user_sgpr_kernarg_preload_length 0
		.amdhsa_user_sgpr_kernarg_preload_offset 0
		.amdhsa_user_sgpr_private_segment_size 0
		.amdhsa_uses_dynamic_stack 0
		.amdhsa_system_sgpr_private_segment_wavefront_offset 0
		.amdhsa_system_sgpr_workgroup_id_x 1
		.amdhsa_system_sgpr_workgroup_id_y 0
		.amdhsa_system_sgpr_workgroup_id_z 0
		.amdhsa_system_sgpr_workgroup_info 0
		.amdhsa_system_vgpr_workitem_id 0
		.amdhsa_next_free_vgpr 1
		.amdhsa_next_free_sgpr 0
		.amdhsa_accum_offset 4
		.amdhsa_reserve_vcc 0
		.amdhsa_reserve_flat_scratch 0
		.amdhsa_float_round_mode_32 0
		.amdhsa_float_round_mode_16_64 0
		.amdhsa_float_denorm_mode_32 3
		.amdhsa_float_denorm_mode_16_64 3
		.amdhsa_dx10_clamp 1
		.amdhsa_ieee_mode 1
		.amdhsa_fp16_overflow 0
		.amdhsa_tg_split 0
		.amdhsa_exception_fp_ieee_invalid_op 0
		.amdhsa_exception_fp_denorm_src 0
		.amdhsa_exception_fp_ieee_div_zero 0
		.amdhsa_exception_fp_ieee_overflow 0
		.amdhsa_exception_fp_ieee_underflow 0
		.amdhsa_exception_fp_ieee_inexact 0
		.amdhsa_exception_int_div_zero 0
	.end_amdhsa_kernel
	.section	.text._ZN7rocprim17ROCPRIM_400000_NS6detail17trampoline_kernelINS0_14default_configENS1_38merge_sort_block_merge_config_selectorIlNS0_10empty_typeEEEZZNS1_27merge_sort_block_merge_implIS3_PlPS5_mZN2at6native12_GLOBAL__N_124unique_dim_cuda_templateIsEESt5tupleIJNSA_6TensorESF_SF_EERKSF_lbbbEUlllE_EE10hipError_tT0_T1_T2_jT3_P12ihipStream_tbPNSt15iterator_traitsISL_E10value_typeEPNSR_ISM_E10value_typeEPSN_NS1_7vsmem_tEENKUlT_SL_SM_SN_E_clIS8_S8_S9_S9_EESK_S10_SL_SM_SN_EUlS10_E0_NS1_11comp_targetILNS1_3genE3ELNS1_11target_archE908ELNS1_3gpuE7ELNS1_3repE0EEENS1_38merge_mergepath_config_static_selectorELNS0_4arch9wavefront6targetE1EEEvSM_,"axG",@progbits,_ZN7rocprim17ROCPRIM_400000_NS6detail17trampoline_kernelINS0_14default_configENS1_38merge_sort_block_merge_config_selectorIlNS0_10empty_typeEEEZZNS1_27merge_sort_block_merge_implIS3_PlPS5_mZN2at6native12_GLOBAL__N_124unique_dim_cuda_templateIsEESt5tupleIJNSA_6TensorESF_SF_EERKSF_lbbbEUlllE_EE10hipError_tT0_T1_T2_jT3_P12ihipStream_tbPNSt15iterator_traitsISL_E10value_typeEPNSR_ISM_E10value_typeEPSN_NS1_7vsmem_tEENKUlT_SL_SM_SN_E_clIS8_S8_S9_S9_EESK_S10_SL_SM_SN_EUlS10_E0_NS1_11comp_targetILNS1_3genE3ELNS1_11target_archE908ELNS1_3gpuE7ELNS1_3repE0EEENS1_38merge_mergepath_config_static_selectorELNS0_4arch9wavefront6targetE1EEEvSM_,comdat
.Lfunc_end648:
	.size	_ZN7rocprim17ROCPRIM_400000_NS6detail17trampoline_kernelINS0_14default_configENS1_38merge_sort_block_merge_config_selectorIlNS0_10empty_typeEEEZZNS1_27merge_sort_block_merge_implIS3_PlPS5_mZN2at6native12_GLOBAL__N_124unique_dim_cuda_templateIsEESt5tupleIJNSA_6TensorESF_SF_EERKSF_lbbbEUlllE_EE10hipError_tT0_T1_T2_jT3_P12ihipStream_tbPNSt15iterator_traitsISL_E10value_typeEPNSR_ISM_E10value_typeEPSN_NS1_7vsmem_tEENKUlT_SL_SM_SN_E_clIS8_S8_S9_S9_EESK_S10_SL_SM_SN_EUlS10_E0_NS1_11comp_targetILNS1_3genE3ELNS1_11target_archE908ELNS1_3gpuE7ELNS1_3repE0EEENS1_38merge_mergepath_config_static_selectorELNS0_4arch9wavefront6targetE1EEEvSM_, .Lfunc_end648-_ZN7rocprim17ROCPRIM_400000_NS6detail17trampoline_kernelINS0_14default_configENS1_38merge_sort_block_merge_config_selectorIlNS0_10empty_typeEEEZZNS1_27merge_sort_block_merge_implIS3_PlPS5_mZN2at6native12_GLOBAL__N_124unique_dim_cuda_templateIsEESt5tupleIJNSA_6TensorESF_SF_EERKSF_lbbbEUlllE_EE10hipError_tT0_T1_T2_jT3_P12ihipStream_tbPNSt15iterator_traitsISL_E10value_typeEPNSR_ISM_E10value_typeEPSN_NS1_7vsmem_tEENKUlT_SL_SM_SN_E_clIS8_S8_S9_S9_EESK_S10_SL_SM_SN_EUlS10_E0_NS1_11comp_targetILNS1_3genE3ELNS1_11target_archE908ELNS1_3gpuE7ELNS1_3repE0EEENS1_38merge_mergepath_config_static_selectorELNS0_4arch9wavefront6targetE1EEEvSM_
                                        ; -- End function
	.section	.AMDGPU.csdata,"",@progbits
; Kernel info:
; codeLenInByte = 0
; NumSgprs: 4
; NumVgprs: 0
; NumAgprs: 0
; TotalNumVgprs: 0
; ScratchSize: 0
; MemoryBound: 0
; FloatMode: 240
; IeeeMode: 1
; LDSByteSize: 0 bytes/workgroup (compile time only)
; SGPRBlocks: 0
; VGPRBlocks: 0
; NumSGPRsForWavesPerEU: 4
; NumVGPRsForWavesPerEU: 1
; AccumOffset: 4
; Occupancy: 8
; WaveLimiterHint : 0
; COMPUTE_PGM_RSRC2:SCRATCH_EN: 0
; COMPUTE_PGM_RSRC2:USER_SGPR: 6
; COMPUTE_PGM_RSRC2:TRAP_HANDLER: 0
; COMPUTE_PGM_RSRC2:TGID_X_EN: 1
; COMPUTE_PGM_RSRC2:TGID_Y_EN: 0
; COMPUTE_PGM_RSRC2:TGID_Z_EN: 0
; COMPUTE_PGM_RSRC2:TIDIG_COMP_CNT: 0
; COMPUTE_PGM_RSRC3_GFX90A:ACCUM_OFFSET: 0
; COMPUTE_PGM_RSRC3_GFX90A:TG_SPLIT: 0
	.section	.text._ZN7rocprim17ROCPRIM_400000_NS6detail17trampoline_kernelINS0_14default_configENS1_38merge_sort_block_merge_config_selectorIlNS0_10empty_typeEEEZZNS1_27merge_sort_block_merge_implIS3_PlPS5_mZN2at6native12_GLOBAL__N_124unique_dim_cuda_templateIsEESt5tupleIJNSA_6TensorESF_SF_EERKSF_lbbbEUlllE_EE10hipError_tT0_T1_T2_jT3_P12ihipStream_tbPNSt15iterator_traitsISL_E10value_typeEPNSR_ISM_E10value_typeEPSN_NS1_7vsmem_tEENKUlT_SL_SM_SN_E_clIS8_S8_S9_S9_EESK_S10_SL_SM_SN_EUlS10_E0_NS1_11comp_targetILNS1_3genE2ELNS1_11target_archE906ELNS1_3gpuE6ELNS1_3repE0EEENS1_38merge_mergepath_config_static_selectorELNS0_4arch9wavefront6targetE1EEEvSM_,"axG",@progbits,_ZN7rocprim17ROCPRIM_400000_NS6detail17trampoline_kernelINS0_14default_configENS1_38merge_sort_block_merge_config_selectorIlNS0_10empty_typeEEEZZNS1_27merge_sort_block_merge_implIS3_PlPS5_mZN2at6native12_GLOBAL__N_124unique_dim_cuda_templateIsEESt5tupleIJNSA_6TensorESF_SF_EERKSF_lbbbEUlllE_EE10hipError_tT0_T1_T2_jT3_P12ihipStream_tbPNSt15iterator_traitsISL_E10value_typeEPNSR_ISM_E10value_typeEPSN_NS1_7vsmem_tEENKUlT_SL_SM_SN_E_clIS8_S8_S9_S9_EESK_S10_SL_SM_SN_EUlS10_E0_NS1_11comp_targetILNS1_3genE2ELNS1_11target_archE906ELNS1_3gpuE6ELNS1_3repE0EEENS1_38merge_mergepath_config_static_selectorELNS0_4arch9wavefront6targetE1EEEvSM_,comdat
	.globl	_ZN7rocprim17ROCPRIM_400000_NS6detail17trampoline_kernelINS0_14default_configENS1_38merge_sort_block_merge_config_selectorIlNS0_10empty_typeEEEZZNS1_27merge_sort_block_merge_implIS3_PlPS5_mZN2at6native12_GLOBAL__N_124unique_dim_cuda_templateIsEESt5tupleIJNSA_6TensorESF_SF_EERKSF_lbbbEUlllE_EE10hipError_tT0_T1_T2_jT3_P12ihipStream_tbPNSt15iterator_traitsISL_E10value_typeEPNSR_ISM_E10value_typeEPSN_NS1_7vsmem_tEENKUlT_SL_SM_SN_E_clIS8_S8_S9_S9_EESK_S10_SL_SM_SN_EUlS10_E0_NS1_11comp_targetILNS1_3genE2ELNS1_11target_archE906ELNS1_3gpuE6ELNS1_3repE0EEENS1_38merge_mergepath_config_static_selectorELNS0_4arch9wavefront6targetE1EEEvSM_ ; -- Begin function _ZN7rocprim17ROCPRIM_400000_NS6detail17trampoline_kernelINS0_14default_configENS1_38merge_sort_block_merge_config_selectorIlNS0_10empty_typeEEEZZNS1_27merge_sort_block_merge_implIS3_PlPS5_mZN2at6native12_GLOBAL__N_124unique_dim_cuda_templateIsEESt5tupleIJNSA_6TensorESF_SF_EERKSF_lbbbEUlllE_EE10hipError_tT0_T1_T2_jT3_P12ihipStream_tbPNSt15iterator_traitsISL_E10value_typeEPNSR_ISM_E10value_typeEPSN_NS1_7vsmem_tEENKUlT_SL_SM_SN_E_clIS8_S8_S9_S9_EESK_S10_SL_SM_SN_EUlS10_E0_NS1_11comp_targetILNS1_3genE2ELNS1_11target_archE906ELNS1_3gpuE6ELNS1_3repE0EEENS1_38merge_mergepath_config_static_selectorELNS0_4arch9wavefront6targetE1EEEvSM_
	.p2align	8
	.type	_ZN7rocprim17ROCPRIM_400000_NS6detail17trampoline_kernelINS0_14default_configENS1_38merge_sort_block_merge_config_selectorIlNS0_10empty_typeEEEZZNS1_27merge_sort_block_merge_implIS3_PlPS5_mZN2at6native12_GLOBAL__N_124unique_dim_cuda_templateIsEESt5tupleIJNSA_6TensorESF_SF_EERKSF_lbbbEUlllE_EE10hipError_tT0_T1_T2_jT3_P12ihipStream_tbPNSt15iterator_traitsISL_E10value_typeEPNSR_ISM_E10value_typeEPSN_NS1_7vsmem_tEENKUlT_SL_SM_SN_E_clIS8_S8_S9_S9_EESK_S10_SL_SM_SN_EUlS10_E0_NS1_11comp_targetILNS1_3genE2ELNS1_11target_archE906ELNS1_3gpuE6ELNS1_3repE0EEENS1_38merge_mergepath_config_static_selectorELNS0_4arch9wavefront6targetE1EEEvSM_,@function
_ZN7rocprim17ROCPRIM_400000_NS6detail17trampoline_kernelINS0_14default_configENS1_38merge_sort_block_merge_config_selectorIlNS0_10empty_typeEEEZZNS1_27merge_sort_block_merge_implIS3_PlPS5_mZN2at6native12_GLOBAL__N_124unique_dim_cuda_templateIsEESt5tupleIJNSA_6TensorESF_SF_EERKSF_lbbbEUlllE_EE10hipError_tT0_T1_T2_jT3_P12ihipStream_tbPNSt15iterator_traitsISL_E10value_typeEPNSR_ISM_E10value_typeEPSN_NS1_7vsmem_tEENKUlT_SL_SM_SN_E_clIS8_S8_S9_S9_EESK_S10_SL_SM_SN_EUlS10_E0_NS1_11comp_targetILNS1_3genE2ELNS1_11target_archE906ELNS1_3gpuE6ELNS1_3repE0EEENS1_38merge_mergepath_config_static_selectorELNS0_4arch9wavefront6targetE1EEEvSM_: ; @_ZN7rocprim17ROCPRIM_400000_NS6detail17trampoline_kernelINS0_14default_configENS1_38merge_sort_block_merge_config_selectorIlNS0_10empty_typeEEEZZNS1_27merge_sort_block_merge_implIS3_PlPS5_mZN2at6native12_GLOBAL__N_124unique_dim_cuda_templateIsEESt5tupleIJNSA_6TensorESF_SF_EERKSF_lbbbEUlllE_EE10hipError_tT0_T1_T2_jT3_P12ihipStream_tbPNSt15iterator_traitsISL_E10value_typeEPNSR_ISM_E10value_typeEPSN_NS1_7vsmem_tEENKUlT_SL_SM_SN_E_clIS8_S8_S9_S9_EESK_S10_SL_SM_SN_EUlS10_E0_NS1_11comp_targetILNS1_3genE2ELNS1_11target_archE906ELNS1_3gpuE6ELNS1_3repE0EEENS1_38merge_mergepath_config_static_selectorELNS0_4arch9wavefront6targetE1EEEvSM_
; %bb.0:
	.section	.rodata,"a",@progbits
	.p2align	6, 0x0
	.amdhsa_kernel _ZN7rocprim17ROCPRIM_400000_NS6detail17trampoline_kernelINS0_14default_configENS1_38merge_sort_block_merge_config_selectorIlNS0_10empty_typeEEEZZNS1_27merge_sort_block_merge_implIS3_PlPS5_mZN2at6native12_GLOBAL__N_124unique_dim_cuda_templateIsEESt5tupleIJNSA_6TensorESF_SF_EERKSF_lbbbEUlllE_EE10hipError_tT0_T1_T2_jT3_P12ihipStream_tbPNSt15iterator_traitsISL_E10value_typeEPNSR_ISM_E10value_typeEPSN_NS1_7vsmem_tEENKUlT_SL_SM_SN_E_clIS8_S8_S9_S9_EESK_S10_SL_SM_SN_EUlS10_E0_NS1_11comp_targetILNS1_3genE2ELNS1_11target_archE906ELNS1_3gpuE6ELNS1_3repE0EEENS1_38merge_mergepath_config_static_selectorELNS0_4arch9wavefront6targetE1EEEvSM_
		.amdhsa_group_segment_fixed_size 0
		.amdhsa_private_segment_fixed_size 0
		.amdhsa_kernarg_size 88
		.amdhsa_user_sgpr_count 6
		.amdhsa_user_sgpr_private_segment_buffer 1
		.amdhsa_user_sgpr_dispatch_ptr 0
		.amdhsa_user_sgpr_queue_ptr 0
		.amdhsa_user_sgpr_kernarg_segment_ptr 1
		.amdhsa_user_sgpr_dispatch_id 0
		.amdhsa_user_sgpr_flat_scratch_init 0
		.amdhsa_user_sgpr_kernarg_preload_length 0
		.amdhsa_user_sgpr_kernarg_preload_offset 0
		.amdhsa_user_sgpr_private_segment_size 0
		.amdhsa_uses_dynamic_stack 0
		.amdhsa_system_sgpr_private_segment_wavefront_offset 0
		.amdhsa_system_sgpr_workgroup_id_x 1
		.amdhsa_system_sgpr_workgroup_id_y 0
		.amdhsa_system_sgpr_workgroup_id_z 0
		.amdhsa_system_sgpr_workgroup_info 0
		.amdhsa_system_vgpr_workitem_id 0
		.amdhsa_next_free_vgpr 1
		.amdhsa_next_free_sgpr 0
		.amdhsa_accum_offset 4
		.amdhsa_reserve_vcc 0
		.amdhsa_reserve_flat_scratch 0
		.amdhsa_float_round_mode_32 0
		.amdhsa_float_round_mode_16_64 0
		.amdhsa_float_denorm_mode_32 3
		.amdhsa_float_denorm_mode_16_64 3
		.amdhsa_dx10_clamp 1
		.amdhsa_ieee_mode 1
		.amdhsa_fp16_overflow 0
		.amdhsa_tg_split 0
		.amdhsa_exception_fp_ieee_invalid_op 0
		.amdhsa_exception_fp_denorm_src 0
		.amdhsa_exception_fp_ieee_div_zero 0
		.amdhsa_exception_fp_ieee_overflow 0
		.amdhsa_exception_fp_ieee_underflow 0
		.amdhsa_exception_fp_ieee_inexact 0
		.amdhsa_exception_int_div_zero 0
	.end_amdhsa_kernel
	.section	.text._ZN7rocprim17ROCPRIM_400000_NS6detail17trampoline_kernelINS0_14default_configENS1_38merge_sort_block_merge_config_selectorIlNS0_10empty_typeEEEZZNS1_27merge_sort_block_merge_implIS3_PlPS5_mZN2at6native12_GLOBAL__N_124unique_dim_cuda_templateIsEESt5tupleIJNSA_6TensorESF_SF_EERKSF_lbbbEUlllE_EE10hipError_tT0_T1_T2_jT3_P12ihipStream_tbPNSt15iterator_traitsISL_E10value_typeEPNSR_ISM_E10value_typeEPSN_NS1_7vsmem_tEENKUlT_SL_SM_SN_E_clIS8_S8_S9_S9_EESK_S10_SL_SM_SN_EUlS10_E0_NS1_11comp_targetILNS1_3genE2ELNS1_11target_archE906ELNS1_3gpuE6ELNS1_3repE0EEENS1_38merge_mergepath_config_static_selectorELNS0_4arch9wavefront6targetE1EEEvSM_,"axG",@progbits,_ZN7rocprim17ROCPRIM_400000_NS6detail17trampoline_kernelINS0_14default_configENS1_38merge_sort_block_merge_config_selectorIlNS0_10empty_typeEEEZZNS1_27merge_sort_block_merge_implIS3_PlPS5_mZN2at6native12_GLOBAL__N_124unique_dim_cuda_templateIsEESt5tupleIJNSA_6TensorESF_SF_EERKSF_lbbbEUlllE_EE10hipError_tT0_T1_T2_jT3_P12ihipStream_tbPNSt15iterator_traitsISL_E10value_typeEPNSR_ISM_E10value_typeEPSN_NS1_7vsmem_tEENKUlT_SL_SM_SN_E_clIS8_S8_S9_S9_EESK_S10_SL_SM_SN_EUlS10_E0_NS1_11comp_targetILNS1_3genE2ELNS1_11target_archE906ELNS1_3gpuE6ELNS1_3repE0EEENS1_38merge_mergepath_config_static_selectorELNS0_4arch9wavefront6targetE1EEEvSM_,comdat
.Lfunc_end649:
	.size	_ZN7rocprim17ROCPRIM_400000_NS6detail17trampoline_kernelINS0_14default_configENS1_38merge_sort_block_merge_config_selectorIlNS0_10empty_typeEEEZZNS1_27merge_sort_block_merge_implIS3_PlPS5_mZN2at6native12_GLOBAL__N_124unique_dim_cuda_templateIsEESt5tupleIJNSA_6TensorESF_SF_EERKSF_lbbbEUlllE_EE10hipError_tT0_T1_T2_jT3_P12ihipStream_tbPNSt15iterator_traitsISL_E10value_typeEPNSR_ISM_E10value_typeEPSN_NS1_7vsmem_tEENKUlT_SL_SM_SN_E_clIS8_S8_S9_S9_EESK_S10_SL_SM_SN_EUlS10_E0_NS1_11comp_targetILNS1_3genE2ELNS1_11target_archE906ELNS1_3gpuE6ELNS1_3repE0EEENS1_38merge_mergepath_config_static_selectorELNS0_4arch9wavefront6targetE1EEEvSM_, .Lfunc_end649-_ZN7rocprim17ROCPRIM_400000_NS6detail17trampoline_kernelINS0_14default_configENS1_38merge_sort_block_merge_config_selectorIlNS0_10empty_typeEEEZZNS1_27merge_sort_block_merge_implIS3_PlPS5_mZN2at6native12_GLOBAL__N_124unique_dim_cuda_templateIsEESt5tupleIJNSA_6TensorESF_SF_EERKSF_lbbbEUlllE_EE10hipError_tT0_T1_T2_jT3_P12ihipStream_tbPNSt15iterator_traitsISL_E10value_typeEPNSR_ISM_E10value_typeEPSN_NS1_7vsmem_tEENKUlT_SL_SM_SN_E_clIS8_S8_S9_S9_EESK_S10_SL_SM_SN_EUlS10_E0_NS1_11comp_targetILNS1_3genE2ELNS1_11target_archE906ELNS1_3gpuE6ELNS1_3repE0EEENS1_38merge_mergepath_config_static_selectorELNS0_4arch9wavefront6targetE1EEEvSM_
                                        ; -- End function
	.section	.AMDGPU.csdata,"",@progbits
; Kernel info:
; codeLenInByte = 0
; NumSgprs: 4
; NumVgprs: 0
; NumAgprs: 0
; TotalNumVgprs: 0
; ScratchSize: 0
; MemoryBound: 0
; FloatMode: 240
; IeeeMode: 1
; LDSByteSize: 0 bytes/workgroup (compile time only)
; SGPRBlocks: 0
; VGPRBlocks: 0
; NumSGPRsForWavesPerEU: 4
; NumVGPRsForWavesPerEU: 1
; AccumOffset: 4
; Occupancy: 8
; WaveLimiterHint : 0
; COMPUTE_PGM_RSRC2:SCRATCH_EN: 0
; COMPUTE_PGM_RSRC2:USER_SGPR: 6
; COMPUTE_PGM_RSRC2:TRAP_HANDLER: 0
; COMPUTE_PGM_RSRC2:TGID_X_EN: 1
; COMPUTE_PGM_RSRC2:TGID_Y_EN: 0
; COMPUTE_PGM_RSRC2:TGID_Z_EN: 0
; COMPUTE_PGM_RSRC2:TIDIG_COMP_CNT: 0
; COMPUTE_PGM_RSRC3_GFX90A:ACCUM_OFFSET: 0
; COMPUTE_PGM_RSRC3_GFX90A:TG_SPLIT: 0
	.section	.text._ZN7rocprim17ROCPRIM_400000_NS6detail17trampoline_kernelINS0_14default_configENS1_38merge_sort_block_merge_config_selectorIlNS0_10empty_typeEEEZZNS1_27merge_sort_block_merge_implIS3_PlPS5_mZN2at6native12_GLOBAL__N_124unique_dim_cuda_templateIsEESt5tupleIJNSA_6TensorESF_SF_EERKSF_lbbbEUlllE_EE10hipError_tT0_T1_T2_jT3_P12ihipStream_tbPNSt15iterator_traitsISL_E10value_typeEPNSR_ISM_E10value_typeEPSN_NS1_7vsmem_tEENKUlT_SL_SM_SN_E_clIS8_S8_S9_S9_EESK_S10_SL_SM_SN_EUlS10_E0_NS1_11comp_targetILNS1_3genE9ELNS1_11target_archE1100ELNS1_3gpuE3ELNS1_3repE0EEENS1_38merge_mergepath_config_static_selectorELNS0_4arch9wavefront6targetE1EEEvSM_,"axG",@progbits,_ZN7rocprim17ROCPRIM_400000_NS6detail17trampoline_kernelINS0_14default_configENS1_38merge_sort_block_merge_config_selectorIlNS0_10empty_typeEEEZZNS1_27merge_sort_block_merge_implIS3_PlPS5_mZN2at6native12_GLOBAL__N_124unique_dim_cuda_templateIsEESt5tupleIJNSA_6TensorESF_SF_EERKSF_lbbbEUlllE_EE10hipError_tT0_T1_T2_jT3_P12ihipStream_tbPNSt15iterator_traitsISL_E10value_typeEPNSR_ISM_E10value_typeEPSN_NS1_7vsmem_tEENKUlT_SL_SM_SN_E_clIS8_S8_S9_S9_EESK_S10_SL_SM_SN_EUlS10_E0_NS1_11comp_targetILNS1_3genE9ELNS1_11target_archE1100ELNS1_3gpuE3ELNS1_3repE0EEENS1_38merge_mergepath_config_static_selectorELNS0_4arch9wavefront6targetE1EEEvSM_,comdat
	.globl	_ZN7rocprim17ROCPRIM_400000_NS6detail17trampoline_kernelINS0_14default_configENS1_38merge_sort_block_merge_config_selectorIlNS0_10empty_typeEEEZZNS1_27merge_sort_block_merge_implIS3_PlPS5_mZN2at6native12_GLOBAL__N_124unique_dim_cuda_templateIsEESt5tupleIJNSA_6TensorESF_SF_EERKSF_lbbbEUlllE_EE10hipError_tT0_T1_T2_jT3_P12ihipStream_tbPNSt15iterator_traitsISL_E10value_typeEPNSR_ISM_E10value_typeEPSN_NS1_7vsmem_tEENKUlT_SL_SM_SN_E_clIS8_S8_S9_S9_EESK_S10_SL_SM_SN_EUlS10_E0_NS1_11comp_targetILNS1_3genE9ELNS1_11target_archE1100ELNS1_3gpuE3ELNS1_3repE0EEENS1_38merge_mergepath_config_static_selectorELNS0_4arch9wavefront6targetE1EEEvSM_ ; -- Begin function _ZN7rocprim17ROCPRIM_400000_NS6detail17trampoline_kernelINS0_14default_configENS1_38merge_sort_block_merge_config_selectorIlNS0_10empty_typeEEEZZNS1_27merge_sort_block_merge_implIS3_PlPS5_mZN2at6native12_GLOBAL__N_124unique_dim_cuda_templateIsEESt5tupleIJNSA_6TensorESF_SF_EERKSF_lbbbEUlllE_EE10hipError_tT0_T1_T2_jT3_P12ihipStream_tbPNSt15iterator_traitsISL_E10value_typeEPNSR_ISM_E10value_typeEPSN_NS1_7vsmem_tEENKUlT_SL_SM_SN_E_clIS8_S8_S9_S9_EESK_S10_SL_SM_SN_EUlS10_E0_NS1_11comp_targetILNS1_3genE9ELNS1_11target_archE1100ELNS1_3gpuE3ELNS1_3repE0EEENS1_38merge_mergepath_config_static_selectorELNS0_4arch9wavefront6targetE1EEEvSM_
	.p2align	8
	.type	_ZN7rocprim17ROCPRIM_400000_NS6detail17trampoline_kernelINS0_14default_configENS1_38merge_sort_block_merge_config_selectorIlNS0_10empty_typeEEEZZNS1_27merge_sort_block_merge_implIS3_PlPS5_mZN2at6native12_GLOBAL__N_124unique_dim_cuda_templateIsEESt5tupleIJNSA_6TensorESF_SF_EERKSF_lbbbEUlllE_EE10hipError_tT0_T1_T2_jT3_P12ihipStream_tbPNSt15iterator_traitsISL_E10value_typeEPNSR_ISM_E10value_typeEPSN_NS1_7vsmem_tEENKUlT_SL_SM_SN_E_clIS8_S8_S9_S9_EESK_S10_SL_SM_SN_EUlS10_E0_NS1_11comp_targetILNS1_3genE9ELNS1_11target_archE1100ELNS1_3gpuE3ELNS1_3repE0EEENS1_38merge_mergepath_config_static_selectorELNS0_4arch9wavefront6targetE1EEEvSM_,@function
_ZN7rocprim17ROCPRIM_400000_NS6detail17trampoline_kernelINS0_14default_configENS1_38merge_sort_block_merge_config_selectorIlNS0_10empty_typeEEEZZNS1_27merge_sort_block_merge_implIS3_PlPS5_mZN2at6native12_GLOBAL__N_124unique_dim_cuda_templateIsEESt5tupleIJNSA_6TensorESF_SF_EERKSF_lbbbEUlllE_EE10hipError_tT0_T1_T2_jT3_P12ihipStream_tbPNSt15iterator_traitsISL_E10value_typeEPNSR_ISM_E10value_typeEPSN_NS1_7vsmem_tEENKUlT_SL_SM_SN_E_clIS8_S8_S9_S9_EESK_S10_SL_SM_SN_EUlS10_E0_NS1_11comp_targetILNS1_3genE9ELNS1_11target_archE1100ELNS1_3gpuE3ELNS1_3repE0EEENS1_38merge_mergepath_config_static_selectorELNS0_4arch9wavefront6targetE1EEEvSM_: ; @_ZN7rocprim17ROCPRIM_400000_NS6detail17trampoline_kernelINS0_14default_configENS1_38merge_sort_block_merge_config_selectorIlNS0_10empty_typeEEEZZNS1_27merge_sort_block_merge_implIS3_PlPS5_mZN2at6native12_GLOBAL__N_124unique_dim_cuda_templateIsEESt5tupleIJNSA_6TensorESF_SF_EERKSF_lbbbEUlllE_EE10hipError_tT0_T1_T2_jT3_P12ihipStream_tbPNSt15iterator_traitsISL_E10value_typeEPNSR_ISM_E10value_typeEPSN_NS1_7vsmem_tEENKUlT_SL_SM_SN_E_clIS8_S8_S9_S9_EESK_S10_SL_SM_SN_EUlS10_E0_NS1_11comp_targetILNS1_3genE9ELNS1_11target_archE1100ELNS1_3gpuE3ELNS1_3repE0EEENS1_38merge_mergepath_config_static_selectorELNS0_4arch9wavefront6targetE1EEEvSM_
; %bb.0:
	.section	.rodata,"a",@progbits
	.p2align	6, 0x0
	.amdhsa_kernel _ZN7rocprim17ROCPRIM_400000_NS6detail17trampoline_kernelINS0_14default_configENS1_38merge_sort_block_merge_config_selectorIlNS0_10empty_typeEEEZZNS1_27merge_sort_block_merge_implIS3_PlPS5_mZN2at6native12_GLOBAL__N_124unique_dim_cuda_templateIsEESt5tupleIJNSA_6TensorESF_SF_EERKSF_lbbbEUlllE_EE10hipError_tT0_T1_T2_jT3_P12ihipStream_tbPNSt15iterator_traitsISL_E10value_typeEPNSR_ISM_E10value_typeEPSN_NS1_7vsmem_tEENKUlT_SL_SM_SN_E_clIS8_S8_S9_S9_EESK_S10_SL_SM_SN_EUlS10_E0_NS1_11comp_targetILNS1_3genE9ELNS1_11target_archE1100ELNS1_3gpuE3ELNS1_3repE0EEENS1_38merge_mergepath_config_static_selectorELNS0_4arch9wavefront6targetE1EEEvSM_
		.amdhsa_group_segment_fixed_size 0
		.amdhsa_private_segment_fixed_size 0
		.amdhsa_kernarg_size 88
		.amdhsa_user_sgpr_count 6
		.amdhsa_user_sgpr_private_segment_buffer 1
		.amdhsa_user_sgpr_dispatch_ptr 0
		.amdhsa_user_sgpr_queue_ptr 0
		.amdhsa_user_sgpr_kernarg_segment_ptr 1
		.amdhsa_user_sgpr_dispatch_id 0
		.amdhsa_user_sgpr_flat_scratch_init 0
		.amdhsa_user_sgpr_kernarg_preload_length 0
		.amdhsa_user_sgpr_kernarg_preload_offset 0
		.amdhsa_user_sgpr_private_segment_size 0
		.amdhsa_uses_dynamic_stack 0
		.amdhsa_system_sgpr_private_segment_wavefront_offset 0
		.amdhsa_system_sgpr_workgroup_id_x 1
		.amdhsa_system_sgpr_workgroup_id_y 0
		.amdhsa_system_sgpr_workgroup_id_z 0
		.amdhsa_system_sgpr_workgroup_info 0
		.amdhsa_system_vgpr_workitem_id 0
		.amdhsa_next_free_vgpr 1
		.amdhsa_next_free_sgpr 0
		.amdhsa_accum_offset 4
		.amdhsa_reserve_vcc 0
		.amdhsa_reserve_flat_scratch 0
		.amdhsa_float_round_mode_32 0
		.amdhsa_float_round_mode_16_64 0
		.amdhsa_float_denorm_mode_32 3
		.amdhsa_float_denorm_mode_16_64 3
		.amdhsa_dx10_clamp 1
		.amdhsa_ieee_mode 1
		.amdhsa_fp16_overflow 0
		.amdhsa_tg_split 0
		.amdhsa_exception_fp_ieee_invalid_op 0
		.amdhsa_exception_fp_denorm_src 0
		.amdhsa_exception_fp_ieee_div_zero 0
		.amdhsa_exception_fp_ieee_overflow 0
		.amdhsa_exception_fp_ieee_underflow 0
		.amdhsa_exception_fp_ieee_inexact 0
		.amdhsa_exception_int_div_zero 0
	.end_amdhsa_kernel
	.section	.text._ZN7rocprim17ROCPRIM_400000_NS6detail17trampoline_kernelINS0_14default_configENS1_38merge_sort_block_merge_config_selectorIlNS0_10empty_typeEEEZZNS1_27merge_sort_block_merge_implIS3_PlPS5_mZN2at6native12_GLOBAL__N_124unique_dim_cuda_templateIsEESt5tupleIJNSA_6TensorESF_SF_EERKSF_lbbbEUlllE_EE10hipError_tT0_T1_T2_jT3_P12ihipStream_tbPNSt15iterator_traitsISL_E10value_typeEPNSR_ISM_E10value_typeEPSN_NS1_7vsmem_tEENKUlT_SL_SM_SN_E_clIS8_S8_S9_S9_EESK_S10_SL_SM_SN_EUlS10_E0_NS1_11comp_targetILNS1_3genE9ELNS1_11target_archE1100ELNS1_3gpuE3ELNS1_3repE0EEENS1_38merge_mergepath_config_static_selectorELNS0_4arch9wavefront6targetE1EEEvSM_,"axG",@progbits,_ZN7rocprim17ROCPRIM_400000_NS6detail17trampoline_kernelINS0_14default_configENS1_38merge_sort_block_merge_config_selectorIlNS0_10empty_typeEEEZZNS1_27merge_sort_block_merge_implIS3_PlPS5_mZN2at6native12_GLOBAL__N_124unique_dim_cuda_templateIsEESt5tupleIJNSA_6TensorESF_SF_EERKSF_lbbbEUlllE_EE10hipError_tT0_T1_T2_jT3_P12ihipStream_tbPNSt15iterator_traitsISL_E10value_typeEPNSR_ISM_E10value_typeEPSN_NS1_7vsmem_tEENKUlT_SL_SM_SN_E_clIS8_S8_S9_S9_EESK_S10_SL_SM_SN_EUlS10_E0_NS1_11comp_targetILNS1_3genE9ELNS1_11target_archE1100ELNS1_3gpuE3ELNS1_3repE0EEENS1_38merge_mergepath_config_static_selectorELNS0_4arch9wavefront6targetE1EEEvSM_,comdat
.Lfunc_end650:
	.size	_ZN7rocprim17ROCPRIM_400000_NS6detail17trampoline_kernelINS0_14default_configENS1_38merge_sort_block_merge_config_selectorIlNS0_10empty_typeEEEZZNS1_27merge_sort_block_merge_implIS3_PlPS5_mZN2at6native12_GLOBAL__N_124unique_dim_cuda_templateIsEESt5tupleIJNSA_6TensorESF_SF_EERKSF_lbbbEUlllE_EE10hipError_tT0_T1_T2_jT3_P12ihipStream_tbPNSt15iterator_traitsISL_E10value_typeEPNSR_ISM_E10value_typeEPSN_NS1_7vsmem_tEENKUlT_SL_SM_SN_E_clIS8_S8_S9_S9_EESK_S10_SL_SM_SN_EUlS10_E0_NS1_11comp_targetILNS1_3genE9ELNS1_11target_archE1100ELNS1_3gpuE3ELNS1_3repE0EEENS1_38merge_mergepath_config_static_selectorELNS0_4arch9wavefront6targetE1EEEvSM_, .Lfunc_end650-_ZN7rocprim17ROCPRIM_400000_NS6detail17trampoline_kernelINS0_14default_configENS1_38merge_sort_block_merge_config_selectorIlNS0_10empty_typeEEEZZNS1_27merge_sort_block_merge_implIS3_PlPS5_mZN2at6native12_GLOBAL__N_124unique_dim_cuda_templateIsEESt5tupleIJNSA_6TensorESF_SF_EERKSF_lbbbEUlllE_EE10hipError_tT0_T1_T2_jT3_P12ihipStream_tbPNSt15iterator_traitsISL_E10value_typeEPNSR_ISM_E10value_typeEPSN_NS1_7vsmem_tEENKUlT_SL_SM_SN_E_clIS8_S8_S9_S9_EESK_S10_SL_SM_SN_EUlS10_E0_NS1_11comp_targetILNS1_3genE9ELNS1_11target_archE1100ELNS1_3gpuE3ELNS1_3repE0EEENS1_38merge_mergepath_config_static_selectorELNS0_4arch9wavefront6targetE1EEEvSM_
                                        ; -- End function
	.section	.AMDGPU.csdata,"",@progbits
; Kernel info:
; codeLenInByte = 0
; NumSgprs: 4
; NumVgprs: 0
; NumAgprs: 0
; TotalNumVgprs: 0
; ScratchSize: 0
; MemoryBound: 0
; FloatMode: 240
; IeeeMode: 1
; LDSByteSize: 0 bytes/workgroup (compile time only)
; SGPRBlocks: 0
; VGPRBlocks: 0
; NumSGPRsForWavesPerEU: 4
; NumVGPRsForWavesPerEU: 1
; AccumOffset: 4
; Occupancy: 8
; WaveLimiterHint : 0
; COMPUTE_PGM_RSRC2:SCRATCH_EN: 0
; COMPUTE_PGM_RSRC2:USER_SGPR: 6
; COMPUTE_PGM_RSRC2:TRAP_HANDLER: 0
; COMPUTE_PGM_RSRC2:TGID_X_EN: 1
; COMPUTE_PGM_RSRC2:TGID_Y_EN: 0
; COMPUTE_PGM_RSRC2:TGID_Z_EN: 0
; COMPUTE_PGM_RSRC2:TIDIG_COMP_CNT: 0
; COMPUTE_PGM_RSRC3_GFX90A:ACCUM_OFFSET: 0
; COMPUTE_PGM_RSRC3_GFX90A:TG_SPLIT: 0
	.section	.text._ZN7rocprim17ROCPRIM_400000_NS6detail17trampoline_kernelINS0_14default_configENS1_38merge_sort_block_merge_config_selectorIlNS0_10empty_typeEEEZZNS1_27merge_sort_block_merge_implIS3_PlPS5_mZN2at6native12_GLOBAL__N_124unique_dim_cuda_templateIsEESt5tupleIJNSA_6TensorESF_SF_EERKSF_lbbbEUlllE_EE10hipError_tT0_T1_T2_jT3_P12ihipStream_tbPNSt15iterator_traitsISL_E10value_typeEPNSR_ISM_E10value_typeEPSN_NS1_7vsmem_tEENKUlT_SL_SM_SN_E_clIS8_S8_S9_S9_EESK_S10_SL_SM_SN_EUlS10_E0_NS1_11comp_targetILNS1_3genE8ELNS1_11target_archE1030ELNS1_3gpuE2ELNS1_3repE0EEENS1_38merge_mergepath_config_static_selectorELNS0_4arch9wavefront6targetE1EEEvSM_,"axG",@progbits,_ZN7rocprim17ROCPRIM_400000_NS6detail17trampoline_kernelINS0_14default_configENS1_38merge_sort_block_merge_config_selectorIlNS0_10empty_typeEEEZZNS1_27merge_sort_block_merge_implIS3_PlPS5_mZN2at6native12_GLOBAL__N_124unique_dim_cuda_templateIsEESt5tupleIJNSA_6TensorESF_SF_EERKSF_lbbbEUlllE_EE10hipError_tT0_T1_T2_jT3_P12ihipStream_tbPNSt15iterator_traitsISL_E10value_typeEPNSR_ISM_E10value_typeEPSN_NS1_7vsmem_tEENKUlT_SL_SM_SN_E_clIS8_S8_S9_S9_EESK_S10_SL_SM_SN_EUlS10_E0_NS1_11comp_targetILNS1_3genE8ELNS1_11target_archE1030ELNS1_3gpuE2ELNS1_3repE0EEENS1_38merge_mergepath_config_static_selectorELNS0_4arch9wavefront6targetE1EEEvSM_,comdat
	.globl	_ZN7rocprim17ROCPRIM_400000_NS6detail17trampoline_kernelINS0_14default_configENS1_38merge_sort_block_merge_config_selectorIlNS0_10empty_typeEEEZZNS1_27merge_sort_block_merge_implIS3_PlPS5_mZN2at6native12_GLOBAL__N_124unique_dim_cuda_templateIsEESt5tupleIJNSA_6TensorESF_SF_EERKSF_lbbbEUlllE_EE10hipError_tT0_T1_T2_jT3_P12ihipStream_tbPNSt15iterator_traitsISL_E10value_typeEPNSR_ISM_E10value_typeEPSN_NS1_7vsmem_tEENKUlT_SL_SM_SN_E_clIS8_S8_S9_S9_EESK_S10_SL_SM_SN_EUlS10_E0_NS1_11comp_targetILNS1_3genE8ELNS1_11target_archE1030ELNS1_3gpuE2ELNS1_3repE0EEENS1_38merge_mergepath_config_static_selectorELNS0_4arch9wavefront6targetE1EEEvSM_ ; -- Begin function _ZN7rocprim17ROCPRIM_400000_NS6detail17trampoline_kernelINS0_14default_configENS1_38merge_sort_block_merge_config_selectorIlNS0_10empty_typeEEEZZNS1_27merge_sort_block_merge_implIS3_PlPS5_mZN2at6native12_GLOBAL__N_124unique_dim_cuda_templateIsEESt5tupleIJNSA_6TensorESF_SF_EERKSF_lbbbEUlllE_EE10hipError_tT0_T1_T2_jT3_P12ihipStream_tbPNSt15iterator_traitsISL_E10value_typeEPNSR_ISM_E10value_typeEPSN_NS1_7vsmem_tEENKUlT_SL_SM_SN_E_clIS8_S8_S9_S9_EESK_S10_SL_SM_SN_EUlS10_E0_NS1_11comp_targetILNS1_3genE8ELNS1_11target_archE1030ELNS1_3gpuE2ELNS1_3repE0EEENS1_38merge_mergepath_config_static_selectorELNS0_4arch9wavefront6targetE1EEEvSM_
	.p2align	8
	.type	_ZN7rocprim17ROCPRIM_400000_NS6detail17trampoline_kernelINS0_14default_configENS1_38merge_sort_block_merge_config_selectorIlNS0_10empty_typeEEEZZNS1_27merge_sort_block_merge_implIS3_PlPS5_mZN2at6native12_GLOBAL__N_124unique_dim_cuda_templateIsEESt5tupleIJNSA_6TensorESF_SF_EERKSF_lbbbEUlllE_EE10hipError_tT0_T1_T2_jT3_P12ihipStream_tbPNSt15iterator_traitsISL_E10value_typeEPNSR_ISM_E10value_typeEPSN_NS1_7vsmem_tEENKUlT_SL_SM_SN_E_clIS8_S8_S9_S9_EESK_S10_SL_SM_SN_EUlS10_E0_NS1_11comp_targetILNS1_3genE8ELNS1_11target_archE1030ELNS1_3gpuE2ELNS1_3repE0EEENS1_38merge_mergepath_config_static_selectorELNS0_4arch9wavefront6targetE1EEEvSM_,@function
_ZN7rocprim17ROCPRIM_400000_NS6detail17trampoline_kernelINS0_14default_configENS1_38merge_sort_block_merge_config_selectorIlNS0_10empty_typeEEEZZNS1_27merge_sort_block_merge_implIS3_PlPS5_mZN2at6native12_GLOBAL__N_124unique_dim_cuda_templateIsEESt5tupleIJNSA_6TensorESF_SF_EERKSF_lbbbEUlllE_EE10hipError_tT0_T1_T2_jT3_P12ihipStream_tbPNSt15iterator_traitsISL_E10value_typeEPNSR_ISM_E10value_typeEPSN_NS1_7vsmem_tEENKUlT_SL_SM_SN_E_clIS8_S8_S9_S9_EESK_S10_SL_SM_SN_EUlS10_E0_NS1_11comp_targetILNS1_3genE8ELNS1_11target_archE1030ELNS1_3gpuE2ELNS1_3repE0EEENS1_38merge_mergepath_config_static_selectorELNS0_4arch9wavefront6targetE1EEEvSM_: ; @_ZN7rocprim17ROCPRIM_400000_NS6detail17trampoline_kernelINS0_14default_configENS1_38merge_sort_block_merge_config_selectorIlNS0_10empty_typeEEEZZNS1_27merge_sort_block_merge_implIS3_PlPS5_mZN2at6native12_GLOBAL__N_124unique_dim_cuda_templateIsEESt5tupleIJNSA_6TensorESF_SF_EERKSF_lbbbEUlllE_EE10hipError_tT0_T1_T2_jT3_P12ihipStream_tbPNSt15iterator_traitsISL_E10value_typeEPNSR_ISM_E10value_typeEPSN_NS1_7vsmem_tEENKUlT_SL_SM_SN_E_clIS8_S8_S9_S9_EESK_S10_SL_SM_SN_EUlS10_E0_NS1_11comp_targetILNS1_3genE8ELNS1_11target_archE1030ELNS1_3gpuE2ELNS1_3repE0EEENS1_38merge_mergepath_config_static_selectorELNS0_4arch9wavefront6targetE1EEEvSM_
; %bb.0:
	.section	.rodata,"a",@progbits
	.p2align	6, 0x0
	.amdhsa_kernel _ZN7rocprim17ROCPRIM_400000_NS6detail17trampoline_kernelINS0_14default_configENS1_38merge_sort_block_merge_config_selectorIlNS0_10empty_typeEEEZZNS1_27merge_sort_block_merge_implIS3_PlPS5_mZN2at6native12_GLOBAL__N_124unique_dim_cuda_templateIsEESt5tupleIJNSA_6TensorESF_SF_EERKSF_lbbbEUlllE_EE10hipError_tT0_T1_T2_jT3_P12ihipStream_tbPNSt15iterator_traitsISL_E10value_typeEPNSR_ISM_E10value_typeEPSN_NS1_7vsmem_tEENKUlT_SL_SM_SN_E_clIS8_S8_S9_S9_EESK_S10_SL_SM_SN_EUlS10_E0_NS1_11comp_targetILNS1_3genE8ELNS1_11target_archE1030ELNS1_3gpuE2ELNS1_3repE0EEENS1_38merge_mergepath_config_static_selectorELNS0_4arch9wavefront6targetE1EEEvSM_
		.amdhsa_group_segment_fixed_size 0
		.amdhsa_private_segment_fixed_size 0
		.amdhsa_kernarg_size 88
		.amdhsa_user_sgpr_count 6
		.amdhsa_user_sgpr_private_segment_buffer 1
		.amdhsa_user_sgpr_dispatch_ptr 0
		.amdhsa_user_sgpr_queue_ptr 0
		.amdhsa_user_sgpr_kernarg_segment_ptr 1
		.amdhsa_user_sgpr_dispatch_id 0
		.amdhsa_user_sgpr_flat_scratch_init 0
		.amdhsa_user_sgpr_kernarg_preload_length 0
		.amdhsa_user_sgpr_kernarg_preload_offset 0
		.amdhsa_user_sgpr_private_segment_size 0
		.amdhsa_uses_dynamic_stack 0
		.amdhsa_system_sgpr_private_segment_wavefront_offset 0
		.amdhsa_system_sgpr_workgroup_id_x 1
		.amdhsa_system_sgpr_workgroup_id_y 0
		.amdhsa_system_sgpr_workgroup_id_z 0
		.amdhsa_system_sgpr_workgroup_info 0
		.amdhsa_system_vgpr_workitem_id 0
		.amdhsa_next_free_vgpr 1
		.amdhsa_next_free_sgpr 0
		.amdhsa_accum_offset 4
		.amdhsa_reserve_vcc 0
		.amdhsa_reserve_flat_scratch 0
		.amdhsa_float_round_mode_32 0
		.amdhsa_float_round_mode_16_64 0
		.amdhsa_float_denorm_mode_32 3
		.amdhsa_float_denorm_mode_16_64 3
		.amdhsa_dx10_clamp 1
		.amdhsa_ieee_mode 1
		.amdhsa_fp16_overflow 0
		.amdhsa_tg_split 0
		.amdhsa_exception_fp_ieee_invalid_op 0
		.amdhsa_exception_fp_denorm_src 0
		.amdhsa_exception_fp_ieee_div_zero 0
		.amdhsa_exception_fp_ieee_overflow 0
		.amdhsa_exception_fp_ieee_underflow 0
		.amdhsa_exception_fp_ieee_inexact 0
		.amdhsa_exception_int_div_zero 0
	.end_amdhsa_kernel
	.section	.text._ZN7rocprim17ROCPRIM_400000_NS6detail17trampoline_kernelINS0_14default_configENS1_38merge_sort_block_merge_config_selectorIlNS0_10empty_typeEEEZZNS1_27merge_sort_block_merge_implIS3_PlPS5_mZN2at6native12_GLOBAL__N_124unique_dim_cuda_templateIsEESt5tupleIJNSA_6TensorESF_SF_EERKSF_lbbbEUlllE_EE10hipError_tT0_T1_T2_jT3_P12ihipStream_tbPNSt15iterator_traitsISL_E10value_typeEPNSR_ISM_E10value_typeEPSN_NS1_7vsmem_tEENKUlT_SL_SM_SN_E_clIS8_S8_S9_S9_EESK_S10_SL_SM_SN_EUlS10_E0_NS1_11comp_targetILNS1_3genE8ELNS1_11target_archE1030ELNS1_3gpuE2ELNS1_3repE0EEENS1_38merge_mergepath_config_static_selectorELNS0_4arch9wavefront6targetE1EEEvSM_,"axG",@progbits,_ZN7rocprim17ROCPRIM_400000_NS6detail17trampoline_kernelINS0_14default_configENS1_38merge_sort_block_merge_config_selectorIlNS0_10empty_typeEEEZZNS1_27merge_sort_block_merge_implIS3_PlPS5_mZN2at6native12_GLOBAL__N_124unique_dim_cuda_templateIsEESt5tupleIJNSA_6TensorESF_SF_EERKSF_lbbbEUlllE_EE10hipError_tT0_T1_T2_jT3_P12ihipStream_tbPNSt15iterator_traitsISL_E10value_typeEPNSR_ISM_E10value_typeEPSN_NS1_7vsmem_tEENKUlT_SL_SM_SN_E_clIS8_S8_S9_S9_EESK_S10_SL_SM_SN_EUlS10_E0_NS1_11comp_targetILNS1_3genE8ELNS1_11target_archE1030ELNS1_3gpuE2ELNS1_3repE0EEENS1_38merge_mergepath_config_static_selectorELNS0_4arch9wavefront6targetE1EEEvSM_,comdat
.Lfunc_end651:
	.size	_ZN7rocprim17ROCPRIM_400000_NS6detail17trampoline_kernelINS0_14default_configENS1_38merge_sort_block_merge_config_selectorIlNS0_10empty_typeEEEZZNS1_27merge_sort_block_merge_implIS3_PlPS5_mZN2at6native12_GLOBAL__N_124unique_dim_cuda_templateIsEESt5tupleIJNSA_6TensorESF_SF_EERKSF_lbbbEUlllE_EE10hipError_tT0_T1_T2_jT3_P12ihipStream_tbPNSt15iterator_traitsISL_E10value_typeEPNSR_ISM_E10value_typeEPSN_NS1_7vsmem_tEENKUlT_SL_SM_SN_E_clIS8_S8_S9_S9_EESK_S10_SL_SM_SN_EUlS10_E0_NS1_11comp_targetILNS1_3genE8ELNS1_11target_archE1030ELNS1_3gpuE2ELNS1_3repE0EEENS1_38merge_mergepath_config_static_selectorELNS0_4arch9wavefront6targetE1EEEvSM_, .Lfunc_end651-_ZN7rocprim17ROCPRIM_400000_NS6detail17trampoline_kernelINS0_14default_configENS1_38merge_sort_block_merge_config_selectorIlNS0_10empty_typeEEEZZNS1_27merge_sort_block_merge_implIS3_PlPS5_mZN2at6native12_GLOBAL__N_124unique_dim_cuda_templateIsEESt5tupleIJNSA_6TensorESF_SF_EERKSF_lbbbEUlllE_EE10hipError_tT0_T1_T2_jT3_P12ihipStream_tbPNSt15iterator_traitsISL_E10value_typeEPNSR_ISM_E10value_typeEPSN_NS1_7vsmem_tEENKUlT_SL_SM_SN_E_clIS8_S8_S9_S9_EESK_S10_SL_SM_SN_EUlS10_E0_NS1_11comp_targetILNS1_3genE8ELNS1_11target_archE1030ELNS1_3gpuE2ELNS1_3repE0EEENS1_38merge_mergepath_config_static_selectorELNS0_4arch9wavefront6targetE1EEEvSM_
                                        ; -- End function
	.section	.AMDGPU.csdata,"",@progbits
; Kernel info:
; codeLenInByte = 0
; NumSgprs: 4
; NumVgprs: 0
; NumAgprs: 0
; TotalNumVgprs: 0
; ScratchSize: 0
; MemoryBound: 0
; FloatMode: 240
; IeeeMode: 1
; LDSByteSize: 0 bytes/workgroup (compile time only)
; SGPRBlocks: 0
; VGPRBlocks: 0
; NumSGPRsForWavesPerEU: 4
; NumVGPRsForWavesPerEU: 1
; AccumOffset: 4
; Occupancy: 8
; WaveLimiterHint : 0
; COMPUTE_PGM_RSRC2:SCRATCH_EN: 0
; COMPUTE_PGM_RSRC2:USER_SGPR: 6
; COMPUTE_PGM_RSRC2:TRAP_HANDLER: 0
; COMPUTE_PGM_RSRC2:TGID_X_EN: 1
; COMPUTE_PGM_RSRC2:TGID_Y_EN: 0
; COMPUTE_PGM_RSRC2:TGID_Z_EN: 0
; COMPUTE_PGM_RSRC2:TIDIG_COMP_CNT: 0
; COMPUTE_PGM_RSRC3_GFX90A:ACCUM_OFFSET: 0
; COMPUTE_PGM_RSRC3_GFX90A:TG_SPLIT: 0
	.section	.text._ZN7rocprim17ROCPRIM_400000_NS6detail17trampoline_kernelINS0_14default_configENS1_38merge_sort_block_merge_config_selectorIlNS0_10empty_typeEEEZZNS1_27merge_sort_block_merge_implIS3_PlPS5_mZN2at6native12_GLOBAL__N_124unique_dim_cuda_templateIsEESt5tupleIJNSA_6TensorESF_SF_EERKSF_lbbbEUlllE_EE10hipError_tT0_T1_T2_jT3_P12ihipStream_tbPNSt15iterator_traitsISL_E10value_typeEPNSR_ISM_E10value_typeEPSN_NS1_7vsmem_tEENKUlT_SL_SM_SN_E_clIS8_S8_S9_S9_EESK_S10_SL_SM_SN_EUlS10_E1_NS1_11comp_targetILNS1_3genE0ELNS1_11target_archE4294967295ELNS1_3gpuE0ELNS1_3repE0EEENS1_36merge_oddeven_config_static_selectorELNS0_4arch9wavefront6targetE1EEEvSM_,"axG",@progbits,_ZN7rocprim17ROCPRIM_400000_NS6detail17trampoline_kernelINS0_14default_configENS1_38merge_sort_block_merge_config_selectorIlNS0_10empty_typeEEEZZNS1_27merge_sort_block_merge_implIS3_PlPS5_mZN2at6native12_GLOBAL__N_124unique_dim_cuda_templateIsEESt5tupleIJNSA_6TensorESF_SF_EERKSF_lbbbEUlllE_EE10hipError_tT0_T1_T2_jT3_P12ihipStream_tbPNSt15iterator_traitsISL_E10value_typeEPNSR_ISM_E10value_typeEPSN_NS1_7vsmem_tEENKUlT_SL_SM_SN_E_clIS8_S8_S9_S9_EESK_S10_SL_SM_SN_EUlS10_E1_NS1_11comp_targetILNS1_3genE0ELNS1_11target_archE4294967295ELNS1_3gpuE0ELNS1_3repE0EEENS1_36merge_oddeven_config_static_selectorELNS0_4arch9wavefront6targetE1EEEvSM_,comdat
	.globl	_ZN7rocprim17ROCPRIM_400000_NS6detail17trampoline_kernelINS0_14default_configENS1_38merge_sort_block_merge_config_selectorIlNS0_10empty_typeEEEZZNS1_27merge_sort_block_merge_implIS3_PlPS5_mZN2at6native12_GLOBAL__N_124unique_dim_cuda_templateIsEESt5tupleIJNSA_6TensorESF_SF_EERKSF_lbbbEUlllE_EE10hipError_tT0_T1_T2_jT3_P12ihipStream_tbPNSt15iterator_traitsISL_E10value_typeEPNSR_ISM_E10value_typeEPSN_NS1_7vsmem_tEENKUlT_SL_SM_SN_E_clIS8_S8_S9_S9_EESK_S10_SL_SM_SN_EUlS10_E1_NS1_11comp_targetILNS1_3genE0ELNS1_11target_archE4294967295ELNS1_3gpuE0ELNS1_3repE0EEENS1_36merge_oddeven_config_static_selectorELNS0_4arch9wavefront6targetE1EEEvSM_ ; -- Begin function _ZN7rocprim17ROCPRIM_400000_NS6detail17trampoline_kernelINS0_14default_configENS1_38merge_sort_block_merge_config_selectorIlNS0_10empty_typeEEEZZNS1_27merge_sort_block_merge_implIS3_PlPS5_mZN2at6native12_GLOBAL__N_124unique_dim_cuda_templateIsEESt5tupleIJNSA_6TensorESF_SF_EERKSF_lbbbEUlllE_EE10hipError_tT0_T1_T2_jT3_P12ihipStream_tbPNSt15iterator_traitsISL_E10value_typeEPNSR_ISM_E10value_typeEPSN_NS1_7vsmem_tEENKUlT_SL_SM_SN_E_clIS8_S8_S9_S9_EESK_S10_SL_SM_SN_EUlS10_E1_NS1_11comp_targetILNS1_3genE0ELNS1_11target_archE4294967295ELNS1_3gpuE0ELNS1_3repE0EEENS1_36merge_oddeven_config_static_selectorELNS0_4arch9wavefront6targetE1EEEvSM_
	.p2align	8
	.type	_ZN7rocprim17ROCPRIM_400000_NS6detail17trampoline_kernelINS0_14default_configENS1_38merge_sort_block_merge_config_selectorIlNS0_10empty_typeEEEZZNS1_27merge_sort_block_merge_implIS3_PlPS5_mZN2at6native12_GLOBAL__N_124unique_dim_cuda_templateIsEESt5tupleIJNSA_6TensorESF_SF_EERKSF_lbbbEUlllE_EE10hipError_tT0_T1_T2_jT3_P12ihipStream_tbPNSt15iterator_traitsISL_E10value_typeEPNSR_ISM_E10value_typeEPSN_NS1_7vsmem_tEENKUlT_SL_SM_SN_E_clIS8_S8_S9_S9_EESK_S10_SL_SM_SN_EUlS10_E1_NS1_11comp_targetILNS1_3genE0ELNS1_11target_archE4294967295ELNS1_3gpuE0ELNS1_3repE0EEENS1_36merge_oddeven_config_static_selectorELNS0_4arch9wavefront6targetE1EEEvSM_,@function
_ZN7rocprim17ROCPRIM_400000_NS6detail17trampoline_kernelINS0_14default_configENS1_38merge_sort_block_merge_config_selectorIlNS0_10empty_typeEEEZZNS1_27merge_sort_block_merge_implIS3_PlPS5_mZN2at6native12_GLOBAL__N_124unique_dim_cuda_templateIsEESt5tupleIJNSA_6TensorESF_SF_EERKSF_lbbbEUlllE_EE10hipError_tT0_T1_T2_jT3_P12ihipStream_tbPNSt15iterator_traitsISL_E10value_typeEPNSR_ISM_E10value_typeEPSN_NS1_7vsmem_tEENKUlT_SL_SM_SN_E_clIS8_S8_S9_S9_EESK_S10_SL_SM_SN_EUlS10_E1_NS1_11comp_targetILNS1_3genE0ELNS1_11target_archE4294967295ELNS1_3gpuE0ELNS1_3repE0EEENS1_36merge_oddeven_config_static_selectorELNS0_4arch9wavefront6targetE1EEEvSM_: ; @_ZN7rocprim17ROCPRIM_400000_NS6detail17trampoline_kernelINS0_14default_configENS1_38merge_sort_block_merge_config_selectorIlNS0_10empty_typeEEEZZNS1_27merge_sort_block_merge_implIS3_PlPS5_mZN2at6native12_GLOBAL__N_124unique_dim_cuda_templateIsEESt5tupleIJNSA_6TensorESF_SF_EERKSF_lbbbEUlllE_EE10hipError_tT0_T1_T2_jT3_P12ihipStream_tbPNSt15iterator_traitsISL_E10value_typeEPNSR_ISM_E10value_typeEPSN_NS1_7vsmem_tEENKUlT_SL_SM_SN_E_clIS8_S8_S9_S9_EESK_S10_SL_SM_SN_EUlS10_E1_NS1_11comp_targetILNS1_3genE0ELNS1_11target_archE4294967295ELNS1_3gpuE0ELNS1_3repE0EEENS1_36merge_oddeven_config_static_selectorELNS0_4arch9wavefront6targetE1EEEvSM_
; %bb.0:
	.section	.rodata,"a",@progbits
	.p2align	6, 0x0
	.amdhsa_kernel _ZN7rocprim17ROCPRIM_400000_NS6detail17trampoline_kernelINS0_14default_configENS1_38merge_sort_block_merge_config_selectorIlNS0_10empty_typeEEEZZNS1_27merge_sort_block_merge_implIS3_PlPS5_mZN2at6native12_GLOBAL__N_124unique_dim_cuda_templateIsEESt5tupleIJNSA_6TensorESF_SF_EERKSF_lbbbEUlllE_EE10hipError_tT0_T1_T2_jT3_P12ihipStream_tbPNSt15iterator_traitsISL_E10value_typeEPNSR_ISM_E10value_typeEPSN_NS1_7vsmem_tEENKUlT_SL_SM_SN_E_clIS8_S8_S9_S9_EESK_S10_SL_SM_SN_EUlS10_E1_NS1_11comp_targetILNS1_3genE0ELNS1_11target_archE4294967295ELNS1_3gpuE0ELNS1_3repE0EEENS1_36merge_oddeven_config_static_selectorELNS0_4arch9wavefront6targetE1EEEvSM_
		.amdhsa_group_segment_fixed_size 0
		.amdhsa_private_segment_fixed_size 0
		.amdhsa_kernarg_size 64
		.amdhsa_user_sgpr_count 6
		.amdhsa_user_sgpr_private_segment_buffer 1
		.amdhsa_user_sgpr_dispatch_ptr 0
		.amdhsa_user_sgpr_queue_ptr 0
		.amdhsa_user_sgpr_kernarg_segment_ptr 1
		.amdhsa_user_sgpr_dispatch_id 0
		.amdhsa_user_sgpr_flat_scratch_init 0
		.amdhsa_user_sgpr_kernarg_preload_length 0
		.amdhsa_user_sgpr_kernarg_preload_offset 0
		.amdhsa_user_sgpr_private_segment_size 0
		.amdhsa_uses_dynamic_stack 0
		.amdhsa_system_sgpr_private_segment_wavefront_offset 0
		.amdhsa_system_sgpr_workgroup_id_x 1
		.amdhsa_system_sgpr_workgroup_id_y 0
		.amdhsa_system_sgpr_workgroup_id_z 0
		.amdhsa_system_sgpr_workgroup_info 0
		.amdhsa_system_vgpr_workitem_id 0
		.amdhsa_next_free_vgpr 1
		.amdhsa_next_free_sgpr 0
		.amdhsa_accum_offset 4
		.amdhsa_reserve_vcc 0
		.amdhsa_reserve_flat_scratch 0
		.amdhsa_float_round_mode_32 0
		.amdhsa_float_round_mode_16_64 0
		.amdhsa_float_denorm_mode_32 3
		.amdhsa_float_denorm_mode_16_64 3
		.amdhsa_dx10_clamp 1
		.amdhsa_ieee_mode 1
		.amdhsa_fp16_overflow 0
		.amdhsa_tg_split 0
		.amdhsa_exception_fp_ieee_invalid_op 0
		.amdhsa_exception_fp_denorm_src 0
		.amdhsa_exception_fp_ieee_div_zero 0
		.amdhsa_exception_fp_ieee_overflow 0
		.amdhsa_exception_fp_ieee_underflow 0
		.amdhsa_exception_fp_ieee_inexact 0
		.amdhsa_exception_int_div_zero 0
	.end_amdhsa_kernel
	.section	.text._ZN7rocprim17ROCPRIM_400000_NS6detail17trampoline_kernelINS0_14default_configENS1_38merge_sort_block_merge_config_selectorIlNS0_10empty_typeEEEZZNS1_27merge_sort_block_merge_implIS3_PlPS5_mZN2at6native12_GLOBAL__N_124unique_dim_cuda_templateIsEESt5tupleIJNSA_6TensorESF_SF_EERKSF_lbbbEUlllE_EE10hipError_tT0_T1_T2_jT3_P12ihipStream_tbPNSt15iterator_traitsISL_E10value_typeEPNSR_ISM_E10value_typeEPSN_NS1_7vsmem_tEENKUlT_SL_SM_SN_E_clIS8_S8_S9_S9_EESK_S10_SL_SM_SN_EUlS10_E1_NS1_11comp_targetILNS1_3genE0ELNS1_11target_archE4294967295ELNS1_3gpuE0ELNS1_3repE0EEENS1_36merge_oddeven_config_static_selectorELNS0_4arch9wavefront6targetE1EEEvSM_,"axG",@progbits,_ZN7rocprim17ROCPRIM_400000_NS6detail17trampoline_kernelINS0_14default_configENS1_38merge_sort_block_merge_config_selectorIlNS0_10empty_typeEEEZZNS1_27merge_sort_block_merge_implIS3_PlPS5_mZN2at6native12_GLOBAL__N_124unique_dim_cuda_templateIsEESt5tupleIJNSA_6TensorESF_SF_EERKSF_lbbbEUlllE_EE10hipError_tT0_T1_T2_jT3_P12ihipStream_tbPNSt15iterator_traitsISL_E10value_typeEPNSR_ISM_E10value_typeEPSN_NS1_7vsmem_tEENKUlT_SL_SM_SN_E_clIS8_S8_S9_S9_EESK_S10_SL_SM_SN_EUlS10_E1_NS1_11comp_targetILNS1_3genE0ELNS1_11target_archE4294967295ELNS1_3gpuE0ELNS1_3repE0EEENS1_36merge_oddeven_config_static_selectorELNS0_4arch9wavefront6targetE1EEEvSM_,comdat
.Lfunc_end652:
	.size	_ZN7rocprim17ROCPRIM_400000_NS6detail17trampoline_kernelINS0_14default_configENS1_38merge_sort_block_merge_config_selectorIlNS0_10empty_typeEEEZZNS1_27merge_sort_block_merge_implIS3_PlPS5_mZN2at6native12_GLOBAL__N_124unique_dim_cuda_templateIsEESt5tupleIJNSA_6TensorESF_SF_EERKSF_lbbbEUlllE_EE10hipError_tT0_T1_T2_jT3_P12ihipStream_tbPNSt15iterator_traitsISL_E10value_typeEPNSR_ISM_E10value_typeEPSN_NS1_7vsmem_tEENKUlT_SL_SM_SN_E_clIS8_S8_S9_S9_EESK_S10_SL_SM_SN_EUlS10_E1_NS1_11comp_targetILNS1_3genE0ELNS1_11target_archE4294967295ELNS1_3gpuE0ELNS1_3repE0EEENS1_36merge_oddeven_config_static_selectorELNS0_4arch9wavefront6targetE1EEEvSM_, .Lfunc_end652-_ZN7rocprim17ROCPRIM_400000_NS6detail17trampoline_kernelINS0_14default_configENS1_38merge_sort_block_merge_config_selectorIlNS0_10empty_typeEEEZZNS1_27merge_sort_block_merge_implIS3_PlPS5_mZN2at6native12_GLOBAL__N_124unique_dim_cuda_templateIsEESt5tupleIJNSA_6TensorESF_SF_EERKSF_lbbbEUlllE_EE10hipError_tT0_T1_T2_jT3_P12ihipStream_tbPNSt15iterator_traitsISL_E10value_typeEPNSR_ISM_E10value_typeEPSN_NS1_7vsmem_tEENKUlT_SL_SM_SN_E_clIS8_S8_S9_S9_EESK_S10_SL_SM_SN_EUlS10_E1_NS1_11comp_targetILNS1_3genE0ELNS1_11target_archE4294967295ELNS1_3gpuE0ELNS1_3repE0EEENS1_36merge_oddeven_config_static_selectorELNS0_4arch9wavefront6targetE1EEEvSM_
                                        ; -- End function
	.section	.AMDGPU.csdata,"",@progbits
; Kernel info:
; codeLenInByte = 0
; NumSgprs: 4
; NumVgprs: 0
; NumAgprs: 0
; TotalNumVgprs: 0
; ScratchSize: 0
; MemoryBound: 0
; FloatMode: 240
; IeeeMode: 1
; LDSByteSize: 0 bytes/workgroup (compile time only)
; SGPRBlocks: 0
; VGPRBlocks: 0
; NumSGPRsForWavesPerEU: 4
; NumVGPRsForWavesPerEU: 1
; AccumOffset: 4
; Occupancy: 8
; WaveLimiterHint : 0
; COMPUTE_PGM_RSRC2:SCRATCH_EN: 0
; COMPUTE_PGM_RSRC2:USER_SGPR: 6
; COMPUTE_PGM_RSRC2:TRAP_HANDLER: 0
; COMPUTE_PGM_RSRC2:TGID_X_EN: 1
; COMPUTE_PGM_RSRC2:TGID_Y_EN: 0
; COMPUTE_PGM_RSRC2:TGID_Z_EN: 0
; COMPUTE_PGM_RSRC2:TIDIG_COMP_CNT: 0
; COMPUTE_PGM_RSRC3_GFX90A:ACCUM_OFFSET: 0
; COMPUTE_PGM_RSRC3_GFX90A:TG_SPLIT: 0
	.section	.text._ZN7rocprim17ROCPRIM_400000_NS6detail17trampoline_kernelINS0_14default_configENS1_38merge_sort_block_merge_config_selectorIlNS0_10empty_typeEEEZZNS1_27merge_sort_block_merge_implIS3_PlPS5_mZN2at6native12_GLOBAL__N_124unique_dim_cuda_templateIsEESt5tupleIJNSA_6TensorESF_SF_EERKSF_lbbbEUlllE_EE10hipError_tT0_T1_T2_jT3_P12ihipStream_tbPNSt15iterator_traitsISL_E10value_typeEPNSR_ISM_E10value_typeEPSN_NS1_7vsmem_tEENKUlT_SL_SM_SN_E_clIS8_S8_S9_S9_EESK_S10_SL_SM_SN_EUlS10_E1_NS1_11comp_targetILNS1_3genE10ELNS1_11target_archE1201ELNS1_3gpuE5ELNS1_3repE0EEENS1_36merge_oddeven_config_static_selectorELNS0_4arch9wavefront6targetE1EEEvSM_,"axG",@progbits,_ZN7rocprim17ROCPRIM_400000_NS6detail17trampoline_kernelINS0_14default_configENS1_38merge_sort_block_merge_config_selectorIlNS0_10empty_typeEEEZZNS1_27merge_sort_block_merge_implIS3_PlPS5_mZN2at6native12_GLOBAL__N_124unique_dim_cuda_templateIsEESt5tupleIJNSA_6TensorESF_SF_EERKSF_lbbbEUlllE_EE10hipError_tT0_T1_T2_jT3_P12ihipStream_tbPNSt15iterator_traitsISL_E10value_typeEPNSR_ISM_E10value_typeEPSN_NS1_7vsmem_tEENKUlT_SL_SM_SN_E_clIS8_S8_S9_S9_EESK_S10_SL_SM_SN_EUlS10_E1_NS1_11comp_targetILNS1_3genE10ELNS1_11target_archE1201ELNS1_3gpuE5ELNS1_3repE0EEENS1_36merge_oddeven_config_static_selectorELNS0_4arch9wavefront6targetE1EEEvSM_,comdat
	.globl	_ZN7rocprim17ROCPRIM_400000_NS6detail17trampoline_kernelINS0_14default_configENS1_38merge_sort_block_merge_config_selectorIlNS0_10empty_typeEEEZZNS1_27merge_sort_block_merge_implIS3_PlPS5_mZN2at6native12_GLOBAL__N_124unique_dim_cuda_templateIsEESt5tupleIJNSA_6TensorESF_SF_EERKSF_lbbbEUlllE_EE10hipError_tT0_T1_T2_jT3_P12ihipStream_tbPNSt15iterator_traitsISL_E10value_typeEPNSR_ISM_E10value_typeEPSN_NS1_7vsmem_tEENKUlT_SL_SM_SN_E_clIS8_S8_S9_S9_EESK_S10_SL_SM_SN_EUlS10_E1_NS1_11comp_targetILNS1_3genE10ELNS1_11target_archE1201ELNS1_3gpuE5ELNS1_3repE0EEENS1_36merge_oddeven_config_static_selectorELNS0_4arch9wavefront6targetE1EEEvSM_ ; -- Begin function _ZN7rocprim17ROCPRIM_400000_NS6detail17trampoline_kernelINS0_14default_configENS1_38merge_sort_block_merge_config_selectorIlNS0_10empty_typeEEEZZNS1_27merge_sort_block_merge_implIS3_PlPS5_mZN2at6native12_GLOBAL__N_124unique_dim_cuda_templateIsEESt5tupleIJNSA_6TensorESF_SF_EERKSF_lbbbEUlllE_EE10hipError_tT0_T1_T2_jT3_P12ihipStream_tbPNSt15iterator_traitsISL_E10value_typeEPNSR_ISM_E10value_typeEPSN_NS1_7vsmem_tEENKUlT_SL_SM_SN_E_clIS8_S8_S9_S9_EESK_S10_SL_SM_SN_EUlS10_E1_NS1_11comp_targetILNS1_3genE10ELNS1_11target_archE1201ELNS1_3gpuE5ELNS1_3repE0EEENS1_36merge_oddeven_config_static_selectorELNS0_4arch9wavefront6targetE1EEEvSM_
	.p2align	8
	.type	_ZN7rocprim17ROCPRIM_400000_NS6detail17trampoline_kernelINS0_14default_configENS1_38merge_sort_block_merge_config_selectorIlNS0_10empty_typeEEEZZNS1_27merge_sort_block_merge_implIS3_PlPS5_mZN2at6native12_GLOBAL__N_124unique_dim_cuda_templateIsEESt5tupleIJNSA_6TensorESF_SF_EERKSF_lbbbEUlllE_EE10hipError_tT0_T1_T2_jT3_P12ihipStream_tbPNSt15iterator_traitsISL_E10value_typeEPNSR_ISM_E10value_typeEPSN_NS1_7vsmem_tEENKUlT_SL_SM_SN_E_clIS8_S8_S9_S9_EESK_S10_SL_SM_SN_EUlS10_E1_NS1_11comp_targetILNS1_3genE10ELNS1_11target_archE1201ELNS1_3gpuE5ELNS1_3repE0EEENS1_36merge_oddeven_config_static_selectorELNS0_4arch9wavefront6targetE1EEEvSM_,@function
_ZN7rocprim17ROCPRIM_400000_NS6detail17trampoline_kernelINS0_14default_configENS1_38merge_sort_block_merge_config_selectorIlNS0_10empty_typeEEEZZNS1_27merge_sort_block_merge_implIS3_PlPS5_mZN2at6native12_GLOBAL__N_124unique_dim_cuda_templateIsEESt5tupleIJNSA_6TensorESF_SF_EERKSF_lbbbEUlllE_EE10hipError_tT0_T1_T2_jT3_P12ihipStream_tbPNSt15iterator_traitsISL_E10value_typeEPNSR_ISM_E10value_typeEPSN_NS1_7vsmem_tEENKUlT_SL_SM_SN_E_clIS8_S8_S9_S9_EESK_S10_SL_SM_SN_EUlS10_E1_NS1_11comp_targetILNS1_3genE10ELNS1_11target_archE1201ELNS1_3gpuE5ELNS1_3repE0EEENS1_36merge_oddeven_config_static_selectorELNS0_4arch9wavefront6targetE1EEEvSM_: ; @_ZN7rocprim17ROCPRIM_400000_NS6detail17trampoline_kernelINS0_14default_configENS1_38merge_sort_block_merge_config_selectorIlNS0_10empty_typeEEEZZNS1_27merge_sort_block_merge_implIS3_PlPS5_mZN2at6native12_GLOBAL__N_124unique_dim_cuda_templateIsEESt5tupleIJNSA_6TensorESF_SF_EERKSF_lbbbEUlllE_EE10hipError_tT0_T1_T2_jT3_P12ihipStream_tbPNSt15iterator_traitsISL_E10value_typeEPNSR_ISM_E10value_typeEPSN_NS1_7vsmem_tEENKUlT_SL_SM_SN_E_clIS8_S8_S9_S9_EESK_S10_SL_SM_SN_EUlS10_E1_NS1_11comp_targetILNS1_3genE10ELNS1_11target_archE1201ELNS1_3gpuE5ELNS1_3repE0EEENS1_36merge_oddeven_config_static_selectorELNS0_4arch9wavefront6targetE1EEEvSM_
; %bb.0:
	.section	.rodata,"a",@progbits
	.p2align	6, 0x0
	.amdhsa_kernel _ZN7rocprim17ROCPRIM_400000_NS6detail17trampoline_kernelINS0_14default_configENS1_38merge_sort_block_merge_config_selectorIlNS0_10empty_typeEEEZZNS1_27merge_sort_block_merge_implIS3_PlPS5_mZN2at6native12_GLOBAL__N_124unique_dim_cuda_templateIsEESt5tupleIJNSA_6TensorESF_SF_EERKSF_lbbbEUlllE_EE10hipError_tT0_T1_T2_jT3_P12ihipStream_tbPNSt15iterator_traitsISL_E10value_typeEPNSR_ISM_E10value_typeEPSN_NS1_7vsmem_tEENKUlT_SL_SM_SN_E_clIS8_S8_S9_S9_EESK_S10_SL_SM_SN_EUlS10_E1_NS1_11comp_targetILNS1_3genE10ELNS1_11target_archE1201ELNS1_3gpuE5ELNS1_3repE0EEENS1_36merge_oddeven_config_static_selectorELNS0_4arch9wavefront6targetE1EEEvSM_
		.amdhsa_group_segment_fixed_size 0
		.amdhsa_private_segment_fixed_size 0
		.amdhsa_kernarg_size 64
		.amdhsa_user_sgpr_count 6
		.amdhsa_user_sgpr_private_segment_buffer 1
		.amdhsa_user_sgpr_dispatch_ptr 0
		.amdhsa_user_sgpr_queue_ptr 0
		.amdhsa_user_sgpr_kernarg_segment_ptr 1
		.amdhsa_user_sgpr_dispatch_id 0
		.amdhsa_user_sgpr_flat_scratch_init 0
		.amdhsa_user_sgpr_kernarg_preload_length 0
		.amdhsa_user_sgpr_kernarg_preload_offset 0
		.amdhsa_user_sgpr_private_segment_size 0
		.amdhsa_uses_dynamic_stack 0
		.amdhsa_system_sgpr_private_segment_wavefront_offset 0
		.amdhsa_system_sgpr_workgroup_id_x 1
		.amdhsa_system_sgpr_workgroup_id_y 0
		.amdhsa_system_sgpr_workgroup_id_z 0
		.amdhsa_system_sgpr_workgroup_info 0
		.amdhsa_system_vgpr_workitem_id 0
		.amdhsa_next_free_vgpr 1
		.amdhsa_next_free_sgpr 0
		.amdhsa_accum_offset 4
		.amdhsa_reserve_vcc 0
		.amdhsa_reserve_flat_scratch 0
		.amdhsa_float_round_mode_32 0
		.amdhsa_float_round_mode_16_64 0
		.amdhsa_float_denorm_mode_32 3
		.amdhsa_float_denorm_mode_16_64 3
		.amdhsa_dx10_clamp 1
		.amdhsa_ieee_mode 1
		.amdhsa_fp16_overflow 0
		.amdhsa_tg_split 0
		.amdhsa_exception_fp_ieee_invalid_op 0
		.amdhsa_exception_fp_denorm_src 0
		.amdhsa_exception_fp_ieee_div_zero 0
		.amdhsa_exception_fp_ieee_overflow 0
		.amdhsa_exception_fp_ieee_underflow 0
		.amdhsa_exception_fp_ieee_inexact 0
		.amdhsa_exception_int_div_zero 0
	.end_amdhsa_kernel
	.section	.text._ZN7rocprim17ROCPRIM_400000_NS6detail17trampoline_kernelINS0_14default_configENS1_38merge_sort_block_merge_config_selectorIlNS0_10empty_typeEEEZZNS1_27merge_sort_block_merge_implIS3_PlPS5_mZN2at6native12_GLOBAL__N_124unique_dim_cuda_templateIsEESt5tupleIJNSA_6TensorESF_SF_EERKSF_lbbbEUlllE_EE10hipError_tT0_T1_T2_jT3_P12ihipStream_tbPNSt15iterator_traitsISL_E10value_typeEPNSR_ISM_E10value_typeEPSN_NS1_7vsmem_tEENKUlT_SL_SM_SN_E_clIS8_S8_S9_S9_EESK_S10_SL_SM_SN_EUlS10_E1_NS1_11comp_targetILNS1_3genE10ELNS1_11target_archE1201ELNS1_3gpuE5ELNS1_3repE0EEENS1_36merge_oddeven_config_static_selectorELNS0_4arch9wavefront6targetE1EEEvSM_,"axG",@progbits,_ZN7rocprim17ROCPRIM_400000_NS6detail17trampoline_kernelINS0_14default_configENS1_38merge_sort_block_merge_config_selectorIlNS0_10empty_typeEEEZZNS1_27merge_sort_block_merge_implIS3_PlPS5_mZN2at6native12_GLOBAL__N_124unique_dim_cuda_templateIsEESt5tupleIJNSA_6TensorESF_SF_EERKSF_lbbbEUlllE_EE10hipError_tT0_T1_T2_jT3_P12ihipStream_tbPNSt15iterator_traitsISL_E10value_typeEPNSR_ISM_E10value_typeEPSN_NS1_7vsmem_tEENKUlT_SL_SM_SN_E_clIS8_S8_S9_S9_EESK_S10_SL_SM_SN_EUlS10_E1_NS1_11comp_targetILNS1_3genE10ELNS1_11target_archE1201ELNS1_3gpuE5ELNS1_3repE0EEENS1_36merge_oddeven_config_static_selectorELNS0_4arch9wavefront6targetE1EEEvSM_,comdat
.Lfunc_end653:
	.size	_ZN7rocprim17ROCPRIM_400000_NS6detail17trampoline_kernelINS0_14default_configENS1_38merge_sort_block_merge_config_selectorIlNS0_10empty_typeEEEZZNS1_27merge_sort_block_merge_implIS3_PlPS5_mZN2at6native12_GLOBAL__N_124unique_dim_cuda_templateIsEESt5tupleIJNSA_6TensorESF_SF_EERKSF_lbbbEUlllE_EE10hipError_tT0_T1_T2_jT3_P12ihipStream_tbPNSt15iterator_traitsISL_E10value_typeEPNSR_ISM_E10value_typeEPSN_NS1_7vsmem_tEENKUlT_SL_SM_SN_E_clIS8_S8_S9_S9_EESK_S10_SL_SM_SN_EUlS10_E1_NS1_11comp_targetILNS1_3genE10ELNS1_11target_archE1201ELNS1_3gpuE5ELNS1_3repE0EEENS1_36merge_oddeven_config_static_selectorELNS0_4arch9wavefront6targetE1EEEvSM_, .Lfunc_end653-_ZN7rocprim17ROCPRIM_400000_NS6detail17trampoline_kernelINS0_14default_configENS1_38merge_sort_block_merge_config_selectorIlNS0_10empty_typeEEEZZNS1_27merge_sort_block_merge_implIS3_PlPS5_mZN2at6native12_GLOBAL__N_124unique_dim_cuda_templateIsEESt5tupleIJNSA_6TensorESF_SF_EERKSF_lbbbEUlllE_EE10hipError_tT0_T1_T2_jT3_P12ihipStream_tbPNSt15iterator_traitsISL_E10value_typeEPNSR_ISM_E10value_typeEPSN_NS1_7vsmem_tEENKUlT_SL_SM_SN_E_clIS8_S8_S9_S9_EESK_S10_SL_SM_SN_EUlS10_E1_NS1_11comp_targetILNS1_3genE10ELNS1_11target_archE1201ELNS1_3gpuE5ELNS1_3repE0EEENS1_36merge_oddeven_config_static_selectorELNS0_4arch9wavefront6targetE1EEEvSM_
                                        ; -- End function
	.section	.AMDGPU.csdata,"",@progbits
; Kernel info:
; codeLenInByte = 0
; NumSgprs: 4
; NumVgprs: 0
; NumAgprs: 0
; TotalNumVgprs: 0
; ScratchSize: 0
; MemoryBound: 0
; FloatMode: 240
; IeeeMode: 1
; LDSByteSize: 0 bytes/workgroup (compile time only)
; SGPRBlocks: 0
; VGPRBlocks: 0
; NumSGPRsForWavesPerEU: 4
; NumVGPRsForWavesPerEU: 1
; AccumOffset: 4
; Occupancy: 8
; WaveLimiterHint : 0
; COMPUTE_PGM_RSRC2:SCRATCH_EN: 0
; COMPUTE_PGM_RSRC2:USER_SGPR: 6
; COMPUTE_PGM_RSRC2:TRAP_HANDLER: 0
; COMPUTE_PGM_RSRC2:TGID_X_EN: 1
; COMPUTE_PGM_RSRC2:TGID_Y_EN: 0
; COMPUTE_PGM_RSRC2:TGID_Z_EN: 0
; COMPUTE_PGM_RSRC2:TIDIG_COMP_CNT: 0
; COMPUTE_PGM_RSRC3_GFX90A:ACCUM_OFFSET: 0
; COMPUTE_PGM_RSRC3_GFX90A:TG_SPLIT: 0
	.section	.text._ZN7rocprim17ROCPRIM_400000_NS6detail17trampoline_kernelINS0_14default_configENS1_38merge_sort_block_merge_config_selectorIlNS0_10empty_typeEEEZZNS1_27merge_sort_block_merge_implIS3_PlPS5_mZN2at6native12_GLOBAL__N_124unique_dim_cuda_templateIsEESt5tupleIJNSA_6TensorESF_SF_EERKSF_lbbbEUlllE_EE10hipError_tT0_T1_T2_jT3_P12ihipStream_tbPNSt15iterator_traitsISL_E10value_typeEPNSR_ISM_E10value_typeEPSN_NS1_7vsmem_tEENKUlT_SL_SM_SN_E_clIS8_S8_S9_S9_EESK_S10_SL_SM_SN_EUlS10_E1_NS1_11comp_targetILNS1_3genE5ELNS1_11target_archE942ELNS1_3gpuE9ELNS1_3repE0EEENS1_36merge_oddeven_config_static_selectorELNS0_4arch9wavefront6targetE1EEEvSM_,"axG",@progbits,_ZN7rocprim17ROCPRIM_400000_NS6detail17trampoline_kernelINS0_14default_configENS1_38merge_sort_block_merge_config_selectorIlNS0_10empty_typeEEEZZNS1_27merge_sort_block_merge_implIS3_PlPS5_mZN2at6native12_GLOBAL__N_124unique_dim_cuda_templateIsEESt5tupleIJNSA_6TensorESF_SF_EERKSF_lbbbEUlllE_EE10hipError_tT0_T1_T2_jT3_P12ihipStream_tbPNSt15iterator_traitsISL_E10value_typeEPNSR_ISM_E10value_typeEPSN_NS1_7vsmem_tEENKUlT_SL_SM_SN_E_clIS8_S8_S9_S9_EESK_S10_SL_SM_SN_EUlS10_E1_NS1_11comp_targetILNS1_3genE5ELNS1_11target_archE942ELNS1_3gpuE9ELNS1_3repE0EEENS1_36merge_oddeven_config_static_selectorELNS0_4arch9wavefront6targetE1EEEvSM_,comdat
	.globl	_ZN7rocprim17ROCPRIM_400000_NS6detail17trampoline_kernelINS0_14default_configENS1_38merge_sort_block_merge_config_selectorIlNS0_10empty_typeEEEZZNS1_27merge_sort_block_merge_implIS3_PlPS5_mZN2at6native12_GLOBAL__N_124unique_dim_cuda_templateIsEESt5tupleIJNSA_6TensorESF_SF_EERKSF_lbbbEUlllE_EE10hipError_tT0_T1_T2_jT3_P12ihipStream_tbPNSt15iterator_traitsISL_E10value_typeEPNSR_ISM_E10value_typeEPSN_NS1_7vsmem_tEENKUlT_SL_SM_SN_E_clIS8_S8_S9_S9_EESK_S10_SL_SM_SN_EUlS10_E1_NS1_11comp_targetILNS1_3genE5ELNS1_11target_archE942ELNS1_3gpuE9ELNS1_3repE0EEENS1_36merge_oddeven_config_static_selectorELNS0_4arch9wavefront6targetE1EEEvSM_ ; -- Begin function _ZN7rocprim17ROCPRIM_400000_NS6detail17trampoline_kernelINS0_14default_configENS1_38merge_sort_block_merge_config_selectorIlNS0_10empty_typeEEEZZNS1_27merge_sort_block_merge_implIS3_PlPS5_mZN2at6native12_GLOBAL__N_124unique_dim_cuda_templateIsEESt5tupleIJNSA_6TensorESF_SF_EERKSF_lbbbEUlllE_EE10hipError_tT0_T1_T2_jT3_P12ihipStream_tbPNSt15iterator_traitsISL_E10value_typeEPNSR_ISM_E10value_typeEPSN_NS1_7vsmem_tEENKUlT_SL_SM_SN_E_clIS8_S8_S9_S9_EESK_S10_SL_SM_SN_EUlS10_E1_NS1_11comp_targetILNS1_3genE5ELNS1_11target_archE942ELNS1_3gpuE9ELNS1_3repE0EEENS1_36merge_oddeven_config_static_selectorELNS0_4arch9wavefront6targetE1EEEvSM_
	.p2align	8
	.type	_ZN7rocprim17ROCPRIM_400000_NS6detail17trampoline_kernelINS0_14default_configENS1_38merge_sort_block_merge_config_selectorIlNS0_10empty_typeEEEZZNS1_27merge_sort_block_merge_implIS3_PlPS5_mZN2at6native12_GLOBAL__N_124unique_dim_cuda_templateIsEESt5tupleIJNSA_6TensorESF_SF_EERKSF_lbbbEUlllE_EE10hipError_tT0_T1_T2_jT3_P12ihipStream_tbPNSt15iterator_traitsISL_E10value_typeEPNSR_ISM_E10value_typeEPSN_NS1_7vsmem_tEENKUlT_SL_SM_SN_E_clIS8_S8_S9_S9_EESK_S10_SL_SM_SN_EUlS10_E1_NS1_11comp_targetILNS1_3genE5ELNS1_11target_archE942ELNS1_3gpuE9ELNS1_3repE0EEENS1_36merge_oddeven_config_static_selectorELNS0_4arch9wavefront6targetE1EEEvSM_,@function
_ZN7rocprim17ROCPRIM_400000_NS6detail17trampoline_kernelINS0_14default_configENS1_38merge_sort_block_merge_config_selectorIlNS0_10empty_typeEEEZZNS1_27merge_sort_block_merge_implIS3_PlPS5_mZN2at6native12_GLOBAL__N_124unique_dim_cuda_templateIsEESt5tupleIJNSA_6TensorESF_SF_EERKSF_lbbbEUlllE_EE10hipError_tT0_T1_T2_jT3_P12ihipStream_tbPNSt15iterator_traitsISL_E10value_typeEPNSR_ISM_E10value_typeEPSN_NS1_7vsmem_tEENKUlT_SL_SM_SN_E_clIS8_S8_S9_S9_EESK_S10_SL_SM_SN_EUlS10_E1_NS1_11comp_targetILNS1_3genE5ELNS1_11target_archE942ELNS1_3gpuE9ELNS1_3repE0EEENS1_36merge_oddeven_config_static_selectorELNS0_4arch9wavefront6targetE1EEEvSM_: ; @_ZN7rocprim17ROCPRIM_400000_NS6detail17trampoline_kernelINS0_14default_configENS1_38merge_sort_block_merge_config_selectorIlNS0_10empty_typeEEEZZNS1_27merge_sort_block_merge_implIS3_PlPS5_mZN2at6native12_GLOBAL__N_124unique_dim_cuda_templateIsEESt5tupleIJNSA_6TensorESF_SF_EERKSF_lbbbEUlllE_EE10hipError_tT0_T1_T2_jT3_P12ihipStream_tbPNSt15iterator_traitsISL_E10value_typeEPNSR_ISM_E10value_typeEPSN_NS1_7vsmem_tEENKUlT_SL_SM_SN_E_clIS8_S8_S9_S9_EESK_S10_SL_SM_SN_EUlS10_E1_NS1_11comp_targetILNS1_3genE5ELNS1_11target_archE942ELNS1_3gpuE9ELNS1_3repE0EEENS1_36merge_oddeven_config_static_selectorELNS0_4arch9wavefront6targetE1EEEvSM_
; %bb.0:
	.section	.rodata,"a",@progbits
	.p2align	6, 0x0
	.amdhsa_kernel _ZN7rocprim17ROCPRIM_400000_NS6detail17trampoline_kernelINS0_14default_configENS1_38merge_sort_block_merge_config_selectorIlNS0_10empty_typeEEEZZNS1_27merge_sort_block_merge_implIS3_PlPS5_mZN2at6native12_GLOBAL__N_124unique_dim_cuda_templateIsEESt5tupleIJNSA_6TensorESF_SF_EERKSF_lbbbEUlllE_EE10hipError_tT0_T1_T2_jT3_P12ihipStream_tbPNSt15iterator_traitsISL_E10value_typeEPNSR_ISM_E10value_typeEPSN_NS1_7vsmem_tEENKUlT_SL_SM_SN_E_clIS8_S8_S9_S9_EESK_S10_SL_SM_SN_EUlS10_E1_NS1_11comp_targetILNS1_3genE5ELNS1_11target_archE942ELNS1_3gpuE9ELNS1_3repE0EEENS1_36merge_oddeven_config_static_selectorELNS0_4arch9wavefront6targetE1EEEvSM_
		.amdhsa_group_segment_fixed_size 0
		.amdhsa_private_segment_fixed_size 0
		.amdhsa_kernarg_size 64
		.amdhsa_user_sgpr_count 6
		.amdhsa_user_sgpr_private_segment_buffer 1
		.amdhsa_user_sgpr_dispatch_ptr 0
		.amdhsa_user_sgpr_queue_ptr 0
		.amdhsa_user_sgpr_kernarg_segment_ptr 1
		.amdhsa_user_sgpr_dispatch_id 0
		.amdhsa_user_sgpr_flat_scratch_init 0
		.amdhsa_user_sgpr_kernarg_preload_length 0
		.amdhsa_user_sgpr_kernarg_preload_offset 0
		.amdhsa_user_sgpr_private_segment_size 0
		.amdhsa_uses_dynamic_stack 0
		.amdhsa_system_sgpr_private_segment_wavefront_offset 0
		.amdhsa_system_sgpr_workgroup_id_x 1
		.amdhsa_system_sgpr_workgroup_id_y 0
		.amdhsa_system_sgpr_workgroup_id_z 0
		.amdhsa_system_sgpr_workgroup_info 0
		.amdhsa_system_vgpr_workitem_id 0
		.amdhsa_next_free_vgpr 1
		.amdhsa_next_free_sgpr 0
		.amdhsa_accum_offset 4
		.amdhsa_reserve_vcc 0
		.amdhsa_reserve_flat_scratch 0
		.amdhsa_float_round_mode_32 0
		.amdhsa_float_round_mode_16_64 0
		.amdhsa_float_denorm_mode_32 3
		.amdhsa_float_denorm_mode_16_64 3
		.amdhsa_dx10_clamp 1
		.amdhsa_ieee_mode 1
		.amdhsa_fp16_overflow 0
		.amdhsa_tg_split 0
		.amdhsa_exception_fp_ieee_invalid_op 0
		.amdhsa_exception_fp_denorm_src 0
		.amdhsa_exception_fp_ieee_div_zero 0
		.amdhsa_exception_fp_ieee_overflow 0
		.amdhsa_exception_fp_ieee_underflow 0
		.amdhsa_exception_fp_ieee_inexact 0
		.amdhsa_exception_int_div_zero 0
	.end_amdhsa_kernel
	.section	.text._ZN7rocprim17ROCPRIM_400000_NS6detail17trampoline_kernelINS0_14default_configENS1_38merge_sort_block_merge_config_selectorIlNS0_10empty_typeEEEZZNS1_27merge_sort_block_merge_implIS3_PlPS5_mZN2at6native12_GLOBAL__N_124unique_dim_cuda_templateIsEESt5tupleIJNSA_6TensorESF_SF_EERKSF_lbbbEUlllE_EE10hipError_tT0_T1_T2_jT3_P12ihipStream_tbPNSt15iterator_traitsISL_E10value_typeEPNSR_ISM_E10value_typeEPSN_NS1_7vsmem_tEENKUlT_SL_SM_SN_E_clIS8_S8_S9_S9_EESK_S10_SL_SM_SN_EUlS10_E1_NS1_11comp_targetILNS1_3genE5ELNS1_11target_archE942ELNS1_3gpuE9ELNS1_3repE0EEENS1_36merge_oddeven_config_static_selectorELNS0_4arch9wavefront6targetE1EEEvSM_,"axG",@progbits,_ZN7rocprim17ROCPRIM_400000_NS6detail17trampoline_kernelINS0_14default_configENS1_38merge_sort_block_merge_config_selectorIlNS0_10empty_typeEEEZZNS1_27merge_sort_block_merge_implIS3_PlPS5_mZN2at6native12_GLOBAL__N_124unique_dim_cuda_templateIsEESt5tupleIJNSA_6TensorESF_SF_EERKSF_lbbbEUlllE_EE10hipError_tT0_T1_T2_jT3_P12ihipStream_tbPNSt15iterator_traitsISL_E10value_typeEPNSR_ISM_E10value_typeEPSN_NS1_7vsmem_tEENKUlT_SL_SM_SN_E_clIS8_S8_S9_S9_EESK_S10_SL_SM_SN_EUlS10_E1_NS1_11comp_targetILNS1_3genE5ELNS1_11target_archE942ELNS1_3gpuE9ELNS1_3repE0EEENS1_36merge_oddeven_config_static_selectorELNS0_4arch9wavefront6targetE1EEEvSM_,comdat
.Lfunc_end654:
	.size	_ZN7rocprim17ROCPRIM_400000_NS6detail17trampoline_kernelINS0_14default_configENS1_38merge_sort_block_merge_config_selectorIlNS0_10empty_typeEEEZZNS1_27merge_sort_block_merge_implIS3_PlPS5_mZN2at6native12_GLOBAL__N_124unique_dim_cuda_templateIsEESt5tupleIJNSA_6TensorESF_SF_EERKSF_lbbbEUlllE_EE10hipError_tT0_T1_T2_jT3_P12ihipStream_tbPNSt15iterator_traitsISL_E10value_typeEPNSR_ISM_E10value_typeEPSN_NS1_7vsmem_tEENKUlT_SL_SM_SN_E_clIS8_S8_S9_S9_EESK_S10_SL_SM_SN_EUlS10_E1_NS1_11comp_targetILNS1_3genE5ELNS1_11target_archE942ELNS1_3gpuE9ELNS1_3repE0EEENS1_36merge_oddeven_config_static_selectorELNS0_4arch9wavefront6targetE1EEEvSM_, .Lfunc_end654-_ZN7rocprim17ROCPRIM_400000_NS6detail17trampoline_kernelINS0_14default_configENS1_38merge_sort_block_merge_config_selectorIlNS0_10empty_typeEEEZZNS1_27merge_sort_block_merge_implIS3_PlPS5_mZN2at6native12_GLOBAL__N_124unique_dim_cuda_templateIsEESt5tupleIJNSA_6TensorESF_SF_EERKSF_lbbbEUlllE_EE10hipError_tT0_T1_T2_jT3_P12ihipStream_tbPNSt15iterator_traitsISL_E10value_typeEPNSR_ISM_E10value_typeEPSN_NS1_7vsmem_tEENKUlT_SL_SM_SN_E_clIS8_S8_S9_S9_EESK_S10_SL_SM_SN_EUlS10_E1_NS1_11comp_targetILNS1_3genE5ELNS1_11target_archE942ELNS1_3gpuE9ELNS1_3repE0EEENS1_36merge_oddeven_config_static_selectorELNS0_4arch9wavefront6targetE1EEEvSM_
                                        ; -- End function
	.section	.AMDGPU.csdata,"",@progbits
; Kernel info:
; codeLenInByte = 0
; NumSgprs: 4
; NumVgprs: 0
; NumAgprs: 0
; TotalNumVgprs: 0
; ScratchSize: 0
; MemoryBound: 0
; FloatMode: 240
; IeeeMode: 1
; LDSByteSize: 0 bytes/workgroup (compile time only)
; SGPRBlocks: 0
; VGPRBlocks: 0
; NumSGPRsForWavesPerEU: 4
; NumVGPRsForWavesPerEU: 1
; AccumOffset: 4
; Occupancy: 8
; WaveLimiterHint : 0
; COMPUTE_PGM_RSRC2:SCRATCH_EN: 0
; COMPUTE_PGM_RSRC2:USER_SGPR: 6
; COMPUTE_PGM_RSRC2:TRAP_HANDLER: 0
; COMPUTE_PGM_RSRC2:TGID_X_EN: 1
; COMPUTE_PGM_RSRC2:TGID_Y_EN: 0
; COMPUTE_PGM_RSRC2:TGID_Z_EN: 0
; COMPUTE_PGM_RSRC2:TIDIG_COMP_CNT: 0
; COMPUTE_PGM_RSRC3_GFX90A:ACCUM_OFFSET: 0
; COMPUTE_PGM_RSRC3_GFX90A:TG_SPLIT: 0
	.section	.text._ZN7rocprim17ROCPRIM_400000_NS6detail17trampoline_kernelINS0_14default_configENS1_38merge_sort_block_merge_config_selectorIlNS0_10empty_typeEEEZZNS1_27merge_sort_block_merge_implIS3_PlPS5_mZN2at6native12_GLOBAL__N_124unique_dim_cuda_templateIsEESt5tupleIJNSA_6TensorESF_SF_EERKSF_lbbbEUlllE_EE10hipError_tT0_T1_T2_jT3_P12ihipStream_tbPNSt15iterator_traitsISL_E10value_typeEPNSR_ISM_E10value_typeEPSN_NS1_7vsmem_tEENKUlT_SL_SM_SN_E_clIS8_S8_S9_S9_EESK_S10_SL_SM_SN_EUlS10_E1_NS1_11comp_targetILNS1_3genE4ELNS1_11target_archE910ELNS1_3gpuE8ELNS1_3repE0EEENS1_36merge_oddeven_config_static_selectorELNS0_4arch9wavefront6targetE1EEEvSM_,"axG",@progbits,_ZN7rocprim17ROCPRIM_400000_NS6detail17trampoline_kernelINS0_14default_configENS1_38merge_sort_block_merge_config_selectorIlNS0_10empty_typeEEEZZNS1_27merge_sort_block_merge_implIS3_PlPS5_mZN2at6native12_GLOBAL__N_124unique_dim_cuda_templateIsEESt5tupleIJNSA_6TensorESF_SF_EERKSF_lbbbEUlllE_EE10hipError_tT0_T1_T2_jT3_P12ihipStream_tbPNSt15iterator_traitsISL_E10value_typeEPNSR_ISM_E10value_typeEPSN_NS1_7vsmem_tEENKUlT_SL_SM_SN_E_clIS8_S8_S9_S9_EESK_S10_SL_SM_SN_EUlS10_E1_NS1_11comp_targetILNS1_3genE4ELNS1_11target_archE910ELNS1_3gpuE8ELNS1_3repE0EEENS1_36merge_oddeven_config_static_selectorELNS0_4arch9wavefront6targetE1EEEvSM_,comdat
	.globl	_ZN7rocprim17ROCPRIM_400000_NS6detail17trampoline_kernelINS0_14default_configENS1_38merge_sort_block_merge_config_selectorIlNS0_10empty_typeEEEZZNS1_27merge_sort_block_merge_implIS3_PlPS5_mZN2at6native12_GLOBAL__N_124unique_dim_cuda_templateIsEESt5tupleIJNSA_6TensorESF_SF_EERKSF_lbbbEUlllE_EE10hipError_tT0_T1_T2_jT3_P12ihipStream_tbPNSt15iterator_traitsISL_E10value_typeEPNSR_ISM_E10value_typeEPSN_NS1_7vsmem_tEENKUlT_SL_SM_SN_E_clIS8_S8_S9_S9_EESK_S10_SL_SM_SN_EUlS10_E1_NS1_11comp_targetILNS1_3genE4ELNS1_11target_archE910ELNS1_3gpuE8ELNS1_3repE0EEENS1_36merge_oddeven_config_static_selectorELNS0_4arch9wavefront6targetE1EEEvSM_ ; -- Begin function _ZN7rocprim17ROCPRIM_400000_NS6detail17trampoline_kernelINS0_14default_configENS1_38merge_sort_block_merge_config_selectorIlNS0_10empty_typeEEEZZNS1_27merge_sort_block_merge_implIS3_PlPS5_mZN2at6native12_GLOBAL__N_124unique_dim_cuda_templateIsEESt5tupleIJNSA_6TensorESF_SF_EERKSF_lbbbEUlllE_EE10hipError_tT0_T1_T2_jT3_P12ihipStream_tbPNSt15iterator_traitsISL_E10value_typeEPNSR_ISM_E10value_typeEPSN_NS1_7vsmem_tEENKUlT_SL_SM_SN_E_clIS8_S8_S9_S9_EESK_S10_SL_SM_SN_EUlS10_E1_NS1_11comp_targetILNS1_3genE4ELNS1_11target_archE910ELNS1_3gpuE8ELNS1_3repE0EEENS1_36merge_oddeven_config_static_selectorELNS0_4arch9wavefront6targetE1EEEvSM_
	.p2align	8
	.type	_ZN7rocprim17ROCPRIM_400000_NS6detail17trampoline_kernelINS0_14default_configENS1_38merge_sort_block_merge_config_selectorIlNS0_10empty_typeEEEZZNS1_27merge_sort_block_merge_implIS3_PlPS5_mZN2at6native12_GLOBAL__N_124unique_dim_cuda_templateIsEESt5tupleIJNSA_6TensorESF_SF_EERKSF_lbbbEUlllE_EE10hipError_tT0_T1_T2_jT3_P12ihipStream_tbPNSt15iterator_traitsISL_E10value_typeEPNSR_ISM_E10value_typeEPSN_NS1_7vsmem_tEENKUlT_SL_SM_SN_E_clIS8_S8_S9_S9_EESK_S10_SL_SM_SN_EUlS10_E1_NS1_11comp_targetILNS1_3genE4ELNS1_11target_archE910ELNS1_3gpuE8ELNS1_3repE0EEENS1_36merge_oddeven_config_static_selectorELNS0_4arch9wavefront6targetE1EEEvSM_,@function
_ZN7rocprim17ROCPRIM_400000_NS6detail17trampoline_kernelINS0_14default_configENS1_38merge_sort_block_merge_config_selectorIlNS0_10empty_typeEEEZZNS1_27merge_sort_block_merge_implIS3_PlPS5_mZN2at6native12_GLOBAL__N_124unique_dim_cuda_templateIsEESt5tupleIJNSA_6TensorESF_SF_EERKSF_lbbbEUlllE_EE10hipError_tT0_T1_T2_jT3_P12ihipStream_tbPNSt15iterator_traitsISL_E10value_typeEPNSR_ISM_E10value_typeEPSN_NS1_7vsmem_tEENKUlT_SL_SM_SN_E_clIS8_S8_S9_S9_EESK_S10_SL_SM_SN_EUlS10_E1_NS1_11comp_targetILNS1_3genE4ELNS1_11target_archE910ELNS1_3gpuE8ELNS1_3repE0EEENS1_36merge_oddeven_config_static_selectorELNS0_4arch9wavefront6targetE1EEEvSM_: ; @_ZN7rocprim17ROCPRIM_400000_NS6detail17trampoline_kernelINS0_14default_configENS1_38merge_sort_block_merge_config_selectorIlNS0_10empty_typeEEEZZNS1_27merge_sort_block_merge_implIS3_PlPS5_mZN2at6native12_GLOBAL__N_124unique_dim_cuda_templateIsEESt5tupleIJNSA_6TensorESF_SF_EERKSF_lbbbEUlllE_EE10hipError_tT0_T1_T2_jT3_P12ihipStream_tbPNSt15iterator_traitsISL_E10value_typeEPNSR_ISM_E10value_typeEPSN_NS1_7vsmem_tEENKUlT_SL_SM_SN_E_clIS8_S8_S9_S9_EESK_S10_SL_SM_SN_EUlS10_E1_NS1_11comp_targetILNS1_3genE4ELNS1_11target_archE910ELNS1_3gpuE8ELNS1_3repE0EEENS1_36merge_oddeven_config_static_selectorELNS0_4arch9wavefront6targetE1EEEvSM_
; %bb.0:
	s_load_dword s22, s[4:5], 0x20
	s_waitcnt lgkmcnt(0)
	s_lshr_b32 s0, s22, 8
	s_cmp_lg_u32 s6, s0
	s_cselect_b64 s[12:13], -1, 0
	s_cmp_eq_u32 s6, s0
	s_cselect_b64 s[2:3], -1, 0
	s_lshl_b32 s20, s6, 8
	s_sub_i32 s0, s22, s20
	v_cmp_gt_u32_e64 s[0:1], s0, v0
	s_or_b64 s[8:9], s[12:13], s[0:1]
	s_and_saveexec_b64 s[10:11], s[8:9]
	s_cbranch_execz .LBB655_54
; %bb.1:
	s_load_dwordx4 s[8:11], s[4:5], 0x0
	s_load_dword s23, s[4:5], 0x28
	s_mov_b32 s21, 0
	s_lshl_b64 s[14:15], s[20:21], 3
	v_lshlrev_b32_e32 v1, 3, v0
	s_waitcnt lgkmcnt(0)
	s_add_u32 s14, s8, s14
	s_addc_u32 s15, s9, s15
	global_load_dwordx2 v[2:3], v1, s[14:15]
	s_lshr_b32 s7, s23, 8
	s_sub_i32 s14, 0, s7
	s_and_b32 s6, s6, s14
	s_and_b32 s7, s6, s7
	s_cmp_lg_u32 s7, 0
	s_cselect_b64 s[16:17], -1, 0
	s_lshl_b32 s21, s6, 8
	s_sub_i32 s6, 0, s23
	s_cmp_eq_u32 s7, 0
	s_cselect_b32 s33, s23, s6
	s_add_i32 s33, s33, s21
	s_cmp_lt_u32 s33, s22
	s_cbranch_scc1 .LBB655_3
; %bb.2:
	v_add_u32_e32 v4, s20, v0
	v_cmp_gt_u32_e32 vcc, s22, v4
	s_or_b64 s[12:13], vcc, s[12:13]
	s_and_b64 s[18:19], s[12:13], exec
	s_cbranch_execz .LBB655_4
	s_branch .LBB655_52
.LBB655_3:
	s_mov_b64 s[18:19], 0
                                        ; implicit-def: $vgpr4
.LBB655_4:
	s_load_dwordx4 s[12:15], s[4:5], 0x30
	s_min_u32 s44, s33, s22
	s_add_i32 s4, s44, s23
	s_min_u32 s45, s4, s22
	s_min_u32 s4, s21, s44
	v_add_u32_e32 v0, s20, v0
	s_add_i32 s21, s21, s44
	v_subrev_u32_e32 v0, s21, v0
	v_add_u32_e32 v12, s4, v0
	s_and_b64 vcc, exec, s[2:3]
	s_cbranch_vccz .LBB655_26
; %bb.5:
                                        ; implicit-def: $vgpr4
	s_and_saveexec_b64 s[20:21], s[0:1]
	s_cbranch_execz .LBB655_29
; %bb.6:
	s_cmp_ge_u32 s33, s45
	v_mov_b32_e32 v13, s44
	s_cbranch_scc1 .LBB655_28
; %bb.7:
	s_waitcnt vmcnt(0) lgkmcnt(0)
	v_mul_lo_u32 v4, v3, s12
	v_mul_lo_u32 v5, v2, s13
	v_mad_u64_u32 v[0:1], s[0:1], v2, s12, 0
	v_add3_u32 v1, v1, v5, v4
	v_lshlrev_b64 v[0:1], 1, v[0:1]
	v_mov_b32_e32 v4, s15
	v_add_co_u32_e32 v0, vcc, s14, v0
	v_addc_co_u32_e32 v1, vcc, v4, v1, vcc
	v_cndmask_b32_e64 v4, 0, 1, s[16:17]
	v_cmp_gt_i64_e64 s[2:3], s[12:13], 0
	v_cmp_ne_u32_e64 s[0:1], 1, v4
	v_cndmask_b32_e64 v4, 0, 1, s[2:3]
	s_mov_b64 s[22:23], 0
	s_lshl_b64 s[24:25], s[12:13], 1
	v_mov_b32_e32 v14, s45
	v_mov_b32_e32 v13, s44
	;; [unrolled: 1-line block ×4, first 2 shown]
	v_cmp_ne_u32_e64 s[2:3], 1, v4
	s_branch .LBB655_10
.LBB655_8:                              ;   in Loop: Header=BB655_10 Depth=1
	s_or_b64 exec, exec, s[28:29]
.LBB655_9:                              ;   in Loop: Header=BB655_10 Depth=1
	s_waitcnt vmcnt(0)
	v_add_u32_e32 v6, 1, v4
	v_cndmask_b32_e64 v14, v4, v14, s[26:27]
	v_cndmask_b32_e64 v13, v13, v6, s[26:27]
	v_cmp_ge_u32_e32 vcc, v13, v14
	s_or_b64 s[22:23], vcc, s[22:23]
	s_andn2_b64 exec, exec, s[22:23]
	s_cbranch_execz .LBB655_27
.LBB655_10:                             ; =>This Loop Header: Depth=1
                                        ;     Child Loop BB655_14 Depth 2
                                        ;     Child Loop BB655_23 Depth 2
	v_add_u32_e32 v4, v13, v14
	v_lshrrev_b32_e32 v4, 1, v4
	v_lshlrev_b64 v[6:7], 3, v[4:5]
	v_add_co_u32_e32 v6, vcc, s8, v6
	v_addc_co_u32_e32 v7, vcc, v15, v7, vcc
	global_load_dwordx2 v[6:7], v[6:7], off
	s_and_b64 vcc, exec, s[0:1]
	s_mov_b64 s[4:5], -1
                                        ; implicit-def: $sgpr26_sgpr27
	s_cbranch_vccnz .LBB655_19
; %bb.11:                               ;   in Loop: Header=BB655_10 Depth=1
	s_and_b64 vcc, exec, s[2:3]
	s_cbranch_vccnz .LBB655_17
; %bb.12:                               ;   in Loop: Header=BB655_10 Depth=1
	v_pk_mov_b32 v[8:9], s[14:15], s[14:15] op_sel:[0,1]
	s_waitcnt vmcnt(0)
	v_mad_u64_u32 v[8:9], s[4:5], s24, v6, v[8:9]
	v_mul_lo_u32 v10, s24, v7
	v_mul_lo_u32 v11, s25, v6
	v_add3_u32 v9, v11, v9, v10
	s_mov_b64 s[28:29], 0
	s_mov_b64 s[36:37], s[12:13]
	v_pk_mov_b32 v[10:11], v[0:1], v[0:1] op_sel:[0,1]
                                        ; implicit-def: $sgpr26_sgpr27
                                        ; implicit-def: $sgpr30_sgpr31
                                        ; implicit-def: $sgpr34_sgpr35
                                        ; implicit-def: $sgpr4_sgpr5
                                        ; implicit-def: $sgpr38_sgpr39
	s_branch .LBB655_14
.LBB655_13:                             ;   in Loop: Header=BB655_14 Depth=2
	s_or_b64 exec, exec, s[40:41]
	s_and_b64 s[6:7], exec, s[30:31]
	s_or_b64 s[28:29], s[6:7], s[28:29]
	s_andn2_b64 s[6:7], s[38:39], exec
	s_and_b64 s[38:39], s[34:35], exec
	s_or_b64 s[38:39], s[6:7], s[38:39]
	s_andn2_b64 s[6:7], s[26:27], exec
	s_and_b64 s[26:27], s[4:5], exec
	s_or_b64 s[26:27], s[6:7], s[26:27]
	s_andn2_b64 exec, exec, s[28:29]
	s_cbranch_execz .LBB655_16
.LBB655_14:                             ;   Parent Loop BB655_10 Depth=1
                                        ; =>  This Inner Loop Header: Depth=2
	global_load_ushort v16, v[10:11], off
	global_load_ushort v17, v[8:9], off
	s_andn2_b64 s[40:41], s[4:5], exec
	s_andn2_b64 s[34:35], s[34:35], exec
	s_or_b64 s[30:31], s[30:31], exec
	s_waitcnt vmcnt(0)
	v_cmp_le_i16_e64 s[4:5], v16, v17
	v_cmp_lt_i16_e32 vcc, v16, v17
	s_and_b64 s[4:5], s[4:5], s[38:39]
	s_or_b64 s[42:43], vcc, s[4:5]
	s_and_b64 s[4:5], s[42:43], exec
	v_cmp_eq_u16_e64 s[6:7], v16, v17
	s_or_b64 s[4:5], s[40:41], s[4:5]
	s_and_saveexec_b64 s[40:41], s[6:7]
	s_cbranch_execz .LBB655_13
; %bb.15:                               ;   in Loop: Header=BB655_14 Depth=2
	s_add_u32 s36, s36, -1
	s_addc_u32 s37, s37, -1
	v_add_co_u32_e32 v10, vcc, 2, v10
	s_cmp_eq_u64 s[36:37], 0
	v_addc_co_u32_e32 v11, vcc, 0, v11, vcc
	s_cselect_b64 s[6:7], -1, 0
	v_add_co_u32_e32 v8, vcc, 2, v8
	s_andn2_b64 s[34:35], s[34:35], exec
	s_and_b64 s[38:39], s[42:43], exec
	s_andn2_b64 s[30:31], s[30:31], exec
	s_and_b64 s[6:7], s[6:7], exec
	v_addc_co_u32_e32 v9, vcc, 0, v9, vcc
	s_andn2_b64 s[4:5], s[4:5], exec
	s_or_b64 s[34:35], s[34:35], s[38:39]
	s_or_b64 s[30:31], s[30:31], s[6:7]
                                        ; implicit-def: $sgpr38_sgpr39
	s_branch .LBB655_13
.LBB655_16:                             ;   in Loop: Header=BB655_10 Depth=1
	s_or_b64 exec, exec, s[28:29]
	s_branch .LBB655_18
.LBB655_17:                             ;   in Loop: Header=BB655_10 Depth=1
	s_mov_b64 s[26:27], 0
.LBB655_18:                             ;   in Loop: Header=BB655_10 Depth=1
	s_xor_b64 s[26:27], s[26:27], -1
	s_mov_b64 s[4:5], 0
.LBB655_19:                             ;   in Loop: Header=BB655_10 Depth=1
	s_and_b64 vcc, exec, s[4:5]
	s_cbranch_vccz .LBB655_9
; %bb.20:                               ;   in Loop: Header=BB655_10 Depth=1
	s_and_b64 vcc, exec, s[2:3]
	s_cbranch_vccnz .LBB655_25
; %bb.21:                               ;   in Loop: Header=BB655_10 Depth=1
	v_pk_mov_b32 v[8:9], s[14:15], s[14:15] op_sel:[0,1]
	s_waitcnt vmcnt(0)
	v_mad_u64_u32 v[8:9], s[4:5], s24, v6, v[8:9]
	v_mul_lo_u32 v7, s24, v7
	v_mul_lo_u32 v6, s25, v6
	v_add3_u32 v9, v6, v9, v7
	s_mov_b64 s[28:29], 0
	s_mov_b64 s[36:37], s[12:13]
	v_pk_mov_b32 v[6:7], v[0:1], v[0:1] op_sel:[0,1]
                                        ; implicit-def: $sgpr26_sgpr27
                                        ; implicit-def: $sgpr30_sgpr31
                                        ; implicit-def: $sgpr34_sgpr35
                                        ; implicit-def: $sgpr4_sgpr5
                                        ; implicit-def: $sgpr38_sgpr39
	s_branch .LBB655_23
.LBB655_22:                             ;   in Loop: Header=BB655_23 Depth=2
	s_or_b64 exec, exec, s[40:41]
	s_and_b64 s[6:7], exec, s[30:31]
	s_or_b64 s[28:29], s[6:7], s[28:29]
	s_andn2_b64 s[6:7], s[38:39], exec
	s_and_b64 s[38:39], s[34:35], exec
	s_or_b64 s[38:39], s[6:7], s[38:39]
	s_andn2_b64 s[6:7], s[26:27], exec
	s_and_b64 s[26:27], s[4:5], exec
	s_or_b64 s[26:27], s[6:7], s[26:27]
	s_andn2_b64 exec, exec, s[28:29]
	s_cbranch_execz .LBB655_8
.LBB655_23:                             ;   Parent Loop BB655_10 Depth=1
                                        ; =>  This Inner Loop Header: Depth=2
	global_load_ushort v10, v[8:9], off
	global_load_ushort v11, v[6:7], off
	s_andn2_b64 s[40:41], s[4:5], exec
	s_andn2_b64 s[34:35], s[34:35], exec
	s_or_b64 s[30:31], s[30:31], exec
	s_waitcnt vmcnt(0)
	v_cmp_le_i16_e64 s[4:5], v10, v11
	v_cmp_lt_i16_e32 vcc, v10, v11
	s_and_b64 s[4:5], s[4:5], s[38:39]
	s_or_b64 s[42:43], vcc, s[4:5]
	s_and_b64 s[4:5], s[42:43], exec
	v_cmp_eq_u16_e64 s[6:7], v10, v11
	s_or_b64 s[4:5], s[40:41], s[4:5]
	s_and_saveexec_b64 s[40:41], s[6:7]
	s_cbranch_execz .LBB655_22
; %bb.24:                               ;   in Loop: Header=BB655_23 Depth=2
	s_add_u32 s36, s36, -1
	s_addc_u32 s37, s37, -1
	v_add_co_u32_e32 v8, vcc, 2, v8
	s_cmp_eq_u64 s[36:37], 0
	v_addc_co_u32_e32 v9, vcc, 0, v9, vcc
	s_cselect_b64 s[6:7], -1, 0
	v_add_co_u32_e32 v6, vcc, 2, v6
	s_andn2_b64 s[34:35], s[34:35], exec
	s_and_b64 s[38:39], s[42:43], exec
	s_andn2_b64 s[30:31], s[30:31], exec
	s_and_b64 s[6:7], s[6:7], exec
	v_addc_co_u32_e32 v7, vcc, 0, v7, vcc
	s_andn2_b64 s[4:5], s[4:5], exec
	s_or_b64 s[34:35], s[34:35], s[38:39]
	s_or_b64 s[30:31], s[30:31], s[6:7]
                                        ; implicit-def: $sgpr38_sgpr39
	s_branch .LBB655_22
.LBB655_25:                             ;   in Loop: Header=BB655_10 Depth=1
	s_mov_b64 s[26:27], 0
	s_branch .LBB655_9
.LBB655_26:
                                        ; implicit-def: $vgpr4
	s_cbranch_execnz .LBB655_30
	s_branch .LBB655_52
.LBB655_27:
	s_or_b64 exec, exec, s[22:23]
.LBB655_28:
	v_add_u32_e32 v4, v13, v12
	s_or_b64 s[18:19], s[18:19], exec
.LBB655_29:
	s_or_b64 exec, exec, s[20:21]
	s_branch .LBB655_52
.LBB655_30:
	s_cmp_ge_u32 s33, s45
	v_mov_b32_e32 v13, s44
	s_cbranch_scc1 .LBB655_51
; %bb.31:
	s_waitcnt vmcnt(0) lgkmcnt(0)
	v_mul_lo_u32 v4, v3, s12
	v_mul_lo_u32 v5, v2, s13
	v_mad_u64_u32 v[0:1], s[0:1], v2, s12, 0
	v_add3_u32 v1, v1, v5, v4
	v_lshlrev_b64 v[0:1], 1, v[0:1]
	v_mov_b32_e32 v4, s15
	v_add_co_u32_e32 v0, vcc, s14, v0
	v_addc_co_u32_e32 v1, vcc, v4, v1, vcc
	v_cndmask_b32_e64 v4, 0, 1, s[16:17]
	v_cmp_gt_i64_e64 s[2:3], s[12:13], 0
	v_cmp_ne_u32_e64 s[0:1], 1, v4
	v_cndmask_b32_e64 v4, 0, 1, s[2:3]
	s_mov_b64 s[18:19], 0
	s_lshl_b64 s[20:21], s[12:13], 1
	v_mov_b32_e32 v14, s45
	v_mov_b32_e32 v13, s44
	v_mov_b32_e32 v5, 0
	v_mov_b32_e32 v15, s9
	v_cmp_ne_u32_e64 s[2:3], 1, v4
	s_branch .LBB655_34
.LBB655_32:                             ;   in Loop: Header=BB655_34 Depth=1
	s_or_b64 exec, exec, s[22:23]
.LBB655_33:                             ;   in Loop: Header=BB655_34 Depth=1
	s_waitcnt vmcnt(0)
	v_add_u32_e32 v6, 1, v4
	v_cndmask_b32_e64 v14, v4, v14, s[16:17]
	v_cndmask_b32_e64 v13, v13, v6, s[16:17]
	v_cmp_ge_u32_e32 vcc, v13, v14
	s_or_b64 s[18:19], vcc, s[18:19]
	s_andn2_b64 exec, exec, s[18:19]
	s_cbranch_execz .LBB655_50
.LBB655_34:                             ; =>This Loop Header: Depth=1
                                        ;     Child Loop BB655_38 Depth 2
                                        ;     Child Loop BB655_47 Depth 2
	v_add_u32_e32 v4, v13, v14
	v_lshrrev_b32_e32 v4, 1, v4
	v_lshlrev_b64 v[6:7], 3, v[4:5]
	v_add_co_u32_e32 v6, vcc, s8, v6
	v_addc_co_u32_e32 v7, vcc, v15, v7, vcc
	global_load_dwordx2 v[6:7], v[6:7], off
	s_and_b64 vcc, exec, s[0:1]
	s_mov_b64 s[4:5], -1
                                        ; implicit-def: $sgpr16_sgpr17
	s_cbranch_vccnz .LBB655_43
; %bb.35:                               ;   in Loop: Header=BB655_34 Depth=1
	s_and_b64 vcc, exec, s[2:3]
	s_cbranch_vccnz .LBB655_41
; %bb.36:                               ;   in Loop: Header=BB655_34 Depth=1
	v_pk_mov_b32 v[8:9], s[14:15], s[14:15] op_sel:[0,1]
	s_waitcnt vmcnt(0)
	v_mad_u64_u32 v[8:9], s[4:5], s20, v6, v[8:9]
	v_mul_lo_u32 v10, s20, v7
	v_mul_lo_u32 v11, s21, v6
	v_add3_u32 v9, v11, v9, v10
	s_mov_b64 s[22:23], 0
	s_mov_b64 s[28:29], s[12:13]
	v_pk_mov_b32 v[10:11], v[0:1], v[0:1] op_sel:[0,1]
                                        ; implicit-def: $sgpr16_sgpr17
                                        ; implicit-def: $sgpr24_sgpr25
                                        ; implicit-def: $sgpr26_sgpr27
                                        ; implicit-def: $sgpr4_sgpr5
                                        ; implicit-def: $sgpr30_sgpr31
	s_branch .LBB655_38
.LBB655_37:                             ;   in Loop: Header=BB655_38 Depth=2
	s_or_b64 exec, exec, s[34:35]
	s_and_b64 s[6:7], exec, s[24:25]
	s_or_b64 s[22:23], s[6:7], s[22:23]
	s_andn2_b64 s[6:7], s[30:31], exec
	s_and_b64 s[30:31], s[26:27], exec
	s_or_b64 s[30:31], s[6:7], s[30:31]
	s_andn2_b64 s[6:7], s[16:17], exec
	s_and_b64 s[16:17], s[4:5], exec
	s_or_b64 s[16:17], s[6:7], s[16:17]
	s_andn2_b64 exec, exec, s[22:23]
	s_cbranch_execz .LBB655_40
.LBB655_38:                             ;   Parent Loop BB655_34 Depth=1
                                        ; =>  This Inner Loop Header: Depth=2
	global_load_ushort v16, v[10:11], off
	global_load_ushort v17, v[8:9], off
	s_andn2_b64 s[34:35], s[4:5], exec
	s_andn2_b64 s[26:27], s[26:27], exec
	s_or_b64 s[24:25], s[24:25], exec
	s_waitcnt vmcnt(0)
	v_cmp_le_i16_e64 s[4:5], v16, v17
	v_cmp_lt_i16_e32 vcc, v16, v17
	s_and_b64 s[4:5], s[4:5], s[30:31]
	s_or_b64 s[36:37], vcc, s[4:5]
	s_and_b64 s[4:5], s[36:37], exec
	v_cmp_eq_u16_e64 s[6:7], v16, v17
	s_or_b64 s[4:5], s[34:35], s[4:5]
	s_and_saveexec_b64 s[34:35], s[6:7]
	s_cbranch_execz .LBB655_37
; %bb.39:                               ;   in Loop: Header=BB655_38 Depth=2
	s_add_u32 s28, s28, -1
	s_addc_u32 s29, s29, -1
	v_add_co_u32_e32 v10, vcc, 2, v10
	s_cmp_eq_u64 s[28:29], 0
	v_addc_co_u32_e32 v11, vcc, 0, v11, vcc
	s_cselect_b64 s[6:7], -1, 0
	v_add_co_u32_e32 v8, vcc, 2, v8
	s_andn2_b64 s[26:27], s[26:27], exec
	s_and_b64 s[30:31], s[36:37], exec
	s_andn2_b64 s[24:25], s[24:25], exec
	s_and_b64 s[6:7], s[6:7], exec
	v_addc_co_u32_e32 v9, vcc, 0, v9, vcc
	s_andn2_b64 s[4:5], s[4:5], exec
	s_or_b64 s[26:27], s[26:27], s[30:31]
	s_or_b64 s[24:25], s[24:25], s[6:7]
                                        ; implicit-def: $sgpr30_sgpr31
	s_branch .LBB655_37
.LBB655_40:                             ;   in Loop: Header=BB655_34 Depth=1
	s_or_b64 exec, exec, s[22:23]
	s_branch .LBB655_42
.LBB655_41:                             ;   in Loop: Header=BB655_34 Depth=1
	s_mov_b64 s[16:17], 0
.LBB655_42:                             ;   in Loop: Header=BB655_34 Depth=1
	s_xor_b64 s[16:17], s[16:17], -1
	s_mov_b64 s[4:5], 0
.LBB655_43:                             ;   in Loop: Header=BB655_34 Depth=1
	s_and_b64 vcc, exec, s[4:5]
	s_cbranch_vccz .LBB655_33
; %bb.44:                               ;   in Loop: Header=BB655_34 Depth=1
	s_and_b64 vcc, exec, s[2:3]
	s_cbranch_vccnz .LBB655_49
; %bb.45:                               ;   in Loop: Header=BB655_34 Depth=1
	v_pk_mov_b32 v[8:9], s[14:15], s[14:15] op_sel:[0,1]
	s_waitcnt vmcnt(0)
	v_mad_u64_u32 v[8:9], s[4:5], s20, v6, v[8:9]
	v_mul_lo_u32 v7, s20, v7
	v_mul_lo_u32 v6, s21, v6
	v_add3_u32 v9, v6, v9, v7
	s_mov_b64 s[22:23], 0
	s_mov_b64 s[28:29], s[12:13]
	v_pk_mov_b32 v[6:7], v[0:1], v[0:1] op_sel:[0,1]
                                        ; implicit-def: $sgpr16_sgpr17
                                        ; implicit-def: $sgpr24_sgpr25
                                        ; implicit-def: $sgpr26_sgpr27
                                        ; implicit-def: $sgpr4_sgpr5
                                        ; implicit-def: $sgpr30_sgpr31
	s_branch .LBB655_47
.LBB655_46:                             ;   in Loop: Header=BB655_47 Depth=2
	s_or_b64 exec, exec, s[34:35]
	s_and_b64 s[6:7], exec, s[24:25]
	s_or_b64 s[22:23], s[6:7], s[22:23]
	s_andn2_b64 s[6:7], s[30:31], exec
	s_and_b64 s[30:31], s[26:27], exec
	s_or_b64 s[30:31], s[6:7], s[30:31]
	s_andn2_b64 s[6:7], s[16:17], exec
	s_and_b64 s[16:17], s[4:5], exec
	s_or_b64 s[16:17], s[6:7], s[16:17]
	s_andn2_b64 exec, exec, s[22:23]
	s_cbranch_execz .LBB655_32
.LBB655_47:                             ;   Parent Loop BB655_34 Depth=1
                                        ; =>  This Inner Loop Header: Depth=2
	global_load_ushort v10, v[8:9], off
	global_load_ushort v11, v[6:7], off
	s_andn2_b64 s[34:35], s[4:5], exec
	s_andn2_b64 s[26:27], s[26:27], exec
	s_or_b64 s[24:25], s[24:25], exec
	s_waitcnt vmcnt(0)
	v_cmp_le_i16_e64 s[4:5], v10, v11
	v_cmp_lt_i16_e32 vcc, v10, v11
	s_and_b64 s[4:5], s[4:5], s[30:31]
	s_or_b64 s[36:37], vcc, s[4:5]
	s_and_b64 s[4:5], s[36:37], exec
	v_cmp_eq_u16_e64 s[6:7], v10, v11
	s_or_b64 s[4:5], s[34:35], s[4:5]
	s_and_saveexec_b64 s[34:35], s[6:7]
	s_cbranch_execz .LBB655_46
; %bb.48:                               ;   in Loop: Header=BB655_47 Depth=2
	s_add_u32 s28, s28, -1
	s_addc_u32 s29, s29, -1
	v_add_co_u32_e32 v8, vcc, 2, v8
	s_cmp_eq_u64 s[28:29], 0
	v_addc_co_u32_e32 v9, vcc, 0, v9, vcc
	s_cselect_b64 s[6:7], -1, 0
	v_add_co_u32_e32 v6, vcc, 2, v6
	s_andn2_b64 s[26:27], s[26:27], exec
	s_and_b64 s[30:31], s[36:37], exec
	s_andn2_b64 s[24:25], s[24:25], exec
	s_and_b64 s[6:7], s[6:7], exec
	v_addc_co_u32_e32 v7, vcc, 0, v7, vcc
	s_andn2_b64 s[4:5], s[4:5], exec
	s_or_b64 s[26:27], s[26:27], s[30:31]
	s_or_b64 s[24:25], s[24:25], s[6:7]
                                        ; implicit-def: $sgpr30_sgpr31
	s_branch .LBB655_46
.LBB655_49:                             ;   in Loop: Header=BB655_34 Depth=1
	s_mov_b64 s[16:17], 0
	s_branch .LBB655_33
.LBB655_50:
	s_or_b64 exec, exec, s[18:19]
.LBB655_51:
	v_add_u32_e32 v4, v13, v12
	s_mov_b64 s[18:19], -1
.LBB655_52:
	s_and_b64 exec, exec, s[18:19]
	s_cbranch_execz .LBB655_54
; %bb.53:
	v_mov_b32_e32 v5, 0
	v_lshlrev_b64 v[0:1], 3, v[4:5]
	v_mov_b32_e32 v4, s11
	v_add_co_u32_e32 v0, vcc, s10, v0
	v_addc_co_u32_e32 v1, vcc, v4, v1, vcc
	s_waitcnt vmcnt(0)
	global_store_dwordx2 v[0:1], v[2:3], off
.LBB655_54:
	s_endpgm
	.section	.rodata,"a",@progbits
	.p2align	6, 0x0
	.amdhsa_kernel _ZN7rocprim17ROCPRIM_400000_NS6detail17trampoline_kernelINS0_14default_configENS1_38merge_sort_block_merge_config_selectorIlNS0_10empty_typeEEEZZNS1_27merge_sort_block_merge_implIS3_PlPS5_mZN2at6native12_GLOBAL__N_124unique_dim_cuda_templateIsEESt5tupleIJNSA_6TensorESF_SF_EERKSF_lbbbEUlllE_EE10hipError_tT0_T1_T2_jT3_P12ihipStream_tbPNSt15iterator_traitsISL_E10value_typeEPNSR_ISM_E10value_typeEPSN_NS1_7vsmem_tEENKUlT_SL_SM_SN_E_clIS8_S8_S9_S9_EESK_S10_SL_SM_SN_EUlS10_E1_NS1_11comp_targetILNS1_3genE4ELNS1_11target_archE910ELNS1_3gpuE8ELNS1_3repE0EEENS1_36merge_oddeven_config_static_selectorELNS0_4arch9wavefront6targetE1EEEvSM_
		.amdhsa_group_segment_fixed_size 0
		.amdhsa_private_segment_fixed_size 0
		.amdhsa_kernarg_size 64
		.amdhsa_user_sgpr_count 6
		.amdhsa_user_sgpr_private_segment_buffer 1
		.amdhsa_user_sgpr_dispatch_ptr 0
		.amdhsa_user_sgpr_queue_ptr 0
		.amdhsa_user_sgpr_kernarg_segment_ptr 1
		.amdhsa_user_sgpr_dispatch_id 0
		.amdhsa_user_sgpr_flat_scratch_init 0
		.amdhsa_user_sgpr_kernarg_preload_length 0
		.amdhsa_user_sgpr_kernarg_preload_offset 0
		.amdhsa_user_sgpr_private_segment_size 0
		.amdhsa_uses_dynamic_stack 0
		.amdhsa_system_sgpr_private_segment_wavefront_offset 0
		.amdhsa_system_sgpr_workgroup_id_x 1
		.amdhsa_system_sgpr_workgroup_id_y 0
		.amdhsa_system_sgpr_workgroup_id_z 0
		.amdhsa_system_sgpr_workgroup_info 0
		.amdhsa_system_vgpr_workitem_id 0
		.amdhsa_next_free_vgpr 18
		.amdhsa_next_free_sgpr 46
		.amdhsa_accum_offset 20
		.amdhsa_reserve_vcc 1
		.amdhsa_reserve_flat_scratch 0
		.amdhsa_float_round_mode_32 0
		.amdhsa_float_round_mode_16_64 0
		.amdhsa_float_denorm_mode_32 3
		.amdhsa_float_denorm_mode_16_64 3
		.amdhsa_dx10_clamp 1
		.amdhsa_ieee_mode 1
		.amdhsa_fp16_overflow 0
		.amdhsa_tg_split 0
		.amdhsa_exception_fp_ieee_invalid_op 0
		.amdhsa_exception_fp_denorm_src 0
		.amdhsa_exception_fp_ieee_div_zero 0
		.amdhsa_exception_fp_ieee_overflow 0
		.amdhsa_exception_fp_ieee_underflow 0
		.amdhsa_exception_fp_ieee_inexact 0
		.amdhsa_exception_int_div_zero 0
	.end_amdhsa_kernel
	.section	.text._ZN7rocprim17ROCPRIM_400000_NS6detail17trampoline_kernelINS0_14default_configENS1_38merge_sort_block_merge_config_selectorIlNS0_10empty_typeEEEZZNS1_27merge_sort_block_merge_implIS3_PlPS5_mZN2at6native12_GLOBAL__N_124unique_dim_cuda_templateIsEESt5tupleIJNSA_6TensorESF_SF_EERKSF_lbbbEUlllE_EE10hipError_tT0_T1_T2_jT3_P12ihipStream_tbPNSt15iterator_traitsISL_E10value_typeEPNSR_ISM_E10value_typeEPSN_NS1_7vsmem_tEENKUlT_SL_SM_SN_E_clIS8_S8_S9_S9_EESK_S10_SL_SM_SN_EUlS10_E1_NS1_11comp_targetILNS1_3genE4ELNS1_11target_archE910ELNS1_3gpuE8ELNS1_3repE0EEENS1_36merge_oddeven_config_static_selectorELNS0_4arch9wavefront6targetE1EEEvSM_,"axG",@progbits,_ZN7rocprim17ROCPRIM_400000_NS6detail17trampoline_kernelINS0_14default_configENS1_38merge_sort_block_merge_config_selectorIlNS0_10empty_typeEEEZZNS1_27merge_sort_block_merge_implIS3_PlPS5_mZN2at6native12_GLOBAL__N_124unique_dim_cuda_templateIsEESt5tupleIJNSA_6TensorESF_SF_EERKSF_lbbbEUlllE_EE10hipError_tT0_T1_T2_jT3_P12ihipStream_tbPNSt15iterator_traitsISL_E10value_typeEPNSR_ISM_E10value_typeEPSN_NS1_7vsmem_tEENKUlT_SL_SM_SN_E_clIS8_S8_S9_S9_EESK_S10_SL_SM_SN_EUlS10_E1_NS1_11comp_targetILNS1_3genE4ELNS1_11target_archE910ELNS1_3gpuE8ELNS1_3repE0EEENS1_36merge_oddeven_config_static_selectorELNS0_4arch9wavefront6targetE1EEEvSM_,comdat
.Lfunc_end655:
	.size	_ZN7rocprim17ROCPRIM_400000_NS6detail17trampoline_kernelINS0_14default_configENS1_38merge_sort_block_merge_config_selectorIlNS0_10empty_typeEEEZZNS1_27merge_sort_block_merge_implIS3_PlPS5_mZN2at6native12_GLOBAL__N_124unique_dim_cuda_templateIsEESt5tupleIJNSA_6TensorESF_SF_EERKSF_lbbbEUlllE_EE10hipError_tT0_T1_T2_jT3_P12ihipStream_tbPNSt15iterator_traitsISL_E10value_typeEPNSR_ISM_E10value_typeEPSN_NS1_7vsmem_tEENKUlT_SL_SM_SN_E_clIS8_S8_S9_S9_EESK_S10_SL_SM_SN_EUlS10_E1_NS1_11comp_targetILNS1_3genE4ELNS1_11target_archE910ELNS1_3gpuE8ELNS1_3repE0EEENS1_36merge_oddeven_config_static_selectorELNS0_4arch9wavefront6targetE1EEEvSM_, .Lfunc_end655-_ZN7rocprim17ROCPRIM_400000_NS6detail17trampoline_kernelINS0_14default_configENS1_38merge_sort_block_merge_config_selectorIlNS0_10empty_typeEEEZZNS1_27merge_sort_block_merge_implIS3_PlPS5_mZN2at6native12_GLOBAL__N_124unique_dim_cuda_templateIsEESt5tupleIJNSA_6TensorESF_SF_EERKSF_lbbbEUlllE_EE10hipError_tT0_T1_T2_jT3_P12ihipStream_tbPNSt15iterator_traitsISL_E10value_typeEPNSR_ISM_E10value_typeEPSN_NS1_7vsmem_tEENKUlT_SL_SM_SN_E_clIS8_S8_S9_S9_EESK_S10_SL_SM_SN_EUlS10_E1_NS1_11comp_targetILNS1_3genE4ELNS1_11target_archE910ELNS1_3gpuE8ELNS1_3repE0EEENS1_36merge_oddeven_config_static_selectorELNS0_4arch9wavefront6targetE1EEEvSM_
                                        ; -- End function
	.section	.AMDGPU.csdata,"",@progbits
; Kernel info:
; codeLenInByte = 1876
; NumSgprs: 50
; NumVgprs: 18
; NumAgprs: 0
; TotalNumVgprs: 18
; ScratchSize: 0
; MemoryBound: 0
; FloatMode: 240
; IeeeMode: 1
; LDSByteSize: 0 bytes/workgroup (compile time only)
; SGPRBlocks: 6
; VGPRBlocks: 2
; NumSGPRsForWavesPerEU: 50
; NumVGPRsForWavesPerEU: 18
; AccumOffset: 20
; Occupancy: 8
; WaveLimiterHint : 0
; COMPUTE_PGM_RSRC2:SCRATCH_EN: 0
; COMPUTE_PGM_RSRC2:USER_SGPR: 6
; COMPUTE_PGM_RSRC2:TRAP_HANDLER: 0
; COMPUTE_PGM_RSRC2:TGID_X_EN: 1
; COMPUTE_PGM_RSRC2:TGID_Y_EN: 0
; COMPUTE_PGM_RSRC2:TGID_Z_EN: 0
; COMPUTE_PGM_RSRC2:TIDIG_COMP_CNT: 0
; COMPUTE_PGM_RSRC3_GFX90A:ACCUM_OFFSET: 4
; COMPUTE_PGM_RSRC3_GFX90A:TG_SPLIT: 0
	.section	.text._ZN7rocprim17ROCPRIM_400000_NS6detail17trampoline_kernelINS0_14default_configENS1_38merge_sort_block_merge_config_selectorIlNS0_10empty_typeEEEZZNS1_27merge_sort_block_merge_implIS3_PlPS5_mZN2at6native12_GLOBAL__N_124unique_dim_cuda_templateIsEESt5tupleIJNSA_6TensorESF_SF_EERKSF_lbbbEUlllE_EE10hipError_tT0_T1_T2_jT3_P12ihipStream_tbPNSt15iterator_traitsISL_E10value_typeEPNSR_ISM_E10value_typeEPSN_NS1_7vsmem_tEENKUlT_SL_SM_SN_E_clIS8_S8_S9_S9_EESK_S10_SL_SM_SN_EUlS10_E1_NS1_11comp_targetILNS1_3genE3ELNS1_11target_archE908ELNS1_3gpuE7ELNS1_3repE0EEENS1_36merge_oddeven_config_static_selectorELNS0_4arch9wavefront6targetE1EEEvSM_,"axG",@progbits,_ZN7rocprim17ROCPRIM_400000_NS6detail17trampoline_kernelINS0_14default_configENS1_38merge_sort_block_merge_config_selectorIlNS0_10empty_typeEEEZZNS1_27merge_sort_block_merge_implIS3_PlPS5_mZN2at6native12_GLOBAL__N_124unique_dim_cuda_templateIsEESt5tupleIJNSA_6TensorESF_SF_EERKSF_lbbbEUlllE_EE10hipError_tT0_T1_T2_jT3_P12ihipStream_tbPNSt15iterator_traitsISL_E10value_typeEPNSR_ISM_E10value_typeEPSN_NS1_7vsmem_tEENKUlT_SL_SM_SN_E_clIS8_S8_S9_S9_EESK_S10_SL_SM_SN_EUlS10_E1_NS1_11comp_targetILNS1_3genE3ELNS1_11target_archE908ELNS1_3gpuE7ELNS1_3repE0EEENS1_36merge_oddeven_config_static_selectorELNS0_4arch9wavefront6targetE1EEEvSM_,comdat
	.globl	_ZN7rocprim17ROCPRIM_400000_NS6detail17trampoline_kernelINS0_14default_configENS1_38merge_sort_block_merge_config_selectorIlNS0_10empty_typeEEEZZNS1_27merge_sort_block_merge_implIS3_PlPS5_mZN2at6native12_GLOBAL__N_124unique_dim_cuda_templateIsEESt5tupleIJNSA_6TensorESF_SF_EERKSF_lbbbEUlllE_EE10hipError_tT0_T1_T2_jT3_P12ihipStream_tbPNSt15iterator_traitsISL_E10value_typeEPNSR_ISM_E10value_typeEPSN_NS1_7vsmem_tEENKUlT_SL_SM_SN_E_clIS8_S8_S9_S9_EESK_S10_SL_SM_SN_EUlS10_E1_NS1_11comp_targetILNS1_3genE3ELNS1_11target_archE908ELNS1_3gpuE7ELNS1_3repE0EEENS1_36merge_oddeven_config_static_selectorELNS0_4arch9wavefront6targetE1EEEvSM_ ; -- Begin function _ZN7rocprim17ROCPRIM_400000_NS6detail17trampoline_kernelINS0_14default_configENS1_38merge_sort_block_merge_config_selectorIlNS0_10empty_typeEEEZZNS1_27merge_sort_block_merge_implIS3_PlPS5_mZN2at6native12_GLOBAL__N_124unique_dim_cuda_templateIsEESt5tupleIJNSA_6TensorESF_SF_EERKSF_lbbbEUlllE_EE10hipError_tT0_T1_T2_jT3_P12ihipStream_tbPNSt15iterator_traitsISL_E10value_typeEPNSR_ISM_E10value_typeEPSN_NS1_7vsmem_tEENKUlT_SL_SM_SN_E_clIS8_S8_S9_S9_EESK_S10_SL_SM_SN_EUlS10_E1_NS1_11comp_targetILNS1_3genE3ELNS1_11target_archE908ELNS1_3gpuE7ELNS1_3repE0EEENS1_36merge_oddeven_config_static_selectorELNS0_4arch9wavefront6targetE1EEEvSM_
	.p2align	8
	.type	_ZN7rocprim17ROCPRIM_400000_NS6detail17trampoline_kernelINS0_14default_configENS1_38merge_sort_block_merge_config_selectorIlNS0_10empty_typeEEEZZNS1_27merge_sort_block_merge_implIS3_PlPS5_mZN2at6native12_GLOBAL__N_124unique_dim_cuda_templateIsEESt5tupleIJNSA_6TensorESF_SF_EERKSF_lbbbEUlllE_EE10hipError_tT0_T1_T2_jT3_P12ihipStream_tbPNSt15iterator_traitsISL_E10value_typeEPNSR_ISM_E10value_typeEPSN_NS1_7vsmem_tEENKUlT_SL_SM_SN_E_clIS8_S8_S9_S9_EESK_S10_SL_SM_SN_EUlS10_E1_NS1_11comp_targetILNS1_3genE3ELNS1_11target_archE908ELNS1_3gpuE7ELNS1_3repE0EEENS1_36merge_oddeven_config_static_selectorELNS0_4arch9wavefront6targetE1EEEvSM_,@function
_ZN7rocprim17ROCPRIM_400000_NS6detail17trampoline_kernelINS0_14default_configENS1_38merge_sort_block_merge_config_selectorIlNS0_10empty_typeEEEZZNS1_27merge_sort_block_merge_implIS3_PlPS5_mZN2at6native12_GLOBAL__N_124unique_dim_cuda_templateIsEESt5tupleIJNSA_6TensorESF_SF_EERKSF_lbbbEUlllE_EE10hipError_tT0_T1_T2_jT3_P12ihipStream_tbPNSt15iterator_traitsISL_E10value_typeEPNSR_ISM_E10value_typeEPSN_NS1_7vsmem_tEENKUlT_SL_SM_SN_E_clIS8_S8_S9_S9_EESK_S10_SL_SM_SN_EUlS10_E1_NS1_11comp_targetILNS1_3genE3ELNS1_11target_archE908ELNS1_3gpuE7ELNS1_3repE0EEENS1_36merge_oddeven_config_static_selectorELNS0_4arch9wavefront6targetE1EEEvSM_: ; @_ZN7rocprim17ROCPRIM_400000_NS6detail17trampoline_kernelINS0_14default_configENS1_38merge_sort_block_merge_config_selectorIlNS0_10empty_typeEEEZZNS1_27merge_sort_block_merge_implIS3_PlPS5_mZN2at6native12_GLOBAL__N_124unique_dim_cuda_templateIsEESt5tupleIJNSA_6TensorESF_SF_EERKSF_lbbbEUlllE_EE10hipError_tT0_T1_T2_jT3_P12ihipStream_tbPNSt15iterator_traitsISL_E10value_typeEPNSR_ISM_E10value_typeEPSN_NS1_7vsmem_tEENKUlT_SL_SM_SN_E_clIS8_S8_S9_S9_EESK_S10_SL_SM_SN_EUlS10_E1_NS1_11comp_targetILNS1_3genE3ELNS1_11target_archE908ELNS1_3gpuE7ELNS1_3repE0EEENS1_36merge_oddeven_config_static_selectorELNS0_4arch9wavefront6targetE1EEEvSM_
; %bb.0:
	.section	.rodata,"a",@progbits
	.p2align	6, 0x0
	.amdhsa_kernel _ZN7rocprim17ROCPRIM_400000_NS6detail17trampoline_kernelINS0_14default_configENS1_38merge_sort_block_merge_config_selectorIlNS0_10empty_typeEEEZZNS1_27merge_sort_block_merge_implIS3_PlPS5_mZN2at6native12_GLOBAL__N_124unique_dim_cuda_templateIsEESt5tupleIJNSA_6TensorESF_SF_EERKSF_lbbbEUlllE_EE10hipError_tT0_T1_T2_jT3_P12ihipStream_tbPNSt15iterator_traitsISL_E10value_typeEPNSR_ISM_E10value_typeEPSN_NS1_7vsmem_tEENKUlT_SL_SM_SN_E_clIS8_S8_S9_S9_EESK_S10_SL_SM_SN_EUlS10_E1_NS1_11comp_targetILNS1_3genE3ELNS1_11target_archE908ELNS1_3gpuE7ELNS1_3repE0EEENS1_36merge_oddeven_config_static_selectorELNS0_4arch9wavefront6targetE1EEEvSM_
		.amdhsa_group_segment_fixed_size 0
		.amdhsa_private_segment_fixed_size 0
		.amdhsa_kernarg_size 64
		.amdhsa_user_sgpr_count 6
		.amdhsa_user_sgpr_private_segment_buffer 1
		.amdhsa_user_sgpr_dispatch_ptr 0
		.amdhsa_user_sgpr_queue_ptr 0
		.amdhsa_user_sgpr_kernarg_segment_ptr 1
		.amdhsa_user_sgpr_dispatch_id 0
		.amdhsa_user_sgpr_flat_scratch_init 0
		.amdhsa_user_sgpr_kernarg_preload_length 0
		.amdhsa_user_sgpr_kernarg_preload_offset 0
		.amdhsa_user_sgpr_private_segment_size 0
		.amdhsa_uses_dynamic_stack 0
		.amdhsa_system_sgpr_private_segment_wavefront_offset 0
		.amdhsa_system_sgpr_workgroup_id_x 1
		.amdhsa_system_sgpr_workgroup_id_y 0
		.amdhsa_system_sgpr_workgroup_id_z 0
		.amdhsa_system_sgpr_workgroup_info 0
		.amdhsa_system_vgpr_workitem_id 0
		.amdhsa_next_free_vgpr 1
		.amdhsa_next_free_sgpr 0
		.amdhsa_accum_offset 4
		.amdhsa_reserve_vcc 0
		.amdhsa_reserve_flat_scratch 0
		.amdhsa_float_round_mode_32 0
		.amdhsa_float_round_mode_16_64 0
		.amdhsa_float_denorm_mode_32 3
		.amdhsa_float_denorm_mode_16_64 3
		.amdhsa_dx10_clamp 1
		.amdhsa_ieee_mode 1
		.amdhsa_fp16_overflow 0
		.amdhsa_tg_split 0
		.amdhsa_exception_fp_ieee_invalid_op 0
		.amdhsa_exception_fp_denorm_src 0
		.amdhsa_exception_fp_ieee_div_zero 0
		.amdhsa_exception_fp_ieee_overflow 0
		.amdhsa_exception_fp_ieee_underflow 0
		.amdhsa_exception_fp_ieee_inexact 0
		.amdhsa_exception_int_div_zero 0
	.end_amdhsa_kernel
	.section	.text._ZN7rocprim17ROCPRIM_400000_NS6detail17trampoline_kernelINS0_14default_configENS1_38merge_sort_block_merge_config_selectorIlNS0_10empty_typeEEEZZNS1_27merge_sort_block_merge_implIS3_PlPS5_mZN2at6native12_GLOBAL__N_124unique_dim_cuda_templateIsEESt5tupleIJNSA_6TensorESF_SF_EERKSF_lbbbEUlllE_EE10hipError_tT0_T1_T2_jT3_P12ihipStream_tbPNSt15iterator_traitsISL_E10value_typeEPNSR_ISM_E10value_typeEPSN_NS1_7vsmem_tEENKUlT_SL_SM_SN_E_clIS8_S8_S9_S9_EESK_S10_SL_SM_SN_EUlS10_E1_NS1_11comp_targetILNS1_3genE3ELNS1_11target_archE908ELNS1_3gpuE7ELNS1_3repE0EEENS1_36merge_oddeven_config_static_selectorELNS0_4arch9wavefront6targetE1EEEvSM_,"axG",@progbits,_ZN7rocprim17ROCPRIM_400000_NS6detail17trampoline_kernelINS0_14default_configENS1_38merge_sort_block_merge_config_selectorIlNS0_10empty_typeEEEZZNS1_27merge_sort_block_merge_implIS3_PlPS5_mZN2at6native12_GLOBAL__N_124unique_dim_cuda_templateIsEESt5tupleIJNSA_6TensorESF_SF_EERKSF_lbbbEUlllE_EE10hipError_tT0_T1_T2_jT3_P12ihipStream_tbPNSt15iterator_traitsISL_E10value_typeEPNSR_ISM_E10value_typeEPSN_NS1_7vsmem_tEENKUlT_SL_SM_SN_E_clIS8_S8_S9_S9_EESK_S10_SL_SM_SN_EUlS10_E1_NS1_11comp_targetILNS1_3genE3ELNS1_11target_archE908ELNS1_3gpuE7ELNS1_3repE0EEENS1_36merge_oddeven_config_static_selectorELNS0_4arch9wavefront6targetE1EEEvSM_,comdat
.Lfunc_end656:
	.size	_ZN7rocprim17ROCPRIM_400000_NS6detail17trampoline_kernelINS0_14default_configENS1_38merge_sort_block_merge_config_selectorIlNS0_10empty_typeEEEZZNS1_27merge_sort_block_merge_implIS3_PlPS5_mZN2at6native12_GLOBAL__N_124unique_dim_cuda_templateIsEESt5tupleIJNSA_6TensorESF_SF_EERKSF_lbbbEUlllE_EE10hipError_tT0_T1_T2_jT3_P12ihipStream_tbPNSt15iterator_traitsISL_E10value_typeEPNSR_ISM_E10value_typeEPSN_NS1_7vsmem_tEENKUlT_SL_SM_SN_E_clIS8_S8_S9_S9_EESK_S10_SL_SM_SN_EUlS10_E1_NS1_11comp_targetILNS1_3genE3ELNS1_11target_archE908ELNS1_3gpuE7ELNS1_3repE0EEENS1_36merge_oddeven_config_static_selectorELNS0_4arch9wavefront6targetE1EEEvSM_, .Lfunc_end656-_ZN7rocprim17ROCPRIM_400000_NS6detail17trampoline_kernelINS0_14default_configENS1_38merge_sort_block_merge_config_selectorIlNS0_10empty_typeEEEZZNS1_27merge_sort_block_merge_implIS3_PlPS5_mZN2at6native12_GLOBAL__N_124unique_dim_cuda_templateIsEESt5tupleIJNSA_6TensorESF_SF_EERKSF_lbbbEUlllE_EE10hipError_tT0_T1_T2_jT3_P12ihipStream_tbPNSt15iterator_traitsISL_E10value_typeEPNSR_ISM_E10value_typeEPSN_NS1_7vsmem_tEENKUlT_SL_SM_SN_E_clIS8_S8_S9_S9_EESK_S10_SL_SM_SN_EUlS10_E1_NS1_11comp_targetILNS1_3genE3ELNS1_11target_archE908ELNS1_3gpuE7ELNS1_3repE0EEENS1_36merge_oddeven_config_static_selectorELNS0_4arch9wavefront6targetE1EEEvSM_
                                        ; -- End function
	.section	.AMDGPU.csdata,"",@progbits
; Kernel info:
; codeLenInByte = 0
; NumSgprs: 4
; NumVgprs: 0
; NumAgprs: 0
; TotalNumVgprs: 0
; ScratchSize: 0
; MemoryBound: 0
; FloatMode: 240
; IeeeMode: 1
; LDSByteSize: 0 bytes/workgroup (compile time only)
; SGPRBlocks: 0
; VGPRBlocks: 0
; NumSGPRsForWavesPerEU: 4
; NumVGPRsForWavesPerEU: 1
; AccumOffset: 4
; Occupancy: 8
; WaveLimiterHint : 0
; COMPUTE_PGM_RSRC2:SCRATCH_EN: 0
; COMPUTE_PGM_RSRC2:USER_SGPR: 6
; COMPUTE_PGM_RSRC2:TRAP_HANDLER: 0
; COMPUTE_PGM_RSRC2:TGID_X_EN: 1
; COMPUTE_PGM_RSRC2:TGID_Y_EN: 0
; COMPUTE_PGM_RSRC2:TGID_Z_EN: 0
; COMPUTE_PGM_RSRC2:TIDIG_COMP_CNT: 0
; COMPUTE_PGM_RSRC3_GFX90A:ACCUM_OFFSET: 0
; COMPUTE_PGM_RSRC3_GFX90A:TG_SPLIT: 0
	.section	.text._ZN7rocprim17ROCPRIM_400000_NS6detail17trampoline_kernelINS0_14default_configENS1_38merge_sort_block_merge_config_selectorIlNS0_10empty_typeEEEZZNS1_27merge_sort_block_merge_implIS3_PlPS5_mZN2at6native12_GLOBAL__N_124unique_dim_cuda_templateIsEESt5tupleIJNSA_6TensorESF_SF_EERKSF_lbbbEUlllE_EE10hipError_tT0_T1_T2_jT3_P12ihipStream_tbPNSt15iterator_traitsISL_E10value_typeEPNSR_ISM_E10value_typeEPSN_NS1_7vsmem_tEENKUlT_SL_SM_SN_E_clIS8_S8_S9_S9_EESK_S10_SL_SM_SN_EUlS10_E1_NS1_11comp_targetILNS1_3genE2ELNS1_11target_archE906ELNS1_3gpuE6ELNS1_3repE0EEENS1_36merge_oddeven_config_static_selectorELNS0_4arch9wavefront6targetE1EEEvSM_,"axG",@progbits,_ZN7rocprim17ROCPRIM_400000_NS6detail17trampoline_kernelINS0_14default_configENS1_38merge_sort_block_merge_config_selectorIlNS0_10empty_typeEEEZZNS1_27merge_sort_block_merge_implIS3_PlPS5_mZN2at6native12_GLOBAL__N_124unique_dim_cuda_templateIsEESt5tupleIJNSA_6TensorESF_SF_EERKSF_lbbbEUlllE_EE10hipError_tT0_T1_T2_jT3_P12ihipStream_tbPNSt15iterator_traitsISL_E10value_typeEPNSR_ISM_E10value_typeEPSN_NS1_7vsmem_tEENKUlT_SL_SM_SN_E_clIS8_S8_S9_S9_EESK_S10_SL_SM_SN_EUlS10_E1_NS1_11comp_targetILNS1_3genE2ELNS1_11target_archE906ELNS1_3gpuE6ELNS1_3repE0EEENS1_36merge_oddeven_config_static_selectorELNS0_4arch9wavefront6targetE1EEEvSM_,comdat
	.globl	_ZN7rocprim17ROCPRIM_400000_NS6detail17trampoline_kernelINS0_14default_configENS1_38merge_sort_block_merge_config_selectorIlNS0_10empty_typeEEEZZNS1_27merge_sort_block_merge_implIS3_PlPS5_mZN2at6native12_GLOBAL__N_124unique_dim_cuda_templateIsEESt5tupleIJNSA_6TensorESF_SF_EERKSF_lbbbEUlllE_EE10hipError_tT0_T1_T2_jT3_P12ihipStream_tbPNSt15iterator_traitsISL_E10value_typeEPNSR_ISM_E10value_typeEPSN_NS1_7vsmem_tEENKUlT_SL_SM_SN_E_clIS8_S8_S9_S9_EESK_S10_SL_SM_SN_EUlS10_E1_NS1_11comp_targetILNS1_3genE2ELNS1_11target_archE906ELNS1_3gpuE6ELNS1_3repE0EEENS1_36merge_oddeven_config_static_selectorELNS0_4arch9wavefront6targetE1EEEvSM_ ; -- Begin function _ZN7rocprim17ROCPRIM_400000_NS6detail17trampoline_kernelINS0_14default_configENS1_38merge_sort_block_merge_config_selectorIlNS0_10empty_typeEEEZZNS1_27merge_sort_block_merge_implIS3_PlPS5_mZN2at6native12_GLOBAL__N_124unique_dim_cuda_templateIsEESt5tupleIJNSA_6TensorESF_SF_EERKSF_lbbbEUlllE_EE10hipError_tT0_T1_T2_jT3_P12ihipStream_tbPNSt15iterator_traitsISL_E10value_typeEPNSR_ISM_E10value_typeEPSN_NS1_7vsmem_tEENKUlT_SL_SM_SN_E_clIS8_S8_S9_S9_EESK_S10_SL_SM_SN_EUlS10_E1_NS1_11comp_targetILNS1_3genE2ELNS1_11target_archE906ELNS1_3gpuE6ELNS1_3repE0EEENS1_36merge_oddeven_config_static_selectorELNS0_4arch9wavefront6targetE1EEEvSM_
	.p2align	8
	.type	_ZN7rocprim17ROCPRIM_400000_NS6detail17trampoline_kernelINS0_14default_configENS1_38merge_sort_block_merge_config_selectorIlNS0_10empty_typeEEEZZNS1_27merge_sort_block_merge_implIS3_PlPS5_mZN2at6native12_GLOBAL__N_124unique_dim_cuda_templateIsEESt5tupleIJNSA_6TensorESF_SF_EERKSF_lbbbEUlllE_EE10hipError_tT0_T1_T2_jT3_P12ihipStream_tbPNSt15iterator_traitsISL_E10value_typeEPNSR_ISM_E10value_typeEPSN_NS1_7vsmem_tEENKUlT_SL_SM_SN_E_clIS8_S8_S9_S9_EESK_S10_SL_SM_SN_EUlS10_E1_NS1_11comp_targetILNS1_3genE2ELNS1_11target_archE906ELNS1_3gpuE6ELNS1_3repE0EEENS1_36merge_oddeven_config_static_selectorELNS0_4arch9wavefront6targetE1EEEvSM_,@function
_ZN7rocprim17ROCPRIM_400000_NS6detail17trampoline_kernelINS0_14default_configENS1_38merge_sort_block_merge_config_selectorIlNS0_10empty_typeEEEZZNS1_27merge_sort_block_merge_implIS3_PlPS5_mZN2at6native12_GLOBAL__N_124unique_dim_cuda_templateIsEESt5tupleIJNSA_6TensorESF_SF_EERKSF_lbbbEUlllE_EE10hipError_tT0_T1_T2_jT3_P12ihipStream_tbPNSt15iterator_traitsISL_E10value_typeEPNSR_ISM_E10value_typeEPSN_NS1_7vsmem_tEENKUlT_SL_SM_SN_E_clIS8_S8_S9_S9_EESK_S10_SL_SM_SN_EUlS10_E1_NS1_11comp_targetILNS1_3genE2ELNS1_11target_archE906ELNS1_3gpuE6ELNS1_3repE0EEENS1_36merge_oddeven_config_static_selectorELNS0_4arch9wavefront6targetE1EEEvSM_: ; @_ZN7rocprim17ROCPRIM_400000_NS6detail17trampoline_kernelINS0_14default_configENS1_38merge_sort_block_merge_config_selectorIlNS0_10empty_typeEEEZZNS1_27merge_sort_block_merge_implIS3_PlPS5_mZN2at6native12_GLOBAL__N_124unique_dim_cuda_templateIsEESt5tupleIJNSA_6TensorESF_SF_EERKSF_lbbbEUlllE_EE10hipError_tT0_T1_T2_jT3_P12ihipStream_tbPNSt15iterator_traitsISL_E10value_typeEPNSR_ISM_E10value_typeEPSN_NS1_7vsmem_tEENKUlT_SL_SM_SN_E_clIS8_S8_S9_S9_EESK_S10_SL_SM_SN_EUlS10_E1_NS1_11comp_targetILNS1_3genE2ELNS1_11target_archE906ELNS1_3gpuE6ELNS1_3repE0EEENS1_36merge_oddeven_config_static_selectorELNS0_4arch9wavefront6targetE1EEEvSM_
; %bb.0:
	.section	.rodata,"a",@progbits
	.p2align	6, 0x0
	.amdhsa_kernel _ZN7rocprim17ROCPRIM_400000_NS6detail17trampoline_kernelINS0_14default_configENS1_38merge_sort_block_merge_config_selectorIlNS0_10empty_typeEEEZZNS1_27merge_sort_block_merge_implIS3_PlPS5_mZN2at6native12_GLOBAL__N_124unique_dim_cuda_templateIsEESt5tupleIJNSA_6TensorESF_SF_EERKSF_lbbbEUlllE_EE10hipError_tT0_T1_T2_jT3_P12ihipStream_tbPNSt15iterator_traitsISL_E10value_typeEPNSR_ISM_E10value_typeEPSN_NS1_7vsmem_tEENKUlT_SL_SM_SN_E_clIS8_S8_S9_S9_EESK_S10_SL_SM_SN_EUlS10_E1_NS1_11comp_targetILNS1_3genE2ELNS1_11target_archE906ELNS1_3gpuE6ELNS1_3repE0EEENS1_36merge_oddeven_config_static_selectorELNS0_4arch9wavefront6targetE1EEEvSM_
		.amdhsa_group_segment_fixed_size 0
		.amdhsa_private_segment_fixed_size 0
		.amdhsa_kernarg_size 64
		.amdhsa_user_sgpr_count 6
		.amdhsa_user_sgpr_private_segment_buffer 1
		.amdhsa_user_sgpr_dispatch_ptr 0
		.amdhsa_user_sgpr_queue_ptr 0
		.amdhsa_user_sgpr_kernarg_segment_ptr 1
		.amdhsa_user_sgpr_dispatch_id 0
		.amdhsa_user_sgpr_flat_scratch_init 0
		.amdhsa_user_sgpr_kernarg_preload_length 0
		.amdhsa_user_sgpr_kernarg_preload_offset 0
		.amdhsa_user_sgpr_private_segment_size 0
		.amdhsa_uses_dynamic_stack 0
		.amdhsa_system_sgpr_private_segment_wavefront_offset 0
		.amdhsa_system_sgpr_workgroup_id_x 1
		.amdhsa_system_sgpr_workgroup_id_y 0
		.amdhsa_system_sgpr_workgroup_id_z 0
		.amdhsa_system_sgpr_workgroup_info 0
		.amdhsa_system_vgpr_workitem_id 0
		.amdhsa_next_free_vgpr 1
		.amdhsa_next_free_sgpr 0
		.amdhsa_accum_offset 4
		.amdhsa_reserve_vcc 0
		.amdhsa_reserve_flat_scratch 0
		.amdhsa_float_round_mode_32 0
		.amdhsa_float_round_mode_16_64 0
		.amdhsa_float_denorm_mode_32 3
		.amdhsa_float_denorm_mode_16_64 3
		.amdhsa_dx10_clamp 1
		.amdhsa_ieee_mode 1
		.amdhsa_fp16_overflow 0
		.amdhsa_tg_split 0
		.amdhsa_exception_fp_ieee_invalid_op 0
		.amdhsa_exception_fp_denorm_src 0
		.amdhsa_exception_fp_ieee_div_zero 0
		.amdhsa_exception_fp_ieee_overflow 0
		.amdhsa_exception_fp_ieee_underflow 0
		.amdhsa_exception_fp_ieee_inexact 0
		.amdhsa_exception_int_div_zero 0
	.end_amdhsa_kernel
	.section	.text._ZN7rocprim17ROCPRIM_400000_NS6detail17trampoline_kernelINS0_14default_configENS1_38merge_sort_block_merge_config_selectorIlNS0_10empty_typeEEEZZNS1_27merge_sort_block_merge_implIS3_PlPS5_mZN2at6native12_GLOBAL__N_124unique_dim_cuda_templateIsEESt5tupleIJNSA_6TensorESF_SF_EERKSF_lbbbEUlllE_EE10hipError_tT0_T1_T2_jT3_P12ihipStream_tbPNSt15iterator_traitsISL_E10value_typeEPNSR_ISM_E10value_typeEPSN_NS1_7vsmem_tEENKUlT_SL_SM_SN_E_clIS8_S8_S9_S9_EESK_S10_SL_SM_SN_EUlS10_E1_NS1_11comp_targetILNS1_3genE2ELNS1_11target_archE906ELNS1_3gpuE6ELNS1_3repE0EEENS1_36merge_oddeven_config_static_selectorELNS0_4arch9wavefront6targetE1EEEvSM_,"axG",@progbits,_ZN7rocprim17ROCPRIM_400000_NS6detail17trampoline_kernelINS0_14default_configENS1_38merge_sort_block_merge_config_selectorIlNS0_10empty_typeEEEZZNS1_27merge_sort_block_merge_implIS3_PlPS5_mZN2at6native12_GLOBAL__N_124unique_dim_cuda_templateIsEESt5tupleIJNSA_6TensorESF_SF_EERKSF_lbbbEUlllE_EE10hipError_tT0_T1_T2_jT3_P12ihipStream_tbPNSt15iterator_traitsISL_E10value_typeEPNSR_ISM_E10value_typeEPSN_NS1_7vsmem_tEENKUlT_SL_SM_SN_E_clIS8_S8_S9_S9_EESK_S10_SL_SM_SN_EUlS10_E1_NS1_11comp_targetILNS1_3genE2ELNS1_11target_archE906ELNS1_3gpuE6ELNS1_3repE0EEENS1_36merge_oddeven_config_static_selectorELNS0_4arch9wavefront6targetE1EEEvSM_,comdat
.Lfunc_end657:
	.size	_ZN7rocprim17ROCPRIM_400000_NS6detail17trampoline_kernelINS0_14default_configENS1_38merge_sort_block_merge_config_selectorIlNS0_10empty_typeEEEZZNS1_27merge_sort_block_merge_implIS3_PlPS5_mZN2at6native12_GLOBAL__N_124unique_dim_cuda_templateIsEESt5tupleIJNSA_6TensorESF_SF_EERKSF_lbbbEUlllE_EE10hipError_tT0_T1_T2_jT3_P12ihipStream_tbPNSt15iterator_traitsISL_E10value_typeEPNSR_ISM_E10value_typeEPSN_NS1_7vsmem_tEENKUlT_SL_SM_SN_E_clIS8_S8_S9_S9_EESK_S10_SL_SM_SN_EUlS10_E1_NS1_11comp_targetILNS1_3genE2ELNS1_11target_archE906ELNS1_3gpuE6ELNS1_3repE0EEENS1_36merge_oddeven_config_static_selectorELNS0_4arch9wavefront6targetE1EEEvSM_, .Lfunc_end657-_ZN7rocprim17ROCPRIM_400000_NS6detail17trampoline_kernelINS0_14default_configENS1_38merge_sort_block_merge_config_selectorIlNS0_10empty_typeEEEZZNS1_27merge_sort_block_merge_implIS3_PlPS5_mZN2at6native12_GLOBAL__N_124unique_dim_cuda_templateIsEESt5tupleIJNSA_6TensorESF_SF_EERKSF_lbbbEUlllE_EE10hipError_tT0_T1_T2_jT3_P12ihipStream_tbPNSt15iterator_traitsISL_E10value_typeEPNSR_ISM_E10value_typeEPSN_NS1_7vsmem_tEENKUlT_SL_SM_SN_E_clIS8_S8_S9_S9_EESK_S10_SL_SM_SN_EUlS10_E1_NS1_11comp_targetILNS1_3genE2ELNS1_11target_archE906ELNS1_3gpuE6ELNS1_3repE0EEENS1_36merge_oddeven_config_static_selectorELNS0_4arch9wavefront6targetE1EEEvSM_
                                        ; -- End function
	.section	.AMDGPU.csdata,"",@progbits
; Kernel info:
; codeLenInByte = 0
; NumSgprs: 4
; NumVgprs: 0
; NumAgprs: 0
; TotalNumVgprs: 0
; ScratchSize: 0
; MemoryBound: 0
; FloatMode: 240
; IeeeMode: 1
; LDSByteSize: 0 bytes/workgroup (compile time only)
; SGPRBlocks: 0
; VGPRBlocks: 0
; NumSGPRsForWavesPerEU: 4
; NumVGPRsForWavesPerEU: 1
; AccumOffset: 4
; Occupancy: 8
; WaveLimiterHint : 0
; COMPUTE_PGM_RSRC2:SCRATCH_EN: 0
; COMPUTE_PGM_RSRC2:USER_SGPR: 6
; COMPUTE_PGM_RSRC2:TRAP_HANDLER: 0
; COMPUTE_PGM_RSRC2:TGID_X_EN: 1
; COMPUTE_PGM_RSRC2:TGID_Y_EN: 0
; COMPUTE_PGM_RSRC2:TGID_Z_EN: 0
; COMPUTE_PGM_RSRC2:TIDIG_COMP_CNT: 0
; COMPUTE_PGM_RSRC3_GFX90A:ACCUM_OFFSET: 0
; COMPUTE_PGM_RSRC3_GFX90A:TG_SPLIT: 0
	.section	.text._ZN7rocprim17ROCPRIM_400000_NS6detail17trampoline_kernelINS0_14default_configENS1_38merge_sort_block_merge_config_selectorIlNS0_10empty_typeEEEZZNS1_27merge_sort_block_merge_implIS3_PlPS5_mZN2at6native12_GLOBAL__N_124unique_dim_cuda_templateIsEESt5tupleIJNSA_6TensorESF_SF_EERKSF_lbbbEUlllE_EE10hipError_tT0_T1_T2_jT3_P12ihipStream_tbPNSt15iterator_traitsISL_E10value_typeEPNSR_ISM_E10value_typeEPSN_NS1_7vsmem_tEENKUlT_SL_SM_SN_E_clIS8_S8_S9_S9_EESK_S10_SL_SM_SN_EUlS10_E1_NS1_11comp_targetILNS1_3genE9ELNS1_11target_archE1100ELNS1_3gpuE3ELNS1_3repE0EEENS1_36merge_oddeven_config_static_selectorELNS0_4arch9wavefront6targetE1EEEvSM_,"axG",@progbits,_ZN7rocprim17ROCPRIM_400000_NS6detail17trampoline_kernelINS0_14default_configENS1_38merge_sort_block_merge_config_selectorIlNS0_10empty_typeEEEZZNS1_27merge_sort_block_merge_implIS3_PlPS5_mZN2at6native12_GLOBAL__N_124unique_dim_cuda_templateIsEESt5tupleIJNSA_6TensorESF_SF_EERKSF_lbbbEUlllE_EE10hipError_tT0_T1_T2_jT3_P12ihipStream_tbPNSt15iterator_traitsISL_E10value_typeEPNSR_ISM_E10value_typeEPSN_NS1_7vsmem_tEENKUlT_SL_SM_SN_E_clIS8_S8_S9_S9_EESK_S10_SL_SM_SN_EUlS10_E1_NS1_11comp_targetILNS1_3genE9ELNS1_11target_archE1100ELNS1_3gpuE3ELNS1_3repE0EEENS1_36merge_oddeven_config_static_selectorELNS0_4arch9wavefront6targetE1EEEvSM_,comdat
	.globl	_ZN7rocprim17ROCPRIM_400000_NS6detail17trampoline_kernelINS0_14default_configENS1_38merge_sort_block_merge_config_selectorIlNS0_10empty_typeEEEZZNS1_27merge_sort_block_merge_implIS3_PlPS5_mZN2at6native12_GLOBAL__N_124unique_dim_cuda_templateIsEESt5tupleIJNSA_6TensorESF_SF_EERKSF_lbbbEUlllE_EE10hipError_tT0_T1_T2_jT3_P12ihipStream_tbPNSt15iterator_traitsISL_E10value_typeEPNSR_ISM_E10value_typeEPSN_NS1_7vsmem_tEENKUlT_SL_SM_SN_E_clIS8_S8_S9_S9_EESK_S10_SL_SM_SN_EUlS10_E1_NS1_11comp_targetILNS1_3genE9ELNS1_11target_archE1100ELNS1_3gpuE3ELNS1_3repE0EEENS1_36merge_oddeven_config_static_selectorELNS0_4arch9wavefront6targetE1EEEvSM_ ; -- Begin function _ZN7rocprim17ROCPRIM_400000_NS6detail17trampoline_kernelINS0_14default_configENS1_38merge_sort_block_merge_config_selectorIlNS0_10empty_typeEEEZZNS1_27merge_sort_block_merge_implIS3_PlPS5_mZN2at6native12_GLOBAL__N_124unique_dim_cuda_templateIsEESt5tupleIJNSA_6TensorESF_SF_EERKSF_lbbbEUlllE_EE10hipError_tT0_T1_T2_jT3_P12ihipStream_tbPNSt15iterator_traitsISL_E10value_typeEPNSR_ISM_E10value_typeEPSN_NS1_7vsmem_tEENKUlT_SL_SM_SN_E_clIS8_S8_S9_S9_EESK_S10_SL_SM_SN_EUlS10_E1_NS1_11comp_targetILNS1_3genE9ELNS1_11target_archE1100ELNS1_3gpuE3ELNS1_3repE0EEENS1_36merge_oddeven_config_static_selectorELNS0_4arch9wavefront6targetE1EEEvSM_
	.p2align	8
	.type	_ZN7rocprim17ROCPRIM_400000_NS6detail17trampoline_kernelINS0_14default_configENS1_38merge_sort_block_merge_config_selectorIlNS0_10empty_typeEEEZZNS1_27merge_sort_block_merge_implIS3_PlPS5_mZN2at6native12_GLOBAL__N_124unique_dim_cuda_templateIsEESt5tupleIJNSA_6TensorESF_SF_EERKSF_lbbbEUlllE_EE10hipError_tT0_T1_T2_jT3_P12ihipStream_tbPNSt15iterator_traitsISL_E10value_typeEPNSR_ISM_E10value_typeEPSN_NS1_7vsmem_tEENKUlT_SL_SM_SN_E_clIS8_S8_S9_S9_EESK_S10_SL_SM_SN_EUlS10_E1_NS1_11comp_targetILNS1_3genE9ELNS1_11target_archE1100ELNS1_3gpuE3ELNS1_3repE0EEENS1_36merge_oddeven_config_static_selectorELNS0_4arch9wavefront6targetE1EEEvSM_,@function
_ZN7rocprim17ROCPRIM_400000_NS6detail17trampoline_kernelINS0_14default_configENS1_38merge_sort_block_merge_config_selectorIlNS0_10empty_typeEEEZZNS1_27merge_sort_block_merge_implIS3_PlPS5_mZN2at6native12_GLOBAL__N_124unique_dim_cuda_templateIsEESt5tupleIJNSA_6TensorESF_SF_EERKSF_lbbbEUlllE_EE10hipError_tT0_T1_T2_jT3_P12ihipStream_tbPNSt15iterator_traitsISL_E10value_typeEPNSR_ISM_E10value_typeEPSN_NS1_7vsmem_tEENKUlT_SL_SM_SN_E_clIS8_S8_S9_S9_EESK_S10_SL_SM_SN_EUlS10_E1_NS1_11comp_targetILNS1_3genE9ELNS1_11target_archE1100ELNS1_3gpuE3ELNS1_3repE0EEENS1_36merge_oddeven_config_static_selectorELNS0_4arch9wavefront6targetE1EEEvSM_: ; @_ZN7rocprim17ROCPRIM_400000_NS6detail17trampoline_kernelINS0_14default_configENS1_38merge_sort_block_merge_config_selectorIlNS0_10empty_typeEEEZZNS1_27merge_sort_block_merge_implIS3_PlPS5_mZN2at6native12_GLOBAL__N_124unique_dim_cuda_templateIsEESt5tupleIJNSA_6TensorESF_SF_EERKSF_lbbbEUlllE_EE10hipError_tT0_T1_T2_jT3_P12ihipStream_tbPNSt15iterator_traitsISL_E10value_typeEPNSR_ISM_E10value_typeEPSN_NS1_7vsmem_tEENKUlT_SL_SM_SN_E_clIS8_S8_S9_S9_EESK_S10_SL_SM_SN_EUlS10_E1_NS1_11comp_targetILNS1_3genE9ELNS1_11target_archE1100ELNS1_3gpuE3ELNS1_3repE0EEENS1_36merge_oddeven_config_static_selectorELNS0_4arch9wavefront6targetE1EEEvSM_
; %bb.0:
	.section	.rodata,"a",@progbits
	.p2align	6, 0x0
	.amdhsa_kernel _ZN7rocprim17ROCPRIM_400000_NS6detail17trampoline_kernelINS0_14default_configENS1_38merge_sort_block_merge_config_selectorIlNS0_10empty_typeEEEZZNS1_27merge_sort_block_merge_implIS3_PlPS5_mZN2at6native12_GLOBAL__N_124unique_dim_cuda_templateIsEESt5tupleIJNSA_6TensorESF_SF_EERKSF_lbbbEUlllE_EE10hipError_tT0_T1_T2_jT3_P12ihipStream_tbPNSt15iterator_traitsISL_E10value_typeEPNSR_ISM_E10value_typeEPSN_NS1_7vsmem_tEENKUlT_SL_SM_SN_E_clIS8_S8_S9_S9_EESK_S10_SL_SM_SN_EUlS10_E1_NS1_11comp_targetILNS1_3genE9ELNS1_11target_archE1100ELNS1_3gpuE3ELNS1_3repE0EEENS1_36merge_oddeven_config_static_selectorELNS0_4arch9wavefront6targetE1EEEvSM_
		.amdhsa_group_segment_fixed_size 0
		.amdhsa_private_segment_fixed_size 0
		.amdhsa_kernarg_size 64
		.amdhsa_user_sgpr_count 6
		.amdhsa_user_sgpr_private_segment_buffer 1
		.amdhsa_user_sgpr_dispatch_ptr 0
		.amdhsa_user_sgpr_queue_ptr 0
		.amdhsa_user_sgpr_kernarg_segment_ptr 1
		.amdhsa_user_sgpr_dispatch_id 0
		.amdhsa_user_sgpr_flat_scratch_init 0
		.amdhsa_user_sgpr_kernarg_preload_length 0
		.amdhsa_user_sgpr_kernarg_preload_offset 0
		.amdhsa_user_sgpr_private_segment_size 0
		.amdhsa_uses_dynamic_stack 0
		.amdhsa_system_sgpr_private_segment_wavefront_offset 0
		.amdhsa_system_sgpr_workgroup_id_x 1
		.amdhsa_system_sgpr_workgroup_id_y 0
		.amdhsa_system_sgpr_workgroup_id_z 0
		.amdhsa_system_sgpr_workgroup_info 0
		.amdhsa_system_vgpr_workitem_id 0
		.amdhsa_next_free_vgpr 1
		.amdhsa_next_free_sgpr 0
		.amdhsa_accum_offset 4
		.amdhsa_reserve_vcc 0
		.amdhsa_reserve_flat_scratch 0
		.amdhsa_float_round_mode_32 0
		.amdhsa_float_round_mode_16_64 0
		.amdhsa_float_denorm_mode_32 3
		.amdhsa_float_denorm_mode_16_64 3
		.amdhsa_dx10_clamp 1
		.amdhsa_ieee_mode 1
		.amdhsa_fp16_overflow 0
		.amdhsa_tg_split 0
		.amdhsa_exception_fp_ieee_invalid_op 0
		.amdhsa_exception_fp_denorm_src 0
		.amdhsa_exception_fp_ieee_div_zero 0
		.amdhsa_exception_fp_ieee_overflow 0
		.amdhsa_exception_fp_ieee_underflow 0
		.amdhsa_exception_fp_ieee_inexact 0
		.amdhsa_exception_int_div_zero 0
	.end_amdhsa_kernel
	.section	.text._ZN7rocprim17ROCPRIM_400000_NS6detail17trampoline_kernelINS0_14default_configENS1_38merge_sort_block_merge_config_selectorIlNS0_10empty_typeEEEZZNS1_27merge_sort_block_merge_implIS3_PlPS5_mZN2at6native12_GLOBAL__N_124unique_dim_cuda_templateIsEESt5tupleIJNSA_6TensorESF_SF_EERKSF_lbbbEUlllE_EE10hipError_tT0_T1_T2_jT3_P12ihipStream_tbPNSt15iterator_traitsISL_E10value_typeEPNSR_ISM_E10value_typeEPSN_NS1_7vsmem_tEENKUlT_SL_SM_SN_E_clIS8_S8_S9_S9_EESK_S10_SL_SM_SN_EUlS10_E1_NS1_11comp_targetILNS1_3genE9ELNS1_11target_archE1100ELNS1_3gpuE3ELNS1_3repE0EEENS1_36merge_oddeven_config_static_selectorELNS0_4arch9wavefront6targetE1EEEvSM_,"axG",@progbits,_ZN7rocprim17ROCPRIM_400000_NS6detail17trampoline_kernelINS0_14default_configENS1_38merge_sort_block_merge_config_selectorIlNS0_10empty_typeEEEZZNS1_27merge_sort_block_merge_implIS3_PlPS5_mZN2at6native12_GLOBAL__N_124unique_dim_cuda_templateIsEESt5tupleIJNSA_6TensorESF_SF_EERKSF_lbbbEUlllE_EE10hipError_tT0_T1_T2_jT3_P12ihipStream_tbPNSt15iterator_traitsISL_E10value_typeEPNSR_ISM_E10value_typeEPSN_NS1_7vsmem_tEENKUlT_SL_SM_SN_E_clIS8_S8_S9_S9_EESK_S10_SL_SM_SN_EUlS10_E1_NS1_11comp_targetILNS1_3genE9ELNS1_11target_archE1100ELNS1_3gpuE3ELNS1_3repE0EEENS1_36merge_oddeven_config_static_selectorELNS0_4arch9wavefront6targetE1EEEvSM_,comdat
.Lfunc_end658:
	.size	_ZN7rocprim17ROCPRIM_400000_NS6detail17trampoline_kernelINS0_14default_configENS1_38merge_sort_block_merge_config_selectorIlNS0_10empty_typeEEEZZNS1_27merge_sort_block_merge_implIS3_PlPS5_mZN2at6native12_GLOBAL__N_124unique_dim_cuda_templateIsEESt5tupleIJNSA_6TensorESF_SF_EERKSF_lbbbEUlllE_EE10hipError_tT0_T1_T2_jT3_P12ihipStream_tbPNSt15iterator_traitsISL_E10value_typeEPNSR_ISM_E10value_typeEPSN_NS1_7vsmem_tEENKUlT_SL_SM_SN_E_clIS8_S8_S9_S9_EESK_S10_SL_SM_SN_EUlS10_E1_NS1_11comp_targetILNS1_3genE9ELNS1_11target_archE1100ELNS1_3gpuE3ELNS1_3repE0EEENS1_36merge_oddeven_config_static_selectorELNS0_4arch9wavefront6targetE1EEEvSM_, .Lfunc_end658-_ZN7rocprim17ROCPRIM_400000_NS6detail17trampoline_kernelINS0_14default_configENS1_38merge_sort_block_merge_config_selectorIlNS0_10empty_typeEEEZZNS1_27merge_sort_block_merge_implIS3_PlPS5_mZN2at6native12_GLOBAL__N_124unique_dim_cuda_templateIsEESt5tupleIJNSA_6TensorESF_SF_EERKSF_lbbbEUlllE_EE10hipError_tT0_T1_T2_jT3_P12ihipStream_tbPNSt15iterator_traitsISL_E10value_typeEPNSR_ISM_E10value_typeEPSN_NS1_7vsmem_tEENKUlT_SL_SM_SN_E_clIS8_S8_S9_S9_EESK_S10_SL_SM_SN_EUlS10_E1_NS1_11comp_targetILNS1_3genE9ELNS1_11target_archE1100ELNS1_3gpuE3ELNS1_3repE0EEENS1_36merge_oddeven_config_static_selectorELNS0_4arch9wavefront6targetE1EEEvSM_
                                        ; -- End function
	.section	.AMDGPU.csdata,"",@progbits
; Kernel info:
; codeLenInByte = 0
; NumSgprs: 4
; NumVgprs: 0
; NumAgprs: 0
; TotalNumVgprs: 0
; ScratchSize: 0
; MemoryBound: 0
; FloatMode: 240
; IeeeMode: 1
; LDSByteSize: 0 bytes/workgroup (compile time only)
; SGPRBlocks: 0
; VGPRBlocks: 0
; NumSGPRsForWavesPerEU: 4
; NumVGPRsForWavesPerEU: 1
; AccumOffset: 4
; Occupancy: 8
; WaveLimiterHint : 0
; COMPUTE_PGM_RSRC2:SCRATCH_EN: 0
; COMPUTE_PGM_RSRC2:USER_SGPR: 6
; COMPUTE_PGM_RSRC2:TRAP_HANDLER: 0
; COMPUTE_PGM_RSRC2:TGID_X_EN: 1
; COMPUTE_PGM_RSRC2:TGID_Y_EN: 0
; COMPUTE_PGM_RSRC2:TGID_Z_EN: 0
; COMPUTE_PGM_RSRC2:TIDIG_COMP_CNT: 0
; COMPUTE_PGM_RSRC3_GFX90A:ACCUM_OFFSET: 0
; COMPUTE_PGM_RSRC3_GFX90A:TG_SPLIT: 0
	.section	.text._ZN7rocprim17ROCPRIM_400000_NS6detail17trampoline_kernelINS0_14default_configENS1_38merge_sort_block_merge_config_selectorIlNS0_10empty_typeEEEZZNS1_27merge_sort_block_merge_implIS3_PlPS5_mZN2at6native12_GLOBAL__N_124unique_dim_cuda_templateIsEESt5tupleIJNSA_6TensorESF_SF_EERKSF_lbbbEUlllE_EE10hipError_tT0_T1_T2_jT3_P12ihipStream_tbPNSt15iterator_traitsISL_E10value_typeEPNSR_ISM_E10value_typeEPSN_NS1_7vsmem_tEENKUlT_SL_SM_SN_E_clIS8_S8_S9_S9_EESK_S10_SL_SM_SN_EUlS10_E1_NS1_11comp_targetILNS1_3genE8ELNS1_11target_archE1030ELNS1_3gpuE2ELNS1_3repE0EEENS1_36merge_oddeven_config_static_selectorELNS0_4arch9wavefront6targetE1EEEvSM_,"axG",@progbits,_ZN7rocprim17ROCPRIM_400000_NS6detail17trampoline_kernelINS0_14default_configENS1_38merge_sort_block_merge_config_selectorIlNS0_10empty_typeEEEZZNS1_27merge_sort_block_merge_implIS3_PlPS5_mZN2at6native12_GLOBAL__N_124unique_dim_cuda_templateIsEESt5tupleIJNSA_6TensorESF_SF_EERKSF_lbbbEUlllE_EE10hipError_tT0_T1_T2_jT3_P12ihipStream_tbPNSt15iterator_traitsISL_E10value_typeEPNSR_ISM_E10value_typeEPSN_NS1_7vsmem_tEENKUlT_SL_SM_SN_E_clIS8_S8_S9_S9_EESK_S10_SL_SM_SN_EUlS10_E1_NS1_11comp_targetILNS1_3genE8ELNS1_11target_archE1030ELNS1_3gpuE2ELNS1_3repE0EEENS1_36merge_oddeven_config_static_selectorELNS0_4arch9wavefront6targetE1EEEvSM_,comdat
	.globl	_ZN7rocprim17ROCPRIM_400000_NS6detail17trampoline_kernelINS0_14default_configENS1_38merge_sort_block_merge_config_selectorIlNS0_10empty_typeEEEZZNS1_27merge_sort_block_merge_implIS3_PlPS5_mZN2at6native12_GLOBAL__N_124unique_dim_cuda_templateIsEESt5tupleIJNSA_6TensorESF_SF_EERKSF_lbbbEUlllE_EE10hipError_tT0_T1_T2_jT3_P12ihipStream_tbPNSt15iterator_traitsISL_E10value_typeEPNSR_ISM_E10value_typeEPSN_NS1_7vsmem_tEENKUlT_SL_SM_SN_E_clIS8_S8_S9_S9_EESK_S10_SL_SM_SN_EUlS10_E1_NS1_11comp_targetILNS1_3genE8ELNS1_11target_archE1030ELNS1_3gpuE2ELNS1_3repE0EEENS1_36merge_oddeven_config_static_selectorELNS0_4arch9wavefront6targetE1EEEvSM_ ; -- Begin function _ZN7rocprim17ROCPRIM_400000_NS6detail17trampoline_kernelINS0_14default_configENS1_38merge_sort_block_merge_config_selectorIlNS0_10empty_typeEEEZZNS1_27merge_sort_block_merge_implIS3_PlPS5_mZN2at6native12_GLOBAL__N_124unique_dim_cuda_templateIsEESt5tupleIJNSA_6TensorESF_SF_EERKSF_lbbbEUlllE_EE10hipError_tT0_T1_T2_jT3_P12ihipStream_tbPNSt15iterator_traitsISL_E10value_typeEPNSR_ISM_E10value_typeEPSN_NS1_7vsmem_tEENKUlT_SL_SM_SN_E_clIS8_S8_S9_S9_EESK_S10_SL_SM_SN_EUlS10_E1_NS1_11comp_targetILNS1_3genE8ELNS1_11target_archE1030ELNS1_3gpuE2ELNS1_3repE0EEENS1_36merge_oddeven_config_static_selectorELNS0_4arch9wavefront6targetE1EEEvSM_
	.p2align	8
	.type	_ZN7rocprim17ROCPRIM_400000_NS6detail17trampoline_kernelINS0_14default_configENS1_38merge_sort_block_merge_config_selectorIlNS0_10empty_typeEEEZZNS1_27merge_sort_block_merge_implIS3_PlPS5_mZN2at6native12_GLOBAL__N_124unique_dim_cuda_templateIsEESt5tupleIJNSA_6TensorESF_SF_EERKSF_lbbbEUlllE_EE10hipError_tT0_T1_T2_jT3_P12ihipStream_tbPNSt15iterator_traitsISL_E10value_typeEPNSR_ISM_E10value_typeEPSN_NS1_7vsmem_tEENKUlT_SL_SM_SN_E_clIS8_S8_S9_S9_EESK_S10_SL_SM_SN_EUlS10_E1_NS1_11comp_targetILNS1_3genE8ELNS1_11target_archE1030ELNS1_3gpuE2ELNS1_3repE0EEENS1_36merge_oddeven_config_static_selectorELNS0_4arch9wavefront6targetE1EEEvSM_,@function
_ZN7rocprim17ROCPRIM_400000_NS6detail17trampoline_kernelINS0_14default_configENS1_38merge_sort_block_merge_config_selectorIlNS0_10empty_typeEEEZZNS1_27merge_sort_block_merge_implIS3_PlPS5_mZN2at6native12_GLOBAL__N_124unique_dim_cuda_templateIsEESt5tupleIJNSA_6TensorESF_SF_EERKSF_lbbbEUlllE_EE10hipError_tT0_T1_T2_jT3_P12ihipStream_tbPNSt15iterator_traitsISL_E10value_typeEPNSR_ISM_E10value_typeEPSN_NS1_7vsmem_tEENKUlT_SL_SM_SN_E_clIS8_S8_S9_S9_EESK_S10_SL_SM_SN_EUlS10_E1_NS1_11comp_targetILNS1_3genE8ELNS1_11target_archE1030ELNS1_3gpuE2ELNS1_3repE0EEENS1_36merge_oddeven_config_static_selectorELNS0_4arch9wavefront6targetE1EEEvSM_: ; @_ZN7rocprim17ROCPRIM_400000_NS6detail17trampoline_kernelINS0_14default_configENS1_38merge_sort_block_merge_config_selectorIlNS0_10empty_typeEEEZZNS1_27merge_sort_block_merge_implIS3_PlPS5_mZN2at6native12_GLOBAL__N_124unique_dim_cuda_templateIsEESt5tupleIJNSA_6TensorESF_SF_EERKSF_lbbbEUlllE_EE10hipError_tT0_T1_T2_jT3_P12ihipStream_tbPNSt15iterator_traitsISL_E10value_typeEPNSR_ISM_E10value_typeEPSN_NS1_7vsmem_tEENKUlT_SL_SM_SN_E_clIS8_S8_S9_S9_EESK_S10_SL_SM_SN_EUlS10_E1_NS1_11comp_targetILNS1_3genE8ELNS1_11target_archE1030ELNS1_3gpuE2ELNS1_3repE0EEENS1_36merge_oddeven_config_static_selectorELNS0_4arch9wavefront6targetE1EEEvSM_
; %bb.0:
	.section	.rodata,"a",@progbits
	.p2align	6, 0x0
	.amdhsa_kernel _ZN7rocprim17ROCPRIM_400000_NS6detail17trampoline_kernelINS0_14default_configENS1_38merge_sort_block_merge_config_selectorIlNS0_10empty_typeEEEZZNS1_27merge_sort_block_merge_implIS3_PlPS5_mZN2at6native12_GLOBAL__N_124unique_dim_cuda_templateIsEESt5tupleIJNSA_6TensorESF_SF_EERKSF_lbbbEUlllE_EE10hipError_tT0_T1_T2_jT3_P12ihipStream_tbPNSt15iterator_traitsISL_E10value_typeEPNSR_ISM_E10value_typeEPSN_NS1_7vsmem_tEENKUlT_SL_SM_SN_E_clIS8_S8_S9_S9_EESK_S10_SL_SM_SN_EUlS10_E1_NS1_11comp_targetILNS1_3genE8ELNS1_11target_archE1030ELNS1_3gpuE2ELNS1_3repE0EEENS1_36merge_oddeven_config_static_selectorELNS0_4arch9wavefront6targetE1EEEvSM_
		.amdhsa_group_segment_fixed_size 0
		.amdhsa_private_segment_fixed_size 0
		.amdhsa_kernarg_size 64
		.amdhsa_user_sgpr_count 6
		.amdhsa_user_sgpr_private_segment_buffer 1
		.amdhsa_user_sgpr_dispatch_ptr 0
		.amdhsa_user_sgpr_queue_ptr 0
		.amdhsa_user_sgpr_kernarg_segment_ptr 1
		.amdhsa_user_sgpr_dispatch_id 0
		.amdhsa_user_sgpr_flat_scratch_init 0
		.amdhsa_user_sgpr_kernarg_preload_length 0
		.amdhsa_user_sgpr_kernarg_preload_offset 0
		.amdhsa_user_sgpr_private_segment_size 0
		.amdhsa_uses_dynamic_stack 0
		.amdhsa_system_sgpr_private_segment_wavefront_offset 0
		.amdhsa_system_sgpr_workgroup_id_x 1
		.amdhsa_system_sgpr_workgroup_id_y 0
		.amdhsa_system_sgpr_workgroup_id_z 0
		.amdhsa_system_sgpr_workgroup_info 0
		.amdhsa_system_vgpr_workitem_id 0
		.amdhsa_next_free_vgpr 1
		.amdhsa_next_free_sgpr 0
		.amdhsa_accum_offset 4
		.amdhsa_reserve_vcc 0
		.amdhsa_reserve_flat_scratch 0
		.amdhsa_float_round_mode_32 0
		.amdhsa_float_round_mode_16_64 0
		.amdhsa_float_denorm_mode_32 3
		.amdhsa_float_denorm_mode_16_64 3
		.amdhsa_dx10_clamp 1
		.amdhsa_ieee_mode 1
		.amdhsa_fp16_overflow 0
		.amdhsa_tg_split 0
		.amdhsa_exception_fp_ieee_invalid_op 0
		.amdhsa_exception_fp_denorm_src 0
		.amdhsa_exception_fp_ieee_div_zero 0
		.amdhsa_exception_fp_ieee_overflow 0
		.amdhsa_exception_fp_ieee_underflow 0
		.amdhsa_exception_fp_ieee_inexact 0
		.amdhsa_exception_int_div_zero 0
	.end_amdhsa_kernel
	.section	.text._ZN7rocprim17ROCPRIM_400000_NS6detail17trampoline_kernelINS0_14default_configENS1_38merge_sort_block_merge_config_selectorIlNS0_10empty_typeEEEZZNS1_27merge_sort_block_merge_implIS3_PlPS5_mZN2at6native12_GLOBAL__N_124unique_dim_cuda_templateIsEESt5tupleIJNSA_6TensorESF_SF_EERKSF_lbbbEUlllE_EE10hipError_tT0_T1_T2_jT3_P12ihipStream_tbPNSt15iterator_traitsISL_E10value_typeEPNSR_ISM_E10value_typeEPSN_NS1_7vsmem_tEENKUlT_SL_SM_SN_E_clIS8_S8_S9_S9_EESK_S10_SL_SM_SN_EUlS10_E1_NS1_11comp_targetILNS1_3genE8ELNS1_11target_archE1030ELNS1_3gpuE2ELNS1_3repE0EEENS1_36merge_oddeven_config_static_selectorELNS0_4arch9wavefront6targetE1EEEvSM_,"axG",@progbits,_ZN7rocprim17ROCPRIM_400000_NS6detail17trampoline_kernelINS0_14default_configENS1_38merge_sort_block_merge_config_selectorIlNS0_10empty_typeEEEZZNS1_27merge_sort_block_merge_implIS3_PlPS5_mZN2at6native12_GLOBAL__N_124unique_dim_cuda_templateIsEESt5tupleIJNSA_6TensorESF_SF_EERKSF_lbbbEUlllE_EE10hipError_tT0_T1_T2_jT3_P12ihipStream_tbPNSt15iterator_traitsISL_E10value_typeEPNSR_ISM_E10value_typeEPSN_NS1_7vsmem_tEENKUlT_SL_SM_SN_E_clIS8_S8_S9_S9_EESK_S10_SL_SM_SN_EUlS10_E1_NS1_11comp_targetILNS1_3genE8ELNS1_11target_archE1030ELNS1_3gpuE2ELNS1_3repE0EEENS1_36merge_oddeven_config_static_selectorELNS0_4arch9wavefront6targetE1EEEvSM_,comdat
.Lfunc_end659:
	.size	_ZN7rocprim17ROCPRIM_400000_NS6detail17trampoline_kernelINS0_14default_configENS1_38merge_sort_block_merge_config_selectorIlNS0_10empty_typeEEEZZNS1_27merge_sort_block_merge_implIS3_PlPS5_mZN2at6native12_GLOBAL__N_124unique_dim_cuda_templateIsEESt5tupleIJNSA_6TensorESF_SF_EERKSF_lbbbEUlllE_EE10hipError_tT0_T1_T2_jT3_P12ihipStream_tbPNSt15iterator_traitsISL_E10value_typeEPNSR_ISM_E10value_typeEPSN_NS1_7vsmem_tEENKUlT_SL_SM_SN_E_clIS8_S8_S9_S9_EESK_S10_SL_SM_SN_EUlS10_E1_NS1_11comp_targetILNS1_3genE8ELNS1_11target_archE1030ELNS1_3gpuE2ELNS1_3repE0EEENS1_36merge_oddeven_config_static_selectorELNS0_4arch9wavefront6targetE1EEEvSM_, .Lfunc_end659-_ZN7rocprim17ROCPRIM_400000_NS6detail17trampoline_kernelINS0_14default_configENS1_38merge_sort_block_merge_config_selectorIlNS0_10empty_typeEEEZZNS1_27merge_sort_block_merge_implIS3_PlPS5_mZN2at6native12_GLOBAL__N_124unique_dim_cuda_templateIsEESt5tupleIJNSA_6TensorESF_SF_EERKSF_lbbbEUlllE_EE10hipError_tT0_T1_T2_jT3_P12ihipStream_tbPNSt15iterator_traitsISL_E10value_typeEPNSR_ISM_E10value_typeEPSN_NS1_7vsmem_tEENKUlT_SL_SM_SN_E_clIS8_S8_S9_S9_EESK_S10_SL_SM_SN_EUlS10_E1_NS1_11comp_targetILNS1_3genE8ELNS1_11target_archE1030ELNS1_3gpuE2ELNS1_3repE0EEENS1_36merge_oddeven_config_static_selectorELNS0_4arch9wavefront6targetE1EEEvSM_
                                        ; -- End function
	.section	.AMDGPU.csdata,"",@progbits
; Kernel info:
; codeLenInByte = 0
; NumSgprs: 4
; NumVgprs: 0
; NumAgprs: 0
; TotalNumVgprs: 0
; ScratchSize: 0
; MemoryBound: 0
; FloatMode: 240
; IeeeMode: 1
; LDSByteSize: 0 bytes/workgroup (compile time only)
; SGPRBlocks: 0
; VGPRBlocks: 0
; NumSGPRsForWavesPerEU: 4
; NumVGPRsForWavesPerEU: 1
; AccumOffset: 4
; Occupancy: 8
; WaveLimiterHint : 0
; COMPUTE_PGM_RSRC2:SCRATCH_EN: 0
; COMPUTE_PGM_RSRC2:USER_SGPR: 6
; COMPUTE_PGM_RSRC2:TRAP_HANDLER: 0
; COMPUTE_PGM_RSRC2:TGID_X_EN: 1
; COMPUTE_PGM_RSRC2:TGID_Y_EN: 0
; COMPUTE_PGM_RSRC2:TGID_Z_EN: 0
; COMPUTE_PGM_RSRC2:TIDIG_COMP_CNT: 0
; COMPUTE_PGM_RSRC3_GFX90A:ACCUM_OFFSET: 0
; COMPUTE_PGM_RSRC3_GFX90A:TG_SPLIT: 0
	.section	.text._ZN7rocprim17ROCPRIM_400000_NS6detail17trampoline_kernelINS0_14default_configENS1_35adjacent_difference_config_selectorILb0ElEEZNS1_24adjacent_difference_implIS3_Lb0ELb0EPlS7_ZN2at6native12_GLOBAL__N_124unique_dim_cuda_templateIsEESt5tupleIJNS8_6TensorESD_SD_EERKSD_lbbbEUlllE1_EE10hipError_tPvRmT2_T3_mT4_P12ihipStream_tbEUlT_E_NS1_11comp_targetILNS1_3genE0ELNS1_11target_archE4294967295ELNS1_3gpuE0ELNS1_3repE0EEENS1_30default_config_static_selectorELNS0_4arch9wavefront6targetE1EEEvT1_,"axG",@progbits,_ZN7rocprim17ROCPRIM_400000_NS6detail17trampoline_kernelINS0_14default_configENS1_35adjacent_difference_config_selectorILb0ElEEZNS1_24adjacent_difference_implIS3_Lb0ELb0EPlS7_ZN2at6native12_GLOBAL__N_124unique_dim_cuda_templateIsEESt5tupleIJNS8_6TensorESD_SD_EERKSD_lbbbEUlllE1_EE10hipError_tPvRmT2_T3_mT4_P12ihipStream_tbEUlT_E_NS1_11comp_targetILNS1_3genE0ELNS1_11target_archE4294967295ELNS1_3gpuE0ELNS1_3repE0EEENS1_30default_config_static_selectorELNS0_4arch9wavefront6targetE1EEEvT1_,comdat
	.globl	_ZN7rocprim17ROCPRIM_400000_NS6detail17trampoline_kernelINS0_14default_configENS1_35adjacent_difference_config_selectorILb0ElEEZNS1_24adjacent_difference_implIS3_Lb0ELb0EPlS7_ZN2at6native12_GLOBAL__N_124unique_dim_cuda_templateIsEESt5tupleIJNS8_6TensorESD_SD_EERKSD_lbbbEUlllE1_EE10hipError_tPvRmT2_T3_mT4_P12ihipStream_tbEUlT_E_NS1_11comp_targetILNS1_3genE0ELNS1_11target_archE4294967295ELNS1_3gpuE0ELNS1_3repE0EEENS1_30default_config_static_selectorELNS0_4arch9wavefront6targetE1EEEvT1_ ; -- Begin function _ZN7rocprim17ROCPRIM_400000_NS6detail17trampoline_kernelINS0_14default_configENS1_35adjacent_difference_config_selectorILb0ElEEZNS1_24adjacent_difference_implIS3_Lb0ELb0EPlS7_ZN2at6native12_GLOBAL__N_124unique_dim_cuda_templateIsEESt5tupleIJNS8_6TensorESD_SD_EERKSD_lbbbEUlllE1_EE10hipError_tPvRmT2_T3_mT4_P12ihipStream_tbEUlT_E_NS1_11comp_targetILNS1_3genE0ELNS1_11target_archE4294967295ELNS1_3gpuE0ELNS1_3repE0EEENS1_30default_config_static_selectorELNS0_4arch9wavefront6targetE1EEEvT1_
	.p2align	8
	.type	_ZN7rocprim17ROCPRIM_400000_NS6detail17trampoline_kernelINS0_14default_configENS1_35adjacent_difference_config_selectorILb0ElEEZNS1_24adjacent_difference_implIS3_Lb0ELb0EPlS7_ZN2at6native12_GLOBAL__N_124unique_dim_cuda_templateIsEESt5tupleIJNS8_6TensorESD_SD_EERKSD_lbbbEUlllE1_EE10hipError_tPvRmT2_T3_mT4_P12ihipStream_tbEUlT_E_NS1_11comp_targetILNS1_3genE0ELNS1_11target_archE4294967295ELNS1_3gpuE0ELNS1_3repE0EEENS1_30default_config_static_selectorELNS0_4arch9wavefront6targetE1EEEvT1_,@function
_ZN7rocprim17ROCPRIM_400000_NS6detail17trampoline_kernelINS0_14default_configENS1_35adjacent_difference_config_selectorILb0ElEEZNS1_24adjacent_difference_implIS3_Lb0ELb0EPlS7_ZN2at6native12_GLOBAL__N_124unique_dim_cuda_templateIsEESt5tupleIJNS8_6TensorESD_SD_EERKSD_lbbbEUlllE1_EE10hipError_tPvRmT2_T3_mT4_P12ihipStream_tbEUlT_E_NS1_11comp_targetILNS1_3genE0ELNS1_11target_archE4294967295ELNS1_3gpuE0ELNS1_3repE0EEENS1_30default_config_static_selectorELNS0_4arch9wavefront6targetE1EEEvT1_: ; @_ZN7rocprim17ROCPRIM_400000_NS6detail17trampoline_kernelINS0_14default_configENS1_35adjacent_difference_config_selectorILb0ElEEZNS1_24adjacent_difference_implIS3_Lb0ELb0EPlS7_ZN2at6native12_GLOBAL__N_124unique_dim_cuda_templateIsEESt5tupleIJNS8_6TensorESD_SD_EERKSD_lbbbEUlllE1_EE10hipError_tPvRmT2_T3_mT4_P12ihipStream_tbEUlT_E_NS1_11comp_targetILNS1_3genE0ELNS1_11target_archE4294967295ELNS1_3gpuE0ELNS1_3repE0EEENS1_30default_config_static_selectorELNS0_4arch9wavefront6targetE1EEEvT1_
; %bb.0:
	.section	.rodata,"a",@progbits
	.p2align	6, 0x0
	.amdhsa_kernel _ZN7rocprim17ROCPRIM_400000_NS6detail17trampoline_kernelINS0_14default_configENS1_35adjacent_difference_config_selectorILb0ElEEZNS1_24adjacent_difference_implIS3_Lb0ELb0EPlS7_ZN2at6native12_GLOBAL__N_124unique_dim_cuda_templateIsEESt5tupleIJNS8_6TensorESD_SD_EERKSD_lbbbEUlllE1_EE10hipError_tPvRmT2_T3_mT4_P12ihipStream_tbEUlT_E_NS1_11comp_targetILNS1_3genE0ELNS1_11target_archE4294967295ELNS1_3gpuE0ELNS1_3repE0EEENS1_30default_config_static_selectorELNS0_4arch9wavefront6targetE1EEEvT1_
		.amdhsa_group_segment_fixed_size 0
		.amdhsa_private_segment_fixed_size 0
		.amdhsa_kernarg_size 64
		.amdhsa_user_sgpr_count 6
		.amdhsa_user_sgpr_private_segment_buffer 1
		.amdhsa_user_sgpr_dispatch_ptr 0
		.amdhsa_user_sgpr_queue_ptr 0
		.amdhsa_user_sgpr_kernarg_segment_ptr 1
		.amdhsa_user_sgpr_dispatch_id 0
		.amdhsa_user_sgpr_flat_scratch_init 0
		.amdhsa_user_sgpr_kernarg_preload_length 0
		.amdhsa_user_sgpr_kernarg_preload_offset 0
		.amdhsa_user_sgpr_private_segment_size 0
		.amdhsa_uses_dynamic_stack 0
		.amdhsa_system_sgpr_private_segment_wavefront_offset 0
		.amdhsa_system_sgpr_workgroup_id_x 1
		.amdhsa_system_sgpr_workgroup_id_y 0
		.amdhsa_system_sgpr_workgroup_id_z 0
		.amdhsa_system_sgpr_workgroup_info 0
		.amdhsa_system_vgpr_workitem_id 0
		.amdhsa_next_free_vgpr 1
		.amdhsa_next_free_sgpr 0
		.amdhsa_accum_offset 4
		.amdhsa_reserve_vcc 0
		.amdhsa_reserve_flat_scratch 0
		.amdhsa_float_round_mode_32 0
		.amdhsa_float_round_mode_16_64 0
		.amdhsa_float_denorm_mode_32 3
		.amdhsa_float_denorm_mode_16_64 3
		.amdhsa_dx10_clamp 1
		.amdhsa_ieee_mode 1
		.amdhsa_fp16_overflow 0
		.amdhsa_tg_split 0
		.amdhsa_exception_fp_ieee_invalid_op 0
		.amdhsa_exception_fp_denorm_src 0
		.amdhsa_exception_fp_ieee_div_zero 0
		.amdhsa_exception_fp_ieee_overflow 0
		.amdhsa_exception_fp_ieee_underflow 0
		.amdhsa_exception_fp_ieee_inexact 0
		.amdhsa_exception_int_div_zero 0
	.end_amdhsa_kernel
	.section	.text._ZN7rocprim17ROCPRIM_400000_NS6detail17trampoline_kernelINS0_14default_configENS1_35adjacent_difference_config_selectorILb0ElEEZNS1_24adjacent_difference_implIS3_Lb0ELb0EPlS7_ZN2at6native12_GLOBAL__N_124unique_dim_cuda_templateIsEESt5tupleIJNS8_6TensorESD_SD_EERKSD_lbbbEUlllE1_EE10hipError_tPvRmT2_T3_mT4_P12ihipStream_tbEUlT_E_NS1_11comp_targetILNS1_3genE0ELNS1_11target_archE4294967295ELNS1_3gpuE0ELNS1_3repE0EEENS1_30default_config_static_selectorELNS0_4arch9wavefront6targetE1EEEvT1_,"axG",@progbits,_ZN7rocprim17ROCPRIM_400000_NS6detail17trampoline_kernelINS0_14default_configENS1_35adjacent_difference_config_selectorILb0ElEEZNS1_24adjacent_difference_implIS3_Lb0ELb0EPlS7_ZN2at6native12_GLOBAL__N_124unique_dim_cuda_templateIsEESt5tupleIJNS8_6TensorESD_SD_EERKSD_lbbbEUlllE1_EE10hipError_tPvRmT2_T3_mT4_P12ihipStream_tbEUlT_E_NS1_11comp_targetILNS1_3genE0ELNS1_11target_archE4294967295ELNS1_3gpuE0ELNS1_3repE0EEENS1_30default_config_static_selectorELNS0_4arch9wavefront6targetE1EEEvT1_,comdat
.Lfunc_end660:
	.size	_ZN7rocprim17ROCPRIM_400000_NS6detail17trampoline_kernelINS0_14default_configENS1_35adjacent_difference_config_selectorILb0ElEEZNS1_24adjacent_difference_implIS3_Lb0ELb0EPlS7_ZN2at6native12_GLOBAL__N_124unique_dim_cuda_templateIsEESt5tupleIJNS8_6TensorESD_SD_EERKSD_lbbbEUlllE1_EE10hipError_tPvRmT2_T3_mT4_P12ihipStream_tbEUlT_E_NS1_11comp_targetILNS1_3genE0ELNS1_11target_archE4294967295ELNS1_3gpuE0ELNS1_3repE0EEENS1_30default_config_static_selectorELNS0_4arch9wavefront6targetE1EEEvT1_, .Lfunc_end660-_ZN7rocprim17ROCPRIM_400000_NS6detail17trampoline_kernelINS0_14default_configENS1_35adjacent_difference_config_selectorILb0ElEEZNS1_24adjacent_difference_implIS3_Lb0ELb0EPlS7_ZN2at6native12_GLOBAL__N_124unique_dim_cuda_templateIsEESt5tupleIJNS8_6TensorESD_SD_EERKSD_lbbbEUlllE1_EE10hipError_tPvRmT2_T3_mT4_P12ihipStream_tbEUlT_E_NS1_11comp_targetILNS1_3genE0ELNS1_11target_archE4294967295ELNS1_3gpuE0ELNS1_3repE0EEENS1_30default_config_static_selectorELNS0_4arch9wavefront6targetE1EEEvT1_
                                        ; -- End function
	.section	.AMDGPU.csdata,"",@progbits
; Kernel info:
; codeLenInByte = 0
; NumSgprs: 4
; NumVgprs: 0
; NumAgprs: 0
; TotalNumVgprs: 0
; ScratchSize: 0
; MemoryBound: 0
; FloatMode: 240
; IeeeMode: 1
; LDSByteSize: 0 bytes/workgroup (compile time only)
; SGPRBlocks: 0
; VGPRBlocks: 0
; NumSGPRsForWavesPerEU: 4
; NumVGPRsForWavesPerEU: 1
; AccumOffset: 4
; Occupancy: 8
; WaveLimiterHint : 0
; COMPUTE_PGM_RSRC2:SCRATCH_EN: 0
; COMPUTE_PGM_RSRC2:USER_SGPR: 6
; COMPUTE_PGM_RSRC2:TRAP_HANDLER: 0
; COMPUTE_PGM_RSRC2:TGID_X_EN: 1
; COMPUTE_PGM_RSRC2:TGID_Y_EN: 0
; COMPUTE_PGM_RSRC2:TGID_Z_EN: 0
; COMPUTE_PGM_RSRC2:TIDIG_COMP_CNT: 0
; COMPUTE_PGM_RSRC3_GFX90A:ACCUM_OFFSET: 0
; COMPUTE_PGM_RSRC3_GFX90A:TG_SPLIT: 0
	.section	.text._ZN7rocprim17ROCPRIM_400000_NS6detail17trampoline_kernelINS0_14default_configENS1_35adjacent_difference_config_selectorILb0ElEEZNS1_24adjacent_difference_implIS3_Lb0ELb0EPlS7_ZN2at6native12_GLOBAL__N_124unique_dim_cuda_templateIsEESt5tupleIJNS8_6TensorESD_SD_EERKSD_lbbbEUlllE1_EE10hipError_tPvRmT2_T3_mT4_P12ihipStream_tbEUlT_E_NS1_11comp_targetILNS1_3genE10ELNS1_11target_archE1201ELNS1_3gpuE5ELNS1_3repE0EEENS1_30default_config_static_selectorELNS0_4arch9wavefront6targetE1EEEvT1_,"axG",@progbits,_ZN7rocprim17ROCPRIM_400000_NS6detail17trampoline_kernelINS0_14default_configENS1_35adjacent_difference_config_selectorILb0ElEEZNS1_24adjacent_difference_implIS3_Lb0ELb0EPlS7_ZN2at6native12_GLOBAL__N_124unique_dim_cuda_templateIsEESt5tupleIJNS8_6TensorESD_SD_EERKSD_lbbbEUlllE1_EE10hipError_tPvRmT2_T3_mT4_P12ihipStream_tbEUlT_E_NS1_11comp_targetILNS1_3genE10ELNS1_11target_archE1201ELNS1_3gpuE5ELNS1_3repE0EEENS1_30default_config_static_selectorELNS0_4arch9wavefront6targetE1EEEvT1_,comdat
	.globl	_ZN7rocprim17ROCPRIM_400000_NS6detail17trampoline_kernelINS0_14default_configENS1_35adjacent_difference_config_selectorILb0ElEEZNS1_24adjacent_difference_implIS3_Lb0ELb0EPlS7_ZN2at6native12_GLOBAL__N_124unique_dim_cuda_templateIsEESt5tupleIJNS8_6TensorESD_SD_EERKSD_lbbbEUlllE1_EE10hipError_tPvRmT2_T3_mT4_P12ihipStream_tbEUlT_E_NS1_11comp_targetILNS1_3genE10ELNS1_11target_archE1201ELNS1_3gpuE5ELNS1_3repE0EEENS1_30default_config_static_selectorELNS0_4arch9wavefront6targetE1EEEvT1_ ; -- Begin function _ZN7rocprim17ROCPRIM_400000_NS6detail17trampoline_kernelINS0_14default_configENS1_35adjacent_difference_config_selectorILb0ElEEZNS1_24adjacent_difference_implIS3_Lb0ELb0EPlS7_ZN2at6native12_GLOBAL__N_124unique_dim_cuda_templateIsEESt5tupleIJNS8_6TensorESD_SD_EERKSD_lbbbEUlllE1_EE10hipError_tPvRmT2_T3_mT4_P12ihipStream_tbEUlT_E_NS1_11comp_targetILNS1_3genE10ELNS1_11target_archE1201ELNS1_3gpuE5ELNS1_3repE0EEENS1_30default_config_static_selectorELNS0_4arch9wavefront6targetE1EEEvT1_
	.p2align	8
	.type	_ZN7rocprim17ROCPRIM_400000_NS6detail17trampoline_kernelINS0_14default_configENS1_35adjacent_difference_config_selectorILb0ElEEZNS1_24adjacent_difference_implIS3_Lb0ELb0EPlS7_ZN2at6native12_GLOBAL__N_124unique_dim_cuda_templateIsEESt5tupleIJNS8_6TensorESD_SD_EERKSD_lbbbEUlllE1_EE10hipError_tPvRmT2_T3_mT4_P12ihipStream_tbEUlT_E_NS1_11comp_targetILNS1_3genE10ELNS1_11target_archE1201ELNS1_3gpuE5ELNS1_3repE0EEENS1_30default_config_static_selectorELNS0_4arch9wavefront6targetE1EEEvT1_,@function
_ZN7rocprim17ROCPRIM_400000_NS6detail17trampoline_kernelINS0_14default_configENS1_35adjacent_difference_config_selectorILb0ElEEZNS1_24adjacent_difference_implIS3_Lb0ELb0EPlS7_ZN2at6native12_GLOBAL__N_124unique_dim_cuda_templateIsEESt5tupleIJNS8_6TensorESD_SD_EERKSD_lbbbEUlllE1_EE10hipError_tPvRmT2_T3_mT4_P12ihipStream_tbEUlT_E_NS1_11comp_targetILNS1_3genE10ELNS1_11target_archE1201ELNS1_3gpuE5ELNS1_3repE0EEENS1_30default_config_static_selectorELNS0_4arch9wavefront6targetE1EEEvT1_: ; @_ZN7rocprim17ROCPRIM_400000_NS6detail17trampoline_kernelINS0_14default_configENS1_35adjacent_difference_config_selectorILb0ElEEZNS1_24adjacent_difference_implIS3_Lb0ELb0EPlS7_ZN2at6native12_GLOBAL__N_124unique_dim_cuda_templateIsEESt5tupleIJNS8_6TensorESD_SD_EERKSD_lbbbEUlllE1_EE10hipError_tPvRmT2_T3_mT4_P12ihipStream_tbEUlT_E_NS1_11comp_targetILNS1_3genE10ELNS1_11target_archE1201ELNS1_3gpuE5ELNS1_3repE0EEENS1_30default_config_static_selectorELNS0_4arch9wavefront6targetE1EEEvT1_
; %bb.0:
	.section	.rodata,"a",@progbits
	.p2align	6, 0x0
	.amdhsa_kernel _ZN7rocprim17ROCPRIM_400000_NS6detail17trampoline_kernelINS0_14default_configENS1_35adjacent_difference_config_selectorILb0ElEEZNS1_24adjacent_difference_implIS3_Lb0ELb0EPlS7_ZN2at6native12_GLOBAL__N_124unique_dim_cuda_templateIsEESt5tupleIJNS8_6TensorESD_SD_EERKSD_lbbbEUlllE1_EE10hipError_tPvRmT2_T3_mT4_P12ihipStream_tbEUlT_E_NS1_11comp_targetILNS1_3genE10ELNS1_11target_archE1201ELNS1_3gpuE5ELNS1_3repE0EEENS1_30default_config_static_selectorELNS0_4arch9wavefront6targetE1EEEvT1_
		.amdhsa_group_segment_fixed_size 0
		.amdhsa_private_segment_fixed_size 0
		.amdhsa_kernarg_size 64
		.amdhsa_user_sgpr_count 6
		.amdhsa_user_sgpr_private_segment_buffer 1
		.amdhsa_user_sgpr_dispatch_ptr 0
		.amdhsa_user_sgpr_queue_ptr 0
		.amdhsa_user_sgpr_kernarg_segment_ptr 1
		.amdhsa_user_sgpr_dispatch_id 0
		.amdhsa_user_sgpr_flat_scratch_init 0
		.amdhsa_user_sgpr_kernarg_preload_length 0
		.amdhsa_user_sgpr_kernarg_preload_offset 0
		.amdhsa_user_sgpr_private_segment_size 0
		.amdhsa_uses_dynamic_stack 0
		.amdhsa_system_sgpr_private_segment_wavefront_offset 0
		.amdhsa_system_sgpr_workgroup_id_x 1
		.amdhsa_system_sgpr_workgroup_id_y 0
		.amdhsa_system_sgpr_workgroup_id_z 0
		.amdhsa_system_sgpr_workgroup_info 0
		.amdhsa_system_vgpr_workitem_id 0
		.amdhsa_next_free_vgpr 1
		.amdhsa_next_free_sgpr 0
		.amdhsa_accum_offset 4
		.amdhsa_reserve_vcc 0
		.amdhsa_reserve_flat_scratch 0
		.amdhsa_float_round_mode_32 0
		.amdhsa_float_round_mode_16_64 0
		.amdhsa_float_denorm_mode_32 3
		.amdhsa_float_denorm_mode_16_64 3
		.amdhsa_dx10_clamp 1
		.amdhsa_ieee_mode 1
		.amdhsa_fp16_overflow 0
		.amdhsa_tg_split 0
		.amdhsa_exception_fp_ieee_invalid_op 0
		.amdhsa_exception_fp_denorm_src 0
		.amdhsa_exception_fp_ieee_div_zero 0
		.amdhsa_exception_fp_ieee_overflow 0
		.amdhsa_exception_fp_ieee_underflow 0
		.amdhsa_exception_fp_ieee_inexact 0
		.amdhsa_exception_int_div_zero 0
	.end_amdhsa_kernel
	.section	.text._ZN7rocprim17ROCPRIM_400000_NS6detail17trampoline_kernelINS0_14default_configENS1_35adjacent_difference_config_selectorILb0ElEEZNS1_24adjacent_difference_implIS3_Lb0ELb0EPlS7_ZN2at6native12_GLOBAL__N_124unique_dim_cuda_templateIsEESt5tupleIJNS8_6TensorESD_SD_EERKSD_lbbbEUlllE1_EE10hipError_tPvRmT2_T3_mT4_P12ihipStream_tbEUlT_E_NS1_11comp_targetILNS1_3genE10ELNS1_11target_archE1201ELNS1_3gpuE5ELNS1_3repE0EEENS1_30default_config_static_selectorELNS0_4arch9wavefront6targetE1EEEvT1_,"axG",@progbits,_ZN7rocprim17ROCPRIM_400000_NS6detail17trampoline_kernelINS0_14default_configENS1_35adjacent_difference_config_selectorILb0ElEEZNS1_24adjacent_difference_implIS3_Lb0ELb0EPlS7_ZN2at6native12_GLOBAL__N_124unique_dim_cuda_templateIsEESt5tupleIJNS8_6TensorESD_SD_EERKSD_lbbbEUlllE1_EE10hipError_tPvRmT2_T3_mT4_P12ihipStream_tbEUlT_E_NS1_11comp_targetILNS1_3genE10ELNS1_11target_archE1201ELNS1_3gpuE5ELNS1_3repE0EEENS1_30default_config_static_selectorELNS0_4arch9wavefront6targetE1EEEvT1_,comdat
.Lfunc_end661:
	.size	_ZN7rocprim17ROCPRIM_400000_NS6detail17trampoline_kernelINS0_14default_configENS1_35adjacent_difference_config_selectorILb0ElEEZNS1_24adjacent_difference_implIS3_Lb0ELb0EPlS7_ZN2at6native12_GLOBAL__N_124unique_dim_cuda_templateIsEESt5tupleIJNS8_6TensorESD_SD_EERKSD_lbbbEUlllE1_EE10hipError_tPvRmT2_T3_mT4_P12ihipStream_tbEUlT_E_NS1_11comp_targetILNS1_3genE10ELNS1_11target_archE1201ELNS1_3gpuE5ELNS1_3repE0EEENS1_30default_config_static_selectorELNS0_4arch9wavefront6targetE1EEEvT1_, .Lfunc_end661-_ZN7rocprim17ROCPRIM_400000_NS6detail17trampoline_kernelINS0_14default_configENS1_35adjacent_difference_config_selectorILb0ElEEZNS1_24adjacent_difference_implIS3_Lb0ELb0EPlS7_ZN2at6native12_GLOBAL__N_124unique_dim_cuda_templateIsEESt5tupleIJNS8_6TensorESD_SD_EERKSD_lbbbEUlllE1_EE10hipError_tPvRmT2_T3_mT4_P12ihipStream_tbEUlT_E_NS1_11comp_targetILNS1_3genE10ELNS1_11target_archE1201ELNS1_3gpuE5ELNS1_3repE0EEENS1_30default_config_static_selectorELNS0_4arch9wavefront6targetE1EEEvT1_
                                        ; -- End function
	.section	.AMDGPU.csdata,"",@progbits
; Kernel info:
; codeLenInByte = 0
; NumSgprs: 4
; NumVgprs: 0
; NumAgprs: 0
; TotalNumVgprs: 0
; ScratchSize: 0
; MemoryBound: 0
; FloatMode: 240
; IeeeMode: 1
; LDSByteSize: 0 bytes/workgroup (compile time only)
; SGPRBlocks: 0
; VGPRBlocks: 0
; NumSGPRsForWavesPerEU: 4
; NumVGPRsForWavesPerEU: 1
; AccumOffset: 4
; Occupancy: 8
; WaveLimiterHint : 0
; COMPUTE_PGM_RSRC2:SCRATCH_EN: 0
; COMPUTE_PGM_RSRC2:USER_SGPR: 6
; COMPUTE_PGM_RSRC2:TRAP_HANDLER: 0
; COMPUTE_PGM_RSRC2:TGID_X_EN: 1
; COMPUTE_PGM_RSRC2:TGID_Y_EN: 0
; COMPUTE_PGM_RSRC2:TGID_Z_EN: 0
; COMPUTE_PGM_RSRC2:TIDIG_COMP_CNT: 0
; COMPUTE_PGM_RSRC3_GFX90A:ACCUM_OFFSET: 0
; COMPUTE_PGM_RSRC3_GFX90A:TG_SPLIT: 0
	.section	.text._ZN7rocprim17ROCPRIM_400000_NS6detail17trampoline_kernelINS0_14default_configENS1_35adjacent_difference_config_selectorILb0ElEEZNS1_24adjacent_difference_implIS3_Lb0ELb0EPlS7_ZN2at6native12_GLOBAL__N_124unique_dim_cuda_templateIsEESt5tupleIJNS8_6TensorESD_SD_EERKSD_lbbbEUlllE1_EE10hipError_tPvRmT2_T3_mT4_P12ihipStream_tbEUlT_E_NS1_11comp_targetILNS1_3genE5ELNS1_11target_archE942ELNS1_3gpuE9ELNS1_3repE0EEENS1_30default_config_static_selectorELNS0_4arch9wavefront6targetE1EEEvT1_,"axG",@progbits,_ZN7rocprim17ROCPRIM_400000_NS6detail17trampoline_kernelINS0_14default_configENS1_35adjacent_difference_config_selectorILb0ElEEZNS1_24adjacent_difference_implIS3_Lb0ELb0EPlS7_ZN2at6native12_GLOBAL__N_124unique_dim_cuda_templateIsEESt5tupleIJNS8_6TensorESD_SD_EERKSD_lbbbEUlllE1_EE10hipError_tPvRmT2_T3_mT4_P12ihipStream_tbEUlT_E_NS1_11comp_targetILNS1_3genE5ELNS1_11target_archE942ELNS1_3gpuE9ELNS1_3repE0EEENS1_30default_config_static_selectorELNS0_4arch9wavefront6targetE1EEEvT1_,comdat
	.globl	_ZN7rocprim17ROCPRIM_400000_NS6detail17trampoline_kernelINS0_14default_configENS1_35adjacent_difference_config_selectorILb0ElEEZNS1_24adjacent_difference_implIS3_Lb0ELb0EPlS7_ZN2at6native12_GLOBAL__N_124unique_dim_cuda_templateIsEESt5tupleIJNS8_6TensorESD_SD_EERKSD_lbbbEUlllE1_EE10hipError_tPvRmT2_T3_mT4_P12ihipStream_tbEUlT_E_NS1_11comp_targetILNS1_3genE5ELNS1_11target_archE942ELNS1_3gpuE9ELNS1_3repE0EEENS1_30default_config_static_selectorELNS0_4arch9wavefront6targetE1EEEvT1_ ; -- Begin function _ZN7rocprim17ROCPRIM_400000_NS6detail17trampoline_kernelINS0_14default_configENS1_35adjacent_difference_config_selectorILb0ElEEZNS1_24adjacent_difference_implIS3_Lb0ELb0EPlS7_ZN2at6native12_GLOBAL__N_124unique_dim_cuda_templateIsEESt5tupleIJNS8_6TensorESD_SD_EERKSD_lbbbEUlllE1_EE10hipError_tPvRmT2_T3_mT4_P12ihipStream_tbEUlT_E_NS1_11comp_targetILNS1_3genE5ELNS1_11target_archE942ELNS1_3gpuE9ELNS1_3repE0EEENS1_30default_config_static_selectorELNS0_4arch9wavefront6targetE1EEEvT1_
	.p2align	8
	.type	_ZN7rocprim17ROCPRIM_400000_NS6detail17trampoline_kernelINS0_14default_configENS1_35adjacent_difference_config_selectorILb0ElEEZNS1_24adjacent_difference_implIS3_Lb0ELb0EPlS7_ZN2at6native12_GLOBAL__N_124unique_dim_cuda_templateIsEESt5tupleIJNS8_6TensorESD_SD_EERKSD_lbbbEUlllE1_EE10hipError_tPvRmT2_T3_mT4_P12ihipStream_tbEUlT_E_NS1_11comp_targetILNS1_3genE5ELNS1_11target_archE942ELNS1_3gpuE9ELNS1_3repE0EEENS1_30default_config_static_selectorELNS0_4arch9wavefront6targetE1EEEvT1_,@function
_ZN7rocprim17ROCPRIM_400000_NS6detail17trampoline_kernelINS0_14default_configENS1_35adjacent_difference_config_selectorILb0ElEEZNS1_24adjacent_difference_implIS3_Lb0ELb0EPlS7_ZN2at6native12_GLOBAL__N_124unique_dim_cuda_templateIsEESt5tupleIJNS8_6TensorESD_SD_EERKSD_lbbbEUlllE1_EE10hipError_tPvRmT2_T3_mT4_P12ihipStream_tbEUlT_E_NS1_11comp_targetILNS1_3genE5ELNS1_11target_archE942ELNS1_3gpuE9ELNS1_3repE0EEENS1_30default_config_static_selectorELNS0_4arch9wavefront6targetE1EEEvT1_: ; @_ZN7rocprim17ROCPRIM_400000_NS6detail17trampoline_kernelINS0_14default_configENS1_35adjacent_difference_config_selectorILb0ElEEZNS1_24adjacent_difference_implIS3_Lb0ELb0EPlS7_ZN2at6native12_GLOBAL__N_124unique_dim_cuda_templateIsEESt5tupleIJNS8_6TensorESD_SD_EERKSD_lbbbEUlllE1_EE10hipError_tPvRmT2_T3_mT4_P12ihipStream_tbEUlT_E_NS1_11comp_targetILNS1_3genE5ELNS1_11target_archE942ELNS1_3gpuE9ELNS1_3repE0EEENS1_30default_config_static_selectorELNS0_4arch9wavefront6targetE1EEEvT1_
; %bb.0:
	.section	.rodata,"a",@progbits
	.p2align	6, 0x0
	.amdhsa_kernel _ZN7rocprim17ROCPRIM_400000_NS6detail17trampoline_kernelINS0_14default_configENS1_35adjacent_difference_config_selectorILb0ElEEZNS1_24adjacent_difference_implIS3_Lb0ELb0EPlS7_ZN2at6native12_GLOBAL__N_124unique_dim_cuda_templateIsEESt5tupleIJNS8_6TensorESD_SD_EERKSD_lbbbEUlllE1_EE10hipError_tPvRmT2_T3_mT4_P12ihipStream_tbEUlT_E_NS1_11comp_targetILNS1_3genE5ELNS1_11target_archE942ELNS1_3gpuE9ELNS1_3repE0EEENS1_30default_config_static_selectorELNS0_4arch9wavefront6targetE1EEEvT1_
		.amdhsa_group_segment_fixed_size 0
		.amdhsa_private_segment_fixed_size 0
		.amdhsa_kernarg_size 64
		.amdhsa_user_sgpr_count 6
		.amdhsa_user_sgpr_private_segment_buffer 1
		.amdhsa_user_sgpr_dispatch_ptr 0
		.amdhsa_user_sgpr_queue_ptr 0
		.amdhsa_user_sgpr_kernarg_segment_ptr 1
		.amdhsa_user_sgpr_dispatch_id 0
		.amdhsa_user_sgpr_flat_scratch_init 0
		.amdhsa_user_sgpr_kernarg_preload_length 0
		.amdhsa_user_sgpr_kernarg_preload_offset 0
		.amdhsa_user_sgpr_private_segment_size 0
		.amdhsa_uses_dynamic_stack 0
		.amdhsa_system_sgpr_private_segment_wavefront_offset 0
		.amdhsa_system_sgpr_workgroup_id_x 1
		.amdhsa_system_sgpr_workgroup_id_y 0
		.amdhsa_system_sgpr_workgroup_id_z 0
		.amdhsa_system_sgpr_workgroup_info 0
		.amdhsa_system_vgpr_workitem_id 0
		.amdhsa_next_free_vgpr 1
		.amdhsa_next_free_sgpr 0
		.amdhsa_accum_offset 4
		.amdhsa_reserve_vcc 0
		.amdhsa_reserve_flat_scratch 0
		.amdhsa_float_round_mode_32 0
		.amdhsa_float_round_mode_16_64 0
		.amdhsa_float_denorm_mode_32 3
		.amdhsa_float_denorm_mode_16_64 3
		.amdhsa_dx10_clamp 1
		.amdhsa_ieee_mode 1
		.amdhsa_fp16_overflow 0
		.amdhsa_tg_split 0
		.amdhsa_exception_fp_ieee_invalid_op 0
		.amdhsa_exception_fp_denorm_src 0
		.amdhsa_exception_fp_ieee_div_zero 0
		.amdhsa_exception_fp_ieee_overflow 0
		.amdhsa_exception_fp_ieee_underflow 0
		.amdhsa_exception_fp_ieee_inexact 0
		.amdhsa_exception_int_div_zero 0
	.end_amdhsa_kernel
	.section	.text._ZN7rocprim17ROCPRIM_400000_NS6detail17trampoline_kernelINS0_14default_configENS1_35adjacent_difference_config_selectorILb0ElEEZNS1_24adjacent_difference_implIS3_Lb0ELb0EPlS7_ZN2at6native12_GLOBAL__N_124unique_dim_cuda_templateIsEESt5tupleIJNS8_6TensorESD_SD_EERKSD_lbbbEUlllE1_EE10hipError_tPvRmT2_T3_mT4_P12ihipStream_tbEUlT_E_NS1_11comp_targetILNS1_3genE5ELNS1_11target_archE942ELNS1_3gpuE9ELNS1_3repE0EEENS1_30default_config_static_selectorELNS0_4arch9wavefront6targetE1EEEvT1_,"axG",@progbits,_ZN7rocprim17ROCPRIM_400000_NS6detail17trampoline_kernelINS0_14default_configENS1_35adjacent_difference_config_selectorILb0ElEEZNS1_24adjacent_difference_implIS3_Lb0ELb0EPlS7_ZN2at6native12_GLOBAL__N_124unique_dim_cuda_templateIsEESt5tupleIJNS8_6TensorESD_SD_EERKSD_lbbbEUlllE1_EE10hipError_tPvRmT2_T3_mT4_P12ihipStream_tbEUlT_E_NS1_11comp_targetILNS1_3genE5ELNS1_11target_archE942ELNS1_3gpuE9ELNS1_3repE0EEENS1_30default_config_static_selectorELNS0_4arch9wavefront6targetE1EEEvT1_,comdat
.Lfunc_end662:
	.size	_ZN7rocprim17ROCPRIM_400000_NS6detail17trampoline_kernelINS0_14default_configENS1_35adjacent_difference_config_selectorILb0ElEEZNS1_24adjacent_difference_implIS3_Lb0ELb0EPlS7_ZN2at6native12_GLOBAL__N_124unique_dim_cuda_templateIsEESt5tupleIJNS8_6TensorESD_SD_EERKSD_lbbbEUlllE1_EE10hipError_tPvRmT2_T3_mT4_P12ihipStream_tbEUlT_E_NS1_11comp_targetILNS1_3genE5ELNS1_11target_archE942ELNS1_3gpuE9ELNS1_3repE0EEENS1_30default_config_static_selectorELNS0_4arch9wavefront6targetE1EEEvT1_, .Lfunc_end662-_ZN7rocprim17ROCPRIM_400000_NS6detail17trampoline_kernelINS0_14default_configENS1_35adjacent_difference_config_selectorILb0ElEEZNS1_24adjacent_difference_implIS3_Lb0ELb0EPlS7_ZN2at6native12_GLOBAL__N_124unique_dim_cuda_templateIsEESt5tupleIJNS8_6TensorESD_SD_EERKSD_lbbbEUlllE1_EE10hipError_tPvRmT2_T3_mT4_P12ihipStream_tbEUlT_E_NS1_11comp_targetILNS1_3genE5ELNS1_11target_archE942ELNS1_3gpuE9ELNS1_3repE0EEENS1_30default_config_static_selectorELNS0_4arch9wavefront6targetE1EEEvT1_
                                        ; -- End function
	.section	.AMDGPU.csdata,"",@progbits
; Kernel info:
; codeLenInByte = 0
; NumSgprs: 4
; NumVgprs: 0
; NumAgprs: 0
; TotalNumVgprs: 0
; ScratchSize: 0
; MemoryBound: 0
; FloatMode: 240
; IeeeMode: 1
; LDSByteSize: 0 bytes/workgroup (compile time only)
; SGPRBlocks: 0
; VGPRBlocks: 0
; NumSGPRsForWavesPerEU: 4
; NumVGPRsForWavesPerEU: 1
; AccumOffset: 4
; Occupancy: 8
; WaveLimiterHint : 0
; COMPUTE_PGM_RSRC2:SCRATCH_EN: 0
; COMPUTE_PGM_RSRC2:USER_SGPR: 6
; COMPUTE_PGM_RSRC2:TRAP_HANDLER: 0
; COMPUTE_PGM_RSRC2:TGID_X_EN: 1
; COMPUTE_PGM_RSRC2:TGID_Y_EN: 0
; COMPUTE_PGM_RSRC2:TGID_Z_EN: 0
; COMPUTE_PGM_RSRC2:TIDIG_COMP_CNT: 0
; COMPUTE_PGM_RSRC3_GFX90A:ACCUM_OFFSET: 0
; COMPUTE_PGM_RSRC3_GFX90A:TG_SPLIT: 0
	.section	.text._ZN7rocprim17ROCPRIM_400000_NS6detail17trampoline_kernelINS0_14default_configENS1_35adjacent_difference_config_selectorILb0ElEEZNS1_24adjacent_difference_implIS3_Lb0ELb0EPlS7_ZN2at6native12_GLOBAL__N_124unique_dim_cuda_templateIsEESt5tupleIJNS8_6TensorESD_SD_EERKSD_lbbbEUlllE1_EE10hipError_tPvRmT2_T3_mT4_P12ihipStream_tbEUlT_E_NS1_11comp_targetILNS1_3genE4ELNS1_11target_archE910ELNS1_3gpuE8ELNS1_3repE0EEENS1_30default_config_static_selectorELNS0_4arch9wavefront6targetE1EEEvT1_,"axG",@progbits,_ZN7rocprim17ROCPRIM_400000_NS6detail17trampoline_kernelINS0_14default_configENS1_35adjacent_difference_config_selectorILb0ElEEZNS1_24adjacent_difference_implIS3_Lb0ELb0EPlS7_ZN2at6native12_GLOBAL__N_124unique_dim_cuda_templateIsEESt5tupleIJNS8_6TensorESD_SD_EERKSD_lbbbEUlllE1_EE10hipError_tPvRmT2_T3_mT4_P12ihipStream_tbEUlT_E_NS1_11comp_targetILNS1_3genE4ELNS1_11target_archE910ELNS1_3gpuE8ELNS1_3repE0EEENS1_30default_config_static_selectorELNS0_4arch9wavefront6targetE1EEEvT1_,comdat
	.globl	_ZN7rocprim17ROCPRIM_400000_NS6detail17trampoline_kernelINS0_14default_configENS1_35adjacent_difference_config_selectorILb0ElEEZNS1_24adjacent_difference_implIS3_Lb0ELb0EPlS7_ZN2at6native12_GLOBAL__N_124unique_dim_cuda_templateIsEESt5tupleIJNS8_6TensorESD_SD_EERKSD_lbbbEUlllE1_EE10hipError_tPvRmT2_T3_mT4_P12ihipStream_tbEUlT_E_NS1_11comp_targetILNS1_3genE4ELNS1_11target_archE910ELNS1_3gpuE8ELNS1_3repE0EEENS1_30default_config_static_selectorELNS0_4arch9wavefront6targetE1EEEvT1_ ; -- Begin function _ZN7rocprim17ROCPRIM_400000_NS6detail17trampoline_kernelINS0_14default_configENS1_35adjacent_difference_config_selectorILb0ElEEZNS1_24adjacent_difference_implIS3_Lb0ELb0EPlS7_ZN2at6native12_GLOBAL__N_124unique_dim_cuda_templateIsEESt5tupleIJNS8_6TensorESD_SD_EERKSD_lbbbEUlllE1_EE10hipError_tPvRmT2_T3_mT4_P12ihipStream_tbEUlT_E_NS1_11comp_targetILNS1_3genE4ELNS1_11target_archE910ELNS1_3gpuE8ELNS1_3repE0EEENS1_30default_config_static_selectorELNS0_4arch9wavefront6targetE1EEEvT1_
	.p2align	8
	.type	_ZN7rocprim17ROCPRIM_400000_NS6detail17trampoline_kernelINS0_14default_configENS1_35adjacent_difference_config_selectorILb0ElEEZNS1_24adjacent_difference_implIS3_Lb0ELb0EPlS7_ZN2at6native12_GLOBAL__N_124unique_dim_cuda_templateIsEESt5tupleIJNS8_6TensorESD_SD_EERKSD_lbbbEUlllE1_EE10hipError_tPvRmT2_T3_mT4_P12ihipStream_tbEUlT_E_NS1_11comp_targetILNS1_3genE4ELNS1_11target_archE910ELNS1_3gpuE8ELNS1_3repE0EEENS1_30default_config_static_selectorELNS0_4arch9wavefront6targetE1EEEvT1_,@function
_ZN7rocprim17ROCPRIM_400000_NS6detail17trampoline_kernelINS0_14default_configENS1_35adjacent_difference_config_selectorILb0ElEEZNS1_24adjacent_difference_implIS3_Lb0ELb0EPlS7_ZN2at6native12_GLOBAL__N_124unique_dim_cuda_templateIsEESt5tupleIJNS8_6TensorESD_SD_EERKSD_lbbbEUlllE1_EE10hipError_tPvRmT2_T3_mT4_P12ihipStream_tbEUlT_E_NS1_11comp_targetILNS1_3genE4ELNS1_11target_archE910ELNS1_3gpuE8ELNS1_3repE0EEENS1_30default_config_static_selectorELNS0_4arch9wavefront6targetE1EEEvT1_: ; @_ZN7rocprim17ROCPRIM_400000_NS6detail17trampoline_kernelINS0_14default_configENS1_35adjacent_difference_config_selectorILb0ElEEZNS1_24adjacent_difference_implIS3_Lb0ELb0EPlS7_ZN2at6native12_GLOBAL__N_124unique_dim_cuda_templateIsEESt5tupleIJNS8_6TensorESD_SD_EERKSD_lbbbEUlllE1_EE10hipError_tPvRmT2_T3_mT4_P12ihipStream_tbEUlT_E_NS1_11comp_targetILNS1_3genE4ELNS1_11target_archE910ELNS1_3gpuE8ELNS1_3repE0EEENS1_30default_config_static_selectorELNS0_4arch9wavefront6targetE1EEEvT1_
; %bb.0:
	s_load_dwordx8 s[8:15], s[4:5], 0x0
	s_load_dwordx4 s[16:19], s[4:5], 0x20
	s_load_dwordx2 s[0:1], s[4:5], 0x38
	s_waitcnt lgkmcnt(0)
	s_lshl_b64 s[10:11], s[10:11], 3
	s_add_u32 s24, s8, s10
	s_addc_u32 s25, s9, s11
	s_mov_b32 s9, 0
	s_lshl_b32 s8, s6, 9
	s_lshr_b64 s[2:3], s[14:15], 9
	s_and_b32 s4, s14, 0x1ff
	s_mov_b32 s5, s9
	s_cmp_lg_u64 s[4:5], 0
	s_cselect_b64 s[4:5], -1, 0
	v_cndmask_b32_e64 v1, 0, 1, s[4:5]
	v_readfirstlane_b32 s4, v1
	s_add_u32 s22, s2, s4
	s_addc_u32 s23, s3, 0
	s_add_u32 s26, s0, s6
	s_addc_u32 s27, s1, 0
	s_add_u32 s6, s22, -1
	s_addc_u32 s7, s23, -1
	v_pk_mov_b32 v[2:3], s[6:7], s[6:7] op_sel:[0,1]
	v_cmp_ge_u64_e64 s[0:1], s[26:27], v[2:3]
	s_mov_b64 s[2:3], -1
	s_and_b64 vcc, exec, s[0:1]
	s_cbranch_vccz .LBB663_6
; %bb.1:
	s_lshl_b32 s2, s6, 9
	s_sub_i32 s15, s14, s2
	s_lshl_b64 s[2:3], s[8:9], 3
	s_add_u32 s2, s24, s2
	s_addc_u32 s3, s25, s3
	v_cmp_gt_u32_e32 vcc, s15, v0
                                        ; implicit-def: $vgpr2_vgpr3_vgpr4_vgpr5
	s_and_saveexec_b64 s[4:5], vcc
	s_cbranch_execz .LBB663_3
; %bb.2:
	v_lshlrev_b32_e32 v1, 3, v0
	global_load_dwordx2 v[2:3], v1, s[2:3]
.LBB663_3:
	s_or_b64 exec, exec, s[4:5]
	v_or_b32_e32 v1, 0x100, v0
	v_cmp_gt_u32_e32 vcc, s15, v1
	s_and_saveexec_b64 s[4:5], vcc
	s_cbranch_execz .LBB663_5
; %bb.4:
	v_lshlrev_b32_e32 v4, 3, v0
	global_load_dwordx2 v[4:5], v4, s[2:3] offset:2048
.LBB663_5:
	s_or_b64 exec, exec, s[4:5]
	v_lshrrev_b32_e32 v6, 2, v0
	v_lshrrev_b32_e32 v1, 2, v1
	v_and_b32_e32 v6, 56, v6
	v_lshlrev_b32_e32 v7, 3, v0
	v_and_b32_e32 v1, 0x78, v1
	v_add_u32_e32 v6, v6, v7
	v_add_u32_e32 v1, v1, v7
	s_mov_b64 s[2:3], 0
	s_waitcnt vmcnt(0)
	ds_write_b64 v6, v[2:3]
	ds_write_b64 v1, v[4:5] offset:2048
	s_waitcnt lgkmcnt(0)
	s_barrier
.LBB663_6:
	s_and_b64 vcc, exec, s[2:3]
	v_lshlrev_b32_e32 v1, 3, v0
	s_cbranch_vccz .LBB663_8
; %bb.7:
	s_lshl_b64 s[2:3], s[8:9], 3
	s_add_u32 s2, s24, s2
	s_addc_u32 s3, s25, s3
	global_load_dwordx2 v[2:3], v1, s[2:3]
	global_load_dwordx2 v[4:5], v1, s[2:3] offset:2048
	v_lshrrev_b32_e32 v6, 2, v0
	v_or_b32_e32 v7, 0x100, v0
	v_and_b32_e32 v6, 56, v6
	v_lshrrev_b32_e32 v7, 2, v7
	v_add_u32_e32 v6, v6, v1
	v_and_b32_e32 v7, 0x78, v7
	v_add_u32_e32 v7, v7, v1
	s_waitcnt vmcnt(1)
	ds_write_b64 v6, v[2:3]
	s_waitcnt vmcnt(0)
	ds_write_b64 v7, v[4:5] offset:2048
	s_waitcnt lgkmcnt(0)
	s_barrier
.LBB663_8:
	v_lshlrev_b32_e32 v2, 1, v0
	v_lshrrev_b32_e32 v3, 4, v0
	v_add_lshl_u32 v2, v3, v2, 3
	ds_read2_b64 v[2:5], v2 offset1:1
	s_cmp_eq_u64 s[26:27], 0
	s_mov_b64 s[20:21], 0
	s_waitcnt lgkmcnt(0)
	s_barrier
	s_cbranch_scc1 .LBB663_17
; %bb.9:
	s_lshl_b64 s[2:3], s[8:9], 3
	s_add_u32 s2, s24, s2
	s_addc_u32 s3, s25, s3
	s_add_u32 s2, s2, -8
	s_addc_u32 s3, s3, -1
	s_load_dwordx2 s[24:25], s[2:3], 0x0
	s_cmp_lg_u64 s[26:27], s[6:7]
	s_cbranch_scc0 .LBB663_18
; %bb.10:
	v_cmp_lt_i64_e64 s[2:3], s[16:17], 1
	v_pk_mov_b32 v[8:9], 0, 0
	v_cmp_gt_i64_e64 s[20:21], s[16:17], 0
	s_and_b64 vcc, exec, s[2:3]
	ds_write_b64 v1, v[4:5]
	s_cbranch_vccnz .LBB663_21
; %bb.11:
	v_mul_lo_u32 v8, v5, s16
	v_mul_lo_u32 v9, v4, s17
	v_mad_u64_u32 v[6:7], s[2:3], v4, s16, 0
	v_add3_u32 v7, v7, v9, v8
	v_mul_lo_u32 v10, v3, s16
	v_mul_lo_u32 v11, v2, s17
	v_mad_u64_u32 v[8:9], s[2:3], v2, s16, 0
	v_add3_u32 v9, v9, v11, v10
	v_lshlrev_b64 v[10:11], 1, v[6:7]
	v_mov_b32_e32 v6, s19
	v_add_co_u32_e32 v12, vcc, s18, v10
	v_addc_co_u32_e64 v13, s[2:3], v6, v11, vcc
	v_lshlrev_b64 v[6:7], 1, v[8:9]
	v_mov_b32_e32 v8, s19
	v_add_co_u32_e64 v14, s[2:3], s18, v6
	v_addc_co_u32_e64 v15, s[4:5], v8, v7, s[2:3]
	global_load_ushort v6, v[12:13], off
	global_load_ushort v8, v[14:15], off
	s_waitcnt vmcnt(0)
	v_cmp_eq_u16_e64 s[4:5], v6, v8
	v_mov_b32_e32 v8, 1
	v_mov_b32_e32 v9, 0
	s_and_saveexec_b64 s[28:29], s[4:5]
	s_cbranch_execz .LBB663_20
; %bb.12:
	v_mov_b32_e32 v6, s19
	v_addc_co_u32_e64 v7, s[2:3], v7, v6, s[2:3]
	v_add_co_u32_e64 v6, s[2:3], 2, v14
	v_mov_b32_e32 v8, s19
	v_addc_co_u32_e64 v7, s[2:3], 0, v7, s[2:3]
	v_addc_co_u32_e32 v9, vcc, v11, v8, vcc
	v_add_co_u32_e32 v8, vcc, 2, v12
	s_add_u32 s2, s16, -1
	v_addc_co_u32_e32 v9, vcc, 0, v9, vcc
	s_addc_u32 s3, s17, -1
	s_mov_b64 s[4:5], 0
	s_mov_b64 s[34:35], 0
                                        ; implicit-def: $sgpr30_sgpr31
	s_branch .LBB663_15
.LBB663_13:                             ;   in Loop: Header=BB663_15 Depth=1
	global_load_ushort v10, v[8:9], off
	global_load_ushort v11, v[6:7], off
	v_add_co_u32_e32 v6, vcc, 2, v6
	v_addc_co_u32_e32 v7, vcc, 0, v7, vcc
	v_add_co_u32_e32 v8, vcc, 2, v8
	v_addc_co_u32_e32 v9, vcc, 0, v9, vcc
	s_add_u32 s34, s34, 1
	s_addc_u32 s35, s35, 0
	s_andn2_b64 s[30:31], s[30:31], exec
	s_waitcnt vmcnt(0)
	v_cmp_ne_u16_e32 vcc, v10, v11
	s_and_b64 s[36:37], vcc, exec
	s_or_b64 s[30:31], s[30:31], s[36:37]
.LBB663_14:                             ;   in Loop: Header=BB663_15 Depth=1
	s_and_b64 s[36:37], exec, s[30:31]
	s_or_b64 s[4:5], s[36:37], s[4:5]
	v_pk_mov_b32 v[10:11], s[34:35], s[34:35] op_sel:[0,1]
	s_andn2_b64 exec, exec, s[4:5]
	s_cbranch_execz .LBB663_19
.LBB663_15:                             ; =>This Inner Loop Header: Depth=1
	s_or_b64 s[30:31], s[30:31], exec
	s_cmp_eq_u64 s[2:3], s[34:35]
	s_cbranch_scc0 .LBB663_13
; %bb.16:                               ;   in Loop: Header=BB663_15 Depth=1
                                        ; implicit-def: $vgpr6_vgpr7
                                        ; implicit-def: $vgpr8_vgpr9
	s_mov_b64 s[34:35], s[16:17]
	s_branch .LBB663_14
.LBB663_17:
                                        ; implicit-def: $sgpr28_sgpr29
                                        ; implicit-def: $vgpr8_vgpr9
	s_cbranch_execnz .LBB663_60
	s_branch .LBB663_108
.LBB663_18:
                                        ; implicit-def: $sgpr28_sgpr29
                                        ; implicit-def: $vgpr8_vgpr9
	s_cbranch_execnz .LBB663_33
	s_branch .LBB663_59
.LBB663_19:
	s_or_b64 exec, exec, s[4:5]
	v_cmp_gt_i64_e32 vcc, s[16:17], v[10:11]
	s_mov_b32 s2, 0
	v_cndmask_b32_e64 v8, 0, 1, vcc
	v_mov_b32_e32 v9, s2
.LBB663_20:
	s_or_b64 exec, exec, s[28:29]
.LBB663_21:
	v_cmp_ne_u32_e32 vcc, 0, v0
	s_waitcnt lgkmcnt(0)
	v_pk_mov_b32 v[6:7], s[24:25], s[24:25] op_sel:[0,1]
	s_barrier
	s_and_saveexec_b64 s[2:3], vcc
	s_cbranch_execz .LBB663_23
; %bb.22:
	v_add_u32_e32 v6, -8, v1
	ds_read_b64 v[6:7], v6
.LBB663_23:
	s_or_b64 exec, exec, s[2:3]
	s_mov_b64 s[30:31], 0
	s_andn2_b64 vcc, exec, s[20:21]
	s_mov_b64 s[28:29], 0
	s_cbranch_vccnz .LBB663_32
; %bb.24:
	v_mul_lo_u32 v12, v3, s16
	v_mul_lo_u32 v13, v2, s17
	v_mad_u64_u32 v[10:11], s[2:3], v2, s16, 0
	v_add3_u32 v11, v11, v13, v12
	s_waitcnt lgkmcnt(0)
	v_mul_lo_u32 v12, v7, s16
	v_mul_lo_u32 v13, v6, s17
	v_mad_u64_u32 v[6:7], s[2:3], v6, s16, 0
	v_lshlrev_b64 v[10:11], 1, v[10:11]
	v_add3_u32 v7, v7, v13, v12
	v_mov_b32_e32 v13, s19
	v_add_co_u32_e32 v12, vcc, s18, v10
	v_addc_co_u32_e64 v13, s[2:3], v13, v11, vcc
	v_lshlrev_b64 v[6:7], 1, v[6:7]
	v_mov_b32_e32 v10, s19
	v_add_co_u32_e64 v14, s[2:3], s18, v6
	v_addc_co_u32_e64 v15, s[4:5], v10, v7, s[2:3]
	global_load_ushort v6, v[12:13], off
	global_load_ushort v10, v[14:15], off
	s_mov_b64 s[28:29], -1
	s_waitcnt vmcnt(0)
	v_cmp_eq_u16_e64 s[4:5], v6, v10
	s_and_saveexec_b64 s[20:21], s[4:5]
	s_cbranch_execz .LBB663_31
; %bb.25:
	v_mov_b32_e32 v6, s19
	v_addc_co_u32_e64 v7, s[2:3], v7, v6, s[2:3]
	v_add_co_u32_e64 v6, s[2:3], 2, v14
	v_mov_b32_e32 v10, s19
	v_addc_co_u32_e64 v7, s[2:3], 0, v7, s[2:3]
	v_addc_co_u32_e32 v11, vcc, v11, v10, vcc
	v_add_co_u32_e32 v10, vcc, 2, v12
	s_add_u32 s2, s16, -1
	v_addc_co_u32_e32 v11, vcc, 0, v11, vcc
	s_addc_u32 s3, s17, -1
	s_mov_b64 s[4:5], 0
	s_mov_b64 s[34:35], 0
                                        ; implicit-def: $sgpr28_sgpr29
	s_branch .LBB663_28
.LBB663_26:                             ;   in Loop: Header=BB663_28 Depth=1
	global_load_ushort v12, v[10:11], off
	global_load_ushort v13, v[6:7], off
	v_add_co_u32_e32 v6, vcc, 2, v6
	v_addc_co_u32_e32 v7, vcc, 0, v7, vcc
	v_add_co_u32_e32 v10, vcc, 2, v10
	v_addc_co_u32_e32 v11, vcc, 0, v11, vcc
	s_add_u32 s34, s34, 1
	s_addc_u32 s35, s35, 0
	s_andn2_b64 s[28:29], s[28:29], exec
	s_waitcnt vmcnt(0)
	v_cmp_ne_u16_e32 vcc, v12, v13
	s_and_b64 s[36:37], vcc, exec
	s_or_b64 s[28:29], s[28:29], s[36:37]
.LBB663_27:                             ;   in Loop: Header=BB663_28 Depth=1
	s_and_b64 s[36:37], exec, s[28:29]
	s_or_b64 s[4:5], s[36:37], s[4:5]
	v_pk_mov_b32 v[12:13], s[34:35], s[34:35] op_sel:[0,1]
	s_andn2_b64 exec, exec, s[4:5]
	s_cbranch_execz .LBB663_30
.LBB663_28:                             ; =>This Inner Loop Header: Depth=1
	s_or_b64 s[28:29], s[28:29], exec
	s_cmp_eq_u64 s[2:3], s[34:35]
	s_cbranch_scc0 .LBB663_26
; %bb.29:                               ;   in Loop: Header=BB663_28 Depth=1
                                        ; implicit-def: $vgpr6_vgpr7
                                        ; implicit-def: $vgpr10_vgpr11
	s_mov_b64 s[34:35], s[16:17]
	s_branch .LBB663_27
.LBB663_30:
	s_or_b64 exec, exec, s[4:5]
	v_cmp_gt_i64_e32 vcc, s[16:17], v[12:13]
	s_orn2_b64 s[28:29], vcc, exec
.LBB663_31:
	s_or_b64 exec, exec, s[20:21]
.LBB663_32:
	s_mov_b64 s[20:21], -1
	s_and_b64 vcc, exec, s[30:31]
	s_cbranch_vccz .LBB663_59
.LBB663_33:
	s_lshl_b32 s2, s26, 9
	v_lshlrev_b32_e32 v16, 1, v0
	s_sub_i32 s7, s14, s2
	s_waitcnt lgkmcnt(0)
	v_or_b32_e32 v6, 1, v16
	v_cmp_gt_u32_e32 vcc, s7, v6
	v_pk_mov_b32 v[8:9], v[4:5], v[4:5] op_sel:[0,1]
	ds_write_b64 v1, v[4:5]
	v_pk_mov_b32 v[6:7], v[2:3], v[2:3] op_sel:[0,1]
	s_and_saveexec_b64 s[26:27], vcc
	s_cbranch_execz .LBB663_44
; %bb.34:
	v_cmp_lt_i64_e64 s[2:3], s[16:17], 1
	s_and_b64 vcc, exec, s[2:3]
	s_cbranch_vccnz .LBB663_41
; %bb.35:
	v_mul_lo_u32 v8, v5, s16
	v_mul_lo_u32 v9, v4, s17
	v_mad_u64_u32 v[6:7], s[2:3], v4, s16, 0
	v_add3_u32 v7, v7, v9, v8
	v_mul_lo_u32 v10, v3, s16
	v_mul_lo_u32 v11, v2, s17
	v_mad_u64_u32 v[8:9], s[2:3], v2, s16, 0
	v_add3_u32 v9, v9, v11, v10
	v_lshlrev_b64 v[10:11], 1, v[6:7]
	v_mov_b32_e32 v6, s19
	v_add_co_u32_e32 v12, vcc, s18, v10
	v_addc_co_u32_e64 v13, s[2:3], v6, v11, vcc
	v_lshlrev_b64 v[6:7], 1, v[8:9]
	v_mov_b32_e32 v8, s19
	v_add_co_u32_e64 v14, s[2:3], s18, v6
	v_addc_co_u32_e64 v15, s[4:5], v8, v7, s[2:3]
	global_load_ushort v6, v[12:13], off
	global_load_ushort v8, v[14:15], off
	s_waitcnt vmcnt(0)
	v_cmp_eq_u16_e64 s[4:5], v6, v8
	v_mov_b32_e32 v8, 1
	v_mov_b32_e32 v9, 0
	s_and_saveexec_b64 s[28:29], s[4:5]
	s_cbranch_execz .LBB663_43
; %bb.36:
	v_mov_b32_e32 v6, s19
	v_addc_co_u32_e64 v7, s[2:3], v7, v6, s[2:3]
	v_add_co_u32_e64 v6, s[2:3], 2, v14
	v_mov_b32_e32 v8, s19
	v_addc_co_u32_e64 v7, s[2:3], 0, v7, s[2:3]
	v_addc_co_u32_e32 v9, vcc, v11, v8, vcc
	v_add_co_u32_e32 v8, vcc, 2, v12
	s_add_u32 s2, s16, -1
	v_addc_co_u32_e32 v9, vcc, 0, v9, vcc
	s_addc_u32 s3, s17, -1
	s_mov_b64 s[4:5], 0
	s_mov_b64 s[34:35], 0
                                        ; implicit-def: $sgpr30_sgpr31
	s_branch .LBB663_39
.LBB663_37:                             ;   in Loop: Header=BB663_39 Depth=1
	global_load_ushort v10, v[8:9], off
	global_load_ushort v11, v[6:7], off
	v_add_co_u32_e32 v6, vcc, 2, v6
	v_addc_co_u32_e32 v7, vcc, 0, v7, vcc
	v_add_co_u32_e32 v8, vcc, 2, v8
	v_addc_co_u32_e32 v9, vcc, 0, v9, vcc
	s_add_u32 s34, s34, 1
	s_addc_u32 s35, s35, 0
	s_andn2_b64 s[30:31], s[30:31], exec
	s_waitcnt vmcnt(0)
	v_cmp_ne_u16_e32 vcc, v10, v11
	s_and_b64 s[36:37], vcc, exec
	s_or_b64 s[30:31], s[30:31], s[36:37]
.LBB663_38:                             ;   in Loop: Header=BB663_39 Depth=1
	s_and_b64 s[36:37], exec, s[30:31]
	s_or_b64 s[4:5], s[36:37], s[4:5]
	v_pk_mov_b32 v[10:11], s[34:35], s[34:35] op_sel:[0,1]
	s_andn2_b64 exec, exec, s[4:5]
	s_cbranch_execz .LBB663_42
.LBB663_39:                             ; =>This Inner Loop Header: Depth=1
	s_or_b64 s[30:31], s[30:31], exec
	s_cmp_eq_u64 s[2:3], s[34:35]
	s_cbranch_scc0 .LBB663_37
; %bb.40:                               ;   in Loop: Header=BB663_39 Depth=1
                                        ; implicit-def: $vgpr6_vgpr7
                                        ; implicit-def: $vgpr8_vgpr9
	s_mov_b64 s[34:35], s[16:17]
	s_branch .LBB663_38
.LBB663_41:
	v_pk_mov_b32 v[8:9], 0, 0
	s_branch .LBB663_44
.LBB663_42:
	s_or_b64 exec, exec, s[4:5]
	v_cmp_gt_i64_e32 vcc, s[16:17], v[10:11]
	s_mov_b32 s2, 0
	v_cndmask_b32_e64 v8, 0, 1, vcc
	v_mov_b32_e32 v9, s2
.LBB663_43:
	s_or_b64 exec, exec, s[28:29]
.LBB663_44:
	s_or_b64 exec, exec, s[26:27]
	v_cmp_ne_u32_e32 vcc, 0, v0
	v_pk_mov_b32 v[6:7], s[24:25], s[24:25] op_sel:[0,1]
	s_waitcnt lgkmcnt(0)
	s_barrier
	s_and_saveexec_b64 s[2:3], vcc
	s_cbranch_execz .LBB663_46
; %bb.45:
	v_add_u32_e32 v6, -8, v1
	ds_read_b64 v[6:7], v6
.LBB663_46:
	s_or_b64 exec, exec, s[2:3]
	v_cmp_gt_u32_e32 vcc, s7, v16
                                        ; implicit-def: $sgpr28_sgpr29
	s_and_saveexec_b64 s[24:25], vcc
	s_cbranch_execz .LBB663_58
; %bb.47:
	v_cmp_lt_i64_e64 s[2:3], s[16:17], 1
	s_and_b64 vcc, exec, s[2:3]
	s_cbranch_vccnz .LBB663_54
; %bb.48:
	v_mul_lo_u32 v12, v3, s16
	v_mul_lo_u32 v13, v2, s17
	v_mad_u64_u32 v[10:11], s[2:3], v2, s16, 0
	v_add3_u32 v11, v11, v13, v12
	s_waitcnt lgkmcnt(0)
	v_mul_lo_u32 v12, v7, s16
	v_mul_lo_u32 v13, v6, s17
	v_mad_u64_u32 v[6:7], s[2:3], v6, s16, 0
	v_lshlrev_b64 v[10:11], 1, v[10:11]
	v_add3_u32 v7, v7, v13, v12
	v_mov_b32_e32 v13, s19
	v_add_co_u32_e32 v12, vcc, s18, v10
	v_addc_co_u32_e64 v13, s[2:3], v13, v11, vcc
	v_lshlrev_b64 v[6:7], 1, v[6:7]
	v_mov_b32_e32 v10, s19
	v_add_co_u32_e64 v14, s[2:3], s18, v6
	v_addc_co_u32_e64 v15, s[4:5], v10, v7, s[2:3]
	global_load_ushort v6, v[12:13], off
	global_load_ushort v10, v[14:15], off
	s_mov_b64 s[28:29], -1
	s_waitcnt vmcnt(0)
	v_cmp_eq_u16_e64 s[4:5], v6, v10
	s_and_saveexec_b64 s[26:27], s[4:5]
	s_cbranch_execz .LBB663_56
; %bb.49:
	v_mov_b32_e32 v6, s19
	v_addc_co_u32_e64 v7, s[2:3], v7, v6, s[2:3]
	v_add_co_u32_e64 v6, s[2:3], 2, v14
	v_mov_b32_e32 v10, s19
	v_addc_co_u32_e64 v7, s[2:3], 0, v7, s[2:3]
	v_addc_co_u32_e32 v11, vcc, v11, v10, vcc
	v_add_co_u32_e32 v10, vcc, 2, v12
	s_add_u32 s2, s16, -1
	v_addc_co_u32_e32 v11, vcc, 0, v11, vcc
	s_addc_u32 s3, s17, -1
	s_mov_b64 s[4:5], 0
	s_mov_b64 s[30:31], 0
                                        ; implicit-def: $sgpr28_sgpr29
	s_branch .LBB663_52
.LBB663_50:                             ;   in Loop: Header=BB663_52 Depth=1
	global_load_ushort v12, v[10:11], off
	global_load_ushort v13, v[6:7], off
	v_add_co_u32_e32 v6, vcc, 2, v6
	v_addc_co_u32_e32 v7, vcc, 0, v7, vcc
	v_add_co_u32_e32 v10, vcc, 2, v10
	v_addc_co_u32_e32 v11, vcc, 0, v11, vcc
	s_add_u32 s30, s30, 1
	s_addc_u32 s31, s31, 0
	s_andn2_b64 s[28:29], s[28:29], exec
	s_waitcnt vmcnt(0)
	v_cmp_ne_u16_e32 vcc, v12, v13
	s_and_b64 s[34:35], vcc, exec
	s_or_b64 s[28:29], s[28:29], s[34:35]
.LBB663_51:                             ;   in Loop: Header=BB663_52 Depth=1
	s_and_b64 s[34:35], exec, s[28:29]
	s_or_b64 s[4:5], s[34:35], s[4:5]
	v_pk_mov_b32 v[12:13], s[30:31], s[30:31] op_sel:[0,1]
	s_andn2_b64 exec, exec, s[4:5]
	s_cbranch_execz .LBB663_55
.LBB663_52:                             ; =>This Inner Loop Header: Depth=1
	s_or_b64 s[28:29], s[28:29], exec
	s_cmp_eq_u64 s[2:3], s[30:31]
	s_cbranch_scc0 .LBB663_50
; %bb.53:                               ;   in Loop: Header=BB663_52 Depth=1
                                        ; implicit-def: $vgpr6_vgpr7
                                        ; implicit-def: $vgpr10_vgpr11
	s_mov_b64 s[30:31], s[16:17]
	s_branch .LBB663_51
.LBB663_54:
	s_mov_b64 s[28:29], 0
	s_branch .LBB663_57
.LBB663_55:
	s_or_b64 exec, exec, s[4:5]
	v_cmp_gt_i64_e32 vcc, s[16:17], v[12:13]
	s_orn2_b64 s[28:29], vcc, exec
.LBB663_56:
	s_or_b64 exec, exec, s[26:27]
.LBB663_57:
	s_and_b64 s[28:29], s[28:29], exec
	s_or_b64 s[20:21], s[20:21], exec
.LBB663_58:
	s_or_b64 exec, exec, s[24:25]
.LBB663_59:
	s_branch .LBB663_108
.LBB663_60:
	s_cmp_lg_u64 s[22:23], 1
	s_cbranch_scc0 .LBB663_68
; %bb.61:
	v_cmp_lt_i64_e64 s[2:3], s[16:17], 1
	v_pk_mov_b32 v[8:9], 0, 0
	s_waitcnt lgkmcnt(0)
	v_cmp_gt_i64_e64 s[24:25], s[16:17], 0
	s_and_b64 vcc, exec, s[2:3]
	ds_write_b64 v1, v[4:5]
	s_cbranch_vccnz .LBB663_71
; %bb.62:
	v_mul_lo_u32 v8, v5, s16
	v_mul_lo_u32 v9, v4, s17
	v_mad_u64_u32 v[6:7], s[2:3], v4, s16, 0
	v_add3_u32 v7, v7, v9, v8
	v_mul_lo_u32 v10, v3, s16
	v_mul_lo_u32 v11, v2, s17
	v_mad_u64_u32 v[8:9], s[2:3], v2, s16, 0
	v_add3_u32 v9, v9, v11, v10
	v_lshlrev_b64 v[10:11], 1, v[6:7]
	v_mov_b32_e32 v6, s19
	v_add_co_u32_e32 v12, vcc, s18, v10
	v_addc_co_u32_e64 v13, s[2:3], v6, v11, vcc
	v_lshlrev_b64 v[6:7], 1, v[8:9]
	v_mov_b32_e32 v8, s19
	v_add_co_u32_e64 v14, s[2:3], s18, v6
	v_addc_co_u32_e64 v15, s[4:5], v8, v7, s[2:3]
	global_load_ushort v6, v[12:13], off
	global_load_ushort v8, v[14:15], off
	s_waitcnt vmcnt(0)
	v_cmp_eq_u16_e64 s[4:5], v6, v8
	v_mov_b32_e32 v8, 1
	v_mov_b32_e32 v9, 0
	s_and_saveexec_b64 s[22:23], s[4:5]
	s_cbranch_execz .LBB663_70
; %bb.63:
	v_mov_b32_e32 v6, s19
	v_addc_co_u32_e64 v7, s[2:3], v7, v6, s[2:3]
	v_add_co_u32_e64 v6, s[2:3], 2, v14
	v_mov_b32_e32 v8, s19
	v_addc_co_u32_e64 v7, s[2:3], 0, v7, s[2:3]
	v_addc_co_u32_e32 v9, vcc, v11, v8, vcc
	v_add_co_u32_e32 v8, vcc, 2, v12
	s_add_u32 s2, s16, -1
	v_addc_co_u32_e32 v9, vcc, 0, v9, vcc
	s_addc_u32 s3, s17, -1
	s_mov_b64 s[4:5], 0
	s_mov_b64 s[28:29], 0
                                        ; implicit-def: $sgpr26_sgpr27
	s_branch .LBB663_66
.LBB663_64:                             ;   in Loop: Header=BB663_66 Depth=1
	global_load_ushort v10, v[8:9], off
	global_load_ushort v11, v[6:7], off
	v_add_co_u32_e32 v6, vcc, 2, v6
	v_addc_co_u32_e32 v7, vcc, 0, v7, vcc
	v_add_co_u32_e32 v8, vcc, 2, v8
	v_addc_co_u32_e32 v9, vcc, 0, v9, vcc
	s_add_u32 s28, s28, 1
	s_addc_u32 s29, s29, 0
	s_andn2_b64 s[26:27], s[26:27], exec
	s_waitcnt vmcnt(0)
	v_cmp_ne_u16_e32 vcc, v10, v11
	s_and_b64 s[30:31], vcc, exec
	s_or_b64 s[26:27], s[26:27], s[30:31]
.LBB663_65:                             ;   in Loop: Header=BB663_66 Depth=1
	s_and_b64 s[30:31], exec, s[26:27]
	s_or_b64 s[4:5], s[30:31], s[4:5]
	v_pk_mov_b32 v[10:11], s[28:29], s[28:29] op_sel:[0,1]
	s_andn2_b64 exec, exec, s[4:5]
	s_cbranch_execz .LBB663_69
.LBB663_66:                             ; =>This Inner Loop Header: Depth=1
	s_or_b64 s[26:27], s[26:27], exec
	s_cmp_eq_u64 s[2:3], s[28:29]
	s_cbranch_scc0 .LBB663_64
; %bb.67:                               ;   in Loop: Header=BB663_66 Depth=1
                                        ; implicit-def: $vgpr6_vgpr7
                                        ; implicit-def: $vgpr8_vgpr9
	s_mov_b64 s[28:29], s[16:17]
	s_branch .LBB663_65
.LBB663_68:
                                        ; implicit-def: $sgpr28_sgpr29
                                        ; implicit-def: $vgpr8_vgpr9
	s_cbranch_execnz .LBB663_84
	s_branch .LBB663_108
.LBB663_69:
	s_or_b64 exec, exec, s[4:5]
	v_cmp_gt_i64_e32 vcc, s[16:17], v[10:11]
	s_mov_b32 s2, 0
	v_cndmask_b32_e64 v8, 0, 1, vcc
	v_mov_b32_e32 v9, s2
.LBB663_70:
	s_or_b64 exec, exec, s[22:23]
.LBB663_71:
	v_cmp_ne_u32_e32 vcc, 0, v0
	s_waitcnt lgkmcnt(0)
	s_barrier
	s_waitcnt lgkmcnt(0)
                                        ; implicit-def: $sgpr28_sgpr29
	s_and_saveexec_b64 s[22:23], vcc
	s_cbranch_execz .LBB663_83
; %bb.72:
	s_andn2_b64 vcc, exec, s[24:25]
	s_cbranch_vccnz .LBB663_79
; %bb.73:
	v_add_u32_e32 v6, -8, v1
	ds_read_b64 v[6:7], v6
	v_mul_lo_u32 v12, v3, s16
	v_mul_lo_u32 v13, v2, s17
	v_mad_u64_u32 v[10:11], s[2:3], v2, s16, 0
	v_add3_u32 v11, v11, v13, v12
	s_waitcnt lgkmcnt(0)
	v_mul_lo_u32 v12, v7, s16
	v_mul_lo_u32 v13, v6, s17
	v_mad_u64_u32 v[6:7], s[2:3], v6, s16, 0
	v_lshlrev_b64 v[10:11], 1, v[10:11]
	v_add3_u32 v7, v7, v13, v12
	v_mov_b32_e32 v13, s19
	v_add_co_u32_e32 v12, vcc, s18, v10
	v_addc_co_u32_e64 v13, s[2:3], v13, v11, vcc
	v_lshlrev_b64 v[6:7], 1, v[6:7]
	v_mov_b32_e32 v10, s19
	v_add_co_u32_e64 v14, s[2:3], s18, v6
	v_addc_co_u32_e64 v15, s[4:5], v10, v7, s[2:3]
	global_load_ushort v6, v[12:13], off
	global_load_ushort v10, v[14:15], off
	s_mov_b64 s[26:27], -1
	s_waitcnt vmcnt(0)
	v_cmp_eq_u16_e64 s[4:5], v6, v10
	s_and_saveexec_b64 s[24:25], s[4:5]
	s_cbranch_execz .LBB663_81
; %bb.74:
	v_mov_b32_e32 v6, s19
	v_addc_co_u32_e64 v7, s[2:3], v7, v6, s[2:3]
	v_add_co_u32_e64 v6, s[2:3], 2, v14
	v_mov_b32_e32 v10, s19
	v_addc_co_u32_e64 v7, s[2:3], 0, v7, s[2:3]
	v_addc_co_u32_e32 v11, vcc, v11, v10, vcc
	v_add_co_u32_e32 v10, vcc, 2, v12
	s_add_u32 s2, s16, -1
	v_addc_co_u32_e32 v11, vcc, 0, v11, vcc
	s_addc_u32 s3, s17, -1
	s_mov_b64 s[4:5], 0
	s_mov_b64 s[28:29], 0
                                        ; implicit-def: $sgpr26_sgpr27
	s_branch .LBB663_77
.LBB663_75:                             ;   in Loop: Header=BB663_77 Depth=1
	global_load_ushort v12, v[10:11], off
	global_load_ushort v13, v[6:7], off
	v_add_co_u32_e32 v6, vcc, 2, v6
	v_addc_co_u32_e32 v7, vcc, 0, v7, vcc
	v_add_co_u32_e32 v10, vcc, 2, v10
	v_addc_co_u32_e32 v11, vcc, 0, v11, vcc
	s_add_u32 s28, s28, 1
	s_addc_u32 s29, s29, 0
	s_andn2_b64 s[26:27], s[26:27], exec
	s_waitcnt vmcnt(0)
	v_cmp_ne_u16_e32 vcc, v12, v13
	s_and_b64 s[30:31], vcc, exec
	s_or_b64 s[26:27], s[26:27], s[30:31]
.LBB663_76:                             ;   in Loop: Header=BB663_77 Depth=1
	s_and_b64 s[30:31], exec, s[26:27]
	s_or_b64 s[4:5], s[30:31], s[4:5]
	v_pk_mov_b32 v[12:13], s[28:29], s[28:29] op_sel:[0,1]
	s_andn2_b64 exec, exec, s[4:5]
	s_cbranch_execz .LBB663_80
.LBB663_77:                             ; =>This Inner Loop Header: Depth=1
	s_or_b64 s[26:27], s[26:27], exec
	s_cmp_eq_u64 s[2:3], s[28:29]
	s_cbranch_scc0 .LBB663_75
; %bb.78:                               ;   in Loop: Header=BB663_77 Depth=1
                                        ; implicit-def: $vgpr6_vgpr7
                                        ; implicit-def: $vgpr10_vgpr11
	s_mov_b64 s[28:29], s[16:17]
	s_branch .LBB663_76
.LBB663_79:
	s_mov_b64 s[26:27], 0
	s_branch .LBB663_82
.LBB663_80:
	s_or_b64 exec, exec, s[4:5]
	v_cmp_gt_i64_e32 vcc, s[16:17], v[12:13]
	s_orn2_b64 s[26:27], vcc, exec
.LBB663_81:
	s_or_b64 exec, exec, s[24:25]
.LBB663_82:
	s_and_b64 s[28:29], s[26:27], exec
	s_or_b64 s[20:21], s[20:21], exec
.LBB663_83:
	s_or_b64 exec, exec, s[22:23]
	s_branch .LBB663_108
.LBB663_84:
	v_lshlrev_b32_e32 v14, 1, v0
	s_waitcnt lgkmcnt(0)
	v_or_b32_e32 v6, 1, v14
	v_cmp_gt_u32_e32 vcc, s14, v6
	v_cmp_lt_i64_e64 s[22:23], s[16:17], 1
	v_pk_mov_b32 v[8:9], v[4:5], v[4:5] op_sel:[0,1]
	ds_write_b64 v1, v[4:5]
	v_pk_mov_b32 v[6:7], v[2:3], v[2:3] op_sel:[0,1]
	s_and_saveexec_b64 s[24:25], vcc
	s_cbranch_execz .LBB663_95
; %bb.85:
	s_and_b64 vcc, exec, s[22:23]
	s_cbranch_vccnz .LBB663_92
; %bb.86:
	v_mul_lo_u32 v6, v5, s16
	v_mul_lo_u32 v7, v4, s17
	v_mad_u64_u32 v[4:5], s[2:3], v4, s16, 0
	v_add3_u32 v5, v5, v7, v6
	v_mul_lo_u32 v6, v3, s16
	v_mul_lo_u32 v7, v2, s17
	v_mad_u64_u32 v[8:9], s[2:3], v2, s16, 0
	v_add3_u32 v9, v9, v7, v6
	v_lshlrev_b64 v[6:7], 1, v[4:5]
	v_mov_b32_e32 v4, s19
	v_add_co_u32_e32 v10, vcc, s18, v6
	v_addc_co_u32_e64 v11, s[2:3], v4, v7, vcc
	v_lshlrev_b64 v[4:5], 1, v[8:9]
	v_mov_b32_e32 v6, s19
	v_add_co_u32_e64 v12, s[2:3], s18, v4
	v_addc_co_u32_e64 v13, s[4:5], v6, v5, s[2:3]
	global_load_ushort v4, v[10:11], off
	global_load_ushort v6, v[12:13], off
	v_mov_b32_e32 v8, 1
	v_mov_b32_e32 v9, 0
	s_waitcnt vmcnt(0)
	v_cmp_eq_u16_e64 s[4:5], v4, v6
	s_and_saveexec_b64 s[26:27], s[4:5]
	s_cbranch_execz .LBB663_94
; %bb.87:
	v_mov_b32_e32 v4, s19
	v_addc_co_u32_e64 v5, s[2:3], v5, v4, s[2:3]
	v_add_co_u32_e64 v4, s[2:3], 2, v12
	v_mov_b32_e32 v6, s19
	v_addc_co_u32_e64 v5, s[2:3], 0, v5, s[2:3]
	v_addc_co_u32_e32 v7, vcc, v7, v6, vcc
	v_add_co_u32_e32 v6, vcc, 2, v10
	s_add_u32 s2, s16, -1
	v_addc_co_u32_e32 v7, vcc, 0, v7, vcc
	s_addc_u32 s3, s17, -1
	s_mov_b64 s[4:5], 0
	s_mov_b64 s[30:31], 0
                                        ; implicit-def: $sgpr28_sgpr29
	s_branch .LBB663_90
.LBB663_88:                             ;   in Loop: Header=BB663_90 Depth=1
	global_load_ushort v8, v[6:7], off
	global_load_ushort v9, v[4:5], off
	v_add_co_u32_e32 v4, vcc, 2, v4
	v_addc_co_u32_e32 v5, vcc, 0, v5, vcc
	v_add_co_u32_e32 v6, vcc, 2, v6
	v_addc_co_u32_e32 v7, vcc, 0, v7, vcc
	s_add_u32 s30, s30, 1
	s_addc_u32 s31, s31, 0
	s_andn2_b64 s[28:29], s[28:29], exec
	s_waitcnt vmcnt(0)
	v_cmp_ne_u16_e32 vcc, v8, v9
	s_and_b64 s[34:35], vcc, exec
	s_or_b64 s[28:29], s[28:29], s[34:35]
.LBB663_89:                             ;   in Loop: Header=BB663_90 Depth=1
	s_and_b64 s[34:35], exec, s[28:29]
	s_or_b64 s[4:5], s[34:35], s[4:5]
	v_pk_mov_b32 v[8:9], s[30:31], s[30:31] op_sel:[0,1]
	s_andn2_b64 exec, exec, s[4:5]
	s_cbranch_execz .LBB663_93
.LBB663_90:                             ; =>This Inner Loop Header: Depth=1
	s_or_b64 s[28:29], s[28:29], exec
	s_cmp_eq_u64 s[2:3], s[30:31]
	s_cbranch_scc0 .LBB663_88
; %bb.91:                               ;   in Loop: Header=BB663_90 Depth=1
                                        ; implicit-def: $vgpr4_vgpr5
                                        ; implicit-def: $vgpr6_vgpr7
	s_mov_b64 s[30:31], s[16:17]
	s_branch .LBB663_89
.LBB663_92:
	v_pk_mov_b32 v[8:9], 0, 0
	s_branch .LBB663_95
.LBB663_93:
	s_or_b64 exec, exec, s[4:5]
	v_cmp_gt_i64_e32 vcc, s[16:17], v[8:9]
	s_mov_b32 s2, 0
	v_cndmask_b32_e64 v8, 0, 1, vcc
	v_mov_b32_e32 v9, s2
.LBB663_94:
	s_or_b64 exec, exec, s[26:27]
.LBB663_95:
	s_or_b64 exec, exec, s[24:25]
	v_cmp_ne_u32_e32 vcc, 0, v0
	v_cmp_gt_u32_e64 s[2:3], s14, v14
	s_and_b64 s[2:3], vcc, s[2:3]
	s_waitcnt lgkmcnt(0)
	s_barrier
	s_waitcnt lgkmcnt(0)
                                        ; implicit-def: $sgpr28_sgpr29
	s_and_saveexec_b64 s[24:25], s[2:3]
	s_cbranch_execz .LBB663_107
; %bb.96:
	s_and_b64 vcc, exec, s[22:23]
	s_cbranch_vccnz .LBB663_103
; %bb.97:
	v_mul_lo_u32 v6, v3, s16
	v_add_u32_e32 v3, -8, v1
	ds_read_b64 v[4:5], v3
	v_mul_lo_u32 v7, v2, s17
	v_mad_u64_u32 v[2:3], s[2:3], v2, s16, 0
	v_add3_u32 v3, v3, v7, v6
	s_waitcnt lgkmcnt(0)
	v_mul_lo_u32 v5, v5, s16
	v_mul_lo_u32 v6, v4, s17
	v_mad_u64_u32 v[10:11], s[2:3], v4, s16, 0
	v_add3_u32 v11, v11, v6, v5
	v_lshlrev_b64 v[4:5], 1, v[2:3]
	v_mov_b32_e32 v2, s19
	v_add_co_u32_e32 v6, vcc, s18, v4
	v_addc_co_u32_e64 v7, s[2:3], v2, v5, vcc
	v_lshlrev_b64 v[2:3], 1, v[10:11]
	v_mov_b32_e32 v4, s19
	v_add_co_u32_e64 v10, s[2:3], s18, v2
	v_addc_co_u32_e64 v11, s[4:5], v4, v3, s[2:3]
	global_load_ushort v2, v[6:7], off
	global_load_ushort v4, v[10:11], off
	s_mov_b64 s[26:27], -1
	s_waitcnt vmcnt(0)
	v_cmp_eq_u16_e64 s[4:5], v2, v4
	s_and_saveexec_b64 s[22:23], s[4:5]
	s_cbranch_execz .LBB663_105
; %bb.98:
	v_mov_b32_e32 v2, s19
	v_addc_co_u32_e64 v3, s[2:3], v3, v2, s[2:3]
	v_add_co_u32_e64 v2, s[2:3], 2, v10
	v_mov_b32_e32 v4, s19
	v_addc_co_u32_e64 v3, s[2:3], 0, v3, s[2:3]
	v_addc_co_u32_e32 v5, vcc, v5, v4, vcc
	v_add_co_u32_e32 v4, vcc, 2, v6
	s_add_u32 s2, s16, -1
	v_addc_co_u32_e32 v5, vcc, 0, v5, vcc
	s_addc_u32 s3, s17, -1
	s_mov_b64 s[4:5], 0
	s_mov_b64 s[26:27], 0
                                        ; implicit-def: $sgpr18_sgpr19
	s_branch .LBB663_101
.LBB663_99:                             ;   in Loop: Header=BB663_101 Depth=1
	global_load_ushort v6, v[4:5], off
	global_load_ushort v7, v[2:3], off
	v_add_co_u32_e32 v2, vcc, 2, v2
	v_addc_co_u32_e32 v3, vcc, 0, v3, vcc
	v_add_co_u32_e32 v4, vcc, 2, v4
	v_addc_co_u32_e32 v5, vcc, 0, v5, vcc
	s_add_u32 s26, s26, 1
	s_addc_u32 s27, s27, 0
	s_andn2_b64 s[18:19], s[18:19], exec
	s_waitcnt vmcnt(0)
	v_cmp_ne_u16_e32 vcc, v6, v7
	s_and_b64 s[28:29], vcc, exec
	s_or_b64 s[18:19], s[18:19], s[28:29]
.LBB663_100:                            ;   in Loop: Header=BB663_101 Depth=1
	s_and_b64 s[28:29], exec, s[18:19]
	s_or_b64 s[4:5], s[28:29], s[4:5]
	v_pk_mov_b32 v[6:7], s[26:27], s[26:27] op_sel:[0,1]
	s_andn2_b64 exec, exec, s[4:5]
	s_cbranch_execz .LBB663_104
.LBB663_101:                            ; =>This Inner Loop Header: Depth=1
	s_or_b64 s[18:19], s[18:19], exec
	s_cmp_eq_u64 s[2:3], s[26:27]
	s_cbranch_scc0 .LBB663_99
; %bb.102:                              ;   in Loop: Header=BB663_101 Depth=1
                                        ; implicit-def: $vgpr2_vgpr3
                                        ; implicit-def: $vgpr4_vgpr5
	s_mov_b64 s[26:27], s[16:17]
	s_branch .LBB663_100
.LBB663_103:
	s_mov_b64 s[26:27], 0
	s_branch .LBB663_106
.LBB663_104:
	s_or_b64 exec, exec, s[4:5]
	v_cmp_gt_i64_e32 vcc, s[16:17], v[6:7]
	s_orn2_b64 s[26:27], vcc, exec
.LBB663_105:
	s_or_b64 exec, exec, s[22:23]
.LBB663_106:
	s_and_b64 s[28:29], s[26:27], exec
	s_or_b64 s[20:21], s[20:21], exec
                                        ; implicit-def: $vgpr2_vgpr3
.LBB663_107:
	s_or_b64 exec, exec, s[24:25]
.LBB663_108:
	s_and_saveexec_b64 s[2:3], s[20:21]
; %bb.109:
	s_mov_b32 s4, 0
	v_cndmask_b32_e64 v2, 0, 1, s[28:29]
	v_mov_b32_e32 v3, s4
; %bb.110:
	s_or_b64 exec, exec, s[2:3]
	s_add_u32 s4, s12, s10
	s_addc_u32 s5, s13, s11
	s_and_b64 vcc, exec, s[0:1]
	v_lshrrev_b32_e32 v10, 1, v0
	s_waitcnt lgkmcnt(0)
	s_barrier
	s_cbranch_vccz .LBB663_114
; %bb.111:
	v_and_b32_e32 v4, 0x78, v10
	v_lshl_add_u32 v6, v0, 4, v4
	v_mov_b32_e32 v4, v8
	v_mov_b32_e32 v5, v9
	v_or_b32_e32 v11, 0x100, v0
	s_lshl_b32 s0, s6, 9
	s_mov_b32 s9, 0
	ds_write2_b64 v6, v[2:3], v[4:5] offset1:1
	v_lshrrev_b32_e32 v4, 5, v11
	s_sub_i32 s2, s14, s0
	s_lshl_b64 s[0:1], s[8:9], 3
	v_add_lshl_u32 v4, v4, v0, 3
	s_add_u32 s0, s4, s0
	s_waitcnt lgkmcnt(0)
	s_barrier
	ds_read_b64 v[4:5], v4 offset:2048
	s_addc_u32 s1, s5, s1
	v_mov_b32_e32 v7, s1
	v_add_co_u32_e32 v6, vcc, s0, v1
	v_addc_co_u32_e32 v7, vcc, 0, v7, vcc
	v_cmp_gt_u32_e32 vcc, s2, v0
	s_and_saveexec_b64 s[0:1], vcc
	s_cbranch_execz .LBB663_113
; %bb.112:
	v_lshrrev_b32_e32 v12, 5, v0
	v_add_lshl_u32 v12, v12, v0, 3
	ds_read_b64 v[12:13], v12
	s_waitcnt lgkmcnt(0)
	global_store_dwordx2 v[6:7], v[12:13], off
.LBB663_113:
	s_or_b64 exec, exec, s[0:1]
	v_cmp_gt_u32_e64 s[0:1], s2, v11
	s_branch .LBB663_116
.LBB663_114:
	s_mov_b64 s[0:1], 0
                                        ; implicit-def: $vgpr4_vgpr5
                                        ; implicit-def: $vgpr6_vgpr7
	s_cbranch_execz .LBB663_116
; %bb.115:
	s_waitcnt lgkmcnt(0)
	v_and_b32_e32 v4, 0x78, v10
	v_lshl_add_u32 v6, v0, 4, v4
	v_mov_b32_e32 v4, v8
	v_mov_b32_e32 v5, v9
	s_mov_b32 s9, 0
	ds_write2_b64 v6, v[2:3], v[4:5] offset1:1
	v_lshrrev_b32_e32 v2, 5, v0
	v_or_b32_e32 v3, 0x100, v0
	s_lshl_b64 s[2:3], s[8:9], 3
	v_add_lshl_u32 v2, v2, v0, 3
	v_lshrrev_b32_e32 v3, 5, v3
	s_add_u32 s2, s4, s2
	s_waitcnt lgkmcnt(0)
	s_barrier
	v_add_lshl_u32 v0, v3, v0, 3
	ds_read_b64 v[2:3], v2
	ds_read_b64 v[4:5], v0 offset:2048
	s_addc_u32 s3, s5, s3
	v_mov_b32_e32 v0, s3
	v_add_co_u32_e32 v6, vcc, s2, v1
	v_addc_co_u32_e32 v7, vcc, 0, v0, vcc
	s_or_b64 s[0:1], s[0:1], exec
	s_waitcnt lgkmcnt(1)
	global_store_dwordx2 v1, v[2:3], s[2:3]
.LBB663_116:
	s_and_saveexec_b64 s[2:3], s[0:1]
	s_cbranch_execnz .LBB663_118
; %bb.117:
	s_endpgm
.LBB663_118:
	s_waitcnt lgkmcnt(0)
	global_store_dwordx2 v[6:7], v[4:5], off offset:2048
	s_endpgm
	.section	.rodata,"a",@progbits
	.p2align	6, 0x0
	.amdhsa_kernel _ZN7rocprim17ROCPRIM_400000_NS6detail17trampoline_kernelINS0_14default_configENS1_35adjacent_difference_config_selectorILb0ElEEZNS1_24adjacent_difference_implIS3_Lb0ELb0EPlS7_ZN2at6native12_GLOBAL__N_124unique_dim_cuda_templateIsEESt5tupleIJNS8_6TensorESD_SD_EERKSD_lbbbEUlllE1_EE10hipError_tPvRmT2_T3_mT4_P12ihipStream_tbEUlT_E_NS1_11comp_targetILNS1_3genE4ELNS1_11target_archE910ELNS1_3gpuE8ELNS1_3repE0EEENS1_30default_config_static_selectorELNS0_4arch9wavefront6targetE1EEEvT1_
		.amdhsa_group_segment_fixed_size 4224
		.amdhsa_private_segment_fixed_size 0
		.amdhsa_kernarg_size 64
		.amdhsa_user_sgpr_count 6
		.amdhsa_user_sgpr_private_segment_buffer 1
		.amdhsa_user_sgpr_dispatch_ptr 0
		.amdhsa_user_sgpr_queue_ptr 0
		.amdhsa_user_sgpr_kernarg_segment_ptr 1
		.amdhsa_user_sgpr_dispatch_id 0
		.amdhsa_user_sgpr_flat_scratch_init 0
		.amdhsa_user_sgpr_kernarg_preload_length 0
		.amdhsa_user_sgpr_kernarg_preload_offset 0
		.amdhsa_user_sgpr_private_segment_size 0
		.amdhsa_uses_dynamic_stack 0
		.amdhsa_system_sgpr_private_segment_wavefront_offset 0
		.amdhsa_system_sgpr_workgroup_id_x 1
		.amdhsa_system_sgpr_workgroup_id_y 0
		.amdhsa_system_sgpr_workgroup_id_z 0
		.amdhsa_system_sgpr_workgroup_info 0
		.amdhsa_system_vgpr_workitem_id 0
		.amdhsa_next_free_vgpr 17
		.amdhsa_next_free_sgpr 38
		.amdhsa_accum_offset 20
		.amdhsa_reserve_vcc 1
		.amdhsa_reserve_flat_scratch 0
		.amdhsa_float_round_mode_32 0
		.amdhsa_float_round_mode_16_64 0
		.amdhsa_float_denorm_mode_32 3
		.amdhsa_float_denorm_mode_16_64 3
		.amdhsa_dx10_clamp 1
		.amdhsa_ieee_mode 1
		.amdhsa_fp16_overflow 0
		.amdhsa_tg_split 0
		.amdhsa_exception_fp_ieee_invalid_op 0
		.amdhsa_exception_fp_denorm_src 0
		.amdhsa_exception_fp_ieee_div_zero 0
		.amdhsa_exception_fp_ieee_overflow 0
		.amdhsa_exception_fp_ieee_underflow 0
		.amdhsa_exception_fp_ieee_inexact 0
		.amdhsa_exception_int_div_zero 0
	.end_amdhsa_kernel
	.section	.text._ZN7rocprim17ROCPRIM_400000_NS6detail17trampoline_kernelINS0_14default_configENS1_35adjacent_difference_config_selectorILb0ElEEZNS1_24adjacent_difference_implIS3_Lb0ELb0EPlS7_ZN2at6native12_GLOBAL__N_124unique_dim_cuda_templateIsEESt5tupleIJNS8_6TensorESD_SD_EERKSD_lbbbEUlllE1_EE10hipError_tPvRmT2_T3_mT4_P12ihipStream_tbEUlT_E_NS1_11comp_targetILNS1_3genE4ELNS1_11target_archE910ELNS1_3gpuE8ELNS1_3repE0EEENS1_30default_config_static_selectorELNS0_4arch9wavefront6targetE1EEEvT1_,"axG",@progbits,_ZN7rocprim17ROCPRIM_400000_NS6detail17trampoline_kernelINS0_14default_configENS1_35adjacent_difference_config_selectorILb0ElEEZNS1_24adjacent_difference_implIS3_Lb0ELb0EPlS7_ZN2at6native12_GLOBAL__N_124unique_dim_cuda_templateIsEESt5tupleIJNS8_6TensorESD_SD_EERKSD_lbbbEUlllE1_EE10hipError_tPvRmT2_T3_mT4_P12ihipStream_tbEUlT_E_NS1_11comp_targetILNS1_3genE4ELNS1_11target_archE910ELNS1_3gpuE8ELNS1_3repE0EEENS1_30default_config_static_selectorELNS0_4arch9wavefront6targetE1EEEvT1_,comdat
.Lfunc_end663:
	.size	_ZN7rocprim17ROCPRIM_400000_NS6detail17trampoline_kernelINS0_14default_configENS1_35adjacent_difference_config_selectorILb0ElEEZNS1_24adjacent_difference_implIS3_Lb0ELb0EPlS7_ZN2at6native12_GLOBAL__N_124unique_dim_cuda_templateIsEESt5tupleIJNS8_6TensorESD_SD_EERKSD_lbbbEUlllE1_EE10hipError_tPvRmT2_T3_mT4_P12ihipStream_tbEUlT_E_NS1_11comp_targetILNS1_3genE4ELNS1_11target_archE910ELNS1_3gpuE8ELNS1_3repE0EEENS1_30default_config_static_selectorELNS0_4arch9wavefront6targetE1EEEvT1_, .Lfunc_end663-_ZN7rocprim17ROCPRIM_400000_NS6detail17trampoline_kernelINS0_14default_configENS1_35adjacent_difference_config_selectorILb0ElEEZNS1_24adjacent_difference_implIS3_Lb0ELb0EPlS7_ZN2at6native12_GLOBAL__N_124unique_dim_cuda_templateIsEESt5tupleIJNS8_6TensorESD_SD_EERKSD_lbbbEUlllE1_EE10hipError_tPvRmT2_T3_mT4_P12ihipStream_tbEUlT_E_NS1_11comp_targetILNS1_3genE4ELNS1_11target_archE910ELNS1_3gpuE8ELNS1_3repE0EEENS1_30default_config_static_selectorELNS0_4arch9wavefront6targetE1EEEvT1_
                                        ; -- End function
	.section	.AMDGPU.csdata,"",@progbits
; Kernel info:
; codeLenInByte = 4256
; NumSgprs: 42
; NumVgprs: 17
; NumAgprs: 0
; TotalNumVgprs: 17
; ScratchSize: 0
; MemoryBound: 0
; FloatMode: 240
; IeeeMode: 1
; LDSByteSize: 4224 bytes/workgroup (compile time only)
; SGPRBlocks: 5
; VGPRBlocks: 2
; NumSGPRsForWavesPerEU: 42
; NumVGPRsForWavesPerEU: 17
; AccumOffset: 20
; Occupancy: 8
; WaveLimiterHint : 1
; COMPUTE_PGM_RSRC2:SCRATCH_EN: 0
; COMPUTE_PGM_RSRC2:USER_SGPR: 6
; COMPUTE_PGM_RSRC2:TRAP_HANDLER: 0
; COMPUTE_PGM_RSRC2:TGID_X_EN: 1
; COMPUTE_PGM_RSRC2:TGID_Y_EN: 0
; COMPUTE_PGM_RSRC2:TGID_Z_EN: 0
; COMPUTE_PGM_RSRC2:TIDIG_COMP_CNT: 0
; COMPUTE_PGM_RSRC3_GFX90A:ACCUM_OFFSET: 4
; COMPUTE_PGM_RSRC3_GFX90A:TG_SPLIT: 0
	.section	.text._ZN7rocprim17ROCPRIM_400000_NS6detail17trampoline_kernelINS0_14default_configENS1_35adjacent_difference_config_selectorILb0ElEEZNS1_24adjacent_difference_implIS3_Lb0ELb0EPlS7_ZN2at6native12_GLOBAL__N_124unique_dim_cuda_templateIsEESt5tupleIJNS8_6TensorESD_SD_EERKSD_lbbbEUlllE1_EE10hipError_tPvRmT2_T3_mT4_P12ihipStream_tbEUlT_E_NS1_11comp_targetILNS1_3genE3ELNS1_11target_archE908ELNS1_3gpuE7ELNS1_3repE0EEENS1_30default_config_static_selectorELNS0_4arch9wavefront6targetE1EEEvT1_,"axG",@progbits,_ZN7rocprim17ROCPRIM_400000_NS6detail17trampoline_kernelINS0_14default_configENS1_35adjacent_difference_config_selectorILb0ElEEZNS1_24adjacent_difference_implIS3_Lb0ELb0EPlS7_ZN2at6native12_GLOBAL__N_124unique_dim_cuda_templateIsEESt5tupleIJNS8_6TensorESD_SD_EERKSD_lbbbEUlllE1_EE10hipError_tPvRmT2_T3_mT4_P12ihipStream_tbEUlT_E_NS1_11comp_targetILNS1_3genE3ELNS1_11target_archE908ELNS1_3gpuE7ELNS1_3repE0EEENS1_30default_config_static_selectorELNS0_4arch9wavefront6targetE1EEEvT1_,comdat
	.globl	_ZN7rocprim17ROCPRIM_400000_NS6detail17trampoline_kernelINS0_14default_configENS1_35adjacent_difference_config_selectorILb0ElEEZNS1_24adjacent_difference_implIS3_Lb0ELb0EPlS7_ZN2at6native12_GLOBAL__N_124unique_dim_cuda_templateIsEESt5tupleIJNS8_6TensorESD_SD_EERKSD_lbbbEUlllE1_EE10hipError_tPvRmT2_T3_mT4_P12ihipStream_tbEUlT_E_NS1_11comp_targetILNS1_3genE3ELNS1_11target_archE908ELNS1_3gpuE7ELNS1_3repE0EEENS1_30default_config_static_selectorELNS0_4arch9wavefront6targetE1EEEvT1_ ; -- Begin function _ZN7rocprim17ROCPRIM_400000_NS6detail17trampoline_kernelINS0_14default_configENS1_35adjacent_difference_config_selectorILb0ElEEZNS1_24adjacent_difference_implIS3_Lb0ELb0EPlS7_ZN2at6native12_GLOBAL__N_124unique_dim_cuda_templateIsEESt5tupleIJNS8_6TensorESD_SD_EERKSD_lbbbEUlllE1_EE10hipError_tPvRmT2_T3_mT4_P12ihipStream_tbEUlT_E_NS1_11comp_targetILNS1_3genE3ELNS1_11target_archE908ELNS1_3gpuE7ELNS1_3repE0EEENS1_30default_config_static_selectorELNS0_4arch9wavefront6targetE1EEEvT1_
	.p2align	8
	.type	_ZN7rocprim17ROCPRIM_400000_NS6detail17trampoline_kernelINS0_14default_configENS1_35adjacent_difference_config_selectorILb0ElEEZNS1_24adjacent_difference_implIS3_Lb0ELb0EPlS7_ZN2at6native12_GLOBAL__N_124unique_dim_cuda_templateIsEESt5tupleIJNS8_6TensorESD_SD_EERKSD_lbbbEUlllE1_EE10hipError_tPvRmT2_T3_mT4_P12ihipStream_tbEUlT_E_NS1_11comp_targetILNS1_3genE3ELNS1_11target_archE908ELNS1_3gpuE7ELNS1_3repE0EEENS1_30default_config_static_selectorELNS0_4arch9wavefront6targetE1EEEvT1_,@function
_ZN7rocprim17ROCPRIM_400000_NS6detail17trampoline_kernelINS0_14default_configENS1_35adjacent_difference_config_selectorILb0ElEEZNS1_24adjacent_difference_implIS3_Lb0ELb0EPlS7_ZN2at6native12_GLOBAL__N_124unique_dim_cuda_templateIsEESt5tupleIJNS8_6TensorESD_SD_EERKSD_lbbbEUlllE1_EE10hipError_tPvRmT2_T3_mT4_P12ihipStream_tbEUlT_E_NS1_11comp_targetILNS1_3genE3ELNS1_11target_archE908ELNS1_3gpuE7ELNS1_3repE0EEENS1_30default_config_static_selectorELNS0_4arch9wavefront6targetE1EEEvT1_: ; @_ZN7rocprim17ROCPRIM_400000_NS6detail17trampoline_kernelINS0_14default_configENS1_35adjacent_difference_config_selectorILb0ElEEZNS1_24adjacent_difference_implIS3_Lb0ELb0EPlS7_ZN2at6native12_GLOBAL__N_124unique_dim_cuda_templateIsEESt5tupleIJNS8_6TensorESD_SD_EERKSD_lbbbEUlllE1_EE10hipError_tPvRmT2_T3_mT4_P12ihipStream_tbEUlT_E_NS1_11comp_targetILNS1_3genE3ELNS1_11target_archE908ELNS1_3gpuE7ELNS1_3repE0EEENS1_30default_config_static_selectorELNS0_4arch9wavefront6targetE1EEEvT1_
; %bb.0:
	.section	.rodata,"a",@progbits
	.p2align	6, 0x0
	.amdhsa_kernel _ZN7rocprim17ROCPRIM_400000_NS6detail17trampoline_kernelINS0_14default_configENS1_35adjacent_difference_config_selectorILb0ElEEZNS1_24adjacent_difference_implIS3_Lb0ELb0EPlS7_ZN2at6native12_GLOBAL__N_124unique_dim_cuda_templateIsEESt5tupleIJNS8_6TensorESD_SD_EERKSD_lbbbEUlllE1_EE10hipError_tPvRmT2_T3_mT4_P12ihipStream_tbEUlT_E_NS1_11comp_targetILNS1_3genE3ELNS1_11target_archE908ELNS1_3gpuE7ELNS1_3repE0EEENS1_30default_config_static_selectorELNS0_4arch9wavefront6targetE1EEEvT1_
		.amdhsa_group_segment_fixed_size 0
		.amdhsa_private_segment_fixed_size 0
		.amdhsa_kernarg_size 64
		.amdhsa_user_sgpr_count 6
		.amdhsa_user_sgpr_private_segment_buffer 1
		.amdhsa_user_sgpr_dispatch_ptr 0
		.amdhsa_user_sgpr_queue_ptr 0
		.amdhsa_user_sgpr_kernarg_segment_ptr 1
		.amdhsa_user_sgpr_dispatch_id 0
		.amdhsa_user_sgpr_flat_scratch_init 0
		.amdhsa_user_sgpr_kernarg_preload_length 0
		.amdhsa_user_sgpr_kernarg_preload_offset 0
		.amdhsa_user_sgpr_private_segment_size 0
		.amdhsa_uses_dynamic_stack 0
		.amdhsa_system_sgpr_private_segment_wavefront_offset 0
		.amdhsa_system_sgpr_workgroup_id_x 1
		.amdhsa_system_sgpr_workgroup_id_y 0
		.amdhsa_system_sgpr_workgroup_id_z 0
		.amdhsa_system_sgpr_workgroup_info 0
		.amdhsa_system_vgpr_workitem_id 0
		.amdhsa_next_free_vgpr 1
		.amdhsa_next_free_sgpr 0
		.amdhsa_accum_offset 4
		.amdhsa_reserve_vcc 0
		.amdhsa_reserve_flat_scratch 0
		.amdhsa_float_round_mode_32 0
		.amdhsa_float_round_mode_16_64 0
		.amdhsa_float_denorm_mode_32 3
		.amdhsa_float_denorm_mode_16_64 3
		.amdhsa_dx10_clamp 1
		.amdhsa_ieee_mode 1
		.amdhsa_fp16_overflow 0
		.amdhsa_tg_split 0
		.amdhsa_exception_fp_ieee_invalid_op 0
		.amdhsa_exception_fp_denorm_src 0
		.amdhsa_exception_fp_ieee_div_zero 0
		.amdhsa_exception_fp_ieee_overflow 0
		.amdhsa_exception_fp_ieee_underflow 0
		.amdhsa_exception_fp_ieee_inexact 0
		.amdhsa_exception_int_div_zero 0
	.end_amdhsa_kernel
	.section	.text._ZN7rocprim17ROCPRIM_400000_NS6detail17trampoline_kernelINS0_14default_configENS1_35adjacent_difference_config_selectorILb0ElEEZNS1_24adjacent_difference_implIS3_Lb0ELb0EPlS7_ZN2at6native12_GLOBAL__N_124unique_dim_cuda_templateIsEESt5tupleIJNS8_6TensorESD_SD_EERKSD_lbbbEUlllE1_EE10hipError_tPvRmT2_T3_mT4_P12ihipStream_tbEUlT_E_NS1_11comp_targetILNS1_3genE3ELNS1_11target_archE908ELNS1_3gpuE7ELNS1_3repE0EEENS1_30default_config_static_selectorELNS0_4arch9wavefront6targetE1EEEvT1_,"axG",@progbits,_ZN7rocprim17ROCPRIM_400000_NS6detail17trampoline_kernelINS0_14default_configENS1_35adjacent_difference_config_selectorILb0ElEEZNS1_24adjacent_difference_implIS3_Lb0ELb0EPlS7_ZN2at6native12_GLOBAL__N_124unique_dim_cuda_templateIsEESt5tupleIJNS8_6TensorESD_SD_EERKSD_lbbbEUlllE1_EE10hipError_tPvRmT2_T3_mT4_P12ihipStream_tbEUlT_E_NS1_11comp_targetILNS1_3genE3ELNS1_11target_archE908ELNS1_3gpuE7ELNS1_3repE0EEENS1_30default_config_static_selectorELNS0_4arch9wavefront6targetE1EEEvT1_,comdat
.Lfunc_end664:
	.size	_ZN7rocprim17ROCPRIM_400000_NS6detail17trampoline_kernelINS0_14default_configENS1_35adjacent_difference_config_selectorILb0ElEEZNS1_24adjacent_difference_implIS3_Lb0ELb0EPlS7_ZN2at6native12_GLOBAL__N_124unique_dim_cuda_templateIsEESt5tupleIJNS8_6TensorESD_SD_EERKSD_lbbbEUlllE1_EE10hipError_tPvRmT2_T3_mT4_P12ihipStream_tbEUlT_E_NS1_11comp_targetILNS1_3genE3ELNS1_11target_archE908ELNS1_3gpuE7ELNS1_3repE0EEENS1_30default_config_static_selectorELNS0_4arch9wavefront6targetE1EEEvT1_, .Lfunc_end664-_ZN7rocprim17ROCPRIM_400000_NS6detail17trampoline_kernelINS0_14default_configENS1_35adjacent_difference_config_selectorILb0ElEEZNS1_24adjacent_difference_implIS3_Lb0ELb0EPlS7_ZN2at6native12_GLOBAL__N_124unique_dim_cuda_templateIsEESt5tupleIJNS8_6TensorESD_SD_EERKSD_lbbbEUlllE1_EE10hipError_tPvRmT2_T3_mT4_P12ihipStream_tbEUlT_E_NS1_11comp_targetILNS1_3genE3ELNS1_11target_archE908ELNS1_3gpuE7ELNS1_3repE0EEENS1_30default_config_static_selectorELNS0_4arch9wavefront6targetE1EEEvT1_
                                        ; -- End function
	.section	.AMDGPU.csdata,"",@progbits
; Kernel info:
; codeLenInByte = 0
; NumSgprs: 4
; NumVgprs: 0
; NumAgprs: 0
; TotalNumVgprs: 0
; ScratchSize: 0
; MemoryBound: 0
; FloatMode: 240
; IeeeMode: 1
; LDSByteSize: 0 bytes/workgroup (compile time only)
; SGPRBlocks: 0
; VGPRBlocks: 0
; NumSGPRsForWavesPerEU: 4
; NumVGPRsForWavesPerEU: 1
; AccumOffset: 4
; Occupancy: 8
; WaveLimiterHint : 0
; COMPUTE_PGM_RSRC2:SCRATCH_EN: 0
; COMPUTE_PGM_RSRC2:USER_SGPR: 6
; COMPUTE_PGM_RSRC2:TRAP_HANDLER: 0
; COMPUTE_PGM_RSRC2:TGID_X_EN: 1
; COMPUTE_PGM_RSRC2:TGID_Y_EN: 0
; COMPUTE_PGM_RSRC2:TGID_Z_EN: 0
; COMPUTE_PGM_RSRC2:TIDIG_COMP_CNT: 0
; COMPUTE_PGM_RSRC3_GFX90A:ACCUM_OFFSET: 0
; COMPUTE_PGM_RSRC3_GFX90A:TG_SPLIT: 0
	.section	.text._ZN7rocprim17ROCPRIM_400000_NS6detail17trampoline_kernelINS0_14default_configENS1_35adjacent_difference_config_selectorILb0ElEEZNS1_24adjacent_difference_implIS3_Lb0ELb0EPlS7_ZN2at6native12_GLOBAL__N_124unique_dim_cuda_templateIsEESt5tupleIJNS8_6TensorESD_SD_EERKSD_lbbbEUlllE1_EE10hipError_tPvRmT2_T3_mT4_P12ihipStream_tbEUlT_E_NS1_11comp_targetILNS1_3genE2ELNS1_11target_archE906ELNS1_3gpuE6ELNS1_3repE0EEENS1_30default_config_static_selectorELNS0_4arch9wavefront6targetE1EEEvT1_,"axG",@progbits,_ZN7rocprim17ROCPRIM_400000_NS6detail17trampoline_kernelINS0_14default_configENS1_35adjacent_difference_config_selectorILb0ElEEZNS1_24adjacent_difference_implIS3_Lb0ELb0EPlS7_ZN2at6native12_GLOBAL__N_124unique_dim_cuda_templateIsEESt5tupleIJNS8_6TensorESD_SD_EERKSD_lbbbEUlllE1_EE10hipError_tPvRmT2_T3_mT4_P12ihipStream_tbEUlT_E_NS1_11comp_targetILNS1_3genE2ELNS1_11target_archE906ELNS1_3gpuE6ELNS1_3repE0EEENS1_30default_config_static_selectorELNS0_4arch9wavefront6targetE1EEEvT1_,comdat
	.globl	_ZN7rocprim17ROCPRIM_400000_NS6detail17trampoline_kernelINS0_14default_configENS1_35adjacent_difference_config_selectorILb0ElEEZNS1_24adjacent_difference_implIS3_Lb0ELb0EPlS7_ZN2at6native12_GLOBAL__N_124unique_dim_cuda_templateIsEESt5tupleIJNS8_6TensorESD_SD_EERKSD_lbbbEUlllE1_EE10hipError_tPvRmT2_T3_mT4_P12ihipStream_tbEUlT_E_NS1_11comp_targetILNS1_3genE2ELNS1_11target_archE906ELNS1_3gpuE6ELNS1_3repE0EEENS1_30default_config_static_selectorELNS0_4arch9wavefront6targetE1EEEvT1_ ; -- Begin function _ZN7rocprim17ROCPRIM_400000_NS6detail17trampoline_kernelINS0_14default_configENS1_35adjacent_difference_config_selectorILb0ElEEZNS1_24adjacent_difference_implIS3_Lb0ELb0EPlS7_ZN2at6native12_GLOBAL__N_124unique_dim_cuda_templateIsEESt5tupleIJNS8_6TensorESD_SD_EERKSD_lbbbEUlllE1_EE10hipError_tPvRmT2_T3_mT4_P12ihipStream_tbEUlT_E_NS1_11comp_targetILNS1_3genE2ELNS1_11target_archE906ELNS1_3gpuE6ELNS1_3repE0EEENS1_30default_config_static_selectorELNS0_4arch9wavefront6targetE1EEEvT1_
	.p2align	8
	.type	_ZN7rocprim17ROCPRIM_400000_NS6detail17trampoline_kernelINS0_14default_configENS1_35adjacent_difference_config_selectorILb0ElEEZNS1_24adjacent_difference_implIS3_Lb0ELb0EPlS7_ZN2at6native12_GLOBAL__N_124unique_dim_cuda_templateIsEESt5tupleIJNS8_6TensorESD_SD_EERKSD_lbbbEUlllE1_EE10hipError_tPvRmT2_T3_mT4_P12ihipStream_tbEUlT_E_NS1_11comp_targetILNS1_3genE2ELNS1_11target_archE906ELNS1_3gpuE6ELNS1_3repE0EEENS1_30default_config_static_selectorELNS0_4arch9wavefront6targetE1EEEvT1_,@function
_ZN7rocprim17ROCPRIM_400000_NS6detail17trampoline_kernelINS0_14default_configENS1_35adjacent_difference_config_selectorILb0ElEEZNS1_24adjacent_difference_implIS3_Lb0ELb0EPlS7_ZN2at6native12_GLOBAL__N_124unique_dim_cuda_templateIsEESt5tupleIJNS8_6TensorESD_SD_EERKSD_lbbbEUlllE1_EE10hipError_tPvRmT2_T3_mT4_P12ihipStream_tbEUlT_E_NS1_11comp_targetILNS1_3genE2ELNS1_11target_archE906ELNS1_3gpuE6ELNS1_3repE0EEENS1_30default_config_static_selectorELNS0_4arch9wavefront6targetE1EEEvT1_: ; @_ZN7rocprim17ROCPRIM_400000_NS6detail17trampoline_kernelINS0_14default_configENS1_35adjacent_difference_config_selectorILb0ElEEZNS1_24adjacent_difference_implIS3_Lb0ELb0EPlS7_ZN2at6native12_GLOBAL__N_124unique_dim_cuda_templateIsEESt5tupleIJNS8_6TensorESD_SD_EERKSD_lbbbEUlllE1_EE10hipError_tPvRmT2_T3_mT4_P12ihipStream_tbEUlT_E_NS1_11comp_targetILNS1_3genE2ELNS1_11target_archE906ELNS1_3gpuE6ELNS1_3repE0EEENS1_30default_config_static_selectorELNS0_4arch9wavefront6targetE1EEEvT1_
; %bb.0:
	.section	.rodata,"a",@progbits
	.p2align	6, 0x0
	.amdhsa_kernel _ZN7rocprim17ROCPRIM_400000_NS6detail17trampoline_kernelINS0_14default_configENS1_35adjacent_difference_config_selectorILb0ElEEZNS1_24adjacent_difference_implIS3_Lb0ELb0EPlS7_ZN2at6native12_GLOBAL__N_124unique_dim_cuda_templateIsEESt5tupleIJNS8_6TensorESD_SD_EERKSD_lbbbEUlllE1_EE10hipError_tPvRmT2_T3_mT4_P12ihipStream_tbEUlT_E_NS1_11comp_targetILNS1_3genE2ELNS1_11target_archE906ELNS1_3gpuE6ELNS1_3repE0EEENS1_30default_config_static_selectorELNS0_4arch9wavefront6targetE1EEEvT1_
		.amdhsa_group_segment_fixed_size 0
		.amdhsa_private_segment_fixed_size 0
		.amdhsa_kernarg_size 64
		.amdhsa_user_sgpr_count 6
		.amdhsa_user_sgpr_private_segment_buffer 1
		.amdhsa_user_sgpr_dispatch_ptr 0
		.amdhsa_user_sgpr_queue_ptr 0
		.amdhsa_user_sgpr_kernarg_segment_ptr 1
		.amdhsa_user_sgpr_dispatch_id 0
		.amdhsa_user_sgpr_flat_scratch_init 0
		.amdhsa_user_sgpr_kernarg_preload_length 0
		.amdhsa_user_sgpr_kernarg_preload_offset 0
		.amdhsa_user_sgpr_private_segment_size 0
		.amdhsa_uses_dynamic_stack 0
		.amdhsa_system_sgpr_private_segment_wavefront_offset 0
		.amdhsa_system_sgpr_workgroup_id_x 1
		.amdhsa_system_sgpr_workgroup_id_y 0
		.amdhsa_system_sgpr_workgroup_id_z 0
		.amdhsa_system_sgpr_workgroup_info 0
		.amdhsa_system_vgpr_workitem_id 0
		.amdhsa_next_free_vgpr 1
		.amdhsa_next_free_sgpr 0
		.amdhsa_accum_offset 4
		.amdhsa_reserve_vcc 0
		.amdhsa_reserve_flat_scratch 0
		.amdhsa_float_round_mode_32 0
		.amdhsa_float_round_mode_16_64 0
		.amdhsa_float_denorm_mode_32 3
		.amdhsa_float_denorm_mode_16_64 3
		.amdhsa_dx10_clamp 1
		.amdhsa_ieee_mode 1
		.amdhsa_fp16_overflow 0
		.amdhsa_tg_split 0
		.amdhsa_exception_fp_ieee_invalid_op 0
		.amdhsa_exception_fp_denorm_src 0
		.amdhsa_exception_fp_ieee_div_zero 0
		.amdhsa_exception_fp_ieee_overflow 0
		.amdhsa_exception_fp_ieee_underflow 0
		.amdhsa_exception_fp_ieee_inexact 0
		.amdhsa_exception_int_div_zero 0
	.end_amdhsa_kernel
	.section	.text._ZN7rocprim17ROCPRIM_400000_NS6detail17trampoline_kernelINS0_14default_configENS1_35adjacent_difference_config_selectorILb0ElEEZNS1_24adjacent_difference_implIS3_Lb0ELb0EPlS7_ZN2at6native12_GLOBAL__N_124unique_dim_cuda_templateIsEESt5tupleIJNS8_6TensorESD_SD_EERKSD_lbbbEUlllE1_EE10hipError_tPvRmT2_T3_mT4_P12ihipStream_tbEUlT_E_NS1_11comp_targetILNS1_3genE2ELNS1_11target_archE906ELNS1_3gpuE6ELNS1_3repE0EEENS1_30default_config_static_selectorELNS0_4arch9wavefront6targetE1EEEvT1_,"axG",@progbits,_ZN7rocprim17ROCPRIM_400000_NS6detail17trampoline_kernelINS0_14default_configENS1_35adjacent_difference_config_selectorILb0ElEEZNS1_24adjacent_difference_implIS3_Lb0ELb0EPlS7_ZN2at6native12_GLOBAL__N_124unique_dim_cuda_templateIsEESt5tupleIJNS8_6TensorESD_SD_EERKSD_lbbbEUlllE1_EE10hipError_tPvRmT2_T3_mT4_P12ihipStream_tbEUlT_E_NS1_11comp_targetILNS1_3genE2ELNS1_11target_archE906ELNS1_3gpuE6ELNS1_3repE0EEENS1_30default_config_static_selectorELNS0_4arch9wavefront6targetE1EEEvT1_,comdat
.Lfunc_end665:
	.size	_ZN7rocprim17ROCPRIM_400000_NS6detail17trampoline_kernelINS0_14default_configENS1_35adjacent_difference_config_selectorILb0ElEEZNS1_24adjacent_difference_implIS3_Lb0ELb0EPlS7_ZN2at6native12_GLOBAL__N_124unique_dim_cuda_templateIsEESt5tupleIJNS8_6TensorESD_SD_EERKSD_lbbbEUlllE1_EE10hipError_tPvRmT2_T3_mT4_P12ihipStream_tbEUlT_E_NS1_11comp_targetILNS1_3genE2ELNS1_11target_archE906ELNS1_3gpuE6ELNS1_3repE0EEENS1_30default_config_static_selectorELNS0_4arch9wavefront6targetE1EEEvT1_, .Lfunc_end665-_ZN7rocprim17ROCPRIM_400000_NS6detail17trampoline_kernelINS0_14default_configENS1_35adjacent_difference_config_selectorILb0ElEEZNS1_24adjacent_difference_implIS3_Lb0ELb0EPlS7_ZN2at6native12_GLOBAL__N_124unique_dim_cuda_templateIsEESt5tupleIJNS8_6TensorESD_SD_EERKSD_lbbbEUlllE1_EE10hipError_tPvRmT2_T3_mT4_P12ihipStream_tbEUlT_E_NS1_11comp_targetILNS1_3genE2ELNS1_11target_archE906ELNS1_3gpuE6ELNS1_3repE0EEENS1_30default_config_static_selectorELNS0_4arch9wavefront6targetE1EEEvT1_
                                        ; -- End function
	.section	.AMDGPU.csdata,"",@progbits
; Kernel info:
; codeLenInByte = 0
; NumSgprs: 4
; NumVgprs: 0
; NumAgprs: 0
; TotalNumVgprs: 0
; ScratchSize: 0
; MemoryBound: 0
; FloatMode: 240
; IeeeMode: 1
; LDSByteSize: 0 bytes/workgroup (compile time only)
; SGPRBlocks: 0
; VGPRBlocks: 0
; NumSGPRsForWavesPerEU: 4
; NumVGPRsForWavesPerEU: 1
; AccumOffset: 4
; Occupancy: 8
; WaveLimiterHint : 0
; COMPUTE_PGM_RSRC2:SCRATCH_EN: 0
; COMPUTE_PGM_RSRC2:USER_SGPR: 6
; COMPUTE_PGM_RSRC2:TRAP_HANDLER: 0
; COMPUTE_PGM_RSRC2:TGID_X_EN: 1
; COMPUTE_PGM_RSRC2:TGID_Y_EN: 0
; COMPUTE_PGM_RSRC2:TGID_Z_EN: 0
; COMPUTE_PGM_RSRC2:TIDIG_COMP_CNT: 0
; COMPUTE_PGM_RSRC3_GFX90A:ACCUM_OFFSET: 0
; COMPUTE_PGM_RSRC3_GFX90A:TG_SPLIT: 0
	.section	.text._ZN7rocprim17ROCPRIM_400000_NS6detail17trampoline_kernelINS0_14default_configENS1_35adjacent_difference_config_selectorILb0ElEEZNS1_24adjacent_difference_implIS3_Lb0ELb0EPlS7_ZN2at6native12_GLOBAL__N_124unique_dim_cuda_templateIsEESt5tupleIJNS8_6TensorESD_SD_EERKSD_lbbbEUlllE1_EE10hipError_tPvRmT2_T3_mT4_P12ihipStream_tbEUlT_E_NS1_11comp_targetILNS1_3genE9ELNS1_11target_archE1100ELNS1_3gpuE3ELNS1_3repE0EEENS1_30default_config_static_selectorELNS0_4arch9wavefront6targetE1EEEvT1_,"axG",@progbits,_ZN7rocprim17ROCPRIM_400000_NS6detail17trampoline_kernelINS0_14default_configENS1_35adjacent_difference_config_selectorILb0ElEEZNS1_24adjacent_difference_implIS3_Lb0ELb0EPlS7_ZN2at6native12_GLOBAL__N_124unique_dim_cuda_templateIsEESt5tupleIJNS8_6TensorESD_SD_EERKSD_lbbbEUlllE1_EE10hipError_tPvRmT2_T3_mT4_P12ihipStream_tbEUlT_E_NS1_11comp_targetILNS1_3genE9ELNS1_11target_archE1100ELNS1_3gpuE3ELNS1_3repE0EEENS1_30default_config_static_selectorELNS0_4arch9wavefront6targetE1EEEvT1_,comdat
	.globl	_ZN7rocprim17ROCPRIM_400000_NS6detail17trampoline_kernelINS0_14default_configENS1_35adjacent_difference_config_selectorILb0ElEEZNS1_24adjacent_difference_implIS3_Lb0ELb0EPlS7_ZN2at6native12_GLOBAL__N_124unique_dim_cuda_templateIsEESt5tupleIJNS8_6TensorESD_SD_EERKSD_lbbbEUlllE1_EE10hipError_tPvRmT2_T3_mT4_P12ihipStream_tbEUlT_E_NS1_11comp_targetILNS1_3genE9ELNS1_11target_archE1100ELNS1_3gpuE3ELNS1_3repE0EEENS1_30default_config_static_selectorELNS0_4arch9wavefront6targetE1EEEvT1_ ; -- Begin function _ZN7rocprim17ROCPRIM_400000_NS6detail17trampoline_kernelINS0_14default_configENS1_35adjacent_difference_config_selectorILb0ElEEZNS1_24adjacent_difference_implIS3_Lb0ELb0EPlS7_ZN2at6native12_GLOBAL__N_124unique_dim_cuda_templateIsEESt5tupleIJNS8_6TensorESD_SD_EERKSD_lbbbEUlllE1_EE10hipError_tPvRmT2_T3_mT4_P12ihipStream_tbEUlT_E_NS1_11comp_targetILNS1_3genE9ELNS1_11target_archE1100ELNS1_3gpuE3ELNS1_3repE0EEENS1_30default_config_static_selectorELNS0_4arch9wavefront6targetE1EEEvT1_
	.p2align	8
	.type	_ZN7rocprim17ROCPRIM_400000_NS6detail17trampoline_kernelINS0_14default_configENS1_35adjacent_difference_config_selectorILb0ElEEZNS1_24adjacent_difference_implIS3_Lb0ELb0EPlS7_ZN2at6native12_GLOBAL__N_124unique_dim_cuda_templateIsEESt5tupleIJNS8_6TensorESD_SD_EERKSD_lbbbEUlllE1_EE10hipError_tPvRmT2_T3_mT4_P12ihipStream_tbEUlT_E_NS1_11comp_targetILNS1_3genE9ELNS1_11target_archE1100ELNS1_3gpuE3ELNS1_3repE0EEENS1_30default_config_static_selectorELNS0_4arch9wavefront6targetE1EEEvT1_,@function
_ZN7rocprim17ROCPRIM_400000_NS6detail17trampoline_kernelINS0_14default_configENS1_35adjacent_difference_config_selectorILb0ElEEZNS1_24adjacent_difference_implIS3_Lb0ELb0EPlS7_ZN2at6native12_GLOBAL__N_124unique_dim_cuda_templateIsEESt5tupleIJNS8_6TensorESD_SD_EERKSD_lbbbEUlllE1_EE10hipError_tPvRmT2_T3_mT4_P12ihipStream_tbEUlT_E_NS1_11comp_targetILNS1_3genE9ELNS1_11target_archE1100ELNS1_3gpuE3ELNS1_3repE0EEENS1_30default_config_static_selectorELNS0_4arch9wavefront6targetE1EEEvT1_: ; @_ZN7rocprim17ROCPRIM_400000_NS6detail17trampoline_kernelINS0_14default_configENS1_35adjacent_difference_config_selectorILb0ElEEZNS1_24adjacent_difference_implIS3_Lb0ELb0EPlS7_ZN2at6native12_GLOBAL__N_124unique_dim_cuda_templateIsEESt5tupleIJNS8_6TensorESD_SD_EERKSD_lbbbEUlllE1_EE10hipError_tPvRmT2_T3_mT4_P12ihipStream_tbEUlT_E_NS1_11comp_targetILNS1_3genE9ELNS1_11target_archE1100ELNS1_3gpuE3ELNS1_3repE0EEENS1_30default_config_static_selectorELNS0_4arch9wavefront6targetE1EEEvT1_
; %bb.0:
	.section	.rodata,"a",@progbits
	.p2align	6, 0x0
	.amdhsa_kernel _ZN7rocprim17ROCPRIM_400000_NS6detail17trampoline_kernelINS0_14default_configENS1_35adjacent_difference_config_selectorILb0ElEEZNS1_24adjacent_difference_implIS3_Lb0ELb0EPlS7_ZN2at6native12_GLOBAL__N_124unique_dim_cuda_templateIsEESt5tupleIJNS8_6TensorESD_SD_EERKSD_lbbbEUlllE1_EE10hipError_tPvRmT2_T3_mT4_P12ihipStream_tbEUlT_E_NS1_11comp_targetILNS1_3genE9ELNS1_11target_archE1100ELNS1_3gpuE3ELNS1_3repE0EEENS1_30default_config_static_selectorELNS0_4arch9wavefront6targetE1EEEvT1_
		.amdhsa_group_segment_fixed_size 0
		.amdhsa_private_segment_fixed_size 0
		.amdhsa_kernarg_size 64
		.amdhsa_user_sgpr_count 6
		.amdhsa_user_sgpr_private_segment_buffer 1
		.amdhsa_user_sgpr_dispatch_ptr 0
		.amdhsa_user_sgpr_queue_ptr 0
		.amdhsa_user_sgpr_kernarg_segment_ptr 1
		.amdhsa_user_sgpr_dispatch_id 0
		.amdhsa_user_sgpr_flat_scratch_init 0
		.amdhsa_user_sgpr_kernarg_preload_length 0
		.amdhsa_user_sgpr_kernarg_preload_offset 0
		.amdhsa_user_sgpr_private_segment_size 0
		.amdhsa_uses_dynamic_stack 0
		.amdhsa_system_sgpr_private_segment_wavefront_offset 0
		.amdhsa_system_sgpr_workgroup_id_x 1
		.amdhsa_system_sgpr_workgroup_id_y 0
		.amdhsa_system_sgpr_workgroup_id_z 0
		.amdhsa_system_sgpr_workgroup_info 0
		.amdhsa_system_vgpr_workitem_id 0
		.amdhsa_next_free_vgpr 1
		.amdhsa_next_free_sgpr 0
		.amdhsa_accum_offset 4
		.amdhsa_reserve_vcc 0
		.amdhsa_reserve_flat_scratch 0
		.amdhsa_float_round_mode_32 0
		.amdhsa_float_round_mode_16_64 0
		.amdhsa_float_denorm_mode_32 3
		.amdhsa_float_denorm_mode_16_64 3
		.amdhsa_dx10_clamp 1
		.amdhsa_ieee_mode 1
		.amdhsa_fp16_overflow 0
		.amdhsa_tg_split 0
		.amdhsa_exception_fp_ieee_invalid_op 0
		.amdhsa_exception_fp_denorm_src 0
		.amdhsa_exception_fp_ieee_div_zero 0
		.amdhsa_exception_fp_ieee_overflow 0
		.amdhsa_exception_fp_ieee_underflow 0
		.amdhsa_exception_fp_ieee_inexact 0
		.amdhsa_exception_int_div_zero 0
	.end_amdhsa_kernel
	.section	.text._ZN7rocprim17ROCPRIM_400000_NS6detail17trampoline_kernelINS0_14default_configENS1_35adjacent_difference_config_selectorILb0ElEEZNS1_24adjacent_difference_implIS3_Lb0ELb0EPlS7_ZN2at6native12_GLOBAL__N_124unique_dim_cuda_templateIsEESt5tupleIJNS8_6TensorESD_SD_EERKSD_lbbbEUlllE1_EE10hipError_tPvRmT2_T3_mT4_P12ihipStream_tbEUlT_E_NS1_11comp_targetILNS1_3genE9ELNS1_11target_archE1100ELNS1_3gpuE3ELNS1_3repE0EEENS1_30default_config_static_selectorELNS0_4arch9wavefront6targetE1EEEvT1_,"axG",@progbits,_ZN7rocprim17ROCPRIM_400000_NS6detail17trampoline_kernelINS0_14default_configENS1_35adjacent_difference_config_selectorILb0ElEEZNS1_24adjacent_difference_implIS3_Lb0ELb0EPlS7_ZN2at6native12_GLOBAL__N_124unique_dim_cuda_templateIsEESt5tupleIJNS8_6TensorESD_SD_EERKSD_lbbbEUlllE1_EE10hipError_tPvRmT2_T3_mT4_P12ihipStream_tbEUlT_E_NS1_11comp_targetILNS1_3genE9ELNS1_11target_archE1100ELNS1_3gpuE3ELNS1_3repE0EEENS1_30default_config_static_selectorELNS0_4arch9wavefront6targetE1EEEvT1_,comdat
.Lfunc_end666:
	.size	_ZN7rocprim17ROCPRIM_400000_NS6detail17trampoline_kernelINS0_14default_configENS1_35adjacent_difference_config_selectorILb0ElEEZNS1_24adjacent_difference_implIS3_Lb0ELb0EPlS7_ZN2at6native12_GLOBAL__N_124unique_dim_cuda_templateIsEESt5tupleIJNS8_6TensorESD_SD_EERKSD_lbbbEUlllE1_EE10hipError_tPvRmT2_T3_mT4_P12ihipStream_tbEUlT_E_NS1_11comp_targetILNS1_3genE9ELNS1_11target_archE1100ELNS1_3gpuE3ELNS1_3repE0EEENS1_30default_config_static_selectorELNS0_4arch9wavefront6targetE1EEEvT1_, .Lfunc_end666-_ZN7rocprim17ROCPRIM_400000_NS6detail17trampoline_kernelINS0_14default_configENS1_35adjacent_difference_config_selectorILb0ElEEZNS1_24adjacent_difference_implIS3_Lb0ELb0EPlS7_ZN2at6native12_GLOBAL__N_124unique_dim_cuda_templateIsEESt5tupleIJNS8_6TensorESD_SD_EERKSD_lbbbEUlllE1_EE10hipError_tPvRmT2_T3_mT4_P12ihipStream_tbEUlT_E_NS1_11comp_targetILNS1_3genE9ELNS1_11target_archE1100ELNS1_3gpuE3ELNS1_3repE0EEENS1_30default_config_static_selectorELNS0_4arch9wavefront6targetE1EEEvT1_
                                        ; -- End function
	.section	.AMDGPU.csdata,"",@progbits
; Kernel info:
; codeLenInByte = 0
; NumSgprs: 4
; NumVgprs: 0
; NumAgprs: 0
; TotalNumVgprs: 0
; ScratchSize: 0
; MemoryBound: 0
; FloatMode: 240
; IeeeMode: 1
; LDSByteSize: 0 bytes/workgroup (compile time only)
; SGPRBlocks: 0
; VGPRBlocks: 0
; NumSGPRsForWavesPerEU: 4
; NumVGPRsForWavesPerEU: 1
; AccumOffset: 4
; Occupancy: 8
; WaveLimiterHint : 0
; COMPUTE_PGM_RSRC2:SCRATCH_EN: 0
; COMPUTE_PGM_RSRC2:USER_SGPR: 6
; COMPUTE_PGM_RSRC2:TRAP_HANDLER: 0
; COMPUTE_PGM_RSRC2:TGID_X_EN: 1
; COMPUTE_PGM_RSRC2:TGID_Y_EN: 0
; COMPUTE_PGM_RSRC2:TGID_Z_EN: 0
; COMPUTE_PGM_RSRC2:TIDIG_COMP_CNT: 0
; COMPUTE_PGM_RSRC3_GFX90A:ACCUM_OFFSET: 0
; COMPUTE_PGM_RSRC3_GFX90A:TG_SPLIT: 0
	.section	.text._ZN7rocprim17ROCPRIM_400000_NS6detail17trampoline_kernelINS0_14default_configENS1_35adjacent_difference_config_selectorILb0ElEEZNS1_24adjacent_difference_implIS3_Lb0ELb0EPlS7_ZN2at6native12_GLOBAL__N_124unique_dim_cuda_templateIsEESt5tupleIJNS8_6TensorESD_SD_EERKSD_lbbbEUlllE1_EE10hipError_tPvRmT2_T3_mT4_P12ihipStream_tbEUlT_E_NS1_11comp_targetILNS1_3genE8ELNS1_11target_archE1030ELNS1_3gpuE2ELNS1_3repE0EEENS1_30default_config_static_selectorELNS0_4arch9wavefront6targetE1EEEvT1_,"axG",@progbits,_ZN7rocprim17ROCPRIM_400000_NS6detail17trampoline_kernelINS0_14default_configENS1_35adjacent_difference_config_selectorILb0ElEEZNS1_24adjacent_difference_implIS3_Lb0ELb0EPlS7_ZN2at6native12_GLOBAL__N_124unique_dim_cuda_templateIsEESt5tupleIJNS8_6TensorESD_SD_EERKSD_lbbbEUlllE1_EE10hipError_tPvRmT2_T3_mT4_P12ihipStream_tbEUlT_E_NS1_11comp_targetILNS1_3genE8ELNS1_11target_archE1030ELNS1_3gpuE2ELNS1_3repE0EEENS1_30default_config_static_selectorELNS0_4arch9wavefront6targetE1EEEvT1_,comdat
	.globl	_ZN7rocprim17ROCPRIM_400000_NS6detail17trampoline_kernelINS0_14default_configENS1_35adjacent_difference_config_selectorILb0ElEEZNS1_24adjacent_difference_implIS3_Lb0ELb0EPlS7_ZN2at6native12_GLOBAL__N_124unique_dim_cuda_templateIsEESt5tupleIJNS8_6TensorESD_SD_EERKSD_lbbbEUlllE1_EE10hipError_tPvRmT2_T3_mT4_P12ihipStream_tbEUlT_E_NS1_11comp_targetILNS1_3genE8ELNS1_11target_archE1030ELNS1_3gpuE2ELNS1_3repE0EEENS1_30default_config_static_selectorELNS0_4arch9wavefront6targetE1EEEvT1_ ; -- Begin function _ZN7rocprim17ROCPRIM_400000_NS6detail17trampoline_kernelINS0_14default_configENS1_35adjacent_difference_config_selectorILb0ElEEZNS1_24adjacent_difference_implIS3_Lb0ELb0EPlS7_ZN2at6native12_GLOBAL__N_124unique_dim_cuda_templateIsEESt5tupleIJNS8_6TensorESD_SD_EERKSD_lbbbEUlllE1_EE10hipError_tPvRmT2_T3_mT4_P12ihipStream_tbEUlT_E_NS1_11comp_targetILNS1_3genE8ELNS1_11target_archE1030ELNS1_3gpuE2ELNS1_3repE0EEENS1_30default_config_static_selectorELNS0_4arch9wavefront6targetE1EEEvT1_
	.p2align	8
	.type	_ZN7rocprim17ROCPRIM_400000_NS6detail17trampoline_kernelINS0_14default_configENS1_35adjacent_difference_config_selectorILb0ElEEZNS1_24adjacent_difference_implIS3_Lb0ELb0EPlS7_ZN2at6native12_GLOBAL__N_124unique_dim_cuda_templateIsEESt5tupleIJNS8_6TensorESD_SD_EERKSD_lbbbEUlllE1_EE10hipError_tPvRmT2_T3_mT4_P12ihipStream_tbEUlT_E_NS1_11comp_targetILNS1_3genE8ELNS1_11target_archE1030ELNS1_3gpuE2ELNS1_3repE0EEENS1_30default_config_static_selectorELNS0_4arch9wavefront6targetE1EEEvT1_,@function
_ZN7rocprim17ROCPRIM_400000_NS6detail17trampoline_kernelINS0_14default_configENS1_35adjacent_difference_config_selectorILb0ElEEZNS1_24adjacent_difference_implIS3_Lb0ELb0EPlS7_ZN2at6native12_GLOBAL__N_124unique_dim_cuda_templateIsEESt5tupleIJNS8_6TensorESD_SD_EERKSD_lbbbEUlllE1_EE10hipError_tPvRmT2_T3_mT4_P12ihipStream_tbEUlT_E_NS1_11comp_targetILNS1_3genE8ELNS1_11target_archE1030ELNS1_3gpuE2ELNS1_3repE0EEENS1_30default_config_static_selectorELNS0_4arch9wavefront6targetE1EEEvT1_: ; @_ZN7rocprim17ROCPRIM_400000_NS6detail17trampoline_kernelINS0_14default_configENS1_35adjacent_difference_config_selectorILb0ElEEZNS1_24adjacent_difference_implIS3_Lb0ELb0EPlS7_ZN2at6native12_GLOBAL__N_124unique_dim_cuda_templateIsEESt5tupleIJNS8_6TensorESD_SD_EERKSD_lbbbEUlllE1_EE10hipError_tPvRmT2_T3_mT4_P12ihipStream_tbEUlT_E_NS1_11comp_targetILNS1_3genE8ELNS1_11target_archE1030ELNS1_3gpuE2ELNS1_3repE0EEENS1_30default_config_static_selectorELNS0_4arch9wavefront6targetE1EEEvT1_
; %bb.0:
	.section	.rodata,"a",@progbits
	.p2align	6, 0x0
	.amdhsa_kernel _ZN7rocprim17ROCPRIM_400000_NS6detail17trampoline_kernelINS0_14default_configENS1_35adjacent_difference_config_selectorILb0ElEEZNS1_24adjacent_difference_implIS3_Lb0ELb0EPlS7_ZN2at6native12_GLOBAL__N_124unique_dim_cuda_templateIsEESt5tupleIJNS8_6TensorESD_SD_EERKSD_lbbbEUlllE1_EE10hipError_tPvRmT2_T3_mT4_P12ihipStream_tbEUlT_E_NS1_11comp_targetILNS1_3genE8ELNS1_11target_archE1030ELNS1_3gpuE2ELNS1_3repE0EEENS1_30default_config_static_selectorELNS0_4arch9wavefront6targetE1EEEvT1_
		.amdhsa_group_segment_fixed_size 0
		.amdhsa_private_segment_fixed_size 0
		.amdhsa_kernarg_size 64
		.amdhsa_user_sgpr_count 6
		.amdhsa_user_sgpr_private_segment_buffer 1
		.amdhsa_user_sgpr_dispatch_ptr 0
		.amdhsa_user_sgpr_queue_ptr 0
		.amdhsa_user_sgpr_kernarg_segment_ptr 1
		.amdhsa_user_sgpr_dispatch_id 0
		.amdhsa_user_sgpr_flat_scratch_init 0
		.amdhsa_user_sgpr_kernarg_preload_length 0
		.amdhsa_user_sgpr_kernarg_preload_offset 0
		.amdhsa_user_sgpr_private_segment_size 0
		.amdhsa_uses_dynamic_stack 0
		.amdhsa_system_sgpr_private_segment_wavefront_offset 0
		.amdhsa_system_sgpr_workgroup_id_x 1
		.amdhsa_system_sgpr_workgroup_id_y 0
		.amdhsa_system_sgpr_workgroup_id_z 0
		.amdhsa_system_sgpr_workgroup_info 0
		.amdhsa_system_vgpr_workitem_id 0
		.amdhsa_next_free_vgpr 1
		.amdhsa_next_free_sgpr 0
		.amdhsa_accum_offset 4
		.amdhsa_reserve_vcc 0
		.amdhsa_reserve_flat_scratch 0
		.amdhsa_float_round_mode_32 0
		.amdhsa_float_round_mode_16_64 0
		.amdhsa_float_denorm_mode_32 3
		.amdhsa_float_denorm_mode_16_64 3
		.amdhsa_dx10_clamp 1
		.amdhsa_ieee_mode 1
		.amdhsa_fp16_overflow 0
		.amdhsa_tg_split 0
		.amdhsa_exception_fp_ieee_invalid_op 0
		.amdhsa_exception_fp_denorm_src 0
		.amdhsa_exception_fp_ieee_div_zero 0
		.amdhsa_exception_fp_ieee_overflow 0
		.amdhsa_exception_fp_ieee_underflow 0
		.amdhsa_exception_fp_ieee_inexact 0
		.amdhsa_exception_int_div_zero 0
	.end_amdhsa_kernel
	.section	.text._ZN7rocprim17ROCPRIM_400000_NS6detail17trampoline_kernelINS0_14default_configENS1_35adjacent_difference_config_selectorILb0ElEEZNS1_24adjacent_difference_implIS3_Lb0ELb0EPlS7_ZN2at6native12_GLOBAL__N_124unique_dim_cuda_templateIsEESt5tupleIJNS8_6TensorESD_SD_EERKSD_lbbbEUlllE1_EE10hipError_tPvRmT2_T3_mT4_P12ihipStream_tbEUlT_E_NS1_11comp_targetILNS1_3genE8ELNS1_11target_archE1030ELNS1_3gpuE2ELNS1_3repE0EEENS1_30default_config_static_selectorELNS0_4arch9wavefront6targetE1EEEvT1_,"axG",@progbits,_ZN7rocprim17ROCPRIM_400000_NS6detail17trampoline_kernelINS0_14default_configENS1_35adjacent_difference_config_selectorILb0ElEEZNS1_24adjacent_difference_implIS3_Lb0ELb0EPlS7_ZN2at6native12_GLOBAL__N_124unique_dim_cuda_templateIsEESt5tupleIJNS8_6TensorESD_SD_EERKSD_lbbbEUlllE1_EE10hipError_tPvRmT2_T3_mT4_P12ihipStream_tbEUlT_E_NS1_11comp_targetILNS1_3genE8ELNS1_11target_archE1030ELNS1_3gpuE2ELNS1_3repE0EEENS1_30default_config_static_selectorELNS0_4arch9wavefront6targetE1EEEvT1_,comdat
.Lfunc_end667:
	.size	_ZN7rocprim17ROCPRIM_400000_NS6detail17trampoline_kernelINS0_14default_configENS1_35adjacent_difference_config_selectorILb0ElEEZNS1_24adjacent_difference_implIS3_Lb0ELb0EPlS7_ZN2at6native12_GLOBAL__N_124unique_dim_cuda_templateIsEESt5tupleIJNS8_6TensorESD_SD_EERKSD_lbbbEUlllE1_EE10hipError_tPvRmT2_T3_mT4_P12ihipStream_tbEUlT_E_NS1_11comp_targetILNS1_3genE8ELNS1_11target_archE1030ELNS1_3gpuE2ELNS1_3repE0EEENS1_30default_config_static_selectorELNS0_4arch9wavefront6targetE1EEEvT1_, .Lfunc_end667-_ZN7rocprim17ROCPRIM_400000_NS6detail17trampoline_kernelINS0_14default_configENS1_35adjacent_difference_config_selectorILb0ElEEZNS1_24adjacent_difference_implIS3_Lb0ELb0EPlS7_ZN2at6native12_GLOBAL__N_124unique_dim_cuda_templateIsEESt5tupleIJNS8_6TensorESD_SD_EERKSD_lbbbEUlllE1_EE10hipError_tPvRmT2_T3_mT4_P12ihipStream_tbEUlT_E_NS1_11comp_targetILNS1_3genE8ELNS1_11target_archE1030ELNS1_3gpuE2ELNS1_3repE0EEENS1_30default_config_static_selectorELNS0_4arch9wavefront6targetE1EEEvT1_
                                        ; -- End function
	.section	.AMDGPU.csdata,"",@progbits
; Kernel info:
; codeLenInByte = 0
; NumSgprs: 4
; NumVgprs: 0
; NumAgprs: 0
; TotalNumVgprs: 0
; ScratchSize: 0
; MemoryBound: 0
; FloatMode: 240
; IeeeMode: 1
; LDSByteSize: 0 bytes/workgroup (compile time only)
; SGPRBlocks: 0
; VGPRBlocks: 0
; NumSGPRsForWavesPerEU: 4
; NumVGPRsForWavesPerEU: 1
; AccumOffset: 4
; Occupancy: 8
; WaveLimiterHint : 0
; COMPUTE_PGM_RSRC2:SCRATCH_EN: 0
; COMPUTE_PGM_RSRC2:USER_SGPR: 6
; COMPUTE_PGM_RSRC2:TRAP_HANDLER: 0
; COMPUTE_PGM_RSRC2:TGID_X_EN: 1
; COMPUTE_PGM_RSRC2:TGID_Y_EN: 0
; COMPUTE_PGM_RSRC2:TGID_Z_EN: 0
; COMPUTE_PGM_RSRC2:TIDIG_COMP_CNT: 0
; COMPUTE_PGM_RSRC3_GFX90A:ACCUM_OFFSET: 0
; COMPUTE_PGM_RSRC3_GFX90A:TG_SPLIT: 0
	.section	.text._ZN7rocprim17ROCPRIM_400000_NS6detail17trampoline_kernelINS0_14default_configENS1_25transform_config_selectorIlLb0EEEZNS1_14transform_implILb0ES3_S5_NS0_18transform_iteratorINS0_17counting_iteratorImlEEZNS1_24adjacent_difference_implIS3_Lb1ELb0EPlSB_ZN2at6native12_GLOBAL__N_124unique_dim_cuda_templateIsEESt5tupleIJNSC_6TensorESH_SH_EERKSH_lbbbEUlllE1_EE10hipError_tPvRmT2_T3_mT4_P12ihipStream_tbEUlmE_lEESB_NS0_8identityIvEEEESM_SP_SQ_mSR_ST_bEUlT_E_NS1_11comp_targetILNS1_3genE0ELNS1_11target_archE4294967295ELNS1_3gpuE0ELNS1_3repE0EEENS1_30default_config_static_selectorELNS0_4arch9wavefront6targetE1EEEvT1_,"axG",@progbits,_ZN7rocprim17ROCPRIM_400000_NS6detail17trampoline_kernelINS0_14default_configENS1_25transform_config_selectorIlLb0EEEZNS1_14transform_implILb0ES3_S5_NS0_18transform_iteratorINS0_17counting_iteratorImlEEZNS1_24adjacent_difference_implIS3_Lb1ELb0EPlSB_ZN2at6native12_GLOBAL__N_124unique_dim_cuda_templateIsEESt5tupleIJNSC_6TensorESH_SH_EERKSH_lbbbEUlllE1_EE10hipError_tPvRmT2_T3_mT4_P12ihipStream_tbEUlmE_lEESB_NS0_8identityIvEEEESM_SP_SQ_mSR_ST_bEUlT_E_NS1_11comp_targetILNS1_3genE0ELNS1_11target_archE4294967295ELNS1_3gpuE0ELNS1_3repE0EEENS1_30default_config_static_selectorELNS0_4arch9wavefront6targetE1EEEvT1_,comdat
	.globl	_ZN7rocprim17ROCPRIM_400000_NS6detail17trampoline_kernelINS0_14default_configENS1_25transform_config_selectorIlLb0EEEZNS1_14transform_implILb0ES3_S5_NS0_18transform_iteratorINS0_17counting_iteratorImlEEZNS1_24adjacent_difference_implIS3_Lb1ELb0EPlSB_ZN2at6native12_GLOBAL__N_124unique_dim_cuda_templateIsEESt5tupleIJNSC_6TensorESH_SH_EERKSH_lbbbEUlllE1_EE10hipError_tPvRmT2_T3_mT4_P12ihipStream_tbEUlmE_lEESB_NS0_8identityIvEEEESM_SP_SQ_mSR_ST_bEUlT_E_NS1_11comp_targetILNS1_3genE0ELNS1_11target_archE4294967295ELNS1_3gpuE0ELNS1_3repE0EEENS1_30default_config_static_selectorELNS0_4arch9wavefront6targetE1EEEvT1_ ; -- Begin function _ZN7rocprim17ROCPRIM_400000_NS6detail17trampoline_kernelINS0_14default_configENS1_25transform_config_selectorIlLb0EEEZNS1_14transform_implILb0ES3_S5_NS0_18transform_iteratorINS0_17counting_iteratorImlEEZNS1_24adjacent_difference_implIS3_Lb1ELb0EPlSB_ZN2at6native12_GLOBAL__N_124unique_dim_cuda_templateIsEESt5tupleIJNSC_6TensorESH_SH_EERKSH_lbbbEUlllE1_EE10hipError_tPvRmT2_T3_mT4_P12ihipStream_tbEUlmE_lEESB_NS0_8identityIvEEEESM_SP_SQ_mSR_ST_bEUlT_E_NS1_11comp_targetILNS1_3genE0ELNS1_11target_archE4294967295ELNS1_3gpuE0ELNS1_3repE0EEENS1_30default_config_static_selectorELNS0_4arch9wavefront6targetE1EEEvT1_
	.p2align	8
	.type	_ZN7rocprim17ROCPRIM_400000_NS6detail17trampoline_kernelINS0_14default_configENS1_25transform_config_selectorIlLb0EEEZNS1_14transform_implILb0ES3_S5_NS0_18transform_iteratorINS0_17counting_iteratorImlEEZNS1_24adjacent_difference_implIS3_Lb1ELb0EPlSB_ZN2at6native12_GLOBAL__N_124unique_dim_cuda_templateIsEESt5tupleIJNSC_6TensorESH_SH_EERKSH_lbbbEUlllE1_EE10hipError_tPvRmT2_T3_mT4_P12ihipStream_tbEUlmE_lEESB_NS0_8identityIvEEEESM_SP_SQ_mSR_ST_bEUlT_E_NS1_11comp_targetILNS1_3genE0ELNS1_11target_archE4294967295ELNS1_3gpuE0ELNS1_3repE0EEENS1_30default_config_static_selectorELNS0_4arch9wavefront6targetE1EEEvT1_,@function
_ZN7rocprim17ROCPRIM_400000_NS6detail17trampoline_kernelINS0_14default_configENS1_25transform_config_selectorIlLb0EEEZNS1_14transform_implILb0ES3_S5_NS0_18transform_iteratorINS0_17counting_iteratorImlEEZNS1_24adjacent_difference_implIS3_Lb1ELb0EPlSB_ZN2at6native12_GLOBAL__N_124unique_dim_cuda_templateIsEESt5tupleIJNSC_6TensorESH_SH_EERKSH_lbbbEUlllE1_EE10hipError_tPvRmT2_T3_mT4_P12ihipStream_tbEUlmE_lEESB_NS0_8identityIvEEEESM_SP_SQ_mSR_ST_bEUlT_E_NS1_11comp_targetILNS1_3genE0ELNS1_11target_archE4294967295ELNS1_3gpuE0ELNS1_3repE0EEENS1_30default_config_static_selectorELNS0_4arch9wavefront6targetE1EEEvT1_: ; @_ZN7rocprim17ROCPRIM_400000_NS6detail17trampoline_kernelINS0_14default_configENS1_25transform_config_selectorIlLb0EEEZNS1_14transform_implILb0ES3_S5_NS0_18transform_iteratorINS0_17counting_iteratorImlEEZNS1_24adjacent_difference_implIS3_Lb1ELb0EPlSB_ZN2at6native12_GLOBAL__N_124unique_dim_cuda_templateIsEESt5tupleIJNSC_6TensorESH_SH_EERKSH_lbbbEUlllE1_EE10hipError_tPvRmT2_T3_mT4_P12ihipStream_tbEUlmE_lEESB_NS0_8identityIvEEEESM_SP_SQ_mSR_ST_bEUlT_E_NS1_11comp_targetILNS1_3genE0ELNS1_11target_archE4294967295ELNS1_3gpuE0ELNS1_3repE0EEENS1_30default_config_static_selectorELNS0_4arch9wavefront6targetE1EEEvT1_
; %bb.0:
	.section	.rodata,"a",@progbits
	.p2align	6, 0x0
	.amdhsa_kernel _ZN7rocprim17ROCPRIM_400000_NS6detail17trampoline_kernelINS0_14default_configENS1_25transform_config_selectorIlLb0EEEZNS1_14transform_implILb0ES3_S5_NS0_18transform_iteratorINS0_17counting_iteratorImlEEZNS1_24adjacent_difference_implIS3_Lb1ELb0EPlSB_ZN2at6native12_GLOBAL__N_124unique_dim_cuda_templateIsEESt5tupleIJNSC_6TensorESH_SH_EERKSH_lbbbEUlllE1_EE10hipError_tPvRmT2_T3_mT4_P12ihipStream_tbEUlmE_lEESB_NS0_8identityIvEEEESM_SP_SQ_mSR_ST_bEUlT_E_NS1_11comp_targetILNS1_3genE0ELNS1_11target_archE4294967295ELNS1_3gpuE0ELNS1_3repE0EEENS1_30default_config_static_selectorELNS0_4arch9wavefront6targetE1EEEvT1_
		.amdhsa_group_segment_fixed_size 0
		.amdhsa_private_segment_fixed_size 0
		.amdhsa_kernarg_size 56
		.amdhsa_user_sgpr_count 6
		.amdhsa_user_sgpr_private_segment_buffer 1
		.amdhsa_user_sgpr_dispatch_ptr 0
		.amdhsa_user_sgpr_queue_ptr 0
		.amdhsa_user_sgpr_kernarg_segment_ptr 1
		.amdhsa_user_sgpr_dispatch_id 0
		.amdhsa_user_sgpr_flat_scratch_init 0
		.amdhsa_user_sgpr_kernarg_preload_length 0
		.amdhsa_user_sgpr_kernarg_preload_offset 0
		.amdhsa_user_sgpr_private_segment_size 0
		.amdhsa_uses_dynamic_stack 0
		.amdhsa_system_sgpr_private_segment_wavefront_offset 0
		.amdhsa_system_sgpr_workgroup_id_x 1
		.amdhsa_system_sgpr_workgroup_id_y 0
		.amdhsa_system_sgpr_workgroup_id_z 0
		.amdhsa_system_sgpr_workgroup_info 0
		.amdhsa_system_vgpr_workitem_id 0
		.amdhsa_next_free_vgpr 1
		.amdhsa_next_free_sgpr 0
		.amdhsa_accum_offset 4
		.amdhsa_reserve_vcc 0
		.amdhsa_reserve_flat_scratch 0
		.amdhsa_float_round_mode_32 0
		.amdhsa_float_round_mode_16_64 0
		.amdhsa_float_denorm_mode_32 3
		.amdhsa_float_denorm_mode_16_64 3
		.amdhsa_dx10_clamp 1
		.amdhsa_ieee_mode 1
		.amdhsa_fp16_overflow 0
		.amdhsa_tg_split 0
		.amdhsa_exception_fp_ieee_invalid_op 0
		.amdhsa_exception_fp_denorm_src 0
		.amdhsa_exception_fp_ieee_div_zero 0
		.amdhsa_exception_fp_ieee_overflow 0
		.amdhsa_exception_fp_ieee_underflow 0
		.amdhsa_exception_fp_ieee_inexact 0
		.amdhsa_exception_int_div_zero 0
	.end_amdhsa_kernel
	.section	.text._ZN7rocprim17ROCPRIM_400000_NS6detail17trampoline_kernelINS0_14default_configENS1_25transform_config_selectorIlLb0EEEZNS1_14transform_implILb0ES3_S5_NS0_18transform_iteratorINS0_17counting_iteratorImlEEZNS1_24adjacent_difference_implIS3_Lb1ELb0EPlSB_ZN2at6native12_GLOBAL__N_124unique_dim_cuda_templateIsEESt5tupleIJNSC_6TensorESH_SH_EERKSH_lbbbEUlllE1_EE10hipError_tPvRmT2_T3_mT4_P12ihipStream_tbEUlmE_lEESB_NS0_8identityIvEEEESM_SP_SQ_mSR_ST_bEUlT_E_NS1_11comp_targetILNS1_3genE0ELNS1_11target_archE4294967295ELNS1_3gpuE0ELNS1_3repE0EEENS1_30default_config_static_selectorELNS0_4arch9wavefront6targetE1EEEvT1_,"axG",@progbits,_ZN7rocprim17ROCPRIM_400000_NS6detail17trampoline_kernelINS0_14default_configENS1_25transform_config_selectorIlLb0EEEZNS1_14transform_implILb0ES3_S5_NS0_18transform_iteratorINS0_17counting_iteratorImlEEZNS1_24adjacent_difference_implIS3_Lb1ELb0EPlSB_ZN2at6native12_GLOBAL__N_124unique_dim_cuda_templateIsEESt5tupleIJNSC_6TensorESH_SH_EERKSH_lbbbEUlllE1_EE10hipError_tPvRmT2_T3_mT4_P12ihipStream_tbEUlmE_lEESB_NS0_8identityIvEEEESM_SP_SQ_mSR_ST_bEUlT_E_NS1_11comp_targetILNS1_3genE0ELNS1_11target_archE4294967295ELNS1_3gpuE0ELNS1_3repE0EEENS1_30default_config_static_selectorELNS0_4arch9wavefront6targetE1EEEvT1_,comdat
.Lfunc_end668:
	.size	_ZN7rocprim17ROCPRIM_400000_NS6detail17trampoline_kernelINS0_14default_configENS1_25transform_config_selectorIlLb0EEEZNS1_14transform_implILb0ES3_S5_NS0_18transform_iteratorINS0_17counting_iteratorImlEEZNS1_24adjacent_difference_implIS3_Lb1ELb0EPlSB_ZN2at6native12_GLOBAL__N_124unique_dim_cuda_templateIsEESt5tupleIJNSC_6TensorESH_SH_EERKSH_lbbbEUlllE1_EE10hipError_tPvRmT2_T3_mT4_P12ihipStream_tbEUlmE_lEESB_NS0_8identityIvEEEESM_SP_SQ_mSR_ST_bEUlT_E_NS1_11comp_targetILNS1_3genE0ELNS1_11target_archE4294967295ELNS1_3gpuE0ELNS1_3repE0EEENS1_30default_config_static_selectorELNS0_4arch9wavefront6targetE1EEEvT1_, .Lfunc_end668-_ZN7rocprim17ROCPRIM_400000_NS6detail17trampoline_kernelINS0_14default_configENS1_25transform_config_selectorIlLb0EEEZNS1_14transform_implILb0ES3_S5_NS0_18transform_iteratorINS0_17counting_iteratorImlEEZNS1_24adjacent_difference_implIS3_Lb1ELb0EPlSB_ZN2at6native12_GLOBAL__N_124unique_dim_cuda_templateIsEESt5tupleIJNSC_6TensorESH_SH_EERKSH_lbbbEUlllE1_EE10hipError_tPvRmT2_T3_mT4_P12ihipStream_tbEUlmE_lEESB_NS0_8identityIvEEEESM_SP_SQ_mSR_ST_bEUlT_E_NS1_11comp_targetILNS1_3genE0ELNS1_11target_archE4294967295ELNS1_3gpuE0ELNS1_3repE0EEENS1_30default_config_static_selectorELNS0_4arch9wavefront6targetE1EEEvT1_
                                        ; -- End function
	.section	.AMDGPU.csdata,"",@progbits
; Kernel info:
; codeLenInByte = 0
; NumSgprs: 4
; NumVgprs: 0
; NumAgprs: 0
; TotalNumVgprs: 0
; ScratchSize: 0
; MemoryBound: 0
; FloatMode: 240
; IeeeMode: 1
; LDSByteSize: 0 bytes/workgroup (compile time only)
; SGPRBlocks: 0
; VGPRBlocks: 0
; NumSGPRsForWavesPerEU: 4
; NumVGPRsForWavesPerEU: 1
; AccumOffset: 4
; Occupancy: 8
; WaveLimiterHint : 0
; COMPUTE_PGM_RSRC2:SCRATCH_EN: 0
; COMPUTE_PGM_RSRC2:USER_SGPR: 6
; COMPUTE_PGM_RSRC2:TRAP_HANDLER: 0
; COMPUTE_PGM_RSRC2:TGID_X_EN: 1
; COMPUTE_PGM_RSRC2:TGID_Y_EN: 0
; COMPUTE_PGM_RSRC2:TGID_Z_EN: 0
; COMPUTE_PGM_RSRC2:TIDIG_COMP_CNT: 0
; COMPUTE_PGM_RSRC3_GFX90A:ACCUM_OFFSET: 0
; COMPUTE_PGM_RSRC3_GFX90A:TG_SPLIT: 0
	.section	.text._ZN7rocprim17ROCPRIM_400000_NS6detail17trampoline_kernelINS0_14default_configENS1_25transform_config_selectorIlLb0EEEZNS1_14transform_implILb0ES3_S5_NS0_18transform_iteratorINS0_17counting_iteratorImlEEZNS1_24adjacent_difference_implIS3_Lb1ELb0EPlSB_ZN2at6native12_GLOBAL__N_124unique_dim_cuda_templateIsEESt5tupleIJNSC_6TensorESH_SH_EERKSH_lbbbEUlllE1_EE10hipError_tPvRmT2_T3_mT4_P12ihipStream_tbEUlmE_lEESB_NS0_8identityIvEEEESM_SP_SQ_mSR_ST_bEUlT_E_NS1_11comp_targetILNS1_3genE5ELNS1_11target_archE942ELNS1_3gpuE9ELNS1_3repE0EEENS1_30default_config_static_selectorELNS0_4arch9wavefront6targetE1EEEvT1_,"axG",@progbits,_ZN7rocprim17ROCPRIM_400000_NS6detail17trampoline_kernelINS0_14default_configENS1_25transform_config_selectorIlLb0EEEZNS1_14transform_implILb0ES3_S5_NS0_18transform_iteratorINS0_17counting_iteratorImlEEZNS1_24adjacent_difference_implIS3_Lb1ELb0EPlSB_ZN2at6native12_GLOBAL__N_124unique_dim_cuda_templateIsEESt5tupleIJNSC_6TensorESH_SH_EERKSH_lbbbEUlllE1_EE10hipError_tPvRmT2_T3_mT4_P12ihipStream_tbEUlmE_lEESB_NS0_8identityIvEEEESM_SP_SQ_mSR_ST_bEUlT_E_NS1_11comp_targetILNS1_3genE5ELNS1_11target_archE942ELNS1_3gpuE9ELNS1_3repE0EEENS1_30default_config_static_selectorELNS0_4arch9wavefront6targetE1EEEvT1_,comdat
	.globl	_ZN7rocprim17ROCPRIM_400000_NS6detail17trampoline_kernelINS0_14default_configENS1_25transform_config_selectorIlLb0EEEZNS1_14transform_implILb0ES3_S5_NS0_18transform_iteratorINS0_17counting_iteratorImlEEZNS1_24adjacent_difference_implIS3_Lb1ELb0EPlSB_ZN2at6native12_GLOBAL__N_124unique_dim_cuda_templateIsEESt5tupleIJNSC_6TensorESH_SH_EERKSH_lbbbEUlllE1_EE10hipError_tPvRmT2_T3_mT4_P12ihipStream_tbEUlmE_lEESB_NS0_8identityIvEEEESM_SP_SQ_mSR_ST_bEUlT_E_NS1_11comp_targetILNS1_3genE5ELNS1_11target_archE942ELNS1_3gpuE9ELNS1_3repE0EEENS1_30default_config_static_selectorELNS0_4arch9wavefront6targetE1EEEvT1_ ; -- Begin function _ZN7rocprim17ROCPRIM_400000_NS6detail17trampoline_kernelINS0_14default_configENS1_25transform_config_selectorIlLb0EEEZNS1_14transform_implILb0ES3_S5_NS0_18transform_iteratorINS0_17counting_iteratorImlEEZNS1_24adjacent_difference_implIS3_Lb1ELb0EPlSB_ZN2at6native12_GLOBAL__N_124unique_dim_cuda_templateIsEESt5tupleIJNSC_6TensorESH_SH_EERKSH_lbbbEUlllE1_EE10hipError_tPvRmT2_T3_mT4_P12ihipStream_tbEUlmE_lEESB_NS0_8identityIvEEEESM_SP_SQ_mSR_ST_bEUlT_E_NS1_11comp_targetILNS1_3genE5ELNS1_11target_archE942ELNS1_3gpuE9ELNS1_3repE0EEENS1_30default_config_static_selectorELNS0_4arch9wavefront6targetE1EEEvT1_
	.p2align	8
	.type	_ZN7rocprim17ROCPRIM_400000_NS6detail17trampoline_kernelINS0_14default_configENS1_25transform_config_selectorIlLb0EEEZNS1_14transform_implILb0ES3_S5_NS0_18transform_iteratorINS0_17counting_iteratorImlEEZNS1_24adjacent_difference_implIS3_Lb1ELb0EPlSB_ZN2at6native12_GLOBAL__N_124unique_dim_cuda_templateIsEESt5tupleIJNSC_6TensorESH_SH_EERKSH_lbbbEUlllE1_EE10hipError_tPvRmT2_T3_mT4_P12ihipStream_tbEUlmE_lEESB_NS0_8identityIvEEEESM_SP_SQ_mSR_ST_bEUlT_E_NS1_11comp_targetILNS1_3genE5ELNS1_11target_archE942ELNS1_3gpuE9ELNS1_3repE0EEENS1_30default_config_static_selectorELNS0_4arch9wavefront6targetE1EEEvT1_,@function
_ZN7rocprim17ROCPRIM_400000_NS6detail17trampoline_kernelINS0_14default_configENS1_25transform_config_selectorIlLb0EEEZNS1_14transform_implILb0ES3_S5_NS0_18transform_iteratorINS0_17counting_iteratorImlEEZNS1_24adjacent_difference_implIS3_Lb1ELb0EPlSB_ZN2at6native12_GLOBAL__N_124unique_dim_cuda_templateIsEESt5tupleIJNSC_6TensorESH_SH_EERKSH_lbbbEUlllE1_EE10hipError_tPvRmT2_T3_mT4_P12ihipStream_tbEUlmE_lEESB_NS0_8identityIvEEEESM_SP_SQ_mSR_ST_bEUlT_E_NS1_11comp_targetILNS1_3genE5ELNS1_11target_archE942ELNS1_3gpuE9ELNS1_3repE0EEENS1_30default_config_static_selectorELNS0_4arch9wavefront6targetE1EEEvT1_: ; @_ZN7rocprim17ROCPRIM_400000_NS6detail17trampoline_kernelINS0_14default_configENS1_25transform_config_selectorIlLb0EEEZNS1_14transform_implILb0ES3_S5_NS0_18transform_iteratorINS0_17counting_iteratorImlEEZNS1_24adjacent_difference_implIS3_Lb1ELb0EPlSB_ZN2at6native12_GLOBAL__N_124unique_dim_cuda_templateIsEESt5tupleIJNSC_6TensorESH_SH_EERKSH_lbbbEUlllE1_EE10hipError_tPvRmT2_T3_mT4_P12ihipStream_tbEUlmE_lEESB_NS0_8identityIvEEEESM_SP_SQ_mSR_ST_bEUlT_E_NS1_11comp_targetILNS1_3genE5ELNS1_11target_archE942ELNS1_3gpuE9ELNS1_3repE0EEENS1_30default_config_static_selectorELNS0_4arch9wavefront6targetE1EEEvT1_
; %bb.0:
	.section	.rodata,"a",@progbits
	.p2align	6, 0x0
	.amdhsa_kernel _ZN7rocprim17ROCPRIM_400000_NS6detail17trampoline_kernelINS0_14default_configENS1_25transform_config_selectorIlLb0EEEZNS1_14transform_implILb0ES3_S5_NS0_18transform_iteratorINS0_17counting_iteratorImlEEZNS1_24adjacent_difference_implIS3_Lb1ELb0EPlSB_ZN2at6native12_GLOBAL__N_124unique_dim_cuda_templateIsEESt5tupleIJNSC_6TensorESH_SH_EERKSH_lbbbEUlllE1_EE10hipError_tPvRmT2_T3_mT4_P12ihipStream_tbEUlmE_lEESB_NS0_8identityIvEEEESM_SP_SQ_mSR_ST_bEUlT_E_NS1_11comp_targetILNS1_3genE5ELNS1_11target_archE942ELNS1_3gpuE9ELNS1_3repE0EEENS1_30default_config_static_selectorELNS0_4arch9wavefront6targetE1EEEvT1_
		.amdhsa_group_segment_fixed_size 0
		.amdhsa_private_segment_fixed_size 0
		.amdhsa_kernarg_size 56
		.amdhsa_user_sgpr_count 6
		.amdhsa_user_sgpr_private_segment_buffer 1
		.amdhsa_user_sgpr_dispatch_ptr 0
		.amdhsa_user_sgpr_queue_ptr 0
		.amdhsa_user_sgpr_kernarg_segment_ptr 1
		.amdhsa_user_sgpr_dispatch_id 0
		.amdhsa_user_sgpr_flat_scratch_init 0
		.amdhsa_user_sgpr_kernarg_preload_length 0
		.amdhsa_user_sgpr_kernarg_preload_offset 0
		.amdhsa_user_sgpr_private_segment_size 0
		.amdhsa_uses_dynamic_stack 0
		.amdhsa_system_sgpr_private_segment_wavefront_offset 0
		.amdhsa_system_sgpr_workgroup_id_x 1
		.amdhsa_system_sgpr_workgroup_id_y 0
		.amdhsa_system_sgpr_workgroup_id_z 0
		.amdhsa_system_sgpr_workgroup_info 0
		.amdhsa_system_vgpr_workitem_id 0
		.amdhsa_next_free_vgpr 1
		.amdhsa_next_free_sgpr 0
		.amdhsa_accum_offset 4
		.amdhsa_reserve_vcc 0
		.amdhsa_reserve_flat_scratch 0
		.amdhsa_float_round_mode_32 0
		.amdhsa_float_round_mode_16_64 0
		.amdhsa_float_denorm_mode_32 3
		.amdhsa_float_denorm_mode_16_64 3
		.amdhsa_dx10_clamp 1
		.amdhsa_ieee_mode 1
		.amdhsa_fp16_overflow 0
		.amdhsa_tg_split 0
		.amdhsa_exception_fp_ieee_invalid_op 0
		.amdhsa_exception_fp_denorm_src 0
		.amdhsa_exception_fp_ieee_div_zero 0
		.amdhsa_exception_fp_ieee_overflow 0
		.amdhsa_exception_fp_ieee_underflow 0
		.amdhsa_exception_fp_ieee_inexact 0
		.amdhsa_exception_int_div_zero 0
	.end_amdhsa_kernel
	.section	.text._ZN7rocprim17ROCPRIM_400000_NS6detail17trampoline_kernelINS0_14default_configENS1_25transform_config_selectorIlLb0EEEZNS1_14transform_implILb0ES3_S5_NS0_18transform_iteratorINS0_17counting_iteratorImlEEZNS1_24adjacent_difference_implIS3_Lb1ELb0EPlSB_ZN2at6native12_GLOBAL__N_124unique_dim_cuda_templateIsEESt5tupleIJNSC_6TensorESH_SH_EERKSH_lbbbEUlllE1_EE10hipError_tPvRmT2_T3_mT4_P12ihipStream_tbEUlmE_lEESB_NS0_8identityIvEEEESM_SP_SQ_mSR_ST_bEUlT_E_NS1_11comp_targetILNS1_3genE5ELNS1_11target_archE942ELNS1_3gpuE9ELNS1_3repE0EEENS1_30default_config_static_selectorELNS0_4arch9wavefront6targetE1EEEvT1_,"axG",@progbits,_ZN7rocprim17ROCPRIM_400000_NS6detail17trampoline_kernelINS0_14default_configENS1_25transform_config_selectorIlLb0EEEZNS1_14transform_implILb0ES3_S5_NS0_18transform_iteratorINS0_17counting_iteratorImlEEZNS1_24adjacent_difference_implIS3_Lb1ELb0EPlSB_ZN2at6native12_GLOBAL__N_124unique_dim_cuda_templateIsEESt5tupleIJNSC_6TensorESH_SH_EERKSH_lbbbEUlllE1_EE10hipError_tPvRmT2_T3_mT4_P12ihipStream_tbEUlmE_lEESB_NS0_8identityIvEEEESM_SP_SQ_mSR_ST_bEUlT_E_NS1_11comp_targetILNS1_3genE5ELNS1_11target_archE942ELNS1_3gpuE9ELNS1_3repE0EEENS1_30default_config_static_selectorELNS0_4arch9wavefront6targetE1EEEvT1_,comdat
.Lfunc_end669:
	.size	_ZN7rocprim17ROCPRIM_400000_NS6detail17trampoline_kernelINS0_14default_configENS1_25transform_config_selectorIlLb0EEEZNS1_14transform_implILb0ES3_S5_NS0_18transform_iteratorINS0_17counting_iteratorImlEEZNS1_24adjacent_difference_implIS3_Lb1ELb0EPlSB_ZN2at6native12_GLOBAL__N_124unique_dim_cuda_templateIsEESt5tupleIJNSC_6TensorESH_SH_EERKSH_lbbbEUlllE1_EE10hipError_tPvRmT2_T3_mT4_P12ihipStream_tbEUlmE_lEESB_NS0_8identityIvEEEESM_SP_SQ_mSR_ST_bEUlT_E_NS1_11comp_targetILNS1_3genE5ELNS1_11target_archE942ELNS1_3gpuE9ELNS1_3repE0EEENS1_30default_config_static_selectorELNS0_4arch9wavefront6targetE1EEEvT1_, .Lfunc_end669-_ZN7rocprim17ROCPRIM_400000_NS6detail17trampoline_kernelINS0_14default_configENS1_25transform_config_selectorIlLb0EEEZNS1_14transform_implILb0ES3_S5_NS0_18transform_iteratorINS0_17counting_iteratorImlEEZNS1_24adjacent_difference_implIS3_Lb1ELb0EPlSB_ZN2at6native12_GLOBAL__N_124unique_dim_cuda_templateIsEESt5tupleIJNSC_6TensorESH_SH_EERKSH_lbbbEUlllE1_EE10hipError_tPvRmT2_T3_mT4_P12ihipStream_tbEUlmE_lEESB_NS0_8identityIvEEEESM_SP_SQ_mSR_ST_bEUlT_E_NS1_11comp_targetILNS1_3genE5ELNS1_11target_archE942ELNS1_3gpuE9ELNS1_3repE0EEENS1_30default_config_static_selectorELNS0_4arch9wavefront6targetE1EEEvT1_
                                        ; -- End function
	.section	.AMDGPU.csdata,"",@progbits
; Kernel info:
; codeLenInByte = 0
; NumSgprs: 4
; NumVgprs: 0
; NumAgprs: 0
; TotalNumVgprs: 0
; ScratchSize: 0
; MemoryBound: 0
; FloatMode: 240
; IeeeMode: 1
; LDSByteSize: 0 bytes/workgroup (compile time only)
; SGPRBlocks: 0
; VGPRBlocks: 0
; NumSGPRsForWavesPerEU: 4
; NumVGPRsForWavesPerEU: 1
; AccumOffset: 4
; Occupancy: 8
; WaveLimiterHint : 0
; COMPUTE_PGM_RSRC2:SCRATCH_EN: 0
; COMPUTE_PGM_RSRC2:USER_SGPR: 6
; COMPUTE_PGM_RSRC2:TRAP_HANDLER: 0
; COMPUTE_PGM_RSRC2:TGID_X_EN: 1
; COMPUTE_PGM_RSRC2:TGID_Y_EN: 0
; COMPUTE_PGM_RSRC2:TGID_Z_EN: 0
; COMPUTE_PGM_RSRC2:TIDIG_COMP_CNT: 0
; COMPUTE_PGM_RSRC3_GFX90A:ACCUM_OFFSET: 0
; COMPUTE_PGM_RSRC3_GFX90A:TG_SPLIT: 0
	.section	.text._ZN7rocprim17ROCPRIM_400000_NS6detail17trampoline_kernelINS0_14default_configENS1_25transform_config_selectorIlLb0EEEZNS1_14transform_implILb0ES3_S5_NS0_18transform_iteratorINS0_17counting_iteratorImlEEZNS1_24adjacent_difference_implIS3_Lb1ELb0EPlSB_ZN2at6native12_GLOBAL__N_124unique_dim_cuda_templateIsEESt5tupleIJNSC_6TensorESH_SH_EERKSH_lbbbEUlllE1_EE10hipError_tPvRmT2_T3_mT4_P12ihipStream_tbEUlmE_lEESB_NS0_8identityIvEEEESM_SP_SQ_mSR_ST_bEUlT_E_NS1_11comp_targetILNS1_3genE4ELNS1_11target_archE910ELNS1_3gpuE8ELNS1_3repE0EEENS1_30default_config_static_selectorELNS0_4arch9wavefront6targetE1EEEvT1_,"axG",@progbits,_ZN7rocprim17ROCPRIM_400000_NS6detail17trampoline_kernelINS0_14default_configENS1_25transform_config_selectorIlLb0EEEZNS1_14transform_implILb0ES3_S5_NS0_18transform_iteratorINS0_17counting_iteratorImlEEZNS1_24adjacent_difference_implIS3_Lb1ELb0EPlSB_ZN2at6native12_GLOBAL__N_124unique_dim_cuda_templateIsEESt5tupleIJNSC_6TensorESH_SH_EERKSH_lbbbEUlllE1_EE10hipError_tPvRmT2_T3_mT4_P12ihipStream_tbEUlmE_lEESB_NS0_8identityIvEEEESM_SP_SQ_mSR_ST_bEUlT_E_NS1_11comp_targetILNS1_3genE4ELNS1_11target_archE910ELNS1_3gpuE8ELNS1_3repE0EEENS1_30default_config_static_selectorELNS0_4arch9wavefront6targetE1EEEvT1_,comdat
	.globl	_ZN7rocprim17ROCPRIM_400000_NS6detail17trampoline_kernelINS0_14default_configENS1_25transform_config_selectorIlLb0EEEZNS1_14transform_implILb0ES3_S5_NS0_18transform_iteratorINS0_17counting_iteratorImlEEZNS1_24adjacent_difference_implIS3_Lb1ELb0EPlSB_ZN2at6native12_GLOBAL__N_124unique_dim_cuda_templateIsEESt5tupleIJNSC_6TensorESH_SH_EERKSH_lbbbEUlllE1_EE10hipError_tPvRmT2_T3_mT4_P12ihipStream_tbEUlmE_lEESB_NS0_8identityIvEEEESM_SP_SQ_mSR_ST_bEUlT_E_NS1_11comp_targetILNS1_3genE4ELNS1_11target_archE910ELNS1_3gpuE8ELNS1_3repE0EEENS1_30default_config_static_selectorELNS0_4arch9wavefront6targetE1EEEvT1_ ; -- Begin function _ZN7rocprim17ROCPRIM_400000_NS6detail17trampoline_kernelINS0_14default_configENS1_25transform_config_selectorIlLb0EEEZNS1_14transform_implILb0ES3_S5_NS0_18transform_iteratorINS0_17counting_iteratorImlEEZNS1_24adjacent_difference_implIS3_Lb1ELb0EPlSB_ZN2at6native12_GLOBAL__N_124unique_dim_cuda_templateIsEESt5tupleIJNSC_6TensorESH_SH_EERKSH_lbbbEUlllE1_EE10hipError_tPvRmT2_T3_mT4_P12ihipStream_tbEUlmE_lEESB_NS0_8identityIvEEEESM_SP_SQ_mSR_ST_bEUlT_E_NS1_11comp_targetILNS1_3genE4ELNS1_11target_archE910ELNS1_3gpuE8ELNS1_3repE0EEENS1_30default_config_static_selectorELNS0_4arch9wavefront6targetE1EEEvT1_
	.p2align	8
	.type	_ZN7rocprim17ROCPRIM_400000_NS6detail17trampoline_kernelINS0_14default_configENS1_25transform_config_selectorIlLb0EEEZNS1_14transform_implILb0ES3_S5_NS0_18transform_iteratorINS0_17counting_iteratorImlEEZNS1_24adjacent_difference_implIS3_Lb1ELb0EPlSB_ZN2at6native12_GLOBAL__N_124unique_dim_cuda_templateIsEESt5tupleIJNSC_6TensorESH_SH_EERKSH_lbbbEUlllE1_EE10hipError_tPvRmT2_T3_mT4_P12ihipStream_tbEUlmE_lEESB_NS0_8identityIvEEEESM_SP_SQ_mSR_ST_bEUlT_E_NS1_11comp_targetILNS1_3genE4ELNS1_11target_archE910ELNS1_3gpuE8ELNS1_3repE0EEENS1_30default_config_static_selectorELNS0_4arch9wavefront6targetE1EEEvT1_,@function
_ZN7rocprim17ROCPRIM_400000_NS6detail17trampoline_kernelINS0_14default_configENS1_25transform_config_selectorIlLb0EEEZNS1_14transform_implILb0ES3_S5_NS0_18transform_iteratorINS0_17counting_iteratorImlEEZNS1_24adjacent_difference_implIS3_Lb1ELb0EPlSB_ZN2at6native12_GLOBAL__N_124unique_dim_cuda_templateIsEESt5tupleIJNSC_6TensorESH_SH_EERKSH_lbbbEUlllE1_EE10hipError_tPvRmT2_T3_mT4_P12ihipStream_tbEUlmE_lEESB_NS0_8identityIvEEEESM_SP_SQ_mSR_ST_bEUlT_E_NS1_11comp_targetILNS1_3genE4ELNS1_11target_archE910ELNS1_3gpuE8ELNS1_3repE0EEENS1_30default_config_static_selectorELNS0_4arch9wavefront6targetE1EEEvT1_: ; @_ZN7rocprim17ROCPRIM_400000_NS6detail17trampoline_kernelINS0_14default_configENS1_25transform_config_selectorIlLb0EEEZNS1_14transform_implILb0ES3_S5_NS0_18transform_iteratorINS0_17counting_iteratorImlEEZNS1_24adjacent_difference_implIS3_Lb1ELb0EPlSB_ZN2at6native12_GLOBAL__N_124unique_dim_cuda_templateIsEESt5tupleIJNSC_6TensorESH_SH_EERKSH_lbbbEUlllE1_EE10hipError_tPvRmT2_T3_mT4_P12ihipStream_tbEUlmE_lEESB_NS0_8identityIvEEEESM_SP_SQ_mSR_ST_bEUlT_E_NS1_11comp_targetILNS1_3genE4ELNS1_11target_archE910ELNS1_3gpuE8ELNS1_3repE0EEENS1_30default_config_static_selectorELNS0_4arch9wavefront6targetE1EEEvT1_
; %bb.0:
	s_load_dwordx4 s[0:3], s[4:5], 0x18
	s_load_dwordx2 s[14:15], s[4:5], 0x28
	s_load_dwordx4 s[8:11], s[4:5], 0x0
	s_load_dword s12, s[4:5], 0x10
	s_waitcnt lgkmcnt(0)
	s_load_dword s3, s[4:5], 0x38
                                        ; kill: killed $sgpr4_sgpr5
	s_lshl_b64 s[4:5], s[0:1], 3
	s_add_u32 s14, s14, s4
	s_addc_u32 s15, s15, s5
	s_lshl_b32 s4, s6, 9
	s_waitcnt lgkmcnt(0)
	s_add_i32 s3, s3, -1
	s_add_u32 s7, s8, s4
	s_addc_u32 s8, s9, 0
	s_add_u32 s16, s7, s0
	s_addc_u32 s17, s8, s1
	s_mov_b32 s5, 0
	s_cmp_lg_u32 s6, s3
	v_lshlrev_b32_e32 v1, 3, v0
	s_cbranch_scc0 .LBB670_2
; %bb.1:
	v_mov_b32_e32 v2, s17
	v_add_co_u32_e32 v3, vcc, s16, v0
	v_addc_co_u32_e32 v5, vcc, 0, v2, vcc
	v_mad_u64_u32 v[2:3], s[0:1], v3, s12, 0
	v_mov_b32_e32 v4, v3
	v_mad_u64_u32 v[4:5], s[0:1], v5, s12, v[4:5]
	v_mov_b32_e32 v3, v4
	v_lshlrev_b64 v[2:3], 3, v[2:3]
	s_mov_b32 s13, s5
	v_mov_b32_e32 v4, s11
	v_add_co_u32_e32 v2, vcc, s10, v2
	v_addc_co_u32_e32 v3, vcc, v4, v3, vcc
	s_lshl_b64 s[0:1], s[12:13], 11
	global_load_dwordx2 v[8:9], v[2:3], off
	v_mov_b32_e32 v4, s1
	v_add_co_u32_e32 v2, vcc, s0, v2
	v_addc_co_u32_e32 v3, vcc, v3, v4, vcc
	global_load_dwordx2 v[4:5], v[2:3], off
	s_lshl_b64 s[6:7], s[4:5], 3
	s_add_u32 s6, s14, s6
	s_addc_u32 s7, s15, s7
	v_mov_b32_e32 v2, s7
	v_add_co_u32_e32 v6, vcc, s6, v1
	v_addc_co_u32_e32 v7, vcc, 0, v2, vcc
	s_waitcnt vmcnt(1)
	global_store_dwordx2 v1, v[8:9], s[6:7]
	s_mov_b64 s[6:7], -1
	s_cbranch_execz .LBB670_3
	s_branch .LBB670_12
.LBB670_2:
	s_mov_b64 s[6:7], 0
                                        ; implicit-def: $vgpr4_vgpr5
                                        ; implicit-def: $vgpr6_vgpr7
.LBB670_3:
	s_sub_i32 s8, s2, s4
	v_cmp_gt_u32_e32 vcc, s8, v0
                                        ; implicit-def: $vgpr2_vgpr3_vgpr4_vgpr5
	s_and_saveexec_b64 s[2:3], vcc
	s_cbranch_execz .LBB670_5
; %bb.4:
	v_mov_b32_e32 v2, s17
	v_add_co_u32_e64 v3, s[0:1], s16, v0
	s_waitcnt vmcnt(1)
	v_addc_co_u32_e64 v5, s[0:1], 0, v2, s[0:1]
	v_mad_u64_u32 v[2:3], s[0:1], v3, s12, 0
	v_mov_b32_e32 v4, v3
	v_mad_u64_u32 v[4:5], s[0:1], v5, s12, v[4:5]
	v_mov_b32_e32 v3, v4
	v_lshlrev_b64 v[2:3], 3, v[2:3]
	v_mov_b32_e32 v4, s11
	v_add_co_u32_e64 v2, s[0:1], s10, v2
	v_addc_co_u32_e64 v3, s[0:1], v4, v3, s[0:1]
	global_load_dwordx2 v[2:3], v[2:3], off
.LBB670_5:
	s_or_b64 exec, exec, s[2:3]
	v_or_b32_e32 v0, 0x100, v0
	v_cmp_gt_u32_e64 s[0:1], s8, v0
	s_and_saveexec_b64 s[8:9], s[0:1]
	s_cbranch_execz .LBB670_7
; %bb.6:
	s_waitcnt vmcnt(1)
	v_mov_b32_e32 v4, s17
	v_add_co_u32_e64 v0, s[2:3], s16, v0
	v_addc_co_u32_e64 v6, s[2:3], 0, v4, s[2:3]
	v_mad_u64_u32 v[4:5], s[2:3], v0, s12, 0
	v_mov_b32_e32 v0, v5
	v_mad_u64_u32 v[6:7], s[2:3], v6, s12, v[0:1]
	v_mov_b32_e32 v5, v6
	v_lshlrev_b64 v[4:5], 3, v[4:5]
	v_mov_b32_e32 v0, s11
	v_add_co_u32_e64 v4, s[2:3], s10, v4
	v_addc_co_u32_e64 v5, s[2:3], v0, v5, s[2:3]
	global_load_dwordx2 v[4:5], v[4:5], off
.LBB670_7:
	s_or_b64 exec, exec, s[8:9]
	s_lshl_b64 s[2:3], s[4:5], 3
	s_add_u32 s2, s14, s2
	s_addc_u32 s3, s15, s3
	v_mov_b32_e32 v0, s3
	v_add_co_u32_e64 v6, s[2:3], s2, v1
	v_addc_co_u32_e64 v7, s[2:3], 0, v0, s[2:3]
	s_and_saveexec_b64 s[2:3], vcc
	s_cbranch_execz .LBB670_9
; %bb.8:
	s_waitcnt vmcnt(0)
	global_store_dwordx2 v[6:7], v[2:3], off
.LBB670_9:
	s_or_b64 exec, exec, s[2:3]
	s_and_saveexec_b64 s[2:3], s[0:1]
; %bb.10:
	s_or_b64 s[6:7], s[6:7], exec
; %bb.11:
	s_or_b64 exec, exec, s[2:3]
.LBB670_12:
	s_and_saveexec_b64 s[0:1], s[6:7]
	s_cbranch_execnz .LBB670_14
; %bb.13:
	s_endpgm
.LBB670_14:
	s_waitcnt vmcnt(0)
	global_store_dwordx2 v[6:7], v[4:5], off offset:2048
	s_endpgm
	.section	.rodata,"a",@progbits
	.p2align	6, 0x0
	.amdhsa_kernel _ZN7rocprim17ROCPRIM_400000_NS6detail17trampoline_kernelINS0_14default_configENS1_25transform_config_selectorIlLb0EEEZNS1_14transform_implILb0ES3_S5_NS0_18transform_iteratorINS0_17counting_iteratorImlEEZNS1_24adjacent_difference_implIS3_Lb1ELb0EPlSB_ZN2at6native12_GLOBAL__N_124unique_dim_cuda_templateIsEESt5tupleIJNSC_6TensorESH_SH_EERKSH_lbbbEUlllE1_EE10hipError_tPvRmT2_T3_mT4_P12ihipStream_tbEUlmE_lEESB_NS0_8identityIvEEEESM_SP_SQ_mSR_ST_bEUlT_E_NS1_11comp_targetILNS1_3genE4ELNS1_11target_archE910ELNS1_3gpuE8ELNS1_3repE0EEENS1_30default_config_static_selectorELNS0_4arch9wavefront6targetE1EEEvT1_
		.amdhsa_group_segment_fixed_size 0
		.amdhsa_private_segment_fixed_size 0
		.amdhsa_kernarg_size 312
		.amdhsa_user_sgpr_count 6
		.amdhsa_user_sgpr_private_segment_buffer 1
		.amdhsa_user_sgpr_dispatch_ptr 0
		.amdhsa_user_sgpr_queue_ptr 0
		.amdhsa_user_sgpr_kernarg_segment_ptr 1
		.amdhsa_user_sgpr_dispatch_id 0
		.amdhsa_user_sgpr_flat_scratch_init 0
		.amdhsa_user_sgpr_kernarg_preload_length 0
		.amdhsa_user_sgpr_kernarg_preload_offset 0
		.amdhsa_user_sgpr_private_segment_size 0
		.amdhsa_uses_dynamic_stack 0
		.amdhsa_system_sgpr_private_segment_wavefront_offset 0
		.amdhsa_system_sgpr_workgroup_id_x 1
		.amdhsa_system_sgpr_workgroup_id_y 0
		.amdhsa_system_sgpr_workgroup_id_z 0
		.amdhsa_system_sgpr_workgroup_info 0
		.amdhsa_system_vgpr_workitem_id 0
		.amdhsa_next_free_vgpr 10
		.amdhsa_next_free_sgpr 18
		.amdhsa_accum_offset 12
		.amdhsa_reserve_vcc 1
		.amdhsa_reserve_flat_scratch 0
		.amdhsa_float_round_mode_32 0
		.amdhsa_float_round_mode_16_64 0
		.amdhsa_float_denorm_mode_32 3
		.amdhsa_float_denorm_mode_16_64 3
		.amdhsa_dx10_clamp 1
		.amdhsa_ieee_mode 1
		.amdhsa_fp16_overflow 0
		.amdhsa_tg_split 0
		.amdhsa_exception_fp_ieee_invalid_op 0
		.amdhsa_exception_fp_denorm_src 0
		.amdhsa_exception_fp_ieee_div_zero 0
		.amdhsa_exception_fp_ieee_overflow 0
		.amdhsa_exception_fp_ieee_underflow 0
		.amdhsa_exception_fp_ieee_inexact 0
		.amdhsa_exception_int_div_zero 0
	.end_amdhsa_kernel
	.section	.text._ZN7rocprim17ROCPRIM_400000_NS6detail17trampoline_kernelINS0_14default_configENS1_25transform_config_selectorIlLb0EEEZNS1_14transform_implILb0ES3_S5_NS0_18transform_iteratorINS0_17counting_iteratorImlEEZNS1_24adjacent_difference_implIS3_Lb1ELb0EPlSB_ZN2at6native12_GLOBAL__N_124unique_dim_cuda_templateIsEESt5tupleIJNSC_6TensorESH_SH_EERKSH_lbbbEUlllE1_EE10hipError_tPvRmT2_T3_mT4_P12ihipStream_tbEUlmE_lEESB_NS0_8identityIvEEEESM_SP_SQ_mSR_ST_bEUlT_E_NS1_11comp_targetILNS1_3genE4ELNS1_11target_archE910ELNS1_3gpuE8ELNS1_3repE0EEENS1_30default_config_static_selectorELNS0_4arch9wavefront6targetE1EEEvT1_,"axG",@progbits,_ZN7rocprim17ROCPRIM_400000_NS6detail17trampoline_kernelINS0_14default_configENS1_25transform_config_selectorIlLb0EEEZNS1_14transform_implILb0ES3_S5_NS0_18transform_iteratorINS0_17counting_iteratorImlEEZNS1_24adjacent_difference_implIS3_Lb1ELb0EPlSB_ZN2at6native12_GLOBAL__N_124unique_dim_cuda_templateIsEESt5tupleIJNSC_6TensorESH_SH_EERKSH_lbbbEUlllE1_EE10hipError_tPvRmT2_T3_mT4_P12ihipStream_tbEUlmE_lEESB_NS0_8identityIvEEEESM_SP_SQ_mSR_ST_bEUlT_E_NS1_11comp_targetILNS1_3genE4ELNS1_11target_archE910ELNS1_3gpuE8ELNS1_3repE0EEENS1_30default_config_static_selectorELNS0_4arch9wavefront6targetE1EEEvT1_,comdat
.Lfunc_end670:
	.size	_ZN7rocprim17ROCPRIM_400000_NS6detail17trampoline_kernelINS0_14default_configENS1_25transform_config_selectorIlLb0EEEZNS1_14transform_implILb0ES3_S5_NS0_18transform_iteratorINS0_17counting_iteratorImlEEZNS1_24adjacent_difference_implIS3_Lb1ELb0EPlSB_ZN2at6native12_GLOBAL__N_124unique_dim_cuda_templateIsEESt5tupleIJNSC_6TensorESH_SH_EERKSH_lbbbEUlllE1_EE10hipError_tPvRmT2_T3_mT4_P12ihipStream_tbEUlmE_lEESB_NS0_8identityIvEEEESM_SP_SQ_mSR_ST_bEUlT_E_NS1_11comp_targetILNS1_3genE4ELNS1_11target_archE910ELNS1_3gpuE8ELNS1_3repE0EEENS1_30default_config_static_selectorELNS0_4arch9wavefront6targetE1EEEvT1_, .Lfunc_end670-_ZN7rocprim17ROCPRIM_400000_NS6detail17trampoline_kernelINS0_14default_configENS1_25transform_config_selectorIlLb0EEEZNS1_14transform_implILb0ES3_S5_NS0_18transform_iteratorINS0_17counting_iteratorImlEEZNS1_24adjacent_difference_implIS3_Lb1ELb0EPlSB_ZN2at6native12_GLOBAL__N_124unique_dim_cuda_templateIsEESt5tupleIJNSC_6TensorESH_SH_EERKSH_lbbbEUlllE1_EE10hipError_tPvRmT2_T3_mT4_P12ihipStream_tbEUlmE_lEESB_NS0_8identityIvEEEESM_SP_SQ_mSR_ST_bEUlT_E_NS1_11comp_targetILNS1_3genE4ELNS1_11target_archE910ELNS1_3gpuE8ELNS1_3repE0EEENS1_30default_config_static_selectorELNS0_4arch9wavefront6targetE1EEEvT1_
                                        ; -- End function
	.section	.AMDGPU.csdata,"",@progbits
; Kernel info:
; codeLenInByte = 556
; NumSgprs: 22
; NumVgprs: 10
; NumAgprs: 0
; TotalNumVgprs: 10
; ScratchSize: 0
; MemoryBound: 0
; FloatMode: 240
; IeeeMode: 1
; LDSByteSize: 0 bytes/workgroup (compile time only)
; SGPRBlocks: 2
; VGPRBlocks: 1
; NumSGPRsForWavesPerEU: 22
; NumVGPRsForWavesPerEU: 10
; AccumOffset: 12
; Occupancy: 8
; WaveLimiterHint : 0
; COMPUTE_PGM_RSRC2:SCRATCH_EN: 0
; COMPUTE_PGM_RSRC2:USER_SGPR: 6
; COMPUTE_PGM_RSRC2:TRAP_HANDLER: 0
; COMPUTE_PGM_RSRC2:TGID_X_EN: 1
; COMPUTE_PGM_RSRC2:TGID_Y_EN: 0
; COMPUTE_PGM_RSRC2:TGID_Z_EN: 0
; COMPUTE_PGM_RSRC2:TIDIG_COMP_CNT: 0
; COMPUTE_PGM_RSRC3_GFX90A:ACCUM_OFFSET: 2
; COMPUTE_PGM_RSRC3_GFX90A:TG_SPLIT: 0
	.section	.text._ZN7rocprim17ROCPRIM_400000_NS6detail17trampoline_kernelINS0_14default_configENS1_25transform_config_selectorIlLb0EEEZNS1_14transform_implILb0ES3_S5_NS0_18transform_iteratorINS0_17counting_iteratorImlEEZNS1_24adjacent_difference_implIS3_Lb1ELb0EPlSB_ZN2at6native12_GLOBAL__N_124unique_dim_cuda_templateIsEESt5tupleIJNSC_6TensorESH_SH_EERKSH_lbbbEUlllE1_EE10hipError_tPvRmT2_T3_mT4_P12ihipStream_tbEUlmE_lEESB_NS0_8identityIvEEEESM_SP_SQ_mSR_ST_bEUlT_E_NS1_11comp_targetILNS1_3genE3ELNS1_11target_archE908ELNS1_3gpuE7ELNS1_3repE0EEENS1_30default_config_static_selectorELNS0_4arch9wavefront6targetE1EEEvT1_,"axG",@progbits,_ZN7rocprim17ROCPRIM_400000_NS6detail17trampoline_kernelINS0_14default_configENS1_25transform_config_selectorIlLb0EEEZNS1_14transform_implILb0ES3_S5_NS0_18transform_iteratorINS0_17counting_iteratorImlEEZNS1_24adjacent_difference_implIS3_Lb1ELb0EPlSB_ZN2at6native12_GLOBAL__N_124unique_dim_cuda_templateIsEESt5tupleIJNSC_6TensorESH_SH_EERKSH_lbbbEUlllE1_EE10hipError_tPvRmT2_T3_mT4_P12ihipStream_tbEUlmE_lEESB_NS0_8identityIvEEEESM_SP_SQ_mSR_ST_bEUlT_E_NS1_11comp_targetILNS1_3genE3ELNS1_11target_archE908ELNS1_3gpuE7ELNS1_3repE0EEENS1_30default_config_static_selectorELNS0_4arch9wavefront6targetE1EEEvT1_,comdat
	.globl	_ZN7rocprim17ROCPRIM_400000_NS6detail17trampoline_kernelINS0_14default_configENS1_25transform_config_selectorIlLb0EEEZNS1_14transform_implILb0ES3_S5_NS0_18transform_iteratorINS0_17counting_iteratorImlEEZNS1_24adjacent_difference_implIS3_Lb1ELb0EPlSB_ZN2at6native12_GLOBAL__N_124unique_dim_cuda_templateIsEESt5tupleIJNSC_6TensorESH_SH_EERKSH_lbbbEUlllE1_EE10hipError_tPvRmT2_T3_mT4_P12ihipStream_tbEUlmE_lEESB_NS0_8identityIvEEEESM_SP_SQ_mSR_ST_bEUlT_E_NS1_11comp_targetILNS1_3genE3ELNS1_11target_archE908ELNS1_3gpuE7ELNS1_3repE0EEENS1_30default_config_static_selectorELNS0_4arch9wavefront6targetE1EEEvT1_ ; -- Begin function _ZN7rocprim17ROCPRIM_400000_NS6detail17trampoline_kernelINS0_14default_configENS1_25transform_config_selectorIlLb0EEEZNS1_14transform_implILb0ES3_S5_NS0_18transform_iteratorINS0_17counting_iteratorImlEEZNS1_24adjacent_difference_implIS3_Lb1ELb0EPlSB_ZN2at6native12_GLOBAL__N_124unique_dim_cuda_templateIsEESt5tupleIJNSC_6TensorESH_SH_EERKSH_lbbbEUlllE1_EE10hipError_tPvRmT2_T3_mT4_P12ihipStream_tbEUlmE_lEESB_NS0_8identityIvEEEESM_SP_SQ_mSR_ST_bEUlT_E_NS1_11comp_targetILNS1_3genE3ELNS1_11target_archE908ELNS1_3gpuE7ELNS1_3repE0EEENS1_30default_config_static_selectorELNS0_4arch9wavefront6targetE1EEEvT1_
	.p2align	8
	.type	_ZN7rocprim17ROCPRIM_400000_NS6detail17trampoline_kernelINS0_14default_configENS1_25transform_config_selectorIlLb0EEEZNS1_14transform_implILb0ES3_S5_NS0_18transform_iteratorINS0_17counting_iteratorImlEEZNS1_24adjacent_difference_implIS3_Lb1ELb0EPlSB_ZN2at6native12_GLOBAL__N_124unique_dim_cuda_templateIsEESt5tupleIJNSC_6TensorESH_SH_EERKSH_lbbbEUlllE1_EE10hipError_tPvRmT2_T3_mT4_P12ihipStream_tbEUlmE_lEESB_NS0_8identityIvEEEESM_SP_SQ_mSR_ST_bEUlT_E_NS1_11comp_targetILNS1_3genE3ELNS1_11target_archE908ELNS1_3gpuE7ELNS1_3repE0EEENS1_30default_config_static_selectorELNS0_4arch9wavefront6targetE1EEEvT1_,@function
_ZN7rocprim17ROCPRIM_400000_NS6detail17trampoline_kernelINS0_14default_configENS1_25transform_config_selectorIlLb0EEEZNS1_14transform_implILb0ES3_S5_NS0_18transform_iteratorINS0_17counting_iteratorImlEEZNS1_24adjacent_difference_implIS3_Lb1ELb0EPlSB_ZN2at6native12_GLOBAL__N_124unique_dim_cuda_templateIsEESt5tupleIJNSC_6TensorESH_SH_EERKSH_lbbbEUlllE1_EE10hipError_tPvRmT2_T3_mT4_P12ihipStream_tbEUlmE_lEESB_NS0_8identityIvEEEESM_SP_SQ_mSR_ST_bEUlT_E_NS1_11comp_targetILNS1_3genE3ELNS1_11target_archE908ELNS1_3gpuE7ELNS1_3repE0EEENS1_30default_config_static_selectorELNS0_4arch9wavefront6targetE1EEEvT1_: ; @_ZN7rocprim17ROCPRIM_400000_NS6detail17trampoline_kernelINS0_14default_configENS1_25transform_config_selectorIlLb0EEEZNS1_14transform_implILb0ES3_S5_NS0_18transform_iteratorINS0_17counting_iteratorImlEEZNS1_24adjacent_difference_implIS3_Lb1ELb0EPlSB_ZN2at6native12_GLOBAL__N_124unique_dim_cuda_templateIsEESt5tupleIJNSC_6TensorESH_SH_EERKSH_lbbbEUlllE1_EE10hipError_tPvRmT2_T3_mT4_P12ihipStream_tbEUlmE_lEESB_NS0_8identityIvEEEESM_SP_SQ_mSR_ST_bEUlT_E_NS1_11comp_targetILNS1_3genE3ELNS1_11target_archE908ELNS1_3gpuE7ELNS1_3repE0EEENS1_30default_config_static_selectorELNS0_4arch9wavefront6targetE1EEEvT1_
; %bb.0:
	.section	.rodata,"a",@progbits
	.p2align	6, 0x0
	.amdhsa_kernel _ZN7rocprim17ROCPRIM_400000_NS6detail17trampoline_kernelINS0_14default_configENS1_25transform_config_selectorIlLb0EEEZNS1_14transform_implILb0ES3_S5_NS0_18transform_iteratorINS0_17counting_iteratorImlEEZNS1_24adjacent_difference_implIS3_Lb1ELb0EPlSB_ZN2at6native12_GLOBAL__N_124unique_dim_cuda_templateIsEESt5tupleIJNSC_6TensorESH_SH_EERKSH_lbbbEUlllE1_EE10hipError_tPvRmT2_T3_mT4_P12ihipStream_tbEUlmE_lEESB_NS0_8identityIvEEEESM_SP_SQ_mSR_ST_bEUlT_E_NS1_11comp_targetILNS1_3genE3ELNS1_11target_archE908ELNS1_3gpuE7ELNS1_3repE0EEENS1_30default_config_static_selectorELNS0_4arch9wavefront6targetE1EEEvT1_
		.amdhsa_group_segment_fixed_size 0
		.amdhsa_private_segment_fixed_size 0
		.amdhsa_kernarg_size 56
		.amdhsa_user_sgpr_count 6
		.amdhsa_user_sgpr_private_segment_buffer 1
		.amdhsa_user_sgpr_dispatch_ptr 0
		.amdhsa_user_sgpr_queue_ptr 0
		.amdhsa_user_sgpr_kernarg_segment_ptr 1
		.amdhsa_user_sgpr_dispatch_id 0
		.amdhsa_user_sgpr_flat_scratch_init 0
		.amdhsa_user_sgpr_kernarg_preload_length 0
		.amdhsa_user_sgpr_kernarg_preload_offset 0
		.amdhsa_user_sgpr_private_segment_size 0
		.amdhsa_uses_dynamic_stack 0
		.amdhsa_system_sgpr_private_segment_wavefront_offset 0
		.amdhsa_system_sgpr_workgroup_id_x 1
		.amdhsa_system_sgpr_workgroup_id_y 0
		.amdhsa_system_sgpr_workgroup_id_z 0
		.amdhsa_system_sgpr_workgroup_info 0
		.amdhsa_system_vgpr_workitem_id 0
		.amdhsa_next_free_vgpr 1
		.amdhsa_next_free_sgpr 0
		.amdhsa_accum_offset 4
		.amdhsa_reserve_vcc 0
		.amdhsa_reserve_flat_scratch 0
		.amdhsa_float_round_mode_32 0
		.amdhsa_float_round_mode_16_64 0
		.amdhsa_float_denorm_mode_32 3
		.amdhsa_float_denorm_mode_16_64 3
		.amdhsa_dx10_clamp 1
		.amdhsa_ieee_mode 1
		.amdhsa_fp16_overflow 0
		.amdhsa_tg_split 0
		.amdhsa_exception_fp_ieee_invalid_op 0
		.amdhsa_exception_fp_denorm_src 0
		.amdhsa_exception_fp_ieee_div_zero 0
		.amdhsa_exception_fp_ieee_overflow 0
		.amdhsa_exception_fp_ieee_underflow 0
		.amdhsa_exception_fp_ieee_inexact 0
		.amdhsa_exception_int_div_zero 0
	.end_amdhsa_kernel
	.section	.text._ZN7rocprim17ROCPRIM_400000_NS6detail17trampoline_kernelINS0_14default_configENS1_25transform_config_selectorIlLb0EEEZNS1_14transform_implILb0ES3_S5_NS0_18transform_iteratorINS0_17counting_iteratorImlEEZNS1_24adjacent_difference_implIS3_Lb1ELb0EPlSB_ZN2at6native12_GLOBAL__N_124unique_dim_cuda_templateIsEESt5tupleIJNSC_6TensorESH_SH_EERKSH_lbbbEUlllE1_EE10hipError_tPvRmT2_T3_mT4_P12ihipStream_tbEUlmE_lEESB_NS0_8identityIvEEEESM_SP_SQ_mSR_ST_bEUlT_E_NS1_11comp_targetILNS1_3genE3ELNS1_11target_archE908ELNS1_3gpuE7ELNS1_3repE0EEENS1_30default_config_static_selectorELNS0_4arch9wavefront6targetE1EEEvT1_,"axG",@progbits,_ZN7rocprim17ROCPRIM_400000_NS6detail17trampoline_kernelINS0_14default_configENS1_25transform_config_selectorIlLb0EEEZNS1_14transform_implILb0ES3_S5_NS0_18transform_iteratorINS0_17counting_iteratorImlEEZNS1_24adjacent_difference_implIS3_Lb1ELb0EPlSB_ZN2at6native12_GLOBAL__N_124unique_dim_cuda_templateIsEESt5tupleIJNSC_6TensorESH_SH_EERKSH_lbbbEUlllE1_EE10hipError_tPvRmT2_T3_mT4_P12ihipStream_tbEUlmE_lEESB_NS0_8identityIvEEEESM_SP_SQ_mSR_ST_bEUlT_E_NS1_11comp_targetILNS1_3genE3ELNS1_11target_archE908ELNS1_3gpuE7ELNS1_3repE0EEENS1_30default_config_static_selectorELNS0_4arch9wavefront6targetE1EEEvT1_,comdat
.Lfunc_end671:
	.size	_ZN7rocprim17ROCPRIM_400000_NS6detail17trampoline_kernelINS0_14default_configENS1_25transform_config_selectorIlLb0EEEZNS1_14transform_implILb0ES3_S5_NS0_18transform_iteratorINS0_17counting_iteratorImlEEZNS1_24adjacent_difference_implIS3_Lb1ELb0EPlSB_ZN2at6native12_GLOBAL__N_124unique_dim_cuda_templateIsEESt5tupleIJNSC_6TensorESH_SH_EERKSH_lbbbEUlllE1_EE10hipError_tPvRmT2_T3_mT4_P12ihipStream_tbEUlmE_lEESB_NS0_8identityIvEEEESM_SP_SQ_mSR_ST_bEUlT_E_NS1_11comp_targetILNS1_3genE3ELNS1_11target_archE908ELNS1_3gpuE7ELNS1_3repE0EEENS1_30default_config_static_selectorELNS0_4arch9wavefront6targetE1EEEvT1_, .Lfunc_end671-_ZN7rocprim17ROCPRIM_400000_NS6detail17trampoline_kernelINS0_14default_configENS1_25transform_config_selectorIlLb0EEEZNS1_14transform_implILb0ES3_S5_NS0_18transform_iteratorINS0_17counting_iteratorImlEEZNS1_24adjacent_difference_implIS3_Lb1ELb0EPlSB_ZN2at6native12_GLOBAL__N_124unique_dim_cuda_templateIsEESt5tupleIJNSC_6TensorESH_SH_EERKSH_lbbbEUlllE1_EE10hipError_tPvRmT2_T3_mT4_P12ihipStream_tbEUlmE_lEESB_NS0_8identityIvEEEESM_SP_SQ_mSR_ST_bEUlT_E_NS1_11comp_targetILNS1_3genE3ELNS1_11target_archE908ELNS1_3gpuE7ELNS1_3repE0EEENS1_30default_config_static_selectorELNS0_4arch9wavefront6targetE1EEEvT1_
                                        ; -- End function
	.section	.AMDGPU.csdata,"",@progbits
; Kernel info:
; codeLenInByte = 0
; NumSgprs: 4
; NumVgprs: 0
; NumAgprs: 0
; TotalNumVgprs: 0
; ScratchSize: 0
; MemoryBound: 0
; FloatMode: 240
; IeeeMode: 1
; LDSByteSize: 0 bytes/workgroup (compile time only)
; SGPRBlocks: 0
; VGPRBlocks: 0
; NumSGPRsForWavesPerEU: 4
; NumVGPRsForWavesPerEU: 1
; AccumOffset: 4
; Occupancy: 8
; WaveLimiterHint : 0
; COMPUTE_PGM_RSRC2:SCRATCH_EN: 0
; COMPUTE_PGM_RSRC2:USER_SGPR: 6
; COMPUTE_PGM_RSRC2:TRAP_HANDLER: 0
; COMPUTE_PGM_RSRC2:TGID_X_EN: 1
; COMPUTE_PGM_RSRC2:TGID_Y_EN: 0
; COMPUTE_PGM_RSRC2:TGID_Z_EN: 0
; COMPUTE_PGM_RSRC2:TIDIG_COMP_CNT: 0
; COMPUTE_PGM_RSRC3_GFX90A:ACCUM_OFFSET: 0
; COMPUTE_PGM_RSRC3_GFX90A:TG_SPLIT: 0
	.section	.text._ZN7rocprim17ROCPRIM_400000_NS6detail17trampoline_kernelINS0_14default_configENS1_25transform_config_selectorIlLb0EEEZNS1_14transform_implILb0ES3_S5_NS0_18transform_iteratorINS0_17counting_iteratorImlEEZNS1_24adjacent_difference_implIS3_Lb1ELb0EPlSB_ZN2at6native12_GLOBAL__N_124unique_dim_cuda_templateIsEESt5tupleIJNSC_6TensorESH_SH_EERKSH_lbbbEUlllE1_EE10hipError_tPvRmT2_T3_mT4_P12ihipStream_tbEUlmE_lEESB_NS0_8identityIvEEEESM_SP_SQ_mSR_ST_bEUlT_E_NS1_11comp_targetILNS1_3genE2ELNS1_11target_archE906ELNS1_3gpuE6ELNS1_3repE0EEENS1_30default_config_static_selectorELNS0_4arch9wavefront6targetE1EEEvT1_,"axG",@progbits,_ZN7rocprim17ROCPRIM_400000_NS6detail17trampoline_kernelINS0_14default_configENS1_25transform_config_selectorIlLb0EEEZNS1_14transform_implILb0ES3_S5_NS0_18transform_iteratorINS0_17counting_iteratorImlEEZNS1_24adjacent_difference_implIS3_Lb1ELb0EPlSB_ZN2at6native12_GLOBAL__N_124unique_dim_cuda_templateIsEESt5tupleIJNSC_6TensorESH_SH_EERKSH_lbbbEUlllE1_EE10hipError_tPvRmT2_T3_mT4_P12ihipStream_tbEUlmE_lEESB_NS0_8identityIvEEEESM_SP_SQ_mSR_ST_bEUlT_E_NS1_11comp_targetILNS1_3genE2ELNS1_11target_archE906ELNS1_3gpuE6ELNS1_3repE0EEENS1_30default_config_static_selectorELNS0_4arch9wavefront6targetE1EEEvT1_,comdat
	.globl	_ZN7rocprim17ROCPRIM_400000_NS6detail17trampoline_kernelINS0_14default_configENS1_25transform_config_selectorIlLb0EEEZNS1_14transform_implILb0ES3_S5_NS0_18transform_iteratorINS0_17counting_iteratorImlEEZNS1_24adjacent_difference_implIS3_Lb1ELb0EPlSB_ZN2at6native12_GLOBAL__N_124unique_dim_cuda_templateIsEESt5tupleIJNSC_6TensorESH_SH_EERKSH_lbbbEUlllE1_EE10hipError_tPvRmT2_T3_mT4_P12ihipStream_tbEUlmE_lEESB_NS0_8identityIvEEEESM_SP_SQ_mSR_ST_bEUlT_E_NS1_11comp_targetILNS1_3genE2ELNS1_11target_archE906ELNS1_3gpuE6ELNS1_3repE0EEENS1_30default_config_static_selectorELNS0_4arch9wavefront6targetE1EEEvT1_ ; -- Begin function _ZN7rocprim17ROCPRIM_400000_NS6detail17trampoline_kernelINS0_14default_configENS1_25transform_config_selectorIlLb0EEEZNS1_14transform_implILb0ES3_S5_NS0_18transform_iteratorINS0_17counting_iteratorImlEEZNS1_24adjacent_difference_implIS3_Lb1ELb0EPlSB_ZN2at6native12_GLOBAL__N_124unique_dim_cuda_templateIsEESt5tupleIJNSC_6TensorESH_SH_EERKSH_lbbbEUlllE1_EE10hipError_tPvRmT2_T3_mT4_P12ihipStream_tbEUlmE_lEESB_NS0_8identityIvEEEESM_SP_SQ_mSR_ST_bEUlT_E_NS1_11comp_targetILNS1_3genE2ELNS1_11target_archE906ELNS1_3gpuE6ELNS1_3repE0EEENS1_30default_config_static_selectorELNS0_4arch9wavefront6targetE1EEEvT1_
	.p2align	8
	.type	_ZN7rocprim17ROCPRIM_400000_NS6detail17trampoline_kernelINS0_14default_configENS1_25transform_config_selectorIlLb0EEEZNS1_14transform_implILb0ES3_S5_NS0_18transform_iteratorINS0_17counting_iteratorImlEEZNS1_24adjacent_difference_implIS3_Lb1ELb0EPlSB_ZN2at6native12_GLOBAL__N_124unique_dim_cuda_templateIsEESt5tupleIJNSC_6TensorESH_SH_EERKSH_lbbbEUlllE1_EE10hipError_tPvRmT2_T3_mT4_P12ihipStream_tbEUlmE_lEESB_NS0_8identityIvEEEESM_SP_SQ_mSR_ST_bEUlT_E_NS1_11comp_targetILNS1_3genE2ELNS1_11target_archE906ELNS1_3gpuE6ELNS1_3repE0EEENS1_30default_config_static_selectorELNS0_4arch9wavefront6targetE1EEEvT1_,@function
_ZN7rocprim17ROCPRIM_400000_NS6detail17trampoline_kernelINS0_14default_configENS1_25transform_config_selectorIlLb0EEEZNS1_14transform_implILb0ES3_S5_NS0_18transform_iteratorINS0_17counting_iteratorImlEEZNS1_24adjacent_difference_implIS3_Lb1ELb0EPlSB_ZN2at6native12_GLOBAL__N_124unique_dim_cuda_templateIsEESt5tupleIJNSC_6TensorESH_SH_EERKSH_lbbbEUlllE1_EE10hipError_tPvRmT2_T3_mT4_P12ihipStream_tbEUlmE_lEESB_NS0_8identityIvEEEESM_SP_SQ_mSR_ST_bEUlT_E_NS1_11comp_targetILNS1_3genE2ELNS1_11target_archE906ELNS1_3gpuE6ELNS1_3repE0EEENS1_30default_config_static_selectorELNS0_4arch9wavefront6targetE1EEEvT1_: ; @_ZN7rocprim17ROCPRIM_400000_NS6detail17trampoline_kernelINS0_14default_configENS1_25transform_config_selectorIlLb0EEEZNS1_14transform_implILb0ES3_S5_NS0_18transform_iteratorINS0_17counting_iteratorImlEEZNS1_24adjacent_difference_implIS3_Lb1ELb0EPlSB_ZN2at6native12_GLOBAL__N_124unique_dim_cuda_templateIsEESt5tupleIJNSC_6TensorESH_SH_EERKSH_lbbbEUlllE1_EE10hipError_tPvRmT2_T3_mT4_P12ihipStream_tbEUlmE_lEESB_NS0_8identityIvEEEESM_SP_SQ_mSR_ST_bEUlT_E_NS1_11comp_targetILNS1_3genE2ELNS1_11target_archE906ELNS1_3gpuE6ELNS1_3repE0EEENS1_30default_config_static_selectorELNS0_4arch9wavefront6targetE1EEEvT1_
; %bb.0:
	.section	.rodata,"a",@progbits
	.p2align	6, 0x0
	.amdhsa_kernel _ZN7rocprim17ROCPRIM_400000_NS6detail17trampoline_kernelINS0_14default_configENS1_25transform_config_selectorIlLb0EEEZNS1_14transform_implILb0ES3_S5_NS0_18transform_iteratorINS0_17counting_iteratorImlEEZNS1_24adjacent_difference_implIS3_Lb1ELb0EPlSB_ZN2at6native12_GLOBAL__N_124unique_dim_cuda_templateIsEESt5tupleIJNSC_6TensorESH_SH_EERKSH_lbbbEUlllE1_EE10hipError_tPvRmT2_T3_mT4_P12ihipStream_tbEUlmE_lEESB_NS0_8identityIvEEEESM_SP_SQ_mSR_ST_bEUlT_E_NS1_11comp_targetILNS1_3genE2ELNS1_11target_archE906ELNS1_3gpuE6ELNS1_3repE0EEENS1_30default_config_static_selectorELNS0_4arch9wavefront6targetE1EEEvT1_
		.amdhsa_group_segment_fixed_size 0
		.amdhsa_private_segment_fixed_size 0
		.amdhsa_kernarg_size 56
		.amdhsa_user_sgpr_count 6
		.amdhsa_user_sgpr_private_segment_buffer 1
		.amdhsa_user_sgpr_dispatch_ptr 0
		.amdhsa_user_sgpr_queue_ptr 0
		.amdhsa_user_sgpr_kernarg_segment_ptr 1
		.amdhsa_user_sgpr_dispatch_id 0
		.amdhsa_user_sgpr_flat_scratch_init 0
		.amdhsa_user_sgpr_kernarg_preload_length 0
		.amdhsa_user_sgpr_kernarg_preload_offset 0
		.amdhsa_user_sgpr_private_segment_size 0
		.amdhsa_uses_dynamic_stack 0
		.amdhsa_system_sgpr_private_segment_wavefront_offset 0
		.amdhsa_system_sgpr_workgroup_id_x 1
		.amdhsa_system_sgpr_workgroup_id_y 0
		.amdhsa_system_sgpr_workgroup_id_z 0
		.amdhsa_system_sgpr_workgroup_info 0
		.amdhsa_system_vgpr_workitem_id 0
		.amdhsa_next_free_vgpr 1
		.amdhsa_next_free_sgpr 0
		.amdhsa_accum_offset 4
		.amdhsa_reserve_vcc 0
		.amdhsa_reserve_flat_scratch 0
		.amdhsa_float_round_mode_32 0
		.amdhsa_float_round_mode_16_64 0
		.amdhsa_float_denorm_mode_32 3
		.amdhsa_float_denorm_mode_16_64 3
		.amdhsa_dx10_clamp 1
		.amdhsa_ieee_mode 1
		.amdhsa_fp16_overflow 0
		.amdhsa_tg_split 0
		.amdhsa_exception_fp_ieee_invalid_op 0
		.amdhsa_exception_fp_denorm_src 0
		.amdhsa_exception_fp_ieee_div_zero 0
		.amdhsa_exception_fp_ieee_overflow 0
		.amdhsa_exception_fp_ieee_underflow 0
		.amdhsa_exception_fp_ieee_inexact 0
		.amdhsa_exception_int_div_zero 0
	.end_amdhsa_kernel
	.section	.text._ZN7rocprim17ROCPRIM_400000_NS6detail17trampoline_kernelINS0_14default_configENS1_25transform_config_selectorIlLb0EEEZNS1_14transform_implILb0ES3_S5_NS0_18transform_iteratorINS0_17counting_iteratorImlEEZNS1_24adjacent_difference_implIS3_Lb1ELb0EPlSB_ZN2at6native12_GLOBAL__N_124unique_dim_cuda_templateIsEESt5tupleIJNSC_6TensorESH_SH_EERKSH_lbbbEUlllE1_EE10hipError_tPvRmT2_T3_mT4_P12ihipStream_tbEUlmE_lEESB_NS0_8identityIvEEEESM_SP_SQ_mSR_ST_bEUlT_E_NS1_11comp_targetILNS1_3genE2ELNS1_11target_archE906ELNS1_3gpuE6ELNS1_3repE0EEENS1_30default_config_static_selectorELNS0_4arch9wavefront6targetE1EEEvT1_,"axG",@progbits,_ZN7rocprim17ROCPRIM_400000_NS6detail17trampoline_kernelINS0_14default_configENS1_25transform_config_selectorIlLb0EEEZNS1_14transform_implILb0ES3_S5_NS0_18transform_iteratorINS0_17counting_iteratorImlEEZNS1_24adjacent_difference_implIS3_Lb1ELb0EPlSB_ZN2at6native12_GLOBAL__N_124unique_dim_cuda_templateIsEESt5tupleIJNSC_6TensorESH_SH_EERKSH_lbbbEUlllE1_EE10hipError_tPvRmT2_T3_mT4_P12ihipStream_tbEUlmE_lEESB_NS0_8identityIvEEEESM_SP_SQ_mSR_ST_bEUlT_E_NS1_11comp_targetILNS1_3genE2ELNS1_11target_archE906ELNS1_3gpuE6ELNS1_3repE0EEENS1_30default_config_static_selectorELNS0_4arch9wavefront6targetE1EEEvT1_,comdat
.Lfunc_end672:
	.size	_ZN7rocprim17ROCPRIM_400000_NS6detail17trampoline_kernelINS0_14default_configENS1_25transform_config_selectorIlLb0EEEZNS1_14transform_implILb0ES3_S5_NS0_18transform_iteratorINS0_17counting_iteratorImlEEZNS1_24adjacent_difference_implIS3_Lb1ELb0EPlSB_ZN2at6native12_GLOBAL__N_124unique_dim_cuda_templateIsEESt5tupleIJNSC_6TensorESH_SH_EERKSH_lbbbEUlllE1_EE10hipError_tPvRmT2_T3_mT4_P12ihipStream_tbEUlmE_lEESB_NS0_8identityIvEEEESM_SP_SQ_mSR_ST_bEUlT_E_NS1_11comp_targetILNS1_3genE2ELNS1_11target_archE906ELNS1_3gpuE6ELNS1_3repE0EEENS1_30default_config_static_selectorELNS0_4arch9wavefront6targetE1EEEvT1_, .Lfunc_end672-_ZN7rocprim17ROCPRIM_400000_NS6detail17trampoline_kernelINS0_14default_configENS1_25transform_config_selectorIlLb0EEEZNS1_14transform_implILb0ES3_S5_NS0_18transform_iteratorINS0_17counting_iteratorImlEEZNS1_24adjacent_difference_implIS3_Lb1ELb0EPlSB_ZN2at6native12_GLOBAL__N_124unique_dim_cuda_templateIsEESt5tupleIJNSC_6TensorESH_SH_EERKSH_lbbbEUlllE1_EE10hipError_tPvRmT2_T3_mT4_P12ihipStream_tbEUlmE_lEESB_NS0_8identityIvEEEESM_SP_SQ_mSR_ST_bEUlT_E_NS1_11comp_targetILNS1_3genE2ELNS1_11target_archE906ELNS1_3gpuE6ELNS1_3repE0EEENS1_30default_config_static_selectorELNS0_4arch9wavefront6targetE1EEEvT1_
                                        ; -- End function
	.section	.AMDGPU.csdata,"",@progbits
; Kernel info:
; codeLenInByte = 0
; NumSgprs: 4
; NumVgprs: 0
; NumAgprs: 0
; TotalNumVgprs: 0
; ScratchSize: 0
; MemoryBound: 0
; FloatMode: 240
; IeeeMode: 1
; LDSByteSize: 0 bytes/workgroup (compile time only)
; SGPRBlocks: 0
; VGPRBlocks: 0
; NumSGPRsForWavesPerEU: 4
; NumVGPRsForWavesPerEU: 1
; AccumOffset: 4
; Occupancy: 8
; WaveLimiterHint : 0
; COMPUTE_PGM_RSRC2:SCRATCH_EN: 0
; COMPUTE_PGM_RSRC2:USER_SGPR: 6
; COMPUTE_PGM_RSRC2:TRAP_HANDLER: 0
; COMPUTE_PGM_RSRC2:TGID_X_EN: 1
; COMPUTE_PGM_RSRC2:TGID_Y_EN: 0
; COMPUTE_PGM_RSRC2:TGID_Z_EN: 0
; COMPUTE_PGM_RSRC2:TIDIG_COMP_CNT: 0
; COMPUTE_PGM_RSRC3_GFX90A:ACCUM_OFFSET: 0
; COMPUTE_PGM_RSRC3_GFX90A:TG_SPLIT: 0
	.section	.text._ZN7rocprim17ROCPRIM_400000_NS6detail17trampoline_kernelINS0_14default_configENS1_25transform_config_selectorIlLb0EEEZNS1_14transform_implILb0ES3_S5_NS0_18transform_iteratorINS0_17counting_iteratorImlEEZNS1_24adjacent_difference_implIS3_Lb1ELb0EPlSB_ZN2at6native12_GLOBAL__N_124unique_dim_cuda_templateIsEESt5tupleIJNSC_6TensorESH_SH_EERKSH_lbbbEUlllE1_EE10hipError_tPvRmT2_T3_mT4_P12ihipStream_tbEUlmE_lEESB_NS0_8identityIvEEEESM_SP_SQ_mSR_ST_bEUlT_E_NS1_11comp_targetILNS1_3genE10ELNS1_11target_archE1201ELNS1_3gpuE5ELNS1_3repE0EEENS1_30default_config_static_selectorELNS0_4arch9wavefront6targetE1EEEvT1_,"axG",@progbits,_ZN7rocprim17ROCPRIM_400000_NS6detail17trampoline_kernelINS0_14default_configENS1_25transform_config_selectorIlLb0EEEZNS1_14transform_implILb0ES3_S5_NS0_18transform_iteratorINS0_17counting_iteratorImlEEZNS1_24adjacent_difference_implIS3_Lb1ELb0EPlSB_ZN2at6native12_GLOBAL__N_124unique_dim_cuda_templateIsEESt5tupleIJNSC_6TensorESH_SH_EERKSH_lbbbEUlllE1_EE10hipError_tPvRmT2_T3_mT4_P12ihipStream_tbEUlmE_lEESB_NS0_8identityIvEEEESM_SP_SQ_mSR_ST_bEUlT_E_NS1_11comp_targetILNS1_3genE10ELNS1_11target_archE1201ELNS1_3gpuE5ELNS1_3repE0EEENS1_30default_config_static_selectorELNS0_4arch9wavefront6targetE1EEEvT1_,comdat
	.globl	_ZN7rocprim17ROCPRIM_400000_NS6detail17trampoline_kernelINS0_14default_configENS1_25transform_config_selectorIlLb0EEEZNS1_14transform_implILb0ES3_S5_NS0_18transform_iteratorINS0_17counting_iteratorImlEEZNS1_24adjacent_difference_implIS3_Lb1ELb0EPlSB_ZN2at6native12_GLOBAL__N_124unique_dim_cuda_templateIsEESt5tupleIJNSC_6TensorESH_SH_EERKSH_lbbbEUlllE1_EE10hipError_tPvRmT2_T3_mT4_P12ihipStream_tbEUlmE_lEESB_NS0_8identityIvEEEESM_SP_SQ_mSR_ST_bEUlT_E_NS1_11comp_targetILNS1_3genE10ELNS1_11target_archE1201ELNS1_3gpuE5ELNS1_3repE0EEENS1_30default_config_static_selectorELNS0_4arch9wavefront6targetE1EEEvT1_ ; -- Begin function _ZN7rocprim17ROCPRIM_400000_NS6detail17trampoline_kernelINS0_14default_configENS1_25transform_config_selectorIlLb0EEEZNS1_14transform_implILb0ES3_S5_NS0_18transform_iteratorINS0_17counting_iteratorImlEEZNS1_24adjacent_difference_implIS3_Lb1ELb0EPlSB_ZN2at6native12_GLOBAL__N_124unique_dim_cuda_templateIsEESt5tupleIJNSC_6TensorESH_SH_EERKSH_lbbbEUlllE1_EE10hipError_tPvRmT2_T3_mT4_P12ihipStream_tbEUlmE_lEESB_NS0_8identityIvEEEESM_SP_SQ_mSR_ST_bEUlT_E_NS1_11comp_targetILNS1_3genE10ELNS1_11target_archE1201ELNS1_3gpuE5ELNS1_3repE0EEENS1_30default_config_static_selectorELNS0_4arch9wavefront6targetE1EEEvT1_
	.p2align	8
	.type	_ZN7rocprim17ROCPRIM_400000_NS6detail17trampoline_kernelINS0_14default_configENS1_25transform_config_selectorIlLb0EEEZNS1_14transform_implILb0ES3_S5_NS0_18transform_iteratorINS0_17counting_iteratorImlEEZNS1_24adjacent_difference_implIS3_Lb1ELb0EPlSB_ZN2at6native12_GLOBAL__N_124unique_dim_cuda_templateIsEESt5tupleIJNSC_6TensorESH_SH_EERKSH_lbbbEUlllE1_EE10hipError_tPvRmT2_T3_mT4_P12ihipStream_tbEUlmE_lEESB_NS0_8identityIvEEEESM_SP_SQ_mSR_ST_bEUlT_E_NS1_11comp_targetILNS1_3genE10ELNS1_11target_archE1201ELNS1_3gpuE5ELNS1_3repE0EEENS1_30default_config_static_selectorELNS0_4arch9wavefront6targetE1EEEvT1_,@function
_ZN7rocprim17ROCPRIM_400000_NS6detail17trampoline_kernelINS0_14default_configENS1_25transform_config_selectorIlLb0EEEZNS1_14transform_implILb0ES3_S5_NS0_18transform_iteratorINS0_17counting_iteratorImlEEZNS1_24adjacent_difference_implIS3_Lb1ELb0EPlSB_ZN2at6native12_GLOBAL__N_124unique_dim_cuda_templateIsEESt5tupleIJNSC_6TensorESH_SH_EERKSH_lbbbEUlllE1_EE10hipError_tPvRmT2_T3_mT4_P12ihipStream_tbEUlmE_lEESB_NS0_8identityIvEEEESM_SP_SQ_mSR_ST_bEUlT_E_NS1_11comp_targetILNS1_3genE10ELNS1_11target_archE1201ELNS1_3gpuE5ELNS1_3repE0EEENS1_30default_config_static_selectorELNS0_4arch9wavefront6targetE1EEEvT1_: ; @_ZN7rocprim17ROCPRIM_400000_NS6detail17trampoline_kernelINS0_14default_configENS1_25transform_config_selectorIlLb0EEEZNS1_14transform_implILb0ES3_S5_NS0_18transform_iteratorINS0_17counting_iteratorImlEEZNS1_24adjacent_difference_implIS3_Lb1ELb0EPlSB_ZN2at6native12_GLOBAL__N_124unique_dim_cuda_templateIsEESt5tupleIJNSC_6TensorESH_SH_EERKSH_lbbbEUlllE1_EE10hipError_tPvRmT2_T3_mT4_P12ihipStream_tbEUlmE_lEESB_NS0_8identityIvEEEESM_SP_SQ_mSR_ST_bEUlT_E_NS1_11comp_targetILNS1_3genE10ELNS1_11target_archE1201ELNS1_3gpuE5ELNS1_3repE0EEENS1_30default_config_static_selectorELNS0_4arch9wavefront6targetE1EEEvT1_
; %bb.0:
	.section	.rodata,"a",@progbits
	.p2align	6, 0x0
	.amdhsa_kernel _ZN7rocprim17ROCPRIM_400000_NS6detail17trampoline_kernelINS0_14default_configENS1_25transform_config_selectorIlLb0EEEZNS1_14transform_implILb0ES3_S5_NS0_18transform_iteratorINS0_17counting_iteratorImlEEZNS1_24adjacent_difference_implIS3_Lb1ELb0EPlSB_ZN2at6native12_GLOBAL__N_124unique_dim_cuda_templateIsEESt5tupleIJNSC_6TensorESH_SH_EERKSH_lbbbEUlllE1_EE10hipError_tPvRmT2_T3_mT4_P12ihipStream_tbEUlmE_lEESB_NS0_8identityIvEEEESM_SP_SQ_mSR_ST_bEUlT_E_NS1_11comp_targetILNS1_3genE10ELNS1_11target_archE1201ELNS1_3gpuE5ELNS1_3repE0EEENS1_30default_config_static_selectorELNS0_4arch9wavefront6targetE1EEEvT1_
		.amdhsa_group_segment_fixed_size 0
		.amdhsa_private_segment_fixed_size 0
		.amdhsa_kernarg_size 56
		.amdhsa_user_sgpr_count 6
		.amdhsa_user_sgpr_private_segment_buffer 1
		.amdhsa_user_sgpr_dispatch_ptr 0
		.amdhsa_user_sgpr_queue_ptr 0
		.amdhsa_user_sgpr_kernarg_segment_ptr 1
		.amdhsa_user_sgpr_dispatch_id 0
		.amdhsa_user_sgpr_flat_scratch_init 0
		.amdhsa_user_sgpr_kernarg_preload_length 0
		.amdhsa_user_sgpr_kernarg_preload_offset 0
		.amdhsa_user_sgpr_private_segment_size 0
		.amdhsa_uses_dynamic_stack 0
		.amdhsa_system_sgpr_private_segment_wavefront_offset 0
		.amdhsa_system_sgpr_workgroup_id_x 1
		.amdhsa_system_sgpr_workgroup_id_y 0
		.amdhsa_system_sgpr_workgroup_id_z 0
		.amdhsa_system_sgpr_workgroup_info 0
		.amdhsa_system_vgpr_workitem_id 0
		.amdhsa_next_free_vgpr 1
		.amdhsa_next_free_sgpr 0
		.amdhsa_accum_offset 4
		.amdhsa_reserve_vcc 0
		.amdhsa_reserve_flat_scratch 0
		.amdhsa_float_round_mode_32 0
		.amdhsa_float_round_mode_16_64 0
		.amdhsa_float_denorm_mode_32 3
		.amdhsa_float_denorm_mode_16_64 3
		.amdhsa_dx10_clamp 1
		.amdhsa_ieee_mode 1
		.amdhsa_fp16_overflow 0
		.amdhsa_tg_split 0
		.amdhsa_exception_fp_ieee_invalid_op 0
		.amdhsa_exception_fp_denorm_src 0
		.amdhsa_exception_fp_ieee_div_zero 0
		.amdhsa_exception_fp_ieee_overflow 0
		.amdhsa_exception_fp_ieee_underflow 0
		.amdhsa_exception_fp_ieee_inexact 0
		.amdhsa_exception_int_div_zero 0
	.end_amdhsa_kernel
	.section	.text._ZN7rocprim17ROCPRIM_400000_NS6detail17trampoline_kernelINS0_14default_configENS1_25transform_config_selectorIlLb0EEEZNS1_14transform_implILb0ES3_S5_NS0_18transform_iteratorINS0_17counting_iteratorImlEEZNS1_24adjacent_difference_implIS3_Lb1ELb0EPlSB_ZN2at6native12_GLOBAL__N_124unique_dim_cuda_templateIsEESt5tupleIJNSC_6TensorESH_SH_EERKSH_lbbbEUlllE1_EE10hipError_tPvRmT2_T3_mT4_P12ihipStream_tbEUlmE_lEESB_NS0_8identityIvEEEESM_SP_SQ_mSR_ST_bEUlT_E_NS1_11comp_targetILNS1_3genE10ELNS1_11target_archE1201ELNS1_3gpuE5ELNS1_3repE0EEENS1_30default_config_static_selectorELNS0_4arch9wavefront6targetE1EEEvT1_,"axG",@progbits,_ZN7rocprim17ROCPRIM_400000_NS6detail17trampoline_kernelINS0_14default_configENS1_25transform_config_selectorIlLb0EEEZNS1_14transform_implILb0ES3_S5_NS0_18transform_iteratorINS0_17counting_iteratorImlEEZNS1_24adjacent_difference_implIS3_Lb1ELb0EPlSB_ZN2at6native12_GLOBAL__N_124unique_dim_cuda_templateIsEESt5tupleIJNSC_6TensorESH_SH_EERKSH_lbbbEUlllE1_EE10hipError_tPvRmT2_T3_mT4_P12ihipStream_tbEUlmE_lEESB_NS0_8identityIvEEEESM_SP_SQ_mSR_ST_bEUlT_E_NS1_11comp_targetILNS1_3genE10ELNS1_11target_archE1201ELNS1_3gpuE5ELNS1_3repE0EEENS1_30default_config_static_selectorELNS0_4arch9wavefront6targetE1EEEvT1_,comdat
.Lfunc_end673:
	.size	_ZN7rocprim17ROCPRIM_400000_NS6detail17trampoline_kernelINS0_14default_configENS1_25transform_config_selectorIlLb0EEEZNS1_14transform_implILb0ES3_S5_NS0_18transform_iteratorINS0_17counting_iteratorImlEEZNS1_24adjacent_difference_implIS3_Lb1ELb0EPlSB_ZN2at6native12_GLOBAL__N_124unique_dim_cuda_templateIsEESt5tupleIJNSC_6TensorESH_SH_EERKSH_lbbbEUlllE1_EE10hipError_tPvRmT2_T3_mT4_P12ihipStream_tbEUlmE_lEESB_NS0_8identityIvEEEESM_SP_SQ_mSR_ST_bEUlT_E_NS1_11comp_targetILNS1_3genE10ELNS1_11target_archE1201ELNS1_3gpuE5ELNS1_3repE0EEENS1_30default_config_static_selectorELNS0_4arch9wavefront6targetE1EEEvT1_, .Lfunc_end673-_ZN7rocprim17ROCPRIM_400000_NS6detail17trampoline_kernelINS0_14default_configENS1_25transform_config_selectorIlLb0EEEZNS1_14transform_implILb0ES3_S5_NS0_18transform_iteratorINS0_17counting_iteratorImlEEZNS1_24adjacent_difference_implIS3_Lb1ELb0EPlSB_ZN2at6native12_GLOBAL__N_124unique_dim_cuda_templateIsEESt5tupleIJNSC_6TensorESH_SH_EERKSH_lbbbEUlllE1_EE10hipError_tPvRmT2_T3_mT4_P12ihipStream_tbEUlmE_lEESB_NS0_8identityIvEEEESM_SP_SQ_mSR_ST_bEUlT_E_NS1_11comp_targetILNS1_3genE10ELNS1_11target_archE1201ELNS1_3gpuE5ELNS1_3repE0EEENS1_30default_config_static_selectorELNS0_4arch9wavefront6targetE1EEEvT1_
                                        ; -- End function
	.section	.AMDGPU.csdata,"",@progbits
; Kernel info:
; codeLenInByte = 0
; NumSgprs: 4
; NumVgprs: 0
; NumAgprs: 0
; TotalNumVgprs: 0
; ScratchSize: 0
; MemoryBound: 0
; FloatMode: 240
; IeeeMode: 1
; LDSByteSize: 0 bytes/workgroup (compile time only)
; SGPRBlocks: 0
; VGPRBlocks: 0
; NumSGPRsForWavesPerEU: 4
; NumVGPRsForWavesPerEU: 1
; AccumOffset: 4
; Occupancy: 8
; WaveLimiterHint : 0
; COMPUTE_PGM_RSRC2:SCRATCH_EN: 0
; COMPUTE_PGM_RSRC2:USER_SGPR: 6
; COMPUTE_PGM_RSRC2:TRAP_HANDLER: 0
; COMPUTE_PGM_RSRC2:TGID_X_EN: 1
; COMPUTE_PGM_RSRC2:TGID_Y_EN: 0
; COMPUTE_PGM_RSRC2:TGID_Z_EN: 0
; COMPUTE_PGM_RSRC2:TIDIG_COMP_CNT: 0
; COMPUTE_PGM_RSRC3_GFX90A:ACCUM_OFFSET: 0
; COMPUTE_PGM_RSRC3_GFX90A:TG_SPLIT: 0
	.section	.text._ZN7rocprim17ROCPRIM_400000_NS6detail17trampoline_kernelINS0_14default_configENS1_25transform_config_selectorIlLb0EEEZNS1_14transform_implILb0ES3_S5_NS0_18transform_iteratorINS0_17counting_iteratorImlEEZNS1_24adjacent_difference_implIS3_Lb1ELb0EPlSB_ZN2at6native12_GLOBAL__N_124unique_dim_cuda_templateIsEESt5tupleIJNSC_6TensorESH_SH_EERKSH_lbbbEUlllE1_EE10hipError_tPvRmT2_T3_mT4_P12ihipStream_tbEUlmE_lEESB_NS0_8identityIvEEEESM_SP_SQ_mSR_ST_bEUlT_E_NS1_11comp_targetILNS1_3genE10ELNS1_11target_archE1200ELNS1_3gpuE4ELNS1_3repE0EEENS1_30default_config_static_selectorELNS0_4arch9wavefront6targetE1EEEvT1_,"axG",@progbits,_ZN7rocprim17ROCPRIM_400000_NS6detail17trampoline_kernelINS0_14default_configENS1_25transform_config_selectorIlLb0EEEZNS1_14transform_implILb0ES3_S5_NS0_18transform_iteratorINS0_17counting_iteratorImlEEZNS1_24adjacent_difference_implIS3_Lb1ELb0EPlSB_ZN2at6native12_GLOBAL__N_124unique_dim_cuda_templateIsEESt5tupleIJNSC_6TensorESH_SH_EERKSH_lbbbEUlllE1_EE10hipError_tPvRmT2_T3_mT4_P12ihipStream_tbEUlmE_lEESB_NS0_8identityIvEEEESM_SP_SQ_mSR_ST_bEUlT_E_NS1_11comp_targetILNS1_3genE10ELNS1_11target_archE1200ELNS1_3gpuE4ELNS1_3repE0EEENS1_30default_config_static_selectorELNS0_4arch9wavefront6targetE1EEEvT1_,comdat
	.globl	_ZN7rocprim17ROCPRIM_400000_NS6detail17trampoline_kernelINS0_14default_configENS1_25transform_config_selectorIlLb0EEEZNS1_14transform_implILb0ES3_S5_NS0_18transform_iteratorINS0_17counting_iteratorImlEEZNS1_24adjacent_difference_implIS3_Lb1ELb0EPlSB_ZN2at6native12_GLOBAL__N_124unique_dim_cuda_templateIsEESt5tupleIJNSC_6TensorESH_SH_EERKSH_lbbbEUlllE1_EE10hipError_tPvRmT2_T3_mT4_P12ihipStream_tbEUlmE_lEESB_NS0_8identityIvEEEESM_SP_SQ_mSR_ST_bEUlT_E_NS1_11comp_targetILNS1_3genE10ELNS1_11target_archE1200ELNS1_3gpuE4ELNS1_3repE0EEENS1_30default_config_static_selectorELNS0_4arch9wavefront6targetE1EEEvT1_ ; -- Begin function _ZN7rocprim17ROCPRIM_400000_NS6detail17trampoline_kernelINS0_14default_configENS1_25transform_config_selectorIlLb0EEEZNS1_14transform_implILb0ES3_S5_NS0_18transform_iteratorINS0_17counting_iteratorImlEEZNS1_24adjacent_difference_implIS3_Lb1ELb0EPlSB_ZN2at6native12_GLOBAL__N_124unique_dim_cuda_templateIsEESt5tupleIJNSC_6TensorESH_SH_EERKSH_lbbbEUlllE1_EE10hipError_tPvRmT2_T3_mT4_P12ihipStream_tbEUlmE_lEESB_NS0_8identityIvEEEESM_SP_SQ_mSR_ST_bEUlT_E_NS1_11comp_targetILNS1_3genE10ELNS1_11target_archE1200ELNS1_3gpuE4ELNS1_3repE0EEENS1_30default_config_static_selectorELNS0_4arch9wavefront6targetE1EEEvT1_
	.p2align	8
	.type	_ZN7rocprim17ROCPRIM_400000_NS6detail17trampoline_kernelINS0_14default_configENS1_25transform_config_selectorIlLb0EEEZNS1_14transform_implILb0ES3_S5_NS0_18transform_iteratorINS0_17counting_iteratorImlEEZNS1_24adjacent_difference_implIS3_Lb1ELb0EPlSB_ZN2at6native12_GLOBAL__N_124unique_dim_cuda_templateIsEESt5tupleIJNSC_6TensorESH_SH_EERKSH_lbbbEUlllE1_EE10hipError_tPvRmT2_T3_mT4_P12ihipStream_tbEUlmE_lEESB_NS0_8identityIvEEEESM_SP_SQ_mSR_ST_bEUlT_E_NS1_11comp_targetILNS1_3genE10ELNS1_11target_archE1200ELNS1_3gpuE4ELNS1_3repE0EEENS1_30default_config_static_selectorELNS0_4arch9wavefront6targetE1EEEvT1_,@function
_ZN7rocprim17ROCPRIM_400000_NS6detail17trampoline_kernelINS0_14default_configENS1_25transform_config_selectorIlLb0EEEZNS1_14transform_implILb0ES3_S5_NS0_18transform_iteratorINS0_17counting_iteratorImlEEZNS1_24adjacent_difference_implIS3_Lb1ELb0EPlSB_ZN2at6native12_GLOBAL__N_124unique_dim_cuda_templateIsEESt5tupleIJNSC_6TensorESH_SH_EERKSH_lbbbEUlllE1_EE10hipError_tPvRmT2_T3_mT4_P12ihipStream_tbEUlmE_lEESB_NS0_8identityIvEEEESM_SP_SQ_mSR_ST_bEUlT_E_NS1_11comp_targetILNS1_3genE10ELNS1_11target_archE1200ELNS1_3gpuE4ELNS1_3repE0EEENS1_30default_config_static_selectorELNS0_4arch9wavefront6targetE1EEEvT1_: ; @_ZN7rocprim17ROCPRIM_400000_NS6detail17trampoline_kernelINS0_14default_configENS1_25transform_config_selectorIlLb0EEEZNS1_14transform_implILb0ES3_S5_NS0_18transform_iteratorINS0_17counting_iteratorImlEEZNS1_24adjacent_difference_implIS3_Lb1ELb0EPlSB_ZN2at6native12_GLOBAL__N_124unique_dim_cuda_templateIsEESt5tupleIJNSC_6TensorESH_SH_EERKSH_lbbbEUlllE1_EE10hipError_tPvRmT2_T3_mT4_P12ihipStream_tbEUlmE_lEESB_NS0_8identityIvEEEESM_SP_SQ_mSR_ST_bEUlT_E_NS1_11comp_targetILNS1_3genE10ELNS1_11target_archE1200ELNS1_3gpuE4ELNS1_3repE0EEENS1_30default_config_static_selectorELNS0_4arch9wavefront6targetE1EEEvT1_
; %bb.0:
	.section	.rodata,"a",@progbits
	.p2align	6, 0x0
	.amdhsa_kernel _ZN7rocprim17ROCPRIM_400000_NS6detail17trampoline_kernelINS0_14default_configENS1_25transform_config_selectorIlLb0EEEZNS1_14transform_implILb0ES3_S5_NS0_18transform_iteratorINS0_17counting_iteratorImlEEZNS1_24adjacent_difference_implIS3_Lb1ELb0EPlSB_ZN2at6native12_GLOBAL__N_124unique_dim_cuda_templateIsEESt5tupleIJNSC_6TensorESH_SH_EERKSH_lbbbEUlllE1_EE10hipError_tPvRmT2_T3_mT4_P12ihipStream_tbEUlmE_lEESB_NS0_8identityIvEEEESM_SP_SQ_mSR_ST_bEUlT_E_NS1_11comp_targetILNS1_3genE10ELNS1_11target_archE1200ELNS1_3gpuE4ELNS1_3repE0EEENS1_30default_config_static_selectorELNS0_4arch9wavefront6targetE1EEEvT1_
		.amdhsa_group_segment_fixed_size 0
		.amdhsa_private_segment_fixed_size 0
		.amdhsa_kernarg_size 56
		.amdhsa_user_sgpr_count 6
		.amdhsa_user_sgpr_private_segment_buffer 1
		.amdhsa_user_sgpr_dispatch_ptr 0
		.amdhsa_user_sgpr_queue_ptr 0
		.amdhsa_user_sgpr_kernarg_segment_ptr 1
		.amdhsa_user_sgpr_dispatch_id 0
		.amdhsa_user_sgpr_flat_scratch_init 0
		.amdhsa_user_sgpr_kernarg_preload_length 0
		.amdhsa_user_sgpr_kernarg_preload_offset 0
		.amdhsa_user_sgpr_private_segment_size 0
		.amdhsa_uses_dynamic_stack 0
		.amdhsa_system_sgpr_private_segment_wavefront_offset 0
		.amdhsa_system_sgpr_workgroup_id_x 1
		.amdhsa_system_sgpr_workgroup_id_y 0
		.amdhsa_system_sgpr_workgroup_id_z 0
		.amdhsa_system_sgpr_workgroup_info 0
		.amdhsa_system_vgpr_workitem_id 0
		.amdhsa_next_free_vgpr 1
		.amdhsa_next_free_sgpr 0
		.amdhsa_accum_offset 4
		.amdhsa_reserve_vcc 0
		.amdhsa_reserve_flat_scratch 0
		.amdhsa_float_round_mode_32 0
		.amdhsa_float_round_mode_16_64 0
		.amdhsa_float_denorm_mode_32 3
		.amdhsa_float_denorm_mode_16_64 3
		.amdhsa_dx10_clamp 1
		.amdhsa_ieee_mode 1
		.amdhsa_fp16_overflow 0
		.amdhsa_tg_split 0
		.amdhsa_exception_fp_ieee_invalid_op 0
		.amdhsa_exception_fp_denorm_src 0
		.amdhsa_exception_fp_ieee_div_zero 0
		.amdhsa_exception_fp_ieee_overflow 0
		.amdhsa_exception_fp_ieee_underflow 0
		.amdhsa_exception_fp_ieee_inexact 0
		.amdhsa_exception_int_div_zero 0
	.end_amdhsa_kernel
	.section	.text._ZN7rocprim17ROCPRIM_400000_NS6detail17trampoline_kernelINS0_14default_configENS1_25transform_config_selectorIlLb0EEEZNS1_14transform_implILb0ES3_S5_NS0_18transform_iteratorINS0_17counting_iteratorImlEEZNS1_24adjacent_difference_implIS3_Lb1ELb0EPlSB_ZN2at6native12_GLOBAL__N_124unique_dim_cuda_templateIsEESt5tupleIJNSC_6TensorESH_SH_EERKSH_lbbbEUlllE1_EE10hipError_tPvRmT2_T3_mT4_P12ihipStream_tbEUlmE_lEESB_NS0_8identityIvEEEESM_SP_SQ_mSR_ST_bEUlT_E_NS1_11comp_targetILNS1_3genE10ELNS1_11target_archE1200ELNS1_3gpuE4ELNS1_3repE0EEENS1_30default_config_static_selectorELNS0_4arch9wavefront6targetE1EEEvT1_,"axG",@progbits,_ZN7rocprim17ROCPRIM_400000_NS6detail17trampoline_kernelINS0_14default_configENS1_25transform_config_selectorIlLb0EEEZNS1_14transform_implILb0ES3_S5_NS0_18transform_iteratorINS0_17counting_iteratorImlEEZNS1_24adjacent_difference_implIS3_Lb1ELb0EPlSB_ZN2at6native12_GLOBAL__N_124unique_dim_cuda_templateIsEESt5tupleIJNSC_6TensorESH_SH_EERKSH_lbbbEUlllE1_EE10hipError_tPvRmT2_T3_mT4_P12ihipStream_tbEUlmE_lEESB_NS0_8identityIvEEEESM_SP_SQ_mSR_ST_bEUlT_E_NS1_11comp_targetILNS1_3genE10ELNS1_11target_archE1200ELNS1_3gpuE4ELNS1_3repE0EEENS1_30default_config_static_selectorELNS0_4arch9wavefront6targetE1EEEvT1_,comdat
.Lfunc_end674:
	.size	_ZN7rocprim17ROCPRIM_400000_NS6detail17trampoline_kernelINS0_14default_configENS1_25transform_config_selectorIlLb0EEEZNS1_14transform_implILb0ES3_S5_NS0_18transform_iteratorINS0_17counting_iteratorImlEEZNS1_24adjacent_difference_implIS3_Lb1ELb0EPlSB_ZN2at6native12_GLOBAL__N_124unique_dim_cuda_templateIsEESt5tupleIJNSC_6TensorESH_SH_EERKSH_lbbbEUlllE1_EE10hipError_tPvRmT2_T3_mT4_P12ihipStream_tbEUlmE_lEESB_NS0_8identityIvEEEESM_SP_SQ_mSR_ST_bEUlT_E_NS1_11comp_targetILNS1_3genE10ELNS1_11target_archE1200ELNS1_3gpuE4ELNS1_3repE0EEENS1_30default_config_static_selectorELNS0_4arch9wavefront6targetE1EEEvT1_, .Lfunc_end674-_ZN7rocprim17ROCPRIM_400000_NS6detail17trampoline_kernelINS0_14default_configENS1_25transform_config_selectorIlLb0EEEZNS1_14transform_implILb0ES3_S5_NS0_18transform_iteratorINS0_17counting_iteratorImlEEZNS1_24adjacent_difference_implIS3_Lb1ELb0EPlSB_ZN2at6native12_GLOBAL__N_124unique_dim_cuda_templateIsEESt5tupleIJNSC_6TensorESH_SH_EERKSH_lbbbEUlllE1_EE10hipError_tPvRmT2_T3_mT4_P12ihipStream_tbEUlmE_lEESB_NS0_8identityIvEEEESM_SP_SQ_mSR_ST_bEUlT_E_NS1_11comp_targetILNS1_3genE10ELNS1_11target_archE1200ELNS1_3gpuE4ELNS1_3repE0EEENS1_30default_config_static_selectorELNS0_4arch9wavefront6targetE1EEEvT1_
                                        ; -- End function
	.section	.AMDGPU.csdata,"",@progbits
; Kernel info:
; codeLenInByte = 0
; NumSgprs: 4
; NumVgprs: 0
; NumAgprs: 0
; TotalNumVgprs: 0
; ScratchSize: 0
; MemoryBound: 0
; FloatMode: 240
; IeeeMode: 1
; LDSByteSize: 0 bytes/workgroup (compile time only)
; SGPRBlocks: 0
; VGPRBlocks: 0
; NumSGPRsForWavesPerEU: 4
; NumVGPRsForWavesPerEU: 1
; AccumOffset: 4
; Occupancy: 8
; WaveLimiterHint : 0
; COMPUTE_PGM_RSRC2:SCRATCH_EN: 0
; COMPUTE_PGM_RSRC2:USER_SGPR: 6
; COMPUTE_PGM_RSRC2:TRAP_HANDLER: 0
; COMPUTE_PGM_RSRC2:TGID_X_EN: 1
; COMPUTE_PGM_RSRC2:TGID_Y_EN: 0
; COMPUTE_PGM_RSRC2:TGID_Z_EN: 0
; COMPUTE_PGM_RSRC2:TIDIG_COMP_CNT: 0
; COMPUTE_PGM_RSRC3_GFX90A:ACCUM_OFFSET: 0
; COMPUTE_PGM_RSRC3_GFX90A:TG_SPLIT: 0
	.section	.text._ZN7rocprim17ROCPRIM_400000_NS6detail17trampoline_kernelINS0_14default_configENS1_25transform_config_selectorIlLb0EEEZNS1_14transform_implILb0ES3_S5_NS0_18transform_iteratorINS0_17counting_iteratorImlEEZNS1_24adjacent_difference_implIS3_Lb1ELb0EPlSB_ZN2at6native12_GLOBAL__N_124unique_dim_cuda_templateIsEESt5tupleIJNSC_6TensorESH_SH_EERKSH_lbbbEUlllE1_EE10hipError_tPvRmT2_T3_mT4_P12ihipStream_tbEUlmE_lEESB_NS0_8identityIvEEEESM_SP_SQ_mSR_ST_bEUlT_E_NS1_11comp_targetILNS1_3genE9ELNS1_11target_archE1100ELNS1_3gpuE3ELNS1_3repE0EEENS1_30default_config_static_selectorELNS0_4arch9wavefront6targetE1EEEvT1_,"axG",@progbits,_ZN7rocprim17ROCPRIM_400000_NS6detail17trampoline_kernelINS0_14default_configENS1_25transform_config_selectorIlLb0EEEZNS1_14transform_implILb0ES3_S5_NS0_18transform_iteratorINS0_17counting_iteratorImlEEZNS1_24adjacent_difference_implIS3_Lb1ELb0EPlSB_ZN2at6native12_GLOBAL__N_124unique_dim_cuda_templateIsEESt5tupleIJNSC_6TensorESH_SH_EERKSH_lbbbEUlllE1_EE10hipError_tPvRmT2_T3_mT4_P12ihipStream_tbEUlmE_lEESB_NS0_8identityIvEEEESM_SP_SQ_mSR_ST_bEUlT_E_NS1_11comp_targetILNS1_3genE9ELNS1_11target_archE1100ELNS1_3gpuE3ELNS1_3repE0EEENS1_30default_config_static_selectorELNS0_4arch9wavefront6targetE1EEEvT1_,comdat
	.globl	_ZN7rocprim17ROCPRIM_400000_NS6detail17trampoline_kernelINS0_14default_configENS1_25transform_config_selectorIlLb0EEEZNS1_14transform_implILb0ES3_S5_NS0_18transform_iteratorINS0_17counting_iteratorImlEEZNS1_24adjacent_difference_implIS3_Lb1ELb0EPlSB_ZN2at6native12_GLOBAL__N_124unique_dim_cuda_templateIsEESt5tupleIJNSC_6TensorESH_SH_EERKSH_lbbbEUlllE1_EE10hipError_tPvRmT2_T3_mT4_P12ihipStream_tbEUlmE_lEESB_NS0_8identityIvEEEESM_SP_SQ_mSR_ST_bEUlT_E_NS1_11comp_targetILNS1_3genE9ELNS1_11target_archE1100ELNS1_3gpuE3ELNS1_3repE0EEENS1_30default_config_static_selectorELNS0_4arch9wavefront6targetE1EEEvT1_ ; -- Begin function _ZN7rocprim17ROCPRIM_400000_NS6detail17trampoline_kernelINS0_14default_configENS1_25transform_config_selectorIlLb0EEEZNS1_14transform_implILb0ES3_S5_NS0_18transform_iteratorINS0_17counting_iteratorImlEEZNS1_24adjacent_difference_implIS3_Lb1ELb0EPlSB_ZN2at6native12_GLOBAL__N_124unique_dim_cuda_templateIsEESt5tupleIJNSC_6TensorESH_SH_EERKSH_lbbbEUlllE1_EE10hipError_tPvRmT2_T3_mT4_P12ihipStream_tbEUlmE_lEESB_NS0_8identityIvEEEESM_SP_SQ_mSR_ST_bEUlT_E_NS1_11comp_targetILNS1_3genE9ELNS1_11target_archE1100ELNS1_3gpuE3ELNS1_3repE0EEENS1_30default_config_static_selectorELNS0_4arch9wavefront6targetE1EEEvT1_
	.p2align	8
	.type	_ZN7rocprim17ROCPRIM_400000_NS6detail17trampoline_kernelINS0_14default_configENS1_25transform_config_selectorIlLb0EEEZNS1_14transform_implILb0ES3_S5_NS0_18transform_iteratorINS0_17counting_iteratorImlEEZNS1_24adjacent_difference_implIS3_Lb1ELb0EPlSB_ZN2at6native12_GLOBAL__N_124unique_dim_cuda_templateIsEESt5tupleIJNSC_6TensorESH_SH_EERKSH_lbbbEUlllE1_EE10hipError_tPvRmT2_T3_mT4_P12ihipStream_tbEUlmE_lEESB_NS0_8identityIvEEEESM_SP_SQ_mSR_ST_bEUlT_E_NS1_11comp_targetILNS1_3genE9ELNS1_11target_archE1100ELNS1_3gpuE3ELNS1_3repE0EEENS1_30default_config_static_selectorELNS0_4arch9wavefront6targetE1EEEvT1_,@function
_ZN7rocprim17ROCPRIM_400000_NS6detail17trampoline_kernelINS0_14default_configENS1_25transform_config_selectorIlLb0EEEZNS1_14transform_implILb0ES3_S5_NS0_18transform_iteratorINS0_17counting_iteratorImlEEZNS1_24adjacent_difference_implIS3_Lb1ELb0EPlSB_ZN2at6native12_GLOBAL__N_124unique_dim_cuda_templateIsEESt5tupleIJNSC_6TensorESH_SH_EERKSH_lbbbEUlllE1_EE10hipError_tPvRmT2_T3_mT4_P12ihipStream_tbEUlmE_lEESB_NS0_8identityIvEEEESM_SP_SQ_mSR_ST_bEUlT_E_NS1_11comp_targetILNS1_3genE9ELNS1_11target_archE1100ELNS1_3gpuE3ELNS1_3repE0EEENS1_30default_config_static_selectorELNS0_4arch9wavefront6targetE1EEEvT1_: ; @_ZN7rocprim17ROCPRIM_400000_NS6detail17trampoline_kernelINS0_14default_configENS1_25transform_config_selectorIlLb0EEEZNS1_14transform_implILb0ES3_S5_NS0_18transform_iteratorINS0_17counting_iteratorImlEEZNS1_24adjacent_difference_implIS3_Lb1ELb0EPlSB_ZN2at6native12_GLOBAL__N_124unique_dim_cuda_templateIsEESt5tupleIJNSC_6TensorESH_SH_EERKSH_lbbbEUlllE1_EE10hipError_tPvRmT2_T3_mT4_P12ihipStream_tbEUlmE_lEESB_NS0_8identityIvEEEESM_SP_SQ_mSR_ST_bEUlT_E_NS1_11comp_targetILNS1_3genE9ELNS1_11target_archE1100ELNS1_3gpuE3ELNS1_3repE0EEENS1_30default_config_static_selectorELNS0_4arch9wavefront6targetE1EEEvT1_
; %bb.0:
	.section	.rodata,"a",@progbits
	.p2align	6, 0x0
	.amdhsa_kernel _ZN7rocprim17ROCPRIM_400000_NS6detail17trampoline_kernelINS0_14default_configENS1_25transform_config_selectorIlLb0EEEZNS1_14transform_implILb0ES3_S5_NS0_18transform_iteratorINS0_17counting_iteratorImlEEZNS1_24adjacent_difference_implIS3_Lb1ELb0EPlSB_ZN2at6native12_GLOBAL__N_124unique_dim_cuda_templateIsEESt5tupleIJNSC_6TensorESH_SH_EERKSH_lbbbEUlllE1_EE10hipError_tPvRmT2_T3_mT4_P12ihipStream_tbEUlmE_lEESB_NS0_8identityIvEEEESM_SP_SQ_mSR_ST_bEUlT_E_NS1_11comp_targetILNS1_3genE9ELNS1_11target_archE1100ELNS1_3gpuE3ELNS1_3repE0EEENS1_30default_config_static_selectorELNS0_4arch9wavefront6targetE1EEEvT1_
		.amdhsa_group_segment_fixed_size 0
		.amdhsa_private_segment_fixed_size 0
		.amdhsa_kernarg_size 56
		.amdhsa_user_sgpr_count 6
		.amdhsa_user_sgpr_private_segment_buffer 1
		.amdhsa_user_sgpr_dispatch_ptr 0
		.amdhsa_user_sgpr_queue_ptr 0
		.amdhsa_user_sgpr_kernarg_segment_ptr 1
		.amdhsa_user_sgpr_dispatch_id 0
		.amdhsa_user_sgpr_flat_scratch_init 0
		.amdhsa_user_sgpr_kernarg_preload_length 0
		.amdhsa_user_sgpr_kernarg_preload_offset 0
		.amdhsa_user_sgpr_private_segment_size 0
		.amdhsa_uses_dynamic_stack 0
		.amdhsa_system_sgpr_private_segment_wavefront_offset 0
		.amdhsa_system_sgpr_workgroup_id_x 1
		.amdhsa_system_sgpr_workgroup_id_y 0
		.amdhsa_system_sgpr_workgroup_id_z 0
		.amdhsa_system_sgpr_workgroup_info 0
		.amdhsa_system_vgpr_workitem_id 0
		.amdhsa_next_free_vgpr 1
		.amdhsa_next_free_sgpr 0
		.amdhsa_accum_offset 4
		.amdhsa_reserve_vcc 0
		.amdhsa_reserve_flat_scratch 0
		.amdhsa_float_round_mode_32 0
		.amdhsa_float_round_mode_16_64 0
		.amdhsa_float_denorm_mode_32 3
		.amdhsa_float_denorm_mode_16_64 3
		.amdhsa_dx10_clamp 1
		.amdhsa_ieee_mode 1
		.amdhsa_fp16_overflow 0
		.amdhsa_tg_split 0
		.amdhsa_exception_fp_ieee_invalid_op 0
		.amdhsa_exception_fp_denorm_src 0
		.amdhsa_exception_fp_ieee_div_zero 0
		.amdhsa_exception_fp_ieee_overflow 0
		.amdhsa_exception_fp_ieee_underflow 0
		.amdhsa_exception_fp_ieee_inexact 0
		.amdhsa_exception_int_div_zero 0
	.end_amdhsa_kernel
	.section	.text._ZN7rocprim17ROCPRIM_400000_NS6detail17trampoline_kernelINS0_14default_configENS1_25transform_config_selectorIlLb0EEEZNS1_14transform_implILb0ES3_S5_NS0_18transform_iteratorINS0_17counting_iteratorImlEEZNS1_24adjacent_difference_implIS3_Lb1ELb0EPlSB_ZN2at6native12_GLOBAL__N_124unique_dim_cuda_templateIsEESt5tupleIJNSC_6TensorESH_SH_EERKSH_lbbbEUlllE1_EE10hipError_tPvRmT2_T3_mT4_P12ihipStream_tbEUlmE_lEESB_NS0_8identityIvEEEESM_SP_SQ_mSR_ST_bEUlT_E_NS1_11comp_targetILNS1_3genE9ELNS1_11target_archE1100ELNS1_3gpuE3ELNS1_3repE0EEENS1_30default_config_static_selectorELNS0_4arch9wavefront6targetE1EEEvT1_,"axG",@progbits,_ZN7rocprim17ROCPRIM_400000_NS6detail17trampoline_kernelINS0_14default_configENS1_25transform_config_selectorIlLb0EEEZNS1_14transform_implILb0ES3_S5_NS0_18transform_iteratorINS0_17counting_iteratorImlEEZNS1_24adjacent_difference_implIS3_Lb1ELb0EPlSB_ZN2at6native12_GLOBAL__N_124unique_dim_cuda_templateIsEESt5tupleIJNSC_6TensorESH_SH_EERKSH_lbbbEUlllE1_EE10hipError_tPvRmT2_T3_mT4_P12ihipStream_tbEUlmE_lEESB_NS0_8identityIvEEEESM_SP_SQ_mSR_ST_bEUlT_E_NS1_11comp_targetILNS1_3genE9ELNS1_11target_archE1100ELNS1_3gpuE3ELNS1_3repE0EEENS1_30default_config_static_selectorELNS0_4arch9wavefront6targetE1EEEvT1_,comdat
.Lfunc_end675:
	.size	_ZN7rocprim17ROCPRIM_400000_NS6detail17trampoline_kernelINS0_14default_configENS1_25transform_config_selectorIlLb0EEEZNS1_14transform_implILb0ES3_S5_NS0_18transform_iteratorINS0_17counting_iteratorImlEEZNS1_24adjacent_difference_implIS3_Lb1ELb0EPlSB_ZN2at6native12_GLOBAL__N_124unique_dim_cuda_templateIsEESt5tupleIJNSC_6TensorESH_SH_EERKSH_lbbbEUlllE1_EE10hipError_tPvRmT2_T3_mT4_P12ihipStream_tbEUlmE_lEESB_NS0_8identityIvEEEESM_SP_SQ_mSR_ST_bEUlT_E_NS1_11comp_targetILNS1_3genE9ELNS1_11target_archE1100ELNS1_3gpuE3ELNS1_3repE0EEENS1_30default_config_static_selectorELNS0_4arch9wavefront6targetE1EEEvT1_, .Lfunc_end675-_ZN7rocprim17ROCPRIM_400000_NS6detail17trampoline_kernelINS0_14default_configENS1_25transform_config_selectorIlLb0EEEZNS1_14transform_implILb0ES3_S5_NS0_18transform_iteratorINS0_17counting_iteratorImlEEZNS1_24adjacent_difference_implIS3_Lb1ELb0EPlSB_ZN2at6native12_GLOBAL__N_124unique_dim_cuda_templateIsEESt5tupleIJNSC_6TensorESH_SH_EERKSH_lbbbEUlllE1_EE10hipError_tPvRmT2_T3_mT4_P12ihipStream_tbEUlmE_lEESB_NS0_8identityIvEEEESM_SP_SQ_mSR_ST_bEUlT_E_NS1_11comp_targetILNS1_3genE9ELNS1_11target_archE1100ELNS1_3gpuE3ELNS1_3repE0EEENS1_30default_config_static_selectorELNS0_4arch9wavefront6targetE1EEEvT1_
                                        ; -- End function
	.section	.AMDGPU.csdata,"",@progbits
; Kernel info:
; codeLenInByte = 0
; NumSgprs: 4
; NumVgprs: 0
; NumAgprs: 0
; TotalNumVgprs: 0
; ScratchSize: 0
; MemoryBound: 0
; FloatMode: 240
; IeeeMode: 1
; LDSByteSize: 0 bytes/workgroup (compile time only)
; SGPRBlocks: 0
; VGPRBlocks: 0
; NumSGPRsForWavesPerEU: 4
; NumVGPRsForWavesPerEU: 1
; AccumOffset: 4
; Occupancy: 8
; WaveLimiterHint : 0
; COMPUTE_PGM_RSRC2:SCRATCH_EN: 0
; COMPUTE_PGM_RSRC2:USER_SGPR: 6
; COMPUTE_PGM_RSRC2:TRAP_HANDLER: 0
; COMPUTE_PGM_RSRC2:TGID_X_EN: 1
; COMPUTE_PGM_RSRC2:TGID_Y_EN: 0
; COMPUTE_PGM_RSRC2:TGID_Z_EN: 0
; COMPUTE_PGM_RSRC2:TIDIG_COMP_CNT: 0
; COMPUTE_PGM_RSRC3_GFX90A:ACCUM_OFFSET: 0
; COMPUTE_PGM_RSRC3_GFX90A:TG_SPLIT: 0
	.section	.text._ZN7rocprim17ROCPRIM_400000_NS6detail17trampoline_kernelINS0_14default_configENS1_25transform_config_selectorIlLb0EEEZNS1_14transform_implILb0ES3_S5_NS0_18transform_iteratorINS0_17counting_iteratorImlEEZNS1_24adjacent_difference_implIS3_Lb1ELb0EPlSB_ZN2at6native12_GLOBAL__N_124unique_dim_cuda_templateIsEESt5tupleIJNSC_6TensorESH_SH_EERKSH_lbbbEUlllE1_EE10hipError_tPvRmT2_T3_mT4_P12ihipStream_tbEUlmE_lEESB_NS0_8identityIvEEEESM_SP_SQ_mSR_ST_bEUlT_E_NS1_11comp_targetILNS1_3genE8ELNS1_11target_archE1030ELNS1_3gpuE2ELNS1_3repE0EEENS1_30default_config_static_selectorELNS0_4arch9wavefront6targetE1EEEvT1_,"axG",@progbits,_ZN7rocprim17ROCPRIM_400000_NS6detail17trampoline_kernelINS0_14default_configENS1_25transform_config_selectorIlLb0EEEZNS1_14transform_implILb0ES3_S5_NS0_18transform_iteratorINS0_17counting_iteratorImlEEZNS1_24adjacent_difference_implIS3_Lb1ELb0EPlSB_ZN2at6native12_GLOBAL__N_124unique_dim_cuda_templateIsEESt5tupleIJNSC_6TensorESH_SH_EERKSH_lbbbEUlllE1_EE10hipError_tPvRmT2_T3_mT4_P12ihipStream_tbEUlmE_lEESB_NS0_8identityIvEEEESM_SP_SQ_mSR_ST_bEUlT_E_NS1_11comp_targetILNS1_3genE8ELNS1_11target_archE1030ELNS1_3gpuE2ELNS1_3repE0EEENS1_30default_config_static_selectorELNS0_4arch9wavefront6targetE1EEEvT1_,comdat
	.globl	_ZN7rocprim17ROCPRIM_400000_NS6detail17trampoline_kernelINS0_14default_configENS1_25transform_config_selectorIlLb0EEEZNS1_14transform_implILb0ES3_S5_NS0_18transform_iteratorINS0_17counting_iteratorImlEEZNS1_24adjacent_difference_implIS3_Lb1ELb0EPlSB_ZN2at6native12_GLOBAL__N_124unique_dim_cuda_templateIsEESt5tupleIJNSC_6TensorESH_SH_EERKSH_lbbbEUlllE1_EE10hipError_tPvRmT2_T3_mT4_P12ihipStream_tbEUlmE_lEESB_NS0_8identityIvEEEESM_SP_SQ_mSR_ST_bEUlT_E_NS1_11comp_targetILNS1_3genE8ELNS1_11target_archE1030ELNS1_3gpuE2ELNS1_3repE0EEENS1_30default_config_static_selectorELNS0_4arch9wavefront6targetE1EEEvT1_ ; -- Begin function _ZN7rocprim17ROCPRIM_400000_NS6detail17trampoline_kernelINS0_14default_configENS1_25transform_config_selectorIlLb0EEEZNS1_14transform_implILb0ES3_S5_NS0_18transform_iteratorINS0_17counting_iteratorImlEEZNS1_24adjacent_difference_implIS3_Lb1ELb0EPlSB_ZN2at6native12_GLOBAL__N_124unique_dim_cuda_templateIsEESt5tupleIJNSC_6TensorESH_SH_EERKSH_lbbbEUlllE1_EE10hipError_tPvRmT2_T3_mT4_P12ihipStream_tbEUlmE_lEESB_NS0_8identityIvEEEESM_SP_SQ_mSR_ST_bEUlT_E_NS1_11comp_targetILNS1_3genE8ELNS1_11target_archE1030ELNS1_3gpuE2ELNS1_3repE0EEENS1_30default_config_static_selectorELNS0_4arch9wavefront6targetE1EEEvT1_
	.p2align	8
	.type	_ZN7rocprim17ROCPRIM_400000_NS6detail17trampoline_kernelINS0_14default_configENS1_25transform_config_selectorIlLb0EEEZNS1_14transform_implILb0ES3_S5_NS0_18transform_iteratorINS0_17counting_iteratorImlEEZNS1_24adjacent_difference_implIS3_Lb1ELb0EPlSB_ZN2at6native12_GLOBAL__N_124unique_dim_cuda_templateIsEESt5tupleIJNSC_6TensorESH_SH_EERKSH_lbbbEUlllE1_EE10hipError_tPvRmT2_T3_mT4_P12ihipStream_tbEUlmE_lEESB_NS0_8identityIvEEEESM_SP_SQ_mSR_ST_bEUlT_E_NS1_11comp_targetILNS1_3genE8ELNS1_11target_archE1030ELNS1_3gpuE2ELNS1_3repE0EEENS1_30default_config_static_selectorELNS0_4arch9wavefront6targetE1EEEvT1_,@function
_ZN7rocprim17ROCPRIM_400000_NS6detail17trampoline_kernelINS0_14default_configENS1_25transform_config_selectorIlLb0EEEZNS1_14transform_implILb0ES3_S5_NS0_18transform_iteratorINS0_17counting_iteratorImlEEZNS1_24adjacent_difference_implIS3_Lb1ELb0EPlSB_ZN2at6native12_GLOBAL__N_124unique_dim_cuda_templateIsEESt5tupleIJNSC_6TensorESH_SH_EERKSH_lbbbEUlllE1_EE10hipError_tPvRmT2_T3_mT4_P12ihipStream_tbEUlmE_lEESB_NS0_8identityIvEEEESM_SP_SQ_mSR_ST_bEUlT_E_NS1_11comp_targetILNS1_3genE8ELNS1_11target_archE1030ELNS1_3gpuE2ELNS1_3repE0EEENS1_30default_config_static_selectorELNS0_4arch9wavefront6targetE1EEEvT1_: ; @_ZN7rocprim17ROCPRIM_400000_NS6detail17trampoline_kernelINS0_14default_configENS1_25transform_config_selectorIlLb0EEEZNS1_14transform_implILb0ES3_S5_NS0_18transform_iteratorINS0_17counting_iteratorImlEEZNS1_24adjacent_difference_implIS3_Lb1ELb0EPlSB_ZN2at6native12_GLOBAL__N_124unique_dim_cuda_templateIsEESt5tupleIJNSC_6TensorESH_SH_EERKSH_lbbbEUlllE1_EE10hipError_tPvRmT2_T3_mT4_P12ihipStream_tbEUlmE_lEESB_NS0_8identityIvEEEESM_SP_SQ_mSR_ST_bEUlT_E_NS1_11comp_targetILNS1_3genE8ELNS1_11target_archE1030ELNS1_3gpuE2ELNS1_3repE0EEENS1_30default_config_static_selectorELNS0_4arch9wavefront6targetE1EEEvT1_
; %bb.0:
	.section	.rodata,"a",@progbits
	.p2align	6, 0x0
	.amdhsa_kernel _ZN7rocprim17ROCPRIM_400000_NS6detail17trampoline_kernelINS0_14default_configENS1_25transform_config_selectorIlLb0EEEZNS1_14transform_implILb0ES3_S5_NS0_18transform_iteratorINS0_17counting_iteratorImlEEZNS1_24adjacent_difference_implIS3_Lb1ELb0EPlSB_ZN2at6native12_GLOBAL__N_124unique_dim_cuda_templateIsEESt5tupleIJNSC_6TensorESH_SH_EERKSH_lbbbEUlllE1_EE10hipError_tPvRmT2_T3_mT4_P12ihipStream_tbEUlmE_lEESB_NS0_8identityIvEEEESM_SP_SQ_mSR_ST_bEUlT_E_NS1_11comp_targetILNS1_3genE8ELNS1_11target_archE1030ELNS1_3gpuE2ELNS1_3repE0EEENS1_30default_config_static_selectorELNS0_4arch9wavefront6targetE1EEEvT1_
		.amdhsa_group_segment_fixed_size 0
		.amdhsa_private_segment_fixed_size 0
		.amdhsa_kernarg_size 56
		.amdhsa_user_sgpr_count 6
		.amdhsa_user_sgpr_private_segment_buffer 1
		.amdhsa_user_sgpr_dispatch_ptr 0
		.amdhsa_user_sgpr_queue_ptr 0
		.amdhsa_user_sgpr_kernarg_segment_ptr 1
		.amdhsa_user_sgpr_dispatch_id 0
		.amdhsa_user_sgpr_flat_scratch_init 0
		.amdhsa_user_sgpr_kernarg_preload_length 0
		.amdhsa_user_sgpr_kernarg_preload_offset 0
		.amdhsa_user_sgpr_private_segment_size 0
		.amdhsa_uses_dynamic_stack 0
		.amdhsa_system_sgpr_private_segment_wavefront_offset 0
		.amdhsa_system_sgpr_workgroup_id_x 1
		.amdhsa_system_sgpr_workgroup_id_y 0
		.amdhsa_system_sgpr_workgroup_id_z 0
		.amdhsa_system_sgpr_workgroup_info 0
		.amdhsa_system_vgpr_workitem_id 0
		.amdhsa_next_free_vgpr 1
		.amdhsa_next_free_sgpr 0
		.amdhsa_accum_offset 4
		.amdhsa_reserve_vcc 0
		.amdhsa_reserve_flat_scratch 0
		.amdhsa_float_round_mode_32 0
		.amdhsa_float_round_mode_16_64 0
		.amdhsa_float_denorm_mode_32 3
		.amdhsa_float_denorm_mode_16_64 3
		.amdhsa_dx10_clamp 1
		.amdhsa_ieee_mode 1
		.amdhsa_fp16_overflow 0
		.amdhsa_tg_split 0
		.amdhsa_exception_fp_ieee_invalid_op 0
		.amdhsa_exception_fp_denorm_src 0
		.amdhsa_exception_fp_ieee_div_zero 0
		.amdhsa_exception_fp_ieee_overflow 0
		.amdhsa_exception_fp_ieee_underflow 0
		.amdhsa_exception_fp_ieee_inexact 0
		.amdhsa_exception_int_div_zero 0
	.end_amdhsa_kernel
	.section	.text._ZN7rocprim17ROCPRIM_400000_NS6detail17trampoline_kernelINS0_14default_configENS1_25transform_config_selectorIlLb0EEEZNS1_14transform_implILb0ES3_S5_NS0_18transform_iteratorINS0_17counting_iteratorImlEEZNS1_24adjacent_difference_implIS3_Lb1ELb0EPlSB_ZN2at6native12_GLOBAL__N_124unique_dim_cuda_templateIsEESt5tupleIJNSC_6TensorESH_SH_EERKSH_lbbbEUlllE1_EE10hipError_tPvRmT2_T3_mT4_P12ihipStream_tbEUlmE_lEESB_NS0_8identityIvEEEESM_SP_SQ_mSR_ST_bEUlT_E_NS1_11comp_targetILNS1_3genE8ELNS1_11target_archE1030ELNS1_3gpuE2ELNS1_3repE0EEENS1_30default_config_static_selectorELNS0_4arch9wavefront6targetE1EEEvT1_,"axG",@progbits,_ZN7rocprim17ROCPRIM_400000_NS6detail17trampoline_kernelINS0_14default_configENS1_25transform_config_selectorIlLb0EEEZNS1_14transform_implILb0ES3_S5_NS0_18transform_iteratorINS0_17counting_iteratorImlEEZNS1_24adjacent_difference_implIS3_Lb1ELb0EPlSB_ZN2at6native12_GLOBAL__N_124unique_dim_cuda_templateIsEESt5tupleIJNSC_6TensorESH_SH_EERKSH_lbbbEUlllE1_EE10hipError_tPvRmT2_T3_mT4_P12ihipStream_tbEUlmE_lEESB_NS0_8identityIvEEEESM_SP_SQ_mSR_ST_bEUlT_E_NS1_11comp_targetILNS1_3genE8ELNS1_11target_archE1030ELNS1_3gpuE2ELNS1_3repE0EEENS1_30default_config_static_selectorELNS0_4arch9wavefront6targetE1EEEvT1_,comdat
.Lfunc_end676:
	.size	_ZN7rocprim17ROCPRIM_400000_NS6detail17trampoline_kernelINS0_14default_configENS1_25transform_config_selectorIlLb0EEEZNS1_14transform_implILb0ES3_S5_NS0_18transform_iteratorINS0_17counting_iteratorImlEEZNS1_24adjacent_difference_implIS3_Lb1ELb0EPlSB_ZN2at6native12_GLOBAL__N_124unique_dim_cuda_templateIsEESt5tupleIJNSC_6TensorESH_SH_EERKSH_lbbbEUlllE1_EE10hipError_tPvRmT2_T3_mT4_P12ihipStream_tbEUlmE_lEESB_NS0_8identityIvEEEESM_SP_SQ_mSR_ST_bEUlT_E_NS1_11comp_targetILNS1_3genE8ELNS1_11target_archE1030ELNS1_3gpuE2ELNS1_3repE0EEENS1_30default_config_static_selectorELNS0_4arch9wavefront6targetE1EEEvT1_, .Lfunc_end676-_ZN7rocprim17ROCPRIM_400000_NS6detail17trampoline_kernelINS0_14default_configENS1_25transform_config_selectorIlLb0EEEZNS1_14transform_implILb0ES3_S5_NS0_18transform_iteratorINS0_17counting_iteratorImlEEZNS1_24adjacent_difference_implIS3_Lb1ELb0EPlSB_ZN2at6native12_GLOBAL__N_124unique_dim_cuda_templateIsEESt5tupleIJNSC_6TensorESH_SH_EERKSH_lbbbEUlllE1_EE10hipError_tPvRmT2_T3_mT4_P12ihipStream_tbEUlmE_lEESB_NS0_8identityIvEEEESM_SP_SQ_mSR_ST_bEUlT_E_NS1_11comp_targetILNS1_3genE8ELNS1_11target_archE1030ELNS1_3gpuE2ELNS1_3repE0EEENS1_30default_config_static_selectorELNS0_4arch9wavefront6targetE1EEEvT1_
                                        ; -- End function
	.section	.AMDGPU.csdata,"",@progbits
; Kernel info:
; codeLenInByte = 0
; NumSgprs: 4
; NumVgprs: 0
; NumAgprs: 0
; TotalNumVgprs: 0
; ScratchSize: 0
; MemoryBound: 0
; FloatMode: 240
; IeeeMode: 1
; LDSByteSize: 0 bytes/workgroup (compile time only)
; SGPRBlocks: 0
; VGPRBlocks: 0
; NumSGPRsForWavesPerEU: 4
; NumVGPRsForWavesPerEU: 1
; AccumOffset: 4
; Occupancy: 8
; WaveLimiterHint : 0
; COMPUTE_PGM_RSRC2:SCRATCH_EN: 0
; COMPUTE_PGM_RSRC2:USER_SGPR: 6
; COMPUTE_PGM_RSRC2:TRAP_HANDLER: 0
; COMPUTE_PGM_RSRC2:TGID_X_EN: 1
; COMPUTE_PGM_RSRC2:TGID_Y_EN: 0
; COMPUTE_PGM_RSRC2:TGID_Z_EN: 0
; COMPUTE_PGM_RSRC2:TIDIG_COMP_CNT: 0
; COMPUTE_PGM_RSRC3_GFX90A:ACCUM_OFFSET: 0
; COMPUTE_PGM_RSRC3_GFX90A:TG_SPLIT: 0
	.section	.text._ZN7rocprim17ROCPRIM_400000_NS6detail17trampoline_kernelINS0_14default_configENS1_35adjacent_difference_config_selectorILb1ElEEZNS1_24adjacent_difference_implIS3_Lb1ELb0EPlS7_ZN2at6native12_GLOBAL__N_124unique_dim_cuda_templateIsEESt5tupleIJNS8_6TensorESD_SD_EERKSD_lbbbEUlllE1_EE10hipError_tPvRmT2_T3_mT4_P12ihipStream_tbEUlT_E_NS1_11comp_targetILNS1_3genE0ELNS1_11target_archE4294967295ELNS1_3gpuE0ELNS1_3repE0EEENS1_30default_config_static_selectorELNS0_4arch9wavefront6targetE1EEEvT1_,"axG",@progbits,_ZN7rocprim17ROCPRIM_400000_NS6detail17trampoline_kernelINS0_14default_configENS1_35adjacent_difference_config_selectorILb1ElEEZNS1_24adjacent_difference_implIS3_Lb1ELb0EPlS7_ZN2at6native12_GLOBAL__N_124unique_dim_cuda_templateIsEESt5tupleIJNS8_6TensorESD_SD_EERKSD_lbbbEUlllE1_EE10hipError_tPvRmT2_T3_mT4_P12ihipStream_tbEUlT_E_NS1_11comp_targetILNS1_3genE0ELNS1_11target_archE4294967295ELNS1_3gpuE0ELNS1_3repE0EEENS1_30default_config_static_selectorELNS0_4arch9wavefront6targetE1EEEvT1_,comdat
	.globl	_ZN7rocprim17ROCPRIM_400000_NS6detail17trampoline_kernelINS0_14default_configENS1_35adjacent_difference_config_selectorILb1ElEEZNS1_24adjacent_difference_implIS3_Lb1ELb0EPlS7_ZN2at6native12_GLOBAL__N_124unique_dim_cuda_templateIsEESt5tupleIJNS8_6TensorESD_SD_EERKSD_lbbbEUlllE1_EE10hipError_tPvRmT2_T3_mT4_P12ihipStream_tbEUlT_E_NS1_11comp_targetILNS1_3genE0ELNS1_11target_archE4294967295ELNS1_3gpuE0ELNS1_3repE0EEENS1_30default_config_static_selectorELNS0_4arch9wavefront6targetE1EEEvT1_ ; -- Begin function _ZN7rocprim17ROCPRIM_400000_NS6detail17trampoline_kernelINS0_14default_configENS1_35adjacent_difference_config_selectorILb1ElEEZNS1_24adjacent_difference_implIS3_Lb1ELb0EPlS7_ZN2at6native12_GLOBAL__N_124unique_dim_cuda_templateIsEESt5tupleIJNS8_6TensorESD_SD_EERKSD_lbbbEUlllE1_EE10hipError_tPvRmT2_T3_mT4_P12ihipStream_tbEUlT_E_NS1_11comp_targetILNS1_3genE0ELNS1_11target_archE4294967295ELNS1_3gpuE0ELNS1_3repE0EEENS1_30default_config_static_selectorELNS0_4arch9wavefront6targetE1EEEvT1_
	.p2align	8
	.type	_ZN7rocprim17ROCPRIM_400000_NS6detail17trampoline_kernelINS0_14default_configENS1_35adjacent_difference_config_selectorILb1ElEEZNS1_24adjacent_difference_implIS3_Lb1ELb0EPlS7_ZN2at6native12_GLOBAL__N_124unique_dim_cuda_templateIsEESt5tupleIJNS8_6TensorESD_SD_EERKSD_lbbbEUlllE1_EE10hipError_tPvRmT2_T3_mT4_P12ihipStream_tbEUlT_E_NS1_11comp_targetILNS1_3genE0ELNS1_11target_archE4294967295ELNS1_3gpuE0ELNS1_3repE0EEENS1_30default_config_static_selectorELNS0_4arch9wavefront6targetE1EEEvT1_,@function
_ZN7rocprim17ROCPRIM_400000_NS6detail17trampoline_kernelINS0_14default_configENS1_35adjacent_difference_config_selectorILb1ElEEZNS1_24adjacent_difference_implIS3_Lb1ELb0EPlS7_ZN2at6native12_GLOBAL__N_124unique_dim_cuda_templateIsEESt5tupleIJNS8_6TensorESD_SD_EERKSD_lbbbEUlllE1_EE10hipError_tPvRmT2_T3_mT4_P12ihipStream_tbEUlT_E_NS1_11comp_targetILNS1_3genE0ELNS1_11target_archE4294967295ELNS1_3gpuE0ELNS1_3repE0EEENS1_30default_config_static_selectorELNS0_4arch9wavefront6targetE1EEEvT1_: ; @_ZN7rocprim17ROCPRIM_400000_NS6detail17trampoline_kernelINS0_14default_configENS1_35adjacent_difference_config_selectorILb1ElEEZNS1_24adjacent_difference_implIS3_Lb1ELb0EPlS7_ZN2at6native12_GLOBAL__N_124unique_dim_cuda_templateIsEESt5tupleIJNS8_6TensorESD_SD_EERKSD_lbbbEUlllE1_EE10hipError_tPvRmT2_T3_mT4_P12ihipStream_tbEUlT_E_NS1_11comp_targetILNS1_3genE0ELNS1_11target_archE4294967295ELNS1_3gpuE0ELNS1_3repE0EEENS1_30default_config_static_selectorELNS0_4arch9wavefront6targetE1EEEvT1_
; %bb.0:
	.section	.rodata,"a",@progbits
	.p2align	6, 0x0
	.amdhsa_kernel _ZN7rocprim17ROCPRIM_400000_NS6detail17trampoline_kernelINS0_14default_configENS1_35adjacent_difference_config_selectorILb1ElEEZNS1_24adjacent_difference_implIS3_Lb1ELb0EPlS7_ZN2at6native12_GLOBAL__N_124unique_dim_cuda_templateIsEESt5tupleIJNS8_6TensorESD_SD_EERKSD_lbbbEUlllE1_EE10hipError_tPvRmT2_T3_mT4_P12ihipStream_tbEUlT_E_NS1_11comp_targetILNS1_3genE0ELNS1_11target_archE4294967295ELNS1_3gpuE0ELNS1_3repE0EEENS1_30default_config_static_selectorELNS0_4arch9wavefront6targetE1EEEvT1_
		.amdhsa_group_segment_fixed_size 0
		.amdhsa_private_segment_fixed_size 0
		.amdhsa_kernarg_size 64
		.amdhsa_user_sgpr_count 6
		.amdhsa_user_sgpr_private_segment_buffer 1
		.amdhsa_user_sgpr_dispatch_ptr 0
		.amdhsa_user_sgpr_queue_ptr 0
		.amdhsa_user_sgpr_kernarg_segment_ptr 1
		.amdhsa_user_sgpr_dispatch_id 0
		.amdhsa_user_sgpr_flat_scratch_init 0
		.amdhsa_user_sgpr_kernarg_preload_length 0
		.amdhsa_user_sgpr_kernarg_preload_offset 0
		.amdhsa_user_sgpr_private_segment_size 0
		.amdhsa_uses_dynamic_stack 0
		.amdhsa_system_sgpr_private_segment_wavefront_offset 0
		.amdhsa_system_sgpr_workgroup_id_x 1
		.amdhsa_system_sgpr_workgroup_id_y 0
		.amdhsa_system_sgpr_workgroup_id_z 0
		.amdhsa_system_sgpr_workgroup_info 0
		.amdhsa_system_vgpr_workitem_id 0
		.amdhsa_next_free_vgpr 1
		.amdhsa_next_free_sgpr 0
		.amdhsa_accum_offset 4
		.amdhsa_reserve_vcc 0
		.amdhsa_reserve_flat_scratch 0
		.amdhsa_float_round_mode_32 0
		.amdhsa_float_round_mode_16_64 0
		.amdhsa_float_denorm_mode_32 3
		.amdhsa_float_denorm_mode_16_64 3
		.amdhsa_dx10_clamp 1
		.amdhsa_ieee_mode 1
		.amdhsa_fp16_overflow 0
		.amdhsa_tg_split 0
		.amdhsa_exception_fp_ieee_invalid_op 0
		.amdhsa_exception_fp_denorm_src 0
		.amdhsa_exception_fp_ieee_div_zero 0
		.amdhsa_exception_fp_ieee_overflow 0
		.amdhsa_exception_fp_ieee_underflow 0
		.amdhsa_exception_fp_ieee_inexact 0
		.amdhsa_exception_int_div_zero 0
	.end_amdhsa_kernel
	.section	.text._ZN7rocprim17ROCPRIM_400000_NS6detail17trampoline_kernelINS0_14default_configENS1_35adjacent_difference_config_selectorILb1ElEEZNS1_24adjacent_difference_implIS3_Lb1ELb0EPlS7_ZN2at6native12_GLOBAL__N_124unique_dim_cuda_templateIsEESt5tupleIJNS8_6TensorESD_SD_EERKSD_lbbbEUlllE1_EE10hipError_tPvRmT2_T3_mT4_P12ihipStream_tbEUlT_E_NS1_11comp_targetILNS1_3genE0ELNS1_11target_archE4294967295ELNS1_3gpuE0ELNS1_3repE0EEENS1_30default_config_static_selectorELNS0_4arch9wavefront6targetE1EEEvT1_,"axG",@progbits,_ZN7rocprim17ROCPRIM_400000_NS6detail17trampoline_kernelINS0_14default_configENS1_35adjacent_difference_config_selectorILb1ElEEZNS1_24adjacent_difference_implIS3_Lb1ELb0EPlS7_ZN2at6native12_GLOBAL__N_124unique_dim_cuda_templateIsEESt5tupleIJNS8_6TensorESD_SD_EERKSD_lbbbEUlllE1_EE10hipError_tPvRmT2_T3_mT4_P12ihipStream_tbEUlT_E_NS1_11comp_targetILNS1_3genE0ELNS1_11target_archE4294967295ELNS1_3gpuE0ELNS1_3repE0EEENS1_30default_config_static_selectorELNS0_4arch9wavefront6targetE1EEEvT1_,comdat
.Lfunc_end677:
	.size	_ZN7rocprim17ROCPRIM_400000_NS6detail17trampoline_kernelINS0_14default_configENS1_35adjacent_difference_config_selectorILb1ElEEZNS1_24adjacent_difference_implIS3_Lb1ELb0EPlS7_ZN2at6native12_GLOBAL__N_124unique_dim_cuda_templateIsEESt5tupleIJNS8_6TensorESD_SD_EERKSD_lbbbEUlllE1_EE10hipError_tPvRmT2_T3_mT4_P12ihipStream_tbEUlT_E_NS1_11comp_targetILNS1_3genE0ELNS1_11target_archE4294967295ELNS1_3gpuE0ELNS1_3repE0EEENS1_30default_config_static_selectorELNS0_4arch9wavefront6targetE1EEEvT1_, .Lfunc_end677-_ZN7rocprim17ROCPRIM_400000_NS6detail17trampoline_kernelINS0_14default_configENS1_35adjacent_difference_config_selectorILb1ElEEZNS1_24adjacent_difference_implIS3_Lb1ELb0EPlS7_ZN2at6native12_GLOBAL__N_124unique_dim_cuda_templateIsEESt5tupleIJNS8_6TensorESD_SD_EERKSD_lbbbEUlllE1_EE10hipError_tPvRmT2_T3_mT4_P12ihipStream_tbEUlT_E_NS1_11comp_targetILNS1_3genE0ELNS1_11target_archE4294967295ELNS1_3gpuE0ELNS1_3repE0EEENS1_30default_config_static_selectorELNS0_4arch9wavefront6targetE1EEEvT1_
                                        ; -- End function
	.section	.AMDGPU.csdata,"",@progbits
; Kernel info:
; codeLenInByte = 0
; NumSgprs: 4
; NumVgprs: 0
; NumAgprs: 0
; TotalNumVgprs: 0
; ScratchSize: 0
; MemoryBound: 0
; FloatMode: 240
; IeeeMode: 1
; LDSByteSize: 0 bytes/workgroup (compile time only)
; SGPRBlocks: 0
; VGPRBlocks: 0
; NumSGPRsForWavesPerEU: 4
; NumVGPRsForWavesPerEU: 1
; AccumOffset: 4
; Occupancy: 8
; WaveLimiterHint : 0
; COMPUTE_PGM_RSRC2:SCRATCH_EN: 0
; COMPUTE_PGM_RSRC2:USER_SGPR: 6
; COMPUTE_PGM_RSRC2:TRAP_HANDLER: 0
; COMPUTE_PGM_RSRC2:TGID_X_EN: 1
; COMPUTE_PGM_RSRC2:TGID_Y_EN: 0
; COMPUTE_PGM_RSRC2:TGID_Z_EN: 0
; COMPUTE_PGM_RSRC2:TIDIG_COMP_CNT: 0
; COMPUTE_PGM_RSRC3_GFX90A:ACCUM_OFFSET: 0
; COMPUTE_PGM_RSRC3_GFX90A:TG_SPLIT: 0
	.section	.text._ZN7rocprim17ROCPRIM_400000_NS6detail17trampoline_kernelINS0_14default_configENS1_35adjacent_difference_config_selectorILb1ElEEZNS1_24adjacent_difference_implIS3_Lb1ELb0EPlS7_ZN2at6native12_GLOBAL__N_124unique_dim_cuda_templateIsEESt5tupleIJNS8_6TensorESD_SD_EERKSD_lbbbEUlllE1_EE10hipError_tPvRmT2_T3_mT4_P12ihipStream_tbEUlT_E_NS1_11comp_targetILNS1_3genE10ELNS1_11target_archE1201ELNS1_3gpuE5ELNS1_3repE0EEENS1_30default_config_static_selectorELNS0_4arch9wavefront6targetE1EEEvT1_,"axG",@progbits,_ZN7rocprim17ROCPRIM_400000_NS6detail17trampoline_kernelINS0_14default_configENS1_35adjacent_difference_config_selectorILb1ElEEZNS1_24adjacent_difference_implIS3_Lb1ELb0EPlS7_ZN2at6native12_GLOBAL__N_124unique_dim_cuda_templateIsEESt5tupleIJNS8_6TensorESD_SD_EERKSD_lbbbEUlllE1_EE10hipError_tPvRmT2_T3_mT4_P12ihipStream_tbEUlT_E_NS1_11comp_targetILNS1_3genE10ELNS1_11target_archE1201ELNS1_3gpuE5ELNS1_3repE0EEENS1_30default_config_static_selectorELNS0_4arch9wavefront6targetE1EEEvT1_,comdat
	.globl	_ZN7rocprim17ROCPRIM_400000_NS6detail17trampoline_kernelINS0_14default_configENS1_35adjacent_difference_config_selectorILb1ElEEZNS1_24adjacent_difference_implIS3_Lb1ELb0EPlS7_ZN2at6native12_GLOBAL__N_124unique_dim_cuda_templateIsEESt5tupleIJNS8_6TensorESD_SD_EERKSD_lbbbEUlllE1_EE10hipError_tPvRmT2_T3_mT4_P12ihipStream_tbEUlT_E_NS1_11comp_targetILNS1_3genE10ELNS1_11target_archE1201ELNS1_3gpuE5ELNS1_3repE0EEENS1_30default_config_static_selectorELNS0_4arch9wavefront6targetE1EEEvT1_ ; -- Begin function _ZN7rocprim17ROCPRIM_400000_NS6detail17trampoline_kernelINS0_14default_configENS1_35adjacent_difference_config_selectorILb1ElEEZNS1_24adjacent_difference_implIS3_Lb1ELb0EPlS7_ZN2at6native12_GLOBAL__N_124unique_dim_cuda_templateIsEESt5tupleIJNS8_6TensorESD_SD_EERKSD_lbbbEUlllE1_EE10hipError_tPvRmT2_T3_mT4_P12ihipStream_tbEUlT_E_NS1_11comp_targetILNS1_3genE10ELNS1_11target_archE1201ELNS1_3gpuE5ELNS1_3repE0EEENS1_30default_config_static_selectorELNS0_4arch9wavefront6targetE1EEEvT1_
	.p2align	8
	.type	_ZN7rocprim17ROCPRIM_400000_NS6detail17trampoline_kernelINS0_14default_configENS1_35adjacent_difference_config_selectorILb1ElEEZNS1_24adjacent_difference_implIS3_Lb1ELb0EPlS7_ZN2at6native12_GLOBAL__N_124unique_dim_cuda_templateIsEESt5tupleIJNS8_6TensorESD_SD_EERKSD_lbbbEUlllE1_EE10hipError_tPvRmT2_T3_mT4_P12ihipStream_tbEUlT_E_NS1_11comp_targetILNS1_3genE10ELNS1_11target_archE1201ELNS1_3gpuE5ELNS1_3repE0EEENS1_30default_config_static_selectorELNS0_4arch9wavefront6targetE1EEEvT1_,@function
_ZN7rocprim17ROCPRIM_400000_NS6detail17trampoline_kernelINS0_14default_configENS1_35adjacent_difference_config_selectorILb1ElEEZNS1_24adjacent_difference_implIS3_Lb1ELb0EPlS7_ZN2at6native12_GLOBAL__N_124unique_dim_cuda_templateIsEESt5tupleIJNS8_6TensorESD_SD_EERKSD_lbbbEUlllE1_EE10hipError_tPvRmT2_T3_mT4_P12ihipStream_tbEUlT_E_NS1_11comp_targetILNS1_3genE10ELNS1_11target_archE1201ELNS1_3gpuE5ELNS1_3repE0EEENS1_30default_config_static_selectorELNS0_4arch9wavefront6targetE1EEEvT1_: ; @_ZN7rocprim17ROCPRIM_400000_NS6detail17trampoline_kernelINS0_14default_configENS1_35adjacent_difference_config_selectorILb1ElEEZNS1_24adjacent_difference_implIS3_Lb1ELb0EPlS7_ZN2at6native12_GLOBAL__N_124unique_dim_cuda_templateIsEESt5tupleIJNS8_6TensorESD_SD_EERKSD_lbbbEUlllE1_EE10hipError_tPvRmT2_T3_mT4_P12ihipStream_tbEUlT_E_NS1_11comp_targetILNS1_3genE10ELNS1_11target_archE1201ELNS1_3gpuE5ELNS1_3repE0EEENS1_30default_config_static_selectorELNS0_4arch9wavefront6targetE1EEEvT1_
; %bb.0:
	.section	.rodata,"a",@progbits
	.p2align	6, 0x0
	.amdhsa_kernel _ZN7rocprim17ROCPRIM_400000_NS6detail17trampoline_kernelINS0_14default_configENS1_35adjacent_difference_config_selectorILb1ElEEZNS1_24adjacent_difference_implIS3_Lb1ELb0EPlS7_ZN2at6native12_GLOBAL__N_124unique_dim_cuda_templateIsEESt5tupleIJNS8_6TensorESD_SD_EERKSD_lbbbEUlllE1_EE10hipError_tPvRmT2_T3_mT4_P12ihipStream_tbEUlT_E_NS1_11comp_targetILNS1_3genE10ELNS1_11target_archE1201ELNS1_3gpuE5ELNS1_3repE0EEENS1_30default_config_static_selectorELNS0_4arch9wavefront6targetE1EEEvT1_
		.amdhsa_group_segment_fixed_size 0
		.amdhsa_private_segment_fixed_size 0
		.amdhsa_kernarg_size 64
		.amdhsa_user_sgpr_count 6
		.amdhsa_user_sgpr_private_segment_buffer 1
		.amdhsa_user_sgpr_dispatch_ptr 0
		.amdhsa_user_sgpr_queue_ptr 0
		.amdhsa_user_sgpr_kernarg_segment_ptr 1
		.amdhsa_user_sgpr_dispatch_id 0
		.amdhsa_user_sgpr_flat_scratch_init 0
		.amdhsa_user_sgpr_kernarg_preload_length 0
		.amdhsa_user_sgpr_kernarg_preload_offset 0
		.amdhsa_user_sgpr_private_segment_size 0
		.amdhsa_uses_dynamic_stack 0
		.amdhsa_system_sgpr_private_segment_wavefront_offset 0
		.amdhsa_system_sgpr_workgroup_id_x 1
		.amdhsa_system_sgpr_workgroup_id_y 0
		.amdhsa_system_sgpr_workgroup_id_z 0
		.amdhsa_system_sgpr_workgroup_info 0
		.amdhsa_system_vgpr_workitem_id 0
		.amdhsa_next_free_vgpr 1
		.amdhsa_next_free_sgpr 0
		.amdhsa_accum_offset 4
		.amdhsa_reserve_vcc 0
		.amdhsa_reserve_flat_scratch 0
		.amdhsa_float_round_mode_32 0
		.amdhsa_float_round_mode_16_64 0
		.amdhsa_float_denorm_mode_32 3
		.amdhsa_float_denorm_mode_16_64 3
		.amdhsa_dx10_clamp 1
		.amdhsa_ieee_mode 1
		.amdhsa_fp16_overflow 0
		.amdhsa_tg_split 0
		.amdhsa_exception_fp_ieee_invalid_op 0
		.amdhsa_exception_fp_denorm_src 0
		.amdhsa_exception_fp_ieee_div_zero 0
		.amdhsa_exception_fp_ieee_overflow 0
		.amdhsa_exception_fp_ieee_underflow 0
		.amdhsa_exception_fp_ieee_inexact 0
		.amdhsa_exception_int_div_zero 0
	.end_amdhsa_kernel
	.section	.text._ZN7rocprim17ROCPRIM_400000_NS6detail17trampoline_kernelINS0_14default_configENS1_35adjacent_difference_config_selectorILb1ElEEZNS1_24adjacent_difference_implIS3_Lb1ELb0EPlS7_ZN2at6native12_GLOBAL__N_124unique_dim_cuda_templateIsEESt5tupleIJNS8_6TensorESD_SD_EERKSD_lbbbEUlllE1_EE10hipError_tPvRmT2_T3_mT4_P12ihipStream_tbEUlT_E_NS1_11comp_targetILNS1_3genE10ELNS1_11target_archE1201ELNS1_3gpuE5ELNS1_3repE0EEENS1_30default_config_static_selectorELNS0_4arch9wavefront6targetE1EEEvT1_,"axG",@progbits,_ZN7rocprim17ROCPRIM_400000_NS6detail17trampoline_kernelINS0_14default_configENS1_35adjacent_difference_config_selectorILb1ElEEZNS1_24adjacent_difference_implIS3_Lb1ELb0EPlS7_ZN2at6native12_GLOBAL__N_124unique_dim_cuda_templateIsEESt5tupleIJNS8_6TensorESD_SD_EERKSD_lbbbEUlllE1_EE10hipError_tPvRmT2_T3_mT4_P12ihipStream_tbEUlT_E_NS1_11comp_targetILNS1_3genE10ELNS1_11target_archE1201ELNS1_3gpuE5ELNS1_3repE0EEENS1_30default_config_static_selectorELNS0_4arch9wavefront6targetE1EEEvT1_,comdat
.Lfunc_end678:
	.size	_ZN7rocprim17ROCPRIM_400000_NS6detail17trampoline_kernelINS0_14default_configENS1_35adjacent_difference_config_selectorILb1ElEEZNS1_24adjacent_difference_implIS3_Lb1ELb0EPlS7_ZN2at6native12_GLOBAL__N_124unique_dim_cuda_templateIsEESt5tupleIJNS8_6TensorESD_SD_EERKSD_lbbbEUlllE1_EE10hipError_tPvRmT2_T3_mT4_P12ihipStream_tbEUlT_E_NS1_11comp_targetILNS1_3genE10ELNS1_11target_archE1201ELNS1_3gpuE5ELNS1_3repE0EEENS1_30default_config_static_selectorELNS0_4arch9wavefront6targetE1EEEvT1_, .Lfunc_end678-_ZN7rocprim17ROCPRIM_400000_NS6detail17trampoline_kernelINS0_14default_configENS1_35adjacent_difference_config_selectorILb1ElEEZNS1_24adjacent_difference_implIS3_Lb1ELb0EPlS7_ZN2at6native12_GLOBAL__N_124unique_dim_cuda_templateIsEESt5tupleIJNS8_6TensorESD_SD_EERKSD_lbbbEUlllE1_EE10hipError_tPvRmT2_T3_mT4_P12ihipStream_tbEUlT_E_NS1_11comp_targetILNS1_3genE10ELNS1_11target_archE1201ELNS1_3gpuE5ELNS1_3repE0EEENS1_30default_config_static_selectorELNS0_4arch9wavefront6targetE1EEEvT1_
                                        ; -- End function
	.section	.AMDGPU.csdata,"",@progbits
; Kernel info:
; codeLenInByte = 0
; NumSgprs: 4
; NumVgprs: 0
; NumAgprs: 0
; TotalNumVgprs: 0
; ScratchSize: 0
; MemoryBound: 0
; FloatMode: 240
; IeeeMode: 1
; LDSByteSize: 0 bytes/workgroup (compile time only)
; SGPRBlocks: 0
; VGPRBlocks: 0
; NumSGPRsForWavesPerEU: 4
; NumVGPRsForWavesPerEU: 1
; AccumOffset: 4
; Occupancy: 8
; WaveLimiterHint : 0
; COMPUTE_PGM_RSRC2:SCRATCH_EN: 0
; COMPUTE_PGM_RSRC2:USER_SGPR: 6
; COMPUTE_PGM_RSRC2:TRAP_HANDLER: 0
; COMPUTE_PGM_RSRC2:TGID_X_EN: 1
; COMPUTE_PGM_RSRC2:TGID_Y_EN: 0
; COMPUTE_PGM_RSRC2:TGID_Z_EN: 0
; COMPUTE_PGM_RSRC2:TIDIG_COMP_CNT: 0
; COMPUTE_PGM_RSRC3_GFX90A:ACCUM_OFFSET: 0
; COMPUTE_PGM_RSRC3_GFX90A:TG_SPLIT: 0
	.section	.text._ZN7rocprim17ROCPRIM_400000_NS6detail17trampoline_kernelINS0_14default_configENS1_35adjacent_difference_config_selectorILb1ElEEZNS1_24adjacent_difference_implIS3_Lb1ELb0EPlS7_ZN2at6native12_GLOBAL__N_124unique_dim_cuda_templateIsEESt5tupleIJNS8_6TensorESD_SD_EERKSD_lbbbEUlllE1_EE10hipError_tPvRmT2_T3_mT4_P12ihipStream_tbEUlT_E_NS1_11comp_targetILNS1_3genE5ELNS1_11target_archE942ELNS1_3gpuE9ELNS1_3repE0EEENS1_30default_config_static_selectorELNS0_4arch9wavefront6targetE1EEEvT1_,"axG",@progbits,_ZN7rocprim17ROCPRIM_400000_NS6detail17trampoline_kernelINS0_14default_configENS1_35adjacent_difference_config_selectorILb1ElEEZNS1_24adjacent_difference_implIS3_Lb1ELb0EPlS7_ZN2at6native12_GLOBAL__N_124unique_dim_cuda_templateIsEESt5tupleIJNS8_6TensorESD_SD_EERKSD_lbbbEUlllE1_EE10hipError_tPvRmT2_T3_mT4_P12ihipStream_tbEUlT_E_NS1_11comp_targetILNS1_3genE5ELNS1_11target_archE942ELNS1_3gpuE9ELNS1_3repE0EEENS1_30default_config_static_selectorELNS0_4arch9wavefront6targetE1EEEvT1_,comdat
	.globl	_ZN7rocprim17ROCPRIM_400000_NS6detail17trampoline_kernelINS0_14default_configENS1_35adjacent_difference_config_selectorILb1ElEEZNS1_24adjacent_difference_implIS3_Lb1ELb0EPlS7_ZN2at6native12_GLOBAL__N_124unique_dim_cuda_templateIsEESt5tupleIJNS8_6TensorESD_SD_EERKSD_lbbbEUlllE1_EE10hipError_tPvRmT2_T3_mT4_P12ihipStream_tbEUlT_E_NS1_11comp_targetILNS1_3genE5ELNS1_11target_archE942ELNS1_3gpuE9ELNS1_3repE0EEENS1_30default_config_static_selectorELNS0_4arch9wavefront6targetE1EEEvT1_ ; -- Begin function _ZN7rocprim17ROCPRIM_400000_NS6detail17trampoline_kernelINS0_14default_configENS1_35adjacent_difference_config_selectorILb1ElEEZNS1_24adjacent_difference_implIS3_Lb1ELb0EPlS7_ZN2at6native12_GLOBAL__N_124unique_dim_cuda_templateIsEESt5tupleIJNS8_6TensorESD_SD_EERKSD_lbbbEUlllE1_EE10hipError_tPvRmT2_T3_mT4_P12ihipStream_tbEUlT_E_NS1_11comp_targetILNS1_3genE5ELNS1_11target_archE942ELNS1_3gpuE9ELNS1_3repE0EEENS1_30default_config_static_selectorELNS0_4arch9wavefront6targetE1EEEvT1_
	.p2align	8
	.type	_ZN7rocprim17ROCPRIM_400000_NS6detail17trampoline_kernelINS0_14default_configENS1_35adjacent_difference_config_selectorILb1ElEEZNS1_24adjacent_difference_implIS3_Lb1ELb0EPlS7_ZN2at6native12_GLOBAL__N_124unique_dim_cuda_templateIsEESt5tupleIJNS8_6TensorESD_SD_EERKSD_lbbbEUlllE1_EE10hipError_tPvRmT2_T3_mT4_P12ihipStream_tbEUlT_E_NS1_11comp_targetILNS1_3genE5ELNS1_11target_archE942ELNS1_3gpuE9ELNS1_3repE0EEENS1_30default_config_static_selectorELNS0_4arch9wavefront6targetE1EEEvT1_,@function
_ZN7rocprim17ROCPRIM_400000_NS6detail17trampoline_kernelINS0_14default_configENS1_35adjacent_difference_config_selectorILb1ElEEZNS1_24adjacent_difference_implIS3_Lb1ELb0EPlS7_ZN2at6native12_GLOBAL__N_124unique_dim_cuda_templateIsEESt5tupleIJNS8_6TensorESD_SD_EERKSD_lbbbEUlllE1_EE10hipError_tPvRmT2_T3_mT4_P12ihipStream_tbEUlT_E_NS1_11comp_targetILNS1_3genE5ELNS1_11target_archE942ELNS1_3gpuE9ELNS1_3repE0EEENS1_30default_config_static_selectorELNS0_4arch9wavefront6targetE1EEEvT1_: ; @_ZN7rocprim17ROCPRIM_400000_NS6detail17trampoline_kernelINS0_14default_configENS1_35adjacent_difference_config_selectorILb1ElEEZNS1_24adjacent_difference_implIS3_Lb1ELb0EPlS7_ZN2at6native12_GLOBAL__N_124unique_dim_cuda_templateIsEESt5tupleIJNS8_6TensorESD_SD_EERKSD_lbbbEUlllE1_EE10hipError_tPvRmT2_T3_mT4_P12ihipStream_tbEUlT_E_NS1_11comp_targetILNS1_3genE5ELNS1_11target_archE942ELNS1_3gpuE9ELNS1_3repE0EEENS1_30default_config_static_selectorELNS0_4arch9wavefront6targetE1EEEvT1_
; %bb.0:
	.section	.rodata,"a",@progbits
	.p2align	6, 0x0
	.amdhsa_kernel _ZN7rocprim17ROCPRIM_400000_NS6detail17trampoline_kernelINS0_14default_configENS1_35adjacent_difference_config_selectorILb1ElEEZNS1_24adjacent_difference_implIS3_Lb1ELb0EPlS7_ZN2at6native12_GLOBAL__N_124unique_dim_cuda_templateIsEESt5tupleIJNS8_6TensorESD_SD_EERKSD_lbbbEUlllE1_EE10hipError_tPvRmT2_T3_mT4_P12ihipStream_tbEUlT_E_NS1_11comp_targetILNS1_3genE5ELNS1_11target_archE942ELNS1_3gpuE9ELNS1_3repE0EEENS1_30default_config_static_selectorELNS0_4arch9wavefront6targetE1EEEvT1_
		.amdhsa_group_segment_fixed_size 0
		.amdhsa_private_segment_fixed_size 0
		.amdhsa_kernarg_size 64
		.amdhsa_user_sgpr_count 6
		.amdhsa_user_sgpr_private_segment_buffer 1
		.amdhsa_user_sgpr_dispatch_ptr 0
		.amdhsa_user_sgpr_queue_ptr 0
		.amdhsa_user_sgpr_kernarg_segment_ptr 1
		.amdhsa_user_sgpr_dispatch_id 0
		.amdhsa_user_sgpr_flat_scratch_init 0
		.amdhsa_user_sgpr_kernarg_preload_length 0
		.amdhsa_user_sgpr_kernarg_preload_offset 0
		.amdhsa_user_sgpr_private_segment_size 0
		.amdhsa_uses_dynamic_stack 0
		.amdhsa_system_sgpr_private_segment_wavefront_offset 0
		.amdhsa_system_sgpr_workgroup_id_x 1
		.amdhsa_system_sgpr_workgroup_id_y 0
		.amdhsa_system_sgpr_workgroup_id_z 0
		.amdhsa_system_sgpr_workgroup_info 0
		.amdhsa_system_vgpr_workitem_id 0
		.amdhsa_next_free_vgpr 1
		.amdhsa_next_free_sgpr 0
		.amdhsa_accum_offset 4
		.amdhsa_reserve_vcc 0
		.amdhsa_reserve_flat_scratch 0
		.amdhsa_float_round_mode_32 0
		.amdhsa_float_round_mode_16_64 0
		.amdhsa_float_denorm_mode_32 3
		.amdhsa_float_denorm_mode_16_64 3
		.amdhsa_dx10_clamp 1
		.amdhsa_ieee_mode 1
		.amdhsa_fp16_overflow 0
		.amdhsa_tg_split 0
		.amdhsa_exception_fp_ieee_invalid_op 0
		.amdhsa_exception_fp_denorm_src 0
		.amdhsa_exception_fp_ieee_div_zero 0
		.amdhsa_exception_fp_ieee_overflow 0
		.amdhsa_exception_fp_ieee_underflow 0
		.amdhsa_exception_fp_ieee_inexact 0
		.amdhsa_exception_int_div_zero 0
	.end_amdhsa_kernel
	.section	.text._ZN7rocprim17ROCPRIM_400000_NS6detail17trampoline_kernelINS0_14default_configENS1_35adjacent_difference_config_selectorILb1ElEEZNS1_24adjacent_difference_implIS3_Lb1ELb0EPlS7_ZN2at6native12_GLOBAL__N_124unique_dim_cuda_templateIsEESt5tupleIJNS8_6TensorESD_SD_EERKSD_lbbbEUlllE1_EE10hipError_tPvRmT2_T3_mT4_P12ihipStream_tbEUlT_E_NS1_11comp_targetILNS1_3genE5ELNS1_11target_archE942ELNS1_3gpuE9ELNS1_3repE0EEENS1_30default_config_static_selectorELNS0_4arch9wavefront6targetE1EEEvT1_,"axG",@progbits,_ZN7rocprim17ROCPRIM_400000_NS6detail17trampoline_kernelINS0_14default_configENS1_35adjacent_difference_config_selectorILb1ElEEZNS1_24adjacent_difference_implIS3_Lb1ELb0EPlS7_ZN2at6native12_GLOBAL__N_124unique_dim_cuda_templateIsEESt5tupleIJNS8_6TensorESD_SD_EERKSD_lbbbEUlllE1_EE10hipError_tPvRmT2_T3_mT4_P12ihipStream_tbEUlT_E_NS1_11comp_targetILNS1_3genE5ELNS1_11target_archE942ELNS1_3gpuE9ELNS1_3repE0EEENS1_30default_config_static_selectorELNS0_4arch9wavefront6targetE1EEEvT1_,comdat
.Lfunc_end679:
	.size	_ZN7rocprim17ROCPRIM_400000_NS6detail17trampoline_kernelINS0_14default_configENS1_35adjacent_difference_config_selectorILb1ElEEZNS1_24adjacent_difference_implIS3_Lb1ELb0EPlS7_ZN2at6native12_GLOBAL__N_124unique_dim_cuda_templateIsEESt5tupleIJNS8_6TensorESD_SD_EERKSD_lbbbEUlllE1_EE10hipError_tPvRmT2_T3_mT4_P12ihipStream_tbEUlT_E_NS1_11comp_targetILNS1_3genE5ELNS1_11target_archE942ELNS1_3gpuE9ELNS1_3repE0EEENS1_30default_config_static_selectorELNS0_4arch9wavefront6targetE1EEEvT1_, .Lfunc_end679-_ZN7rocprim17ROCPRIM_400000_NS6detail17trampoline_kernelINS0_14default_configENS1_35adjacent_difference_config_selectorILb1ElEEZNS1_24adjacent_difference_implIS3_Lb1ELb0EPlS7_ZN2at6native12_GLOBAL__N_124unique_dim_cuda_templateIsEESt5tupleIJNS8_6TensorESD_SD_EERKSD_lbbbEUlllE1_EE10hipError_tPvRmT2_T3_mT4_P12ihipStream_tbEUlT_E_NS1_11comp_targetILNS1_3genE5ELNS1_11target_archE942ELNS1_3gpuE9ELNS1_3repE0EEENS1_30default_config_static_selectorELNS0_4arch9wavefront6targetE1EEEvT1_
                                        ; -- End function
	.section	.AMDGPU.csdata,"",@progbits
; Kernel info:
; codeLenInByte = 0
; NumSgprs: 4
; NumVgprs: 0
; NumAgprs: 0
; TotalNumVgprs: 0
; ScratchSize: 0
; MemoryBound: 0
; FloatMode: 240
; IeeeMode: 1
; LDSByteSize: 0 bytes/workgroup (compile time only)
; SGPRBlocks: 0
; VGPRBlocks: 0
; NumSGPRsForWavesPerEU: 4
; NumVGPRsForWavesPerEU: 1
; AccumOffset: 4
; Occupancy: 8
; WaveLimiterHint : 0
; COMPUTE_PGM_RSRC2:SCRATCH_EN: 0
; COMPUTE_PGM_RSRC2:USER_SGPR: 6
; COMPUTE_PGM_RSRC2:TRAP_HANDLER: 0
; COMPUTE_PGM_RSRC2:TGID_X_EN: 1
; COMPUTE_PGM_RSRC2:TGID_Y_EN: 0
; COMPUTE_PGM_RSRC2:TGID_Z_EN: 0
; COMPUTE_PGM_RSRC2:TIDIG_COMP_CNT: 0
; COMPUTE_PGM_RSRC3_GFX90A:ACCUM_OFFSET: 0
; COMPUTE_PGM_RSRC3_GFX90A:TG_SPLIT: 0
	.section	.text._ZN7rocprim17ROCPRIM_400000_NS6detail17trampoline_kernelINS0_14default_configENS1_35adjacent_difference_config_selectorILb1ElEEZNS1_24adjacent_difference_implIS3_Lb1ELb0EPlS7_ZN2at6native12_GLOBAL__N_124unique_dim_cuda_templateIsEESt5tupleIJNS8_6TensorESD_SD_EERKSD_lbbbEUlllE1_EE10hipError_tPvRmT2_T3_mT4_P12ihipStream_tbEUlT_E_NS1_11comp_targetILNS1_3genE4ELNS1_11target_archE910ELNS1_3gpuE8ELNS1_3repE0EEENS1_30default_config_static_selectorELNS0_4arch9wavefront6targetE1EEEvT1_,"axG",@progbits,_ZN7rocprim17ROCPRIM_400000_NS6detail17trampoline_kernelINS0_14default_configENS1_35adjacent_difference_config_selectorILb1ElEEZNS1_24adjacent_difference_implIS3_Lb1ELb0EPlS7_ZN2at6native12_GLOBAL__N_124unique_dim_cuda_templateIsEESt5tupleIJNS8_6TensorESD_SD_EERKSD_lbbbEUlllE1_EE10hipError_tPvRmT2_T3_mT4_P12ihipStream_tbEUlT_E_NS1_11comp_targetILNS1_3genE4ELNS1_11target_archE910ELNS1_3gpuE8ELNS1_3repE0EEENS1_30default_config_static_selectorELNS0_4arch9wavefront6targetE1EEEvT1_,comdat
	.globl	_ZN7rocprim17ROCPRIM_400000_NS6detail17trampoline_kernelINS0_14default_configENS1_35adjacent_difference_config_selectorILb1ElEEZNS1_24adjacent_difference_implIS3_Lb1ELb0EPlS7_ZN2at6native12_GLOBAL__N_124unique_dim_cuda_templateIsEESt5tupleIJNS8_6TensorESD_SD_EERKSD_lbbbEUlllE1_EE10hipError_tPvRmT2_T3_mT4_P12ihipStream_tbEUlT_E_NS1_11comp_targetILNS1_3genE4ELNS1_11target_archE910ELNS1_3gpuE8ELNS1_3repE0EEENS1_30default_config_static_selectorELNS0_4arch9wavefront6targetE1EEEvT1_ ; -- Begin function _ZN7rocprim17ROCPRIM_400000_NS6detail17trampoline_kernelINS0_14default_configENS1_35adjacent_difference_config_selectorILb1ElEEZNS1_24adjacent_difference_implIS3_Lb1ELb0EPlS7_ZN2at6native12_GLOBAL__N_124unique_dim_cuda_templateIsEESt5tupleIJNS8_6TensorESD_SD_EERKSD_lbbbEUlllE1_EE10hipError_tPvRmT2_T3_mT4_P12ihipStream_tbEUlT_E_NS1_11comp_targetILNS1_3genE4ELNS1_11target_archE910ELNS1_3gpuE8ELNS1_3repE0EEENS1_30default_config_static_selectorELNS0_4arch9wavefront6targetE1EEEvT1_
	.p2align	8
	.type	_ZN7rocprim17ROCPRIM_400000_NS6detail17trampoline_kernelINS0_14default_configENS1_35adjacent_difference_config_selectorILb1ElEEZNS1_24adjacent_difference_implIS3_Lb1ELb0EPlS7_ZN2at6native12_GLOBAL__N_124unique_dim_cuda_templateIsEESt5tupleIJNS8_6TensorESD_SD_EERKSD_lbbbEUlllE1_EE10hipError_tPvRmT2_T3_mT4_P12ihipStream_tbEUlT_E_NS1_11comp_targetILNS1_3genE4ELNS1_11target_archE910ELNS1_3gpuE8ELNS1_3repE0EEENS1_30default_config_static_selectorELNS0_4arch9wavefront6targetE1EEEvT1_,@function
_ZN7rocprim17ROCPRIM_400000_NS6detail17trampoline_kernelINS0_14default_configENS1_35adjacent_difference_config_selectorILb1ElEEZNS1_24adjacent_difference_implIS3_Lb1ELb0EPlS7_ZN2at6native12_GLOBAL__N_124unique_dim_cuda_templateIsEESt5tupleIJNS8_6TensorESD_SD_EERKSD_lbbbEUlllE1_EE10hipError_tPvRmT2_T3_mT4_P12ihipStream_tbEUlT_E_NS1_11comp_targetILNS1_3genE4ELNS1_11target_archE910ELNS1_3gpuE8ELNS1_3repE0EEENS1_30default_config_static_selectorELNS0_4arch9wavefront6targetE1EEEvT1_: ; @_ZN7rocprim17ROCPRIM_400000_NS6detail17trampoline_kernelINS0_14default_configENS1_35adjacent_difference_config_selectorILb1ElEEZNS1_24adjacent_difference_implIS3_Lb1ELb0EPlS7_ZN2at6native12_GLOBAL__N_124unique_dim_cuda_templateIsEESt5tupleIJNS8_6TensorESD_SD_EERKSD_lbbbEUlllE1_EE10hipError_tPvRmT2_T3_mT4_P12ihipStream_tbEUlT_E_NS1_11comp_targetILNS1_3genE4ELNS1_11target_archE910ELNS1_3gpuE8ELNS1_3repE0EEENS1_30default_config_static_selectorELNS0_4arch9wavefront6targetE1EEEvT1_
; %bb.0:
	s_load_dwordx16 s[8:23], s[4:5], 0x0
	s_mov_b32 s3, 0
	s_waitcnt lgkmcnt(0)
	s_lshl_b64 s[10:11], s[10:11], 3
	s_add_u32 s30, s8, s10
	s_addc_u32 s31, s9, s11
	s_lshl_b32 s8, s6, 10
	s_lshr_b64 s[0:1], s[14:15], 10
	s_and_b32 s2, s14, 0x3ff
	s_cmp_lg_u64 s[2:3], 0
	s_cselect_b64 s[4:5], -1, 0
	v_cndmask_b32_e64 v1, 0, 1, s[4:5]
	v_readfirstlane_b32 s2, v1
	s_add_u32 s26, s0, s2
	s_addc_u32 s27, s1, 0
	s_add_u32 s28, s22, s6
	s_addc_u32 s29, s23, 0
	s_mov_b32 s2, s6
	s_add_u32 s6, s26, -1
	s_addc_u32 s7, s27, -1
	v_pk_mov_b32 v[2:3], s[6:7], s[6:7] op_sel:[0,1]
	v_cmp_ge_u64_e64 s[0:1], s[28:29], v[2:3]
	s_mov_b64 s[4:5], -1
	s_and_b64 vcc, exec, s[0:1]
	s_cbranch_vccz .LBB680_6
; %bb.1:
	s_lshl_b32 s4, s6, 10
	s_mov_b32 s9, s3
	s_sub_i32 s15, s14, s4
	s_lshl_b64 s[4:5], s[8:9], 3
	s_add_u32 s4, s30, s4
	s_addc_u32 s5, s31, s5
	v_cmp_gt_u32_e32 vcc, s15, v0
                                        ; implicit-def: $vgpr2_vgpr3_vgpr4_vgpr5
	s_and_saveexec_b64 s[24:25], vcc
	s_cbranch_execz .LBB680_3
; %bb.2:
	v_lshlrev_b32_e32 v1, 3, v0
	global_load_dwordx2 v[2:3], v1, s[4:5]
.LBB680_3:
	s_or_b64 exec, exec, s[24:25]
	v_or_b32_e32 v1, 0x200, v0
	v_cmp_gt_u32_e32 vcc, s15, v1
	s_and_saveexec_b64 s[24:25], vcc
	s_cbranch_execz .LBB680_5
; %bb.4:
	v_lshlrev_b32_e32 v4, 3, v1
	global_load_dwordx2 v[4:5], v4, s[4:5]
.LBB680_5:
	s_or_b64 exec, exec, s[24:25]
	v_lshrrev_b32_e32 v6, 2, v0
	v_lshrrev_b32_e32 v1, 2, v1
	v_and_b32_e32 v6, 0x78, v6
	v_lshlrev_b32_e32 v7, 3, v0
	v_and_b32_e32 v1, 0xf8, v1
	v_add_u32_e32 v6, v6, v7
	v_add_u32_e32 v1, v1, v7
	s_mov_b64 s[4:5], 0
	s_waitcnt vmcnt(0)
	ds_write_b64 v6, v[2:3]
	ds_write_b64 v1, v[4:5] offset:4096
	s_waitcnt lgkmcnt(0)
	s_barrier
.LBB680_6:
	s_and_b64 vcc, exec, s[4:5]
	v_lshlrev_b32_e32 v1, 3, v0
	s_cbranch_vccz .LBB680_8
; %bb.7:
	s_mov_b32 s9, 0
	s_lshl_b64 s[4:5], s[8:9], 3
	s_add_u32 s4, s30, s4
	s_addc_u32 s5, s31, s5
	v_mov_b32_e32 v2, s5
	v_add_co_u32_e32 v3, vcc, s4, v1
	v_addc_co_u32_e32 v4, vcc, 0, v2, vcc
	v_add_co_u32_e32 v2, vcc, 0x1000, v3
	v_addc_co_u32_e32 v3, vcc, 0, v4, vcc
	global_load_dwordx2 v[4:5], v1, s[4:5]
	global_load_dwordx2 v[6:7], v[2:3], off
	v_lshrrev_b32_e32 v2, 2, v0
	v_or_b32_e32 v3, 0x200, v0
	v_and_b32_e32 v2, 0x78, v2
	v_lshrrev_b32_e32 v3, 2, v3
	v_add_u32_e32 v2, v2, v1
	v_and_b32_e32 v3, 0xf8, v3
	v_add_u32_e32 v3, v3, v1
	s_waitcnt vmcnt(1)
	ds_write_b64 v2, v[4:5]
	s_waitcnt vmcnt(0)
	ds_write_b64 v3, v[6:7] offset:4096
	s_waitcnt lgkmcnt(0)
	s_barrier
.LBB680_8:
	v_lshlrev_b32_e32 v2, 1, v0
	v_lshrrev_b32_e32 v3, 4, v0
	v_add_lshl_u32 v2, v3, v2, 3
	ds_read2_b64 v[2:5], v2 offset1:1
	s_cmp_eq_u64 s[28:29], 0
	s_mov_b64 s[24:25], 0
	s_waitcnt lgkmcnt(0)
	s_barrier
	s_cbranch_scc1 .LBB680_17
; %bb.9:
	s_lshl_b64 s[4:5], s[22:23], 3
	s_add_u32 s4, s20, s4
	s_addc_u32 s5, s21, s5
	s_lshl_b64 s[2:3], s[2:3], 3
	s_add_u32 s2, s4, s2
	s_addc_u32 s3, s5, s3
	s_add_u32 s2, s2, -8
	s_addc_u32 s3, s3, -1
	s_load_dwordx2 s[20:21], s[2:3], 0x0
	s_cmp_lg_u64 s[28:29], s[6:7]
	s_cbranch_scc0 .LBB680_18
; %bb.10:
	v_cmp_lt_i64_e64 s[2:3], s[16:17], 1
	v_pk_mov_b32 v[8:9], 0, 0
	v_cmp_gt_i64_e64 s[22:23], s[16:17], 0
	s_and_b64 vcc, exec, s[2:3]
	ds_write_b64 v1, v[4:5]
	s_cbranch_vccnz .LBB680_21
; %bb.11:
	v_mul_lo_u32 v8, v5, s16
	v_mul_lo_u32 v9, v4, s17
	v_mad_u64_u32 v[6:7], s[2:3], v4, s16, 0
	v_add3_u32 v7, v7, v9, v8
	v_mul_lo_u32 v10, v3, s16
	v_mul_lo_u32 v11, v2, s17
	v_mad_u64_u32 v[8:9], s[2:3], v2, s16, 0
	v_add3_u32 v9, v9, v11, v10
	v_lshlrev_b64 v[10:11], 1, v[6:7]
	v_mov_b32_e32 v6, s19
	v_add_co_u32_e32 v12, vcc, s18, v10
	v_addc_co_u32_e64 v13, s[2:3], v6, v11, vcc
	v_lshlrev_b64 v[6:7], 1, v[8:9]
	v_mov_b32_e32 v8, s19
	v_add_co_u32_e64 v14, s[2:3], s18, v6
	v_addc_co_u32_e64 v15, s[4:5], v8, v7, s[2:3]
	global_load_ushort v6, v[12:13], off
	global_load_ushort v8, v[14:15], off
	s_waitcnt vmcnt(0)
	v_cmp_eq_u16_e64 s[4:5], v6, v8
	v_mov_b32_e32 v8, 1
	v_mov_b32_e32 v9, 0
	s_and_saveexec_b64 s[24:25], s[4:5]
	s_cbranch_execz .LBB680_20
; %bb.12:
	v_mov_b32_e32 v6, s19
	v_addc_co_u32_e64 v7, s[2:3], v7, v6, s[2:3]
	v_add_co_u32_e64 v6, s[2:3], 2, v14
	v_mov_b32_e32 v8, s19
	v_addc_co_u32_e64 v7, s[2:3], 0, v7, s[2:3]
	v_addc_co_u32_e32 v9, vcc, v11, v8, vcc
	v_add_co_u32_e32 v8, vcc, 2, v12
	s_add_u32 s2, s16, -1
	v_addc_co_u32_e32 v9, vcc, 0, v9, vcc
	s_addc_u32 s3, s17, -1
	s_mov_b64 s[4:5], 0
	s_mov_b64 s[34:35], 0
                                        ; implicit-def: $sgpr30_sgpr31
	s_branch .LBB680_15
.LBB680_13:                             ;   in Loop: Header=BB680_15 Depth=1
	global_load_ushort v10, v[8:9], off
	global_load_ushort v11, v[6:7], off
	v_add_co_u32_e32 v6, vcc, 2, v6
	v_addc_co_u32_e32 v7, vcc, 0, v7, vcc
	v_add_co_u32_e32 v8, vcc, 2, v8
	v_addc_co_u32_e32 v9, vcc, 0, v9, vcc
	s_add_u32 s34, s34, 1
	s_addc_u32 s35, s35, 0
	s_andn2_b64 s[30:31], s[30:31], exec
	s_waitcnt vmcnt(0)
	v_cmp_ne_u16_e32 vcc, v10, v11
	s_and_b64 s[36:37], vcc, exec
	s_or_b64 s[30:31], s[30:31], s[36:37]
.LBB680_14:                             ;   in Loop: Header=BB680_15 Depth=1
	s_and_b64 s[36:37], exec, s[30:31]
	s_or_b64 s[4:5], s[36:37], s[4:5]
	v_pk_mov_b32 v[10:11], s[34:35], s[34:35] op_sel:[0,1]
	s_andn2_b64 exec, exec, s[4:5]
	s_cbranch_execz .LBB680_19
.LBB680_15:                             ; =>This Inner Loop Header: Depth=1
	s_or_b64 s[30:31], s[30:31], exec
	s_cmp_eq_u64 s[2:3], s[34:35]
	s_cbranch_scc0 .LBB680_13
; %bb.16:                               ;   in Loop: Header=BB680_15 Depth=1
                                        ; implicit-def: $vgpr6_vgpr7
                                        ; implicit-def: $vgpr8_vgpr9
	s_mov_b64 s[34:35], s[16:17]
	s_branch .LBB680_14
.LBB680_17:
                                        ; implicit-def: $sgpr22_sgpr23
                                        ; implicit-def: $vgpr8_vgpr9
	s_cbranch_execnz .LBB680_60
	s_branch .LBB680_108
.LBB680_18:
                                        ; implicit-def: $sgpr22_sgpr23
                                        ; implicit-def: $vgpr8_vgpr9
	s_cbranch_execnz .LBB680_33
	s_branch .LBB680_59
.LBB680_19:
	s_or_b64 exec, exec, s[4:5]
	v_cmp_gt_i64_e32 vcc, s[16:17], v[10:11]
	s_mov_b32 s2, 0
	v_cndmask_b32_e64 v8, 0, 1, vcc
	v_mov_b32_e32 v9, s2
.LBB680_20:
	s_or_b64 exec, exec, s[24:25]
.LBB680_21:
	v_cmp_ne_u32_e32 vcc, 0, v0
	s_waitcnt lgkmcnt(0)
	v_pk_mov_b32 v[6:7], s[20:21], s[20:21] op_sel:[0,1]
	s_barrier
	s_and_saveexec_b64 s[2:3], vcc
	s_cbranch_execz .LBB680_23
; %bb.22:
	v_add_u32_e32 v6, -8, v1
	ds_read_b64 v[6:7], v6
.LBB680_23:
	s_or_b64 exec, exec, s[2:3]
	s_mov_b64 s[30:31], 0
	s_andn2_b64 vcc, exec, s[22:23]
	s_mov_b64 s[22:23], 0
	s_cbranch_vccnz .LBB680_32
; %bb.24:
	v_mul_lo_u32 v12, v3, s16
	v_mul_lo_u32 v13, v2, s17
	v_mad_u64_u32 v[10:11], s[2:3], v2, s16, 0
	v_add3_u32 v11, v11, v13, v12
	s_waitcnt lgkmcnt(0)
	v_mul_lo_u32 v12, v7, s16
	v_mul_lo_u32 v13, v6, s17
	v_mad_u64_u32 v[6:7], s[2:3], v6, s16, 0
	v_lshlrev_b64 v[10:11], 1, v[10:11]
	v_add3_u32 v7, v7, v13, v12
	v_mov_b32_e32 v13, s19
	v_add_co_u32_e32 v12, vcc, s18, v10
	v_addc_co_u32_e64 v13, s[2:3], v13, v11, vcc
	v_lshlrev_b64 v[6:7], 1, v[6:7]
	v_mov_b32_e32 v10, s19
	v_add_co_u32_e64 v14, s[2:3], s18, v6
	v_addc_co_u32_e64 v15, s[4:5], v10, v7, s[2:3]
	global_load_ushort v6, v[12:13], off
	global_load_ushort v10, v[14:15], off
	s_mov_b64 s[22:23], -1
	s_waitcnt vmcnt(0)
	v_cmp_eq_u16_e64 s[4:5], v6, v10
	s_and_saveexec_b64 s[24:25], s[4:5]
	s_cbranch_execz .LBB680_31
; %bb.25:
	v_mov_b32_e32 v6, s19
	v_addc_co_u32_e64 v7, s[2:3], v7, v6, s[2:3]
	v_add_co_u32_e64 v6, s[2:3], 2, v14
	v_mov_b32_e32 v10, s19
	v_addc_co_u32_e64 v7, s[2:3], 0, v7, s[2:3]
	v_addc_co_u32_e32 v11, vcc, v11, v10, vcc
	v_add_co_u32_e32 v10, vcc, 2, v12
	s_add_u32 s2, s16, -1
	v_addc_co_u32_e32 v11, vcc, 0, v11, vcc
	s_addc_u32 s3, s17, -1
	s_mov_b64 s[4:5], 0
	s_mov_b64 s[34:35], 0
                                        ; implicit-def: $sgpr22_sgpr23
	s_branch .LBB680_28
.LBB680_26:                             ;   in Loop: Header=BB680_28 Depth=1
	global_load_ushort v12, v[10:11], off
	global_load_ushort v13, v[6:7], off
	v_add_co_u32_e32 v6, vcc, 2, v6
	v_addc_co_u32_e32 v7, vcc, 0, v7, vcc
	v_add_co_u32_e32 v10, vcc, 2, v10
	v_addc_co_u32_e32 v11, vcc, 0, v11, vcc
	s_add_u32 s34, s34, 1
	s_addc_u32 s35, s35, 0
	s_andn2_b64 s[22:23], s[22:23], exec
	s_waitcnt vmcnt(0)
	v_cmp_ne_u16_e32 vcc, v12, v13
	s_and_b64 s[36:37], vcc, exec
	s_or_b64 s[22:23], s[22:23], s[36:37]
.LBB680_27:                             ;   in Loop: Header=BB680_28 Depth=1
	s_and_b64 s[36:37], exec, s[22:23]
	s_or_b64 s[4:5], s[36:37], s[4:5]
	v_pk_mov_b32 v[12:13], s[34:35], s[34:35] op_sel:[0,1]
	s_andn2_b64 exec, exec, s[4:5]
	s_cbranch_execz .LBB680_30
.LBB680_28:                             ; =>This Inner Loop Header: Depth=1
	s_or_b64 s[22:23], s[22:23], exec
	s_cmp_eq_u64 s[2:3], s[34:35]
	s_cbranch_scc0 .LBB680_26
; %bb.29:                               ;   in Loop: Header=BB680_28 Depth=1
                                        ; implicit-def: $vgpr6_vgpr7
                                        ; implicit-def: $vgpr10_vgpr11
	s_mov_b64 s[34:35], s[16:17]
	s_branch .LBB680_27
.LBB680_30:
	s_or_b64 exec, exec, s[4:5]
	v_cmp_gt_i64_e32 vcc, s[16:17], v[12:13]
	s_orn2_b64 s[22:23], vcc, exec
.LBB680_31:
	s_or_b64 exec, exec, s[24:25]
.LBB680_32:
	s_mov_b64 s[24:25], -1
	s_and_b64 vcc, exec, s[30:31]
	s_cbranch_vccz .LBB680_59
.LBB680_33:
	s_lshl_b32 s2, s28, 10
	v_lshlrev_b32_e32 v16, 1, v0
	s_sub_i32 s7, s14, s2
	s_waitcnt lgkmcnt(0)
	v_or_b32_e32 v6, 1, v16
	v_cmp_gt_u32_e32 vcc, s7, v6
	v_pk_mov_b32 v[8:9], v[4:5], v[4:5] op_sel:[0,1]
	ds_write_b64 v1, v[4:5]
	v_pk_mov_b32 v[6:7], v[2:3], v[2:3] op_sel:[0,1]
	s_and_saveexec_b64 s[22:23], vcc
	s_cbranch_execz .LBB680_44
; %bb.34:
	v_cmp_lt_i64_e64 s[2:3], s[16:17], 1
	s_and_b64 vcc, exec, s[2:3]
	s_cbranch_vccnz .LBB680_41
; %bb.35:
	v_mul_lo_u32 v8, v5, s16
	v_mul_lo_u32 v9, v4, s17
	v_mad_u64_u32 v[6:7], s[2:3], v4, s16, 0
	v_add3_u32 v7, v7, v9, v8
	v_mul_lo_u32 v10, v3, s16
	v_mul_lo_u32 v11, v2, s17
	v_mad_u64_u32 v[8:9], s[2:3], v2, s16, 0
	v_add3_u32 v9, v9, v11, v10
	v_lshlrev_b64 v[10:11], 1, v[6:7]
	v_mov_b32_e32 v6, s19
	v_add_co_u32_e32 v12, vcc, s18, v10
	v_addc_co_u32_e64 v13, s[2:3], v6, v11, vcc
	v_lshlrev_b64 v[6:7], 1, v[8:9]
	v_mov_b32_e32 v8, s19
	v_add_co_u32_e64 v14, s[2:3], s18, v6
	v_addc_co_u32_e64 v15, s[4:5], v8, v7, s[2:3]
	global_load_ushort v6, v[12:13], off
	global_load_ushort v8, v[14:15], off
	s_waitcnt vmcnt(0)
	v_cmp_eq_u16_e64 s[4:5], v6, v8
	v_mov_b32_e32 v8, 1
	v_mov_b32_e32 v9, 0
	s_and_saveexec_b64 s[28:29], s[4:5]
	s_cbranch_execz .LBB680_43
; %bb.36:
	v_mov_b32_e32 v6, s19
	v_addc_co_u32_e64 v7, s[2:3], v7, v6, s[2:3]
	v_add_co_u32_e64 v6, s[2:3], 2, v14
	v_mov_b32_e32 v8, s19
	v_addc_co_u32_e64 v7, s[2:3], 0, v7, s[2:3]
	v_addc_co_u32_e32 v9, vcc, v11, v8, vcc
	v_add_co_u32_e32 v8, vcc, 2, v12
	s_add_u32 s2, s16, -1
	v_addc_co_u32_e32 v9, vcc, 0, v9, vcc
	s_addc_u32 s3, s17, -1
	s_mov_b64 s[4:5], 0
	s_mov_b64 s[34:35], 0
                                        ; implicit-def: $sgpr30_sgpr31
	s_branch .LBB680_39
.LBB680_37:                             ;   in Loop: Header=BB680_39 Depth=1
	global_load_ushort v10, v[8:9], off
	global_load_ushort v11, v[6:7], off
	v_add_co_u32_e32 v6, vcc, 2, v6
	v_addc_co_u32_e32 v7, vcc, 0, v7, vcc
	v_add_co_u32_e32 v8, vcc, 2, v8
	v_addc_co_u32_e32 v9, vcc, 0, v9, vcc
	s_add_u32 s34, s34, 1
	s_addc_u32 s35, s35, 0
	s_andn2_b64 s[30:31], s[30:31], exec
	s_waitcnt vmcnt(0)
	v_cmp_ne_u16_e32 vcc, v10, v11
	s_and_b64 s[36:37], vcc, exec
	s_or_b64 s[30:31], s[30:31], s[36:37]
.LBB680_38:                             ;   in Loop: Header=BB680_39 Depth=1
	s_and_b64 s[36:37], exec, s[30:31]
	s_or_b64 s[4:5], s[36:37], s[4:5]
	v_pk_mov_b32 v[10:11], s[34:35], s[34:35] op_sel:[0,1]
	s_andn2_b64 exec, exec, s[4:5]
	s_cbranch_execz .LBB680_42
.LBB680_39:                             ; =>This Inner Loop Header: Depth=1
	s_or_b64 s[30:31], s[30:31], exec
	s_cmp_eq_u64 s[2:3], s[34:35]
	s_cbranch_scc0 .LBB680_37
; %bb.40:                               ;   in Loop: Header=BB680_39 Depth=1
                                        ; implicit-def: $vgpr6_vgpr7
                                        ; implicit-def: $vgpr8_vgpr9
	s_mov_b64 s[34:35], s[16:17]
	s_branch .LBB680_38
.LBB680_41:
	v_pk_mov_b32 v[8:9], 0, 0
	s_branch .LBB680_44
.LBB680_42:
	s_or_b64 exec, exec, s[4:5]
	v_cmp_gt_i64_e32 vcc, s[16:17], v[10:11]
	s_mov_b32 s2, 0
	v_cndmask_b32_e64 v8, 0, 1, vcc
	v_mov_b32_e32 v9, s2
.LBB680_43:
	s_or_b64 exec, exec, s[28:29]
.LBB680_44:
	s_or_b64 exec, exec, s[22:23]
	v_cmp_ne_u32_e32 vcc, 0, v0
	v_pk_mov_b32 v[6:7], s[20:21], s[20:21] op_sel:[0,1]
	s_waitcnt lgkmcnt(0)
	s_barrier
	s_and_saveexec_b64 s[2:3], vcc
	s_cbranch_execz .LBB680_46
; %bb.45:
	v_add_u32_e32 v6, -8, v1
	ds_read_b64 v[6:7], v6
.LBB680_46:
	s_or_b64 exec, exec, s[2:3]
	v_cmp_gt_u32_e32 vcc, s7, v16
                                        ; implicit-def: $sgpr22_sgpr23
	s_and_saveexec_b64 s[20:21], vcc
	s_cbranch_execz .LBB680_58
; %bb.47:
	v_cmp_lt_i64_e64 s[2:3], s[16:17], 1
	s_and_b64 vcc, exec, s[2:3]
	s_cbranch_vccnz .LBB680_54
; %bb.48:
	v_mul_lo_u32 v12, v3, s16
	v_mul_lo_u32 v13, v2, s17
	v_mad_u64_u32 v[10:11], s[2:3], v2, s16, 0
	v_add3_u32 v11, v11, v13, v12
	s_waitcnt lgkmcnt(0)
	v_mul_lo_u32 v12, v7, s16
	v_mul_lo_u32 v13, v6, s17
	v_mad_u64_u32 v[6:7], s[2:3], v6, s16, 0
	v_lshlrev_b64 v[10:11], 1, v[10:11]
	v_add3_u32 v7, v7, v13, v12
	v_mov_b32_e32 v13, s19
	v_add_co_u32_e32 v12, vcc, s18, v10
	v_addc_co_u32_e64 v13, s[2:3], v13, v11, vcc
	v_lshlrev_b64 v[6:7], 1, v[6:7]
	v_mov_b32_e32 v10, s19
	v_add_co_u32_e64 v14, s[2:3], s18, v6
	v_addc_co_u32_e64 v15, s[4:5], v10, v7, s[2:3]
	global_load_ushort v6, v[12:13], off
	global_load_ushort v10, v[14:15], off
	s_mov_b64 s[28:29], -1
	s_waitcnt vmcnt(0)
	v_cmp_eq_u16_e64 s[4:5], v6, v10
	s_and_saveexec_b64 s[22:23], s[4:5]
	s_cbranch_execz .LBB680_56
; %bb.49:
	v_mov_b32_e32 v6, s19
	v_addc_co_u32_e64 v7, s[2:3], v7, v6, s[2:3]
	v_add_co_u32_e64 v6, s[2:3], 2, v14
	v_mov_b32_e32 v10, s19
	v_addc_co_u32_e64 v7, s[2:3], 0, v7, s[2:3]
	v_addc_co_u32_e32 v11, vcc, v11, v10, vcc
	v_add_co_u32_e32 v10, vcc, 2, v12
	s_add_u32 s2, s16, -1
	v_addc_co_u32_e32 v11, vcc, 0, v11, vcc
	s_addc_u32 s3, s17, -1
	s_mov_b64 s[4:5], 0
	s_mov_b64 s[30:31], 0
                                        ; implicit-def: $sgpr28_sgpr29
	s_branch .LBB680_52
.LBB680_50:                             ;   in Loop: Header=BB680_52 Depth=1
	global_load_ushort v12, v[10:11], off
	global_load_ushort v13, v[6:7], off
	v_add_co_u32_e32 v6, vcc, 2, v6
	v_addc_co_u32_e32 v7, vcc, 0, v7, vcc
	v_add_co_u32_e32 v10, vcc, 2, v10
	v_addc_co_u32_e32 v11, vcc, 0, v11, vcc
	s_add_u32 s30, s30, 1
	s_addc_u32 s31, s31, 0
	s_andn2_b64 s[28:29], s[28:29], exec
	s_waitcnt vmcnt(0)
	v_cmp_ne_u16_e32 vcc, v12, v13
	s_and_b64 s[34:35], vcc, exec
	s_or_b64 s[28:29], s[28:29], s[34:35]
.LBB680_51:                             ;   in Loop: Header=BB680_52 Depth=1
	s_and_b64 s[34:35], exec, s[28:29]
	s_or_b64 s[4:5], s[34:35], s[4:5]
	v_pk_mov_b32 v[12:13], s[30:31], s[30:31] op_sel:[0,1]
	s_andn2_b64 exec, exec, s[4:5]
	s_cbranch_execz .LBB680_55
.LBB680_52:                             ; =>This Inner Loop Header: Depth=1
	s_or_b64 s[28:29], s[28:29], exec
	s_cmp_eq_u64 s[2:3], s[30:31]
	s_cbranch_scc0 .LBB680_50
; %bb.53:                               ;   in Loop: Header=BB680_52 Depth=1
                                        ; implicit-def: $vgpr6_vgpr7
                                        ; implicit-def: $vgpr10_vgpr11
	s_mov_b64 s[30:31], s[16:17]
	s_branch .LBB680_51
.LBB680_54:
	s_mov_b64 s[28:29], 0
	s_branch .LBB680_57
.LBB680_55:
	s_or_b64 exec, exec, s[4:5]
	v_cmp_gt_i64_e32 vcc, s[16:17], v[12:13]
	s_orn2_b64 s[28:29], vcc, exec
.LBB680_56:
	s_or_b64 exec, exec, s[22:23]
.LBB680_57:
	s_and_b64 s[22:23], s[28:29], exec
	s_or_b64 s[24:25], s[24:25], exec
.LBB680_58:
	s_or_b64 exec, exec, s[20:21]
.LBB680_59:
	s_branch .LBB680_108
.LBB680_60:
	s_cmp_lg_u64 s[26:27], 1
	s_cbranch_scc0 .LBB680_68
; %bb.61:
	v_cmp_lt_i64_e64 s[2:3], s[16:17], 1
	v_pk_mov_b32 v[8:9], 0, 0
	v_cmp_gt_i64_e64 s[26:27], s[16:17], 0
	s_and_b64 vcc, exec, s[2:3]
	ds_write_b64 v1, v[4:5]
	s_cbranch_vccnz .LBB680_71
; %bb.62:
	v_mul_lo_u32 v8, v5, s16
	v_mul_lo_u32 v9, v4, s17
	s_waitcnt lgkmcnt(0)
	v_mad_u64_u32 v[6:7], s[2:3], v4, s16, 0
	v_add3_u32 v7, v7, v9, v8
	v_mul_lo_u32 v10, v3, s16
	v_mul_lo_u32 v11, v2, s17
	v_mad_u64_u32 v[8:9], s[2:3], v2, s16, 0
	v_add3_u32 v9, v9, v11, v10
	v_lshlrev_b64 v[10:11], 1, v[6:7]
	v_mov_b32_e32 v6, s19
	v_add_co_u32_e32 v12, vcc, s18, v10
	v_addc_co_u32_e64 v13, s[2:3], v6, v11, vcc
	v_lshlrev_b64 v[6:7], 1, v[8:9]
	v_mov_b32_e32 v8, s19
	v_add_co_u32_e64 v14, s[2:3], s18, v6
	v_addc_co_u32_e64 v15, s[4:5], v8, v7, s[2:3]
	global_load_ushort v6, v[12:13], off
	global_load_ushort v8, v[14:15], off
	s_waitcnt vmcnt(0)
	v_cmp_eq_u16_e64 s[4:5], v6, v8
	v_mov_b32_e32 v8, 1
	v_mov_b32_e32 v9, 0
	s_and_saveexec_b64 s[20:21], s[4:5]
	s_cbranch_execz .LBB680_70
; %bb.63:
	v_mov_b32_e32 v6, s19
	v_addc_co_u32_e64 v7, s[2:3], v7, v6, s[2:3]
	v_add_co_u32_e64 v6, s[2:3], 2, v14
	v_mov_b32_e32 v8, s19
	v_addc_co_u32_e64 v7, s[2:3], 0, v7, s[2:3]
	v_addc_co_u32_e32 v9, vcc, v11, v8, vcc
	v_add_co_u32_e32 v8, vcc, 2, v12
	s_add_u32 s2, s16, -1
	v_addc_co_u32_e32 v9, vcc, 0, v9, vcc
	s_addc_u32 s3, s17, -1
	s_mov_b64 s[4:5], 0
	s_mov_b64 s[28:29], 0
                                        ; implicit-def: $sgpr22_sgpr23
	s_branch .LBB680_66
.LBB680_64:                             ;   in Loop: Header=BB680_66 Depth=1
	global_load_ushort v10, v[8:9], off
	global_load_ushort v11, v[6:7], off
	v_add_co_u32_e32 v6, vcc, 2, v6
	v_addc_co_u32_e32 v7, vcc, 0, v7, vcc
	v_add_co_u32_e32 v8, vcc, 2, v8
	v_addc_co_u32_e32 v9, vcc, 0, v9, vcc
	s_add_u32 s28, s28, 1
	s_addc_u32 s29, s29, 0
	s_andn2_b64 s[22:23], s[22:23], exec
	s_waitcnt vmcnt(0)
	v_cmp_ne_u16_e32 vcc, v10, v11
	s_and_b64 s[30:31], vcc, exec
	s_or_b64 s[22:23], s[22:23], s[30:31]
.LBB680_65:                             ;   in Loop: Header=BB680_66 Depth=1
	s_and_b64 s[30:31], exec, s[22:23]
	s_or_b64 s[4:5], s[30:31], s[4:5]
	v_pk_mov_b32 v[10:11], s[28:29], s[28:29] op_sel:[0,1]
	s_andn2_b64 exec, exec, s[4:5]
	s_cbranch_execz .LBB680_69
.LBB680_66:                             ; =>This Inner Loop Header: Depth=1
	s_or_b64 s[22:23], s[22:23], exec
	s_cmp_eq_u64 s[2:3], s[28:29]
	s_cbranch_scc0 .LBB680_64
; %bb.67:                               ;   in Loop: Header=BB680_66 Depth=1
                                        ; implicit-def: $vgpr6_vgpr7
                                        ; implicit-def: $vgpr8_vgpr9
	s_mov_b64 s[28:29], s[16:17]
	s_branch .LBB680_65
.LBB680_68:
                                        ; implicit-def: $sgpr22_sgpr23
                                        ; implicit-def: $vgpr8_vgpr9
	s_cbranch_execnz .LBB680_84
	s_branch .LBB680_108
.LBB680_69:
	s_or_b64 exec, exec, s[4:5]
	v_cmp_gt_i64_e32 vcc, s[16:17], v[10:11]
	s_mov_b32 s2, 0
	v_cndmask_b32_e64 v8, 0, 1, vcc
	v_mov_b32_e32 v9, s2
.LBB680_70:
	s_or_b64 exec, exec, s[20:21]
.LBB680_71:
	v_cmp_ne_u32_e32 vcc, 0, v0
	s_waitcnt lgkmcnt(0)
	s_barrier
	s_waitcnt lgkmcnt(0)
                                        ; implicit-def: $sgpr22_sgpr23
	s_and_saveexec_b64 s[20:21], vcc
	s_cbranch_execz .LBB680_83
; %bb.72:
	s_andn2_b64 vcc, exec, s[26:27]
	s_cbranch_vccnz .LBB680_79
; %bb.73:
	v_add_u32_e32 v6, -8, v1
	ds_read_b64 v[6:7], v6
	v_mul_lo_u32 v12, v3, s16
	v_mul_lo_u32 v13, v2, s17
	v_mad_u64_u32 v[10:11], s[2:3], v2, s16, 0
	v_add3_u32 v11, v11, v13, v12
	s_waitcnt lgkmcnt(0)
	v_mul_lo_u32 v12, v7, s16
	v_mul_lo_u32 v13, v6, s17
	v_mad_u64_u32 v[6:7], s[2:3], v6, s16, 0
	v_lshlrev_b64 v[10:11], 1, v[10:11]
	v_add3_u32 v7, v7, v13, v12
	v_mov_b32_e32 v13, s19
	v_add_co_u32_e32 v12, vcc, s18, v10
	v_addc_co_u32_e64 v13, s[2:3], v13, v11, vcc
	v_lshlrev_b64 v[6:7], 1, v[6:7]
	v_mov_b32_e32 v10, s19
	v_add_co_u32_e64 v14, s[2:3], s18, v6
	v_addc_co_u32_e64 v15, s[4:5], v10, v7, s[2:3]
	global_load_ushort v6, v[12:13], off
	global_load_ushort v10, v[14:15], off
	s_mov_b64 s[26:27], -1
	s_waitcnt vmcnt(0)
	v_cmp_eq_u16_e64 s[4:5], v6, v10
	s_and_saveexec_b64 s[22:23], s[4:5]
	s_cbranch_execz .LBB680_81
; %bb.74:
	v_mov_b32_e32 v6, s19
	v_addc_co_u32_e64 v7, s[2:3], v7, v6, s[2:3]
	v_add_co_u32_e64 v6, s[2:3], 2, v14
	v_mov_b32_e32 v10, s19
	v_addc_co_u32_e64 v7, s[2:3], 0, v7, s[2:3]
	v_addc_co_u32_e32 v11, vcc, v11, v10, vcc
	v_add_co_u32_e32 v10, vcc, 2, v12
	s_add_u32 s2, s16, -1
	v_addc_co_u32_e32 v11, vcc, 0, v11, vcc
	s_addc_u32 s3, s17, -1
	s_mov_b64 s[4:5], 0
	s_mov_b64 s[28:29], 0
                                        ; implicit-def: $sgpr26_sgpr27
	s_branch .LBB680_77
.LBB680_75:                             ;   in Loop: Header=BB680_77 Depth=1
	global_load_ushort v12, v[10:11], off
	global_load_ushort v13, v[6:7], off
	v_add_co_u32_e32 v6, vcc, 2, v6
	v_addc_co_u32_e32 v7, vcc, 0, v7, vcc
	v_add_co_u32_e32 v10, vcc, 2, v10
	v_addc_co_u32_e32 v11, vcc, 0, v11, vcc
	s_add_u32 s28, s28, 1
	s_addc_u32 s29, s29, 0
	s_andn2_b64 s[26:27], s[26:27], exec
	s_waitcnt vmcnt(0)
	v_cmp_ne_u16_e32 vcc, v12, v13
	s_and_b64 s[30:31], vcc, exec
	s_or_b64 s[26:27], s[26:27], s[30:31]
.LBB680_76:                             ;   in Loop: Header=BB680_77 Depth=1
	s_and_b64 s[30:31], exec, s[26:27]
	s_or_b64 s[4:5], s[30:31], s[4:5]
	v_pk_mov_b32 v[12:13], s[28:29], s[28:29] op_sel:[0,1]
	s_andn2_b64 exec, exec, s[4:5]
	s_cbranch_execz .LBB680_80
.LBB680_77:                             ; =>This Inner Loop Header: Depth=1
	s_or_b64 s[26:27], s[26:27], exec
	s_cmp_eq_u64 s[2:3], s[28:29]
	s_cbranch_scc0 .LBB680_75
; %bb.78:                               ;   in Loop: Header=BB680_77 Depth=1
                                        ; implicit-def: $vgpr6_vgpr7
                                        ; implicit-def: $vgpr10_vgpr11
	s_mov_b64 s[28:29], s[16:17]
	s_branch .LBB680_76
.LBB680_79:
	s_mov_b64 s[26:27], 0
	s_branch .LBB680_82
.LBB680_80:
	s_or_b64 exec, exec, s[4:5]
	v_cmp_gt_i64_e32 vcc, s[16:17], v[12:13]
	s_orn2_b64 s[26:27], vcc, exec
.LBB680_81:
	s_or_b64 exec, exec, s[22:23]
.LBB680_82:
	s_and_b64 s[22:23], s[26:27], exec
	s_or_b64 s[24:25], s[24:25], exec
.LBB680_83:
	s_or_b64 exec, exec, s[20:21]
	s_branch .LBB680_108
.LBB680_84:
	v_lshlrev_b32_e32 v14, 1, v0
	s_waitcnt lgkmcnt(0)
	v_or_b32_e32 v6, 1, v14
	v_cmp_gt_u32_e32 vcc, s14, v6
	v_cmp_lt_i64_e64 s[20:21], s[16:17], 1
	v_pk_mov_b32 v[8:9], v[4:5], v[4:5] op_sel:[0,1]
	ds_write_b64 v1, v[4:5]
	v_pk_mov_b32 v[6:7], v[2:3], v[2:3] op_sel:[0,1]
	s_and_saveexec_b64 s[22:23], vcc
	s_cbranch_execz .LBB680_95
; %bb.85:
	s_and_b64 vcc, exec, s[20:21]
	s_cbranch_vccnz .LBB680_92
; %bb.86:
	v_mul_lo_u32 v6, v5, s16
	v_mul_lo_u32 v7, v4, s17
	v_mad_u64_u32 v[4:5], s[2:3], v4, s16, 0
	v_add3_u32 v5, v5, v7, v6
	v_mul_lo_u32 v6, v3, s16
	v_mul_lo_u32 v7, v2, s17
	v_mad_u64_u32 v[8:9], s[2:3], v2, s16, 0
	v_add3_u32 v9, v9, v7, v6
	v_lshlrev_b64 v[6:7], 1, v[4:5]
	v_mov_b32_e32 v4, s19
	v_add_co_u32_e32 v10, vcc, s18, v6
	v_addc_co_u32_e64 v11, s[2:3], v4, v7, vcc
	v_lshlrev_b64 v[4:5], 1, v[8:9]
	v_mov_b32_e32 v6, s19
	v_add_co_u32_e64 v12, s[2:3], s18, v4
	v_addc_co_u32_e64 v13, s[4:5], v6, v5, s[2:3]
	global_load_ushort v4, v[10:11], off
	global_load_ushort v6, v[12:13], off
	v_mov_b32_e32 v8, 1
	v_mov_b32_e32 v9, 0
	s_waitcnt vmcnt(0)
	v_cmp_eq_u16_e64 s[4:5], v4, v6
	s_and_saveexec_b64 s[26:27], s[4:5]
	s_cbranch_execz .LBB680_94
; %bb.87:
	v_mov_b32_e32 v4, s19
	v_addc_co_u32_e64 v5, s[2:3], v5, v4, s[2:3]
	v_add_co_u32_e64 v4, s[2:3], 2, v12
	v_mov_b32_e32 v6, s19
	v_addc_co_u32_e64 v5, s[2:3], 0, v5, s[2:3]
	v_addc_co_u32_e32 v7, vcc, v7, v6, vcc
	v_add_co_u32_e32 v6, vcc, 2, v10
	s_add_u32 s2, s16, -1
	v_addc_co_u32_e32 v7, vcc, 0, v7, vcc
	s_addc_u32 s3, s17, -1
	s_mov_b64 s[4:5], 0
	s_mov_b64 s[30:31], 0
                                        ; implicit-def: $sgpr28_sgpr29
	s_branch .LBB680_90
.LBB680_88:                             ;   in Loop: Header=BB680_90 Depth=1
	global_load_ushort v8, v[6:7], off
	global_load_ushort v9, v[4:5], off
	v_add_co_u32_e32 v4, vcc, 2, v4
	v_addc_co_u32_e32 v5, vcc, 0, v5, vcc
	v_add_co_u32_e32 v6, vcc, 2, v6
	v_addc_co_u32_e32 v7, vcc, 0, v7, vcc
	s_add_u32 s30, s30, 1
	s_addc_u32 s31, s31, 0
	s_andn2_b64 s[28:29], s[28:29], exec
	s_waitcnt vmcnt(0)
	v_cmp_ne_u16_e32 vcc, v8, v9
	s_and_b64 s[34:35], vcc, exec
	s_or_b64 s[28:29], s[28:29], s[34:35]
.LBB680_89:                             ;   in Loop: Header=BB680_90 Depth=1
	s_and_b64 s[34:35], exec, s[28:29]
	s_or_b64 s[4:5], s[34:35], s[4:5]
	v_pk_mov_b32 v[8:9], s[30:31], s[30:31] op_sel:[0,1]
	s_andn2_b64 exec, exec, s[4:5]
	s_cbranch_execz .LBB680_93
.LBB680_90:                             ; =>This Inner Loop Header: Depth=1
	s_or_b64 s[28:29], s[28:29], exec
	s_cmp_eq_u64 s[2:3], s[30:31]
	s_cbranch_scc0 .LBB680_88
; %bb.91:                               ;   in Loop: Header=BB680_90 Depth=1
                                        ; implicit-def: $vgpr4_vgpr5
                                        ; implicit-def: $vgpr6_vgpr7
	s_mov_b64 s[30:31], s[16:17]
	s_branch .LBB680_89
.LBB680_92:
	v_pk_mov_b32 v[8:9], 0, 0
	s_branch .LBB680_95
.LBB680_93:
	s_or_b64 exec, exec, s[4:5]
	v_cmp_gt_i64_e32 vcc, s[16:17], v[8:9]
	s_mov_b32 s2, 0
	v_cndmask_b32_e64 v8, 0, 1, vcc
	v_mov_b32_e32 v9, s2
.LBB680_94:
	s_or_b64 exec, exec, s[26:27]
.LBB680_95:
	s_or_b64 exec, exec, s[22:23]
	v_cmp_ne_u32_e32 vcc, 0, v0
	v_cmp_gt_u32_e64 s[2:3], s14, v14
	s_and_b64 s[2:3], vcc, s[2:3]
	s_waitcnt lgkmcnt(0)
	s_barrier
	s_waitcnt lgkmcnt(0)
                                        ; implicit-def: $sgpr22_sgpr23
	s_and_saveexec_b64 s[26:27], s[2:3]
	s_cbranch_execz .LBB680_107
; %bb.96:
	s_and_b64 vcc, exec, s[20:21]
	s_cbranch_vccnz .LBB680_103
; %bb.97:
	v_mul_lo_u32 v6, v3, s16
	v_add_u32_e32 v3, -8, v1
	ds_read_b64 v[4:5], v3
	v_mul_lo_u32 v7, v2, s17
	v_mad_u64_u32 v[2:3], s[2:3], v2, s16, 0
	v_add3_u32 v3, v3, v7, v6
	s_waitcnt lgkmcnt(0)
	v_mul_lo_u32 v5, v5, s16
	v_mul_lo_u32 v6, v4, s17
	v_mad_u64_u32 v[10:11], s[2:3], v4, s16, 0
	v_add3_u32 v11, v11, v6, v5
	v_lshlrev_b64 v[4:5], 1, v[2:3]
	v_mov_b32_e32 v2, s19
	v_add_co_u32_e32 v6, vcc, s18, v4
	v_addc_co_u32_e64 v7, s[2:3], v2, v5, vcc
	v_lshlrev_b64 v[2:3], 1, v[10:11]
	v_mov_b32_e32 v4, s19
	v_add_co_u32_e64 v10, s[2:3], s18, v2
	v_addc_co_u32_e64 v11, s[4:5], v4, v3, s[2:3]
	global_load_ushort v2, v[6:7], off
	global_load_ushort v4, v[10:11], off
	s_mov_b64 s[22:23], -1
	s_waitcnt vmcnt(0)
	v_cmp_eq_u16_e64 s[4:5], v2, v4
	s_and_saveexec_b64 s[20:21], s[4:5]
	s_cbranch_execz .LBB680_105
; %bb.98:
	v_mov_b32_e32 v2, s19
	v_addc_co_u32_e64 v3, s[2:3], v3, v2, s[2:3]
	v_add_co_u32_e64 v2, s[2:3], 2, v10
	v_mov_b32_e32 v4, s19
	v_addc_co_u32_e64 v3, s[2:3], 0, v3, s[2:3]
	v_addc_co_u32_e32 v5, vcc, v5, v4, vcc
	v_add_co_u32_e32 v4, vcc, 2, v6
	s_add_u32 s2, s16, -1
	v_addc_co_u32_e32 v5, vcc, 0, v5, vcc
	s_addc_u32 s3, s17, -1
	s_mov_b64 s[4:5], 0
	s_mov_b64 s[22:23], 0
                                        ; implicit-def: $sgpr18_sgpr19
	s_branch .LBB680_101
.LBB680_99:                             ;   in Loop: Header=BB680_101 Depth=1
	global_load_ushort v6, v[4:5], off
	global_load_ushort v7, v[2:3], off
	v_add_co_u32_e32 v2, vcc, 2, v2
	v_addc_co_u32_e32 v3, vcc, 0, v3, vcc
	v_add_co_u32_e32 v4, vcc, 2, v4
	v_addc_co_u32_e32 v5, vcc, 0, v5, vcc
	s_add_u32 s22, s22, 1
	s_addc_u32 s23, s23, 0
	s_andn2_b64 s[18:19], s[18:19], exec
	s_waitcnt vmcnt(0)
	v_cmp_ne_u16_e32 vcc, v6, v7
	s_and_b64 s[28:29], vcc, exec
	s_or_b64 s[18:19], s[18:19], s[28:29]
.LBB680_100:                            ;   in Loop: Header=BB680_101 Depth=1
	s_and_b64 s[28:29], exec, s[18:19]
	s_or_b64 s[4:5], s[28:29], s[4:5]
	v_pk_mov_b32 v[6:7], s[22:23], s[22:23] op_sel:[0,1]
	s_andn2_b64 exec, exec, s[4:5]
	s_cbranch_execz .LBB680_104
.LBB680_101:                            ; =>This Inner Loop Header: Depth=1
	s_or_b64 s[18:19], s[18:19], exec
	s_cmp_eq_u64 s[2:3], s[22:23]
	s_cbranch_scc0 .LBB680_99
; %bb.102:                              ;   in Loop: Header=BB680_101 Depth=1
                                        ; implicit-def: $vgpr2_vgpr3
                                        ; implicit-def: $vgpr4_vgpr5
	s_mov_b64 s[22:23], s[16:17]
	s_branch .LBB680_100
.LBB680_103:
	s_mov_b64 s[22:23], 0
	s_branch .LBB680_106
.LBB680_104:
	s_or_b64 exec, exec, s[4:5]
	v_cmp_gt_i64_e32 vcc, s[16:17], v[6:7]
	s_orn2_b64 s[22:23], vcc, exec
.LBB680_105:
	s_or_b64 exec, exec, s[20:21]
.LBB680_106:
	s_and_b64 s[22:23], s[22:23], exec
	s_or_b64 s[24:25], s[24:25], exec
                                        ; implicit-def: $vgpr2_vgpr3
.LBB680_107:
	s_or_b64 exec, exec, s[26:27]
.LBB680_108:
	s_and_saveexec_b64 s[2:3], s[24:25]
; %bb.109:
	s_mov_b32 s4, 0
	v_cndmask_b32_e64 v2, 0, 1, s[22:23]
	v_mov_b32_e32 v3, s4
; %bb.110:
	s_or_b64 exec, exec, s[2:3]
	s_add_u32 s4, s12, s10
	s_addc_u32 s5, s13, s11
	s_and_b64 vcc, exec, s[0:1]
	v_lshrrev_b32_e32 v10, 1, v0
	s_waitcnt lgkmcnt(0)
	s_barrier
	s_cbranch_vccz .LBB680_114
; %bb.111:
	v_and_b32_e32 v4, 0xf8, v10
	v_lshl_add_u32 v6, v0, 4, v4
	v_mov_b32_e32 v4, v8
	v_mov_b32_e32 v5, v9
	v_or_b32_e32 v11, 0x200, v0
	s_lshl_b32 s0, s6, 10
	s_mov_b32 s9, 0
	ds_write2_b64 v6, v[2:3], v[4:5] offset1:1
	v_lshrrev_b32_e32 v4, 5, v11
	s_sub_i32 s2, s14, s0
	s_lshl_b64 s[0:1], s[8:9], 3
	v_add_lshl_u32 v4, v4, v0, 3
	s_add_u32 s0, s4, s0
	s_waitcnt lgkmcnt(0)
	s_barrier
	ds_read_b64 v[4:5], v4 offset:4096
	s_addc_u32 s1, s5, s1
	v_mov_b32_e32 v7, s1
	v_add_co_u32_e32 v6, vcc, s0, v1
	v_addc_co_u32_e32 v7, vcc, 0, v7, vcc
	v_cmp_gt_u32_e32 vcc, s2, v0
	s_and_saveexec_b64 s[0:1], vcc
	s_cbranch_execz .LBB680_113
; %bb.112:
	v_lshrrev_b32_e32 v12, 5, v0
	v_add_lshl_u32 v12, v12, v0, 3
	ds_read_b64 v[12:13], v12
	s_waitcnt lgkmcnt(0)
	global_store_dwordx2 v[6:7], v[12:13], off
.LBB680_113:
	s_or_b64 exec, exec, s[0:1]
	v_cmp_gt_u32_e64 s[0:1], s2, v11
	s_branch .LBB680_116
.LBB680_114:
	s_mov_b64 s[0:1], 0
                                        ; implicit-def: $vgpr4_vgpr5
                                        ; implicit-def: $vgpr6_vgpr7
	s_cbranch_execz .LBB680_116
; %bb.115:
	s_waitcnt lgkmcnt(0)
	v_and_b32_e32 v4, 0xf8, v10
	v_lshl_add_u32 v6, v0, 4, v4
	v_mov_b32_e32 v4, v8
	v_mov_b32_e32 v5, v9
	s_mov_b32 s9, 0
	ds_write2_b64 v6, v[2:3], v[4:5] offset1:1
	v_lshrrev_b32_e32 v2, 5, v0
	v_or_b32_e32 v3, 0x200, v0
	s_lshl_b64 s[2:3], s[8:9], 3
	v_add_lshl_u32 v2, v2, v0, 3
	v_lshrrev_b32_e32 v3, 5, v3
	s_add_u32 s2, s4, s2
	s_waitcnt lgkmcnt(0)
	s_barrier
	v_add_lshl_u32 v0, v3, v0, 3
	ds_read_b64 v[2:3], v2
	ds_read_b64 v[4:5], v0 offset:4096
	s_addc_u32 s3, s5, s3
	v_mov_b32_e32 v0, s3
	v_add_co_u32_e32 v6, vcc, s2, v1
	v_addc_co_u32_e32 v7, vcc, 0, v0, vcc
	s_or_b64 s[0:1], s[0:1], exec
	s_waitcnt lgkmcnt(1)
	global_store_dwordx2 v1, v[2:3], s[2:3]
.LBB680_116:
	s_and_saveexec_b64 s[2:3], s[0:1]
	s_cbranch_execnz .LBB680_118
; %bb.117:
	s_endpgm
.LBB680_118:
	v_add_co_u32_e32 v0, vcc, 0x1000, v6
	v_addc_co_u32_e32 v1, vcc, 0, v7, vcc
	s_waitcnt lgkmcnt(0)
	global_store_dwordx2 v[0:1], v[4:5], off
	s_endpgm
	.section	.rodata,"a",@progbits
	.p2align	6, 0x0
	.amdhsa_kernel _ZN7rocprim17ROCPRIM_400000_NS6detail17trampoline_kernelINS0_14default_configENS1_35adjacent_difference_config_selectorILb1ElEEZNS1_24adjacent_difference_implIS3_Lb1ELb0EPlS7_ZN2at6native12_GLOBAL__N_124unique_dim_cuda_templateIsEESt5tupleIJNS8_6TensorESD_SD_EERKSD_lbbbEUlllE1_EE10hipError_tPvRmT2_T3_mT4_P12ihipStream_tbEUlT_E_NS1_11comp_targetILNS1_3genE4ELNS1_11target_archE910ELNS1_3gpuE8ELNS1_3repE0EEENS1_30default_config_static_selectorELNS0_4arch9wavefront6targetE1EEEvT1_
		.amdhsa_group_segment_fixed_size 8448
		.amdhsa_private_segment_fixed_size 0
		.amdhsa_kernarg_size 64
		.amdhsa_user_sgpr_count 6
		.amdhsa_user_sgpr_private_segment_buffer 1
		.amdhsa_user_sgpr_dispatch_ptr 0
		.amdhsa_user_sgpr_queue_ptr 0
		.amdhsa_user_sgpr_kernarg_segment_ptr 1
		.amdhsa_user_sgpr_dispatch_id 0
		.amdhsa_user_sgpr_flat_scratch_init 0
		.amdhsa_user_sgpr_kernarg_preload_length 0
		.amdhsa_user_sgpr_kernarg_preload_offset 0
		.amdhsa_user_sgpr_private_segment_size 0
		.amdhsa_uses_dynamic_stack 0
		.amdhsa_system_sgpr_private_segment_wavefront_offset 0
		.amdhsa_system_sgpr_workgroup_id_x 1
		.amdhsa_system_sgpr_workgroup_id_y 0
		.amdhsa_system_sgpr_workgroup_id_z 0
		.amdhsa_system_sgpr_workgroup_info 0
		.amdhsa_system_vgpr_workitem_id 0
		.amdhsa_next_free_vgpr 17
		.amdhsa_next_free_sgpr 38
		.amdhsa_accum_offset 20
		.amdhsa_reserve_vcc 1
		.amdhsa_reserve_flat_scratch 0
		.amdhsa_float_round_mode_32 0
		.amdhsa_float_round_mode_16_64 0
		.amdhsa_float_denorm_mode_32 3
		.amdhsa_float_denorm_mode_16_64 3
		.amdhsa_dx10_clamp 1
		.amdhsa_ieee_mode 1
		.amdhsa_fp16_overflow 0
		.amdhsa_tg_split 0
		.amdhsa_exception_fp_ieee_invalid_op 0
		.amdhsa_exception_fp_denorm_src 0
		.amdhsa_exception_fp_ieee_div_zero 0
		.amdhsa_exception_fp_ieee_overflow 0
		.amdhsa_exception_fp_ieee_underflow 0
		.amdhsa_exception_fp_ieee_inexact 0
		.amdhsa_exception_int_div_zero 0
	.end_amdhsa_kernel
	.section	.text._ZN7rocprim17ROCPRIM_400000_NS6detail17trampoline_kernelINS0_14default_configENS1_35adjacent_difference_config_selectorILb1ElEEZNS1_24adjacent_difference_implIS3_Lb1ELb0EPlS7_ZN2at6native12_GLOBAL__N_124unique_dim_cuda_templateIsEESt5tupleIJNS8_6TensorESD_SD_EERKSD_lbbbEUlllE1_EE10hipError_tPvRmT2_T3_mT4_P12ihipStream_tbEUlT_E_NS1_11comp_targetILNS1_3genE4ELNS1_11target_archE910ELNS1_3gpuE8ELNS1_3repE0EEENS1_30default_config_static_selectorELNS0_4arch9wavefront6targetE1EEEvT1_,"axG",@progbits,_ZN7rocprim17ROCPRIM_400000_NS6detail17trampoline_kernelINS0_14default_configENS1_35adjacent_difference_config_selectorILb1ElEEZNS1_24adjacent_difference_implIS3_Lb1ELb0EPlS7_ZN2at6native12_GLOBAL__N_124unique_dim_cuda_templateIsEESt5tupleIJNS8_6TensorESD_SD_EERKSD_lbbbEUlllE1_EE10hipError_tPvRmT2_T3_mT4_P12ihipStream_tbEUlT_E_NS1_11comp_targetILNS1_3genE4ELNS1_11target_archE910ELNS1_3gpuE8ELNS1_3repE0EEENS1_30default_config_static_selectorELNS0_4arch9wavefront6targetE1EEEvT1_,comdat
.Lfunc_end680:
	.size	_ZN7rocprim17ROCPRIM_400000_NS6detail17trampoline_kernelINS0_14default_configENS1_35adjacent_difference_config_selectorILb1ElEEZNS1_24adjacent_difference_implIS3_Lb1ELb0EPlS7_ZN2at6native12_GLOBAL__N_124unique_dim_cuda_templateIsEESt5tupleIJNS8_6TensorESD_SD_EERKSD_lbbbEUlllE1_EE10hipError_tPvRmT2_T3_mT4_P12ihipStream_tbEUlT_E_NS1_11comp_targetILNS1_3genE4ELNS1_11target_archE910ELNS1_3gpuE8ELNS1_3repE0EEENS1_30default_config_static_selectorELNS0_4arch9wavefront6targetE1EEEvT1_, .Lfunc_end680-_ZN7rocprim17ROCPRIM_400000_NS6detail17trampoline_kernelINS0_14default_configENS1_35adjacent_difference_config_selectorILb1ElEEZNS1_24adjacent_difference_implIS3_Lb1ELb0EPlS7_ZN2at6native12_GLOBAL__N_124unique_dim_cuda_templateIsEESt5tupleIJNS8_6TensorESD_SD_EERKSD_lbbbEUlllE1_EE10hipError_tPvRmT2_T3_mT4_P12ihipStream_tbEUlT_E_NS1_11comp_targetILNS1_3genE4ELNS1_11target_archE910ELNS1_3gpuE8ELNS1_3repE0EEENS1_30default_config_static_selectorELNS0_4arch9wavefront6targetE1EEEvT1_
                                        ; -- End function
	.section	.AMDGPU.csdata,"",@progbits
; Kernel info:
; codeLenInByte = 4304
; NumSgprs: 42
; NumVgprs: 17
; NumAgprs: 0
; TotalNumVgprs: 17
; ScratchSize: 0
; MemoryBound: 0
; FloatMode: 240
; IeeeMode: 1
; LDSByteSize: 8448 bytes/workgroup (compile time only)
; SGPRBlocks: 5
; VGPRBlocks: 2
; NumSGPRsForWavesPerEU: 42
; NumVGPRsForWavesPerEU: 17
; AccumOffset: 20
; Occupancy: 8
; WaveLimiterHint : 1
; COMPUTE_PGM_RSRC2:SCRATCH_EN: 0
; COMPUTE_PGM_RSRC2:USER_SGPR: 6
; COMPUTE_PGM_RSRC2:TRAP_HANDLER: 0
; COMPUTE_PGM_RSRC2:TGID_X_EN: 1
; COMPUTE_PGM_RSRC2:TGID_Y_EN: 0
; COMPUTE_PGM_RSRC2:TGID_Z_EN: 0
; COMPUTE_PGM_RSRC2:TIDIG_COMP_CNT: 0
; COMPUTE_PGM_RSRC3_GFX90A:ACCUM_OFFSET: 4
; COMPUTE_PGM_RSRC3_GFX90A:TG_SPLIT: 0
	.section	.text._ZN7rocprim17ROCPRIM_400000_NS6detail17trampoline_kernelINS0_14default_configENS1_35adjacent_difference_config_selectorILb1ElEEZNS1_24adjacent_difference_implIS3_Lb1ELb0EPlS7_ZN2at6native12_GLOBAL__N_124unique_dim_cuda_templateIsEESt5tupleIJNS8_6TensorESD_SD_EERKSD_lbbbEUlllE1_EE10hipError_tPvRmT2_T3_mT4_P12ihipStream_tbEUlT_E_NS1_11comp_targetILNS1_3genE3ELNS1_11target_archE908ELNS1_3gpuE7ELNS1_3repE0EEENS1_30default_config_static_selectorELNS0_4arch9wavefront6targetE1EEEvT1_,"axG",@progbits,_ZN7rocprim17ROCPRIM_400000_NS6detail17trampoline_kernelINS0_14default_configENS1_35adjacent_difference_config_selectorILb1ElEEZNS1_24adjacent_difference_implIS3_Lb1ELb0EPlS7_ZN2at6native12_GLOBAL__N_124unique_dim_cuda_templateIsEESt5tupleIJNS8_6TensorESD_SD_EERKSD_lbbbEUlllE1_EE10hipError_tPvRmT2_T3_mT4_P12ihipStream_tbEUlT_E_NS1_11comp_targetILNS1_3genE3ELNS1_11target_archE908ELNS1_3gpuE7ELNS1_3repE0EEENS1_30default_config_static_selectorELNS0_4arch9wavefront6targetE1EEEvT1_,comdat
	.globl	_ZN7rocprim17ROCPRIM_400000_NS6detail17trampoline_kernelINS0_14default_configENS1_35adjacent_difference_config_selectorILb1ElEEZNS1_24adjacent_difference_implIS3_Lb1ELb0EPlS7_ZN2at6native12_GLOBAL__N_124unique_dim_cuda_templateIsEESt5tupleIJNS8_6TensorESD_SD_EERKSD_lbbbEUlllE1_EE10hipError_tPvRmT2_T3_mT4_P12ihipStream_tbEUlT_E_NS1_11comp_targetILNS1_3genE3ELNS1_11target_archE908ELNS1_3gpuE7ELNS1_3repE0EEENS1_30default_config_static_selectorELNS0_4arch9wavefront6targetE1EEEvT1_ ; -- Begin function _ZN7rocprim17ROCPRIM_400000_NS6detail17trampoline_kernelINS0_14default_configENS1_35adjacent_difference_config_selectorILb1ElEEZNS1_24adjacent_difference_implIS3_Lb1ELb0EPlS7_ZN2at6native12_GLOBAL__N_124unique_dim_cuda_templateIsEESt5tupleIJNS8_6TensorESD_SD_EERKSD_lbbbEUlllE1_EE10hipError_tPvRmT2_T3_mT4_P12ihipStream_tbEUlT_E_NS1_11comp_targetILNS1_3genE3ELNS1_11target_archE908ELNS1_3gpuE7ELNS1_3repE0EEENS1_30default_config_static_selectorELNS0_4arch9wavefront6targetE1EEEvT1_
	.p2align	8
	.type	_ZN7rocprim17ROCPRIM_400000_NS6detail17trampoline_kernelINS0_14default_configENS1_35adjacent_difference_config_selectorILb1ElEEZNS1_24adjacent_difference_implIS3_Lb1ELb0EPlS7_ZN2at6native12_GLOBAL__N_124unique_dim_cuda_templateIsEESt5tupleIJNS8_6TensorESD_SD_EERKSD_lbbbEUlllE1_EE10hipError_tPvRmT2_T3_mT4_P12ihipStream_tbEUlT_E_NS1_11comp_targetILNS1_3genE3ELNS1_11target_archE908ELNS1_3gpuE7ELNS1_3repE0EEENS1_30default_config_static_selectorELNS0_4arch9wavefront6targetE1EEEvT1_,@function
_ZN7rocprim17ROCPRIM_400000_NS6detail17trampoline_kernelINS0_14default_configENS1_35adjacent_difference_config_selectorILb1ElEEZNS1_24adjacent_difference_implIS3_Lb1ELb0EPlS7_ZN2at6native12_GLOBAL__N_124unique_dim_cuda_templateIsEESt5tupleIJNS8_6TensorESD_SD_EERKSD_lbbbEUlllE1_EE10hipError_tPvRmT2_T3_mT4_P12ihipStream_tbEUlT_E_NS1_11comp_targetILNS1_3genE3ELNS1_11target_archE908ELNS1_3gpuE7ELNS1_3repE0EEENS1_30default_config_static_selectorELNS0_4arch9wavefront6targetE1EEEvT1_: ; @_ZN7rocprim17ROCPRIM_400000_NS6detail17trampoline_kernelINS0_14default_configENS1_35adjacent_difference_config_selectorILb1ElEEZNS1_24adjacent_difference_implIS3_Lb1ELb0EPlS7_ZN2at6native12_GLOBAL__N_124unique_dim_cuda_templateIsEESt5tupleIJNS8_6TensorESD_SD_EERKSD_lbbbEUlllE1_EE10hipError_tPvRmT2_T3_mT4_P12ihipStream_tbEUlT_E_NS1_11comp_targetILNS1_3genE3ELNS1_11target_archE908ELNS1_3gpuE7ELNS1_3repE0EEENS1_30default_config_static_selectorELNS0_4arch9wavefront6targetE1EEEvT1_
; %bb.0:
	.section	.rodata,"a",@progbits
	.p2align	6, 0x0
	.amdhsa_kernel _ZN7rocprim17ROCPRIM_400000_NS6detail17trampoline_kernelINS0_14default_configENS1_35adjacent_difference_config_selectorILb1ElEEZNS1_24adjacent_difference_implIS3_Lb1ELb0EPlS7_ZN2at6native12_GLOBAL__N_124unique_dim_cuda_templateIsEESt5tupleIJNS8_6TensorESD_SD_EERKSD_lbbbEUlllE1_EE10hipError_tPvRmT2_T3_mT4_P12ihipStream_tbEUlT_E_NS1_11comp_targetILNS1_3genE3ELNS1_11target_archE908ELNS1_3gpuE7ELNS1_3repE0EEENS1_30default_config_static_selectorELNS0_4arch9wavefront6targetE1EEEvT1_
		.amdhsa_group_segment_fixed_size 0
		.amdhsa_private_segment_fixed_size 0
		.amdhsa_kernarg_size 64
		.amdhsa_user_sgpr_count 6
		.amdhsa_user_sgpr_private_segment_buffer 1
		.amdhsa_user_sgpr_dispatch_ptr 0
		.amdhsa_user_sgpr_queue_ptr 0
		.amdhsa_user_sgpr_kernarg_segment_ptr 1
		.amdhsa_user_sgpr_dispatch_id 0
		.amdhsa_user_sgpr_flat_scratch_init 0
		.amdhsa_user_sgpr_kernarg_preload_length 0
		.amdhsa_user_sgpr_kernarg_preload_offset 0
		.amdhsa_user_sgpr_private_segment_size 0
		.amdhsa_uses_dynamic_stack 0
		.amdhsa_system_sgpr_private_segment_wavefront_offset 0
		.amdhsa_system_sgpr_workgroup_id_x 1
		.amdhsa_system_sgpr_workgroup_id_y 0
		.amdhsa_system_sgpr_workgroup_id_z 0
		.amdhsa_system_sgpr_workgroup_info 0
		.amdhsa_system_vgpr_workitem_id 0
		.amdhsa_next_free_vgpr 1
		.amdhsa_next_free_sgpr 0
		.amdhsa_accum_offset 4
		.amdhsa_reserve_vcc 0
		.amdhsa_reserve_flat_scratch 0
		.amdhsa_float_round_mode_32 0
		.amdhsa_float_round_mode_16_64 0
		.amdhsa_float_denorm_mode_32 3
		.amdhsa_float_denorm_mode_16_64 3
		.amdhsa_dx10_clamp 1
		.amdhsa_ieee_mode 1
		.amdhsa_fp16_overflow 0
		.amdhsa_tg_split 0
		.amdhsa_exception_fp_ieee_invalid_op 0
		.amdhsa_exception_fp_denorm_src 0
		.amdhsa_exception_fp_ieee_div_zero 0
		.amdhsa_exception_fp_ieee_overflow 0
		.amdhsa_exception_fp_ieee_underflow 0
		.amdhsa_exception_fp_ieee_inexact 0
		.amdhsa_exception_int_div_zero 0
	.end_amdhsa_kernel
	.section	.text._ZN7rocprim17ROCPRIM_400000_NS6detail17trampoline_kernelINS0_14default_configENS1_35adjacent_difference_config_selectorILb1ElEEZNS1_24adjacent_difference_implIS3_Lb1ELb0EPlS7_ZN2at6native12_GLOBAL__N_124unique_dim_cuda_templateIsEESt5tupleIJNS8_6TensorESD_SD_EERKSD_lbbbEUlllE1_EE10hipError_tPvRmT2_T3_mT4_P12ihipStream_tbEUlT_E_NS1_11comp_targetILNS1_3genE3ELNS1_11target_archE908ELNS1_3gpuE7ELNS1_3repE0EEENS1_30default_config_static_selectorELNS0_4arch9wavefront6targetE1EEEvT1_,"axG",@progbits,_ZN7rocprim17ROCPRIM_400000_NS6detail17trampoline_kernelINS0_14default_configENS1_35adjacent_difference_config_selectorILb1ElEEZNS1_24adjacent_difference_implIS3_Lb1ELb0EPlS7_ZN2at6native12_GLOBAL__N_124unique_dim_cuda_templateIsEESt5tupleIJNS8_6TensorESD_SD_EERKSD_lbbbEUlllE1_EE10hipError_tPvRmT2_T3_mT4_P12ihipStream_tbEUlT_E_NS1_11comp_targetILNS1_3genE3ELNS1_11target_archE908ELNS1_3gpuE7ELNS1_3repE0EEENS1_30default_config_static_selectorELNS0_4arch9wavefront6targetE1EEEvT1_,comdat
.Lfunc_end681:
	.size	_ZN7rocprim17ROCPRIM_400000_NS6detail17trampoline_kernelINS0_14default_configENS1_35adjacent_difference_config_selectorILb1ElEEZNS1_24adjacent_difference_implIS3_Lb1ELb0EPlS7_ZN2at6native12_GLOBAL__N_124unique_dim_cuda_templateIsEESt5tupleIJNS8_6TensorESD_SD_EERKSD_lbbbEUlllE1_EE10hipError_tPvRmT2_T3_mT4_P12ihipStream_tbEUlT_E_NS1_11comp_targetILNS1_3genE3ELNS1_11target_archE908ELNS1_3gpuE7ELNS1_3repE0EEENS1_30default_config_static_selectorELNS0_4arch9wavefront6targetE1EEEvT1_, .Lfunc_end681-_ZN7rocprim17ROCPRIM_400000_NS6detail17trampoline_kernelINS0_14default_configENS1_35adjacent_difference_config_selectorILb1ElEEZNS1_24adjacent_difference_implIS3_Lb1ELb0EPlS7_ZN2at6native12_GLOBAL__N_124unique_dim_cuda_templateIsEESt5tupleIJNS8_6TensorESD_SD_EERKSD_lbbbEUlllE1_EE10hipError_tPvRmT2_T3_mT4_P12ihipStream_tbEUlT_E_NS1_11comp_targetILNS1_3genE3ELNS1_11target_archE908ELNS1_3gpuE7ELNS1_3repE0EEENS1_30default_config_static_selectorELNS0_4arch9wavefront6targetE1EEEvT1_
                                        ; -- End function
	.section	.AMDGPU.csdata,"",@progbits
; Kernel info:
; codeLenInByte = 0
; NumSgprs: 4
; NumVgprs: 0
; NumAgprs: 0
; TotalNumVgprs: 0
; ScratchSize: 0
; MemoryBound: 0
; FloatMode: 240
; IeeeMode: 1
; LDSByteSize: 0 bytes/workgroup (compile time only)
; SGPRBlocks: 0
; VGPRBlocks: 0
; NumSGPRsForWavesPerEU: 4
; NumVGPRsForWavesPerEU: 1
; AccumOffset: 4
; Occupancy: 8
; WaveLimiterHint : 0
; COMPUTE_PGM_RSRC2:SCRATCH_EN: 0
; COMPUTE_PGM_RSRC2:USER_SGPR: 6
; COMPUTE_PGM_RSRC2:TRAP_HANDLER: 0
; COMPUTE_PGM_RSRC2:TGID_X_EN: 1
; COMPUTE_PGM_RSRC2:TGID_Y_EN: 0
; COMPUTE_PGM_RSRC2:TGID_Z_EN: 0
; COMPUTE_PGM_RSRC2:TIDIG_COMP_CNT: 0
; COMPUTE_PGM_RSRC3_GFX90A:ACCUM_OFFSET: 0
; COMPUTE_PGM_RSRC3_GFX90A:TG_SPLIT: 0
	.section	.text._ZN7rocprim17ROCPRIM_400000_NS6detail17trampoline_kernelINS0_14default_configENS1_35adjacent_difference_config_selectorILb1ElEEZNS1_24adjacent_difference_implIS3_Lb1ELb0EPlS7_ZN2at6native12_GLOBAL__N_124unique_dim_cuda_templateIsEESt5tupleIJNS8_6TensorESD_SD_EERKSD_lbbbEUlllE1_EE10hipError_tPvRmT2_T3_mT4_P12ihipStream_tbEUlT_E_NS1_11comp_targetILNS1_3genE2ELNS1_11target_archE906ELNS1_3gpuE6ELNS1_3repE0EEENS1_30default_config_static_selectorELNS0_4arch9wavefront6targetE1EEEvT1_,"axG",@progbits,_ZN7rocprim17ROCPRIM_400000_NS6detail17trampoline_kernelINS0_14default_configENS1_35adjacent_difference_config_selectorILb1ElEEZNS1_24adjacent_difference_implIS3_Lb1ELb0EPlS7_ZN2at6native12_GLOBAL__N_124unique_dim_cuda_templateIsEESt5tupleIJNS8_6TensorESD_SD_EERKSD_lbbbEUlllE1_EE10hipError_tPvRmT2_T3_mT4_P12ihipStream_tbEUlT_E_NS1_11comp_targetILNS1_3genE2ELNS1_11target_archE906ELNS1_3gpuE6ELNS1_3repE0EEENS1_30default_config_static_selectorELNS0_4arch9wavefront6targetE1EEEvT1_,comdat
	.globl	_ZN7rocprim17ROCPRIM_400000_NS6detail17trampoline_kernelINS0_14default_configENS1_35adjacent_difference_config_selectorILb1ElEEZNS1_24adjacent_difference_implIS3_Lb1ELb0EPlS7_ZN2at6native12_GLOBAL__N_124unique_dim_cuda_templateIsEESt5tupleIJNS8_6TensorESD_SD_EERKSD_lbbbEUlllE1_EE10hipError_tPvRmT2_T3_mT4_P12ihipStream_tbEUlT_E_NS1_11comp_targetILNS1_3genE2ELNS1_11target_archE906ELNS1_3gpuE6ELNS1_3repE0EEENS1_30default_config_static_selectorELNS0_4arch9wavefront6targetE1EEEvT1_ ; -- Begin function _ZN7rocprim17ROCPRIM_400000_NS6detail17trampoline_kernelINS0_14default_configENS1_35adjacent_difference_config_selectorILb1ElEEZNS1_24adjacent_difference_implIS3_Lb1ELb0EPlS7_ZN2at6native12_GLOBAL__N_124unique_dim_cuda_templateIsEESt5tupleIJNS8_6TensorESD_SD_EERKSD_lbbbEUlllE1_EE10hipError_tPvRmT2_T3_mT4_P12ihipStream_tbEUlT_E_NS1_11comp_targetILNS1_3genE2ELNS1_11target_archE906ELNS1_3gpuE6ELNS1_3repE0EEENS1_30default_config_static_selectorELNS0_4arch9wavefront6targetE1EEEvT1_
	.p2align	8
	.type	_ZN7rocprim17ROCPRIM_400000_NS6detail17trampoline_kernelINS0_14default_configENS1_35adjacent_difference_config_selectorILb1ElEEZNS1_24adjacent_difference_implIS3_Lb1ELb0EPlS7_ZN2at6native12_GLOBAL__N_124unique_dim_cuda_templateIsEESt5tupleIJNS8_6TensorESD_SD_EERKSD_lbbbEUlllE1_EE10hipError_tPvRmT2_T3_mT4_P12ihipStream_tbEUlT_E_NS1_11comp_targetILNS1_3genE2ELNS1_11target_archE906ELNS1_3gpuE6ELNS1_3repE0EEENS1_30default_config_static_selectorELNS0_4arch9wavefront6targetE1EEEvT1_,@function
_ZN7rocprim17ROCPRIM_400000_NS6detail17trampoline_kernelINS0_14default_configENS1_35adjacent_difference_config_selectorILb1ElEEZNS1_24adjacent_difference_implIS3_Lb1ELb0EPlS7_ZN2at6native12_GLOBAL__N_124unique_dim_cuda_templateIsEESt5tupleIJNS8_6TensorESD_SD_EERKSD_lbbbEUlllE1_EE10hipError_tPvRmT2_T3_mT4_P12ihipStream_tbEUlT_E_NS1_11comp_targetILNS1_3genE2ELNS1_11target_archE906ELNS1_3gpuE6ELNS1_3repE0EEENS1_30default_config_static_selectorELNS0_4arch9wavefront6targetE1EEEvT1_: ; @_ZN7rocprim17ROCPRIM_400000_NS6detail17trampoline_kernelINS0_14default_configENS1_35adjacent_difference_config_selectorILb1ElEEZNS1_24adjacent_difference_implIS3_Lb1ELb0EPlS7_ZN2at6native12_GLOBAL__N_124unique_dim_cuda_templateIsEESt5tupleIJNS8_6TensorESD_SD_EERKSD_lbbbEUlllE1_EE10hipError_tPvRmT2_T3_mT4_P12ihipStream_tbEUlT_E_NS1_11comp_targetILNS1_3genE2ELNS1_11target_archE906ELNS1_3gpuE6ELNS1_3repE0EEENS1_30default_config_static_selectorELNS0_4arch9wavefront6targetE1EEEvT1_
; %bb.0:
	.section	.rodata,"a",@progbits
	.p2align	6, 0x0
	.amdhsa_kernel _ZN7rocprim17ROCPRIM_400000_NS6detail17trampoline_kernelINS0_14default_configENS1_35adjacent_difference_config_selectorILb1ElEEZNS1_24adjacent_difference_implIS3_Lb1ELb0EPlS7_ZN2at6native12_GLOBAL__N_124unique_dim_cuda_templateIsEESt5tupleIJNS8_6TensorESD_SD_EERKSD_lbbbEUlllE1_EE10hipError_tPvRmT2_T3_mT4_P12ihipStream_tbEUlT_E_NS1_11comp_targetILNS1_3genE2ELNS1_11target_archE906ELNS1_3gpuE6ELNS1_3repE0EEENS1_30default_config_static_selectorELNS0_4arch9wavefront6targetE1EEEvT1_
		.amdhsa_group_segment_fixed_size 0
		.amdhsa_private_segment_fixed_size 0
		.amdhsa_kernarg_size 64
		.amdhsa_user_sgpr_count 6
		.amdhsa_user_sgpr_private_segment_buffer 1
		.amdhsa_user_sgpr_dispatch_ptr 0
		.amdhsa_user_sgpr_queue_ptr 0
		.amdhsa_user_sgpr_kernarg_segment_ptr 1
		.amdhsa_user_sgpr_dispatch_id 0
		.amdhsa_user_sgpr_flat_scratch_init 0
		.amdhsa_user_sgpr_kernarg_preload_length 0
		.amdhsa_user_sgpr_kernarg_preload_offset 0
		.amdhsa_user_sgpr_private_segment_size 0
		.amdhsa_uses_dynamic_stack 0
		.amdhsa_system_sgpr_private_segment_wavefront_offset 0
		.amdhsa_system_sgpr_workgroup_id_x 1
		.amdhsa_system_sgpr_workgroup_id_y 0
		.amdhsa_system_sgpr_workgroup_id_z 0
		.amdhsa_system_sgpr_workgroup_info 0
		.amdhsa_system_vgpr_workitem_id 0
		.amdhsa_next_free_vgpr 1
		.amdhsa_next_free_sgpr 0
		.amdhsa_accum_offset 4
		.amdhsa_reserve_vcc 0
		.amdhsa_reserve_flat_scratch 0
		.amdhsa_float_round_mode_32 0
		.amdhsa_float_round_mode_16_64 0
		.amdhsa_float_denorm_mode_32 3
		.amdhsa_float_denorm_mode_16_64 3
		.amdhsa_dx10_clamp 1
		.amdhsa_ieee_mode 1
		.amdhsa_fp16_overflow 0
		.amdhsa_tg_split 0
		.amdhsa_exception_fp_ieee_invalid_op 0
		.amdhsa_exception_fp_denorm_src 0
		.amdhsa_exception_fp_ieee_div_zero 0
		.amdhsa_exception_fp_ieee_overflow 0
		.amdhsa_exception_fp_ieee_underflow 0
		.amdhsa_exception_fp_ieee_inexact 0
		.amdhsa_exception_int_div_zero 0
	.end_amdhsa_kernel
	.section	.text._ZN7rocprim17ROCPRIM_400000_NS6detail17trampoline_kernelINS0_14default_configENS1_35adjacent_difference_config_selectorILb1ElEEZNS1_24adjacent_difference_implIS3_Lb1ELb0EPlS7_ZN2at6native12_GLOBAL__N_124unique_dim_cuda_templateIsEESt5tupleIJNS8_6TensorESD_SD_EERKSD_lbbbEUlllE1_EE10hipError_tPvRmT2_T3_mT4_P12ihipStream_tbEUlT_E_NS1_11comp_targetILNS1_3genE2ELNS1_11target_archE906ELNS1_3gpuE6ELNS1_3repE0EEENS1_30default_config_static_selectorELNS0_4arch9wavefront6targetE1EEEvT1_,"axG",@progbits,_ZN7rocprim17ROCPRIM_400000_NS6detail17trampoline_kernelINS0_14default_configENS1_35adjacent_difference_config_selectorILb1ElEEZNS1_24adjacent_difference_implIS3_Lb1ELb0EPlS7_ZN2at6native12_GLOBAL__N_124unique_dim_cuda_templateIsEESt5tupleIJNS8_6TensorESD_SD_EERKSD_lbbbEUlllE1_EE10hipError_tPvRmT2_T3_mT4_P12ihipStream_tbEUlT_E_NS1_11comp_targetILNS1_3genE2ELNS1_11target_archE906ELNS1_3gpuE6ELNS1_3repE0EEENS1_30default_config_static_selectorELNS0_4arch9wavefront6targetE1EEEvT1_,comdat
.Lfunc_end682:
	.size	_ZN7rocprim17ROCPRIM_400000_NS6detail17trampoline_kernelINS0_14default_configENS1_35adjacent_difference_config_selectorILb1ElEEZNS1_24adjacent_difference_implIS3_Lb1ELb0EPlS7_ZN2at6native12_GLOBAL__N_124unique_dim_cuda_templateIsEESt5tupleIJNS8_6TensorESD_SD_EERKSD_lbbbEUlllE1_EE10hipError_tPvRmT2_T3_mT4_P12ihipStream_tbEUlT_E_NS1_11comp_targetILNS1_3genE2ELNS1_11target_archE906ELNS1_3gpuE6ELNS1_3repE0EEENS1_30default_config_static_selectorELNS0_4arch9wavefront6targetE1EEEvT1_, .Lfunc_end682-_ZN7rocprim17ROCPRIM_400000_NS6detail17trampoline_kernelINS0_14default_configENS1_35adjacent_difference_config_selectorILb1ElEEZNS1_24adjacent_difference_implIS3_Lb1ELb0EPlS7_ZN2at6native12_GLOBAL__N_124unique_dim_cuda_templateIsEESt5tupleIJNS8_6TensorESD_SD_EERKSD_lbbbEUlllE1_EE10hipError_tPvRmT2_T3_mT4_P12ihipStream_tbEUlT_E_NS1_11comp_targetILNS1_3genE2ELNS1_11target_archE906ELNS1_3gpuE6ELNS1_3repE0EEENS1_30default_config_static_selectorELNS0_4arch9wavefront6targetE1EEEvT1_
                                        ; -- End function
	.section	.AMDGPU.csdata,"",@progbits
; Kernel info:
; codeLenInByte = 0
; NumSgprs: 4
; NumVgprs: 0
; NumAgprs: 0
; TotalNumVgprs: 0
; ScratchSize: 0
; MemoryBound: 0
; FloatMode: 240
; IeeeMode: 1
; LDSByteSize: 0 bytes/workgroup (compile time only)
; SGPRBlocks: 0
; VGPRBlocks: 0
; NumSGPRsForWavesPerEU: 4
; NumVGPRsForWavesPerEU: 1
; AccumOffset: 4
; Occupancy: 8
; WaveLimiterHint : 0
; COMPUTE_PGM_RSRC2:SCRATCH_EN: 0
; COMPUTE_PGM_RSRC2:USER_SGPR: 6
; COMPUTE_PGM_RSRC2:TRAP_HANDLER: 0
; COMPUTE_PGM_RSRC2:TGID_X_EN: 1
; COMPUTE_PGM_RSRC2:TGID_Y_EN: 0
; COMPUTE_PGM_RSRC2:TGID_Z_EN: 0
; COMPUTE_PGM_RSRC2:TIDIG_COMP_CNT: 0
; COMPUTE_PGM_RSRC3_GFX90A:ACCUM_OFFSET: 0
; COMPUTE_PGM_RSRC3_GFX90A:TG_SPLIT: 0
	.section	.text._ZN7rocprim17ROCPRIM_400000_NS6detail17trampoline_kernelINS0_14default_configENS1_35adjacent_difference_config_selectorILb1ElEEZNS1_24adjacent_difference_implIS3_Lb1ELb0EPlS7_ZN2at6native12_GLOBAL__N_124unique_dim_cuda_templateIsEESt5tupleIJNS8_6TensorESD_SD_EERKSD_lbbbEUlllE1_EE10hipError_tPvRmT2_T3_mT4_P12ihipStream_tbEUlT_E_NS1_11comp_targetILNS1_3genE9ELNS1_11target_archE1100ELNS1_3gpuE3ELNS1_3repE0EEENS1_30default_config_static_selectorELNS0_4arch9wavefront6targetE1EEEvT1_,"axG",@progbits,_ZN7rocprim17ROCPRIM_400000_NS6detail17trampoline_kernelINS0_14default_configENS1_35adjacent_difference_config_selectorILb1ElEEZNS1_24adjacent_difference_implIS3_Lb1ELb0EPlS7_ZN2at6native12_GLOBAL__N_124unique_dim_cuda_templateIsEESt5tupleIJNS8_6TensorESD_SD_EERKSD_lbbbEUlllE1_EE10hipError_tPvRmT2_T3_mT4_P12ihipStream_tbEUlT_E_NS1_11comp_targetILNS1_3genE9ELNS1_11target_archE1100ELNS1_3gpuE3ELNS1_3repE0EEENS1_30default_config_static_selectorELNS0_4arch9wavefront6targetE1EEEvT1_,comdat
	.globl	_ZN7rocprim17ROCPRIM_400000_NS6detail17trampoline_kernelINS0_14default_configENS1_35adjacent_difference_config_selectorILb1ElEEZNS1_24adjacent_difference_implIS3_Lb1ELb0EPlS7_ZN2at6native12_GLOBAL__N_124unique_dim_cuda_templateIsEESt5tupleIJNS8_6TensorESD_SD_EERKSD_lbbbEUlllE1_EE10hipError_tPvRmT2_T3_mT4_P12ihipStream_tbEUlT_E_NS1_11comp_targetILNS1_3genE9ELNS1_11target_archE1100ELNS1_3gpuE3ELNS1_3repE0EEENS1_30default_config_static_selectorELNS0_4arch9wavefront6targetE1EEEvT1_ ; -- Begin function _ZN7rocprim17ROCPRIM_400000_NS6detail17trampoline_kernelINS0_14default_configENS1_35adjacent_difference_config_selectorILb1ElEEZNS1_24adjacent_difference_implIS3_Lb1ELb0EPlS7_ZN2at6native12_GLOBAL__N_124unique_dim_cuda_templateIsEESt5tupleIJNS8_6TensorESD_SD_EERKSD_lbbbEUlllE1_EE10hipError_tPvRmT2_T3_mT4_P12ihipStream_tbEUlT_E_NS1_11comp_targetILNS1_3genE9ELNS1_11target_archE1100ELNS1_3gpuE3ELNS1_3repE0EEENS1_30default_config_static_selectorELNS0_4arch9wavefront6targetE1EEEvT1_
	.p2align	8
	.type	_ZN7rocprim17ROCPRIM_400000_NS6detail17trampoline_kernelINS0_14default_configENS1_35adjacent_difference_config_selectorILb1ElEEZNS1_24adjacent_difference_implIS3_Lb1ELb0EPlS7_ZN2at6native12_GLOBAL__N_124unique_dim_cuda_templateIsEESt5tupleIJNS8_6TensorESD_SD_EERKSD_lbbbEUlllE1_EE10hipError_tPvRmT2_T3_mT4_P12ihipStream_tbEUlT_E_NS1_11comp_targetILNS1_3genE9ELNS1_11target_archE1100ELNS1_3gpuE3ELNS1_3repE0EEENS1_30default_config_static_selectorELNS0_4arch9wavefront6targetE1EEEvT1_,@function
_ZN7rocprim17ROCPRIM_400000_NS6detail17trampoline_kernelINS0_14default_configENS1_35adjacent_difference_config_selectorILb1ElEEZNS1_24adjacent_difference_implIS3_Lb1ELb0EPlS7_ZN2at6native12_GLOBAL__N_124unique_dim_cuda_templateIsEESt5tupleIJNS8_6TensorESD_SD_EERKSD_lbbbEUlllE1_EE10hipError_tPvRmT2_T3_mT4_P12ihipStream_tbEUlT_E_NS1_11comp_targetILNS1_3genE9ELNS1_11target_archE1100ELNS1_3gpuE3ELNS1_3repE0EEENS1_30default_config_static_selectorELNS0_4arch9wavefront6targetE1EEEvT1_: ; @_ZN7rocprim17ROCPRIM_400000_NS6detail17trampoline_kernelINS0_14default_configENS1_35adjacent_difference_config_selectorILb1ElEEZNS1_24adjacent_difference_implIS3_Lb1ELb0EPlS7_ZN2at6native12_GLOBAL__N_124unique_dim_cuda_templateIsEESt5tupleIJNS8_6TensorESD_SD_EERKSD_lbbbEUlllE1_EE10hipError_tPvRmT2_T3_mT4_P12ihipStream_tbEUlT_E_NS1_11comp_targetILNS1_3genE9ELNS1_11target_archE1100ELNS1_3gpuE3ELNS1_3repE0EEENS1_30default_config_static_selectorELNS0_4arch9wavefront6targetE1EEEvT1_
; %bb.0:
	.section	.rodata,"a",@progbits
	.p2align	6, 0x0
	.amdhsa_kernel _ZN7rocprim17ROCPRIM_400000_NS6detail17trampoline_kernelINS0_14default_configENS1_35adjacent_difference_config_selectorILb1ElEEZNS1_24adjacent_difference_implIS3_Lb1ELb0EPlS7_ZN2at6native12_GLOBAL__N_124unique_dim_cuda_templateIsEESt5tupleIJNS8_6TensorESD_SD_EERKSD_lbbbEUlllE1_EE10hipError_tPvRmT2_T3_mT4_P12ihipStream_tbEUlT_E_NS1_11comp_targetILNS1_3genE9ELNS1_11target_archE1100ELNS1_3gpuE3ELNS1_3repE0EEENS1_30default_config_static_selectorELNS0_4arch9wavefront6targetE1EEEvT1_
		.amdhsa_group_segment_fixed_size 0
		.amdhsa_private_segment_fixed_size 0
		.amdhsa_kernarg_size 64
		.amdhsa_user_sgpr_count 6
		.amdhsa_user_sgpr_private_segment_buffer 1
		.amdhsa_user_sgpr_dispatch_ptr 0
		.amdhsa_user_sgpr_queue_ptr 0
		.amdhsa_user_sgpr_kernarg_segment_ptr 1
		.amdhsa_user_sgpr_dispatch_id 0
		.amdhsa_user_sgpr_flat_scratch_init 0
		.amdhsa_user_sgpr_kernarg_preload_length 0
		.amdhsa_user_sgpr_kernarg_preload_offset 0
		.amdhsa_user_sgpr_private_segment_size 0
		.amdhsa_uses_dynamic_stack 0
		.amdhsa_system_sgpr_private_segment_wavefront_offset 0
		.amdhsa_system_sgpr_workgroup_id_x 1
		.amdhsa_system_sgpr_workgroup_id_y 0
		.amdhsa_system_sgpr_workgroup_id_z 0
		.amdhsa_system_sgpr_workgroup_info 0
		.amdhsa_system_vgpr_workitem_id 0
		.amdhsa_next_free_vgpr 1
		.amdhsa_next_free_sgpr 0
		.amdhsa_accum_offset 4
		.amdhsa_reserve_vcc 0
		.amdhsa_reserve_flat_scratch 0
		.amdhsa_float_round_mode_32 0
		.amdhsa_float_round_mode_16_64 0
		.amdhsa_float_denorm_mode_32 3
		.amdhsa_float_denorm_mode_16_64 3
		.amdhsa_dx10_clamp 1
		.amdhsa_ieee_mode 1
		.amdhsa_fp16_overflow 0
		.amdhsa_tg_split 0
		.amdhsa_exception_fp_ieee_invalid_op 0
		.amdhsa_exception_fp_denorm_src 0
		.amdhsa_exception_fp_ieee_div_zero 0
		.amdhsa_exception_fp_ieee_overflow 0
		.amdhsa_exception_fp_ieee_underflow 0
		.amdhsa_exception_fp_ieee_inexact 0
		.amdhsa_exception_int_div_zero 0
	.end_amdhsa_kernel
	.section	.text._ZN7rocprim17ROCPRIM_400000_NS6detail17trampoline_kernelINS0_14default_configENS1_35adjacent_difference_config_selectorILb1ElEEZNS1_24adjacent_difference_implIS3_Lb1ELb0EPlS7_ZN2at6native12_GLOBAL__N_124unique_dim_cuda_templateIsEESt5tupleIJNS8_6TensorESD_SD_EERKSD_lbbbEUlllE1_EE10hipError_tPvRmT2_T3_mT4_P12ihipStream_tbEUlT_E_NS1_11comp_targetILNS1_3genE9ELNS1_11target_archE1100ELNS1_3gpuE3ELNS1_3repE0EEENS1_30default_config_static_selectorELNS0_4arch9wavefront6targetE1EEEvT1_,"axG",@progbits,_ZN7rocprim17ROCPRIM_400000_NS6detail17trampoline_kernelINS0_14default_configENS1_35adjacent_difference_config_selectorILb1ElEEZNS1_24adjacent_difference_implIS3_Lb1ELb0EPlS7_ZN2at6native12_GLOBAL__N_124unique_dim_cuda_templateIsEESt5tupleIJNS8_6TensorESD_SD_EERKSD_lbbbEUlllE1_EE10hipError_tPvRmT2_T3_mT4_P12ihipStream_tbEUlT_E_NS1_11comp_targetILNS1_3genE9ELNS1_11target_archE1100ELNS1_3gpuE3ELNS1_3repE0EEENS1_30default_config_static_selectorELNS0_4arch9wavefront6targetE1EEEvT1_,comdat
.Lfunc_end683:
	.size	_ZN7rocprim17ROCPRIM_400000_NS6detail17trampoline_kernelINS0_14default_configENS1_35adjacent_difference_config_selectorILb1ElEEZNS1_24adjacent_difference_implIS3_Lb1ELb0EPlS7_ZN2at6native12_GLOBAL__N_124unique_dim_cuda_templateIsEESt5tupleIJNS8_6TensorESD_SD_EERKSD_lbbbEUlllE1_EE10hipError_tPvRmT2_T3_mT4_P12ihipStream_tbEUlT_E_NS1_11comp_targetILNS1_3genE9ELNS1_11target_archE1100ELNS1_3gpuE3ELNS1_3repE0EEENS1_30default_config_static_selectorELNS0_4arch9wavefront6targetE1EEEvT1_, .Lfunc_end683-_ZN7rocprim17ROCPRIM_400000_NS6detail17trampoline_kernelINS0_14default_configENS1_35adjacent_difference_config_selectorILb1ElEEZNS1_24adjacent_difference_implIS3_Lb1ELb0EPlS7_ZN2at6native12_GLOBAL__N_124unique_dim_cuda_templateIsEESt5tupleIJNS8_6TensorESD_SD_EERKSD_lbbbEUlllE1_EE10hipError_tPvRmT2_T3_mT4_P12ihipStream_tbEUlT_E_NS1_11comp_targetILNS1_3genE9ELNS1_11target_archE1100ELNS1_3gpuE3ELNS1_3repE0EEENS1_30default_config_static_selectorELNS0_4arch9wavefront6targetE1EEEvT1_
                                        ; -- End function
	.section	.AMDGPU.csdata,"",@progbits
; Kernel info:
; codeLenInByte = 0
; NumSgprs: 4
; NumVgprs: 0
; NumAgprs: 0
; TotalNumVgprs: 0
; ScratchSize: 0
; MemoryBound: 0
; FloatMode: 240
; IeeeMode: 1
; LDSByteSize: 0 bytes/workgroup (compile time only)
; SGPRBlocks: 0
; VGPRBlocks: 0
; NumSGPRsForWavesPerEU: 4
; NumVGPRsForWavesPerEU: 1
; AccumOffset: 4
; Occupancy: 8
; WaveLimiterHint : 0
; COMPUTE_PGM_RSRC2:SCRATCH_EN: 0
; COMPUTE_PGM_RSRC2:USER_SGPR: 6
; COMPUTE_PGM_RSRC2:TRAP_HANDLER: 0
; COMPUTE_PGM_RSRC2:TGID_X_EN: 1
; COMPUTE_PGM_RSRC2:TGID_Y_EN: 0
; COMPUTE_PGM_RSRC2:TGID_Z_EN: 0
; COMPUTE_PGM_RSRC2:TIDIG_COMP_CNT: 0
; COMPUTE_PGM_RSRC3_GFX90A:ACCUM_OFFSET: 0
; COMPUTE_PGM_RSRC3_GFX90A:TG_SPLIT: 0
	.section	.text._ZN7rocprim17ROCPRIM_400000_NS6detail17trampoline_kernelINS0_14default_configENS1_35adjacent_difference_config_selectorILb1ElEEZNS1_24adjacent_difference_implIS3_Lb1ELb0EPlS7_ZN2at6native12_GLOBAL__N_124unique_dim_cuda_templateIsEESt5tupleIJNS8_6TensorESD_SD_EERKSD_lbbbEUlllE1_EE10hipError_tPvRmT2_T3_mT4_P12ihipStream_tbEUlT_E_NS1_11comp_targetILNS1_3genE8ELNS1_11target_archE1030ELNS1_3gpuE2ELNS1_3repE0EEENS1_30default_config_static_selectorELNS0_4arch9wavefront6targetE1EEEvT1_,"axG",@progbits,_ZN7rocprim17ROCPRIM_400000_NS6detail17trampoline_kernelINS0_14default_configENS1_35adjacent_difference_config_selectorILb1ElEEZNS1_24adjacent_difference_implIS3_Lb1ELb0EPlS7_ZN2at6native12_GLOBAL__N_124unique_dim_cuda_templateIsEESt5tupleIJNS8_6TensorESD_SD_EERKSD_lbbbEUlllE1_EE10hipError_tPvRmT2_T3_mT4_P12ihipStream_tbEUlT_E_NS1_11comp_targetILNS1_3genE8ELNS1_11target_archE1030ELNS1_3gpuE2ELNS1_3repE0EEENS1_30default_config_static_selectorELNS0_4arch9wavefront6targetE1EEEvT1_,comdat
	.globl	_ZN7rocprim17ROCPRIM_400000_NS6detail17trampoline_kernelINS0_14default_configENS1_35adjacent_difference_config_selectorILb1ElEEZNS1_24adjacent_difference_implIS3_Lb1ELb0EPlS7_ZN2at6native12_GLOBAL__N_124unique_dim_cuda_templateIsEESt5tupleIJNS8_6TensorESD_SD_EERKSD_lbbbEUlllE1_EE10hipError_tPvRmT2_T3_mT4_P12ihipStream_tbEUlT_E_NS1_11comp_targetILNS1_3genE8ELNS1_11target_archE1030ELNS1_3gpuE2ELNS1_3repE0EEENS1_30default_config_static_selectorELNS0_4arch9wavefront6targetE1EEEvT1_ ; -- Begin function _ZN7rocprim17ROCPRIM_400000_NS6detail17trampoline_kernelINS0_14default_configENS1_35adjacent_difference_config_selectorILb1ElEEZNS1_24adjacent_difference_implIS3_Lb1ELb0EPlS7_ZN2at6native12_GLOBAL__N_124unique_dim_cuda_templateIsEESt5tupleIJNS8_6TensorESD_SD_EERKSD_lbbbEUlllE1_EE10hipError_tPvRmT2_T3_mT4_P12ihipStream_tbEUlT_E_NS1_11comp_targetILNS1_3genE8ELNS1_11target_archE1030ELNS1_3gpuE2ELNS1_3repE0EEENS1_30default_config_static_selectorELNS0_4arch9wavefront6targetE1EEEvT1_
	.p2align	8
	.type	_ZN7rocprim17ROCPRIM_400000_NS6detail17trampoline_kernelINS0_14default_configENS1_35adjacent_difference_config_selectorILb1ElEEZNS1_24adjacent_difference_implIS3_Lb1ELb0EPlS7_ZN2at6native12_GLOBAL__N_124unique_dim_cuda_templateIsEESt5tupleIJNS8_6TensorESD_SD_EERKSD_lbbbEUlllE1_EE10hipError_tPvRmT2_T3_mT4_P12ihipStream_tbEUlT_E_NS1_11comp_targetILNS1_3genE8ELNS1_11target_archE1030ELNS1_3gpuE2ELNS1_3repE0EEENS1_30default_config_static_selectorELNS0_4arch9wavefront6targetE1EEEvT1_,@function
_ZN7rocprim17ROCPRIM_400000_NS6detail17trampoline_kernelINS0_14default_configENS1_35adjacent_difference_config_selectorILb1ElEEZNS1_24adjacent_difference_implIS3_Lb1ELb0EPlS7_ZN2at6native12_GLOBAL__N_124unique_dim_cuda_templateIsEESt5tupleIJNS8_6TensorESD_SD_EERKSD_lbbbEUlllE1_EE10hipError_tPvRmT2_T3_mT4_P12ihipStream_tbEUlT_E_NS1_11comp_targetILNS1_3genE8ELNS1_11target_archE1030ELNS1_3gpuE2ELNS1_3repE0EEENS1_30default_config_static_selectorELNS0_4arch9wavefront6targetE1EEEvT1_: ; @_ZN7rocprim17ROCPRIM_400000_NS6detail17trampoline_kernelINS0_14default_configENS1_35adjacent_difference_config_selectorILb1ElEEZNS1_24adjacent_difference_implIS3_Lb1ELb0EPlS7_ZN2at6native12_GLOBAL__N_124unique_dim_cuda_templateIsEESt5tupleIJNS8_6TensorESD_SD_EERKSD_lbbbEUlllE1_EE10hipError_tPvRmT2_T3_mT4_P12ihipStream_tbEUlT_E_NS1_11comp_targetILNS1_3genE8ELNS1_11target_archE1030ELNS1_3gpuE2ELNS1_3repE0EEENS1_30default_config_static_selectorELNS0_4arch9wavefront6targetE1EEEvT1_
; %bb.0:
	.section	.rodata,"a",@progbits
	.p2align	6, 0x0
	.amdhsa_kernel _ZN7rocprim17ROCPRIM_400000_NS6detail17trampoline_kernelINS0_14default_configENS1_35adjacent_difference_config_selectorILb1ElEEZNS1_24adjacent_difference_implIS3_Lb1ELb0EPlS7_ZN2at6native12_GLOBAL__N_124unique_dim_cuda_templateIsEESt5tupleIJNS8_6TensorESD_SD_EERKSD_lbbbEUlllE1_EE10hipError_tPvRmT2_T3_mT4_P12ihipStream_tbEUlT_E_NS1_11comp_targetILNS1_3genE8ELNS1_11target_archE1030ELNS1_3gpuE2ELNS1_3repE0EEENS1_30default_config_static_selectorELNS0_4arch9wavefront6targetE1EEEvT1_
		.amdhsa_group_segment_fixed_size 0
		.amdhsa_private_segment_fixed_size 0
		.amdhsa_kernarg_size 64
		.amdhsa_user_sgpr_count 6
		.amdhsa_user_sgpr_private_segment_buffer 1
		.amdhsa_user_sgpr_dispatch_ptr 0
		.amdhsa_user_sgpr_queue_ptr 0
		.amdhsa_user_sgpr_kernarg_segment_ptr 1
		.amdhsa_user_sgpr_dispatch_id 0
		.amdhsa_user_sgpr_flat_scratch_init 0
		.amdhsa_user_sgpr_kernarg_preload_length 0
		.amdhsa_user_sgpr_kernarg_preload_offset 0
		.amdhsa_user_sgpr_private_segment_size 0
		.amdhsa_uses_dynamic_stack 0
		.amdhsa_system_sgpr_private_segment_wavefront_offset 0
		.amdhsa_system_sgpr_workgroup_id_x 1
		.amdhsa_system_sgpr_workgroup_id_y 0
		.amdhsa_system_sgpr_workgroup_id_z 0
		.amdhsa_system_sgpr_workgroup_info 0
		.amdhsa_system_vgpr_workitem_id 0
		.amdhsa_next_free_vgpr 1
		.amdhsa_next_free_sgpr 0
		.amdhsa_accum_offset 4
		.amdhsa_reserve_vcc 0
		.amdhsa_reserve_flat_scratch 0
		.amdhsa_float_round_mode_32 0
		.amdhsa_float_round_mode_16_64 0
		.amdhsa_float_denorm_mode_32 3
		.amdhsa_float_denorm_mode_16_64 3
		.amdhsa_dx10_clamp 1
		.amdhsa_ieee_mode 1
		.amdhsa_fp16_overflow 0
		.amdhsa_tg_split 0
		.amdhsa_exception_fp_ieee_invalid_op 0
		.amdhsa_exception_fp_denorm_src 0
		.amdhsa_exception_fp_ieee_div_zero 0
		.amdhsa_exception_fp_ieee_overflow 0
		.amdhsa_exception_fp_ieee_underflow 0
		.amdhsa_exception_fp_ieee_inexact 0
		.amdhsa_exception_int_div_zero 0
	.end_amdhsa_kernel
	.section	.text._ZN7rocprim17ROCPRIM_400000_NS6detail17trampoline_kernelINS0_14default_configENS1_35adjacent_difference_config_selectorILb1ElEEZNS1_24adjacent_difference_implIS3_Lb1ELb0EPlS7_ZN2at6native12_GLOBAL__N_124unique_dim_cuda_templateIsEESt5tupleIJNS8_6TensorESD_SD_EERKSD_lbbbEUlllE1_EE10hipError_tPvRmT2_T3_mT4_P12ihipStream_tbEUlT_E_NS1_11comp_targetILNS1_3genE8ELNS1_11target_archE1030ELNS1_3gpuE2ELNS1_3repE0EEENS1_30default_config_static_selectorELNS0_4arch9wavefront6targetE1EEEvT1_,"axG",@progbits,_ZN7rocprim17ROCPRIM_400000_NS6detail17trampoline_kernelINS0_14default_configENS1_35adjacent_difference_config_selectorILb1ElEEZNS1_24adjacent_difference_implIS3_Lb1ELb0EPlS7_ZN2at6native12_GLOBAL__N_124unique_dim_cuda_templateIsEESt5tupleIJNS8_6TensorESD_SD_EERKSD_lbbbEUlllE1_EE10hipError_tPvRmT2_T3_mT4_P12ihipStream_tbEUlT_E_NS1_11comp_targetILNS1_3genE8ELNS1_11target_archE1030ELNS1_3gpuE2ELNS1_3repE0EEENS1_30default_config_static_selectorELNS0_4arch9wavefront6targetE1EEEvT1_,comdat
.Lfunc_end684:
	.size	_ZN7rocprim17ROCPRIM_400000_NS6detail17trampoline_kernelINS0_14default_configENS1_35adjacent_difference_config_selectorILb1ElEEZNS1_24adjacent_difference_implIS3_Lb1ELb0EPlS7_ZN2at6native12_GLOBAL__N_124unique_dim_cuda_templateIsEESt5tupleIJNS8_6TensorESD_SD_EERKSD_lbbbEUlllE1_EE10hipError_tPvRmT2_T3_mT4_P12ihipStream_tbEUlT_E_NS1_11comp_targetILNS1_3genE8ELNS1_11target_archE1030ELNS1_3gpuE2ELNS1_3repE0EEENS1_30default_config_static_selectorELNS0_4arch9wavefront6targetE1EEEvT1_, .Lfunc_end684-_ZN7rocprim17ROCPRIM_400000_NS6detail17trampoline_kernelINS0_14default_configENS1_35adjacent_difference_config_selectorILb1ElEEZNS1_24adjacent_difference_implIS3_Lb1ELb0EPlS7_ZN2at6native12_GLOBAL__N_124unique_dim_cuda_templateIsEESt5tupleIJNS8_6TensorESD_SD_EERKSD_lbbbEUlllE1_EE10hipError_tPvRmT2_T3_mT4_P12ihipStream_tbEUlT_E_NS1_11comp_targetILNS1_3genE8ELNS1_11target_archE1030ELNS1_3gpuE2ELNS1_3repE0EEENS1_30default_config_static_selectorELNS0_4arch9wavefront6targetE1EEEvT1_
                                        ; -- End function
	.section	.AMDGPU.csdata,"",@progbits
; Kernel info:
; codeLenInByte = 0
; NumSgprs: 4
; NumVgprs: 0
; NumAgprs: 0
; TotalNumVgprs: 0
; ScratchSize: 0
; MemoryBound: 0
; FloatMode: 240
; IeeeMode: 1
; LDSByteSize: 0 bytes/workgroup (compile time only)
; SGPRBlocks: 0
; VGPRBlocks: 0
; NumSGPRsForWavesPerEU: 4
; NumVGPRsForWavesPerEU: 1
; AccumOffset: 4
; Occupancy: 8
; WaveLimiterHint : 0
; COMPUTE_PGM_RSRC2:SCRATCH_EN: 0
; COMPUTE_PGM_RSRC2:USER_SGPR: 6
; COMPUTE_PGM_RSRC2:TRAP_HANDLER: 0
; COMPUTE_PGM_RSRC2:TGID_X_EN: 1
; COMPUTE_PGM_RSRC2:TGID_Y_EN: 0
; COMPUTE_PGM_RSRC2:TGID_Z_EN: 0
; COMPUTE_PGM_RSRC2:TIDIG_COMP_CNT: 0
; COMPUTE_PGM_RSRC3_GFX90A:ACCUM_OFFSET: 0
; COMPUTE_PGM_RSRC3_GFX90A:TG_SPLIT: 0
	.section	.text._ZN7rocprim17ROCPRIM_400000_NS6detail17trampoline_kernelINS0_14default_configENS1_25partition_config_selectorILNS1_17partition_subalgoE8ElNS0_10empty_typeEbEEZZNS1_14partition_implILS5_8ELb0ES3_jPlPS6_PKS6_NS0_5tupleIJS9_S6_EEENSD_IJSA_SA_EEENS0_18inequality_wrapperIZN2at6native12_GLOBAL__N_124unique_dim_cuda_templateIsEESt5tupleIJNSH_6TensorESM_SM_EERKSM_lbbbEUlllE0_EEPmJS6_EEE10hipError_tPvRmT3_T4_T5_T6_T7_T9_mT8_P12ihipStream_tbDpT10_ENKUlT_T0_E_clISt17integral_constantIbLb0EES1C_EEDaS17_S18_EUlS17_E_NS1_11comp_targetILNS1_3genE0ELNS1_11target_archE4294967295ELNS1_3gpuE0ELNS1_3repE0EEENS1_30default_config_static_selectorELNS0_4arch9wavefront6targetE1EEEvT1_,"axG",@progbits,_ZN7rocprim17ROCPRIM_400000_NS6detail17trampoline_kernelINS0_14default_configENS1_25partition_config_selectorILNS1_17partition_subalgoE8ElNS0_10empty_typeEbEEZZNS1_14partition_implILS5_8ELb0ES3_jPlPS6_PKS6_NS0_5tupleIJS9_S6_EEENSD_IJSA_SA_EEENS0_18inequality_wrapperIZN2at6native12_GLOBAL__N_124unique_dim_cuda_templateIsEESt5tupleIJNSH_6TensorESM_SM_EERKSM_lbbbEUlllE0_EEPmJS6_EEE10hipError_tPvRmT3_T4_T5_T6_T7_T9_mT8_P12ihipStream_tbDpT10_ENKUlT_T0_E_clISt17integral_constantIbLb0EES1C_EEDaS17_S18_EUlS17_E_NS1_11comp_targetILNS1_3genE0ELNS1_11target_archE4294967295ELNS1_3gpuE0ELNS1_3repE0EEENS1_30default_config_static_selectorELNS0_4arch9wavefront6targetE1EEEvT1_,comdat
	.globl	_ZN7rocprim17ROCPRIM_400000_NS6detail17trampoline_kernelINS0_14default_configENS1_25partition_config_selectorILNS1_17partition_subalgoE8ElNS0_10empty_typeEbEEZZNS1_14partition_implILS5_8ELb0ES3_jPlPS6_PKS6_NS0_5tupleIJS9_S6_EEENSD_IJSA_SA_EEENS0_18inequality_wrapperIZN2at6native12_GLOBAL__N_124unique_dim_cuda_templateIsEESt5tupleIJNSH_6TensorESM_SM_EERKSM_lbbbEUlllE0_EEPmJS6_EEE10hipError_tPvRmT3_T4_T5_T6_T7_T9_mT8_P12ihipStream_tbDpT10_ENKUlT_T0_E_clISt17integral_constantIbLb0EES1C_EEDaS17_S18_EUlS17_E_NS1_11comp_targetILNS1_3genE0ELNS1_11target_archE4294967295ELNS1_3gpuE0ELNS1_3repE0EEENS1_30default_config_static_selectorELNS0_4arch9wavefront6targetE1EEEvT1_ ; -- Begin function _ZN7rocprim17ROCPRIM_400000_NS6detail17trampoline_kernelINS0_14default_configENS1_25partition_config_selectorILNS1_17partition_subalgoE8ElNS0_10empty_typeEbEEZZNS1_14partition_implILS5_8ELb0ES3_jPlPS6_PKS6_NS0_5tupleIJS9_S6_EEENSD_IJSA_SA_EEENS0_18inequality_wrapperIZN2at6native12_GLOBAL__N_124unique_dim_cuda_templateIsEESt5tupleIJNSH_6TensorESM_SM_EERKSM_lbbbEUlllE0_EEPmJS6_EEE10hipError_tPvRmT3_T4_T5_T6_T7_T9_mT8_P12ihipStream_tbDpT10_ENKUlT_T0_E_clISt17integral_constantIbLb0EES1C_EEDaS17_S18_EUlS17_E_NS1_11comp_targetILNS1_3genE0ELNS1_11target_archE4294967295ELNS1_3gpuE0ELNS1_3repE0EEENS1_30default_config_static_selectorELNS0_4arch9wavefront6targetE1EEEvT1_
	.p2align	8
	.type	_ZN7rocprim17ROCPRIM_400000_NS6detail17trampoline_kernelINS0_14default_configENS1_25partition_config_selectorILNS1_17partition_subalgoE8ElNS0_10empty_typeEbEEZZNS1_14partition_implILS5_8ELb0ES3_jPlPS6_PKS6_NS0_5tupleIJS9_S6_EEENSD_IJSA_SA_EEENS0_18inequality_wrapperIZN2at6native12_GLOBAL__N_124unique_dim_cuda_templateIsEESt5tupleIJNSH_6TensorESM_SM_EERKSM_lbbbEUlllE0_EEPmJS6_EEE10hipError_tPvRmT3_T4_T5_T6_T7_T9_mT8_P12ihipStream_tbDpT10_ENKUlT_T0_E_clISt17integral_constantIbLb0EES1C_EEDaS17_S18_EUlS17_E_NS1_11comp_targetILNS1_3genE0ELNS1_11target_archE4294967295ELNS1_3gpuE0ELNS1_3repE0EEENS1_30default_config_static_selectorELNS0_4arch9wavefront6targetE1EEEvT1_,@function
_ZN7rocprim17ROCPRIM_400000_NS6detail17trampoline_kernelINS0_14default_configENS1_25partition_config_selectorILNS1_17partition_subalgoE8ElNS0_10empty_typeEbEEZZNS1_14partition_implILS5_8ELb0ES3_jPlPS6_PKS6_NS0_5tupleIJS9_S6_EEENSD_IJSA_SA_EEENS0_18inequality_wrapperIZN2at6native12_GLOBAL__N_124unique_dim_cuda_templateIsEESt5tupleIJNSH_6TensorESM_SM_EERKSM_lbbbEUlllE0_EEPmJS6_EEE10hipError_tPvRmT3_T4_T5_T6_T7_T9_mT8_P12ihipStream_tbDpT10_ENKUlT_T0_E_clISt17integral_constantIbLb0EES1C_EEDaS17_S18_EUlS17_E_NS1_11comp_targetILNS1_3genE0ELNS1_11target_archE4294967295ELNS1_3gpuE0ELNS1_3repE0EEENS1_30default_config_static_selectorELNS0_4arch9wavefront6targetE1EEEvT1_: ; @_ZN7rocprim17ROCPRIM_400000_NS6detail17trampoline_kernelINS0_14default_configENS1_25partition_config_selectorILNS1_17partition_subalgoE8ElNS0_10empty_typeEbEEZZNS1_14partition_implILS5_8ELb0ES3_jPlPS6_PKS6_NS0_5tupleIJS9_S6_EEENSD_IJSA_SA_EEENS0_18inequality_wrapperIZN2at6native12_GLOBAL__N_124unique_dim_cuda_templateIsEESt5tupleIJNSH_6TensorESM_SM_EERKSM_lbbbEUlllE0_EEPmJS6_EEE10hipError_tPvRmT3_T4_T5_T6_T7_T9_mT8_P12ihipStream_tbDpT10_ENKUlT_T0_E_clISt17integral_constantIbLb0EES1C_EEDaS17_S18_EUlS17_E_NS1_11comp_targetILNS1_3genE0ELNS1_11target_archE4294967295ELNS1_3gpuE0ELNS1_3repE0EEENS1_30default_config_static_selectorELNS0_4arch9wavefront6targetE1EEEvT1_
; %bb.0:
	.section	.rodata,"a",@progbits
	.p2align	6, 0x0
	.amdhsa_kernel _ZN7rocprim17ROCPRIM_400000_NS6detail17trampoline_kernelINS0_14default_configENS1_25partition_config_selectorILNS1_17partition_subalgoE8ElNS0_10empty_typeEbEEZZNS1_14partition_implILS5_8ELb0ES3_jPlPS6_PKS6_NS0_5tupleIJS9_S6_EEENSD_IJSA_SA_EEENS0_18inequality_wrapperIZN2at6native12_GLOBAL__N_124unique_dim_cuda_templateIsEESt5tupleIJNSH_6TensorESM_SM_EERKSM_lbbbEUlllE0_EEPmJS6_EEE10hipError_tPvRmT3_T4_T5_T6_T7_T9_mT8_P12ihipStream_tbDpT10_ENKUlT_T0_E_clISt17integral_constantIbLb0EES1C_EEDaS17_S18_EUlS17_E_NS1_11comp_targetILNS1_3genE0ELNS1_11target_archE4294967295ELNS1_3gpuE0ELNS1_3repE0EEENS1_30default_config_static_selectorELNS0_4arch9wavefront6targetE1EEEvT1_
		.amdhsa_group_segment_fixed_size 0
		.amdhsa_private_segment_fixed_size 0
		.amdhsa_kernarg_size 120
		.amdhsa_user_sgpr_count 6
		.amdhsa_user_sgpr_private_segment_buffer 1
		.amdhsa_user_sgpr_dispatch_ptr 0
		.amdhsa_user_sgpr_queue_ptr 0
		.amdhsa_user_sgpr_kernarg_segment_ptr 1
		.amdhsa_user_sgpr_dispatch_id 0
		.amdhsa_user_sgpr_flat_scratch_init 0
		.amdhsa_user_sgpr_kernarg_preload_length 0
		.amdhsa_user_sgpr_kernarg_preload_offset 0
		.amdhsa_user_sgpr_private_segment_size 0
		.amdhsa_uses_dynamic_stack 0
		.amdhsa_system_sgpr_private_segment_wavefront_offset 0
		.amdhsa_system_sgpr_workgroup_id_x 1
		.amdhsa_system_sgpr_workgroup_id_y 0
		.amdhsa_system_sgpr_workgroup_id_z 0
		.amdhsa_system_sgpr_workgroup_info 0
		.amdhsa_system_vgpr_workitem_id 0
		.amdhsa_next_free_vgpr 1
		.amdhsa_next_free_sgpr 0
		.amdhsa_accum_offset 4
		.amdhsa_reserve_vcc 0
		.amdhsa_reserve_flat_scratch 0
		.amdhsa_float_round_mode_32 0
		.amdhsa_float_round_mode_16_64 0
		.amdhsa_float_denorm_mode_32 3
		.amdhsa_float_denorm_mode_16_64 3
		.amdhsa_dx10_clamp 1
		.amdhsa_ieee_mode 1
		.amdhsa_fp16_overflow 0
		.amdhsa_tg_split 0
		.amdhsa_exception_fp_ieee_invalid_op 0
		.amdhsa_exception_fp_denorm_src 0
		.amdhsa_exception_fp_ieee_div_zero 0
		.amdhsa_exception_fp_ieee_overflow 0
		.amdhsa_exception_fp_ieee_underflow 0
		.amdhsa_exception_fp_ieee_inexact 0
		.amdhsa_exception_int_div_zero 0
	.end_amdhsa_kernel
	.section	.text._ZN7rocprim17ROCPRIM_400000_NS6detail17trampoline_kernelINS0_14default_configENS1_25partition_config_selectorILNS1_17partition_subalgoE8ElNS0_10empty_typeEbEEZZNS1_14partition_implILS5_8ELb0ES3_jPlPS6_PKS6_NS0_5tupleIJS9_S6_EEENSD_IJSA_SA_EEENS0_18inequality_wrapperIZN2at6native12_GLOBAL__N_124unique_dim_cuda_templateIsEESt5tupleIJNSH_6TensorESM_SM_EERKSM_lbbbEUlllE0_EEPmJS6_EEE10hipError_tPvRmT3_T4_T5_T6_T7_T9_mT8_P12ihipStream_tbDpT10_ENKUlT_T0_E_clISt17integral_constantIbLb0EES1C_EEDaS17_S18_EUlS17_E_NS1_11comp_targetILNS1_3genE0ELNS1_11target_archE4294967295ELNS1_3gpuE0ELNS1_3repE0EEENS1_30default_config_static_selectorELNS0_4arch9wavefront6targetE1EEEvT1_,"axG",@progbits,_ZN7rocprim17ROCPRIM_400000_NS6detail17trampoline_kernelINS0_14default_configENS1_25partition_config_selectorILNS1_17partition_subalgoE8ElNS0_10empty_typeEbEEZZNS1_14partition_implILS5_8ELb0ES3_jPlPS6_PKS6_NS0_5tupleIJS9_S6_EEENSD_IJSA_SA_EEENS0_18inequality_wrapperIZN2at6native12_GLOBAL__N_124unique_dim_cuda_templateIsEESt5tupleIJNSH_6TensorESM_SM_EERKSM_lbbbEUlllE0_EEPmJS6_EEE10hipError_tPvRmT3_T4_T5_T6_T7_T9_mT8_P12ihipStream_tbDpT10_ENKUlT_T0_E_clISt17integral_constantIbLb0EES1C_EEDaS17_S18_EUlS17_E_NS1_11comp_targetILNS1_3genE0ELNS1_11target_archE4294967295ELNS1_3gpuE0ELNS1_3repE0EEENS1_30default_config_static_selectorELNS0_4arch9wavefront6targetE1EEEvT1_,comdat
.Lfunc_end685:
	.size	_ZN7rocprim17ROCPRIM_400000_NS6detail17trampoline_kernelINS0_14default_configENS1_25partition_config_selectorILNS1_17partition_subalgoE8ElNS0_10empty_typeEbEEZZNS1_14partition_implILS5_8ELb0ES3_jPlPS6_PKS6_NS0_5tupleIJS9_S6_EEENSD_IJSA_SA_EEENS0_18inequality_wrapperIZN2at6native12_GLOBAL__N_124unique_dim_cuda_templateIsEESt5tupleIJNSH_6TensorESM_SM_EERKSM_lbbbEUlllE0_EEPmJS6_EEE10hipError_tPvRmT3_T4_T5_T6_T7_T9_mT8_P12ihipStream_tbDpT10_ENKUlT_T0_E_clISt17integral_constantIbLb0EES1C_EEDaS17_S18_EUlS17_E_NS1_11comp_targetILNS1_3genE0ELNS1_11target_archE4294967295ELNS1_3gpuE0ELNS1_3repE0EEENS1_30default_config_static_selectorELNS0_4arch9wavefront6targetE1EEEvT1_, .Lfunc_end685-_ZN7rocprim17ROCPRIM_400000_NS6detail17trampoline_kernelINS0_14default_configENS1_25partition_config_selectorILNS1_17partition_subalgoE8ElNS0_10empty_typeEbEEZZNS1_14partition_implILS5_8ELb0ES3_jPlPS6_PKS6_NS0_5tupleIJS9_S6_EEENSD_IJSA_SA_EEENS0_18inequality_wrapperIZN2at6native12_GLOBAL__N_124unique_dim_cuda_templateIsEESt5tupleIJNSH_6TensorESM_SM_EERKSM_lbbbEUlllE0_EEPmJS6_EEE10hipError_tPvRmT3_T4_T5_T6_T7_T9_mT8_P12ihipStream_tbDpT10_ENKUlT_T0_E_clISt17integral_constantIbLb0EES1C_EEDaS17_S18_EUlS17_E_NS1_11comp_targetILNS1_3genE0ELNS1_11target_archE4294967295ELNS1_3gpuE0ELNS1_3repE0EEENS1_30default_config_static_selectorELNS0_4arch9wavefront6targetE1EEEvT1_
                                        ; -- End function
	.section	.AMDGPU.csdata,"",@progbits
; Kernel info:
; codeLenInByte = 0
; NumSgprs: 4
; NumVgprs: 0
; NumAgprs: 0
; TotalNumVgprs: 0
; ScratchSize: 0
; MemoryBound: 0
; FloatMode: 240
; IeeeMode: 1
; LDSByteSize: 0 bytes/workgroup (compile time only)
; SGPRBlocks: 0
; VGPRBlocks: 0
; NumSGPRsForWavesPerEU: 4
; NumVGPRsForWavesPerEU: 1
; AccumOffset: 4
; Occupancy: 8
; WaveLimiterHint : 0
; COMPUTE_PGM_RSRC2:SCRATCH_EN: 0
; COMPUTE_PGM_RSRC2:USER_SGPR: 6
; COMPUTE_PGM_RSRC2:TRAP_HANDLER: 0
; COMPUTE_PGM_RSRC2:TGID_X_EN: 1
; COMPUTE_PGM_RSRC2:TGID_Y_EN: 0
; COMPUTE_PGM_RSRC2:TGID_Z_EN: 0
; COMPUTE_PGM_RSRC2:TIDIG_COMP_CNT: 0
; COMPUTE_PGM_RSRC3_GFX90A:ACCUM_OFFSET: 0
; COMPUTE_PGM_RSRC3_GFX90A:TG_SPLIT: 0
	.section	.text._ZN7rocprim17ROCPRIM_400000_NS6detail17trampoline_kernelINS0_14default_configENS1_25partition_config_selectorILNS1_17partition_subalgoE8ElNS0_10empty_typeEbEEZZNS1_14partition_implILS5_8ELb0ES3_jPlPS6_PKS6_NS0_5tupleIJS9_S6_EEENSD_IJSA_SA_EEENS0_18inequality_wrapperIZN2at6native12_GLOBAL__N_124unique_dim_cuda_templateIsEESt5tupleIJNSH_6TensorESM_SM_EERKSM_lbbbEUlllE0_EEPmJS6_EEE10hipError_tPvRmT3_T4_T5_T6_T7_T9_mT8_P12ihipStream_tbDpT10_ENKUlT_T0_E_clISt17integral_constantIbLb0EES1C_EEDaS17_S18_EUlS17_E_NS1_11comp_targetILNS1_3genE5ELNS1_11target_archE942ELNS1_3gpuE9ELNS1_3repE0EEENS1_30default_config_static_selectorELNS0_4arch9wavefront6targetE1EEEvT1_,"axG",@progbits,_ZN7rocprim17ROCPRIM_400000_NS6detail17trampoline_kernelINS0_14default_configENS1_25partition_config_selectorILNS1_17partition_subalgoE8ElNS0_10empty_typeEbEEZZNS1_14partition_implILS5_8ELb0ES3_jPlPS6_PKS6_NS0_5tupleIJS9_S6_EEENSD_IJSA_SA_EEENS0_18inequality_wrapperIZN2at6native12_GLOBAL__N_124unique_dim_cuda_templateIsEESt5tupleIJNSH_6TensorESM_SM_EERKSM_lbbbEUlllE0_EEPmJS6_EEE10hipError_tPvRmT3_T4_T5_T6_T7_T9_mT8_P12ihipStream_tbDpT10_ENKUlT_T0_E_clISt17integral_constantIbLb0EES1C_EEDaS17_S18_EUlS17_E_NS1_11comp_targetILNS1_3genE5ELNS1_11target_archE942ELNS1_3gpuE9ELNS1_3repE0EEENS1_30default_config_static_selectorELNS0_4arch9wavefront6targetE1EEEvT1_,comdat
	.globl	_ZN7rocprim17ROCPRIM_400000_NS6detail17trampoline_kernelINS0_14default_configENS1_25partition_config_selectorILNS1_17partition_subalgoE8ElNS0_10empty_typeEbEEZZNS1_14partition_implILS5_8ELb0ES3_jPlPS6_PKS6_NS0_5tupleIJS9_S6_EEENSD_IJSA_SA_EEENS0_18inequality_wrapperIZN2at6native12_GLOBAL__N_124unique_dim_cuda_templateIsEESt5tupleIJNSH_6TensorESM_SM_EERKSM_lbbbEUlllE0_EEPmJS6_EEE10hipError_tPvRmT3_T4_T5_T6_T7_T9_mT8_P12ihipStream_tbDpT10_ENKUlT_T0_E_clISt17integral_constantIbLb0EES1C_EEDaS17_S18_EUlS17_E_NS1_11comp_targetILNS1_3genE5ELNS1_11target_archE942ELNS1_3gpuE9ELNS1_3repE0EEENS1_30default_config_static_selectorELNS0_4arch9wavefront6targetE1EEEvT1_ ; -- Begin function _ZN7rocprim17ROCPRIM_400000_NS6detail17trampoline_kernelINS0_14default_configENS1_25partition_config_selectorILNS1_17partition_subalgoE8ElNS0_10empty_typeEbEEZZNS1_14partition_implILS5_8ELb0ES3_jPlPS6_PKS6_NS0_5tupleIJS9_S6_EEENSD_IJSA_SA_EEENS0_18inequality_wrapperIZN2at6native12_GLOBAL__N_124unique_dim_cuda_templateIsEESt5tupleIJNSH_6TensorESM_SM_EERKSM_lbbbEUlllE0_EEPmJS6_EEE10hipError_tPvRmT3_T4_T5_T6_T7_T9_mT8_P12ihipStream_tbDpT10_ENKUlT_T0_E_clISt17integral_constantIbLb0EES1C_EEDaS17_S18_EUlS17_E_NS1_11comp_targetILNS1_3genE5ELNS1_11target_archE942ELNS1_3gpuE9ELNS1_3repE0EEENS1_30default_config_static_selectorELNS0_4arch9wavefront6targetE1EEEvT1_
	.p2align	8
	.type	_ZN7rocprim17ROCPRIM_400000_NS6detail17trampoline_kernelINS0_14default_configENS1_25partition_config_selectorILNS1_17partition_subalgoE8ElNS0_10empty_typeEbEEZZNS1_14partition_implILS5_8ELb0ES3_jPlPS6_PKS6_NS0_5tupleIJS9_S6_EEENSD_IJSA_SA_EEENS0_18inequality_wrapperIZN2at6native12_GLOBAL__N_124unique_dim_cuda_templateIsEESt5tupleIJNSH_6TensorESM_SM_EERKSM_lbbbEUlllE0_EEPmJS6_EEE10hipError_tPvRmT3_T4_T5_T6_T7_T9_mT8_P12ihipStream_tbDpT10_ENKUlT_T0_E_clISt17integral_constantIbLb0EES1C_EEDaS17_S18_EUlS17_E_NS1_11comp_targetILNS1_3genE5ELNS1_11target_archE942ELNS1_3gpuE9ELNS1_3repE0EEENS1_30default_config_static_selectorELNS0_4arch9wavefront6targetE1EEEvT1_,@function
_ZN7rocprim17ROCPRIM_400000_NS6detail17trampoline_kernelINS0_14default_configENS1_25partition_config_selectorILNS1_17partition_subalgoE8ElNS0_10empty_typeEbEEZZNS1_14partition_implILS5_8ELb0ES3_jPlPS6_PKS6_NS0_5tupleIJS9_S6_EEENSD_IJSA_SA_EEENS0_18inequality_wrapperIZN2at6native12_GLOBAL__N_124unique_dim_cuda_templateIsEESt5tupleIJNSH_6TensorESM_SM_EERKSM_lbbbEUlllE0_EEPmJS6_EEE10hipError_tPvRmT3_T4_T5_T6_T7_T9_mT8_P12ihipStream_tbDpT10_ENKUlT_T0_E_clISt17integral_constantIbLb0EES1C_EEDaS17_S18_EUlS17_E_NS1_11comp_targetILNS1_3genE5ELNS1_11target_archE942ELNS1_3gpuE9ELNS1_3repE0EEENS1_30default_config_static_selectorELNS0_4arch9wavefront6targetE1EEEvT1_: ; @_ZN7rocprim17ROCPRIM_400000_NS6detail17trampoline_kernelINS0_14default_configENS1_25partition_config_selectorILNS1_17partition_subalgoE8ElNS0_10empty_typeEbEEZZNS1_14partition_implILS5_8ELb0ES3_jPlPS6_PKS6_NS0_5tupleIJS9_S6_EEENSD_IJSA_SA_EEENS0_18inequality_wrapperIZN2at6native12_GLOBAL__N_124unique_dim_cuda_templateIsEESt5tupleIJNSH_6TensorESM_SM_EERKSM_lbbbEUlllE0_EEPmJS6_EEE10hipError_tPvRmT3_T4_T5_T6_T7_T9_mT8_P12ihipStream_tbDpT10_ENKUlT_T0_E_clISt17integral_constantIbLb0EES1C_EEDaS17_S18_EUlS17_E_NS1_11comp_targetILNS1_3genE5ELNS1_11target_archE942ELNS1_3gpuE9ELNS1_3repE0EEENS1_30default_config_static_selectorELNS0_4arch9wavefront6targetE1EEEvT1_
; %bb.0:
	.section	.rodata,"a",@progbits
	.p2align	6, 0x0
	.amdhsa_kernel _ZN7rocprim17ROCPRIM_400000_NS6detail17trampoline_kernelINS0_14default_configENS1_25partition_config_selectorILNS1_17partition_subalgoE8ElNS0_10empty_typeEbEEZZNS1_14partition_implILS5_8ELb0ES3_jPlPS6_PKS6_NS0_5tupleIJS9_S6_EEENSD_IJSA_SA_EEENS0_18inequality_wrapperIZN2at6native12_GLOBAL__N_124unique_dim_cuda_templateIsEESt5tupleIJNSH_6TensorESM_SM_EERKSM_lbbbEUlllE0_EEPmJS6_EEE10hipError_tPvRmT3_T4_T5_T6_T7_T9_mT8_P12ihipStream_tbDpT10_ENKUlT_T0_E_clISt17integral_constantIbLb0EES1C_EEDaS17_S18_EUlS17_E_NS1_11comp_targetILNS1_3genE5ELNS1_11target_archE942ELNS1_3gpuE9ELNS1_3repE0EEENS1_30default_config_static_selectorELNS0_4arch9wavefront6targetE1EEEvT1_
		.amdhsa_group_segment_fixed_size 0
		.amdhsa_private_segment_fixed_size 0
		.amdhsa_kernarg_size 120
		.amdhsa_user_sgpr_count 6
		.amdhsa_user_sgpr_private_segment_buffer 1
		.amdhsa_user_sgpr_dispatch_ptr 0
		.amdhsa_user_sgpr_queue_ptr 0
		.amdhsa_user_sgpr_kernarg_segment_ptr 1
		.amdhsa_user_sgpr_dispatch_id 0
		.amdhsa_user_sgpr_flat_scratch_init 0
		.amdhsa_user_sgpr_kernarg_preload_length 0
		.amdhsa_user_sgpr_kernarg_preload_offset 0
		.amdhsa_user_sgpr_private_segment_size 0
		.amdhsa_uses_dynamic_stack 0
		.amdhsa_system_sgpr_private_segment_wavefront_offset 0
		.amdhsa_system_sgpr_workgroup_id_x 1
		.amdhsa_system_sgpr_workgroup_id_y 0
		.amdhsa_system_sgpr_workgroup_id_z 0
		.amdhsa_system_sgpr_workgroup_info 0
		.amdhsa_system_vgpr_workitem_id 0
		.amdhsa_next_free_vgpr 1
		.amdhsa_next_free_sgpr 0
		.amdhsa_accum_offset 4
		.amdhsa_reserve_vcc 0
		.amdhsa_reserve_flat_scratch 0
		.amdhsa_float_round_mode_32 0
		.amdhsa_float_round_mode_16_64 0
		.amdhsa_float_denorm_mode_32 3
		.amdhsa_float_denorm_mode_16_64 3
		.amdhsa_dx10_clamp 1
		.amdhsa_ieee_mode 1
		.amdhsa_fp16_overflow 0
		.amdhsa_tg_split 0
		.amdhsa_exception_fp_ieee_invalid_op 0
		.amdhsa_exception_fp_denorm_src 0
		.amdhsa_exception_fp_ieee_div_zero 0
		.amdhsa_exception_fp_ieee_overflow 0
		.amdhsa_exception_fp_ieee_underflow 0
		.amdhsa_exception_fp_ieee_inexact 0
		.amdhsa_exception_int_div_zero 0
	.end_amdhsa_kernel
	.section	.text._ZN7rocprim17ROCPRIM_400000_NS6detail17trampoline_kernelINS0_14default_configENS1_25partition_config_selectorILNS1_17partition_subalgoE8ElNS0_10empty_typeEbEEZZNS1_14partition_implILS5_8ELb0ES3_jPlPS6_PKS6_NS0_5tupleIJS9_S6_EEENSD_IJSA_SA_EEENS0_18inequality_wrapperIZN2at6native12_GLOBAL__N_124unique_dim_cuda_templateIsEESt5tupleIJNSH_6TensorESM_SM_EERKSM_lbbbEUlllE0_EEPmJS6_EEE10hipError_tPvRmT3_T4_T5_T6_T7_T9_mT8_P12ihipStream_tbDpT10_ENKUlT_T0_E_clISt17integral_constantIbLb0EES1C_EEDaS17_S18_EUlS17_E_NS1_11comp_targetILNS1_3genE5ELNS1_11target_archE942ELNS1_3gpuE9ELNS1_3repE0EEENS1_30default_config_static_selectorELNS0_4arch9wavefront6targetE1EEEvT1_,"axG",@progbits,_ZN7rocprim17ROCPRIM_400000_NS6detail17trampoline_kernelINS0_14default_configENS1_25partition_config_selectorILNS1_17partition_subalgoE8ElNS0_10empty_typeEbEEZZNS1_14partition_implILS5_8ELb0ES3_jPlPS6_PKS6_NS0_5tupleIJS9_S6_EEENSD_IJSA_SA_EEENS0_18inequality_wrapperIZN2at6native12_GLOBAL__N_124unique_dim_cuda_templateIsEESt5tupleIJNSH_6TensorESM_SM_EERKSM_lbbbEUlllE0_EEPmJS6_EEE10hipError_tPvRmT3_T4_T5_T6_T7_T9_mT8_P12ihipStream_tbDpT10_ENKUlT_T0_E_clISt17integral_constantIbLb0EES1C_EEDaS17_S18_EUlS17_E_NS1_11comp_targetILNS1_3genE5ELNS1_11target_archE942ELNS1_3gpuE9ELNS1_3repE0EEENS1_30default_config_static_selectorELNS0_4arch9wavefront6targetE1EEEvT1_,comdat
.Lfunc_end686:
	.size	_ZN7rocprim17ROCPRIM_400000_NS6detail17trampoline_kernelINS0_14default_configENS1_25partition_config_selectorILNS1_17partition_subalgoE8ElNS0_10empty_typeEbEEZZNS1_14partition_implILS5_8ELb0ES3_jPlPS6_PKS6_NS0_5tupleIJS9_S6_EEENSD_IJSA_SA_EEENS0_18inequality_wrapperIZN2at6native12_GLOBAL__N_124unique_dim_cuda_templateIsEESt5tupleIJNSH_6TensorESM_SM_EERKSM_lbbbEUlllE0_EEPmJS6_EEE10hipError_tPvRmT3_T4_T5_T6_T7_T9_mT8_P12ihipStream_tbDpT10_ENKUlT_T0_E_clISt17integral_constantIbLb0EES1C_EEDaS17_S18_EUlS17_E_NS1_11comp_targetILNS1_3genE5ELNS1_11target_archE942ELNS1_3gpuE9ELNS1_3repE0EEENS1_30default_config_static_selectorELNS0_4arch9wavefront6targetE1EEEvT1_, .Lfunc_end686-_ZN7rocprim17ROCPRIM_400000_NS6detail17trampoline_kernelINS0_14default_configENS1_25partition_config_selectorILNS1_17partition_subalgoE8ElNS0_10empty_typeEbEEZZNS1_14partition_implILS5_8ELb0ES3_jPlPS6_PKS6_NS0_5tupleIJS9_S6_EEENSD_IJSA_SA_EEENS0_18inequality_wrapperIZN2at6native12_GLOBAL__N_124unique_dim_cuda_templateIsEESt5tupleIJNSH_6TensorESM_SM_EERKSM_lbbbEUlllE0_EEPmJS6_EEE10hipError_tPvRmT3_T4_T5_T6_T7_T9_mT8_P12ihipStream_tbDpT10_ENKUlT_T0_E_clISt17integral_constantIbLb0EES1C_EEDaS17_S18_EUlS17_E_NS1_11comp_targetILNS1_3genE5ELNS1_11target_archE942ELNS1_3gpuE9ELNS1_3repE0EEENS1_30default_config_static_selectorELNS0_4arch9wavefront6targetE1EEEvT1_
                                        ; -- End function
	.section	.AMDGPU.csdata,"",@progbits
; Kernel info:
; codeLenInByte = 0
; NumSgprs: 4
; NumVgprs: 0
; NumAgprs: 0
; TotalNumVgprs: 0
; ScratchSize: 0
; MemoryBound: 0
; FloatMode: 240
; IeeeMode: 1
; LDSByteSize: 0 bytes/workgroup (compile time only)
; SGPRBlocks: 0
; VGPRBlocks: 0
; NumSGPRsForWavesPerEU: 4
; NumVGPRsForWavesPerEU: 1
; AccumOffset: 4
; Occupancy: 8
; WaveLimiterHint : 0
; COMPUTE_PGM_RSRC2:SCRATCH_EN: 0
; COMPUTE_PGM_RSRC2:USER_SGPR: 6
; COMPUTE_PGM_RSRC2:TRAP_HANDLER: 0
; COMPUTE_PGM_RSRC2:TGID_X_EN: 1
; COMPUTE_PGM_RSRC2:TGID_Y_EN: 0
; COMPUTE_PGM_RSRC2:TGID_Z_EN: 0
; COMPUTE_PGM_RSRC2:TIDIG_COMP_CNT: 0
; COMPUTE_PGM_RSRC3_GFX90A:ACCUM_OFFSET: 0
; COMPUTE_PGM_RSRC3_GFX90A:TG_SPLIT: 0
	.section	.text._ZN7rocprim17ROCPRIM_400000_NS6detail17trampoline_kernelINS0_14default_configENS1_25partition_config_selectorILNS1_17partition_subalgoE8ElNS0_10empty_typeEbEEZZNS1_14partition_implILS5_8ELb0ES3_jPlPS6_PKS6_NS0_5tupleIJS9_S6_EEENSD_IJSA_SA_EEENS0_18inequality_wrapperIZN2at6native12_GLOBAL__N_124unique_dim_cuda_templateIsEESt5tupleIJNSH_6TensorESM_SM_EERKSM_lbbbEUlllE0_EEPmJS6_EEE10hipError_tPvRmT3_T4_T5_T6_T7_T9_mT8_P12ihipStream_tbDpT10_ENKUlT_T0_E_clISt17integral_constantIbLb0EES1C_EEDaS17_S18_EUlS17_E_NS1_11comp_targetILNS1_3genE4ELNS1_11target_archE910ELNS1_3gpuE8ELNS1_3repE0EEENS1_30default_config_static_selectorELNS0_4arch9wavefront6targetE1EEEvT1_,"axG",@progbits,_ZN7rocprim17ROCPRIM_400000_NS6detail17trampoline_kernelINS0_14default_configENS1_25partition_config_selectorILNS1_17partition_subalgoE8ElNS0_10empty_typeEbEEZZNS1_14partition_implILS5_8ELb0ES3_jPlPS6_PKS6_NS0_5tupleIJS9_S6_EEENSD_IJSA_SA_EEENS0_18inequality_wrapperIZN2at6native12_GLOBAL__N_124unique_dim_cuda_templateIsEESt5tupleIJNSH_6TensorESM_SM_EERKSM_lbbbEUlllE0_EEPmJS6_EEE10hipError_tPvRmT3_T4_T5_T6_T7_T9_mT8_P12ihipStream_tbDpT10_ENKUlT_T0_E_clISt17integral_constantIbLb0EES1C_EEDaS17_S18_EUlS17_E_NS1_11comp_targetILNS1_3genE4ELNS1_11target_archE910ELNS1_3gpuE8ELNS1_3repE0EEENS1_30default_config_static_selectorELNS0_4arch9wavefront6targetE1EEEvT1_,comdat
	.globl	_ZN7rocprim17ROCPRIM_400000_NS6detail17trampoline_kernelINS0_14default_configENS1_25partition_config_selectorILNS1_17partition_subalgoE8ElNS0_10empty_typeEbEEZZNS1_14partition_implILS5_8ELb0ES3_jPlPS6_PKS6_NS0_5tupleIJS9_S6_EEENSD_IJSA_SA_EEENS0_18inequality_wrapperIZN2at6native12_GLOBAL__N_124unique_dim_cuda_templateIsEESt5tupleIJNSH_6TensorESM_SM_EERKSM_lbbbEUlllE0_EEPmJS6_EEE10hipError_tPvRmT3_T4_T5_T6_T7_T9_mT8_P12ihipStream_tbDpT10_ENKUlT_T0_E_clISt17integral_constantIbLb0EES1C_EEDaS17_S18_EUlS17_E_NS1_11comp_targetILNS1_3genE4ELNS1_11target_archE910ELNS1_3gpuE8ELNS1_3repE0EEENS1_30default_config_static_selectorELNS0_4arch9wavefront6targetE1EEEvT1_ ; -- Begin function _ZN7rocprim17ROCPRIM_400000_NS6detail17trampoline_kernelINS0_14default_configENS1_25partition_config_selectorILNS1_17partition_subalgoE8ElNS0_10empty_typeEbEEZZNS1_14partition_implILS5_8ELb0ES3_jPlPS6_PKS6_NS0_5tupleIJS9_S6_EEENSD_IJSA_SA_EEENS0_18inequality_wrapperIZN2at6native12_GLOBAL__N_124unique_dim_cuda_templateIsEESt5tupleIJNSH_6TensorESM_SM_EERKSM_lbbbEUlllE0_EEPmJS6_EEE10hipError_tPvRmT3_T4_T5_T6_T7_T9_mT8_P12ihipStream_tbDpT10_ENKUlT_T0_E_clISt17integral_constantIbLb0EES1C_EEDaS17_S18_EUlS17_E_NS1_11comp_targetILNS1_3genE4ELNS1_11target_archE910ELNS1_3gpuE8ELNS1_3repE0EEENS1_30default_config_static_selectorELNS0_4arch9wavefront6targetE1EEEvT1_
	.p2align	8
	.type	_ZN7rocprim17ROCPRIM_400000_NS6detail17trampoline_kernelINS0_14default_configENS1_25partition_config_selectorILNS1_17partition_subalgoE8ElNS0_10empty_typeEbEEZZNS1_14partition_implILS5_8ELb0ES3_jPlPS6_PKS6_NS0_5tupleIJS9_S6_EEENSD_IJSA_SA_EEENS0_18inequality_wrapperIZN2at6native12_GLOBAL__N_124unique_dim_cuda_templateIsEESt5tupleIJNSH_6TensorESM_SM_EERKSM_lbbbEUlllE0_EEPmJS6_EEE10hipError_tPvRmT3_T4_T5_T6_T7_T9_mT8_P12ihipStream_tbDpT10_ENKUlT_T0_E_clISt17integral_constantIbLb0EES1C_EEDaS17_S18_EUlS17_E_NS1_11comp_targetILNS1_3genE4ELNS1_11target_archE910ELNS1_3gpuE8ELNS1_3repE0EEENS1_30default_config_static_selectorELNS0_4arch9wavefront6targetE1EEEvT1_,@function
_ZN7rocprim17ROCPRIM_400000_NS6detail17trampoline_kernelINS0_14default_configENS1_25partition_config_selectorILNS1_17partition_subalgoE8ElNS0_10empty_typeEbEEZZNS1_14partition_implILS5_8ELb0ES3_jPlPS6_PKS6_NS0_5tupleIJS9_S6_EEENSD_IJSA_SA_EEENS0_18inequality_wrapperIZN2at6native12_GLOBAL__N_124unique_dim_cuda_templateIsEESt5tupleIJNSH_6TensorESM_SM_EERKSM_lbbbEUlllE0_EEPmJS6_EEE10hipError_tPvRmT3_T4_T5_T6_T7_T9_mT8_P12ihipStream_tbDpT10_ENKUlT_T0_E_clISt17integral_constantIbLb0EES1C_EEDaS17_S18_EUlS17_E_NS1_11comp_targetILNS1_3genE4ELNS1_11target_archE910ELNS1_3gpuE8ELNS1_3repE0EEENS1_30default_config_static_selectorELNS0_4arch9wavefront6targetE1EEEvT1_: ; @_ZN7rocprim17ROCPRIM_400000_NS6detail17trampoline_kernelINS0_14default_configENS1_25partition_config_selectorILNS1_17partition_subalgoE8ElNS0_10empty_typeEbEEZZNS1_14partition_implILS5_8ELb0ES3_jPlPS6_PKS6_NS0_5tupleIJS9_S6_EEENSD_IJSA_SA_EEENS0_18inequality_wrapperIZN2at6native12_GLOBAL__N_124unique_dim_cuda_templateIsEESt5tupleIJNSH_6TensorESM_SM_EERKSM_lbbbEUlllE0_EEPmJS6_EEE10hipError_tPvRmT3_T4_T5_T6_T7_T9_mT8_P12ihipStream_tbDpT10_ENKUlT_T0_E_clISt17integral_constantIbLb0EES1C_EEDaS17_S18_EUlS17_E_NS1_11comp_targetILNS1_3genE4ELNS1_11target_archE910ELNS1_3gpuE8ELNS1_3repE0EEENS1_30default_config_static_selectorELNS0_4arch9wavefront6targetE1EEEvT1_
; %bb.0:
	s_load_dwordx8 s[20:27], s[4:5], 0x40
	s_load_dwordx4 s[0:3], s[4:5], 0x8
	s_load_dwordx4 s[28:31], s[4:5], 0x60
	s_load_dword s7, s[4:5], 0x70
	s_waitcnt lgkmcnt(0)
	v_mov_b32_e32 v2, s24
	s_lshl_b64 s[8:9], s[2:3], 3
	s_add_u32 s12, s0, s8
	s_mul_i32 s8, s7, 0x500
	s_addc_u32 s13, s1, s9
	s_add_i32 s1, s8, s2
	s_add_i32 s10, s7, -1
	s_sub_i32 s7, s24, s1
	s_add_u32 s8, s2, s8
	s_addc_u32 s9, s3, 0
	v_mov_b32_e32 v3, s25
	s_cmp_eq_u32 s6, s10
	s_load_dwordx2 s[22:23], s[22:23], 0x0
	v_cmp_ge_u64_e32 vcc, s[8:9], v[2:3]
	s_cselect_b64 s[24:25], -1, 0
	s_mul_i32 s0, s6, 0x500
	s_mov_b32 s1, 0
	s_and_b64 s[10:11], s[24:25], vcc
	s_xor_b64 s[34:35], s[10:11], -1
	s_lshl_b64 s[0:1], s[0:1], 3
	s_add_u32 s0, s12, s0
	s_mov_b64 s[8:9], -1
	s_addc_u32 s1, s13, s1
	s_and_b64 vcc, exec, s[34:35]
	s_cbranch_vccz .LBB687_2
; %bb.1:
	v_lshlrev_b32_e32 v1, 3, v0
	v_mov_b32_e32 v2, s1
	v_add_co_u32_e32 v12, vcc, s0, v1
	v_addc_co_u32_e32 v13, vcc, 0, v2, vcc
	v_add_co_u32_e32 v2, vcc, 0x1000, v12
	v_addc_co_u32_e32 v3, vcc, 0, v13, vcc
	global_load_dwordx2 v[4:5], v1, s[0:1]
	global_load_dwordx2 v[6:7], v1, s[0:1] offset:2048
	global_load_dwordx2 v[8:9], v[2:3], off
	global_load_dwordx2 v[10:11], v[2:3], off offset:2048
	v_add_co_u32_e32 v2, vcc, 0x2000, v12
	v_addc_co_u32_e32 v3, vcc, 0, v13, vcc
	global_load_dwordx2 v[2:3], v[2:3], off
	s_mov_b64 s[8:9], 0
	s_waitcnt vmcnt(3)
	ds_write2st64_b64 v1, v[4:5], v[6:7] offset1:4
	s_waitcnt vmcnt(1)
	ds_write2st64_b64 v1, v[8:9], v[10:11] offset0:8 offset1:12
	s_waitcnt vmcnt(0)
	ds_write_b64 v1, v[2:3] offset:8192
	s_waitcnt lgkmcnt(0)
	s_barrier
.LBB687_2:
	s_andn2_b64 vcc, exec, s[8:9]
	s_addk_i32 s7, 0x500
	s_cbranch_vccnz .LBB687_14
; %bb.3:
	v_cmp_gt_u32_e32 vcc, s7, v0
                                        ; implicit-def: $vgpr2_vgpr3_vgpr4_vgpr5_vgpr6_vgpr7_vgpr8_vgpr9_vgpr10_vgpr11_vgpr12_vgpr13_vgpr14_vgpr15_vgpr16_vgpr17
	s_and_saveexec_b64 s[8:9], vcc
	s_cbranch_execz .LBB687_5
; %bb.4:
	v_lshlrev_b32_e32 v1, 3, v0
	global_load_dwordx2 v[2:3], v1, s[0:1]
.LBB687_5:
	s_or_b64 exec, exec, s[8:9]
	v_or_b32_e32 v1, 0x100, v0
	v_cmp_gt_u32_e32 vcc, s7, v1
	s_and_saveexec_b64 s[8:9], vcc
	s_cbranch_execz .LBB687_7
; %bb.6:
	v_lshlrev_b32_e32 v1, 3, v0
	global_load_dwordx2 v[4:5], v1, s[0:1] offset:2048
.LBB687_7:
	s_or_b64 exec, exec, s[8:9]
	v_or_b32_e32 v1, 0x200, v0
	v_cmp_gt_u32_e32 vcc, s7, v1
	s_and_saveexec_b64 s[8:9], vcc
	s_cbranch_execz .LBB687_9
; %bb.8:
	v_lshlrev_b32_e32 v1, 3, v1
	global_load_dwordx2 v[6:7], v1, s[0:1]
.LBB687_9:
	s_or_b64 exec, exec, s[8:9]
	v_or_b32_e32 v1, 0x300, v0
	v_cmp_gt_u32_e32 vcc, s7, v1
	s_and_saveexec_b64 s[8:9], vcc
	s_cbranch_execz .LBB687_11
; %bb.10:
	v_lshlrev_b32_e32 v1, 3, v1
	global_load_dwordx2 v[8:9], v1, s[0:1]
.LBB687_11:
	s_or_b64 exec, exec, s[8:9]
	v_or_b32_e32 v1, 0x400, v0
	v_cmp_gt_u32_e32 vcc, s7, v1
	s_and_saveexec_b64 s[8:9], vcc
	s_cbranch_execz .LBB687_13
; %bb.12:
	v_lshlrev_b32_e32 v1, 3, v1
	global_load_dwordx2 v[10:11], v1, s[0:1]
.LBB687_13:
	s_or_b64 exec, exec, s[8:9]
	v_lshlrev_b32_e32 v1, 3, v0
	s_waitcnt vmcnt(0)
	ds_write2st64_b64 v1, v[2:3], v[4:5] offset1:4
	ds_write2st64_b64 v1, v[6:7], v[8:9] offset0:8 offset1:12
	ds_write_b64 v1, v[10:11] offset:8192
	s_waitcnt lgkmcnt(0)
	s_barrier
.LBB687_14:
	v_mul_u32_u24_e32 v1, 5, v0
	v_lshlrev_b32_e32 v20, 3, v1
	s_waitcnt lgkmcnt(0)
	ds_read2_b64 v[6:9], v20 offset1:1
	ds_read2_b64 v[2:5], v20 offset0:2 offset1:3
	ds_read_b64 v[10:11], v20 offset:32
	s_cmp_lg_u32 s6, 0
	s_cselect_b64 s[16:17], -1, 0
	s_cmp_lg_u64 s[2:3], 0
	s_cselect_b64 s[2:3], -1, 0
	s_or_b64 s[2:3], s[16:17], s[2:3]
	v_mad_u32_u24 v24, v0, 5, 1
	v_mad_u32_u24 v22, v0, 5, 2
	;; [unrolled: 1-line block ×4, first 2 shown]
	s_mov_b64 s[12:13], 0
	s_and_b64 vcc, exec, s[2:3]
	v_cmp_gt_i64_e64 s[2:3], s[26:27], 0
	s_waitcnt lgkmcnt(0)
	s_barrier
	s_cbranch_vccz .LBB687_23
; %bb.15:
	s_add_u32 s0, s0, -8
	s_addc_u32 s1, s1, -1
	s_load_dwordx2 s[12:13], s[0:1], 0x0
	v_cndmask_b32_e64 v12, 0, 1, s[2:3]
	v_lshlrev_b32_e32 v21, 3, v0
	s_mov_b64 s[14:15], 0
	s_and_b64 vcc, exec, s[34:35]
	v_cmp_ne_u32_e64 s[0:1], 1, v12
	ds_write_b64 v21, v[10:11]
	s_cbranch_vccz .LBB687_24
; %bb.16:
	v_mul_lo_u32 v14, v5, s26
	v_mul_lo_u32 v15, v4, s27
	v_mad_u64_u32 v[12:13], s[2:3], v4, s26, 0
	v_add3_u32 v13, v13, v15, v14
	s_and_b64 vcc, exec, s[0:1]
	v_lshlrev_b64 v[12:13], 1, v[12:13]
	s_cbranch_vccnz .LBB687_27
; %bb.17:
	v_mul_lo_u32 v16, v11, s26
	v_mul_lo_u32 v17, v10, s27
	v_mad_u64_u32 v[14:15], s[2:3], v10, s26, 0
	v_add3_u32 v15, v15, v17, v16
	v_mov_b32_e32 v17, s29
	v_add_co_u32_e32 v16, vcc, s28, v12
	v_addc_co_u32_e64 v17, s[2:3], v17, v13, vcc
	v_lshlrev_b64 v[14:15], 1, v[14:15]
	v_mov_b32_e32 v19, s29
	v_add_co_u32_e64 v18, s[2:3], s28, v14
	v_addc_co_u32_e64 v19, s[8:9], v19, v15, s[2:3]
	global_load_ushort v14, v[16:17], off
	global_load_ushort v26, v[18:19], off
	s_mov_b64 s[14:15], -1
	s_waitcnt vmcnt(0)
	v_cmp_eq_u16_e64 s[8:9], v14, v26
	s_and_saveexec_b64 s[18:19], s[8:9]
	s_cbranch_execz .LBB687_26
; %bb.18:
	v_mov_b32_e32 v14, s29
	v_addc_co_u32_e64 v15, s[2:3], v15, v14, s[2:3]
	v_add_co_u32_e64 v14, s[2:3], 2, v18
	v_mov_b32_e32 v17, s29
	v_addc_co_u32_e64 v15, s[2:3], 0, v15, s[2:3]
	v_addc_co_u32_e32 v17, vcc, v13, v17, vcc
	v_add_co_u32_e32 v16, vcc, 2, v16
	s_add_u32 s2, s26, -1
	v_addc_co_u32_e32 v17, vcc, 0, v17, vcc
	s_addc_u32 s3, s27, -1
	s_mov_b64 s[8:9], 0
	s_mov_b64 s[36:37], 0
                                        ; implicit-def: $sgpr14_sgpr15
	s_branch .LBB687_21
.LBB687_19:                             ;   in Loop: Header=BB687_21 Depth=1
	global_load_ushort v18, v[16:17], off
	global_load_ushort v19, v[14:15], off
	v_add_co_u32_e32 v14, vcc, 2, v14
	v_addc_co_u32_e32 v15, vcc, 0, v15, vcc
	v_add_co_u32_e32 v16, vcc, 2, v16
	v_addc_co_u32_e32 v17, vcc, 0, v17, vcc
	s_add_u32 s36, s36, 1
	s_addc_u32 s37, s37, 0
	s_andn2_b64 s[14:15], s[14:15], exec
	s_waitcnt vmcnt(0)
	v_cmp_ne_u16_e32 vcc, v18, v19
	s_and_b64 s[38:39], vcc, exec
	s_or_b64 s[14:15], s[14:15], s[38:39]
.LBB687_20:                             ;   in Loop: Header=BB687_21 Depth=1
	s_and_b64 s[38:39], exec, s[14:15]
	s_or_b64 s[8:9], s[38:39], s[8:9]
	v_pk_mov_b32 v[18:19], s[36:37], s[36:37] op_sel:[0,1]
	s_andn2_b64 exec, exec, s[8:9]
	s_cbranch_execz .LBB687_25
.LBB687_21:                             ; =>This Inner Loop Header: Depth=1
	s_or_b64 s[14:15], s[14:15], exec
	s_cmp_eq_u64 s[2:3], s[36:37]
	s_cbranch_scc0 .LBB687_19
; %bb.22:                               ;   in Loop: Header=BB687_21 Depth=1
                                        ; implicit-def: $vgpr14_vgpr15
                                        ; implicit-def: $vgpr16_vgpr17
	s_mov_b64 s[36:37], s[26:27]
	s_branch .LBB687_20
.LBB687_23:
                                        ; implicit-def: $sgpr18_sgpr19
                                        ; implicit-def: $vgpr13
                                        ; implicit-def: $vgpr16
	s_branch .LBB687_125
.LBB687_24:
                                        ; implicit-def: $sgpr18_sgpr19
                                        ; implicit-def: $vgpr13
                                        ; implicit-def: $vgpr16
	s_cbranch_execnz .LBB687_66
	s_branch .LBB687_124
.LBB687_25:
	s_or_b64 exec, exec, s[8:9]
	v_cmp_gt_i64_e32 vcc, s[26:27], v[18:19]
	s_orn2_b64 s[14:15], vcc, exec
.LBB687_26:
	s_or_b64 exec, exec, s[18:19]
.LBB687_27:
	v_mul_lo_u32 v16, v3, s26
	v_mul_lo_u32 v17, v2, s27
	v_mad_u64_u32 v[14:15], s[2:3], v2, s26, 0
	v_add3_u32 v15, v15, v17, v16
	s_mov_b64 s[18:19], 0
	s_and_b64 vcc, exec, s[0:1]
	v_lshlrev_b64 v[16:17], 1, v[14:15]
	s_mov_b64 s[36:37], 0
	s_cbranch_vccnz .LBB687_36
; %bb.28:
	v_mov_b32_e32 v15, s29
	v_add_co_u32_e32 v14, vcc, s28, v16
	v_addc_co_u32_e64 v15, s[2:3], v15, v17, vcc
	v_mov_b32_e32 v19, s29
	v_add_co_u32_e64 v18, s[2:3], s28, v12
	v_addc_co_u32_e64 v19, s[8:9], v19, v13, s[2:3]
	global_load_ushort v12, v[14:15], off
	global_load_ushort v26, v[18:19], off
	s_mov_b64 s[36:37], -1
	s_waitcnt vmcnt(0)
	v_cmp_eq_u16_e64 s[8:9], v12, v26
	s_and_saveexec_b64 s[38:39], s[8:9]
	s_cbranch_execz .LBB687_35
; %bb.29:
	v_mov_b32_e32 v12, s29
	v_addc_co_u32_e64 v13, s[2:3], v13, v12, s[2:3]
	v_add_co_u32_e64 v12, s[2:3], 2, v18
	v_mov_b32_e32 v15, s29
	v_addc_co_u32_e64 v13, s[2:3], 0, v13, s[2:3]
	v_addc_co_u32_e32 v15, vcc, v17, v15, vcc
	v_add_co_u32_e32 v14, vcc, 2, v14
	s_add_u32 s2, s26, -1
	v_addc_co_u32_e32 v15, vcc, 0, v15, vcc
	s_addc_u32 s3, s27, -1
	s_mov_b64 s[8:9], 0
	s_mov_b64 s[40:41], 0
                                        ; implicit-def: $sgpr36_sgpr37
	s_branch .LBB687_32
.LBB687_30:                             ;   in Loop: Header=BB687_32 Depth=1
	global_load_ushort v18, v[14:15], off
	global_load_ushort v19, v[12:13], off
	v_add_co_u32_e32 v12, vcc, 2, v12
	v_addc_co_u32_e32 v13, vcc, 0, v13, vcc
	v_add_co_u32_e32 v14, vcc, 2, v14
	v_addc_co_u32_e32 v15, vcc, 0, v15, vcc
	s_add_u32 s40, s40, 1
	s_addc_u32 s41, s41, 0
	s_andn2_b64 s[36:37], s[36:37], exec
	s_waitcnt vmcnt(0)
	v_cmp_ne_u16_e32 vcc, v18, v19
	s_and_b64 s[42:43], vcc, exec
	s_or_b64 s[36:37], s[36:37], s[42:43]
.LBB687_31:                             ;   in Loop: Header=BB687_32 Depth=1
	s_and_b64 s[42:43], exec, s[36:37]
	s_or_b64 s[8:9], s[42:43], s[8:9]
	v_pk_mov_b32 v[18:19], s[40:41], s[40:41] op_sel:[0,1]
	s_andn2_b64 exec, exec, s[8:9]
	s_cbranch_execz .LBB687_34
.LBB687_32:                             ; =>This Inner Loop Header: Depth=1
	s_or_b64 s[36:37], s[36:37], exec
	s_cmp_eq_u64 s[2:3], s[40:41]
	s_cbranch_scc0 .LBB687_30
; %bb.33:                               ;   in Loop: Header=BB687_32 Depth=1
                                        ; implicit-def: $vgpr12_vgpr13
                                        ; implicit-def: $vgpr14_vgpr15
	s_mov_b64 s[40:41], s[26:27]
	s_branch .LBB687_31
.LBB687_34:
	s_or_b64 exec, exec, s[8:9]
	v_cmp_gt_i64_e32 vcc, s[26:27], v[18:19]
	s_orn2_b64 s[36:37], vcc, exec
.LBB687_35:
	s_or_b64 exec, exec, s[38:39]
.LBB687_36:
	v_mul_lo_u32 v14, v9, s26
	v_mul_lo_u32 v15, v8, s27
	v_mad_u64_u32 v[12:13], s[2:3], v8, s26, 0
	v_add3_u32 v13, v13, v15, v14
	s_and_b64 vcc, exec, s[0:1]
	v_lshlrev_b64 v[14:15], 1, v[12:13]
	s_cbranch_vccnz .LBB687_45
; %bb.37:
	v_mov_b32_e32 v12, s29
	v_add_co_u32_e32 v18, vcc, s28, v14
	v_addc_co_u32_e64 v19, s[2:3], v12, v15, vcc
	v_mov_b32_e32 v13, s29
	v_add_co_u32_e64 v12, s[2:3], s28, v16
	v_addc_co_u32_e64 v13, s[8:9], v13, v17, s[2:3]
	global_load_ushort v16, v[18:19], off
	global_load_ushort v26, v[12:13], off
	s_mov_b64 s[18:19], -1
	s_waitcnt vmcnt(0)
	v_cmp_eq_u16_e64 s[8:9], v16, v26
	s_and_saveexec_b64 s[38:39], s[8:9]
	s_cbranch_execz .LBB687_44
; %bb.38:
	v_mov_b32_e32 v13, s29
	v_addc_co_u32_e64 v13, s[2:3], v17, v13, s[2:3]
	v_add_co_u32_e64 v12, s[2:3], 2, v12
	v_mov_b32_e32 v16, s29
	v_addc_co_u32_e64 v13, s[2:3], 0, v13, s[2:3]
	v_addc_co_u32_e32 v17, vcc, v15, v16, vcc
	v_add_co_u32_e32 v16, vcc, 2, v18
	s_add_u32 s2, s26, -1
	v_addc_co_u32_e32 v17, vcc, 0, v17, vcc
	s_addc_u32 s3, s27, -1
	s_mov_b64 s[8:9], 0
	s_mov_b64 s[40:41], 0
                                        ; implicit-def: $sgpr18_sgpr19
	s_branch .LBB687_41
.LBB687_39:                             ;   in Loop: Header=BB687_41 Depth=1
	global_load_ushort v18, v[16:17], off
	global_load_ushort v19, v[12:13], off
	v_add_co_u32_e32 v12, vcc, 2, v12
	v_addc_co_u32_e32 v13, vcc, 0, v13, vcc
	v_add_co_u32_e32 v16, vcc, 2, v16
	v_addc_co_u32_e32 v17, vcc, 0, v17, vcc
	s_add_u32 s40, s40, 1
	s_addc_u32 s41, s41, 0
	s_andn2_b64 s[18:19], s[18:19], exec
	s_waitcnt vmcnt(0)
	v_cmp_ne_u16_e32 vcc, v18, v19
	s_and_b64 s[42:43], vcc, exec
	s_or_b64 s[18:19], s[18:19], s[42:43]
.LBB687_40:                             ;   in Loop: Header=BB687_41 Depth=1
	s_and_b64 s[42:43], exec, s[18:19]
	s_or_b64 s[8:9], s[42:43], s[8:9]
	v_pk_mov_b32 v[18:19], s[40:41], s[40:41] op_sel:[0,1]
	s_andn2_b64 exec, exec, s[8:9]
	s_cbranch_execz .LBB687_43
.LBB687_41:                             ; =>This Inner Loop Header: Depth=1
	s_or_b64 s[18:19], s[18:19], exec
	s_cmp_eq_u64 s[2:3], s[40:41]
	s_cbranch_scc0 .LBB687_39
; %bb.42:                               ;   in Loop: Header=BB687_41 Depth=1
                                        ; implicit-def: $vgpr12_vgpr13
                                        ; implicit-def: $vgpr16_vgpr17
	s_mov_b64 s[40:41], s[26:27]
	s_branch .LBB687_40
.LBB687_43:
	s_or_b64 exec, exec, s[8:9]
	v_cmp_gt_i64_e32 vcc, s[26:27], v[18:19]
	s_orn2_b64 s[18:19], vcc, exec
.LBB687_44:
	s_or_b64 exec, exec, s[38:39]
.LBB687_45:
	v_mul_lo_u32 v16, v7, s26
	v_mul_lo_u32 v17, v6, s27
	v_mad_u64_u32 v[12:13], s[2:3], v6, s26, 0
	v_add3_u32 v13, v13, v17, v16
	s_mov_b64 s[40:41], 0
	s_and_b64 vcc, exec, s[0:1]
	v_lshlrev_b64 v[12:13], 1, v[12:13]
	s_cbranch_vccnz .LBB687_54
; %bb.46:
	v_mov_b32_e32 v17, s29
	v_add_co_u32_e32 v16, vcc, s28, v12
	v_addc_co_u32_e64 v17, s[2:3], v17, v13, vcc
	v_mov_b32_e32 v19, s29
	v_add_co_u32_e64 v18, s[2:3], s28, v14
	v_addc_co_u32_e64 v19, s[8:9], v19, v15, s[2:3]
	global_load_ushort v14, v[16:17], off
	global_load_ushort v26, v[18:19], off
	s_mov_b64 s[40:41], -1
	s_waitcnt vmcnt(0)
	v_cmp_eq_u16_e64 s[8:9], v14, v26
	s_and_saveexec_b64 s[38:39], s[8:9]
	s_cbranch_execz .LBB687_53
; %bb.47:
	v_mov_b32_e32 v14, s29
	v_addc_co_u32_e64 v15, s[2:3], v15, v14, s[2:3]
	v_add_co_u32_e64 v14, s[2:3], 2, v18
	v_mov_b32_e32 v17, s29
	v_addc_co_u32_e64 v15, s[2:3], 0, v15, s[2:3]
	v_addc_co_u32_e32 v17, vcc, v13, v17, vcc
	v_add_co_u32_e32 v16, vcc, 2, v16
	s_add_u32 s2, s26, -1
	v_addc_co_u32_e32 v17, vcc, 0, v17, vcc
	s_addc_u32 s3, s27, -1
	s_mov_b64 s[8:9], 0
	s_mov_b64 s[42:43], 0
                                        ; implicit-def: $sgpr40_sgpr41
	s_branch .LBB687_50
.LBB687_48:                             ;   in Loop: Header=BB687_50 Depth=1
	global_load_ushort v18, v[16:17], off
	global_load_ushort v19, v[14:15], off
	v_add_co_u32_e32 v14, vcc, 2, v14
	v_addc_co_u32_e32 v15, vcc, 0, v15, vcc
	v_add_co_u32_e32 v16, vcc, 2, v16
	v_addc_co_u32_e32 v17, vcc, 0, v17, vcc
	s_add_u32 s42, s42, 1
	s_addc_u32 s43, s43, 0
	s_andn2_b64 s[40:41], s[40:41], exec
	s_waitcnt vmcnt(0)
	v_cmp_ne_u16_e32 vcc, v18, v19
	s_and_b64 s[44:45], vcc, exec
	s_or_b64 s[40:41], s[40:41], s[44:45]
.LBB687_49:                             ;   in Loop: Header=BB687_50 Depth=1
	s_and_b64 s[44:45], exec, s[40:41]
	s_or_b64 s[8:9], s[44:45], s[8:9]
	v_pk_mov_b32 v[18:19], s[42:43], s[42:43] op_sel:[0,1]
	s_andn2_b64 exec, exec, s[8:9]
	s_cbranch_execz .LBB687_52
.LBB687_50:                             ; =>This Inner Loop Header: Depth=1
	s_or_b64 s[40:41], s[40:41], exec
	s_cmp_eq_u64 s[2:3], s[42:43]
	s_cbranch_scc0 .LBB687_48
; %bb.51:                               ;   in Loop: Header=BB687_50 Depth=1
                                        ; implicit-def: $vgpr14_vgpr15
                                        ; implicit-def: $vgpr16_vgpr17
	s_mov_b64 s[42:43], s[26:27]
	s_branch .LBB687_49
.LBB687_52:
	s_or_b64 exec, exec, s[8:9]
	v_cmp_gt_i64_e32 vcc, s[26:27], v[18:19]
	s_orn2_b64 s[40:41], vcc, exec
.LBB687_53:
	s_or_b64 exec, exec, s[38:39]
.LBB687_54:
	v_cmp_ne_u32_e32 vcc, 0, v0
	s_waitcnt lgkmcnt(0)
	v_pk_mov_b32 v[14:15], s[12:13], s[12:13] op_sel:[0,1]
	s_barrier
	s_and_saveexec_b64 s[2:3], vcc
	s_cbranch_execz .LBB687_56
; %bb.55:
	v_add_u32_e32 v14, -8, v21
	ds_read_b64 v[14:15], v14
.LBB687_56:
	s_or_b64 exec, exec, s[2:3]
	v_cndmask_b32_e64 v17, 0, 1, s[36:37]
	v_cndmask_b32_e64 v16, 0, 1, s[18:19]
	;; [unrolled: 1-line block ×3, first 2 shown]
	v_lshlrev_b16_e32 v17, 8, v17
	v_lshlrev_b16_e32 v26, 8, v18
	v_or_b32_sdwa v27, v16, v17 dst_sel:WORD_1 dst_unused:UNUSED_PAD src0_sel:DWORD src1_sel:DWORD
	s_mov_b64 s[36:37], 0
	s_and_b64 vcc, exec, s[0:1]
	s_mov_b64 s[18:19], 0
	s_cbranch_vccnz .LBB687_65
; %bb.57:
	s_waitcnt lgkmcnt(0)
	v_mul_lo_u32 v16, v15, s26
	v_mul_lo_u32 v17, v14, s27
	v_mad_u64_u32 v[14:15], s[2:3], v14, s26, 0
	v_add3_u32 v15, v15, v17, v16
	v_lshlrev_b64 v[14:15], 1, v[14:15]
	v_mov_b32_e32 v17, s29
	v_add_co_u32_e32 v16, vcc, s28, v14
	v_addc_co_u32_e64 v17, s[2:3], v17, v15, vcc
	v_mov_b32_e32 v14, s29
	v_add_co_u32_e64 v18, s[2:3], s28, v12
	v_addc_co_u32_e64 v19, s[8:9], v14, v13, s[2:3]
	global_load_ushort v12, v[16:17], off
	global_load_ushort v14, v[18:19], off
	s_mov_b64 s[18:19], -1
	s_waitcnt vmcnt(0)
	v_cmp_eq_u16_e64 s[8:9], v12, v14
	s_and_saveexec_b64 s[38:39], s[8:9]
	s_cbranch_execz .LBB687_64
; %bb.58:
	v_mov_b32_e32 v12, s29
	v_addc_co_u32_e64 v13, s[2:3], v13, v12, s[2:3]
	v_add_co_u32_e64 v12, s[2:3], 2, v18
	v_mov_b32_e32 v14, s29
	v_addc_co_u32_e64 v13, s[2:3], 0, v13, s[2:3]
	v_addc_co_u32_e32 v15, vcc, v15, v14, vcc
	v_add_co_u32_e32 v14, vcc, 2, v16
	s_add_u32 s2, s26, -1
	v_addc_co_u32_e32 v15, vcc, 0, v15, vcc
	s_addc_u32 s3, s27, -1
	s_mov_b64 s[8:9], 0
	s_mov_b64 s[40:41], 0
                                        ; implicit-def: $sgpr18_sgpr19
	s_branch .LBB687_61
.LBB687_59:                             ;   in Loop: Header=BB687_61 Depth=1
	global_load_ushort v16, v[14:15], off
	global_load_ushort v17, v[12:13], off
	v_add_co_u32_e32 v12, vcc, 2, v12
	v_addc_co_u32_e32 v13, vcc, 0, v13, vcc
	v_add_co_u32_e32 v14, vcc, 2, v14
	v_addc_co_u32_e32 v15, vcc, 0, v15, vcc
	s_add_u32 s40, s40, 1
	s_addc_u32 s41, s41, 0
	s_andn2_b64 s[18:19], s[18:19], exec
	s_waitcnt vmcnt(0)
	v_cmp_ne_u16_e32 vcc, v16, v17
	s_and_b64 s[42:43], vcc, exec
	s_or_b64 s[18:19], s[18:19], s[42:43]
.LBB687_60:                             ;   in Loop: Header=BB687_61 Depth=1
	s_and_b64 s[42:43], exec, s[18:19]
	s_or_b64 s[8:9], s[42:43], s[8:9]
	v_pk_mov_b32 v[16:17], s[40:41], s[40:41] op_sel:[0,1]
	s_andn2_b64 exec, exec, s[8:9]
	s_cbranch_execz .LBB687_63
.LBB687_61:                             ; =>This Inner Loop Header: Depth=1
	s_or_b64 s[18:19], s[18:19], exec
	s_cmp_eq_u64 s[2:3], s[40:41]
	s_cbranch_scc0 .LBB687_59
; %bb.62:                               ;   in Loop: Header=BB687_61 Depth=1
                                        ; implicit-def: $vgpr12_vgpr13
                                        ; implicit-def: $vgpr14_vgpr15
	s_mov_b64 s[40:41], s[26:27]
	s_branch .LBB687_60
.LBB687_63:
	s_or_b64 exec, exec, s[8:9]
	v_cmp_gt_i64_e32 vcc, s[26:27], v[16:17]
	s_orn2_b64 s[18:19], vcc, exec
.LBB687_64:
	s_or_b64 exec, exec, s[38:39]
.LBB687_65:
	v_cndmask_b32_e64 v13, 0, 1, s[14:15]
	v_or_b32_e32 v16, v26, v27
	s_and_b64 vcc, exec, s[36:37]
	s_cbranch_vccz .LBB687_124
.LBB687_66:
	v_cmp_gt_u32_e32 vcc, s7, v23
	s_mov_b64 s[18:19], 0
	s_mov_b64 s[14:15], 0
	s_and_saveexec_b64 s[36:37], vcc
	s_cbranch_execz .LBB687_77
; %bb.67:
	s_and_b64 vcc, exec, s[0:1]
	s_mov_b64 s[38:39], 0
	s_cbranch_vccnz .LBB687_76
; %bb.68:
	s_waitcnt lgkmcnt(0)
	v_mul_lo_u32 v14, v5, s26
	v_mul_lo_u32 v15, v4, s27
	v_mad_u64_u32 v[12:13], s[2:3], v4, s26, 0
	v_add3_u32 v13, v13, v15, v14
	v_mul_lo_u32 v14, v11, s26
	v_mul_lo_u32 v15, v10, s27
	v_mad_u64_u32 v[18:19], s[2:3], v10, s26, 0
	v_add3_u32 v19, v19, v15, v14
	v_lshlrev_b64 v[14:15], 1, v[12:13]
	v_mov_b32_e32 v12, s29
	v_add_co_u32_e32 v16, vcc, s28, v14
	v_addc_co_u32_e64 v17, s[2:3], v12, v15, vcc
	v_lshlrev_b64 v[12:13], 1, v[18:19]
	v_mov_b32_e32 v14, s29
	v_add_co_u32_e64 v18, s[2:3], s28, v12
	v_addc_co_u32_e64 v19, s[8:9], v14, v13, s[2:3]
	global_load_ushort v12, v[16:17], off
	global_load_ushort v14, v[18:19], off
	s_mov_b64 s[38:39], -1
	s_waitcnt vmcnt(0)
	v_cmp_eq_u16_e64 s[8:9], v12, v14
	s_and_saveexec_b64 s[14:15], s[8:9]
	s_cbranch_execz .LBB687_75
; %bb.69:
	v_mov_b32_e32 v12, s29
	v_addc_co_u32_e64 v13, s[2:3], v13, v12, s[2:3]
	v_add_co_u32_e64 v12, s[2:3], 2, v18
	v_mov_b32_e32 v14, s29
	v_addc_co_u32_e64 v13, s[2:3], 0, v13, s[2:3]
	v_addc_co_u32_e32 v15, vcc, v15, v14, vcc
	v_add_co_u32_e32 v14, vcc, 2, v16
	s_add_u32 s2, s26, -1
	v_addc_co_u32_e32 v15, vcc, 0, v15, vcc
	s_addc_u32 s3, s27, -1
	s_mov_b64 s[8:9], 0
	s_mov_b64 s[40:41], 0
                                        ; implicit-def: $sgpr38_sgpr39
	s_branch .LBB687_72
.LBB687_70:                             ;   in Loop: Header=BB687_72 Depth=1
	global_load_ushort v16, v[14:15], off
	global_load_ushort v17, v[12:13], off
	v_add_co_u32_e32 v12, vcc, 2, v12
	v_addc_co_u32_e32 v13, vcc, 0, v13, vcc
	v_add_co_u32_e32 v14, vcc, 2, v14
	v_addc_co_u32_e32 v15, vcc, 0, v15, vcc
	s_add_u32 s40, s40, 1
	s_addc_u32 s41, s41, 0
	s_andn2_b64 s[38:39], s[38:39], exec
	s_waitcnt vmcnt(0)
	v_cmp_ne_u16_e32 vcc, v16, v17
	s_and_b64 s[42:43], vcc, exec
	s_or_b64 s[38:39], s[38:39], s[42:43]
.LBB687_71:                             ;   in Loop: Header=BB687_72 Depth=1
	s_and_b64 s[42:43], exec, s[38:39]
	s_or_b64 s[8:9], s[42:43], s[8:9]
	v_pk_mov_b32 v[16:17], s[40:41], s[40:41] op_sel:[0,1]
	s_andn2_b64 exec, exec, s[8:9]
	s_cbranch_execz .LBB687_74
.LBB687_72:                             ; =>This Inner Loop Header: Depth=1
	s_or_b64 s[38:39], s[38:39], exec
	s_cmp_eq_u64 s[2:3], s[40:41]
	s_cbranch_scc0 .LBB687_70
; %bb.73:                               ;   in Loop: Header=BB687_72 Depth=1
                                        ; implicit-def: $vgpr12_vgpr13
                                        ; implicit-def: $vgpr14_vgpr15
	s_mov_b64 s[40:41], s[26:27]
	s_branch .LBB687_71
.LBB687_74:
	s_or_b64 exec, exec, s[8:9]
	v_cmp_gt_i64_e32 vcc, s[26:27], v[16:17]
	s_orn2_b64 s[38:39], vcc, exec
.LBB687_75:
	s_or_b64 exec, exec, s[14:15]
.LBB687_76:
	s_and_b64 s[14:15], s[38:39], exec
.LBB687_77:
	s_or_b64 exec, exec, s[36:37]
	v_cmp_gt_u32_e32 vcc, s7, v25
	s_and_saveexec_b64 s[36:37], vcc
	s_cbranch_execz .LBB687_88
; %bb.78:
	s_and_b64 vcc, exec, s[0:1]
	s_mov_b64 s[38:39], 0
	s_cbranch_vccnz .LBB687_87
; %bb.79:
	s_waitcnt lgkmcnt(0)
	v_mul_lo_u32 v14, v3, s26
	v_mul_lo_u32 v15, v2, s27
	v_mad_u64_u32 v[12:13], s[2:3], v2, s26, 0
	v_add3_u32 v13, v13, v15, v14
	v_mul_lo_u32 v14, v5, s26
	v_mul_lo_u32 v15, v4, s27
	v_mad_u64_u32 v[18:19], s[2:3], v4, s26, 0
	v_add3_u32 v19, v19, v15, v14
	v_lshlrev_b64 v[14:15], 1, v[12:13]
	v_mov_b32_e32 v12, s29
	v_add_co_u32_e32 v16, vcc, s28, v14
	v_addc_co_u32_e64 v17, s[2:3], v12, v15, vcc
	v_lshlrev_b64 v[12:13], 1, v[18:19]
	v_mov_b32_e32 v14, s29
	v_add_co_u32_e64 v18, s[2:3], s28, v12
	v_addc_co_u32_e64 v19, s[8:9], v14, v13, s[2:3]
	global_load_ushort v12, v[16:17], off
	global_load_ushort v14, v[18:19], off
	s_mov_b64 s[38:39], -1
	s_waitcnt vmcnt(0)
	v_cmp_eq_u16_e64 s[8:9], v12, v14
	s_and_saveexec_b64 s[18:19], s[8:9]
	s_cbranch_execz .LBB687_86
; %bb.80:
	v_mov_b32_e32 v12, s29
	v_addc_co_u32_e64 v13, s[2:3], v13, v12, s[2:3]
	v_add_co_u32_e64 v12, s[2:3], 2, v18
	v_mov_b32_e32 v14, s29
	v_addc_co_u32_e64 v13, s[2:3], 0, v13, s[2:3]
	v_addc_co_u32_e32 v15, vcc, v15, v14, vcc
	v_add_co_u32_e32 v14, vcc, 2, v16
	s_add_u32 s2, s26, -1
	v_addc_co_u32_e32 v15, vcc, 0, v15, vcc
	s_addc_u32 s3, s27, -1
	s_mov_b64 s[8:9], 0
	s_mov_b64 s[40:41], 0
                                        ; implicit-def: $sgpr38_sgpr39
	s_branch .LBB687_83
.LBB687_81:                             ;   in Loop: Header=BB687_83 Depth=1
	global_load_ushort v16, v[14:15], off
	global_load_ushort v17, v[12:13], off
	v_add_co_u32_e32 v12, vcc, 2, v12
	v_addc_co_u32_e32 v13, vcc, 0, v13, vcc
	v_add_co_u32_e32 v14, vcc, 2, v14
	v_addc_co_u32_e32 v15, vcc, 0, v15, vcc
	s_add_u32 s40, s40, 1
	s_addc_u32 s41, s41, 0
	s_andn2_b64 s[38:39], s[38:39], exec
	s_waitcnt vmcnt(0)
	v_cmp_ne_u16_e32 vcc, v16, v17
	s_and_b64 s[42:43], vcc, exec
	s_or_b64 s[38:39], s[38:39], s[42:43]
.LBB687_82:                             ;   in Loop: Header=BB687_83 Depth=1
	s_and_b64 s[42:43], exec, s[38:39]
	s_or_b64 s[8:9], s[42:43], s[8:9]
	v_pk_mov_b32 v[16:17], s[40:41], s[40:41] op_sel:[0,1]
	s_andn2_b64 exec, exec, s[8:9]
	s_cbranch_execz .LBB687_85
.LBB687_83:                             ; =>This Inner Loop Header: Depth=1
	s_or_b64 s[38:39], s[38:39], exec
	s_cmp_eq_u64 s[2:3], s[40:41]
	s_cbranch_scc0 .LBB687_81
; %bb.84:                               ;   in Loop: Header=BB687_83 Depth=1
                                        ; implicit-def: $vgpr12_vgpr13
                                        ; implicit-def: $vgpr14_vgpr15
	s_mov_b64 s[40:41], s[26:27]
	s_branch .LBB687_82
.LBB687_85:
	s_or_b64 exec, exec, s[8:9]
	v_cmp_gt_i64_e32 vcc, s[26:27], v[16:17]
	s_orn2_b64 s[38:39], vcc, exec
.LBB687_86:
	s_or_b64 exec, exec, s[18:19]
.LBB687_87:
	s_and_b64 s[18:19], s[38:39], exec
.LBB687_88:
	s_or_b64 exec, exec, s[36:37]
	v_cmp_gt_u32_e32 vcc, s7, v22
	s_mov_b64 s[36:37], 0
	s_mov_b64 s[38:39], 0
	s_and_saveexec_b64 s[40:41], vcc
	s_cbranch_execz .LBB687_99
; %bb.89:
	s_and_b64 vcc, exec, s[0:1]
	s_mov_b64 s[42:43], 0
	s_cbranch_vccnz .LBB687_98
; %bb.90:
	s_waitcnt lgkmcnt(0)
	v_mul_lo_u32 v14, v9, s26
	v_mul_lo_u32 v15, v8, s27
	v_mad_u64_u32 v[12:13], s[2:3], v8, s26, 0
	v_add3_u32 v13, v13, v15, v14
	v_mul_lo_u32 v14, v3, s26
	v_mul_lo_u32 v15, v2, s27
	v_mad_u64_u32 v[18:19], s[2:3], v2, s26, 0
	v_add3_u32 v19, v19, v15, v14
	v_lshlrev_b64 v[14:15], 1, v[12:13]
	v_mov_b32_e32 v12, s29
	v_add_co_u32_e32 v16, vcc, s28, v14
	v_addc_co_u32_e64 v17, s[2:3], v12, v15, vcc
	v_lshlrev_b64 v[12:13], 1, v[18:19]
	v_mov_b32_e32 v14, s29
	v_add_co_u32_e64 v18, s[2:3], s28, v12
	v_addc_co_u32_e64 v19, s[8:9], v14, v13, s[2:3]
	global_load_ushort v12, v[16:17], off
	global_load_ushort v14, v[18:19], off
	s_mov_b64 s[42:43], -1
	s_waitcnt vmcnt(0)
	v_cmp_eq_u16_e64 s[8:9], v12, v14
	s_and_saveexec_b64 s[38:39], s[8:9]
	s_cbranch_execz .LBB687_97
; %bb.91:
	v_mov_b32_e32 v12, s29
	v_addc_co_u32_e64 v13, s[2:3], v13, v12, s[2:3]
	v_add_co_u32_e64 v12, s[2:3], 2, v18
	v_mov_b32_e32 v14, s29
	v_addc_co_u32_e64 v13, s[2:3], 0, v13, s[2:3]
	v_addc_co_u32_e32 v15, vcc, v15, v14, vcc
	v_add_co_u32_e32 v14, vcc, 2, v16
	s_add_u32 s2, s26, -1
	v_addc_co_u32_e32 v15, vcc, 0, v15, vcc
	s_addc_u32 s3, s27, -1
	s_mov_b64 s[8:9], 0
	s_mov_b64 s[44:45], 0
                                        ; implicit-def: $sgpr42_sgpr43
	s_branch .LBB687_94
.LBB687_92:                             ;   in Loop: Header=BB687_94 Depth=1
	global_load_ushort v16, v[14:15], off
	global_load_ushort v17, v[12:13], off
	v_add_co_u32_e32 v12, vcc, 2, v12
	v_addc_co_u32_e32 v13, vcc, 0, v13, vcc
	v_add_co_u32_e32 v14, vcc, 2, v14
	v_addc_co_u32_e32 v15, vcc, 0, v15, vcc
	s_add_u32 s44, s44, 1
	s_addc_u32 s45, s45, 0
	s_andn2_b64 s[42:43], s[42:43], exec
	s_waitcnt vmcnt(0)
	v_cmp_ne_u16_e32 vcc, v16, v17
	s_and_b64 s[46:47], vcc, exec
	s_or_b64 s[42:43], s[42:43], s[46:47]
.LBB687_93:                             ;   in Loop: Header=BB687_94 Depth=1
	s_and_b64 s[46:47], exec, s[42:43]
	s_or_b64 s[8:9], s[46:47], s[8:9]
	v_pk_mov_b32 v[16:17], s[44:45], s[44:45] op_sel:[0,1]
	s_andn2_b64 exec, exec, s[8:9]
	s_cbranch_execz .LBB687_96
.LBB687_94:                             ; =>This Inner Loop Header: Depth=1
	s_or_b64 s[42:43], s[42:43], exec
	s_cmp_eq_u64 s[2:3], s[44:45]
	s_cbranch_scc0 .LBB687_92
; %bb.95:                               ;   in Loop: Header=BB687_94 Depth=1
                                        ; implicit-def: $vgpr12_vgpr13
                                        ; implicit-def: $vgpr14_vgpr15
	s_mov_b64 s[44:45], s[26:27]
	s_branch .LBB687_93
.LBB687_96:
	s_or_b64 exec, exec, s[8:9]
	v_cmp_gt_i64_e32 vcc, s[26:27], v[16:17]
	s_orn2_b64 s[42:43], vcc, exec
.LBB687_97:
	s_or_b64 exec, exec, s[38:39]
.LBB687_98:
	s_and_b64 s[38:39], s[42:43], exec
.LBB687_99:
	s_or_b64 exec, exec, s[40:41]
	v_cmp_gt_u32_e32 vcc, s7, v24
	s_and_saveexec_b64 s[40:41], vcc
	s_cbranch_execz .LBB687_110
; %bb.100:
	s_and_b64 vcc, exec, s[0:1]
	s_mov_b64 s[42:43], 0
	s_cbranch_vccnz .LBB687_109
; %bb.101:
	s_waitcnt lgkmcnt(0)
	v_mul_lo_u32 v14, v7, s26
	v_mul_lo_u32 v15, v6, s27
	v_mad_u64_u32 v[12:13], s[2:3], v6, s26, 0
	v_add3_u32 v13, v13, v15, v14
	v_mul_lo_u32 v14, v9, s26
	v_mul_lo_u32 v15, v8, s27
	v_mad_u64_u32 v[18:19], s[2:3], v8, s26, 0
	v_add3_u32 v19, v19, v15, v14
	v_lshlrev_b64 v[14:15], 1, v[12:13]
	v_mov_b32_e32 v12, s29
	v_add_co_u32_e32 v16, vcc, s28, v14
	v_addc_co_u32_e64 v17, s[2:3], v12, v15, vcc
	v_lshlrev_b64 v[12:13], 1, v[18:19]
	v_mov_b32_e32 v14, s29
	v_add_co_u32_e64 v18, s[2:3], s28, v12
	v_addc_co_u32_e64 v19, s[8:9], v14, v13, s[2:3]
	global_load_ushort v12, v[16:17], off
	global_load_ushort v14, v[18:19], off
	s_mov_b64 s[42:43], -1
	s_waitcnt vmcnt(0)
	v_cmp_eq_u16_e64 s[8:9], v12, v14
	s_and_saveexec_b64 s[36:37], s[8:9]
	s_cbranch_execz .LBB687_108
; %bb.102:
	v_mov_b32_e32 v12, s29
	v_addc_co_u32_e64 v13, s[2:3], v13, v12, s[2:3]
	v_add_co_u32_e64 v12, s[2:3], 2, v18
	v_mov_b32_e32 v14, s29
	v_addc_co_u32_e64 v13, s[2:3], 0, v13, s[2:3]
	v_addc_co_u32_e32 v15, vcc, v15, v14, vcc
	v_add_co_u32_e32 v14, vcc, 2, v16
	s_add_u32 s2, s26, -1
	v_addc_co_u32_e32 v15, vcc, 0, v15, vcc
	s_addc_u32 s3, s27, -1
	s_mov_b64 s[8:9], 0
	s_mov_b64 s[44:45], 0
                                        ; implicit-def: $sgpr42_sgpr43
	s_branch .LBB687_105
.LBB687_103:                            ;   in Loop: Header=BB687_105 Depth=1
	global_load_ushort v16, v[14:15], off
	global_load_ushort v17, v[12:13], off
	v_add_co_u32_e32 v12, vcc, 2, v12
	v_addc_co_u32_e32 v13, vcc, 0, v13, vcc
	v_add_co_u32_e32 v14, vcc, 2, v14
	v_addc_co_u32_e32 v15, vcc, 0, v15, vcc
	s_add_u32 s44, s44, 1
	s_addc_u32 s45, s45, 0
	s_andn2_b64 s[42:43], s[42:43], exec
	s_waitcnt vmcnt(0)
	v_cmp_ne_u16_e32 vcc, v16, v17
	s_and_b64 s[46:47], vcc, exec
	s_or_b64 s[42:43], s[42:43], s[46:47]
.LBB687_104:                            ;   in Loop: Header=BB687_105 Depth=1
	s_and_b64 s[46:47], exec, s[42:43]
	s_or_b64 s[8:9], s[46:47], s[8:9]
	v_pk_mov_b32 v[16:17], s[44:45], s[44:45] op_sel:[0,1]
	s_andn2_b64 exec, exec, s[8:9]
	s_cbranch_execz .LBB687_107
.LBB687_105:                            ; =>This Inner Loop Header: Depth=1
	s_or_b64 s[42:43], s[42:43], exec
	s_cmp_eq_u64 s[2:3], s[44:45]
	s_cbranch_scc0 .LBB687_103
; %bb.106:                              ;   in Loop: Header=BB687_105 Depth=1
                                        ; implicit-def: $vgpr12_vgpr13
                                        ; implicit-def: $vgpr14_vgpr15
	s_mov_b64 s[44:45], s[26:27]
	s_branch .LBB687_104
.LBB687_107:
	s_or_b64 exec, exec, s[8:9]
	v_cmp_gt_i64_e32 vcc, s[26:27], v[16:17]
	s_orn2_b64 s[42:43], vcc, exec
.LBB687_108:
	s_or_b64 exec, exec, s[36:37]
.LBB687_109:
	s_and_b64 s[36:37], s[42:43], exec
.LBB687_110:
	s_or_b64 exec, exec, s[40:41]
	v_cmp_ne_u32_e32 vcc, 0, v0
	s_waitcnt lgkmcnt(0)
	v_pk_mov_b32 v[12:13], s[12:13], s[12:13] op_sel:[0,1]
	s_barrier
	s_and_saveexec_b64 s[2:3], vcc
	s_cbranch_execz .LBB687_112
; %bb.111:
	v_add_u32_e32 v12, -8, v21
	ds_read_b64 v[12:13], v12
.LBB687_112:
	s_or_b64 exec, exec, s[2:3]
	v_cndmask_b32_e64 v15, 0, 1, s[18:19]
	v_cndmask_b32_e64 v14, 0, 1, s[38:39]
	v_cndmask_b32_e64 v16, 0, 1, s[36:37]
	v_lshlrev_b16_e32 v15, 8, v15
	v_cmp_gt_u32_e32 vcc, s7, v1
	v_lshlrev_b16_e32 v21, 8, v16
	v_or_b32_sdwa v26, v14, v15 dst_sel:WORD_1 dst_unused:UNUSED_PAD src0_sel:DWORD src1_sel:DWORD
	s_mov_b64 s[18:19], 0
	s_and_saveexec_b64 s[8:9], vcc
	s_cbranch_execz .LBB687_123
; %bb.113:
	s_and_b64 vcc, exec, s[0:1]
	s_cbranch_vccnz .LBB687_122
; %bb.114:
	s_waitcnt lgkmcnt(0)
	v_mul_lo_u32 v14, v13, s26
	v_mul_lo_u32 v15, v12, s27
	v_mad_u64_u32 v[12:13], s[0:1], v12, s26, 0
	v_add3_u32 v13, v13, v15, v14
	v_mul_lo_u32 v14, v7, s26
	v_mul_lo_u32 v15, v6, s27
	v_mad_u64_u32 v[18:19], s[0:1], v6, s26, 0
	v_add3_u32 v19, v19, v15, v14
	v_lshlrev_b64 v[14:15], 1, v[12:13]
	v_mov_b32_e32 v12, s29
	v_add_co_u32_e32 v16, vcc, s28, v14
	v_addc_co_u32_e64 v17, s[0:1], v12, v15, vcc
	v_lshlrev_b64 v[12:13], 1, v[18:19]
	v_mov_b32_e32 v14, s29
	v_add_co_u32_e64 v18, s[0:1], s28, v12
	v_addc_co_u32_e64 v19, s[2:3], v14, v13, s[0:1]
	global_load_ushort v12, v[16:17], off
	global_load_ushort v14, v[18:19], off
	s_mov_b64 s[18:19], -1
	s_waitcnt vmcnt(0)
	v_cmp_eq_u16_e64 s[2:3], v12, v14
	s_and_saveexec_b64 s[12:13], s[2:3]
	s_cbranch_execz .LBB687_121
; %bb.115:
	v_mov_b32_e32 v12, s29
	v_addc_co_u32_e64 v13, s[0:1], v13, v12, s[0:1]
	v_add_co_u32_e64 v12, s[0:1], 2, v18
	v_mov_b32_e32 v14, s29
	v_addc_co_u32_e64 v13, s[0:1], 0, v13, s[0:1]
	v_addc_co_u32_e32 v15, vcc, v15, v14, vcc
	v_add_co_u32_e32 v14, vcc, 2, v16
	s_add_u32 s0, s26, -1
	v_addc_co_u32_e32 v15, vcc, 0, v15, vcc
	s_addc_u32 s1, s27, -1
	s_mov_b64 s[2:3], 0
	s_mov_b64 s[36:37], 0
                                        ; implicit-def: $sgpr18_sgpr19
	s_branch .LBB687_118
.LBB687_116:                            ;   in Loop: Header=BB687_118 Depth=1
	global_load_ushort v16, v[14:15], off
	global_load_ushort v17, v[12:13], off
	v_add_co_u32_e32 v12, vcc, 2, v12
	v_addc_co_u32_e32 v13, vcc, 0, v13, vcc
	v_add_co_u32_e32 v14, vcc, 2, v14
	v_addc_co_u32_e32 v15, vcc, 0, v15, vcc
	s_add_u32 s36, s36, 1
	s_addc_u32 s37, s37, 0
	s_andn2_b64 s[18:19], s[18:19], exec
	s_waitcnt vmcnt(0)
	v_cmp_ne_u16_e32 vcc, v16, v17
	s_and_b64 s[38:39], vcc, exec
	s_or_b64 s[18:19], s[18:19], s[38:39]
.LBB687_117:                            ;   in Loop: Header=BB687_118 Depth=1
	s_and_b64 s[38:39], exec, s[18:19]
	s_or_b64 s[2:3], s[38:39], s[2:3]
	v_pk_mov_b32 v[16:17], s[36:37], s[36:37] op_sel:[0,1]
	s_andn2_b64 exec, exec, s[2:3]
	s_cbranch_execz .LBB687_120
.LBB687_118:                            ; =>This Inner Loop Header: Depth=1
	s_or_b64 s[18:19], s[18:19], exec
	s_cmp_eq_u64 s[0:1], s[36:37]
	s_cbranch_scc0 .LBB687_116
; %bb.119:                              ;   in Loop: Header=BB687_118 Depth=1
                                        ; implicit-def: $vgpr12_vgpr13
                                        ; implicit-def: $vgpr14_vgpr15
	s_mov_b64 s[36:37], s[26:27]
	s_branch .LBB687_117
.LBB687_120:
	s_or_b64 exec, exec, s[2:3]
	v_cmp_gt_i64_e32 vcc, s[26:27], v[16:17]
	s_orn2_b64 s[18:19], vcc, exec
.LBB687_121:
	s_or_b64 exec, exec, s[12:13]
.LBB687_122:
	s_and_b64 s[18:19], s[18:19], exec
.LBB687_123:
	s_or_b64 exec, exec, s[8:9]
	s_waitcnt lgkmcnt(0)
	v_cndmask_b32_e64 v13, 0, 1, s[14:15]
	v_or_b32_e32 v16, v21, v26
.LBB687_124:
	s_waitcnt lgkmcnt(0)
	s_mov_b64 s[12:13], -1
	s_cbranch_execnz .LBB687_233
.LBB687_125:
	v_lshlrev_b32_e32 v12, 5, v0
	v_sub_u32_e32 v26, v20, v12
	s_mov_b64 s[18:19], 0
	v_cmp_gt_i64_e64 s[14:15], s[26:27], 0
	s_and_b64 vcc, exec, s[34:35]
	ds_write_b64 v26, v[10:11]
	s_cbranch_vccz .LBB687_133
; %bb.126:
	v_mul_lo_u32 v14, v5, s26
	v_mul_lo_u32 v15, v4, s27
	v_mad_u64_u32 v[12:13], s[0:1], v4, s26, 0
	v_add3_u32 v13, v13, v15, v14
	v_cndmask_b32_e64 v14, 0, 1, s[14:15]
	v_cmp_ne_u32_e64 s[0:1], 1, v14
	s_andn2_b64 vcc, exec, s[14:15]
	v_lshlrev_b64 v[12:13], 1, v[12:13]
	s_cbranch_vccnz .LBB687_136
; %bb.127:
	v_mul_lo_u32 v16, v11, s26
	v_mul_lo_u32 v17, v10, s27
	v_mad_u64_u32 v[14:15], s[2:3], v10, s26, 0
	v_add3_u32 v15, v15, v17, v16
	v_mov_b32_e32 v17, s29
	v_add_co_u32_e32 v16, vcc, s28, v12
	v_addc_co_u32_e64 v17, s[2:3], v17, v13, vcc
	v_lshlrev_b64 v[14:15], 1, v[14:15]
	v_mov_b32_e32 v19, s29
	v_add_co_u32_e64 v18, s[2:3], s28, v14
	v_addc_co_u32_e64 v19, s[8:9], v19, v15, s[2:3]
	global_load_ushort v14, v[16:17], off
	global_load_ushort v20, v[18:19], off
	s_mov_b64 s[18:19], -1
	s_waitcnt vmcnt(0)
	v_cmp_eq_u16_e64 s[8:9], v14, v20
	s_and_saveexec_b64 s[36:37], s[8:9]
	s_cbranch_execz .LBB687_135
; %bb.128:
	v_mov_b32_e32 v14, s29
	v_addc_co_u32_e64 v15, s[2:3], v15, v14, s[2:3]
	v_add_co_u32_e64 v14, s[2:3], 2, v18
	v_mov_b32_e32 v17, s29
	v_addc_co_u32_e64 v15, s[2:3], 0, v15, s[2:3]
	v_addc_co_u32_e32 v17, vcc, v13, v17, vcc
	v_add_co_u32_e32 v16, vcc, 2, v16
	s_add_u32 s2, s26, -1
	v_addc_co_u32_e32 v17, vcc, 0, v17, vcc
	s_addc_u32 s3, s27, -1
	s_mov_b64 s[8:9], 0
	s_mov_b64 s[38:39], 0
                                        ; implicit-def: $sgpr18_sgpr19
	s_branch .LBB687_131
.LBB687_129:                            ;   in Loop: Header=BB687_131 Depth=1
	global_load_ushort v18, v[16:17], off
	global_load_ushort v19, v[14:15], off
	v_add_co_u32_e32 v14, vcc, 2, v14
	v_addc_co_u32_e32 v15, vcc, 0, v15, vcc
	v_add_co_u32_e32 v16, vcc, 2, v16
	v_addc_co_u32_e32 v17, vcc, 0, v17, vcc
	s_add_u32 s38, s38, 1
	s_addc_u32 s39, s39, 0
	s_andn2_b64 s[18:19], s[18:19], exec
	s_waitcnt vmcnt(0)
	v_cmp_ne_u16_e32 vcc, v18, v19
	s_and_b64 s[40:41], vcc, exec
	s_or_b64 s[18:19], s[18:19], s[40:41]
.LBB687_130:                            ;   in Loop: Header=BB687_131 Depth=1
	s_and_b64 s[40:41], exec, s[18:19]
	s_or_b64 s[8:9], s[40:41], s[8:9]
	v_pk_mov_b32 v[18:19], s[38:39], s[38:39] op_sel:[0,1]
	s_andn2_b64 exec, exec, s[8:9]
	s_cbranch_execz .LBB687_134
.LBB687_131:                            ; =>This Inner Loop Header: Depth=1
	s_or_b64 s[18:19], s[18:19], exec
	s_cmp_eq_u64 s[2:3], s[38:39]
	s_cbranch_scc0 .LBB687_129
; %bb.132:                              ;   in Loop: Header=BB687_131 Depth=1
                                        ; implicit-def: $vgpr14_vgpr15
                                        ; implicit-def: $vgpr16_vgpr17
	s_mov_b64 s[38:39], s[26:27]
	s_branch .LBB687_130
.LBB687_133:
                                        ; implicit-def: $sgpr18_sgpr19
                                        ; implicit-def: $vgpr13
                                        ; implicit-def: $vgpr16
	s_cbranch_execnz .LBB687_175
	s_branch .LBB687_233
.LBB687_134:
	s_or_b64 exec, exec, s[8:9]
	v_cmp_gt_i64_e32 vcc, s[26:27], v[18:19]
	s_orn2_b64 s[18:19], vcc, exec
.LBB687_135:
	s_or_b64 exec, exec, s[36:37]
.LBB687_136:
	v_mul_lo_u32 v16, v3, s26
	v_mul_lo_u32 v17, v2, s27
	v_mad_u64_u32 v[14:15], s[2:3], v2, s26, 0
	v_add3_u32 v15, v15, v17, v16
	s_mov_b64 s[36:37], 0
	s_and_b64 vcc, exec, s[0:1]
	v_lshlrev_b64 v[14:15], 1, v[14:15]
	s_mov_b64 s[38:39], 0
	s_cbranch_vccnz .LBB687_145
; %bb.137:
	v_mov_b32_e32 v17, s29
	v_add_co_u32_e32 v16, vcc, s28, v14
	v_addc_co_u32_e64 v17, s[2:3], v17, v15, vcc
	v_mov_b32_e32 v19, s29
	v_add_co_u32_e64 v18, s[2:3], s28, v12
	v_addc_co_u32_e64 v19, s[8:9], v19, v13, s[2:3]
	global_load_ushort v12, v[16:17], off
	global_load_ushort v20, v[18:19], off
	s_mov_b64 s[38:39], -1
	s_waitcnt vmcnt(0)
	v_cmp_eq_u16_e64 s[8:9], v12, v20
	s_and_saveexec_b64 s[40:41], s[8:9]
	s_cbranch_execz .LBB687_144
; %bb.138:
	v_mov_b32_e32 v12, s29
	v_addc_co_u32_e64 v13, s[2:3], v13, v12, s[2:3]
	v_add_co_u32_e64 v12, s[2:3], 2, v18
	v_mov_b32_e32 v17, s29
	v_addc_co_u32_e64 v13, s[2:3], 0, v13, s[2:3]
	v_addc_co_u32_e32 v17, vcc, v15, v17, vcc
	v_add_co_u32_e32 v16, vcc, 2, v16
	s_add_u32 s2, s26, -1
	v_addc_co_u32_e32 v17, vcc, 0, v17, vcc
	s_addc_u32 s3, s27, -1
	s_mov_b64 s[8:9], 0
	s_mov_b64 s[42:43], 0
                                        ; implicit-def: $sgpr38_sgpr39
	s_branch .LBB687_141
.LBB687_139:                            ;   in Loop: Header=BB687_141 Depth=1
	global_load_ushort v18, v[16:17], off
	global_load_ushort v19, v[12:13], off
	v_add_co_u32_e32 v12, vcc, 2, v12
	v_addc_co_u32_e32 v13, vcc, 0, v13, vcc
	v_add_co_u32_e32 v16, vcc, 2, v16
	v_addc_co_u32_e32 v17, vcc, 0, v17, vcc
	s_add_u32 s42, s42, 1
	s_addc_u32 s43, s43, 0
	s_andn2_b64 s[38:39], s[38:39], exec
	s_waitcnt vmcnt(0)
	v_cmp_ne_u16_e32 vcc, v18, v19
	s_and_b64 s[44:45], vcc, exec
	s_or_b64 s[38:39], s[38:39], s[44:45]
.LBB687_140:                            ;   in Loop: Header=BB687_141 Depth=1
	s_and_b64 s[44:45], exec, s[38:39]
	s_or_b64 s[8:9], s[44:45], s[8:9]
	v_pk_mov_b32 v[18:19], s[42:43], s[42:43] op_sel:[0,1]
	s_andn2_b64 exec, exec, s[8:9]
	s_cbranch_execz .LBB687_143
.LBB687_141:                            ; =>This Inner Loop Header: Depth=1
	s_or_b64 s[38:39], s[38:39], exec
	s_cmp_eq_u64 s[2:3], s[42:43]
	s_cbranch_scc0 .LBB687_139
; %bb.142:                              ;   in Loop: Header=BB687_141 Depth=1
                                        ; implicit-def: $vgpr12_vgpr13
                                        ; implicit-def: $vgpr16_vgpr17
	s_mov_b64 s[42:43], s[26:27]
	s_branch .LBB687_140
.LBB687_143:
	s_or_b64 exec, exec, s[8:9]
	v_cmp_gt_i64_e32 vcc, s[26:27], v[18:19]
	s_orn2_b64 s[38:39], vcc, exec
.LBB687_144:
	s_or_b64 exec, exec, s[40:41]
.LBB687_145:
	v_mul_lo_u32 v16, v9, s26
	v_mul_lo_u32 v17, v8, s27
	v_mad_u64_u32 v[12:13], s[2:3], v8, s26, 0
	v_add3_u32 v13, v13, v17, v16
	s_and_b64 vcc, exec, s[0:1]
	v_lshlrev_b64 v[12:13], 1, v[12:13]
	s_cbranch_vccnz .LBB687_154
; %bb.146:
	v_mov_b32_e32 v17, s29
	v_add_co_u32_e32 v16, vcc, s28, v12
	v_addc_co_u32_e64 v17, s[2:3], v17, v13, vcc
	v_mov_b32_e32 v19, s29
	v_add_co_u32_e64 v18, s[2:3], s28, v14
	v_addc_co_u32_e64 v19, s[8:9], v19, v15, s[2:3]
	global_load_ushort v14, v[16:17], off
	global_load_ushort v20, v[18:19], off
	s_mov_b64 s[36:37], -1
	s_waitcnt vmcnt(0)
	v_cmp_eq_u16_e64 s[8:9], v14, v20
	s_and_saveexec_b64 s[40:41], s[8:9]
	s_cbranch_execz .LBB687_153
; %bb.147:
	v_mov_b32_e32 v14, s29
	v_addc_co_u32_e64 v15, s[2:3], v15, v14, s[2:3]
	v_add_co_u32_e64 v14, s[2:3], 2, v18
	v_mov_b32_e32 v17, s29
	v_addc_co_u32_e64 v15, s[2:3], 0, v15, s[2:3]
	v_addc_co_u32_e32 v17, vcc, v13, v17, vcc
	v_add_co_u32_e32 v16, vcc, 2, v16
	s_add_u32 s2, s26, -1
	v_addc_co_u32_e32 v17, vcc, 0, v17, vcc
	s_addc_u32 s3, s27, -1
	s_mov_b64 s[8:9], 0
	s_mov_b64 s[42:43], 0
                                        ; implicit-def: $sgpr36_sgpr37
	s_branch .LBB687_150
.LBB687_148:                            ;   in Loop: Header=BB687_150 Depth=1
	global_load_ushort v18, v[16:17], off
	global_load_ushort v19, v[14:15], off
	v_add_co_u32_e32 v14, vcc, 2, v14
	v_addc_co_u32_e32 v15, vcc, 0, v15, vcc
	v_add_co_u32_e32 v16, vcc, 2, v16
	v_addc_co_u32_e32 v17, vcc, 0, v17, vcc
	s_add_u32 s42, s42, 1
	s_addc_u32 s43, s43, 0
	s_andn2_b64 s[36:37], s[36:37], exec
	s_waitcnt vmcnt(0)
	v_cmp_ne_u16_e32 vcc, v18, v19
	s_and_b64 s[44:45], vcc, exec
	s_or_b64 s[36:37], s[36:37], s[44:45]
.LBB687_149:                            ;   in Loop: Header=BB687_150 Depth=1
	s_and_b64 s[44:45], exec, s[36:37]
	s_or_b64 s[8:9], s[44:45], s[8:9]
	v_pk_mov_b32 v[18:19], s[42:43], s[42:43] op_sel:[0,1]
	s_andn2_b64 exec, exec, s[8:9]
	s_cbranch_execz .LBB687_152
.LBB687_150:                            ; =>This Inner Loop Header: Depth=1
	s_or_b64 s[36:37], s[36:37], exec
	s_cmp_eq_u64 s[2:3], s[42:43]
	s_cbranch_scc0 .LBB687_148
; %bb.151:                              ;   in Loop: Header=BB687_150 Depth=1
                                        ; implicit-def: $vgpr14_vgpr15
                                        ; implicit-def: $vgpr16_vgpr17
	s_mov_b64 s[42:43], s[26:27]
	s_branch .LBB687_149
.LBB687_152:
	s_or_b64 exec, exec, s[8:9]
	v_cmp_gt_i64_e32 vcc, s[26:27], v[18:19]
	s_orn2_b64 s[36:37], vcc, exec
.LBB687_153:
	s_or_b64 exec, exec, s[40:41]
.LBB687_154:
	v_mul_lo_u32 v16, v7, s26
	v_mul_lo_u32 v17, v6, s27
	v_mad_u64_u32 v[14:15], s[2:3], v6, s26, 0
	v_add3_u32 v15, v15, v17, v16
	s_and_b64 vcc, exec, s[0:1]
	s_mov_b64 s[42:43], 0
	s_cbranch_vccnz .LBB687_163
; %bb.155:
	v_lshlrev_b64 v[16:17], 1, v[14:15]
	v_mov_b32_e32 v19, s29
	v_add_co_u32_e32 v18, vcc, s28, v16
	v_addc_co_u32_e64 v19, s[2:3], v19, v17, vcc
	v_mov_b32_e32 v16, s29
	v_add_co_u32_e64 v20, s[2:3], s28, v12
	v_addc_co_u32_e64 v21, s[8:9], v16, v13, s[2:3]
	global_load_ushort v12, v[18:19], off
	global_load_ushort v16, v[20:21], off
	s_mov_b64 s[42:43], -1
	s_waitcnt vmcnt(0)
	v_cmp_eq_u16_e64 s[8:9], v12, v16
	s_and_saveexec_b64 s[40:41], s[8:9]
	s_cbranch_execz .LBB687_162
; %bb.156:
	v_mov_b32_e32 v12, s29
	v_addc_co_u32_e64 v13, s[2:3], v13, v12, s[2:3]
	v_add_co_u32_e64 v12, s[2:3], 2, v20
	v_mov_b32_e32 v16, s29
	v_addc_co_u32_e64 v13, s[2:3], 0, v13, s[2:3]
	v_addc_co_u32_e32 v17, vcc, v17, v16, vcc
	v_add_co_u32_e32 v16, vcc, 2, v18
	s_add_u32 s2, s26, -1
	v_addc_co_u32_e32 v17, vcc, 0, v17, vcc
	s_addc_u32 s3, s27, -1
	s_mov_b64 s[8:9], 0
	s_mov_b64 s[44:45], 0
                                        ; implicit-def: $sgpr42_sgpr43
	s_branch .LBB687_159
.LBB687_157:                            ;   in Loop: Header=BB687_159 Depth=1
	global_load_ushort v18, v[16:17], off
	global_load_ushort v19, v[12:13], off
	v_add_co_u32_e32 v12, vcc, 2, v12
	v_addc_co_u32_e32 v13, vcc, 0, v13, vcc
	v_add_co_u32_e32 v16, vcc, 2, v16
	v_addc_co_u32_e32 v17, vcc, 0, v17, vcc
	s_add_u32 s44, s44, 1
	s_addc_u32 s45, s45, 0
	s_andn2_b64 s[42:43], s[42:43], exec
	s_waitcnt vmcnt(0)
	v_cmp_ne_u16_e32 vcc, v18, v19
	s_and_b64 s[46:47], vcc, exec
	s_or_b64 s[42:43], s[42:43], s[46:47]
.LBB687_158:                            ;   in Loop: Header=BB687_159 Depth=1
	s_and_b64 s[46:47], exec, s[42:43]
	s_or_b64 s[8:9], s[46:47], s[8:9]
	v_pk_mov_b32 v[18:19], s[44:45], s[44:45] op_sel:[0,1]
	s_andn2_b64 exec, exec, s[8:9]
	s_cbranch_execz .LBB687_161
.LBB687_159:                            ; =>This Inner Loop Header: Depth=1
	s_or_b64 s[42:43], s[42:43], exec
	s_cmp_eq_u64 s[2:3], s[44:45]
	s_cbranch_scc0 .LBB687_157
; %bb.160:                              ;   in Loop: Header=BB687_159 Depth=1
                                        ; implicit-def: $vgpr12_vgpr13
                                        ; implicit-def: $vgpr16_vgpr17
	s_mov_b64 s[44:45], s[26:27]
	s_branch .LBB687_158
.LBB687_161:
	s_or_b64 exec, exec, s[8:9]
	v_cmp_gt_i64_e32 vcc, s[26:27], v[18:19]
	s_orn2_b64 s[42:43], vcc, exec
.LBB687_162:
	s_or_b64 exec, exec, s[40:41]
.LBB687_163:
	v_cndmask_b32_e64 v13, 0, 1, s[38:39]
	v_cndmask_b32_e64 v16, 0, 1, s[42:43]
	v_cndmask_b32_e64 v12, 0, 1, s[36:37]
	v_lshlrev_b16_e32 v16, 8, v16
	v_lshlrev_b16_e32 v13, 8, v13
	v_or_b32_e32 v16, 1, v16
	v_or_b32_sdwa v12, v12, v13 dst_sel:WORD_1 dst_unused:UNUSED_PAD src0_sel:DWORD src1_sel:DWORD
	v_or_b32_sdwa v12, v16, v12 dst_sel:DWORD dst_unused:UNUSED_PAD src0_sel:WORD_0 src1_sel:DWORD
	v_cndmask_b32_e64 v13, 0, 1, s[18:19]
	v_cmp_ne_u32_e32 vcc, 0, v0
	s_waitcnt lgkmcnt(0)
	s_barrier
	s_waitcnt lgkmcnt(0)
                                        ; implicit-def: $sgpr18_sgpr19
                                        ; implicit-def: $vgpr16
	s_and_saveexec_b64 s[2:3], vcc
	s_xor_b64 s[8:9], exec, s[2:3]
	s_cbranch_execz .LBB687_174
; %bb.164:
	s_mov_b32 s33, 0x3020104
	s_and_b64 vcc, exec, s[0:1]
	s_mov_b64 s[36:37], 0
	s_cbranch_vccnz .LBB687_173
; %bb.165:
	v_add_u32_e32 v16, -8, v26
	ds_read_b64 v[16:17], v16
	v_mov_b32_e32 v19, s29
	v_lshlrev_b64 v[14:15], 1, v[14:15]
	s_mov_b64 s[36:37], -1
	s_waitcnt lgkmcnt(0)
	v_mul_lo_u32 v18, v17, s26
	v_mul_lo_u32 v20, v16, s27
	v_mad_u64_u32 v[16:17], s[0:1], v16, s26, 0
	v_add3_u32 v17, v17, v20, v18
	v_lshlrev_b64 v[16:17], 1, v[16:17]
	v_add_co_u32_e32 v18, vcc, s28, v16
	v_addc_co_u32_e64 v19, s[0:1], v19, v17, vcc
	v_mov_b32_e32 v16, s29
	v_add_co_u32_e64 v20, s[0:1], s28, v14
	v_addc_co_u32_e64 v21, s[2:3], v16, v15, s[0:1]
	global_load_ushort v14, v[18:19], off
	global_load_ushort v16, v[20:21], off
	s_waitcnt vmcnt(0)
	v_cmp_eq_u16_e64 s[2:3], v14, v16
	s_and_saveexec_b64 s[18:19], s[2:3]
	s_cbranch_execz .LBB687_172
; %bb.166:
	v_mov_b32_e32 v14, s29
	v_addc_co_u32_e64 v15, s[0:1], v15, v14, s[0:1]
	v_add_co_u32_e64 v14, s[0:1], 2, v20
	v_mov_b32_e32 v16, s29
	v_addc_co_u32_e64 v15, s[0:1], 0, v15, s[0:1]
	v_addc_co_u32_e32 v17, vcc, v17, v16, vcc
	v_add_co_u32_e32 v16, vcc, 2, v18
	s_add_u32 s0, s26, -1
	v_addc_co_u32_e32 v17, vcc, 0, v17, vcc
	s_addc_u32 s1, s27, -1
	s_mov_b64 s[2:3], 0
	s_mov_b64 s[38:39], 0
                                        ; implicit-def: $sgpr36_sgpr37
	s_branch .LBB687_169
.LBB687_167:                            ;   in Loop: Header=BB687_169 Depth=1
	global_load_ushort v18, v[16:17], off
	global_load_ushort v19, v[14:15], off
	v_add_co_u32_e32 v14, vcc, 2, v14
	v_addc_co_u32_e32 v15, vcc, 0, v15, vcc
	v_add_co_u32_e32 v16, vcc, 2, v16
	v_addc_co_u32_e32 v17, vcc, 0, v17, vcc
	s_add_u32 s38, s38, 1
	s_addc_u32 s39, s39, 0
	s_andn2_b64 s[36:37], s[36:37], exec
	s_waitcnt vmcnt(0)
	v_cmp_ne_u16_e32 vcc, v18, v19
	s_and_b64 s[40:41], vcc, exec
	s_or_b64 s[36:37], s[36:37], s[40:41]
.LBB687_168:                            ;   in Loop: Header=BB687_169 Depth=1
	s_and_b64 s[40:41], exec, s[36:37]
	s_or_b64 s[2:3], s[40:41], s[2:3]
	v_pk_mov_b32 v[18:19], s[38:39], s[38:39] op_sel:[0,1]
	s_andn2_b64 exec, exec, s[2:3]
	s_cbranch_execz .LBB687_171
.LBB687_169:                            ; =>This Inner Loop Header: Depth=1
	s_or_b64 s[36:37], s[36:37], exec
	s_cmp_eq_u64 s[0:1], s[38:39]
	s_cbranch_scc0 .LBB687_167
; %bb.170:                              ;   in Loop: Header=BB687_169 Depth=1
                                        ; implicit-def: $vgpr14_vgpr15
                                        ; implicit-def: $vgpr16_vgpr17
	s_mov_b64 s[38:39], s[26:27]
	s_branch .LBB687_168
.LBB687_171:
	s_or_b64 exec, exec, s[2:3]
	v_cmp_gt_i64_e32 vcc, s[26:27], v[18:19]
	s_orn2_b64 s[36:37], vcc, exec
.LBB687_172:
	s_or_b64 exec, exec, s[18:19]
.LBB687_173:
	v_perm_b32 v16, v12, v12, s33
	s_and_b64 s[18:19], s[36:37], exec
	s_or_b64 s[12:13], s[12:13], exec
.LBB687_174:
	s_or_b64 exec, exec, s[8:9]
	s_branch .LBB687_233
.LBB687_175:
	v_cmp_gt_u32_e32 vcc, s7, v23
	s_mov_b64 s[18:19], 0
	s_mov_b64 s[8:9], 0
	s_and_saveexec_b64 s[36:37], vcc
	s_cbranch_execz .LBB687_186
; %bb.176:
	s_andn2_b64 vcc, exec, s[14:15]
	s_mov_b64 s[38:39], 0
	s_cbranch_vccnz .LBB687_185
; %bb.177:
	v_mul_lo_u32 v14, v5, s26
	v_mul_lo_u32 v15, v4, s27
	v_mad_u64_u32 v[12:13], s[0:1], v4, s26, 0
	v_add3_u32 v13, v13, v15, v14
	v_mul_lo_u32 v14, v11, s26
	v_mul_lo_u32 v15, v10, s27
	v_mad_u64_u32 v[18:19], s[0:1], v10, s26, 0
	v_add3_u32 v19, v19, v15, v14
	v_lshlrev_b64 v[14:15], 1, v[12:13]
	v_mov_b32_e32 v12, s29
	v_add_co_u32_e32 v16, vcc, s28, v14
	v_addc_co_u32_e64 v17, s[0:1], v12, v15, vcc
	v_lshlrev_b64 v[12:13], 1, v[18:19]
	v_mov_b32_e32 v14, s29
	v_add_co_u32_e64 v18, s[0:1], s28, v12
	v_addc_co_u32_e64 v19, s[2:3], v14, v13, s[0:1]
	global_load_ushort v12, v[16:17], off
	global_load_ushort v14, v[18:19], off
	s_mov_b64 s[38:39], -1
	s_waitcnt vmcnt(0)
	v_cmp_eq_u16_e64 s[2:3], v12, v14
	s_and_saveexec_b64 s[8:9], s[2:3]
	s_cbranch_execz .LBB687_184
; %bb.178:
	v_mov_b32_e32 v12, s29
	v_addc_co_u32_e64 v13, s[0:1], v13, v12, s[0:1]
	v_add_co_u32_e64 v12, s[0:1], 2, v18
	v_mov_b32_e32 v14, s29
	v_addc_co_u32_e64 v13, s[0:1], 0, v13, s[0:1]
	v_addc_co_u32_e32 v15, vcc, v15, v14, vcc
	v_add_co_u32_e32 v14, vcc, 2, v16
	s_add_u32 s0, s26, -1
	v_addc_co_u32_e32 v15, vcc, 0, v15, vcc
	s_addc_u32 s1, s27, -1
	s_mov_b64 s[2:3], 0
	s_mov_b64 s[40:41], 0
                                        ; implicit-def: $sgpr38_sgpr39
	s_branch .LBB687_181
.LBB687_179:                            ;   in Loop: Header=BB687_181 Depth=1
	global_load_ushort v16, v[14:15], off
	global_load_ushort v17, v[12:13], off
	v_add_co_u32_e32 v12, vcc, 2, v12
	v_addc_co_u32_e32 v13, vcc, 0, v13, vcc
	v_add_co_u32_e32 v14, vcc, 2, v14
	v_addc_co_u32_e32 v15, vcc, 0, v15, vcc
	s_add_u32 s40, s40, 1
	s_addc_u32 s41, s41, 0
	s_andn2_b64 s[38:39], s[38:39], exec
	s_waitcnt vmcnt(0)
	v_cmp_ne_u16_e32 vcc, v16, v17
	s_and_b64 s[42:43], vcc, exec
	s_or_b64 s[38:39], s[38:39], s[42:43]
.LBB687_180:                            ;   in Loop: Header=BB687_181 Depth=1
	s_and_b64 s[42:43], exec, s[38:39]
	s_or_b64 s[2:3], s[42:43], s[2:3]
	v_pk_mov_b32 v[16:17], s[40:41], s[40:41] op_sel:[0,1]
	s_andn2_b64 exec, exec, s[2:3]
	s_cbranch_execz .LBB687_183
.LBB687_181:                            ; =>This Inner Loop Header: Depth=1
	s_or_b64 s[38:39], s[38:39], exec
	s_cmp_eq_u64 s[0:1], s[40:41]
	s_cbranch_scc0 .LBB687_179
; %bb.182:                              ;   in Loop: Header=BB687_181 Depth=1
                                        ; implicit-def: $vgpr12_vgpr13
                                        ; implicit-def: $vgpr14_vgpr15
	s_mov_b64 s[40:41], s[26:27]
	s_branch .LBB687_180
.LBB687_183:
	s_or_b64 exec, exec, s[2:3]
	v_cmp_gt_i64_e32 vcc, s[26:27], v[16:17]
	s_orn2_b64 s[38:39], vcc, exec
.LBB687_184:
	s_or_b64 exec, exec, s[8:9]
.LBB687_185:
	s_and_b64 s[8:9], s[38:39], exec
.LBB687_186:
	s_or_b64 exec, exec, s[36:37]
	v_cmp_gt_u32_e32 vcc, s7, v25
	s_and_saveexec_b64 s[36:37], vcc
	s_cbranch_execz .LBB687_197
; %bb.187:
	s_andn2_b64 vcc, exec, s[14:15]
	s_mov_b64 s[38:39], 0
	s_cbranch_vccnz .LBB687_196
; %bb.188:
	v_mul_lo_u32 v14, v3, s26
	v_mul_lo_u32 v15, v2, s27
	v_mad_u64_u32 v[12:13], s[0:1], v2, s26, 0
	v_add3_u32 v13, v13, v15, v14
	v_mul_lo_u32 v14, v5, s26
	v_mul_lo_u32 v15, v4, s27
	v_mad_u64_u32 v[18:19], s[0:1], v4, s26, 0
	v_add3_u32 v19, v19, v15, v14
	v_lshlrev_b64 v[14:15], 1, v[12:13]
	v_mov_b32_e32 v12, s29
	v_add_co_u32_e32 v16, vcc, s28, v14
	v_addc_co_u32_e64 v17, s[0:1], v12, v15, vcc
	v_lshlrev_b64 v[12:13], 1, v[18:19]
	v_mov_b32_e32 v14, s29
	v_add_co_u32_e64 v18, s[0:1], s28, v12
	v_addc_co_u32_e64 v19, s[2:3], v14, v13, s[0:1]
	global_load_ushort v12, v[16:17], off
	global_load_ushort v14, v[18:19], off
	s_mov_b64 s[38:39], -1
	s_waitcnt vmcnt(0)
	v_cmp_eq_u16_e64 s[2:3], v12, v14
	s_and_saveexec_b64 s[18:19], s[2:3]
	s_cbranch_execz .LBB687_195
; %bb.189:
	v_mov_b32_e32 v12, s29
	v_addc_co_u32_e64 v13, s[0:1], v13, v12, s[0:1]
	v_add_co_u32_e64 v12, s[0:1], 2, v18
	v_mov_b32_e32 v14, s29
	v_addc_co_u32_e64 v13, s[0:1], 0, v13, s[0:1]
	v_addc_co_u32_e32 v15, vcc, v15, v14, vcc
	v_add_co_u32_e32 v14, vcc, 2, v16
	s_add_u32 s0, s26, -1
	v_addc_co_u32_e32 v15, vcc, 0, v15, vcc
	s_addc_u32 s1, s27, -1
	s_mov_b64 s[2:3], 0
	s_mov_b64 s[40:41], 0
                                        ; implicit-def: $sgpr38_sgpr39
	s_branch .LBB687_192
.LBB687_190:                            ;   in Loop: Header=BB687_192 Depth=1
	global_load_ushort v16, v[14:15], off
	global_load_ushort v17, v[12:13], off
	v_add_co_u32_e32 v12, vcc, 2, v12
	v_addc_co_u32_e32 v13, vcc, 0, v13, vcc
	v_add_co_u32_e32 v14, vcc, 2, v14
	v_addc_co_u32_e32 v15, vcc, 0, v15, vcc
	s_add_u32 s40, s40, 1
	s_addc_u32 s41, s41, 0
	s_andn2_b64 s[38:39], s[38:39], exec
	s_waitcnt vmcnt(0)
	v_cmp_ne_u16_e32 vcc, v16, v17
	s_and_b64 s[42:43], vcc, exec
	s_or_b64 s[38:39], s[38:39], s[42:43]
.LBB687_191:                            ;   in Loop: Header=BB687_192 Depth=1
	s_and_b64 s[42:43], exec, s[38:39]
	s_or_b64 s[2:3], s[42:43], s[2:3]
	v_pk_mov_b32 v[16:17], s[40:41], s[40:41] op_sel:[0,1]
	s_andn2_b64 exec, exec, s[2:3]
	s_cbranch_execz .LBB687_194
.LBB687_192:                            ; =>This Inner Loop Header: Depth=1
	s_or_b64 s[38:39], s[38:39], exec
	s_cmp_eq_u64 s[0:1], s[40:41]
	s_cbranch_scc0 .LBB687_190
; %bb.193:                              ;   in Loop: Header=BB687_192 Depth=1
                                        ; implicit-def: $vgpr12_vgpr13
                                        ; implicit-def: $vgpr14_vgpr15
	s_mov_b64 s[40:41], s[26:27]
	s_branch .LBB687_191
.LBB687_194:
	s_or_b64 exec, exec, s[2:3]
	v_cmp_gt_i64_e32 vcc, s[26:27], v[16:17]
	s_orn2_b64 s[38:39], vcc, exec
.LBB687_195:
	s_or_b64 exec, exec, s[18:19]
.LBB687_196:
	s_and_b64 s[18:19], s[38:39], exec
.LBB687_197:
	s_or_b64 exec, exec, s[36:37]
	v_cmp_gt_u32_e32 vcc, s7, v22
	s_mov_b64 s[36:37], 0
	s_mov_b64 s[38:39], 0
	s_and_saveexec_b64 s[40:41], vcc
	s_cbranch_execz .LBB687_208
; %bb.198:
	s_andn2_b64 vcc, exec, s[14:15]
	s_mov_b64 s[42:43], 0
	s_cbranch_vccnz .LBB687_207
; %bb.199:
	v_mul_lo_u32 v14, v9, s26
	v_mul_lo_u32 v15, v8, s27
	v_mad_u64_u32 v[12:13], s[0:1], v8, s26, 0
	v_add3_u32 v13, v13, v15, v14
	v_mul_lo_u32 v14, v3, s26
	v_mul_lo_u32 v15, v2, s27
	v_mad_u64_u32 v[18:19], s[0:1], v2, s26, 0
	v_add3_u32 v19, v19, v15, v14
	v_lshlrev_b64 v[14:15], 1, v[12:13]
	v_mov_b32_e32 v12, s29
	v_add_co_u32_e32 v16, vcc, s28, v14
	v_addc_co_u32_e64 v17, s[0:1], v12, v15, vcc
	v_lshlrev_b64 v[12:13], 1, v[18:19]
	v_mov_b32_e32 v14, s29
	v_add_co_u32_e64 v18, s[0:1], s28, v12
	v_addc_co_u32_e64 v19, s[2:3], v14, v13, s[0:1]
	global_load_ushort v12, v[16:17], off
	global_load_ushort v14, v[18:19], off
	s_mov_b64 s[42:43], -1
	s_waitcnt vmcnt(0)
	v_cmp_eq_u16_e64 s[2:3], v12, v14
	s_and_saveexec_b64 s[38:39], s[2:3]
	s_cbranch_execz .LBB687_206
; %bb.200:
	v_mov_b32_e32 v12, s29
	v_addc_co_u32_e64 v13, s[0:1], v13, v12, s[0:1]
	v_add_co_u32_e64 v12, s[0:1], 2, v18
	v_mov_b32_e32 v14, s29
	v_addc_co_u32_e64 v13, s[0:1], 0, v13, s[0:1]
	v_addc_co_u32_e32 v15, vcc, v15, v14, vcc
	v_add_co_u32_e32 v14, vcc, 2, v16
	s_add_u32 s0, s26, -1
	v_addc_co_u32_e32 v15, vcc, 0, v15, vcc
	s_addc_u32 s1, s27, -1
	s_mov_b64 s[2:3], 0
	s_mov_b64 s[44:45], 0
                                        ; implicit-def: $sgpr42_sgpr43
	s_branch .LBB687_203
.LBB687_201:                            ;   in Loop: Header=BB687_203 Depth=1
	global_load_ushort v16, v[14:15], off
	global_load_ushort v17, v[12:13], off
	v_add_co_u32_e32 v12, vcc, 2, v12
	v_addc_co_u32_e32 v13, vcc, 0, v13, vcc
	v_add_co_u32_e32 v14, vcc, 2, v14
	v_addc_co_u32_e32 v15, vcc, 0, v15, vcc
	s_add_u32 s44, s44, 1
	s_addc_u32 s45, s45, 0
	s_andn2_b64 s[42:43], s[42:43], exec
	s_waitcnt vmcnt(0)
	v_cmp_ne_u16_e32 vcc, v16, v17
	s_and_b64 s[46:47], vcc, exec
	s_or_b64 s[42:43], s[42:43], s[46:47]
.LBB687_202:                            ;   in Loop: Header=BB687_203 Depth=1
	s_and_b64 s[46:47], exec, s[42:43]
	s_or_b64 s[2:3], s[46:47], s[2:3]
	v_pk_mov_b32 v[16:17], s[44:45], s[44:45] op_sel:[0,1]
	s_andn2_b64 exec, exec, s[2:3]
	s_cbranch_execz .LBB687_205
.LBB687_203:                            ; =>This Inner Loop Header: Depth=1
	s_or_b64 s[42:43], s[42:43], exec
	s_cmp_eq_u64 s[0:1], s[44:45]
	s_cbranch_scc0 .LBB687_201
; %bb.204:                              ;   in Loop: Header=BB687_203 Depth=1
                                        ; implicit-def: $vgpr12_vgpr13
                                        ; implicit-def: $vgpr14_vgpr15
	s_mov_b64 s[44:45], s[26:27]
	s_branch .LBB687_202
.LBB687_205:
	s_or_b64 exec, exec, s[2:3]
	v_cmp_gt_i64_e32 vcc, s[26:27], v[16:17]
	s_orn2_b64 s[42:43], vcc, exec
.LBB687_206:
	s_or_b64 exec, exec, s[38:39]
.LBB687_207:
	s_and_b64 s[38:39], s[42:43], exec
.LBB687_208:
	s_or_b64 exec, exec, s[40:41]
	v_cmp_gt_u32_e32 vcc, s7, v24
	s_and_saveexec_b64 s[40:41], vcc
	s_cbranch_execz .LBB687_219
; %bb.209:
	s_andn2_b64 vcc, exec, s[14:15]
	s_mov_b64 s[42:43], 0
	s_cbranch_vccnz .LBB687_218
; %bb.210:
	v_mul_lo_u32 v14, v7, s26
	v_mul_lo_u32 v15, v6, s27
	v_mad_u64_u32 v[12:13], s[0:1], v6, s26, 0
	v_add3_u32 v13, v13, v15, v14
	v_mul_lo_u32 v14, v9, s26
	v_mul_lo_u32 v15, v8, s27
	v_mad_u64_u32 v[18:19], s[0:1], v8, s26, 0
	v_add3_u32 v19, v19, v15, v14
	v_lshlrev_b64 v[14:15], 1, v[12:13]
	v_mov_b32_e32 v12, s29
	v_add_co_u32_e32 v16, vcc, s28, v14
	v_addc_co_u32_e64 v17, s[0:1], v12, v15, vcc
	v_lshlrev_b64 v[12:13], 1, v[18:19]
	v_mov_b32_e32 v14, s29
	v_add_co_u32_e64 v18, s[0:1], s28, v12
	v_addc_co_u32_e64 v19, s[2:3], v14, v13, s[0:1]
	global_load_ushort v12, v[16:17], off
	global_load_ushort v14, v[18:19], off
	s_mov_b64 s[42:43], -1
	s_waitcnt vmcnt(0)
	v_cmp_eq_u16_e64 s[2:3], v12, v14
	s_and_saveexec_b64 s[36:37], s[2:3]
	s_cbranch_execz .LBB687_217
; %bb.211:
	v_mov_b32_e32 v12, s29
	v_addc_co_u32_e64 v13, s[0:1], v13, v12, s[0:1]
	v_add_co_u32_e64 v12, s[0:1], 2, v18
	v_mov_b32_e32 v14, s29
	v_addc_co_u32_e64 v13, s[0:1], 0, v13, s[0:1]
	v_addc_co_u32_e32 v15, vcc, v15, v14, vcc
	v_add_co_u32_e32 v14, vcc, 2, v16
	s_add_u32 s0, s26, -1
	v_addc_co_u32_e32 v15, vcc, 0, v15, vcc
	s_addc_u32 s1, s27, -1
	s_mov_b64 s[2:3], 0
	s_mov_b64 s[44:45], 0
                                        ; implicit-def: $sgpr42_sgpr43
	s_branch .LBB687_214
.LBB687_212:                            ;   in Loop: Header=BB687_214 Depth=1
	global_load_ushort v16, v[14:15], off
	global_load_ushort v17, v[12:13], off
	v_add_co_u32_e32 v12, vcc, 2, v12
	v_addc_co_u32_e32 v13, vcc, 0, v13, vcc
	v_add_co_u32_e32 v14, vcc, 2, v14
	v_addc_co_u32_e32 v15, vcc, 0, v15, vcc
	s_add_u32 s44, s44, 1
	s_addc_u32 s45, s45, 0
	s_andn2_b64 s[42:43], s[42:43], exec
	s_waitcnt vmcnt(0)
	v_cmp_ne_u16_e32 vcc, v16, v17
	s_and_b64 s[46:47], vcc, exec
	s_or_b64 s[42:43], s[42:43], s[46:47]
.LBB687_213:                            ;   in Loop: Header=BB687_214 Depth=1
	s_and_b64 s[46:47], exec, s[42:43]
	s_or_b64 s[2:3], s[46:47], s[2:3]
	v_pk_mov_b32 v[16:17], s[44:45], s[44:45] op_sel:[0,1]
	s_andn2_b64 exec, exec, s[2:3]
	s_cbranch_execz .LBB687_216
.LBB687_214:                            ; =>This Inner Loop Header: Depth=1
	s_or_b64 s[42:43], s[42:43], exec
	s_cmp_eq_u64 s[0:1], s[44:45]
	s_cbranch_scc0 .LBB687_212
; %bb.215:                              ;   in Loop: Header=BB687_214 Depth=1
                                        ; implicit-def: $vgpr12_vgpr13
                                        ; implicit-def: $vgpr14_vgpr15
	s_mov_b64 s[44:45], s[26:27]
	s_branch .LBB687_213
.LBB687_216:
	s_or_b64 exec, exec, s[2:3]
	v_cmp_gt_i64_e32 vcc, s[26:27], v[16:17]
	s_orn2_b64 s[42:43], vcc, exec
.LBB687_217:
	s_or_b64 exec, exec, s[36:37]
.LBB687_218:
	s_and_b64 s[36:37], s[42:43], exec
.LBB687_219:
	s_or_b64 exec, exec, s[40:41]
	v_cndmask_b32_e64 v13, 0, 1, s[18:19]
	v_cndmask_b32_e64 v14, 0, 1, s[36:37]
	;; [unrolled: 1-line block ×3, first 2 shown]
	v_lshlrev_b16_e32 v14, 8, v14
	v_lshlrev_b16_e32 v13, 8, v13
	v_or_b32_e32 v14, 1, v14
	v_or_b32_sdwa v12, v12, v13 dst_sel:WORD_1 dst_unused:UNUSED_PAD src0_sel:DWORD src1_sel:DWORD
	v_or_b32_sdwa v12, v14, v12 dst_sel:DWORD dst_unused:UNUSED_PAD src0_sel:WORD_0 src1_sel:DWORD
	v_cndmask_b32_e64 v13, 0, 1, s[8:9]
	v_cmp_ne_u32_e32 vcc, 0, v0
	s_waitcnt lgkmcnt(0)
	s_barrier
	s_waitcnt lgkmcnt(0)
                                        ; implicit-def: $sgpr18_sgpr19
                                        ; implicit-def: $vgpr16
	s_and_saveexec_b64 s[8:9], vcc
	s_cbranch_execz .LBB687_232
; %bb.220:
	v_cmp_gt_u32_e32 vcc, s7, v1
	s_mov_b32 s33, 0x3020104
	s_mov_b64 s[0:1], 0
	s_and_saveexec_b64 s[18:19], vcc
	s_cbranch_execz .LBB687_231
; %bb.221:
	s_andn2_b64 vcc, exec, s[14:15]
	s_mov_b64 s[36:37], 0
	s_cbranch_vccnz .LBB687_230
; %bb.222:
	v_add_u32_e32 v14, -8, v26
	ds_read_b64 v[14:15], v14
	v_mul_lo_u32 v16, v7, s26
	v_mad_u64_u32 v[20:21], s[0:1], v6, s26, 0
	s_mov_b64 s[36:37], -1
	s_waitcnt lgkmcnt(0)
	v_mul_lo_u32 v17, v15, s26
	v_mul_lo_u32 v18, v14, s27
	v_mad_u64_u32 v[14:15], s[0:1], v14, s26, 0
	v_add3_u32 v15, v15, v18, v17
	v_mul_lo_u32 v17, v6, s27
	v_add3_u32 v21, v21, v17, v16
	v_lshlrev_b64 v[16:17], 1, v[14:15]
	v_mov_b32_e32 v14, s29
	v_add_co_u32_e32 v18, vcc, s28, v16
	v_addc_co_u32_e64 v19, s[0:1], v14, v17, vcc
	v_lshlrev_b64 v[14:15], 1, v[20:21]
	v_mov_b32_e32 v16, s29
	v_add_co_u32_e64 v20, s[0:1], s28, v14
	v_addc_co_u32_e64 v21, s[2:3], v16, v15, s[0:1]
	global_load_ushort v14, v[18:19], off
	global_load_ushort v16, v[20:21], off
	s_waitcnt vmcnt(0)
	v_cmp_eq_u16_e64 s[2:3], v14, v16
	s_and_saveexec_b64 s[14:15], s[2:3]
	s_cbranch_execz .LBB687_229
; %bb.223:
	v_mov_b32_e32 v14, s29
	v_addc_co_u32_e64 v15, s[0:1], v15, v14, s[0:1]
	v_add_co_u32_e64 v14, s[0:1], 2, v20
	v_mov_b32_e32 v16, s29
	v_addc_co_u32_e64 v15, s[0:1], 0, v15, s[0:1]
	v_addc_co_u32_e32 v17, vcc, v17, v16, vcc
	v_add_co_u32_e32 v16, vcc, 2, v18
	s_add_u32 s0, s26, -1
	v_addc_co_u32_e32 v17, vcc, 0, v17, vcc
	s_addc_u32 s1, s27, -1
	s_mov_b64 s[2:3], 0
	s_mov_b64 s[36:37], 0
                                        ; implicit-def: $sgpr28_sgpr29
	s_branch .LBB687_226
.LBB687_224:                            ;   in Loop: Header=BB687_226 Depth=1
	global_load_ushort v18, v[16:17], off
	global_load_ushort v19, v[14:15], off
	v_add_co_u32_e32 v14, vcc, 2, v14
	v_addc_co_u32_e32 v15, vcc, 0, v15, vcc
	v_add_co_u32_e32 v16, vcc, 2, v16
	v_addc_co_u32_e32 v17, vcc, 0, v17, vcc
	s_add_u32 s36, s36, 1
	s_addc_u32 s37, s37, 0
	s_andn2_b64 s[28:29], s[28:29], exec
	s_waitcnt vmcnt(0)
	v_cmp_ne_u16_e32 vcc, v18, v19
	s_and_b64 s[38:39], vcc, exec
	s_or_b64 s[28:29], s[28:29], s[38:39]
.LBB687_225:                            ;   in Loop: Header=BB687_226 Depth=1
	s_and_b64 s[38:39], exec, s[28:29]
	s_or_b64 s[2:3], s[38:39], s[2:3]
	v_pk_mov_b32 v[18:19], s[36:37], s[36:37] op_sel:[0,1]
	s_andn2_b64 exec, exec, s[2:3]
	s_cbranch_execz .LBB687_228
.LBB687_226:                            ; =>This Inner Loop Header: Depth=1
	s_or_b64 s[28:29], s[28:29], exec
	s_cmp_eq_u64 s[0:1], s[36:37]
	s_cbranch_scc0 .LBB687_224
; %bb.227:                              ;   in Loop: Header=BB687_226 Depth=1
                                        ; implicit-def: $vgpr14_vgpr15
                                        ; implicit-def: $vgpr16_vgpr17
	s_mov_b64 s[36:37], s[26:27]
	s_branch .LBB687_225
.LBB687_228:
	s_or_b64 exec, exec, s[2:3]
	v_cmp_gt_i64_e32 vcc, s[26:27], v[18:19]
	s_orn2_b64 s[36:37], vcc, exec
.LBB687_229:
	s_or_b64 exec, exec, s[14:15]
.LBB687_230:
	s_and_b64 s[0:1], s[36:37], exec
.LBB687_231:
	s_or_b64 exec, exec, s[18:19]
	v_perm_b32 v16, v12, v12, s33
	s_and_b64 s[18:19], s[0:1], exec
	s_or_b64 s[12:13], s[12:13], exec
.LBB687_232:
	s_or_b64 exec, exec, s[8:9]
.LBB687_233:
	s_and_saveexec_b64 s[0:1], s[12:13]
	s_cbranch_execz .LBB687_235
; %bb.234:
	v_lshrrev_b32_e32 v14, 24, v16
	s_movk_i32 s2, 0xff
	v_lshlrev_b16_e32 v14, 8, v14
	v_and_b32_sdwa v15, v16, s2 dst_sel:DWORD dst_unused:UNUSED_PAD src0_sel:WORD_1 src1_sel:DWORD
	v_or_b32_sdwa v14, v15, v14 dst_sel:WORD_1 dst_unused:UNUSED_PAD src0_sel:DWORD src1_sel:DWORD
	v_mov_b32_e32 v15, 8
	v_cndmask_b32_e64 v12, 0, 1, s[18:19]
	v_lshrrev_b32_sdwa v15, v15, v16 dst_sel:BYTE_1 dst_unused:UNUSED_PAD src0_sel:DWORD src1_sel:DWORD
	v_or_b32_e32 v12, v12, v15
	s_mov_b32 s2, 0xffff
	v_or_b32_sdwa v12, v12, v14 dst_sel:DWORD dst_unused:UNUSED_PAD src0_sel:WORD_0 src1_sel:DWORD
	v_and_b32_sdwa v13, s2, v13 dst_sel:DWORD dst_unused:UNUSED_PAD src0_sel:DWORD src1_sel:BYTE_0
.LBB687_235:
	s_or_b64 exec, exec, s[0:1]
	s_andn2_b64 vcc, exec, s[10:11]
	s_cbranch_vccnz .LBB687_237
; %bb.236:
	v_cmp_gt_u32_e32 vcc, s7, v1
	v_cndmask_b32_e32 v1, 0, v12, vcc
	v_and_b32_e32 v1, 0xffff00ff, v1
	v_cmp_gt_u32_e64 s[0:1], s7, v24
	v_cndmask_b32_e64 v1, v1, v12, s[0:1]
	v_lshrrev_b32_e32 v14, 24, v1
	s_mov_b32 s2, 0x40c0100
	v_perm_b32 v1, v14, v1, s2
	v_cmp_gt_u32_e64 s[2:3], s7, v22
	v_cmp_gt_u32_e64 s[8:9], s7, v25
	v_cndmask_b32_e64 v1, v1, v12, s[2:3]
	s_or_b64 s[2:3], s[8:9], s[2:3]
	s_or_b64 s[0:1], s[2:3], s[0:1]
	s_or_b64 vcc, s[0:1], vcc
	v_and_b32_e32 v1, 0xffffff, v1
	v_cndmask_b32_e32 v14, 0, v13, vcc
	v_cndmask_b32_e64 v1, v1, v12, s[8:9]
	v_and_b32_e32 v14, 0xffffff00, v14
	v_cmp_gt_u32_e32 vcc, s7, v23
	v_cndmask_b32_e32 v1, v1, v12, vcc
	v_cndmask_b32_e32 v12, v14, v13, vcc
	s_mov_b32 s0, 0x3020104
	v_and_b32_e32 v13, 0xff, v12
	v_perm_b32 v12, v1, v1, s0
.LBB687_237:
	v_and_b32_e32 v1, 0xff, v12
	v_bfe_u32 v25, v12, 8, 8
	v_bfe_u32 v27, v12, 16, 8
	v_alignbit_b32 v14, v13, v12, 24
	v_and_b32_e32 v28, 0xff, v14
	v_and_b32_e32 v14, 0xff, v13
	v_add3_u32 v15, v25, v1, v27
	v_add3_u32 v31, v15, v28, v14
	v_mbcnt_lo_u32_b32 v14, -1, 0
	v_mbcnt_hi_u32_b32 v29, -1, v14
	v_and_b32_e32 v14, 15, v29
	v_cmp_eq_u32_e64 s[14:15], 0, v14
	v_cmp_lt_u32_e64 s[12:13], 1, v14
	v_cmp_lt_u32_e64 s[10:11], 3, v14
	;; [unrolled: 1-line block ×3, first 2 shown]
	v_and_b32_e32 v14, 16, v29
	v_cmp_eq_u32_e64 s[18:19], 0, v14
	v_or_b32_e32 v14, 63, v0
	v_cmp_lt_u32_e64 s[0:1], 31, v29
	v_lshrrev_b32_e32 v30, 6, v0
	v_cmp_eq_u32_e64 s[2:3], v14, v0
	s_and_b64 vcc, exec, s[16:17]
	s_waitcnt lgkmcnt(0)
	s_barrier
	s_cbranch_vccz .LBB687_264
; %bb.238:
	v_mov_b32_dpp v14, v31 row_shr:1 row_mask:0xf bank_mask:0xf
	v_cndmask_b32_e64 v14, v14, 0, s[14:15]
	v_add_u32_e32 v14, v14, v31
	s_nop 1
	v_mov_b32_dpp v15, v14 row_shr:2 row_mask:0xf bank_mask:0xf
	v_cndmask_b32_e64 v15, 0, v15, s[12:13]
	v_add_u32_e32 v14, v14, v15
	s_nop 1
	;; [unrolled: 4-line block ×4, first 2 shown]
	v_mov_b32_dpp v15, v14 row_bcast:15 row_mask:0xf bank_mask:0xf
	v_cndmask_b32_e64 v15, v15, 0, s[18:19]
	v_add_u32_e32 v14, v14, v15
	s_nop 1
	v_mov_b32_dpp v15, v14 row_bcast:31 row_mask:0xf bank_mask:0xf
	v_cndmask_b32_e64 v15, 0, v15, s[0:1]
	v_add_u32_e32 v14, v14, v15
	s_and_saveexec_b64 s[16:17], s[2:3]
	s_cbranch_execz .LBB687_240
; %bb.239:
	v_lshlrev_b32_e32 v15, 2, v30
	ds_write_b32 v15, v14
.LBB687_240:
	s_or_b64 exec, exec, s[16:17]
	v_cmp_gt_u32_e32 vcc, 4, v0
	s_waitcnt lgkmcnt(0)
	s_barrier
	s_and_saveexec_b64 s[16:17], vcc
	s_cbranch_execz .LBB687_242
; %bb.241:
	v_lshlrev_b32_e32 v15, 2, v0
	ds_read_b32 v16, v15
	v_and_b32_e32 v17, 3, v29
	v_cmp_ne_u32_e32 vcc, 0, v17
	s_waitcnt lgkmcnt(0)
	v_mov_b32_dpp v18, v16 row_shr:1 row_mask:0xf bank_mask:0xf
	v_cndmask_b32_e32 v18, 0, v18, vcc
	v_add_u32_e32 v16, v18, v16
	v_cmp_lt_u32_e32 vcc, 1, v17
	s_nop 0
	v_mov_b32_dpp v18, v16 row_shr:2 row_mask:0xf bank_mask:0xf
	v_cndmask_b32_e32 v17, 0, v18, vcc
	v_add_u32_e32 v16, v16, v17
	ds_write_b32 v15, v16
.LBB687_242:
	s_or_b64 exec, exec, s[16:17]
	v_cmp_gt_u32_e32 vcc, 64, v0
	v_cmp_lt_u32_e64 s[16:17], 63, v0
	s_waitcnt lgkmcnt(0)
	s_barrier
	s_waitcnt lgkmcnt(0)
                                        ; implicit-def: $vgpr24
	s_and_saveexec_b64 s[26:27], s[16:17]
	s_cbranch_execz .LBB687_244
; %bb.243:
	v_lshl_add_u32 v15, v30, 2, -4
	ds_read_b32 v24, v15
	s_waitcnt lgkmcnt(0)
	v_add_u32_e32 v14, v24, v14
.LBB687_244:
	s_or_b64 exec, exec, s[26:27]
	v_add_u32_e32 v15, -1, v29
	v_and_b32_e32 v16, 64, v29
	v_cmp_lt_i32_e64 s[16:17], v15, v16
	v_cndmask_b32_e64 v15, v15, v29, s[16:17]
	v_lshlrev_b32_e32 v15, 2, v15
	ds_bpermute_b32 v26, v15, v14
	v_cmp_eq_u32_e64 s[16:17], 0, v29
	s_and_saveexec_b64 s[26:27], vcc
	s_cbranch_execz .LBB687_263
; %bb.245:
	v_mov_b32_e32 v21, 0
	ds_read_b32 v14, v21 offset:12
	s_and_saveexec_b64 s[28:29], s[16:17]
	s_cbranch_execz .LBB687_247
; %bb.246:
	s_add_i32 s36, s6, 64
	s_mov_b32 s37, 0
	s_lshl_b64 s[36:37], s[36:37], 3
	s_add_u32 s36, s30, s36
	v_mov_b32_e32 v15, 1
	s_addc_u32 s37, s31, s37
	s_waitcnt lgkmcnt(0)
	global_store_dwordx2 v21, v[14:15], s[36:37]
.LBB687_247:
	s_or_b64 exec, exec, s[28:29]
	v_xad_u32 v16, v29, -1, s6
	v_add_u32_e32 v20, 64, v16
	v_lshlrev_b64 v[18:19], 3, v[20:21]
	v_mov_b32_e32 v15, s31
	v_add_co_u32_e32 v22, vcc, s30, v18
	v_addc_co_u32_e32 v23, vcc, v15, v19, vcc
	global_load_dwordx2 v[18:19], v[22:23], off glc
	s_waitcnt vmcnt(0)
	v_cmp_eq_u16_sdwa s[36:37], v19, v21 src0_sel:BYTE_0 src1_sel:DWORD
	s_and_saveexec_b64 s[28:29], s[36:37]
	s_cbranch_execz .LBB687_251
; %bb.248:
	s_mov_b64 s[36:37], 0
	v_mov_b32_e32 v15, 0
.LBB687_249:                            ; =>This Inner Loop Header: Depth=1
	global_load_dwordx2 v[18:19], v[22:23], off glc
	s_waitcnt vmcnt(0)
	v_cmp_ne_u16_sdwa s[38:39], v19, v15 src0_sel:BYTE_0 src1_sel:DWORD
	s_or_b64 s[36:37], s[38:39], s[36:37]
	s_andn2_b64 exec, exec, s[36:37]
	s_cbranch_execnz .LBB687_249
; %bb.250:
	s_or_b64 exec, exec, s[36:37]
.LBB687_251:
	s_or_b64 exec, exec, s[28:29]
	v_and_b32_e32 v32, 63, v29
	v_mov_b32_e32 v15, 2
	v_cmp_ne_u32_e32 vcc, 63, v32
	v_cmp_eq_u16_sdwa s[28:29], v19, v15 src0_sel:BYTE_0 src1_sel:DWORD
	v_lshlrev_b64 v[20:21], v29, -1
	v_addc_co_u32_e32 v23, vcc, 0, v29, vcc
	v_and_b32_e32 v17, s29, v21
	v_lshlrev_b32_e32 v33, 2, v23
	v_or_b32_e32 v17, 0x80000000, v17
	ds_bpermute_b32 v23, v33, v18
	v_and_b32_e32 v22, s28, v20
	v_ffbl_b32_e32 v17, v17
	v_add_u32_e32 v17, 32, v17
	v_ffbl_b32_e32 v22, v22
	v_min_u32_e32 v17, v22, v17
	v_cmp_lt_u32_e32 vcc, v32, v17
	s_waitcnt lgkmcnt(0)
	v_cndmask_b32_e32 v22, 0, v23, vcc
	v_cmp_gt_u32_e32 vcc, 62, v32
	v_add_u32_e32 v18, v22, v18
	v_cndmask_b32_e64 v22, 0, 1, vcc
	v_lshlrev_b32_e32 v22, 1, v22
	v_add_lshl_u32 v34, v22, v29, 2
	ds_bpermute_b32 v22, v34, v18
	v_add_u32_e32 v35, 2, v32
	v_cmp_le_u32_e32 vcc, v35, v17
	v_add_u32_e32 v37, 4, v32
	v_add_u32_e32 v39, 8, v32
	s_waitcnt lgkmcnt(0)
	v_cndmask_b32_e32 v22, 0, v22, vcc
	v_cmp_gt_u32_e32 vcc, 60, v32
	v_add_u32_e32 v18, v18, v22
	v_cndmask_b32_e64 v22, 0, 1, vcc
	v_lshlrev_b32_e32 v22, 2, v22
	v_add_lshl_u32 v36, v22, v29, 2
	ds_bpermute_b32 v22, v36, v18
	v_cmp_le_u32_e32 vcc, v37, v17
	v_add_u32_e32 v42, 16, v32
	v_add_u32_e32 v44, 32, v32
	s_waitcnt lgkmcnt(0)
	v_cndmask_b32_e32 v22, 0, v22, vcc
	v_cmp_gt_u32_e32 vcc, 56, v32
	v_add_u32_e32 v18, v18, v22
	v_cndmask_b32_e64 v22, 0, 1, vcc
	v_lshlrev_b32_e32 v22, 3, v22
	v_add_lshl_u32 v38, v22, v29, 2
	ds_bpermute_b32 v22, v38, v18
	v_cmp_le_u32_e32 vcc, v39, v17
	s_waitcnt lgkmcnt(0)
	v_cndmask_b32_e32 v22, 0, v22, vcc
	v_cmp_gt_u32_e32 vcc, 48, v32
	v_add_u32_e32 v18, v18, v22
	v_cndmask_b32_e64 v22, 0, 1, vcc
	v_lshlrev_b32_e32 v22, 4, v22
	v_add_lshl_u32 v41, v22, v29, 2
	ds_bpermute_b32 v22, v41, v18
	v_cmp_le_u32_e32 vcc, v42, v17
	s_waitcnt lgkmcnt(0)
	v_cndmask_b32_e32 v22, 0, v22, vcc
	v_cmp_gt_u32_e32 vcc, 32, v32
	v_add_u32_e32 v18, v18, v22
	v_cndmask_b32_e64 v22, 0, 1, vcc
	v_lshlrev_b32_e32 v22, 5, v22
	v_add_lshl_u32 v43, v22, v29, 2
	ds_bpermute_b32 v22, v43, v18
	v_cmp_le_u32_e32 vcc, v44, v17
	s_waitcnt lgkmcnt(0)
	v_cndmask_b32_e32 v17, 0, v22, vcc
	v_add_u32_e32 v18, v18, v17
	v_mov_b32_e32 v17, 0
	s_branch .LBB687_253
.LBB687_252:                            ;   in Loop: Header=BB687_253 Depth=1
	s_or_b64 exec, exec, s[28:29]
	v_cmp_eq_u16_sdwa s[28:29], v19, v15 src0_sel:BYTE_0 src1_sel:DWORD
	v_and_b32_e32 v22, s29, v21
	v_or_b32_e32 v22, 0x80000000, v22
	ds_bpermute_b32 v45, v33, v18
	v_and_b32_e32 v23, s28, v20
	v_ffbl_b32_e32 v22, v22
	v_add_u32_e32 v22, 32, v22
	v_ffbl_b32_e32 v23, v23
	v_min_u32_e32 v22, v23, v22
	v_cmp_lt_u32_e32 vcc, v32, v22
	s_waitcnt lgkmcnt(0)
	v_cndmask_b32_e32 v23, 0, v45, vcc
	v_add_u32_e32 v18, v23, v18
	ds_bpermute_b32 v23, v34, v18
	v_cmp_le_u32_e32 vcc, v35, v22
	v_subrev_u32_e32 v16, 64, v16
	s_waitcnt lgkmcnt(0)
	v_cndmask_b32_e32 v23, 0, v23, vcc
	v_add_u32_e32 v18, v18, v23
	ds_bpermute_b32 v23, v36, v18
	v_cmp_le_u32_e32 vcc, v37, v22
	s_waitcnt lgkmcnt(0)
	v_cndmask_b32_e32 v23, 0, v23, vcc
	v_add_u32_e32 v18, v18, v23
	ds_bpermute_b32 v23, v38, v18
	v_cmp_le_u32_e32 vcc, v39, v22
	;; [unrolled: 5-line block ×4, first 2 shown]
	s_waitcnt lgkmcnt(0)
	v_cndmask_b32_e32 v22, 0, v23, vcc
	v_add3_u32 v18, v22, v40, v18
.LBB687_253:                            ; =>This Loop Header: Depth=1
                                        ;     Child Loop BB687_256 Depth 2
	v_cmp_ne_u16_sdwa s[28:29], v19, v15 src0_sel:BYTE_0 src1_sel:DWORD
	v_cndmask_b32_e64 v19, 0, 1, s[28:29]
	;;#ASMSTART
	;;#ASMEND
	v_cmp_ne_u32_e32 vcc, 0, v19
	s_cmp_lg_u64 vcc, exec
	v_mov_b32_e32 v40, v18
	s_cbranch_scc1 .LBB687_258
; %bb.254:                              ;   in Loop: Header=BB687_253 Depth=1
	v_lshlrev_b64 v[18:19], 3, v[16:17]
	v_mov_b32_e32 v23, s31
	v_add_co_u32_e32 v22, vcc, s30, v18
	v_addc_co_u32_e32 v23, vcc, v23, v19, vcc
	global_load_dwordx2 v[18:19], v[22:23], off glc
	s_waitcnt vmcnt(0)
	v_cmp_eq_u16_sdwa s[36:37], v19, v17 src0_sel:BYTE_0 src1_sel:DWORD
	s_and_saveexec_b64 s[28:29], s[36:37]
	s_cbranch_execz .LBB687_252
; %bb.255:                              ;   in Loop: Header=BB687_253 Depth=1
	s_mov_b64 s[36:37], 0
.LBB687_256:                            ;   Parent Loop BB687_253 Depth=1
                                        ; =>  This Inner Loop Header: Depth=2
	global_load_dwordx2 v[18:19], v[22:23], off glc
	s_waitcnt vmcnt(0)
	v_cmp_ne_u16_sdwa s[38:39], v19, v17 src0_sel:BYTE_0 src1_sel:DWORD
	s_or_b64 s[36:37], s[38:39], s[36:37]
	s_andn2_b64 exec, exec, s[36:37]
	s_cbranch_execnz .LBB687_256
; %bb.257:                              ;   in Loop: Header=BB687_253 Depth=1
	s_or_b64 exec, exec, s[36:37]
	s_branch .LBB687_252
.LBB687_258:                            ;   in Loop: Header=BB687_253 Depth=1
                                        ; implicit-def: $vgpr18
                                        ; implicit-def: $vgpr19
	s_cbranch_execz .LBB687_253
; %bb.259:
	s_and_saveexec_b64 s[28:29], s[16:17]
	s_cbranch_execz .LBB687_261
; %bb.260:
	s_add_i32 s6, s6, 64
	s_mov_b32 s7, 0
	s_lshl_b64 s[6:7], s[6:7], 3
	s_add_u32 s6, s30, s6
	v_add_u32_e32 v16, v40, v14
	v_mov_b32_e32 v17, 2
	s_addc_u32 s7, s31, s7
	v_mov_b32_e32 v15, 0
	global_store_dwordx2 v15, v[16:17], s[6:7]
	s_movk_i32 s6, 0x2800
	v_add_u32_e64 v15, s6, 0
	ds_write2_b32 v15, v14, v40 offset1:2
.LBB687_261:
	s_or_b64 exec, exec, s[28:29]
	v_cmp_eq_u32_e32 vcc, 0, v0
	s_and_b64 exec, exec, vcc
	s_cbranch_execz .LBB687_263
; %bb.262:
	v_mov_b32_e32 v14, 0
	ds_write_b32 v14, v40 offset:12
.LBB687_263:
	s_or_b64 exec, exec, s[26:27]
	v_mov_b32_e32 v14, 0
	s_waitcnt lgkmcnt(0)
	s_barrier
	ds_read_b32 v14, v14 offset:12
	v_cndmask_b32_e64 v15, v26, v24, s[16:17]
	v_cmp_ne_u32_e32 vcc, 0, v0
	v_cndmask_b32_e32 v15, 0, v15, vcc
	s_movk_i32 s6, 0x2800
	s_waitcnt lgkmcnt(0)
	v_add_u32_e32 v26, v14, v15
	v_add_u32_e64 v14, s6, 0
	s_barrier
	ds_read2_b32 v[14:15], v14 offset1:2
	v_add_u32_e32 v24, v26, v1
	v_add_u32_e32 v22, v24, v25
	;; [unrolled: 1-line block ×4, first 2 shown]
	s_load_dwordx2 s[4:5], s[4:5], 0x28
	v_lshrrev_b64 v[16:17], 24, v[12:13]
	s_branch .LBB687_274
.LBB687_264:
                                        ; implicit-def: $vgpr18
                                        ; implicit-def: $vgpr20
                                        ; implicit-def: $vgpr22
                                        ; implicit-def: $vgpr24
                                        ; implicit-def: $vgpr26
                                        ; implicit-def: $vgpr15
	s_load_dwordx2 s[4:5], s[4:5], 0x28
	v_lshrrev_b64 v[16:17], 24, v[12:13]
	s_cbranch_execz .LBB687_274
; %bb.265:
	s_waitcnt lgkmcnt(0)
	v_mov_b32_dpp v14, v31 row_shr:1 row_mask:0xf bank_mask:0xf
	v_cndmask_b32_e64 v14, v14, 0, s[14:15]
	v_add_u32_e32 v14, v14, v31
	s_nop 1
	v_mov_b32_dpp v15, v14 row_shr:2 row_mask:0xf bank_mask:0xf
	v_cndmask_b32_e64 v15, 0, v15, s[12:13]
	v_add_u32_e32 v14, v14, v15
	s_nop 1
	;; [unrolled: 4-line block ×4, first 2 shown]
	v_mov_b32_dpp v15, v14 row_bcast:15 row_mask:0xf bank_mask:0xf
	v_cndmask_b32_e64 v15, v15, 0, s[18:19]
	v_add_u32_e32 v14, v14, v15
	s_nop 1
	v_mov_b32_dpp v15, v14 row_bcast:31 row_mask:0xf bank_mask:0xf
	v_cndmask_b32_e64 v15, 0, v15, s[0:1]
	v_add_u32_e32 v14, v14, v15
	s_and_saveexec_b64 s[0:1], s[2:3]
	s_cbranch_execz .LBB687_267
; %bb.266:
	v_lshlrev_b32_e32 v15, 2, v30
	ds_write_b32 v15, v14
.LBB687_267:
	s_or_b64 exec, exec, s[0:1]
	v_cmp_gt_u32_e32 vcc, 4, v0
	s_waitcnt lgkmcnt(0)
	s_barrier
	s_and_saveexec_b64 s[0:1], vcc
	s_cbranch_execz .LBB687_269
; %bb.268:
	v_lshlrev_b32_e32 v15, 2, v0
	ds_read_b32 v17, v15
	v_and_b32_e32 v18, 3, v29
	v_cmp_ne_u32_e32 vcc, 0, v18
	s_waitcnt lgkmcnt(0)
	v_mov_b32_dpp v19, v17 row_shr:1 row_mask:0xf bank_mask:0xf
	v_cndmask_b32_e32 v19, 0, v19, vcc
	v_add_u32_e32 v17, v19, v17
	v_cmp_lt_u32_e32 vcc, 1, v18
	s_nop 0
	v_mov_b32_dpp v19, v17 row_shr:2 row_mask:0xf bank_mask:0xf
	v_cndmask_b32_e32 v18, 0, v19, vcc
	v_add_u32_e32 v17, v17, v18
	ds_write_b32 v15, v17
.LBB687_269:
	s_or_b64 exec, exec, s[0:1]
	v_cmp_lt_u32_e32 vcc, 63, v0
	v_mov_b32_e32 v15, 0
	v_mov_b32_e32 v17, 0
	s_waitcnt lgkmcnt(0)
	s_barrier
	s_and_saveexec_b64 s[0:1], vcc
	s_cbranch_execz .LBB687_271
; %bb.270:
	v_lshl_add_u32 v17, v30, 2, -4
	ds_read_b32 v17, v17
.LBB687_271:
	s_or_b64 exec, exec, s[0:1]
	v_add_u32_e32 v18, -1, v29
	v_and_b32_e32 v19, 64, v29
	v_cmp_lt_i32_e32 vcc, v18, v19
	v_cndmask_b32_e32 v18, v18, v29, vcc
	s_waitcnt lgkmcnt(0)
	v_add_u32_e32 v14, v17, v14
	v_lshlrev_b32_e32 v18, 2, v18
	ds_bpermute_b32 v18, v18, v14
	ds_read_b32 v14, v15 offset:12
	v_cmp_eq_u32_e32 vcc, 0, v0
	s_and_saveexec_b64 s[0:1], vcc
	s_cbranch_execz .LBB687_273
; %bb.272:
	v_mov_b32_e32 v19, 0
	v_mov_b32_e32 v15, 2
	s_waitcnt lgkmcnt(0)
	global_store_dwordx2 v19, v[14:15], s[30:31] offset:512
.LBB687_273:
	s_or_b64 exec, exec, s[0:1]
	v_cmp_eq_u32_e64 s[0:1], 0, v29
	s_waitcnt lgkmcnt(1)
	v_cndmask_b32_e64 v17, v18, v17, s[0:1]
	v_cndmask_b32_e64 v26, v17, 0, vcc
	v_add_u32_e32 v24, v26, v1
	v_add_u32_e32 v22, v24, v25
	;; [unrolled: 1-line block ×3, first 2 shown]
	v_mov_b32_e32 v15, 0
	v_add_u32_e32 v18, v20, v28
	s_waitcnt lgkmcnt(0)
	s_barrier
.LBB687_274:
	s_movk_i32 s0, 0x101
	s_waitcnt lgkmcnt(0)
	v_cmp_gt_u32_e32 vcc, s0, v14
	v_lshrrev_b32_e32 v1, 8, v12
	s_mov_b64 s[0:1], -1
	s_cbranch_vccnz .LBB687_278
; %bb.275:
	s_and_b64 vcc, exec, s[0:1]
	s_cbranch_vccnz .LBB687_294
.LBB687_276:
	v_cmp_eq_u32_e32 vcc, 0, v0
	s_and_b64 s[0:1], vcc, s[24:25]
	s_and_saveexec_b64 s[2:3], s[0:1]
	s_cbranch_execnz .LBB687_308
.LBB687_277:
	s_endpgm
.LBB687_278:
	v_add_u32_e32 v17, v15, v14
	v_cmp_lt_u32_e32 vcc, v26, v17
	s_or_b64 s[2:3], s[34:35], vcc
	s_and_saveexec_b64 s[0:1], s[2:3]
	s_cbranch_execz .LBB687_281
; %bb.279:
	v_and_b32_e32 v19, 1, v12
	v_cmp_eq_u32_e32 vcc, 1, v19
	s_and_b64 exec, exec, vcc
	s_cbranch_execz .LBB687_281
; %bb.280:
	s_lshl_b64 s[2:3], s[22:23], 3
	s_add_u32 s2, s4, s2
	v_mov_b32_e32 v27, 0
	s_addc_u32 s3, s5, s3
	v_lshlrev_b64 v[28:29], 3, v[26:27]
	v_mov_b32_e32 v19, s3
	v_add_co_u32_e32 v28, vcc, s2, v28
	v_addc_co_u32_e32 v29, vcc, v19, v29, vcc
	global_store_dwordx2 v[28:29], v[6:7], off
.LBB687_281:
	s_or_b64 exec, exec, s[0:1]
	v_cmp_lt_u32_e32 vcc, v24, v17
	s_or_b64 s[2:3], s[34:35], vcc
	s_and_saveexec_b64 s[0:1], s[2:3]
	s_cbranch_execz .LBB687_284
; %bb.282:
	v_and_b32_e32 v19, 1, v1
	v_cmp_eq_u32_e32 vcc, 1, v19
	s_and_b64 exec, exec, vcc
	s_cbranch_execz .LBB687_284
; %bb.283:
	s_lshl_b64 s[2:3], s[22:23], 3
	s_add_u32 s2, s4, s2
	v_mov_b32_e32 v25, 0
	s_addc_u32 s3, s5, s3
	v_lshlrev_b64 v[28:29], 3, v[24:25]
	v_mov_b32_e32 v19, s3
	v_add_co_u32_e32 v28, vcc, s2, v28
	v_addc_co_u32_e32 v29, vcc, v19, v29, vcc
	global_store_dwordx2 v[28:29], v[8:9], off
.LBB687_284:
	s_or_b64 exec, exec, s[0:1]
	v_cmp_lt_u32_e32 vcc, v22, v17
	s_or_b64 s[2:3], s[34:35], vcc
	s_and_saveexec_b64 s[0:1], s[2:3]
	s_cbranch_execz .LBB687_287
; %bb.285:
	v_mov_b32_e32 v19, 1
	v_and_b32_sdwa v19, v19, v12 dst_sel:DWORD dst_unused:UNUSED_PAD src0_sel:DWORD src1_sel:WORD_1
	v_cmp_eq_u32_e32 vcc, 1, v19
	s_and_b64 exec, exec, vcc
	s_cbranch_execz .LBB687_287
; %bb.286:
	s_lshl_b64 s[2:3], s[22:23], 3
	s_add_u32 s2, s4, s2
	v_mov_b32_e32 v23, 0
	s_addc_u32 s3, s5, s3
	v_lshlrev_b64 v[28:29], 3, v[22:23]
	v_mov_b32_e32 v19, s3
	v_add_co_u32_e32 v28, vcc, s2, v28
	v_addc_co_u32_e32 v29, vcc, v19, v29, vcc
	global_store_dwordx2 v[28:29], v[2:3], off
.LBB687_287:
	s_or_b64 exec, exec, s[0:1]
	v_cmp_lt_u32_e32 vcc, v20, v17
	s_or_b64 s[2:3], s[34:35], vcc
	s_and_saveexec_b64 s[0:1], s[2:3]
	s_cbranch_execz .LBB687_290
; %bb.288:
	v_and_b32_e32 v19, 1, v16
	v_cmp_eq_u32_e32 vcc, 1, v19
	s_and_b64 exec, exec, vcc
	s_cbranch_execz .LBB687_290
; %bb.289:
	s_lshl_b64 s[2:3], s[22:23], 3
	s_add_u32 s2, s4, s2
	v_mov_b32_e32 v21, 0
	s_addc_u32 s3, s5, s3
	v_lshlrev_b64 v[28:29], 3, v[20:21]
	v_mov_b32_e32 v19, s3
	v_add_co_u32_e32 v28, vcc, s2, v28
	v_addc_co_u32_e32 v29, vcc, v19, v29, vcc
	global_store_dwordx2 v[28:29], v[4:5], off
.LBB687_290:
	s_or_b64 exec, exec, s[0:1]
	v_cmp_lt_u32_e32 vcc, v18, v17
	s_or_b64 s[2:3], s[34:35], vcc
	s_and_saveexec_b64 s[0:1], s[2:3]
	s_cbranch_execz .LBB687_293
; %bb.291:
	v_and_b32_e32 v17, 1, v13
	v_cmp_eq_u32_e32 vcc, 1, v17
	s_and_b64 exec, exec, vcc
	s_cbranch_execz .LBB687_293
; %bb.292:
	s_lshl_b64 s[2:3], s[22:23], 3
	s_add_u32 s2, s4, s2
	v_mov_b32_e32 v19, 0
	s_addc_u32 s3, s5, s3
	v_lshlrev_b64 v[28:29], 3, v[18:19]
	v_mov_b32_e32 v17, s3
	v_add_co_u32_e32 v28, vcc, s2, v28
	v_addc_co_u32_e32 v29, vcc, v17, v29, vcc
	global_store_dwordx2 v[28:29], v[10:11], off
.LBB687_293:
	s_or_b64 exec, exec, s[0:1]
	s_branch .LBB687_276
.LBB687_294:
	v_and_b32_e32 v17, 1, v12
	v_cmp_eq_u32_e32 vcc, 1, v17
	s_and_saveexec_b64 s[0:1], vcc
	s_cbranch_execz .LBB687_296
; %bb.295:
	v_sub_u32_e32 v17, v26, v15
	v_lshlrev_b32_e32 v17, 3, v17
	ds_write_b64 v17, v[6:7]
.LBB687_296:
	s_or_b64 exec, exec, s[0:1]
	v_and_b32_e32 v1, 1, v1
	v_cmp_eq_u32_e32 vcc, 1, v1
	s_and_saveexec_b64 s[0:1], vcc
	s_cbranch_execz .LBB687_298
; %bb.297:
	v_sub_u32_e32 v1, v24, v15
	v_lshlrev_b32_e32 v1, 3, v1
	ds_write_b64 v1, v[8:9]
.LBB687_298:
	s_or_b64 exec, exec, s[0:1]
	v_mov_b32_e32 v1, 1
	v_and_b32_sdwa v1, v1, v12 dst_sel:DWORD dst_unused:UNUSED_PAD src0_sel:DWORD src1_sel:WORD_1
	v_cmp_eq_u32_e32 vcc, 1, v1
	s_and_saveexec_b64 s[0:1], vcc
	s_cbranch_execz .LBB687_300
; %bb.299:
	v_sub_u32_e32 v1, v22, v15
	v_lshlrev_b32_e32 v1, 3, v1
	ds_write_b64 v1, v[2:3]
.LBB687_300:
	s_or_b64 exec, exec, s[0:1]
	v_and_b32_e32 v1, 1, v16
	v_cmp_eq_u32_e32 vcc, 1, v1
	s_and_saveexec_b64 s[0:1], vcc
	s_cbranch_execz .LBB687_302
; %bb.301:
	v_sub_u32_e32 v1, v20, v15
	v_lshlrev_b32_e32 v1, 3, v1
	ds_write_b64 v1, v[4:5]
.LBB687_302:
	s_or_b64 exec, exec, s[0:1]
	v_and_b32_e32 v1, 1, v13
	v_cmp_eq_u32_e32 vcc, 1, v1
	s_and_saveexec_b64 s[0:1], vcc
	s_cbranch_execz .LBB687_304
; %bb.303:
	v_sub_u32_e32 v1, v18, v15
	v_lshlrev_b32_e32 v1, 3, v1
	ds_write_b64 v1, v[10:11]
.LBB687_304:
	s_or_b64 exec, exec, s[0:1]
	v_cmp_lt_u32_e32 vcc, v0, v14
	s_waitcnt lgkmcnt(0)
	s_barrier
	s_and_saveexec_b64 s[0:1], vcc
	s_cbranch_execz .LBB687_307
; %bb.305:
	v_mov_b32_e32 v3, 0
	v_mov_b32_e32 v2, v15
	v_lshlrev_b64 v[4:5], 3, v[2:3]
	v_mov_b32_e32 v1, s5
	v_add_co_u32_e32 v2, vcc, s4, v4
	v_addc_co_u32_e32 v4, vcc, v1, v5, vcc
	s_lshl_b64 s[2:3], s[22:23], 3
	v_mov_b32_e32 v5, s3
	v_add_co_u32_e32 v1, vcc, s2, v2
	v_addc_co_u32_e32 v4, vcc, v4, v5, vcc
	v_lshlrev_b32_e32 v5, 3, v0
	s_mov_b64 s[2:3], 0
	v_mov_b32_e32 v2, v0
.LBB687_306:                            ; =>This Inner Loop Header: Depth=1
	ds_read_b64 v[6:7], v5
	v_lshlrev_b64 v[8:9], 3, v[2:3]
	v_add_co_u32_e32 v8, vcc, v1, v8
	v_add_u32_e32 v2, 0x100, v2
	v_addc_co_u32_e32 v9, vcc, v4, v9, vcc
	v_cmp_ge_u32_e32 vcc, v2, v14
	v_add_u32_e32 v5, 0x800, v5
	s_or_b64 s[2:3], vcc, s[2:3]
	s_waitcnt lgkmcnt(0)
	global_store_dwordx2 v[8:9], v[6:7], off
	s_andn2_b64 exec, exec, s[2:3]
	s_cbranch_execnz .LBB687_306
.LBB687_307:
	s_or_b64 exec, exec, s[0:1]
	v_cmp_eq_u32_e32 vcc, 0, v0
	s_and_b64 s[0:1], vcc, s[24:25]
	s_and_saveexec_b64 s[2:3], s[0:1]
	s_cbranch_execz .LBB687_277
.LBB687_308:
	v_mov_b32_e32 v0, s23
	v_add_co_u32_e32 v1, vcc, s22, v14
	v_addc_co_u32_e32 v3, vcc, 0, v0, vcc
	v_add_co_u32_e32 v0, vcc, v1, v15
	v_mov_b32_e32 v2, 0
	v_addc_co_u32_e32 v1, vcc, 0, v3, vcc
	global_store_dwordx2 v2, v[0:1], s[20:21]
	s_endpgm
	.section	.rodata,"a",@progbits
	.p2align	6, 0x0
	.amdhsa_kernel _ZN7rocprim17ROCPRIM_400000_NS6detail17trampoline_kernelINS0_14default_configENS1_25partition_config_selectorILNS1_17partition_subalgoE8ElNS0_10empty_typeEbEEZZNS1_14partition_implILS5_8ELb0ES3_jPlPS6_PKS6_NS0_5tupleIJS9_S6_EEENSD_IJSA_SA_EEENS0_18inequality_wrapperIZN2at6native12_GLOBAL__N_124unique_dim_cuda_templateIsEESt5tupleIJNSH_6TensorESM_SM_EERKSM_lbbbEUlllE0_EEPmJS6_EEE10hipError_tPvRmT3_T4_T5_T6_T7_T9_mT8_P12ihipStream_tbDpT10_ENKUlT_T0_E_clISt17integral_constantIbLb0EES1C_EEDaS17_S18_EUlS17_E_NS1_11comp_targetILNS1_3genE4ELNS1_11target_archE910ELNS1_3gpuE8ELNS1_3repE0EEENS1_30default_config_static_selectorELNS0_4arch9wavefront6targetE1EEEvT1_
		.amdhsa_group_segment_fixed_size 10252
		.amdhsa_private_segment_fixed_size 0
		.amdhsa_kernarg_size 120
		.amdhsa_user_sgpr_count 6
		.amdhsa_user_sgpr_private_segment_buffer 1
		.amdhsa_user_sgpr_dispatch_ptr 0
		.amdhsa_user_sgpr_queue_ptr 0
		.amdhsa_user_sgpr_kernarg_segment_ptr 1
		.amdhsa_user_sgpr_dispatch_id 0
		.amdhsa_user_sgpr_flat_scratch_init 0
		.amdhsa_user_sgpr_kernarg_preload_length 0
		.amdhsa_user_sgpr_kernarg_preload_offset 0
		.amdhsa_user_sgpr_private_segment_size 0
		.amdhsa_uses_dynamic_stack 0
		.amdhsa_system_sgpr_private_segment_wavefront_offset 0
		.amdhsa_system_sgpr_workgroup_id_x 1
		.amdhsa_system_sgpr_workgroup_id_y 0
		.amdhsa_system_sgpr_workgroup_id_z 0
		.amdhsa_system_sgpr_workgroup_info 0
		.amdhsa_system_vgpr_workitem_id 0
		.amdhsa_next_free_vgpr 46
		.amdhsa_next_free_sgpr 48
		.amdhsa_accum_offset 48
		.amdhsa_reserve_vcc 1
		.amdhsa_reserve_flat_scratch 0
		.amdhsa_float_round_mode_32 0
		.amdhsa_float_round_mode_16_64 0
		.amdhsa_float_denorm_mode_32 3
		.amdhsa_float_denorm_mode_16_64 3
		.amdhsa_dx10_clamp 1
		.amdhsa_ieee_mode 1
		.amdhsa_fp16_overflow 0
		.amdhsa_tg_split 0
		.amdhsa_exception_fp_ieee_invalid_op 0
		.amdhsa_exception_fp_denorm_src 0
		.amdhsa_exception_fp_ieee_div_zero 0
		.amdhsa_exception_fp_ieee_overflow 0
		.amdhsa_exception_fp_ieee_underflow 0
		.amdhsa_exception_fp_ieee_inexact 0
		.amdhsa_exception_int_div_zero 0
	.end_amdhsa_kernel
	.section	.text._ZN7rocprim17ROCPRIM_400000_NS6detail17trampoline_kernelINS0_14default_configENS1_25partition_config_selectorILNS1_17partition_subalgoE8ElNS0_10empty_typeEbEEZZNS1_14partition_implILS5_8ELb0ES3_jPlPS6_PKS6_NS0_5tupleIJS9_S6_EEENSD_IJSA_SA_EEENS0_18inequality_wrapperIZN2at6native12_GLOBAL__N_124unique_dim_cuda_templateIsEESt5tupleIJNSH_6TensorESM_SM_EERKSM_lbbbEUlllE0_EEPmJS6_EEE10hipError_tPvRmT3_T4_T5_T6_T7_T9_mT8_P12ihipStream_tbDpT10_ENKUlT_T0_E_clISt17integral_constantIbLb0EES1C_EEDaS17_S18_EUlS17_E_NS1_11comp_targetILNS1_3genE4ELNS1_11target_archE910ELNS1_3gpuE8ELNS1_3repE0EEENS1_30default_config_static_selectorELNS0_4arch9wavefront6targetE1EEEvT1_,"axG",@progbits,_ZN7rocprim17ROCPRIM_400000_NS6detail17trampoline_kernelINS0_14default_configENS1_25partition_config_selectorILNS1_17partition_subalgoE8ElNS0_10empty_typeEbEEZZNS1_14partition_implILS5_8ELb0ES3_jPlPS6_PKS6_NS0_5tupleIJS9_S6_EEENSD_IJSA_SA_EEENS0_18inequality_wrapperIZN2at6native12_GLOBAL__N_124unique_dim_cuda_templateIsEESt5tupleIJNSH_6TensorESM_SM_EERKSM_lbbbEUlllE0_EEPmJS6_EEE10hipError_tPvRmT3_T4_T5_T6_T7_T9_mT8_P12ihipStream_tbDpT10_ENKUlT_T0_E_clISt17integral_constantIbLb0EES1C_EEDaS17_S18_EUlS17_E_NS1_11comp_targetILNS1_3genE4ELNS1_11target_archE910ELNS1_3gpuE8ELNS1_3repE0EEENS1_30default_config_static_selectorELNS0_4arch9wavefront6targetE1EEEvT1_,comdat
.Lfunc_end687:
	.size	_ZN7rocprim17ROCPRIM_400000_NS6detail17trampoline_kernelINS0_14default_configENS1_25partition_config_selectorILNS1_17partition_subalgoE8ElNS0_10empty_typeEbEEZZNS1_14partition_implILS5_8ELb0ES3_jPlPS6_PKS6_NS0_5tupleIJS9_S6_EEENSD_IJSA_SA_EEENS0_18inequality_wrapperIZN2at6native12_GLOBAL__N_124unique_dim_cuda_templateIsEESt5tupleIJNSH_6TensorESM_SM_EERKSM_lbbbEUlllE0_EEPmJS6_EEE10hipError_tPvRmT3_T4_T5_T6_T7_T9_mT8_P12ihipStream_tbDpT10_ENKUlT_T0_E_clISt17integral_constantIbLb0EES1C_EEDaS17_S18_EUlS17_E_NS1_11comp_targetILNS1_3genE4ELNS1_11target_archE910ELNS1_3gpuE8ELNS1_3repE0EEENS1_30default_config_static_selectorELNS0_4arch9wavefront6targetE1EEEvT1_, .Lfunc_end687-_ZN7rocprim17ROCPRIM_400000_NS6detail17trampoline_kernelINS0_14default_configENS1_25partition_config_selectorILNS1_17partition_subalgoE8ElNS0_10empty_typeEbEEZZNS1_14partition_implILS5_8ELb0ES3_jPlPS6_PKS6_NS0_5tupleIJS9_S6_EEENSD_IJSA_SA_EEENS0_18inequality_wrapperIZN2at6native12_GLOBAL__N_124unique_dim_cuda_templateIsEESt5tupleIJNSH_6TensorESM_SM_EERKSM_lbbbEUlllE0_EEPmJS6_EEE10hipError_tPvRmT3_T4_T5_T6_T7_T9_mT8_P12ihipStream_tbDpT10_ENKUlT_T0_E_clISt17integral_constantIbLb0EES1C_EEDaS17_S18_EUlS17_E_NS1_11comp_targetILNS1_3genE4ELNS1_11target_archE910ELNS1_3gpuE8ELNS1_3repE0EEENS1_30default_config_static_selectorELNS0_4arch9wavefront6targetE1EEEvT1_
                                        ; -- End function
	.section	.AMDGPU.csdata,"",@progbits
; Kernel info:
; codeLenInByte = 11376
; NumSgprs: 52
; NumVgprs: 46
; NumAgprs: 0
; TotalNumVgprs: 46
; ScratchSize: 0
; MemoryBound: 0
; FloatMode: 240
; IeeeMode: 1
; LDSByteSize: 10252 bytes/workgroup (compile time only)
; SGPRBlocks: 6
; VGPRBlocks: 5
; NumSGPRsForWavesPerEU: 52
; NumVGPRsForWavesPerEU: 46
; AccumOffset: 48
; Occupancy: 6
; WaveLimiterHint : 1
; COMPUTE_PGM_RSRC2:SCRATCH_EN: 0
; COMPUTE_PGM_RSRC2:USER_SGPR: 6
; COMPUTE_PGM_RSRC2:TRAP_HANDLER: 0
; COMPUTE_PGM_RSRC2:TGID_X_EN: 1
; COMPUTE_PGM_RSRC2:TGID_Y_EN: 0
; COMPUTE_PGM_RSRC2:TGID_Z_EN: 0
; COMPUTE_PGM_RSRC2:TIDIG_COMP_CNT: 0
; COMPUTE_PGM_RSRC3_GFX90A:ACCUM_OFFSET: 11
; COMPUTE_PGM_RSRC3_GFX90A:TG_SPLIT: 0
	.section	.text._ZN7rocprim17ROCPRIM_400000_NS6detail17trampoline_kernelINS0_14default_configENS1_25partition_config_selectorILNS1_17partition_subalgoE8ElNS0_10empty_typeEbEEZZNS1_14partition_implILS5_8ELb0ES3_jPlPS6_PKS6_NS0_5tupleIJS9_S6_EEENSD_IJSA_SA_EEENS0_18inequality_wrapperIZN2at6native12_GLOBAL__N_124unique_dim_cuda_templateIsEESt5tupleIJNSH_6TensorESM_SM_EERKSM_lbbbEUlllE0_EEPmJS6_EEE10hipError_tPvRmT3_T4_T5_T6_T7_T9_mT8_P12ihipStream_tbDpT10_ENKUlT_T0_E_clISt17integral_constantIbLb0EES1C_EEDaS17_S18_EUlS17_E_NS1_11comp_targetILNS1_3genE3ELNS1_11target_archE908ELNS1_3gpuE7ELNS1_3repE0EEENS1_30default_config_static_selectorELNS0_4arch9wavefront6targetE1EEEvT1_,"axG",@progbits,_ZN7rocprim17ROCPRIM_400000_NS6detail17trampoline_kernelINS0_14default_configENS1_25partition_config_selectorILNS1_17partition_subalgoE8ElNS0_10empty_typeEbEEZZNS1_14partition_implILS5_8ELb0ES3_jPlPS6_PKS6_NS0_5tupleIJS9_S6_EEENSD_IJSA_SA_EEENS0_18inequality_wrapperIZN2at6native12_GLOBAL__N_124unique_dim_cuda_templateIsEESt5tupleIJNSH_6TensorESM_SM_EERKSM_lbbbEUlllE0_EEPmJS6_EEE10hipError_tPvRmT3_T4_T5_T6_T7_T9_mT8_P12ihipStream_tbDpT10_ENKUlT_T0_E_clISt17integral_constantIbLb0EES1C_EEDaS17_S18_EUlS17_E_NS1_11comp_targetILNS1_3genE3ELNS1_11target_archE908ELNS1_3gpuE7ELNS1_3repE0EEENS1_30default_config_static_selectorELNS0_4arch9wavefront6targetE1EEEvT1_,comdat
	.globl	_ZN7rocprim17ROCPRIM_400000_NS6detail17trampoline_kernelINS0_14default_configENS1_25partition_config_selectorILNS1_17partition_subalgoE8ElNS0_10empty_typeEbEEZZNS1_14partition_implILS5_8ELb0ES3_jPlPS6_PKS6_NS0_5tupleIJS9_S6_EEENSD_IJSA_SA_EEENS0_18inequality_wrapperIZN2at6native12_GLOBAL__N_124unique_dim_cuda_templateIsEESt5tupleIJNSH_6TensorESM_SM_EERKSM_lbbbEUlllE0_EEPmJS6_EEE10hipError_tPvRmT3_T4_T5_T6_T7_T9_mT8_P12ihipStream_tbDpT10_ENKUlT_T0_E_clISt17integral_constantIbLb0EES1C_EEDaS17_S18_EUlS17_E_NS1_11comp_targetILNS1_3genE3ELNS1_11target_archE908ELNS1_3gpuE7ELNS1_3repE0EEENS1_30default_config_static_selectorELNS0_4arch9wavefront6targetE1EEEvT1_ ; -- Begin function _ZN7rocprim17ROCPRIM_400000_NS6detail17trampoline_kernelINS0_14default_configENS1_25partition_config_selectorILNS1_17partition_subalgoE8ElNS0_10empty_typeEbEEZZNS1_14partition_implILS5_8ELb0ES3_jPlPS6_PKS6_NS0_5tupleIJS9_S6_EEENSD_IJSA_SA_EEENS0_18inequality_wrapperIZN2at6native12_GLOBAL__N_124unique_dim_cuda_templateIsEESt5tupleIJNSH_6TensorESM_SM_EERKSM_lbbbEUlllE0_EEPmJS6_EEE10hipError_tPvRmT3_T4_T5_T6_T7_T9_mT8_P12ihipStream_tbDpT10_ENKUlT_T0_E_clISt17integral_constantIbLb0EES1C_EEDaS17_S18_EUlS17_E_NS1_11comp_targetILNS1_3genE3ELNS1_11target_archE908ELNS1_3gpuE7ELNS1_3repE0EEENS1_30default_config_static_selectorELNS0_4arch9wavefront6targetE1EEEvT1_
	.p2align	8
	.type	_ZN7rocprim17ROCPRIM_400000_NS6detail17trampoline_kernelINS0_14default_configENS1_25partition_config_selectorILNS1_17partition_subalgoE8ElNS0_10empty_typeEbEEZZNS1_14partition_implILS5_8ELb0ES3_jPlPS6_PKS6_NS0_5tupleIJS9_S6_EEENSD_IJSA_SA_EEENS0_18inequality_wrapperIZN2at6native12_GLOBAL__N_124unique_dim_cuda_templateIsEESt5tupleIJNSH_6TensorESM_SM_EERKSM_lbbbEUlllE0_EEPmJS6_EEE10hipError_tPvRmT3_T4_T5_T6_T7_T9_mT8_P12ihipStream_tbDpT10_ENKUlT_T0_E_clISt17integral_constantIbLb0EES1C_EEDaS17_S18_EUlS17_E_NS1_11comp_targetILNS1_3genE3ELNS1_11target_archE908ELNS1_3gpuE7ELNS1_3repE0EEENS1_30default_config_static_selectorELNS0_4arch9wavefront6targetE1EEEvT1_,@function
_ZN7rocprim17ROCPRIM_400000_NS6detail17trampoline_kernelINS0_14default_configENS1_25partition_config_selectorILNS1_17partition_subalgoE8ElNS0_10empty_typeEbEEZZNS1_14partition_implILS5_8ELb0ES3_jPlPS6_PKS6_NS0_5tupleIJS9_S6_EEENSD_IJSA_SA_EEENS0_18inequality_wrapperIZN2at6native12_GLOBAL__N_124unique_dim_cuda_templateIsEESt5tupleIJNSH_6TensorESM_SM_EERKSM_lbbbEUlllE0_EEPmJS6_EEE10hipError_tPvRmT3_T4_T5_T6_T7_T9_mT8_P12ihipStream_tbDpT10_ENKUlT_T0_E_clISt17integral_constantIbLb0EES1C_EEDaS17_S18_EUlS17_E_NS1_11comp_targetILNS1_3genE3ELNS1_11target_archE908ELNS1_3gpuE7ELNS1_3repE0EEENS1_30default_config_static_selectorELNS0_4arch9wavefront6targetE1EEEvT1_: ; @_ZN7rocprim17ROCPRIM_400000_NS6detail17trampoline_kernelINS0_14default_configENS1_25partition_config_selectorILNS1_17partition_subalgoE8ElNS0_10empty_typeEbEEZZNS1_14partition_implILS5_8ELb0ES3_jPlPS6_PKS6_NS0_5tupleIJS9_S6_EEENSD_IJSA_SA_EEENS0_18inequality_wrapperIZN2at6native12_GLOBAL__N_124unique_dim_cuda_templateIsEESt5tupleIJNSH_6TensorESM_SM_EERKSM_lbbbEUlllE0_EEPmJS6_EEE10hipError_tPvRmT3_T4_T5_T6_T7_T9_mT8_P12ihipStream_tbDpT10_ENKUlT_T0_E_clISt17integral_constantIbLb0EES1C_EEDaS17_S18_EUlS17_E_NS1_11comp_targetILNS1_3genE3ELNS1_11target_archE908ELNS1_3gpuE7ELNS1_3repE0EEENS1_30default_config_static_selectorELNS0_4arch9wavefront6targetE1EEEvT1_
; %bb.0:
	.section	.rodata,"a",@progbits
	.p2align	6, 0x0
	.amdhsa_kernel _ZN7rocprim17ROCPRIM_400000_NS6detail17trampoline_kernelINS0_14default_configENS1_25partition_config_selectorILNS1_17partition_subalgoE8ElNS0_10empty_typeEbEEZZNS1_14partition_implILS5_8ELb0ES3_jPlPS6_PKS6_NS0_5tupleIJS9_S6_EEENSD_IJSA_SA_EEENS0_18inequality_wrapperIZN2at6native12_GLOBAL__N_124unique_dim_cuda_templateIsEESt5tupleIJNSH_6TensorESM_SM_EERKSM_lbbbEUlllE0_EEPmJS6_EEE10hipError_tPvRmT3_T4_T5_T6_T7_T9_mT8_P12ihipStream_tbDpT10_ENKUlT_T0_E_clISt17integral_constantIbLb0EES1C_EEDaS17_S18_EUlS17_E_NS1_11comp_targetILNS1_3genE3ELNS1_11target_archE908ELNS1_3gpuE7ELNS1_3repE0EEENS1_30default_config_static_selectorELNS0_4arch9wavefront6targetE1EEEvT1_
		.amdhsa_group_segment_fixed_size 0
		.amdhsa_private_segment_fixed_size 0
		.amdhsa_kernarg_size 120
		.amdhsa_user_sgpr_count 6
		.amdhsa_user_sgpr_private_segment_buffer 1
		.amdhsa_user_sgpr_dispatch_ptr 0
		.amdhsa_user_sgpr_queue_ptr 0
		.amdhsa_user_sgpr_kernarg_segment_ptr 1
		.amdhsa_user_sgpr_dispatch_id 0
		.amdhsa_user_sgpr_flat_scratch_init 0
		.amdhsa_user_sgpr_kernarg_preload_length 0
		.amdhsa_user_sgpr_kernarg_preload_offset 0
		.amdhsa_user_sgpr_private_segment_size 0
		.amdhsa_uses_dynamic_stack 0
		.amdhsa_system_sgpr_private_segment_wavefront_offset 0
		.amdhsa_system_sgpr_workgroup_id_x 1
		.amdhsa_system_sgpr_workgroup_id_y 0
		.amdhsa_system_sgpr_workgroup_id_z 0
		.amdhsa_system_sgpr_workgroup_info 0
		.amdhsa_system_vgpr_workitem_id 0
		.amdhsa_next_free_vgpr 1
		.amdhsa_next_free_sgpr 0
		.amdhsa_accum_offset 4
		.amdhsa_reserve_vcc 0
		.amdhsa_reserve_flat_scratch 0
		.amdhsa_float_round_mode_32 0
		.amdhsa_float_round_mode_16_64 0
		.amdhsa_float_denorm_mode_32 3
		.amdhsa_float_denorm_mode_16_64 3
		.amdhsa_dx10_clamp 1
		.amdhsa_ieee_mode 1
		.amdhsa_fp16_overflow 0
		.amdhsa_tg_split 0
		.amdhsa_exception_fp_ieee_invalid_op 0
		.amdhsa_exception_fp_denorm_src 0
		.amdhsa_exception_fp_ieee_div_zero 0
		.amdhsa_exception_fp_ieee_overflow 0
		.amdhsa_exception_fp_ieee_underflow 0
		.amdhsa_exception_fp_ieee_inexact 0
		.amdhsa_exception_int_div_zero 0
	.end_amdhsa_kernel
	.section	.text._ZN7rocprim17ROCPRIM_400000_NS6detail17trampoline_kernelINS0_14default_configENS1_25partition_config_selectorILNS1_17partition_subalgoE8ElNS0_10empty_typeEbEEZZNS1_14partition_implILS5_8ELb0ES3_jPlPS6_PKS6_NS0_5tupleIJS9_S6_EEENSD_IJSA_SA_EEENS0_18inequality_wrapperIZN2at6native12_GLOBAL__N_124unique_dim_cuda_templateIsEESt5tupleIJNSH_6TensorESM_SM_EERKSM_lbbbEUlllE0_EEPmJS6_EEE10hipError_tPvRmT3_T4_T5_T6_T7_T9_mT8_P12ihipStream_tbDpT10_ENKUlT_T0_E_clISt17integral_constantIbLb0EES1C_EEDaS17_S18_EUlS17_E_NS1_11comp_targetILNS1_3genE3ELNS1_11target_archE908ELNS1_3gpuE7ELNS1_3repE0EEENS1_30default_config_static_selectorELNS0_4arch9wavefront6targetE1EEEvT1_,"axG",@progbits,_ZN7rocprim17ROCPRIM_400000_NS6detail17trampoline_kernelINS0_14default_configENS1_25partition_config_selectorILNS1_17partition_subalgoE8ElNS0_10empty_typeEbEEZZNS1_14partition_implILS5_8ELb0ES3_jPlPS6_PKS6_NS0_5tupleIJS9_S6_EEENSD_IJSA_SA_EEENS0_18inequality_wrapperIZN2at6native12_GLOBAL__N_124unique_dim_cuda_templateIsEESt5tupleIJNSH_6TensorESM_SM_EERKSM_lbbbEUlllE0_EEPmJS6_EEE10hipError_tPvRmT3_T4_T5_T6_T7_T9_mT8_P12ihipStream_tbDpT10_ENKUlT_T0_E_clISt17integral_constantIbLb0EES1C_EEDaS17_S18_EUlS17_E_NS1_11comp_targetILNS1_3genE3ELNS1_11target_archE908ELNS1_3gpuE7ELNS1_3repE0EEENS1_30default_config_static_selectorELNS0_4arch9wavefront6targetE1EEEvT1_,comdat
.Lfunc_end688:
	.size	_ZN7rocprim17ROCPRIM_400000_NS6detail17trampoline_kernelINS0_14default_configENS1_25partition_config_selectorILNS1_17partition_subalgoE8ElNS0_10empty_typeEbEEZZNS1_14partition_implILS5_8ELb0ES3_jPlPS6_PKS6_NS0_5tupleIJS9_S6_EEENSD_IJSA_SA_EEENS0_18inequality_wrapperIZN2at6native12_GLOBAL__N_124unique_dim_cuda_templateIsEESt5tupleIJNSH_6TensorESM_SM_EERKSM_lbbbEUlllE0_EEPmJS6_EEE10hipError_tPvRmT3_T4_T5_T6_T7_T9_mT8_P12ihipStream_tbDpT10_ENKUlT_T0_E_clISt17integral_constantIbLb0EES1C_EEDaS17_S18_EUlS17_E_NS1_11comp_targetILNS1_3genE3ELNS1_11target_archE908ELNS1_3gpuE7ELNS1_3repE0EEENS1_30default_config_static_selectorELNS0_4arch9wavefront6targetE1EEEvT1_, .Lfunc_end688-_ZN7rocprim17ROCPRIM_400000_NS6detail17trampoline_kernelINS0_14default_configENS1_25partition_config_selectorILNS1_17partition_subalgoE8ElNS0_10empty_typeEbEEZZNS1_14partition_implILS5_8ELb0ES3_jPlPS6_PKS6_NS0_5tupleIJS9_S6_EEENSD_IJSA_SA_EEENS0_18inequality_wrapperIZN2at6native12_GLOBAL__N_124unique_dim_cuda_templateIsEESt5tupleIJNSH_6TensorESM_SM_EERKSM_lbbbEUlllE0_EEPmJS6_EEE10hipError_tPvRmT3_T4_T5_T6_T7_T9_mT8_P12ihipStream_tbDpT10_ENKUlT_T0_E_clISt17integral_constantIbLb0EES1C_EEDaS17_S18_EUlS17_E_NS1_11comp_targetILNS1_3genE3ELNS1_11target_archE908ELNS1_3gpuE7ELNS1_3repE0EEENS1_30default_config_static_selectorELNS0_4arch9wavefront6targetE1EEEvT1_
                                        ; -- End function
	.section	.AMDGPU.csdata,"",@progbits
; Kernel info:
; codeLenInByte = 0
; NumSgprs: 4
; NumVgprs: 0
; NumAgprs: 0
; TotalNumVgprs: 0
; ScratchSize: 0
; MemoryBound: 0
; FloatMode: 240
; IeeeMode: 1
; LDSByteSize: 0 bytes/workgroup (compile time only)
; SGPRBlocks: 0
; VGPRBlocks: 0
; NumSGPRsForWavesPerEU: 4
; NumVGPRsForWavesPerEU: 1
; AccumOffset: 4
; Occupancy: 8
; WaveLimiterHint : 0
; COMPUTE_PGM_RSRC2:SCRATCH_EN: 0
; COMPUTE_PGM_RSRC2:USER_SGPR: 6
; COMPUTE_PGM_RSRC2:TRAP_HANDLER: 0
; COMPUTE_PGM_RSRC2:TGID_X_EN: 1
; COMPUTE_PGM_RSRC2:TGID_Y_EN: 0
; COMPUTE_PGM_RSRC2:TGID_Z_EN: 0
; COMPUTE_PGM_RSRC2:TIDIG_COMP_CNT: 0
; COMPUTE_PGM_RSRC3_GFX90A:ACCUM_OFFSET: 0
; COMPUTE_PGM_RSRC3_GFX90A:TG_SPLIT: 0
	.section	.text._ZN7rocprim17ROCPRIM_400000_NS6detail17trampoline_kernelINS0_14default_configENS1_25partition_config_selectorILNS1_17partition_subalgoE8ElNS0_10empty_typeEbEEZZNS1_14partition_implILS5_8ELb0ES3_jPlPS6_PKS6_NS0_5tupleIJS9_S6_EEENSD_IJSA_SA_EEENS0_18inequality_wrapperIZN2at6native12_GLOBAL__N_124unique_dim_cuda_templateIsEESt5tupleIJNSH_6TensorESM_SM_EERKSM_lbbbEUlllE0_EEPmJS6_EEE10hipError_tPvRmT3_T4_T5_T6_T7_T9_mT8_P12ihipStream_tbDpT10_ENKUlT_T0_E_clISt17integral_constantIbLb0EES1C_EEDaS17_S18_EUlS17_E_NS1_11comp_targetILNS1_3genE2ELNS1_11target_archE906ELNS1_3gpuE6ELNS1_3repE0EEENS1_30default_config_static_selectorELNS0_4arch9wavefront6targetE1EEEvT1_,"axG",@progbits,_ZN7rocprim17ROCPRIM_400000_NS6detail17trampoline_kernelINS0_14default_configENS1_25partition_config_selectorILNS1_17partition_subalgoE8ElNS0_10empty_typeEbEEZZNS1_14partition_implILS5_8ELb0ES3_jPlPS6_PKS6_NS0_5tupleIJS9_S6_EEENSD_IJSA_SA_EEENS0_18inequality_wrapperIZN2at6native12_GLOBAL__N_124unique_dim_cuda_templateIsEESt5tupleIJNSH_6TensorESM_SM_EERKSM_lbbbEUlllE0_EEPmJS6_EEE10hipError_tPvRmT3_T4_T5_T6_T7_T9_mT8_P12ihipStream_tbDpT10_ENKUlT_T0_E_clISt17integral_constantIbLb0EES1C_EEDaS17_S18_EUlS17_E_NS1_11comp_targetILNS1_3genE2ELNS1_11target_archE906ELNS1_3gpuE6ELNS1_3repE0EEENS1_30default_config_static_selectorELNS0_4arch9wavefront6targetE1EEEvT1_,comdat
	.globl	_ZN7rocprim17ROCPRIM_400000_NS6detail17trampoline_kernelINS0_14default_configENS1_25partition_config_selectorILNS1_17partition_subalgoE8ElNS0_10empty_typeEbEEZZNS1_14partition_implILS5_8ELb0ES3_jPlPS6_PKS6_NS0_5tupleIJS9_S6_EEENSD_IJSA_SA_EEENS0_18inequality_wrapperIZN2at6native12_GLOBAL__N_124unique_dim_cuda_templateIsEESt5tupleIJNSH_6TensorESM_SM_EERKSM_lbbbEUlllE0_EEPmJS6_EEE10hipError_tPvRmT3_T4_T5_T6_T7_T9_mT8_P12ihipStream_tbDpT10_ENKUlT_T0_E_clISt17integral_constantIbLb0EES1C_EEDaS17_S18_EUlS17_E_NS1_11comp_targetILNS1_3genE2ELNS1_11target_archE906ELNS1_3gpuE6ELNS1_3repE0EEENS1_30default_config_static_selectorELNS0_4arch9wavefront6targetE1EEEvT1_ ; -- Begin function _ZN7rocprim17ROCPRIM_400000_NS6detail17trampoline_kernelINS0_14default_configENS1_25partition_config_selectorILNS1_17partition_subalgoE8ElNS0_10empty_typeEbEEZZNS1_14partition_implILS5_8ELb0ES3_jPlPS6_PKS6_NS0_5tupleIJS9_S6_EEENSD_IJSA_SA_EEENS0_18inequality_wrapperIZN2at6native12_GLOBAL__N_124unique_dim_cuda_templateIsEESt5tupleIJNSH_6TensorESM_SM_EERKSM_lbbbEUlllE0_EEPmJS6_EEE10hipError_tPvRmT3_T4_T5_T6_T7_T9_mT8_P12ihipStream_tbDpT10_ENKUlT_T0_E_clISt17integral_constantIbLb0EES1C_EEDaS17_S18_EUlS17_E_NS1_11comp_targetILNS1_3genE2ELNS1_11target_archE906ELNS1_3gpuE6ELNS1_3repE0EEENS1_30default_config_static_selectorELNS0_4arch9wavefront6targetE1EEEvT1_
	.p2align	8
	.type	_ZN7rocprim17ROCPRIM_400000_NS6detail17trampoline_kernelINS0_14default_configENS1_25partition_config_selectorILNS1_17partition_subalgoE8ElNS0_10empty_typeEbEEZZNS1_14partition_implILS5_8ELb0ES3_jPlPS6_PKS6_NS0_5tupleIJS9_S6_EEENSD_IJSA_SA_EEENS0_18inequality_wrapperIZN2at6native12_GLOBAL__N_124unique_dim_cuda_templateIsEESt5tupleIJNSH_6TensorESM_SM_EERKSM_lbbbEUlllE0_EEPmJS6_EEE10hipError_tPvRmT3_T4_T5_T6_T7_T9_mT8_P12ihipStream_tbDpT10_ENKUlT_T0_E_clISt17integral_constantIbLb0EES1C_EEDaS17_S18_EUlS17_E_NS1_11comp_targetILNS1_3genE2ELNS1_11target_archE906ELNS1_3gpuE6ELNS1_3repE0EEENS1_30default_config_static_selectorELNS0_4arch9wavefront6targetE1EEEvT1_,@function
_ZN7rocprim17ROCPRIM_400000_NS6detail17trampoline_kernelINS0_14default_configENS1_25partition_config_selectorILNS1_17partition_subalgoE8ElNS0_10empty_typeEbEEZZNS1_14partition_implILS5_8ELb0ES3_jPlPS6_PKS6_NS0_5tupleIJS9_S6_EEENSD_IJSA_SA_EEENS0_18inequality_wrapperIZN2at6native12_GLOBAL__N_124unique_dim_cuda_templateIsEESt5tupleIJNSH_6TensorESM_SM_EERKSM_lbbbEUlllE0_EEPmJS6_EEE10hipError_tPvRmT3_T4_T5_T6_T7_T9_mT8_P12ihipStream_tbDpT10_ENKUlT_T0_E_clISt17integral_constantIbLb0EES1C_EEDaS17_S18_EUlS17_E_NS1_11comp_targetILNS1_3genE2ELNS1_11target_archE906ELNS1_3gpuE6ELNS1_3repE0EEENS1_30default_config_static_selectorELNS0_4arch9wavefront6targetE1EEEvT1_: ; @_ZN7rocprim17ROCPRIM_400000_NS6detail17trampoline_kernelINS0_14default_configENS1_25partition_config_selectorILNS1_17partition_subalgoE8ElNS0_10empty_typeEbEEZZNS1_14partition_implILS5_8ELb0ES3_jPlPS6_PKS6_NS0_5tupleIJS9_S6_EEENSD_IJSA_SA_EEENS0_18inequality_wrapperIZN2at6native12_GLOBAL__N_124unique_dim_cuda_templateIsEESt5tupleIJNSH_6TensorESM_SM_EERKSM_lbbbEUlllE0_EEPmJS6_EEE10hipError_tPvRmT3_T4_T5_T6_T7_T9_mT8_P12ihipStream_tbDpT10_ENKUlT_T0_E_clISt17integral_constantIbLb0EES1C_EEDaS17_S18_EUlS17_E_NS1_11comp_targetILNS1_3genE2ELNS1_11target_archE906ELNS1_3gpuE6ELNS1_3repE0EEENS1_30default_config_static_selectorELNS0_4arch9wavefront6targetE1EEEvT1_
; %bb.0:
	.section	.rodata,"a",@progbits
	.p2align	6, 0x0
	.amdhsa_kernel _ZN7rocprim17ROCPRIM_400000_NS6detail17trampoline_kernelINS0_14default_configENS1_25partition_config_selectorILNS1_17partition_subalgoE8ElNS0_10empty_typeEbEEZZNS1_14partition_implILS5_8ELb0ES3_jPlPS6_PKS6_NS0_5tupleIJS9_S6_EEENSD_IJSA_SA_EEENS0_18inequality_wrapperIZN2at6native12_GLOBAL__N_124unique_dim_cuda_templateIsEESt5tupleIJNSH_6TensorESM_SM_EERKSM_lbbbEUlllE0_EEPmJS6_EEE10hipError_tPvRmT3_T4_T5_T6_T7_T9_mT8_P12ihipStream_tbDpT10_ENKUlT_T0_E_clISt17integral_constantIbLb0EES1C_EEDaS17_S18_EUlS17_E_NS1_11comp_targetILNS1_3genE2ELNS1_11target_archE906ELNS1_3gpuE6ELNS1_3repE0EEENS1_30default_config_static_selectorELNS0_4arch9wavefront6targetE1EEEvT1_
		.amdhsa_group_segment_fixed_size 0
		.amdhsa_private_segment_fixed_size 0
		.amdhsa_kernarg_size 120
		.amdhsa_user_sgpr_count 6
		.amdhsa_user_sgpr_private_segment_buffer 1
		.amdhsa_user_sgpr_dispatch_ptr 0
		.amdhsa_user_sgpr_queue_ptr 0
		.amdhsa_user_sgpr_kernarg_segment_ptr 1
		.amdhsa_user_sgpr_dispatch_id 0
		.amdhsa_user_sgpr_flat_scratch_init 0
		.amdhsa_user_sgpr_kernarg_preload_length 0
		.amdhsa_user_sgpr_kernarg_preload_offset 0
		.amdhsa_user_sgpr_private_segment_size 0
		.amdhsa_uses_dynamic_stack 0
		.amdhsa_system_sgpr_private_segment_wavefront_offset 0
		.amdhsa_system_sgpr_workgroup_id_x 1
		.amdhsa_system_sgpr_workgroup_id_y 0
		.amdhsa_system_sgpr_workgroup_id_z 0
		.amdhsa_system_sgpr_workgroup_info 0
		.amdhsa_system_vgpr_workitem_id 0
		.amdhsa_next_free_vgpr 1
		.amdhsa_next_free_sgpr 0
		.amdhsa_accum_offset 4
		.amdhsa_reserve_vcc 0
		.amdhsa_reserve_flat_scratch 0
		.amdhsa_float_round_mode_32 0
		.amdhsa_float_round_mode_16_64 0
		.amdhsa_float_denorm_mode_32 3
		.amdhsa_float_denorm_mode_16_64 3
		.amdhsa_dx10_clamp 1
		.amdhsa_ieee_mode 1
		.amdhsa_fp16_overflow 0
		.amdhsa_tg_split 0
		.amdhsa_exception_fp_ieee_invalid_op 0
		.amdhsa_exception_fp_denorm_src 0
		.amdhsa_exception_fp_ieee_div_zero 0
		.amdhsa_exception_fp_ieee_overflow 0
		.amdhsa_exception_fp_ieee_underflow 0
		.amdhsa_exception_fp_ieee_inexact 0
		.amdhsa_exception_int_div_zero 0
	.end_amdhsa_kernel
	.section	.text._ZN7rocprim17ROCPRIM_400000_NS6detail17trampoline_kernelINS0_14default_configENS1_25partition_config_selectorILNS1_17partition_subalgoE8ElNS0_10empty_typeEbEEZZNS1_14partition_implILS5_8ELb0ES3_jPlPS6_PKS6_NS0_5tupleIJS9_S6_EEENSD_IJSA_SA_EEENS0_18inequality_wrapperIZN2at6native12_GLOBAL__N_124unique_dim_cuda_templateIsEESt5tupleIJNSH_6TensorESM_SM_EERKSM_lbbbEUlllE0_EEPmJS6_EEE10hipError_tPvRmT3_T4_T5_T6_T7_T9_mT8_P12ihipStream_tbDpT10_ENKUlT_T0_E_clISt17integral_constantIbLb0EES1C_EEDaS17_S18_EUlS17_E_NS1_11comp_targetILNS1_3genE2ELNS1_11target_archE906ELNS1_3gpuE6ELNS1_3repE0EEENS1_30default_config_static_selectorELNS0_4arch9wavefront6targetE1EEEvT1_,"axG",@progbits,_ZN7rocprim17ROCPRIM_400000_NS6detail17trampoline_kernelINS0_14default_configENS1_25partition_config_selectorILNS1_17partition_subalgoE8ElNS0_10empty_typeEbEEZZNS1_14partition_implILS5_8ELb0ES3_jPlPS6_PKS6_NS0_5tupleIJS9_S6_EEENSD_IJSA_SA_EEENS0_18inequality_wrapperIZN2at6native12_GLOBAL__N_124unique_dim_cuda_templateIsEESt5tupleIJNSH_6TensorESM_SM_EERKSM_lbbbEUlllE0_EEPmJS6_EEE10hipError_tPvRmT3_T4_T5_T6_T7_T9_mT8_P12ihipStream_tbDpT10_ENKUlT_T0_E_clISt17integral_constantIbLb0EES1C_EEDaS17_S18_EUlS17_E_NS1_11comp_targetILNS1_3genE2ELNS1_11target_archE906ELNS1_3gpuE6ELNS1_3repE0EEENS1_30default_config_static_selectorELNS0_4arch9wavefront6targetE1EEEvT1_,comdat
.Lfunc_end689:
	.size	_ZN7rocprim17ROCPRIM_400000_NS6detail17trampoline_kernelINS0_14default_configENS1_25partition_config_selectorILNS1_17partition_subalgoE8ElNS0_10empty_typeEbEEZZNS1_14partition_implILS5_8ELb0ES3_jPlPS6_PKS6_NS0_5tupleIJS9_S6_EEENSD_IJSA_SA_EEENS0_18inequality_wrapperIZN2at6native12_GLOBAL__N_124unique_dim_cuda_templateIsEESt5tupleIJNSH_6TensorESM_SM_EERKSM_lbbbEUlllE0_EEPmJS6_EEE10hipError_tPvRmT3_T4_T5_T6_T7_T9_mT8_P12ihipStream_tbDpT10_ENKUlT_T0_E_clISt17integral_constantIbLb0EES1C_EEDaS17_S18_EUlS17_E_NS1_11comp_targetILNS1_3genE2ELNS1_11target_archE906ELNS1_3gpuE6ELNS1_3repE0EEENS1_30default_config_static_selectorELNS0_4arch9wavefront6targetE1EEEvT1_, .Lfunc_end689-_ZN7rocprim17ROCPRIM_400000_NS6detail17trampoline_kernelINS0_14default_configENS1_25partition_config_selectorILNS1_17partition_subalgoE8ElNS0_10empty_typeEbEEZZNS1_14partition_implILS5_8ELb0ES3_jPlPS6_PKS6_NS0_5tupleIJS9_S6_EEENSD_IJSA_SA_EEENS0_18inequality_wrapperIZN2at6native12_GLOBAL__N_124unique_dim_cuda_templateIsEESt5tupleIJNSH_6TensorESM_SM_EERKSM_lbbbEUlllE0_EEPmJS6_EEE10hipError_tPvRmT3_T4_T5_T6_T7_T9_mT8_P12ihipStream_tbDpT10_ENKUlT_T0_E_clISt17integral_constantIbLb0EES1C_EEDaS17_S18_EUlS17_E_NS1_11comp_targetILNS1_3genE2ELNS1_11target_archE906ELNS1_3gpuE6ELNS1_3repE0EEENS1_30default_config_static_selectorELNS0_4arch9wavefront6targetE1EEEvT1_
                                        ; -- End function
	.section	.AMDGPU.csdata,"",@progbits
; Kernel info:
; codeLenInByte = 0
; NumSgprs: 4
; NumVgprs: 0
; NumAgprs: 0
; TotalNumVgprs: 0
; ScratchSize: 0
; MemoryBound: 0
; FloatMode: 240
; IeeeMode: 1
; LDSByteSize: 0 bytes/workgroup (compile time only)
; SGPRBlocks: 0
; VGPRBlocks: 0
; NumSGPRsForWavesPerEU: 4
; NumVGPRsForWavesPerEU: 1
; AccumOffset: 4
; Occupancy: 8
; WaveLimiterHint : 0
; COMPUTE_PGM_RSRC2:SCRATCH_EN: 0
; COMPUTE_PGM_RSRC2:USER_SGPR: 6
; COMPUTE_PGM_RSRC2:TRAP_HANDLER: 0
; COMPUTE_PGM_RSRC2:TGID_X_EN: 1
; COMPUTE_PGM_RSRC2:TGID_Y_EN: 0
; COMPUTE_PGM_RSRC2:TGID_Z_EN: 0
; COMPUTE_PGM_RSRC2:TIDIG_COMP_CNT: 0
; COMPUTE_PGM_RSRC3_GFX90A:ACCUM_OFFSET: 0
; COMPUTE_PGM_RSRC3_GFX90A:TG_SPLIT: 0
	.section	.text._ZN7rocprim17ROCPRIM_400000_NS6detail17trampoline_kernelINS0_14default_configENS1_25partition_config_selectorILNS1_17partition_subalgoE8ElNS0_10empty_typeEbEEZZNS1_14partition_implILS5_8ELb0ES3_jPlPS6_PKS6_NS0_5tupleIJS9_S6_EEENSD_IJSA_SA_EEENS0_18inequality_wrapperIZN2at6native12_GLOBAL__N_124unique_dim_cuda_templateIsEESt5tupleIJNSH_6TensorESM_SM_EERKSM_lbbbEUlllE0_EEPmJS6_EEE10hipError_tPvRmT3_T4_T5_T6_T7_T9_mT8_P12ihipStream_tbDpT10_ENKUlT_T0_E_clISt17integral_constantIbLb0EES1C_EEDaS17_S18_EUlS17_E_NS1_11comp_targetILNS1_3genE10ELNS1_11target_archE1200ELNS1_3gpuE4ELNS1_3repE0EEENS1_30default_config_static_selectorELNS0_4arch9wavefront6targetE1EEEvT1_,"axG",@progbits,_ZN7rocprim17ROCPRIM_400000_NS6detail17trampoline_kernelINS0_14default_configENS1_25partition_config_selectorILNS1_17partition_subalgoE8ElNS0_10empty_typeEbEEZZNS1_14partition_implILS5_8ELb0ES3_jPlPS6_PKS6_NS0_5tupleIJS9_S6_EEENSD_IJSA_SA_EEENS0_18inequality_wrapperIZN2at6native12_GLOBAL__N_124unique_dim_cuda_templateIsEESt5tupleIJNSH_6TensorESM_SM_EERKSM_lbbbEUlllE0_EEPmJS6_EEE10hipError_tPvRmT3_T4_T5_T6_T7_T9_mT8_P12ihipStream_tbDpT10_ENKUlT_T0_E_clISt17integral_constantIbLb0EES1C_EEDaS17_S18_EUlS17_E_NS1_11comp_targetILNS1_3genE10ELNS1_11target_archE1200ELNS1_3gpuE4ELNS1_3repE0EEENS1_30default_config_static_selectorELNS0_4arch9wavefront6targetE1EEEvT1_,comdat
	.globl	_ZN7rocprim17ROCPRIM_400000_NS6detail17trampoline_kernelINS0_14default_configENS1_25partition_config_selectorILNS1_17partition_subalgoE8ElNS0_10empty_typeEbEEZZNS1_14partition_implILS5_8ELb0ES3_jPlPS6_PKS6_NS0_5tupleIJS9_S6_EEENSD_IJSA_SA_EEENS0_18inequality_wrapperIZN2at6native12_GLOBAL__N_124unique_dim_cuda_templateIsEESt5tupleIJNSH_6TensorESM_SM_EERKSM_lbbbEUlllE0_EEPmJS6_EEE10hipError_tPvRmT3_T4_T5_T6_T7_T9_mT8_P12ihipStream_tbDpT10_ENKUlT_T0_E_clISt17integral_constantIbLb0EES1C_EEDaS17_S18_EUlS17_E_NS1_11comp_targetILNS1_3genE10ELNS1_11target_archE1200ELNS1_3gpuE4ELNS1_3repE0EEENS1_30default_config_static_selectorELNS0_4arch9wavefront6targetE1EEEvT1_ ; -- Begin function _ZN7rocprim17ROCPRIM_400000_NS6detail17trampoline_kernelINS0_14default_configENS1_25partition_config_selectorILNS1_17partition_subalgoE8ElNS0_10empty_typeEbEEZZNS1_14partition_implILS5_8ELb0ES3_jPlPS6_PKS6_NS0_5tupleIJS9_S6_EEENSD_IJSA_SA_EEENS0_18inequality_wrapperIZN2at6native12_GLOBAL__N_124unique_dim_cuda_templateIsEESt5tupleIJNSH_6TensorESM_SM_EERKSM_lbbbEUlllE0_EEPmJS6_EEE10hipError_tPvRmT3_T4_T5_T6_T7_T9_mT8_P12ihipStream_tbDpT10_ENKUlT_T0_E_clISt17integral_constantIbLb0EES1C_EEDaS17_S18_EUlS17_E_NS1_11comp_targetILNS1_3genE10ELNS1_11target_archE1200ELNS1_3gpuE4ELNS1_3repE0EEENS1_30default_config_static_selectorELNS0_4arch9wavefront6targetE1EEEvT1_
	.p2align	8
	.type	_ZN7rocprim17ROCPRIM_400000_NS6detail17trampoline_kernelINS0_14default_configENS1_25partition_config_selectorILNS1_17partition_subalgoE8ElNS0_10empty_typeEbEEZZNS1_14partition_implILS5_8ELb0ES3_jPlPS6_PKS6_NS0_5tupleIJS9_S6_EEENSD_IJSA_SA_EEENS0_18inequality_wrapperIZN2at6native12_GLOBAL__N_124unique_dim_cuda_templateIsEESt5tupleIJNSH_6TensorESM_SM_EERKSM_lbbbEUlllE0_EEPmJS6_EEE10hipError_tPvRmT3_T4_T5_T6_T7_T9_mT8_P12ihipStream_tbDpT10_ENKUlT_T0_E_clISt17integral_constantIbLb0EES1C_EEDaS17_S18_EUlS17_E_NS1_11comp_targetILNS1_3genE10ELNS1_11target_archE1200ELNS1_3gpuE4ELNS1_3repE0EEENS1_30default_config_static_selectorELNS0_4arch9wavefront6targetE1EEEvT1_,@function
_ZN7rocprim17ROCPRIM_400000_NS6detail17trampoline_kernelINS0_14default_configENS1_25partition_config_selectorILNS1_17partition_subalgoE8ElNS0_10empty_typeEbEEZZNS1_14partition_implILS5_8ELb0ES3_jPlPS6_PKS6_NS0_5tupleIJS9_S6_EEENSD_IJSA_SA_EEENS0_18inequality_wrapperIZN2at6native12_GLOBAL__N_124unique_dim_cuda_templateIsEESt5tupleIJNSH_6TensorESM_SM_EERKSM_lbbbEUlllE0_EEPmJS6_EEE10hipError_tPvRmT3_T4_T5_T6_T7_T9_mT8_P12ihipStream_tbDpT10_ENKUlT_T0_E_clISt17integral_constantIbLb0EES1C_EEDaS17_S18_EUlS17_E_NS1_11comp_targetILNS1_3genE10ELNS1_11target_archE1200ELNS1_3gpuE4ELNS1_3repE0EEENS1_30default_config_static_selectorELNS0_4arch9wavefront6targetE1EEEvT1_: ; @_ZN7rocprim17ROCPRIM_400000_NS6detail17trampoline_kernelINS0_14default_configENS1_25partition_config_selectorILNS1_17partition_subalgoE8ElNS0_10empty_typeEbEEZZNS1_14partition_implILS5_8ELb0ES3_jPlPS6_PKS6_NS0_5tupleIJS9_S6_EEENSD_IJSA_SA_EEENS0_18inequality_wrapperIZN2at6native12_GLOBAL__N_124unique_dim_cuda_templateIsEESt5tupleIJNSH_6TensorESM_SM_EERKSM_lbbbEUlllE0_EEPmJS6_EEE10hipError_tPvRmT3_T4_T5_T6_T7_T9_mT8_P12ihipStream_tbDpT10_ENKUlT_T0_E_clISt17integral_constantIbLb0EES1C_EEDaS17_S18_EUlS17_E_NS1_11comp_targetILNS1_3genE10ELNS1_11target_archE1200ELNS1_3gpuE4ELNS1_3repE0EEENS1_30default_config_static_selectorELNS0_4arch9wavefront6targetE1EEEvT1_
; %bb.0:
	.section	.rodata,"a",@progbits
	.p2align	6, 0x0
	.amdhsa_kernel _ZN7rocprim17ROCPRIM_400000_NS6detail17trampoline_kernelINS0_14default_configENS1_25partition_config_selectorILNS1_17partition_subalgoE8ElNS0_10empty_typeEbEEZZNS1_14partition_implILS5_8ELb0ES3_jPlPS6_PKS6_NS0_5tupleIJS9_S6_EEENSD_IJSA_SA_EEENS0_18inequality_wrapperIZN2at6native12_GLOBAL__N_124unique_dim_cuda_templateIsEESt5tupleIJNSH_6TensorESM_SM_EERKSM_lbbbEUlllE0_EEPmJS6_EEE10hipError_tPvRmT3_T4_T5_T6_T7_T9_mT8_P12ihipStream_tbDpT10_ENKUlT_T0_E_clISt17integral_constantIbLb0EES1C_EEDaS17_S18_EUlS17_E_NS1_11comp_targetILNS1_3genE10ELNS1_11target_archE1200ELNS1_3gpuE4ELNS1_3repE0EEENS1_30default_config_static_selectorELNS0_4arch9wavefront6targetE1EEEvT1_
		.amdhsa_group_segment_fixed_size 0
		.amdhsa_private_segment_fixed_size 0
		.amdhsa_kernarg_size 120
		.amdhsa_user_sgpr_count 6
		.amdhsa_user_sgpr_private_segment_buffer 1
		.amdhsa_user_sgpr_dispatch_ptr 0
		.amdhsa_user_sgpr_queue_ptr 0
		.amdhsa_user_sgpr_kernarg_segment_ptr 1
		.amdhsa_user_sgpr_dispatch_id 0
		.amdhsa_user_sgpr_flat_scratch_init 0
		.amdhsa_user_sgpr_kernarg_preload_length 0
		.amdhsa_user_sgpr_kernarg_preload_offset 0
		.amdhsa_user_sgpr_private_segment_size 0
		.amdhsa_uses_dynamic_stack 0
		.amdhsa_system_sgpr_private_segment_wavefront_offset 0
		.amdhsa_system_sgpr_workgroup_id_x 1
		.amdhsa_system_sgpr_workgroup_id_y 0
		.amdhsa_system_sgpr_workgroup_id_z 0
		.amdhsa_system_sgpr_workgroup_info 0
		.amdhsa_system_vgpr_workitem_id 0
		.amdhsa_next_free_vgpr 1
		.amdhsa_next_free_sgpr 0
		.amdhsa_accum_offset 4
		.amdhsa_reserve_vcc 0
		.amdhsa_reserve_flat_scratch 0
		.amdhsa_float_round_mode_32 0
		.amdhsa_float_round_mode_16_64 0
		.amdhsa_float_denorm_mode_32 3
		.amdhsa_float_denorm_mode_16_64 3
		.amdhsa_dx10_clamp 1
		.amdhsa_ieee_mode 1
		.amdhsa_fp16_overflow 0
		.amdhsa_tg_split 0
		.amdhsa_exception_fp_ieee_invalid_op 0
		.amdhsa_exception_fp_denorm_src 0
		.amdhsa_exception_fp_ieee_div_zero 0
		.amdhsa_exception_fp_ieee_overflow 0
		.amdhsa_exception_fp_ieee_underflow 0
		.amdhsa_exception_fp_ieee_inexact 0
		.amdhsa_exception_int_div_zero 0
	.end_amdhsa_kernel
	.section	.text._ZN7rocprim17ROCPRIM_400000_NS6detail17trampoline_kernelINS0_14default_configENS1_25partition_config_selectorILNS1_17partition_subalgoE8ElNS0_10empty_typeEbEEZZNS1_14partition_implILS5_8ELb0ES3_jPlPS6_PKS6_NS0_5tupleIJS9_S6_EEENSD_IJSA_SA_EEENS0_18inequality_wrapperIZN2at6native12_GLOBAL__N_124unique_dim_cuda_templateIsEESt5tupleIJNSH_6TensorESM_SM_EERKSM_lbbbEUlllE0_EEPmJS6_EEE10hipError_tPvRmT3_T4_T5_T6_T7_T9_mT8_P12ihipStream_tbDpT10_ENKUlT_T0_E_clISt17integral_constantIbLb0EES1C_EEDaS17_S18_EUlS17_E_NS1_11comp_targetILNS1_3genE10ELNS1_11target_archE1200ELNS1_3gpuE4ELNS1_3repE0EEENS1_30default_config_static_selectorELNS0_4arch9wavefront6targetE1EEEvT1_,"axG",@progbits,_ZN7rocprim17ROCPRIM_400000_NS6detail17trampoline_kernelINS0_14default_configENS1_25partition_config_selectorILNS1_17partition_subalgoE8ElNS0_10empty_typeEbEEZZNS1_14partition_implILS5_8ELb0ES3_jPlPS6_PKS6_NS0_5tupleIJS9_S6_EEENSD_IJSA_SA_EEENS0_18inequality_wrapperIZN2at6native12_GLOBAL__N_124unique_dim_cuda_templateIsEESt5tupleIJNSH_6TensorESM_SM_EERKSM_lbbbEUlllE0_EEPmJS6_EEE10hipError_tPvRmT3_T4_T5_T6_T7_T9_mT8_P12ihipStream_tbDpT10_ENKUlT_T0_E_clISt17integral_constantIbLb0EES1C_EEDaS17_S18_EUlS17_E_NS1_11comp_targetILNS1_3genE10ELNS1_11target_archE1200ELNS1_3gpuE4ELNS1_3repE0EEENS1_30default_config_static_selectorELNS0_4arch9wavefront6targetE1EEEvT1_,comdat
.Lfunc_end690:
	.size	_ZN7rocprim17ROCPRIM_400000_NS6detail17trampoline_kernelINS0_14default_configENS1_25partition_config_selectorILNS1_17partition_subalgoE8ElNS0_10empty_typeEbEEZZNS1_14partition_implILS5_8ELb0ES3_jPlPS6_PKS6_NS0_5tupleIJS9_S6_EEENSD_IJSA_SA_EEENS0_18inequality_wrapperIZN2at6native12_GLOBAL__N_124unique_dim_cuda_templateIsEESt5tupleIJNSH_6TensorESM_SM_EERKSM_lbbbEUlllE0_EEPmJS6_EEE10hipError_tPvRmT3_T4_T5_T6_T7_T9_mT8_P12ihipStream_tbDpT10_ENKUlT_T0_E_clISt17integral_constantIbLb0EES1C_EEDaS17_S18_EUlS17_E_NS1_11comp_targetILNS1_3genE10ELNS1_11target_archE1200ELNS1_3gpuE4ELNS1_3repE0EEENS1_30default_config_static_selectorELNS0_4arch9wavefront6targetE1EEEvT1_, .Lfunc_end690-_ZN7rocprim17ROCPRIM_400000_NS6detail17trampoline_kernelINS0_14default_configENS1_25partition_config_selectorILNS1_17partition_subalgoE8ElNS0_10empty_typeEbEEZZNS1_14partition_implILS5_8ELb0ES3_jPlPS6_PKS6_NS0_5tupleIJS9_S6_EEENSD_IJSA_SA_EEENS0_18inequality_wrapperIZN2at6native12_GLOBAL__N_124unique_dim_cuda_templateIsEESt5tupleIJNSH_6TensorESM_SM_EERKSM_lbbbEUlllE0_EEPmJS6_EEE10hipError_tPvRmT3_T4_T5_T6_T7_T9_mT8_P12ihipStream_tbDpT10_ENKUlT_T0_E_clISt17integral_constantIbLb0EES1C_EEDaS17_S18_EUlS17_E_NS1_11comp_targetILNS1_3genE10ELNS1_11target_archE1200ELNS1_3gpuE4ELNS1_3repE0EEENS1_30default_config_static_selectorELNS0_4arch9wavefront6targetE1EEEvT1_
                                        ; -- End function
	.section	.AMDGPU.csdata,"",@progbits
; Kernel info:
; codeLenInByte = 0
; NumSgprs: 4
; NumVgprs: 0
; NumAgprs: 0
; TotalNumVgprs: 0
; ScratchSize: 0
; MemoryBound: 0
; FloatMode: 240
; IeeeMode: 1
; LDSByteSize: 0 bytes/workgroup (compile time only)
; SGPRBlocks: 0
; VGPRBlocks: 0
; NumSGPRsForWavesPerEU: 4
; NumVGPRsForWavesPerEU: 1
; AccumOffset: 4
; Occupancy: 8
; WaveLimiterHint : 0
; COMPUTE_PGM_RSRC2:SCRATCH_EN: 0
; COMPUTE_PGM_RSRC2:USER_SGPR: 6
; COMPUTE_PGM_RSRC2:TRAP_HANDLER: 0
; COMPUTE_PGM_RSRC2:TGID_X_EN: 1
; COMPUTE_PGM_RSRC2:TGID_Y_EN: 0
; COMPUTE_PGM_RSRC2:TGID_Z_EN: 0
; COMPUTE_PGM_RSRC2:TIDIG_COMP_CNT: 0
; COMPUTE_PGM_RSRC3_GFX90A:ACCUM_OFFSET: 0
; COMPUTE_PGM_RSRC3_GFX90A:TG_SPLIT: 0
	.section	.text._ZN7rocprim17ROCPRIM_400000_NS6detail17trampoline_kernelINS0_14default_configENS1_25partition_config_selectorILNS1_17partition_subalgoE8ElNS0_10empty_typeEbEEZZNS1_14partition_implILS5_8ELb0ES3_jPlPS6_PKS6_NS0_5tupleIJS9_S6_EEENSD_IJSA_SA_EEENS0_18inequality_wrapperIZN2at6native12_GLOBAL__N_124unique_dim_cuda_templateIsEESt5tupleIJNSH_6TensorESM_SM_EERKSM_lbbbEUlllE0_EEPmJS6_EEE10hipError_tPvRmT3_T4_T5_T6_T7_T9_mT8_P12ihipStream_tbDpT10_ENKUlT_T0_E_clISt17integral_constantIbLb0EES1C_EEDaS17_S18_EUlS17_E_NS1_11comp_targetILNS1_3genE9ELNS1_11target_archE1100ELNS1_3gpuE3ELNS1_3repE0EEENS1_30default_config_static_selectorELNS0_4arch9wavefront6targetE1EEEvT1_,"axG",@progbits,_ZN7rocprim17ROCPRIM_400000_NS6detail17trampoline_kernelINS0_14default_configENS1_25partition_config_selectorILNS1_17partition_subalgoE8ElNS0_10empty_typeEbEEZZNS1_14partition_implILS5_8ELb0ES3_jPlPS6_PKS6_NS0_5tupleIJS9_S6_EEENSD_IJSA_SA_EEENS0_18inequality_wrapperIZN2at6native12_GLOBAL__N_124unique_dim_cuda_templateIsEESt5tupleIJNSH_6TensorESM_SM_EERKSM_lbbbEUlllE0_EEPmJS6_EEE10hipError_tPvRmT3_T4_T5_T6_T7_T9_mT8_P12ihipStream_tbDpT10_ENKUlT_T0_E_clISt17integral_constantIbLb0EES1C_EEDaS17_S18_EUlS17_E_NS1_11comp_targetILNS1_3genE9ELNS1_11target_archE1100ELNS1_3gpuE3ELNS1_3repE0EEENS1_30default_config_static_selectorELNS0_4arch9wavefront6targetE1EEEvT1_,comdat
	.globl	_ZN7rocprim17ROCPRIM_400000_NS6detail17trampoline_kernelINS0_14default_configENS1_25partition_config_selectorILNS1_17partition_subalgoE8ElNS0_10empty_typeEbEEZZNS1_14partition_implILS5_8ELb0ES3_jPlPS6_PKS6_NS0_5tupleIJS9_S6_EEENSD_IJSA_SA_EEENS0_18inequality_wrapperIZN2at6native12_GLOBAL__N_124unique_dim_cuda_templateIsEESt5tupleIJNSH_6TensorESM_SM_EERKSM_lbbbEUlllE0_EEPmJS6_EEE10hipError_tPvRmT3_T4_T5_T6_T7_T9_mT8_P12ihipStream_tbDpT10_ENKUlT_T0_E_clISt17integral_constantIbLb0EES1C_EEDaS17_S18_EUlS17_E_NS1_11comp_targetILNS1_3genE9ELNS1_11target_archE1100ELNS1_3gpuE3ELNS1_3repE0EEENS1_30default_config_static_selectorELNS0_4arch9wavefront6targetE1EEEvT1_ ; -- Begin function _ZN7rocprim17ROCPRIM_400000_NS6detail17trampoline_kernelINS0_14default_configENS1_25partition_config_selectorILNS1_17partition_subalgoE8ElNS0_10empty_typeEbEEZZNS1_14partition_implILS5_8ELb0ES3_jPlPS6_PKS6_NS0_5tupleIJS9_S6_EEENSD_IJSA_SA_EEENS0_18inequality_wrapperIZN2at6native12_GLOBAL__N_124unique_dim_cuda_templateIsEESt5tupleIJNSH_6TensorESM_SM_EERKSM_lbbbEUlllE0_EEPmJS6_EEE10hipError_tPvRmT3_T4_T5_T6_T7_T9_mT8_P12ihipStream_tbDpT10_ENKUlT_T0_E_clISt17integral_constantIbLb0EES1C_EEDaS17_S18_EUlS17_E_NS1_11comp_targetILNS1_3genE9ELNS1_11target_archE1100ELNS1_3gpuE3ELNS1_3repE0EEENS1_30default_config_static_selectorELNS0_4arch9wavefront6targetE1EEEvT1_
	.p2align	8
	.type	_ZN7rocprim17ROCPRIM_400000_NS6detail17trampoline_kernelINS0_14default_configENS1_25partition_config_selectorILNS1_17partition_subalgoE8ElNS0_10empty_typeEbEEZZNS1_14partition_implILS5_8ELb0ES3_jPlPS6_PKS6_NS0_5tupleIJS9_S6_EEENSD_IJSA_SA_EEENS0_18inequality_wrapperIZN2at6native12_GLOBAL__N_124unique_dim_cuda_templateIsEESt5tupleIJNSH_6TensorESM_SM_EERKSM_lbbbEUlllE0_EEPmJS6_EEE10hipError_tPvRmT3_T4_T5_T6_T7_T9_mT8_P12ihipStream_tbDpT10_ENKUlT_T0_E_clISt17integral_constantIbLb0EES1C_EEDaS17_S18_EUlS17_E_NS1_11comp_targetILNS1_3genE9ELNS1_11target_archE1100ELNS1_3gpuE3ELNS1_3repE0EEENS1_30default_config_static_selectorELNS0_4arch9wavefront6targetE1EEEvT1_,@function
_ZN7rocprim17ROCPRIM_400000_NS6detail17trampoline_kernelINS0_14default_configENS1_25partition_config_selectorILNS1_17partition_subalgoE8ElNS0_10empty_typeEbEEZZNS1_14partition_implILS5_8ELb0ES3_jPlPS6_PKS6_NS0_5tupleIJS9_S6_EEENSD_IJSA_SA_EEENS0_18inequality_wrapperIZN2at6native12_GLOBAL__N_124unique_dim_cuda_templateIsEESt5tupleIJNSH_6TensorESM_SM_EERKSM_lbbbEUlllE0_EEPmJS6_EEE10hipError_tPvRmT3_T4_T5_T6_T7_T9_mT8_P12ihipStream_tbDpT10_ENKUlT_T0_E_clISt17integral_constantIbLb0EES1C_EEDaS17_S18_EUlS17_E_NS1_11comp_targetILNS1_3genE9ELNS1_11target_archE1100ELNS1_3gpuE3ELNS1_3repE0EEENS1_30default_config_static_selectorELNS0_4arch9wavefront6targetE1EEEvT1_: ; @_ZN7rocprim17ROCPRIM_400000_NS6detail17trampoline_kernelINS0_14default_configENS1_25partition_config_selectorILNS1_17partition_subalgoE8ElNS0_10empty_typeEbEEZZNS1_14partition_implILS5_8ELb0ES3_jPlPS6_PKS6_NS0_5tupleIJS9_S6_EEENSD_IJSA_SA_EEENS0_18inequality_wrapperIZN2at6native12_GLOBAL__N_124unique_dim_cuda_templateIsEESt5tupleIJNSH_6TensorESM_SM_EERKSM_lbbbEUlllE0_EEPmJS6_EEE10hipError_tPvRmT3_T4_T5_T6_T7_T9_mT8_P12ihipStream_tbDpT10_ENKUlT_T0_E_clISt17integral_constantIbLb0EES1C_EEDaS17_S18_EUlS17_E_NS1_11comp_targetILNS1_3genE9ELNS1_11target_archE1100ELNS1_3gpuE3ELNS1_3repE0EEENS1_30default_config_static_selectorELNS0_4arch9wavefront6targetE1EEEvT1_
; %bb.0:
	.section	.rodata,"a",@progbits
	.p2align	6, 0x0
	.amdhsa_kernel _ZN7rocprim17ROCPRIM_400000_NS6detail17trampoline_kernelINS0_14default_configENS1_25partition_config_selectorILNS1_17partition_subalgoE8ElNS0_10empty_typeEbEEZZNS1_14partition_implILS5_8ELb0ES3_jPlPS6_PKS6_NS0_5tupleIJS9_S6_EEENSD_IJSA_SA_EEENS0_18inequality_wrapperIZN2at6native12_GLOBAL__N_124unique_dim_cuda_templateIsEESt5tupleIJNSH_6TensorESM_SM_EERKSM_lbbbEUlllE0_EEPmJS6_EEE10hipError_tPvRmT3_T4_T5_T6_T7_T9_mT8_P12ihipStream_tbDpT10_ENKUlT_T0_E_clISt17integral_constantIbLb0EES1C_EEDaS17_S18_EUlS17_E_NS1_11comp_targetILNS1_3genE9ELNS1_11target_archE1100ELNS1_3gpuE3ELNS1_3repE0EEENS1_30default_config_static_selectorELNS0_4arch9wavefront6targetE1EEEvT1_
		.amdhsa_group_segment_fixed_size 0
		.amdhsa_private_segment_fixed_size 0
		.amdhsa_kernarg_size 120
		.amdhsa_user_sgpr_count 6
		.amdhsa_user_sgpr_private_segment_buffer 1
		.amdhsa_user_sgpr_dispatch_ptr 0
		.amdhsa_user_sgpr_queue_ptr 0
		.amdhsa_user_sgpr_kernarg_segment_ptr 1
		.amdhsa_user_sgpr_dispatch_id 0
		.amdhsa_user_sgpr_flat_scratch_init 0
		.amdhsa_user_sgpr_kernarg_preload_length 0
		.amdhsa_user_sgpr_kernarg_preload_offset 0
		.amdhsa_user_sgpr_private_segment_size 0
		.amdhsa_uses_dynamic_stack 0
		.amdhsa_system_sgpr_private_segment_wavefront_offset 0
		.amdhsa_system_sgpr_workgroup_id_x 1
		.amdhsa_system_sgpr_workgroup_id_y 0
		.amdhsa_system_sgpr_workgroup_id_z 0
		.amdhsa_system_sgpr_workgroup_info 0
		.amdhsa_system_vgpr_workitem_id 0
		.amdhsa_next_free_vgpr 1
		.amdhsa_next_free_sgpr 0
		.amdhsa_accum_offset 4
		.amdhsa_reserve_vcc 0
		.amdhsa_reserve_flat_scratch 0
		.amdhsa_float_round_mode_32 0
		.amdhsa_float_round_mode_16_64 0
		.amdhsa_float_denorm_mode_32 3
		.amdhsa_float_denorm_mode_16_64 3
		.amdhsa_dx10_clamp 1
		.amdhsa_ieee_mode 1
		.amdhsa_fp16_overflow 0
		.amdhsa_tg_split 0
		.amdhsa_exception_fp_ieee_invalid_op 0
		.amdhsa_exception_fp_denorm_src 0
		.amdhsa_exception_fp_ieee_div_zero 0
		.amdhsa_exception_fp_ieee_overflow 0
		.amdhsa_exception_fp_ieee_underflow 0
		.amdhsa_exception_fp_ieee_inexact 0
		.amdhsa_exception_int_div_zero 0
	.end_amdhsa_kernel
	.section	.text._ZN7rocprim17ROCPRIM_400000_NS6detail17trampoline_kernelINS0_14default_configENS1_25partition_config_selectorILNS1_17partition_subalgoE8ElNS0_10empty_typeEbEEZZNS1_14partition_implILS5_8ELb0ES3_jPlPS6_PKS6_NS0_5tupleIJS9_S6_EEENSD_IJSA_SA_EEENS0_18inequality_wrapperIZN2at6native12_GLOBAL__N_124unique_dim_cuda_templateIsEESt5tupleIJNSH_6TensorESM_SM_EERKSM_lbbbEUlllE0_EEPmJS6_EEE10hipError_tPvRmT3_T4_T5_T6_T7_T9_mT8_P12ihipStream_tbDpT10_ENKUlT_T0_E_clISt17integral_constantIbLb0EES1C_EEDaS17_S18_EUlS17_E_NS1_11comp_targetILNS1_3genE9ELNS1_11target_archE1100ELNS1_3gpuE3ELNS1_3repE0EEENS1_30default_config_static_selectorELNS0_4arch9wavefront6targetE1EEEvT1_,"axG",@progbits,_ZN7rocprim17ROCPRIM_400000_NS6detail17trampoline_kernelINS0_14default_configENS1_25partition_config_selectorILNS1_17partition_subalgoE8ElNS0_10empty_typeEbEEZZNS1_14partition_implILS5_8ELb0ES3_jPlPS6_PKS6_NS0_5tupleIJS9_S6_EEENSD_IJSA_SA_EEENS0_18inequality_wrapperIZN2at6native12_GLOBAL__N_124unique_dim_cuda_templateIsEESt5tupleIJNSH_6TensorESM_SM_EERKSM_lbbbEUlllE0_EEPmJS6_EEE10hipError_tPvRmT3_T4_T5_T6_T7_T9_mT8_P12ihipStream_tbDpT10_ENKUlT_T0_E_clISt17integral_constantIbLb0EES1C_EEDaS17_S18_EUlS17_E_NS1_11comp_targetILNS1_3genE9ELNS1_11target_archE1100ELNS1_3gpuE3ELNS1_3repE0EEENS1_30default_config_static_selectorELNS0_4arch9wavefront6targetE1EEEvT1_,comdat
.Lfunc_end691:
	.size	_ZN7rocprim17ROCPRIM_400000_NS6detail17trampoline_kernelINS0_14default_configENS1_25partition_config_selectorILNS1_17partition_subalgoE8ElNS0_10empty_typeEbEEZZNS1_14partition_implILS5_8ELb0ES3_jPlPS6_PKS6_NS0_5tupleIJS9_S6_EEENSD_IJSA_SA_EEENS0_18inequality_wrapperIZN2at6native12_GLOBAL__N_124unique_dim_cuda_templateIsEESt5tupleIJNSH_6TensorESM_SM_EERKSM_lbbbEUlllE0_EEPmJS6_EEE10hipError_tPvRmT3_T4_T5_T6_T7_T9_mT8_P12ihipStream_tbDpT10_ENKUlT_T0_E_clISt17integral_constantIbLb0EES1C_EEDaS17_S18_EUlS17_E_NS1_11comp_targetILNS1_3genE9ELNS1_11target_archE1100ELNS1_3gpuE3ELNS1_3repE0EEENS1_30default_config_static_selectorELNS0_4arch9wavefront6targetE1EEEvT1_, .Lfunc_end691-_ZN7rocprim17ROCPRIM_400000_NS6detail17trampoline_kernelINS0_14default_configENS1_25partition_config_selectorILNS1_17partition_subalgoE8ElNS0_10empty_typeEbEEZZNS1_14partition_implILS5_8ELb0ES3_jPlPS6_PKS6_NS0_5tupleIJS9_S6_EEENSD_IJSA_SA_EEENS0_18inequality_wrapperIZN2at6native12_GLOBAL__N_124unique_dim_cuda_templateIsEESt5tupleIJNSH_6TensorESM_SM_EERKSM_lbbbEUlllE0_EEPmJS6_EEE10hipError_tPvRmT3_T4_T5_T6_T7_T9_mT8_P12ihipStream_tbDpT10_ENKUlT_T0_E_clISt17integral_constantIbLb0EES1C_EEDaS17_S18_EUlS17_E_NS1_11comp_targetILNS1_3genE9ELNS1_11target_archE1100ELNS1_3gpuE3ELNS1_3repE0EEENS1_30default_config_static_selectorELNS0_4arch9wavefront6targetE1EEEvT1_
                                        ; -- End function
	.section	.AMDGPU.csdata,"",@progbits
; Kernel info:
; codeLenInByte = 0
; NumSgprs: 4
; NumVgprs: 0
; NumAgprs: 0
; TotalNumVgprs: 0
; ScratchSize: 0
; MemoryBound: 0
; FloatMode: 240
; IeeeMode: 1
; LDSByteSize: 0 bytes/workgroup (compile time only)
; SGPRBlocks: 0
; VGPRBlocks: 0
; NumSGPRsForWavesPerEU: 4
; NumVGPRsForWavesPerEU: 1
; AccumOffset: 4
; Occupancy: 8
; WaveLimiterHint : 0
; COMPUTE_PGM_RSRC2:SCRATCH_EN: 0
; COMPUTE_PGM_RSRC2:USER_SGPR: 6
; COMPUTE_PGM_RSRC2:TRAP_HANDLER: 0
; COMPUTE_PGM_RSRC2:TGID_X_EN: 1
; COMPUTE_PGM_RSRC2:TGID_Y_EN: 0
; COMPUTE_PGM_RSRC2:TGID_Z_EN: 0
; COMPUTE_PGM_RSRC2:TIDIG_COMP_CNT: 0
; COMPUTE_PGM_RSRC3_GFX90A:ACCUM_OFFSET: 0
; COMPUTE_PGM_RSRC3_GFX90A:TG_SPLIT: 0
	.section	.text._ZN7rocprim17ROCPRIM_400000_NS6detail17trampoline_kernelINS0_14default_configENS1_25partition_config_selectorILNS1_17partition_subalgoE8ElNS0_10empty_typeEbEEZZNS1_14partition_implILS5_8ELb0ES3_jPlPS6_PKS6_NS0_5tupleIJS9_S6_EEENSD_IJSA_SA_EEENS0_18inequality_wrapperIZN2at6native12_GLOBAL__N_124unique_dim_cuda_templateIsEESt5tupleIJNSH_6TensorESM_SM_EERKSM_lbbbEUlllE0_EEPmJS6_EEE10hipError_tPvRmT3_T4_T5_T6_T7_T9_mT8_P12ihipStream_tbDpT10_ENKUlT_T0_E_clISt17integral_constantIbLb0EES1C_EEDaS17_S18_EUlS17_E_NS1_11comp_targetILNS1_3genE8ELNS1_11target_archE1030ELNS1_3gpuE2ELNS1_3repE0EEENS1_30default_config_static_selectorELNS0_4arch9wavefront6targetE1EEEvT1_,"axG",@progbits,_ZN7rocprim17ROCPRIM_400000_NS6detail17trampoline_kernelINS0_14default_configENS1_25partition_config_selectorILNS1_17partition_subalgoE8ElNS0_10empty_typeEbEEZZNS1_14partition_implILS5_8ELb0ES3_jPlPS6_PKS6_NS0_5tupleIJS9_S6_EEENSD_IJSA_SA_EEENS0_18inequality_wrapperIZN2at6native12_GLOBAL__N_124unique_dim_cuda_templateIsEESt5tupleIJNSH_6TensorESM_SM_EERKSM_lbbbEUlllE0_EEPmJS6_EEE10hipError_tPvRmT3_T4_T5_T6_T7_T9_mT8_P12ihipStream_tbDpT10_ENKUlT_T0_E_clISt17integral_constantIbLb0EES1C_EEDaS17_S18_EUlS17_E_NS1_11comp_targetILNS1_3genE8ELNS1_11target_archE1030ELNS1_3gpuE2ELNS1_3repE0EEENS1_30default_config_static_selectorELNS0_4arch9wavefront6targetE1EEEvT1_,comdat
	.globl	_ZN7rocprim17ROCPRIM_400000_NS6detail17trampoline_kernelINS0_14default_configENS1_25partition_config_selectorILNS1_17partition_subalgoE8ElNS0_10empty_typeEbEEZZNS1_14partition_implILS5_8ELb0ES3_jPlPS6_PKS6_NS0_5tupleIJS9_S6_EEENSD_IJSA_SA_EEENS0_18inequality_wrapperIZN2at6native12_GLOBAL__N_124unique_dim_cuda_templateIsEESt5tupleIJNSH_6TensorESM_SM_EERKSM_lbbbEUlllE0_EEPmJS6_EEE10hipError_tPvRmT3_T4_T5_T6_T7_T9_mT8_P12ihipStream_tbDpT10_ENKUlT_T0_E_clISt17integral_constantIbLb0EES1C_EEDaS17_S18_EUlS17_E_NS1_11comp_targetILNS1_3genE8ELNS1_11target_archE1030ELNS1_3gpuE2ELNS1_3repE0EEENS1_30default_config_static_selectorELNS0_4arch9wavefront6targetE1EEEvT1_ ; -- Begin function _ZN7rocprim17ROCPRIM_400000_NS6detail17trampoline_kernelINS0_14default_configENS1_25partition_config_selectorILNS1_17partition_subalgoE8ElNS0_10empty_typeEbEEZZNS1_14partition_implILS5_8ELb0ES3_jPlPS6_PKS6_NS0_5tupleIJS9_S6_EEENSD_IJSA_SA_EEENS0_18inequality_wrapperIZN2at6native12_GLOBAL__N_124unique_dim_cuda_templateIsEESt5tupleIJNSH_6TensorESM_SM_EERKSM_lbbbEUlllE0_EEPmJS6_EEE10hipError_tPvRmT3_T4_T5_T6_T7_T9_mT8_P12ihipStream_tbDpT10_ENKUlT_T0_E_clISt17integral_constantIbLb0EES1C_EEDaS17_S18_EUlS17_E_NS1_11comp_targetILNS1_3genE8ELNS1_11target_archE1030ELNS1_3gpuE2ELNS1_3repE0EEENS1_30default_config_static_selectorELNS0_4arch9wavefront6targetE1EEEvT1_
	.p2align	8
	.type	_ZN7rocprim17ROCPRIM_400000_NS6detail17trampoline_kernelINS0_14default_configENS1_25partition_config_selectorILNS1_17partition_subalgoE8ElNS0_10empty_typeEbEEZZNS1_14partition_implILS5_8ELb0ES3_jPlPS6_PKS6_NS0_5tupleIJS9_S6_EEENSD_IJSA_SA_EEENS0_18inequality_wrapperIZN2at6native12_GLOBAL__N_124unique_dim_cuda_templateIsEESt5tupleIJNSH_6TensorESM_SM_EERKSM_lbbbEUlllE0_EEPmJS6_EEE10hipError_tPvRmT3_T4_T5_T6_T7_T9_mT8_P12ihipStream_tbDpT10_ENKUlT_T0_E_clISt17integral_constantIbLb0EES1C_EEDaS17_S18_EUlS17_E_NS1_11comp_targetILNS1_3genE8ELNS1_11target_archE1030ELNS1_3gpuE2ELNS1_3repE0EEENS1_30default_config_static_selectorELNS0_4arch9wavefront6targetE1EEEvT1_,@function
_ZN7rocprim17ROCPRIM_400000_NS6detail17trampoline_kernelINS0_14default_configENS1_25partition_config_selectorILNS1_17partition_subalgoE8ElNS0_10empty_typeEbEEZZNS1_14partition_implILS5_8ELb0ES3_jPlPS6_PKS6_NS0_5tupleIJS9_S6_EEENSD_IJSA_SA_EEENS0_18inequality_wrapperIZN2at6native12_GLOBAL__N_124unique_dim_cuda_templateIsEESt5tupleIJNSH_6TensorESM_SM_EERKSM_lbbbEUlllE0_EEPmJS6_EEE10hipError_tPvRmT3_T4_T5_T6_T7_T9_mT8_P12ihipStream_tbDpT10_ENKUlT_T0_E_clISt17integral_constantIbLb0EES1C_EEDaS17_S18_EUlS17_E_NS1_11comp_targetILNS1_3genE8ELNS1_11target_archE1030ELNS1_3gpuE2ELNS1_3repE0EEENS1_30default_config_static_selectorELNS0_4arch9wavefront6targetE1EEEvT1_: ; @_ZN7rocprim17ROCPRIM_400000_NS6detail17trampoline_kernelINS0_14default_configENS1_25partition_config_selectorILNS1_17partition_subalgoE8ElNS0_10empty_typeEbEEZZNS1_14partition_implILS5_8ELb0ES3_jPlPS6_PKS6_NS0_5tupleIJS9_S6_EEENSD_IJSA_SA_EEENS0_18inequality_wrapperIZN2at6native12_GLOBAL__N_124unique_dim_cuda_templateIsEESt5tupleIJNSH_6TensorESM_SM_EERKSM_lbbbEUlllE0_EEPmJS6_EEE10hipError_tPvRmT3_T4_T5_T6_T7_T9_mT8_P12ihipStream_tbDpT10_ENKUlT_T0_E_clISt17integral_constantIbLb0EES1C_EEDaS17_S18_EUlS17_E_NS1_11comp_targetILNS1_3genE8ELNS1_11target_archE1030ELNS1_3gpuE2ELNS1_3repE0EEENS1_30default_config_static_selectorELNS0_4arch9wavefront6targetE1EEEvT1_
; %bb.0:
	.section	.rodata,"a",@progbits
	.p2align	6, 0x0
	.amdhsa_kernel _ZN7rocprim17ROCPRIM_400000_NS6detail17trampoline_kernelINS0_14default_configENS1_25partition_config_selectorILNS1_17partition_subalgoE8ElNS0_10empty_typeEbEEZZNS1_14partition_implILS5_8ELb0ES3_jPlPS6_PKS6_NS0_5tupleIJS9_S6_EEENSD_IJSA_SA_EEENS0_18inequality_wrapperIZN2at6native12_GLOBAL__N_124unique_dim_cuda_templateIsEESt5tupleIJNSH_6TensorESM_SM_EERKSM_lbbbEUlllE0_EEPmJS6_EEE10hipError_tPvRmT3_T4_T5_T6_T7_T9_mT8_P12ihipStream_tbDpT10_ENKUlT_T0_E_clISt17integral_constantIbLb0EES1C_EEDaS17_S18_EUlS17_E_NS1_11comp_targetILNS1_3genE8ELNS1_11target_archE1030ELNS1_3gpuE2ELNS1_3repE0EEENS1_30default_config_static_selectorELNS0_4arch9wavefront6targetE1EEEvT1_
		.amdhsa_group_segment_fixed_size 0
		.amdhsa_private_segment_fixed_size 0
		.amdhsa_kernarg_size 120
		.amdhsa_user_sgpr_count 6
		.amdhsa_user_sgpr_private_segment_buffer 1
		.amdhsa_user_sgpr_dispatch_ptr 0
		.amdhsa_user_sgpr_queue_ptr 0
		.amdhsa_user_sgpr_kernarg_segment_ptr 1
		.amdhsa_user_sgpr_dispatch_id 0
		.amdhsa_user_sgpr_flat_scratch_init 0
		.amdhsa_user_sgpr_kernarg_preload_length 0
		.amdhsa_user_sgpr_kernarg_preload_offset 0
		.amdhsa_user_sgpr_private_segment_size 0
		.amdhsa_uses_dynamic_stack 0
		.amdhsa_system_sgpr_private_segment_wavefront_offset 0
		.amdhsa_system_sgpr_workgroup_id_x 1
		.amdhsa_system_sgpr_workgroup_id_y 0
		.amdhsa_system_sgpr_workgroup_id_z 0
		.amdhsa_system_sgpr_workgroup_info 0
		.amdhsa_system_vgpr_workitem_id 0
		.amdhsa_next_free_vgpr 1
		.amdhsa_next_free_sgpr 0
		.amdhsa_accum_offset 4
		.amdhsa_reserve_vcc 0
		.amdhsa_reserve_flat_scratch 0
		.amdhsa_float_round_mode_32 0
		.amdhsa_float_round_mode_16_64 0
		.amdhsa_float_denorm_mode_32 3
		.amdhsa_float_denorm_mode_16_64 3
		.amdhsa_dx10_clamp 1
		.amdhsa_ieee_mode 1
		.amdhsa_fp16_overflow 0
		.amdhsa_tg_split 0
		.amdhsa_exception_fp_ieee_invalid_op 0
		.amdhsa_exception_fp_denorm_src 0
		.amdhsa_exception_fp_ieee_div_zero 0
		.amdhsa_exception_fp_ieee_overflow 0
		.amdhsa_exception_fp_ieee_underflow 0
		.amdhsa_exception_fp_ieee_inexact 0
		.amdhsa_exception_int_div_zero 0
	.end_amdhsa_kernel
	.section	.text._ZN7rocprim17ROCPRIM_400000_NS6detail17trampoline_kernelINS0_14default_configENS1_25partition_config_selectorILNS1_17partition_subalgoE8ElNS0_10empty_typeEbEEZZNS1_14partition_implILS5_8ELb0ES3_jPlPS6_PKS6_NS0_5tupleIJS9_S6_EEENSD_IJSA_SA_EEENS0_18inequality_wrapperIZN2at6native12_GLOBAL__N_124unique_dim_cuda_templateIsEESt5tupleIJNSH_6TensorESM_SM_EERKSM_lbbbEUlllE0_EEPmJS6_EEE10hipError_tPvRmT3_T4_T5_T6_T7_T9_mT8_P12ihipStream_tbDpT10_ENKUlT_T0_E_clISt17integral_constantIbLb0EES1C_EEDaS17_S18_EUlS17_E_NS1_11comp_targetILNS1_3genE8ELNS1_11target_archE1030ELNS1_3gpuE2ELNS1_3repE0EEENS1_30default_config_static_selectorELNS0_4arch9wavefront6targetE1EEEvT1_,"axG",@progbits,_ZN7rocprim17ROCPRIM_400000_NS6detail17trampoline_kernelINS0_14default_configENS1_25partition_config_selectorILNS1_17partition_subalgoE8ElNS0_10empty_typeEbEEZZNS1_14partition_implILS5_8ELb0ES3_jPlPS6_PKS6_NS0_5tupleIJS9_S6_EEENSD_IJSA_SA_EEENS0_18inequality_wrapperIZN2at6native12_GLOBAL__N_124unique_dim_cuda_templateIsEESt5tupleIJNSH_6TensorESM_SM_EERKSM_lbbbEUlllE0_EEPmJS6_EEE10hipError_tPvRmT3_T4_T5_T6_T7_T9_mT8_P12ihipStream_tbDpT10_ENKUlT_T0_E_clISt17integral_constantIbLb0EES1C_EEDaS17_S18_EUlS17_E_NS1_11comp_targetILNS1_3genE8ELNS1_11target_archE1030ELNS1_3gpuE2ELNS1_3repE0EEENS1_30default_config_static_selectorELNS0_4arch9wavefront6targetE1EEEvT1_,comdat
.Lfunc_end692:
	.size	_ZN7rocprim17ROCPRIM_400000_NS6detail17trampoline_kernelINS0_14default_configENS1_25partition_config_selectorILNS1_17partition_subalgoE8ElNS0_10empty_typeEbEEZZNS1_14partition_implILS5_8ELb0ES3_jPlPS6_PKS6_NS0_5tupleIJS9_S6_EEENSD_IJSA_SA_EEENS0_18inequality_wrapperIZN2at6native12_GLOBAL__N_124unique_dim_cuda_templateIsEESt5tupleIJNSH_6TensorESM_SM_EERKSM_lbbbEUlllE0_EEPmJS6_EEE10hipError_tPvRmT3_T4_T5_T6_T7_T9_mT8_P12ihipStream_tbDpT10_ENKUlT_T0_E_clISt17integral_constantIbLb0EES1C_EEDaS17_S18_EUlS17_E_NS1_11comp_targetILNS1_3genE8ELNS1_11target_archE1030ELNS1_3gpuE2ELNS1_3repE0EEENS1_30default_config_static_selectorELNS0_4arch9wavefront6targetE1EEEvT1_, .Lfunc_end692-_ZN7rocprim17ROCPRIM_400000_NS6detail17trampoline_kernelINS0_14default_configENS1_25partition_config_selectorILNS1_17partition_subalgoE8ElNS0_10empty_typeEbEEZZNS1_14partition_implILS5_8ELb0ES3_jPlPS6_PKS6_NS0_5tupleIJS9_S6_EEENSD_IJSA_SA_EEENS0_18inequality_wrapperIZN2at6native12_GLOBAL__N_124unique_dim_cuda_templateIsEESt5tupleIJNSH_6TensorESM_SM_EERKSM_lbbbEUlllE0_EEPmJS6_EEE10hipError_tPvRmT3_T4_T5_T6_T7_T9_mT8_P12ihipStream_tbDpT10_ENKUlT_T0_E_clISt17integral_constantIbLb0EES1C_EEDaS17_S18_EUlS17_E_NS1_11comp_targetILNS1_3genE8ELNS1_11target_archE1030ELNS1_3gpuE2ELNS1_3repE0EEENS1_30default_config_static_selectorELNS0_4arch9wavefront6targetE1EEEvT1_
                                        ; -- End function
	.section	.AMDGPU.csdata,"",@progbits
; Kernel info:
; codeLenInByte = 0
; NumSgprs: 4
; NumVgprs: 0
; NumAgprs: 0
; TotalNumVgprs: 0
; ScratchSize: 0
; MemoryBound: 0
; FloatMode: 240
; IeeeMode: 1
; LDSByteSize: 0 bytes/workgroup (compile time only)
; SGPRBlocks: 0
; VGPRBlocks: 0
; NumSGPRsForWavesPerEU: 4
; NumVGPRsForWavesPerEU: 1
; AccumOffset: 4
; Occupancy: 8
; WaveLimiterHint : 0
; COMPUTE_PGM_RSRC2:SCRATCH_EN: 0
; COMPUTE_PGM_RSRC2:USER_SGPR: 6
; COMPUTE_PGM_RSRC2:TRAP_HANDLER: 0
; COMPUTE_PGM_RSRC2:TGID_X_EN: 1
; COMPUTE_PGM_RSRC2:TGID_Y_EN: 0
; COMPUTE_PGM_RSRC2:TGID_Z_EN: 0
; COMPUTE_PGM_RSRC2:TIDIG_COMP_CNT: 0
; COMPUTE_PGM_RSRC3_GFX90A:ACCUM_OFFSET: 0
; COMPUTE_PGM_RSRC3_GFX90A:TG_SPLIT: 0
	.section	.text._ZN7rocprim17ROCPRIM_400000_NS6detail17trampoline_kernelINS0_14default_configENS1_25partition_config_selectorILNS1_17partition_subalgoE8ElNS0_10empty_typeEbEEZZNS1_14partition_implILS5_8ELb0ES3_jPlPS6_PKS6_NS0_5tupleIJS9_S6_EEENSD_IJSA_SA_EEENS0_18inequality_wrapperIZN2at6native12_GLOBAL__N_124unique_dim_cuda_templateIsEESt5tupleIJNSH_6TensorESM_SM_EERKSM_lbbbEUlllE0_EEPmJS6_EEE10hipError_tPvRmT3_T4_T5_T6_T7_T9_mT8_P12ihipStream_tbDpT10_ENKUlT_T0_E_clISt17integral_constantIbLb1EES1C_EEDaS17_S18_EUlS17_E_NS1_11comp_targetILNS1_3genE0ELNS1_11target_archE4294967295ELNS1_3gpuE0ELNS1_3repE0EEENS1_30default_config_static_selectorELNS0_4arch9wavefront6targetE1EEEvT1_,"axG",@progbits,_ZN7rocprim17ROCPRIM_400000_NS6detail17trampoline_kernelINS0_14default_configENS1_25partition_config_selectorILNS1_17partition_subalgoE8ElNS0_10empty_typeEbEEZZNS1_14partition_implILS5_8ELb0ES3_jPlPS6_PKS6_NS0_5tupleIJS9_S6_EEENSD_IJSA_SA_EEENS0_18inequality_wrapperIZN2at6native12_GLOBAL__N_124unique_dim_cuda_templateIsEESt5tupleIJNSH_6TensorESM_SM_EERKSM_lbbbEUlllE0_EEPmJS6_EEE10hipError_tPvRmT3_T4_T5_T6_T7_T9_mT8_P12ihipStream_tbDpT10_ENKUlT_T0_E_clISt17integral_constantIbLb1EES1C_EEDaS17_S18_EUlS17_E_NS1_11comp_targetILNS1_3genE0ELNS1_11target_archE4294967295ELNS1_3gpuE0ELNS1_3repE0EEENS1_30default_config_static_selectorELNS0_4arch9wavefront6targetE1EEEvT1_,comdat
	.globl	_ZN7rocprim17ROCPRIM_400000_NS6detail17trampoline_kernelINS0_14default_configENS1_25partition_config_selectorILNS1_17partition_subalgoE8ElNS0_10empty_typeEbEEZZNS1_14partition_implILS5_8ELb0ES3_jPlPS6_PKS6_NS0_5tupleIJS9_S6_EEENSD_IJSA_SA_EEENS0_18inequality_wrapperIZN2at6native12_GLOBAL__N_124unique_dim_cuda_templateIsEESt5tupleIJNSH_6TensorESM_SM_EERKSM_lbbbEUlllE0_EEPmJS6_EEE10hipError_tPvRmT3_T4_T5_T6_T7_T9_mT8_P12ihipStream_tbDpT10_ENKUlT_T0_E_clISt17integral_constantIbLb1EES1C_EEDaS17_S18_EUlS17_E_NS1_11comp_targetILNS1_3genE0ELNS1_11target_archE4294967295ELNS1_3gpuE0ELNS1_3repE0EEENS1_30default_config_static_selectorELNS0_4arch9wavefront6targetE1EEEvT1_ ; -- Begin function _ZN7rocprim17ROCPRIM_400000_NS6detail17trampoline_kernelINS0_14default_configENS1_25partition_config_selectorILNS1_17partition_subalgoE8ElNS0_10empty_typeEbEEZZNS1_14partition_implILS5_8ELb0ES3_jPlPS6_PKS6_NS0_5tupleIJS9_S6_EEENSD_IJSA_SA_EEENS0_18inequality_wrapperIZN2at6native12_GLOBAL__N_124unique_dim_cuda_templateIsEESt5tupleIJNSH_6TensorESM_SM_EERKSM_lbbbEUlllE0_EEPmJS6_EEE10hipError_tPvRmT3_T4_T5_T6_T7_T9_mT8_P12ihipStream_tbDpT10_ENKUlT_T0_E_clISt17integral_constantIbLb1EES1C_EEDaS17_S18_EUlS17_E_NS1_11comp_targetILNS1_3genE0ELNS1_11target_archE4294967295ELNS1_3gpuE0ELNS1_3repE0EEENS1_30default_config_static_selectorELNS0_4arch9wavefront6targetE1EEEvT1_
	.p2align	8
	.type	_ZN7rocprim17ROCPRIM_400000_NS6detail17trampoline_kernelINS0_14default_configENS1_25partition_config_selectorILNS1_17partition_subalgoE8ElNS0_10empty_typeEbEEZZNS1_14partition_implILS5_8ELb0ES3_jPlPS6_PKS6_NS0_5tupleIJS9_S6_EEENSD_IJSA_SA_EEENS0_18inequality_wrapperIZN2at6native12_GLOBAL__N_124unique_dim_cuda_templateIsEESt5tupleIJNSH_6TensorESM_SM_EERKSM_lbbbEUlllE0_EEPmJS6_EEE10hipError_tPvRmT3_T4_T5_T6_T7_T9_mT8_P12ihipStream_tbDpT10_ENKUlT_T0_E_clISt17integral_constantIbLb1EES1C_EEDaS17_S18_EUlS17_E_NS1_11comp_targetILNS1_3genE0ELNS1_11target_archE4294967295ELNS1_3gpuE0ELNS1_3repE0EEENS1_30default_config_static_selectorELNS0_4arch9wavefront6targetE1EEEvT1_,@function
_ZN7rocprim17ROCPRIM_400000_NS6detail17trampoline_kernelINS0_14default_configENS1_25partition_config_selectorILNS1_17partition_subalgoE8ElNS0_10empty_typeEbEEZZNS1_14partition_implILS5_8ELb0ES3_jPlPS6_PKS6_NS0_5tupleIJS9_S6_EEENSD_IJSA_SA_EEENS0_18inequality_wrapperIZN2at6native12_GLOBAL__N_124unique_dim_cuda_templateIsEESt5tupleIJNSH_6TensorESM_SM_EERKSM_lbbbEUlllE0_EEPmJS6_EEE10hipError_tPvRmT3_T4_T5_T6_T7_T9_mT8_P12ihipStream_tbDpT10_ENKUlT_T0_E_clISt17integral_constantIbLb1EES1C_EEDaS17_S18_EUlS17_E_NS1_11comp_targetILNS1_3genE0ELNS1_11target_archE4294967295ELNS1_3gpuE0ELNS1_3repE0EEENS1_30default_config_static_selectorELNS0_4arch9wavefront6targetE1EEEvT1_: ; @_ZN7rocprim17ROCPRIM_400000_NS6detail17trampoline_kernelINS0_14default_configENS1_25partition_config_selectorILNS1_17partition_subalgoE8ElNS0_10empty_typeEbEEZZNS1_14partition_implILS5_8ELb0ES3_jPlPS6_PKS6_NS0_5tupleIJS9_S6_EEENSD_IJSA_SA_EEENS0_18inequality_wrapperIZN2at6native12_GLOBAL__N_124unique_dim_cuda_templateIsEESt5tupleIJNSH_6TensorESM_SM_EERKSM_lbbbEUlllE0_EEPmJS6_EEE10hipError_tPvRmT3_T4_T5_T6_T7_T9_mT8_P12ihipStream_tbDpT10_ENKUlT_T0_E_clISt17integral_constantIbLb1EES1C_EEDaS17_S18_EUlS17_E_NS1_11comp_targetILNS1_3genE0ELNS1_11target_archE4294967295ELNS1_3gpuE0ELNS1_3repE0EEENS1_30default_config_static_selectorELNS0_4arch9wavefront6targetE1EEEvT1_
; %bb.0:
	.section	.rodata,"a",@progbits
	.p2align	6, 0x0
	.amdhsa_kernel _ZN7rocprim17ROCPRIM_400000_NS6detail17trampoline_kernelINS0_14default_configENS1_25partition_config_selectorILNS1_17partition_subalgoE8ElNS0_10empty_typeEbEEZZNS1_14partition_implILS5_8ELb0ES3_jPlPS6_PKS6_NS0_5tupleIJS9_S6_EEENSD_IJSA_SA_EEENS0_18inequality_wrapperIZN2at6native12_GLOBAL__N_124unique_dim_cuda_templateIsEESt5tupleIJNSH_6TensorESM_SM_EERKSM_lbbbEUlllE0_EEPmJS6_EEE10hipError_tPvRmT3_T4_T5_T6_T7_T9_mT8_P12ihipStream_tbDpT10_ENKUlT_T0_E_clISt17integral_constantIbLb1EES1C_EEDaS17_S18_EUlS17_E_NS1_11comp_targetILNS1_3genE0ELNS1_11target_archE4294967295ELNS1_3gpuE0ELNS1_3repE0EEENS1_30default_config_static_selectorELNS0_4arch9wavefront6targetE1EEEvT1_
		.amdhsa_group_segment_fixed_size 0
		.amdhsa_private_segment_fixed_size 0
		.amdhsa_kernarg_size 136
		.amdhsa_user_sgpr_count 6
		.amdhsa_user_sgpr_private_segment_buffer 1
		.amdhsa_user_sgpr_dispatch_ptr 0
		.amdhsa_user_sgpr_queue_ptr 0
		.amdhsa_user_sgpr_kernarg_segment_ptr 1
		.amdhsa_user_sgpr_dispatch_id 0
		.amdhsa_user_sgpr_flat_scratch_init 0
		.amdhsa_user_sgpr_kernarg_preload_length 0
		.amdhsa_user_sgpr_kernarg_preload_offset 0
		.amdhsa_user_sgpr_private_segment_size 0
		.amdhsa_uses_dynamic_stack 0
		.amdhsa_system_sgpr_private_segment_wavefront_offset 0
		.amdhsa_system_sgpr_workgroup_id_x 1
		.amdhsa_system_sgpr_workgroup_id_y 0
		.amdhsa_system_sgpr_workgroup_id_z 0
		.amdhsa_system_sgpr_workgroup_info 0
		.amdhsa_system_vgpr_workitem_id 0
		.amdhsa_next_free_vgpr 1
		.amdhsa_next_free_sgpr 0
		.amdhsa_accum_offset 4
		.amdhsa_reserve_vcc 0
		.amdhsa_reserve_flat_scratch 0
		.amdhsa_float_round_mode_32 0
		.amdhsa_float_round_mode_16_64 0
		.amdhsa_float_denorm_mode_32 3
		.amdhsa_float_denorm_mode_16_64 3
		.amdhsa_dx10_clamp 1
		.amdhsa_ieee_mode 1
		.amdhsa_fp16_overflow 0
		.amdhsa_tg_split 0
		.amdhsa_exception_fp_ieee_invalid_op 0
		.amdhsa_exception_fp_denorm_src 0
		.amdhsa_exception_fp_ieee_div_zero 0
		.amdhsa_exception_fp_ieee_overflow 0
		.amdhsa_exception_fp_ieee_underflow 0
		.amdhsa_exception_fp_ieee_inexact 0
		.amdhsa_exception_int_div_zero 0
	.end_amdhsa_kernel
	.section	.text._ZN7rocprim17ROCPRIM_400000_NS6detail17trampoline_kernelINS0_14default_configENS1_25partition_config_selectorILNS1_17partition_subalgoE8ElNS0_10empty_typeEbEEZZNS1_14partition_implILS5_8ELb0ES3_jPlPS6_PKS6_NS0_5tupleIJS9_S6_EEENSD_IJSA_SA_EEENS0_18inequality_wrapperIZN2at6native12_GLOBAL__N_124unique_dim_cuda_templateIsEESt5tupleIJNSH_6TensorESM_SM_EERKSM_lbbbEUlllE0_EEPmJS6_EEE10hipError_tPvRmT3_T4_T5_T6_T7_T9_mT8_P12ihipStream_tbDpT10_ENKUlT_T0_E_clISt17integral_constantIbLb1EES1C_EEDaS17_S18_EUlS17_E_NS1_11comp_targetILNS1_3genE0ELNS1_11target_archE4294967295ELNS1_3gpuE0ELNS1_3repE0EEENS1_30default_config_static_selectorELNS0_4arch9wavefront6targetE1EEEvT1_,"axG",@progbits,_ZN7rocprim17ROCPRIM_400000_NS6detail17trampoline_kernelINS0_14default_configENS1_25partition_config_selectorILNS1_17partition_subalgoE8ElNS0_10empty_typeEbEEZZNS1_14partition_implILS5_8ELb0ES3_jPlPS6_PKS6_NS0_5tupleIJS9_S6_EEENSD_IJSA_SA_EEENS0_18inequality_wrapperIZN2at6native12_GLOBAL__N_124unique_dim_cuda_templateIsEESt5tupleIJNSH_6TensorESM_SM_EERKSM_lbbbEUlllE0_EEPmJS6_EEE10hipError_tPvRmT3_T4_T5_T6_T7_T9_mT8_P12ihipStream_tbDpT10_ENKUlT_T0_E_clISt17integral_constantIbLb1EES1C_EEDaS17_S18_EUlS17_E_NS1_11comp_targetILNS1_3genE0ELNS1_11target_archE4294967295ELNS1_3gpuE0ELNS1_3repE0EEENS1_30default_config_static_selectorELNS0_4arch9wavefront6targetE1EEEvT1_,comdat
.Lfunc_end693:
	.size	_ZN7rocprim17ROCPRIM_400000_NS6detail17trampoline_kernelINS0_14default_configENS1_25partition_config_selectorILNS1_17partition_subalgoE8ElNS0_10empty_typeEbEEZZNS1_14partition_implILS5_8ELb0ES3_jPlPS6_PKS6_NS0_5tupleIJS9_S6_EEENSD_IJSA_SA_EEENS0_18inequality_wrapperIZN2at6native12_GLOBAL__N_124unique_dim_cuda_templateIsEESt5tupleIJNSH_6TensorESM_SM_EERKSM_lbbbEUlllE0_EEPmJS6_EEE10hipError_tPvRmT3_T4_T5_T6_T7_T9_mT8_P12ihipStream_tbDpT10_ENKUlT_T0_E_clISt17integral_constantIbLb1EES1C_EEDaS17_S18_EUlS17_E_NS1_11comp_targetILNS1_3genE0ELNS1_11target_archE4294967295ELNS1_3gpuE0ELNS1_3repE0EEENS1_30default_config_static_selectorELNS0_4arch9wavefront6targetE1EEEvT1_, .Lfunc_end693-_ZN7rocprim17ROCPRIM_400000_NS6detail17trampoline_kernelINS0_14default_configENS1_25partition_config_selectorILNS1_17partition_subalgoE8ElNS0_10empty_typeEbEEZZNS1_14partition_implILS5_8ELb0ES3_jPlPS6_PKS6_NS0_5tupleIJS9_S6_EEENSD_IJSA_SA_EEENS0_18inequality_wrapperIZN2at6native12_GLOBAL__N_124unique_dim_cuda_templateIsEESt5tupleIJNSH_6TensorESM_SM_EERKSM_lbbbEUlllE0_EEPmJS6_EEE10hipError_tPvRmT3_T4_T5_T6_T7_T9_mT8_P12ihipStream_tbDpT10_ENKUlT_T0_E_clISt17integral_constantIbLb1EES1C_EEDaS17_S18_EUlS17_E_NS1_11comp_targetILNS1_3genE0ELNS1_11target_archE4294967295ELNS1_3gpuE0ELNS1_3repE0EEENS1_30default_config_static_selectorELNS0_4arch9wavefront6targetE1EEEvT1_
                                        ; -- End function
	.section	.AMDGPU.csdata,"",@progbits
; Kernel info:
; codeLenInByte = 0
; NumSgprs: 4
; NumVgprs: 0
; NumAgprs: 0
; TotalNumVgprs: 0
; ScratchSize: 0
; MemoryBound: 0
; FloatMode: 240
; IeeeMode: 1
; LDSByteSize: 0 bytes/workgroup (compile time only)
; SGPRBlocks: 0
; VGPRBlocks: 0
; NumSGPRsForWavesPerEU: 4
; NumVGPRsForWavesPerEU: 1
; AccumOffset: 4
; Occupancy: 8
; WaveLimiterHint : 0
; COMPUTE_PGM_RSRC2:SCRATCH_EN: 0
; COMPUTE_PGM_RSRC2:USER_SGPR: 6
; COMPUTE_PGM_RSRC2:TRAP_HANDLER: 0
; COMPUTE_PGM_RSRC2:TGID_X_EN: 1
; COMPUTE_PGM_RSRC2:TGID_Y_EN: 0
; COMPUTE_PGM_RSRC2:TGID_Z_EN: 0
; COMPUTE_PGM_RSRC2:TIDIG_COMP_CNT: 0
; COMPUTE_PGM_RSRC3_GFX90A:ACCUM_OFFSET: 0
; COMPUTE_PGM_RSRC3_GFX90A:TG_SPLIT: 0
	.section	.text._ZN7rocprim17ROCPRIM_400000_NS6detail17trampoline_kernelINS0_14default_configENS1_25partition_config_selectorILNS1_17partition_subalgoE8ElNS0_10empty_typeEbEEZZNS1_14partition_implILS5_8ELb0ES3_jPlPS6_PKS6_NS0_5tupleIJS9_S6_EEENSD_IJSA_SA_EEENS0_18inequality_wrapperIZN2at6native12_GLOBAL__N_124unique_dim_cuda_templateIsEESt5tupleIJNSH_6TensorESM_SM_EERKSM_lbbbEUlllE0_EEPmJS6_EEE10hipError_tPvRmT3_T4_T5_T6_T7_T9_mT8_P12ihipStream_tbDpT10_ENKUlT_T0_E_clISt17integral_constantIbLb1EES1C_EEDaS17_S18_EUlS17_E_NS1_11comp_targetILNS1_3genE5ELNS1_11target_archE942ELNS1_3gpuE9ELNS1_3repE0EEENS1_30default_config_static_selectorELNS0_4arch9wavefront6targetE1EEEvT1_,"axG",@progbits,_ZN7rocprim17ROCPRIM_400000_NS6detail17trampoline_kernelINS0_14default_configENS1_25partition_config_selectorILNS1_17partition_subalgoE8ElNS0_10empty_typeEbEEZZNS1_14partition_implILS5_8ELb0ES3_jPlPS6_PKS6_NS0_5tupleIJS9_S6_EEENSD_IJSA_SA_EEENS0_18inequality_wrapperIZN2at6native12_GLOBAL__N_124unique_dim_cuda_templateIsEESt5tupleIJNSH_6TensorESM_SM_EERKSM_lbbbEUlllE0_EEPmJS6_EEE10hipError_tPvRmT3_T4_T5_T6_T7_T9_mT8_P12ihipStream_tbDpT10_ENKUlT_T0_E_clISt17integral_constantIbLb1EES1C_EEDaS17_S18_EUlS17_E_NS1_11comp_targetILNS1_3genE5ELNS1_11target_archE942ELNS1_3gpuE9ELNS1_3repE0EEENS1_30default_config_static_selectorELNS0_4arch9wavefront6targetE1EEEvT1_,comdat
	.globl	_ZN7rocprim17ROCPRIM_400000_NS6detail17trampoline_kernelINS0_14default_configENS1_25partition_config_selectorILNS1_17partition_subalgoE8ElNS0_10empty_typeEbEEZZNS1_14partition_implILS5_8ELb0ES3_jPlPS6_PKS6_NS0_5tupleIJS9_S6_EEENSD_IJSA_SA_EEENS0_18inequality_wrapperIZN2at6native12_GLOBAL__N_124unique_dim_cuda_templateIsEESt5tupleIJNSH_6TensorESM_SM_EERKSM_lbbbEUlllE0_EEPmJS6_EEE10hipError_tPvRmT3_T4_T5_T6_T7_T9_mT8_P12ihipStream_tbDpT10_ENKUlT_T0_E_clISt17integral_constantIbLb1EES1C_EEDaS17_S18_EUlS17_E_NS1_11comp_targetILNS1_3genE5ELNS1_11target_archE942ELNS1_3gpuE9ELNS1_3repE0EEENS1_30default_config_static_selectorELNS0_4arch9wavefront6targetE1EEEvT1_ ; -- Begin function _ZN7rocprim17ROCPRIM_400000_NS6detail17trampoline_kernelINS0_14default_configENS1_25partition_config_selectorILNS1_17partition_subalgoE8ElNS0_10empty_typeEbEEZZNS1_14partition_implILS5_8ELb0ES3_jPlPS6_PKS6_NS0_5tupleIJS9_S6_EEENSD_IJSA_SA_EEENS0_18inequality_wrapperIZN2at6native12_GLOBAL__N_124unique_dim_cuda_templateIsEESt5tupleIJNSH_6TensorESM_SM_EERKSM_lbbbEUlllE0_EEPmJS6_EEE10hipError_tPvRmT3_T4_T5_T6_T7_T9_mT8_P12ihipStream_tbDpT10_ENKUlT_T0_E_clISt17integral_constantIbLb1EES1C_EEDaS17_S18_EUlS17_E_NS1_11comp_targetILNS1_3genE5ELNS1_11target_archE942ELNS1_3gpuE9ELNS1_3repE0EEENS1_30default_config_static_selectorELNS0_4arch9wavefront6targetE1EEEvT1_
	.p2align	8
	.type	_ZN7rocprim17ROCPRIM_400000_NS6detail17trampoline_kernelINS0_14default_configENS1_25partition_config_selectorILNS1_17partition_subalgoE8ElNS0_10empty_typeEbEEZZNS1_14partition_implILS5_8ELb0ES3_jPlPS6_PKS6_NS0_5tupleIJS9_S6_EEENSD_IJSA_SA_EEENS0_18inequality_wrapperIZN2at6native12_GLOBAL__N_124unique_dim_cuda_templateIsEESt5tupleIJNSH_6TensorESM_SM_EERKSM_lbbbEUlllE0_EEPmJS6_EEE10hipError_tPvRmT3_T4_T5_T6_T7_T9_mT8_P12ihipStream_tbDpT10_ENKUlT_T0_E_clISt17integral_constantIbLb1EES1C_EEDaS17_S18_EUlS17_E_NS1_11comp_targetILNS1_3genE5ELNS1_11target_archE942ELNS1_3gpuE9ELNS1_3repE0EEENS1_30default_config_static_selectorELNS0_4arch9wavefront6targetE1EEEvT1_,@function
_ZN7rocprim17ROCPRIM_400000_NS6detail17trampoline_kernelINS0_14default_configENS1_25partition_config_selectorILNS1_17partition_subalgoE8ElNS0_10empty_typeEbEEZZNS1_14partition_implILS5_8ELb0ES3_jPlPS6_PKS6_NS0_5tupleIJS9_S6_EEENSD_IJSA_SA_EEENS0_18inequality_wrapperIZN2at6native12_GLOBAL__N_124unique_dim_cuda_templateIsEESt5tupleIJNSH_6TensorESM_SM_EERKSM_lbbbEUlllE0_EEPmJS6_EEE10hipError_tPvRmT3_T4_T5_T6_T7_T9_mT8_P12ihipStream_tbDpT10_ENKUlT_T0_E_clISt17integral_constantIbLb1EES1C_EEDaS17_S18_EUlS17_E_NS1_11comp_targetILNS1_3genE5ELNS1_11target_archE942ELNS1_3gpuE9ELNS1_3repE0EEENS1_30default_config_static_selectorELNS0_4arch9wavefront6targetE1EEEvT1_: ; @_ZN7rocprim17ROCPRIM_400000_NS6detail17trampoline_kernelINS0_14default_configENS1_25partition_config_selectorILNS1_17partition_subalgoE8ElNS0_10empty_typeEbEEZZNS1_14partition_implILS5_8ELb0ES3_jPlPS6_PKS6_NS0_5tupleIJS9_S6_EEENSD_IJSA_SA_EEENS0_18inequality_wrapperIZN2at6native12_GLOBAL__N_124unique_dim_cuda_templateIsEESt5tupleIJNSH_6TensorESM_SM_EERKSM_lbbbEUlllE0_EEPmJS6_EEE10hipError_tPvRmT3_T4_T5_T6_T7_T9_mT8_P12ihipStream_tbDpT10_ENKUlT_T0_E_clISt17integral_constantIbLb1EES1C_EEDaS17_S18_EUlS17_E_NS1_11comp_targetILNS1_3genE5ELNS1_11target_archE942ELNS1_3gpuE9ELNS1_3repE0EEENS1_30default_config_static_selectorELNS0_4arch9wavefront6targetE1EEEvT1_
; %bb.0:
	.section	.rodata,"a",@progbits
	.p2align	6, 0x0
	.amdhsa_kernel _ZN7rocprim17ROCPRIM_400000_NS6detail17trampoline_kernelINS0_14default_configENS1_25partition_config_selectorILNS1_17partition_subalgoE8ElNS0_10empty_typeEbEEZZNS1_14partition_implILS5_8ELb0ES3_jPlPS6_PKS6_NS0_5tupleIJS9_S6_EEENSD_IJSA_SA_EEENS0_18inequality_wrapperIZN2at6native12_GLOBAL__N_124unique_dim_cuda_templateIsEESt5tupleIJNSH_6TensorESM_SM_EERKSM_lbbbEUlllE0_EEPmJS6_EEE10hipError_tPvRmT3_T4_T5_T6_T7_T9_mT8_P12ihipStream_tbDpT10_ENKUlT_T0_E_clISt17integral_constantIbLb1EES1C_EEDaS17_S18_EUlS17_E_NS1_11comp_targetILNS1_3genE5ELNS1_11target_archE942ELNS1_3gpuE9ELNS1_3repE0EEENS1_30default_config_static_selectorELNS0_4arch9wavefront6targetE1EEEvT1_
		.amdhsa_group_segment_fixed_size 0
		.amdhsa_private_segment_fixed_size 0
		.amdhsa_kernarg_size 136
		.amdhsa_user_sgpr_count 6
		.amdhsa_user_sgpr_private_segment_buffer 1
		.amdhsa_user_sgpr_dispatch_ptr 0
		.amdhsa_user_sgpr_queue_ptr 0
		.amdhsa_user_sgpr_kernarg_segment_ptr 1
		.amdhsa_user_sgpr_dispatch_id 0
		.amdhsa_user_sgpr_flat_scratch_init 0
		.amdhsa_user_sgpr_kernarg_preload_length 0
		.amdhsa_user_sgpr_kernarg_preload_offset 0
		.amdhsa_user_sgpr_private_segment_size 0
		.amdhsa_uses_dynamic_stack 0
		.amdhsa_system_sgpr_private_segment_wavefront_offset 0
		.amdhsa_system_sgpr_workgroup_id_x 1
		.amdhsa_system_sgpr_workgroup_id_y 0
		.amdhsa_system_sgpr_workgroup_id_z 0
		.amdhsa_system_sgpr_workgroup_info 0
		.amdhsa_system_vgpr_workitem_id 0
		.amdhsa_next_free_vgpr 1
		.amdhsa_next_free_sgpr 0
		.amdhsa_accum_offset 4
		.amdhsa_reserve_vcc 0
		.amdhsa_reserve_flat_scratch 0
		.amdhsa_float_round_mode_32 0
		.amdhsa_float_round_mode_16_64 0
		.amdhsa_float_denorm_mode_32 3
		.amdhsa_float_denorm_mode_16_64 3
		.amdhsa_dx10_clamp 1
		.amdhsa_ieee_mode 1
		.amdhsa_fp16_overflow 0
		.amdhsa_tg_split 0
		.amdhsa_exception_fp_ieee_invalid_op 0
		.amdhsa_exception_fp_denorm_src 0
		.amdhsa_exception_fp_ieee_div_zero 0
		.amdhsa_exception_fp_ieee_overflow 0
		.amdhsa_exception_fp_ieee_underflow 0
		.amdhsa_exception_fp_ieee_inexact 0
		.amdhsa_exception_int_div_zero 0
	.end_amdhsa_kernel
	.section	.text._ZN7rocprim17ROCPRIM_400000_NS6detail17trampoline_kernelINS0_14default_configENS1_25partition_config_selectorILNS1_17partition_subalgoE8ElNS0_10empty_typeEbEEZZNS1_14partition_implILS5_8ELb0ES3_jPlPS6_PKS6_NS0_5tupleIJS9_S6_EEENSD_IJSA_SA_EEENS0_18inequality_wrapperIZN2at6native12_GLOBAL__N_124unique_dim_cuda_templateIsEESt5tupleIJNSH_6TensorESM_SM_EERKSM_lbbbEUlllE0_EEPmJS6_EEE10hipError_tPvRmT3_T4_T5_T6_T7_T9_mT8_P12ihipStream_tbDpT10_ENKUlT_T0_E_clISt17integral_constantIbLb1EES1C_EEDaS17_S18_EUlS17_E_NS1_11comp_targetILNS1_3genE5ELNS1_11target_archE942ELNS1_3gpuE9ELNS1_3repE0EEENS1_30default_config_static_selectorELNS0_4arch9wavefront6targetE1EEEvT1_,"axG",@progbits,_ZN7rocprim17ROCPRIM_400000_NS6detail17trampoline_kernelINS0_14default_configENS1_25partition_config_selectorILNS1_17partition_subalgoE8ElNS0_10empty_typeEbEEZZNS1_14partition_implILS5_8ELb0ES3_jPlPS6_PKS6_NS0_5tupleIJS9_S6_EEENSD_IJSA_SA_EEENS0_18inequality_wrapperIZN2at6native12_GLOBAL__N_124unique_dim_cuda_templateIsEESt5tupleIJNSH_6TensorESM_SM_EERKSM_lbbbEUlllE0_EEPmJS6_EEE10hipError_tPvRmT3_T4_T5_T6_T7_T9_mT8_P12ihipStream_tbDpT10_ENKUlT_T0_E_clISt17integral_constantIbLb1EES1C_EEDaS17_S18_EUlS17_E_NS1_11comp_targetILNS1_3genE5ELNS1_11target_archE942ELNS1_3gpuE9ELNS1_3repE0EEENS1_30default_config_static_selectorELNS0_4arch9wavefront6targetE1EEEvT1_,comdat
.Lfunc_end694:
	.size	_ZN7rocprim17ROCPRIM_400000_NS6detail17trampoline_kernelINS0_14default_configENS1_25partition_config_selectorILNS1_17partition_subalgoE8ElNS0_10empty_typeEbEEZZNS1_14partition_implILS5_8ELb0ES3_jPlPS6_PKS6_NS0_5tupleIJS9_S6_EEENSD_IJSA_SA_EEENS0_18inequality_wrapperIZN2at6native12_GLOBAL__N_124unique_dim_cuda_templateIsEESt5tupleIJNSH_6TensorESM_SM_EERKSM_lbbbEUlllE0_EEPmJS6_EEE10hipError_tPvRmT3_T4_T5_T6_T7_T9_mT8_P12ihipStream_tbDpT10_ENKUlT_T0_E_clISt17integral_constantIbLb1EES1C_EEDaS17_S18_EUlS17_E_NS1_11comp_targetILNS1_3genE5ELNS1_11target_archE942ELNS1_3gpuE9ELNS1_3repE0EEENS1_30default_config_static_selectorELNS0_4arch9wavefront6targetE1EEEvT1_, .Lfunc_end694-_ZN7rocprim17ROCPRIM_400000_NS6detail17trampoline_kernelINS0_14default_configENS1_25partition_config_selectorILNS1_17partition_subalgoE8ElNS0_10empty_typeEbEEZZNS1_14partition_implILS5_8ELb0ES3_jPlPS6_PKS6_NS0_5tupleIJS9_S6_EEENSD_IJSA_SA_EEENS0_18inequality_wrapperIZN2at6native12_GLOBAL__N_124unique_dim_cuda_templateIsEESt5tupleIJNSH_6TensorESM_SM_EERKSM_lbbbEUlllE0_EEPmJS6_EEE10hipError_tPvRmT3_T4_T5_T6_T7_T9_mT8_P12ihipStream_tbDpT10_ENKUlT_T0_E_clISt17integral_constantIbLb1EES1C_EEDaS17_S18_EUlS17_E_NS1_11comp_targetILNS1_3genE5ELNS1_11target_archE942ELNS1_3gpuE9ELNS1_3repE0EEENS1_30default_config_static_selectorELNS0_4arch9wavefront6targetE1EEEvT1_
                                        ; -- End function
	.section	.AMDGPU.csdata,"",@progbits
; Kernel info:
; codeLenInByte = 0
; NumSgprs: 4
; NumVgprs: 0
; NumAgprs: 0
; TotalNumVgprs: 0
; ScratchSize: 0
; MemoryBound: 0
; FloatMode: 240
; IeeeMode: 1
; LDSByteSize: 0 bytes/workgroup (compile time only)
; SGPRBlocks: 0
; VGPRBlocks: 0
; NumSGPRsForWavesPerEU: 4
; NumVGPRsForWavesPerEU: 1
; AccumOffset: 4
; Occupancy: 8
; WaveLimiterHint : 0
; COMPUTE_PGM_RSRC2:SCRATCH_EN: 0
; COMPUTE_PGM_RSRC2:USER_SGPR: 6
; COMPUTE_PGM_RSRC2:TRAP_HANDLER: 0
; COMPUTE_PGM_RSRC2:TGID_X_EN: 1
; COMPUTE_PGM_RSRC2:TGID_Y_EN: 0
; COMPUTE_PGM_RSRC2:TGID_Z_EN: 0
; COMPUTE_PGM_RSRC2:TIDIG_COMP_CNT: 0
; COMPUTE_PGM_RSRC3_GFX90A:ACCUM_OFFSET: 0
; COMPUTE_PGM_RSRC3_GFX90A:TG_SPLIT: 0
	.section	.text._ZN7rocprim17ROCPRIM_400000_NS6detail17trampoline_kernelINS0_14default_configENS1_25partition_config_selectorILNS1_17partition_subalgoE8ElNS0_10empty_typeEbEEZZNS1_14partition_implILS5_8ELb0ES3_jPlPS6_PKS6_NS0_5tupleIJS9_S6_EEENSD_IJSA_SA_EEENS0_18inequality_wrapperIZN2at6native12_GLOBAL__N_124unique_dim_cuda_templateIsEESt5tupleIJNSH_6TensorESM_SM_EERKSM_lbbbEUlllE0_EEPmJS6_EEE10hipError_tPvRmT3_T4_T5_T6_T7_T9_mT8_P12ihipStream_tbDpT10_ENKUlT_T0_E_clISt17integral_constantIbLb1EES1C_EEDaS17_S18_EUlS17_E_NS1_11comp_targetILNS1_3genE4ELNS1_11target_archE910ELNS1_3gpuE8ELNS1_3repE0EEENS1_30default_config_static_selectorELNS0_4arch9wavefront6targetE1EEEvT1_,"axG",@progbits,_ZN7rocprim17ROCPRIM_400000_NS6detail17trampoline_kernelINS0_14default_configENS1_25partition_config_selectorILNS1_17partition_subalgoE8ElNS0_10empty_typeEbEEZZNS1_14partition_implILS5_8ELb0ES3_jPlPS6_PKS6_NS0_5tupleIJS9_S6_EEENSD_IJSA_SA_EEENS0_18inequality_wrapperIZN2at6native12_GLOBAL__N_124unique_dim_cuda_templateIsEESt5tupleIJNSH_6TensorESM_SM_EERKSM_lbbbEUlllE0_EEPmJS6_EEE10hipError_tPvRmT3_T4_T5_T6_T7_T9_mT8_P12ihipStream_tbDpT10_ENKUlT_T0_E_clISt17integral_constantIbLb1EES1C_EEDaS17_S18_EUlS17_E_NS1_11comp_targetILNS1_3genE4ELNS1_11target_archE910ELNS1_3gpuE8ELNS1_3repE0EEENS1_30default_config_static_selectorELNS0_4arch9wavefront6targetE1EEEvT1_,comdat
	.globl	_ZN7rocprim17ROCPRIM_400000_NS6detail17trampoline_kernelINS0_14default_configENS1_25partition_config_selectorILNS1_17partition_subalgoE8ElNS0_10empty_typeEbEEZZNS1_14partition_implILS5_8ELb0ES3_jPlPS6_PKS6_NS0_5tupleIJS9_S6_EEENSD_IJSA_SA_EEENS0_18inequality_wrapperIZN2at6native12_GLOBAL__N_124unique_dim_cuda_templateIsEESt5tupleIJNSH_6TensorESM_SM_EERKSM_lbbbEUlllE0_EEPmJS6_EEE10hipError_tPvRmT3_T4_T5_T6_T7_T9_mT8_P12ihipStream_tbDpT10_ENKUlT_T0_E_clISt17integral_constantIbLb1EES1C_EEDaS17_S18_EUlS17_E_NS1_11comp_targetILNS1_3genE4ELNS1_11target_archE910ELNS1_3gpuE8ELNS1_3repE0EEENS1_30default_config_static_selectorELNS0_4arch9wavefront6targetE1EEEvT1_ ; -- Begin function _ZN7rocprim17ROCPRIM_400000_NS6detail17trampoline_kernelINS0_14default_configENS1_25partition_config_selectorILNS1_17partition_subalgoE8ElNS0_10empty_typeEbEEZZNS1_14partition_implILS5_8ELb0ES3_jPlPS6_PKS6_NS0_5tupleIJS9_S6_EEENSD_IJSA_SA_EEENS0_18inequality_wrapperIZN2at6native12_GLOBAL__N_124unique_dim_cuda_templateIsEESt5tupleIJNSH_6TensorESM_SM_EERKSM_lbbbEUlllE0_EEPmJS6_EEE10hipError_tPvRmT3_T4_T5_T6_T7_T9_mT8_P12ihipStream_tbDpT10_ENKUlT_T0_E_clISt17integral_constantIbLb1EES1C_EEDaS17_S18_EUlS17_E_NS1_11comp_targetILNS1_3genE4ELNS1_11target_archE910ELNS1_3gpuE8ELNS1_3repE0EEENS1_30default_config_static_selectorELNS0_4arch9wavefront6targetE1EEEvT1_
	.p2align	8
	.type	_ZN7rocprim17ROCPRIM_400000_NS6detail17trampoline_kernelINS0_14default_configENS1_25partition_config_selectorILNS1_17partition_subalgoE8ElNS0_10empty_typeEbEEZZNS1_14partition_implILS5_8ELb0ES3_jPlPS6_PKS6_NS0_5tupleIJS9_S6_EEENSD_IJSA_SA_EEENS0_18inequality_wrapperIZN2at6native12_GLOBAL__N_124unique_dim_cuda_templateIsEESt5tupleIJNSH_6TensorESM_SM_EERKSM_lbbbEUlllE0_EEPmJS6_EEE10hipError_tPvRmT3_T4_T5_T6_T7_T9_mT8_P12ihipStream_tbDpT10_ENKUlT_T0_E_clISt17integral_constantIbLb1EES1C_EEDaS17_S18_EUlS17_E_NS1_11comp_targetILNS1_3genE4ELNS1_11target_archE910ELNS1_3gpuE8ELNS1_3repE0EEENS1_30default_config_static_selectorELNS0_4arch9wavefront6targetE1EEEvT1_,@function
_ZN7rocprim17ROCPRIM_400000_NS6detail17trampoline_kernelINS0_14default_configENS1_25partition_config_selectorILNS1_17partition_subalgoE8ElNS0_10empty_typeEbEEZZNS1_14partition_implILS5_8ELb0ES3_jPlPS6_PKS6_NS0_5tupleIJS9_S6_EEENSD_IJSA_SA_EEENS0_18inequality_wrapperIZN2at6native12_GLOBAL__N_124unique_dim_cuda_templateIsEESt5tupleIJNSH_6TensorESM_SM_EERKSM_lbbbEUlllE0_EEPmJS6_EEE10hipError_tPvRmT3_T4_T5_T6_T7_T9_mT8_P12ihipStream_tbDpT10_ENKUlT_T0_E_clISt17integral_constantIbLb1EES1C_EEDaS17_S18_EUlS17_E_NS1_11comp_targetILNS1_3genE4ELNS1_11target_archE910ELNS1_3gpuE8ELNS1_3repE0EEENS1_30default_config_static_selectorELNS0_4arch9wavefront6targetE1EEEvT1_: ; @_ZN7rocprim17ROCPRIM_400000_NS6detail17trampoline_kernelINS0_14default_configENS1_25partition_config_selectorILNS1_17partition_subalgoE8ElNS0_10empty_typeEbEEZZNS1_14partition_implILS5_8ELb0ES3_jPlPS6_PKS6_NS0_5tupleIJS9_S6_EEENSD_IJSA_SA_EEENS0_18inequality_wrapperIZN2at6native12_GLOBAL__N_124unique_dim_cuda_templateIsEESt5tupleIJNSH_6TensorESM_SM_EERKSM_lbbbEUlllE0_EEPmJS6_EEE10hipError_tPvRmT3_T4_T5_T6_T7_T9_mT8_P12ihipStream_tbDpT10_ENKUlT_T0_E_clISt17integral_constantIbLb1EES1C_EEDaS17_S18_EUlS17_E_NS1_11comp_targetILNS1_3genE4ELNS1_11target_archE910ELNS1_3gpuE8ELNS1_3repE0EEENS1_30default_config_static_selectorELNS0_4arch9wavefront6targetE1EEEvT1_
; %bb.0:
	s_load_dwordx2 s[28:29], s[4:5], 0x28
	s_load_dwordx8 s[20:27], s[4:5], 0x40
	s_load_dwordx4 s[16:19], s[4:5], 0x60
	v_cmp_ne_u32_e64 s[2:3], 0, v0
	v_cmp_eq_u32_e64 s[0:1], 0, v0
	s_and_saveexec_b64 s[6:7], s[0:1]
	s_cbranch_execz .LBB695_4
; %bb.1:
	s_mov_b64 s[10:11], exec
	v_mbcnt_lo_u32_b32 v1, s10, 0
	v_mbcnt_hi_u32_b32 v1, s11, v1
	v_cmp_eq_u32_e32 vcc, 0, v1
                                        ; implicit-def: $vgpr2
	s_and_saveexec_b64 s[8:9], vcc
	s_cbranch_execz .LBB695_3
; %bb.2:
	s_load_dwordx2 s[12:13], s[4:5], 0x78
	s_bcnt1_i32_b64 s10, s[10:11]
	v_mov_b32_e32 v2, 0
	v_mov_b32_e32 v3, s10
	s_waitcnt lgkmcnt(0)
	global_atomic_add v2, v2, v3, s[12:13] glc
.LBB695_3:
	s_or_b64 exec, exec, s[8:9]
	s_waitcnt vmcnt(0)
	v_readfirstlane_b32 s8, v2
	v_add_u32_e32 v1, s8, v1
	v_mov_b32_e32 v2, 0
	ds_write_b32 v2, v1
.LBB695_4:
	s_or_b64 exec, exec, s[6:7]
	v_mov_b32_e32 v3, 0
	s_load_dwordx4 s[8:11], s[4:5], 0x8
	s_load_dword s12, s[4:5], 0x70
	s_waitcnt lgkmcnt(0)
	s_barrier
	ds_read_b32 v1, v3
	s_waitcnt lgkmcnt(0)
	s_barrier
	global_load_dwordx2 v[4:5], v3, s[22:23]
	s_lshl_b64 s[4:5], s[10:11], 3
	s_mul_i32 s14, s12, 0x500
	s_add_u32 s8, s8, s4
	s_addc_u32 s4, s9, s5
	s_add_i32 s5, s14, s10
	s_add_i32 s12, s12, -1
	s_sub_i32 s48, s24, s5
	v_mov_b32_e32 v8, s4
	s_add_u32 s4, s10, s14
	s_addc_u32 s5, s11, 0
	v_readfirstlane_b32 s33, v1
	v_mov_b32_e32 v6, s24
	v_mov_b32_e32 v7, s25
	s_movk_i32 s13, 0x500
	s_cmp_eq_u32 s33, s12
	v_mul_lo_u32 v2, v1, s13
	v_cmp_ge_u64_e32 vcc, s[4:5], v[6:7]
	s_cselect_b64 s[24:25], -1, 0
	v_lshlrev_b64 v[2:3], 3, v[2:3]
	s_and_b64 s[12:13], vcc, s[24:25]
	v_add_co_u32_e64 v18, s[4:5], s8, v2
	s_xor_b64 s[30:31], s[12:13], -1
	s_mov_b64 s[6:7], -1
	v_addc_co_u32_e64 v19, s[4:5], v8, v3, s[4:5]
	s_and_b64 vcc, exec, s[30:31]
	s_waitcnt vmcnt(0)
	v_readfirstlane_b32 s22, v4
	v_readfirstlane_b32 s23, v5
	s_cbranch_vccz .LBB695_6
; %bb.5:
	v_lshlrev_b32_e32 v1, 3, v0
	v_add_co_u32_e32 v12, vcc, v18, v1
	v_addc_co_u32_e32 v13, vcc, 0, v19, vcc
	v_add_co_u32_e32 v2, vcc, 0x1000, v12
	v_readfirstlane_b32 s4, v18
	v_readfirstlane_b32 s5, v19
	v_addc_co_u32_e32 v3, vcc, 0, v13, vcc
	s_nop 3
	global_load_dwordx2 v[4:5], v1, s[4:5]
	global_load_dwordx2 v[6:7], v1, s[4:5] offset:2048
	global_load_dwordx2 v[8:9], v[2:3], off
	global_load_dwordx2 v[10:11], v[2:3], off offset:2048
	v_add_co_u32_e32 v2, vcc, 0x2000, v12
	v_addc_co_u32_e32 v3, vcc, 0, v13, vcc
	global_load_dwordx2 v[2:3], v[2:3], off
	s_mov_b64 s[6:7], 0
	s_waitcnt vmcnt(3)
	ds_write2st64_b64 v1, v[4:5], v[6:7] offset1:4
	s_waitcnt vmcnt(1)
	ds_write2st64_b64 v1, v[8:9], v[10:11] offset0:8 offset1:12
	s_waitcnt vmcnt(0)
	ds_write_b64 v1, v[2:3] offset:8192
	s_waitcnt lgkmcnt(0)
	s_barrier
.LBB695_6:
	s_andn2_b64 vcc, exec, s[6:7]
	s_addk_i32 s48, 0x500
	s_cbranch_vccnz .LBB695_18
; %bb.7:
	v_cmp_gt_u32_e32 vcc, s48, v0
                                        ; implicit-def: $vgpr2_vgpr3_vgpr4_vgpr5_vgpr6_vgpr7_vgpr8_vgpr9_vgpr10_vgpr11_vgpr12_vgpr13_vgpr14_vgpr15_vgpr16_vgpr17
	s_and_saveexec_b64 s[4:5], vcc
	s_cbranch_execz .LBB695_9
; %bb.8:
	v_lshlrev_b32_e32 v1, 3, v0
	v_readfirstlane_b32 s6, v18
	v_readfirstlane_b32 s7, v19
	s_nop 4
	global_load_dwordx2 v[2:3], v1, s[6:7]
.LBB695_9:
	s_or_b64 exec, exec, s[4:5]
	v_or_b32_e32 v1, 0x100, v0
	v_cmp_gt_u32_e32 vcc, s48, v1
	s_and_saveexec_b64 s[4:5], vcc
	s_cbranch_execz .LBB695_11
; %bb.10:
	v_lshlrev_b32_e32 v1, 3, v0
	v_readfirstlane_b32 s6, v18
	v_readfirstlane_b32 s7, v19
	s_nop 4
	global_load_dwordx2 v[4:5], v1, s[6:7] offset:2048
.LBB695_11:
	s_or_b64 exec, exec, s[4:5]
	v_or_b32_e32 v1, 0x200, v0
	v_cmp_gt_u32_e32 vcc, s48, v1
	s_and_saveexec_b64 s[4:5], vcc
	s_cbranch_execz .LBB695_13
; %bb.12:
	v_lshlrev_b32_e32 v1, 3, v1
	v_readfirstlane_b32 s6, v18
	v_readfirstlane_b32 s7, v19
	s_nop 4
	global_load_dwordx2 v[6:7], v1, s[6:7]
.LBB695_13:
	s_or_b64 exec, exec, s[4:5]
	v_or_b32_e32 v1, 0x300, v0
	v_cmp_gt_u32_e32 vcc, s48, v1
	s_and_saveexec_b64 s[4:5], vcc
	s_cbranch_execz .LBB695_15
; %bb.14:
	v_lshlrev_b32_e32 v1, 3, v1
	v_readfirstlane_b32 s6, v18
	v_readfirstlane_b32 s7, v19
	s_nop 4
	global_load_dwordx2 v[8:9], v1, s[6:7]
.LBB695_15:
	s_or_b64 exec, exec, s[4:5]
	v_or_b32_e32 v1, 0x400, v0
	v_cmp_gt_u32_e32 vcc, s48, v1
	s_and_saveexec_b64 s[4:5], vcc
	s_cbranch_execz .LBB695_17
; %bb.16:
	v_lshlrev_b32_e32 v1, 3, v1
	v_readfirstlane_b32 s6, v18
	v_readfirstlane_b32 s7, v19
	s_nop 4
	global_load_dwordx2 v[10:11], v1, s[6:7]
.LBB695_17:
	s_or_b64 exec, exec, s[4:5]
	v_lshlrev_b32_e32 v1, 3, v0
	s_waitcnt vmcnt(0)
	ds_write2st64_b64 v1, v[2:3], v[4:5] offset1:4
	ds_write2st64_b64 v1, v[6:7], v[8:9] offset0:8 offset1:12
	ds_write_b64 v1, v[10:11] offset:8192
	s_waitcnt lgkmcnt(0)
	s_barrier
.LBB695_18:
	v_mul_u32_u24_e32 v1, 5, v0
	v_lshlrev_b32_e32 v26, 3, v1
	ds_read2_b64 v[6:9], v26 offset1:1
	ds_read2_b64 v[2:5], v26 offset0:2 offset1:3
	ds_read_b64 v[10:11], v26 offset:32
	s_cmp_lg_u32 s33, 0
	s_cselect_b64 s[34:35], -1, 0
	s_cmp_lg_u64 s[10:11], 0
	s_cselect_b64 s[4:5], -1, 0
	s_or_b64 s[4:5], s[4:5], s[34:35]
	v_mad_u32_u24 v24, v0, 5, 1
	v_mad_u32_u24 v22, v0, 5, 2
	v_mad_u32_u24 v25, v0, 5, 3
	v_mad_u32_u24 v23, v0, 5, 4
	s_mov_b64 s[14:15], 0
	s_and_b64 vcc, exec, s[4:5]
	v_cmp_gt_i64_e64 s[4:5], s[26:27], 0
	s_waitcnt lgkmcnt(0)
	s_barrier
	s_cbranch_vccz .LBB695_27
; %bb.19:
	global_load_dwordx2 v[14:15], v[18:19], off offset:-8
	v_cndmask_b32_e64 v12, 0, 1, s[4:5]
	v_lshlrev_b32_e32 v27, 3, v0
	s_mov_b64 s[10:11], 0
	s_and_b64 vcc, exec, s[30:31]
	v_cmp_ne_u32_e64 s[4:5], 1, v12
	ds_write_b64 v27, v[10:11]
	s_cbranch_vccz .LBB695_28
; %bb.20:
	v_mul_lo_u32 v16, v5, s26
	v_mul_lo_u32 v17, v4, s27
	v_mad_u64_u32 v[12:13], s[6:7], v4, s26, 0
	v_add3_u32 v13, v13, v17, v16
	s_and_b64 vcc, exec, s[4:5]
	v_lshlrev_b64 v[12:13], 1, v[12:13]
	s_cbranch_vccnz .LBB695_31
; %bb.21:
	v_mul_lo_u32 v18, v11, s26
	v_mul_lo_u32 v19, v10, s27
	v_mad_u64_u32 v[16:17], s[6:7], v10, s26, 0
	v_add3_u32 v17, v17, v19, v18
	v_mov_b32_e32 v19, s17
	v_add_co_u32_e32 v18, vcc, s16, v12
	v_addc_co_u32_e64 v19, s[6:7], v19, v13, vcc
	v_lshlrev_b64 v[16:17], 1, v[16:17]
	v_mov_b32_e32 v21, s17
	v_add_co_u32_e64 v20, s[6:7], s16, v16
	v_addc_co_u32_e64 v21, s[8:9], v21, v17, s[6:7]
	global_load_ushort v16, v[18:19], off
	global_load_ushort v28, v[20:21], off
	s_mov_b64 s[10:11], -1
	s_waitcnt vmcnt(0)
	v_cmp_eq_u16_e64 s[8:9], v16, v28
	s_and_saveexec_b64 s[14:15], s[8:9]
	s_cbranch_execz .LBB695_30
; %bb.22:
	v_mov_b32_e32 v16, s17
	v_addc_co_u32_e64 v17, s[6:7], v17, v16, s[6:7]
	v_add_co_u32_e64 v16, s[6:7], 2, v20
	v_mov_b32_e32 v19, s17
	v_addc_co_u32_e64 v17, s[6:7], 0, v17, s[6:7]
	v_addc_co_u32_e32 v19, vcc, v13, v19, vcc
	v_add_co_u32_e32 v18, vcc, 2, v18
	s_add_u32 s6, s26, -1
	v_addc_co_u32_e32 v19, vcc, 0, v19, vcc
	s_addc_u32 s7, s27, -1
	s_mov_b64 s[8:9], 0
	s_mov_b64 s[36:37], 0
                                        ; implicit-def: $sgpr10_sgpr11
	s_branch .LBB695_25
.LBB695_23:                             ;   in Loop: Header=BB695_25 Depth=1
	global_load_ushort v20, v[18:19], off
	global_load_ushort v21, v[16:17], off
	v_add_co_u32_e32 v16, vcc, 2, v16
	v_addc_co_u32_e32 v17, vcc, 0, v17, vcc
	v_add_co_u32_e32 v18, vcc, 2, v18
	v_addc_co_u32_e32 v19, vcc, 0, v19, vcc
	s_add_u32 s36, s36, 1
	s_addc_u32 s37, s37, 0
	s_andn2_b64 s[10:11], s[10:11], exec
	s_waitcnt vmcnt(0)
	v_cmp_ne_u16_e32 vcc, v20, v21
	s_and_b64 s[38:39], vcc, exec
	s_or_b64 s[10:11], s[10:11], s[38:39]
.LBB695_24:                             ;   in Loop: Header=BB695_25 Depth=1
	s_and_b64 s[38:39], exec, s[10:11]
	s_or_b64 s[8:9], s[38:39], s[8:9]
	v_pk_mov_b32 v[20:21], s[36:37], s[36:37] op_sel:[0,1]
	s_andn2_b64 exec, exec, s[8:9]
	s_cbranch_execz .LBB695_29
.LBB695_25:                             ; =>This Inner Loop Header: Depth=1
	s_or_b64 s[10:11], s[10:11], exec
	s_cmp_eq_u64 s[6:7], s[36:37]
	s_cbranch_scc0 .LBB695_23
; %bb.26:                               ;   in Loop: Header=BB695_25 Depth=1
                                        ; implicit-def: $vgpr16_vgpr17
                                        ; implicit-def: $vgpr18_vgpr19
	s_mov_b64 s[36:37], s[26:27]
	s_branch .LBB695_24
.LBB695_27:
                                        ; implicit-def: $sgpr36_sgpr37
                                        ; implicit-def: $vgpr13
                                        ; implicit-def: $vgpr16
	s_branch .LBB695_129
.LBB695_28:
                                        ; implicit-def: $sgpr36_sgpr37
                                        ; implicit-def: $vgpr13
                                        ; implicit-def: $vgpr16
	s_cbranch_execnz .LBB695_70
	s_branch .LBB695_128
.LBB695_29:
	s_or_b64 exec, exec, s[8:9]
	v_cmp_gt_i64_e32 vcc, s[26:27], v[20:21]
	s_orn2_b64 s[10:11], vcc, exec
.LBB695_30:
	s_or_b64 exec, exec, s[14:15]
.LBB695_31:
	v_mul_lo_u32 v18, v3, s26
	v_mul_lo_u32 v19, v2, s27
	v_mad_u64_u32 v[16:17], s[6:7], v2, s26, 0
	v_add3_u32 v17, v17, v19, v18
	s_mov_b64 s[14:15], 0
	s_and_b64 vcc, exec, s[4:5]
	v_lshlrev_b64 v[18:19], 1, v[16:17]
	s_mov_b64 s[36:37], 0
	s_cbranch_vccnz .LBB695_40
; %bb.32:
	v_mov_b32_e32 v17, s17
	v_add_co_u32_e32 v16, vcc, s16, v18
	v_addc_co_u32_e64 v17, s[6:7], v17, v19, vcc
	v_mov_b32_e32 v21, s17
	v_add_co_u32_e64 v20, s[6:7], s16, v12
	v_addc_co_u32_e64 v21, s[8:9], v21, v13, s[6:7]
	global_load_ushort v12, v[16:17], off
	global_load_ushort v28, v[20:21], off
	s_mov_b64 s[36:37], -1
	s_waitcnt vmcnt(0)
	v_cmp_eq_u16_e64 s[8:9], v12, v28
	s_and_saveexec_b64 s[38:39], s[8:9]
	s_cbranch_execz .LBB695_39
; %bb.33:
	v_mov_b32_e32 v12, s17
	v_addc_co_u32_e64 v13, s[6:7], v13, v12, s[6:7]
	v_add_co_u32_e64 v12, s[6:7], 2, v20
	v_mov_b32_e32 v17, s17
	v_addc_co_u32_e64 v13, s[6:7], 0, v13, s[6:7]
	v_addc_co_u32_e32 v17, vcc, v19, v17, vcc
	v_add_co_u32_e32 v16, vcc, 2, v16
	s_add_u32 s6, s26, -1
	v_addc_co_u32_e32 v17, vcc, 0, v17, vcc
	s_addc_u32 s7, s27, -1
	s_mov_b64 s[8:9], 0
	s_mov_b64 s[40:41], 0
                                        ; implicit-def: $sgpr36_sgpr37
	s_branch .LBB695_36
.LBB695_34:                             ;   in Loop: Header=BB695_36 Depth=1
	global_load_ushort v20, v[16:17], off
	global_load_ushort v21, v[12:13], off
	v_add_co_u32_e32 v12, vcc, 2, v12
	v_addc_co_u32_e32 v13, vcc, 0, v13, vcc
	v_add_co_u32_e32 v16, vcc, 2, v16
	v_addc_co_u32_e32 v17, vcc, 0, v17, vcc
	s_add_u32 s40, s40, 1
	s_addc_u32 s41, s41, 0
	s_andn2_b64 s[36:37], s[36:37], exec
	s_waitcnt vmcnt(0)
	v_cmp_ne_u16_e32 vcc, v20, v21
	s_and_b64 s[42:43], vcc, exec
	s_or_b64 s[36:37], s[36:37], s[42:43]
.LBB695_35:                             ;   in Loop: Header=BB695_36 Depth=1
	s_and_b64 s[42:43], exec, s[36:37]
	s_or_b64 s[8:9], s[42:43], s[8:9]
	v_pk_mov_b32 v[20:21], s[40:41], s[40:41] op_sel:[0,1]
	s_andn2_b64 exec, exec, s[8:9]
	s_cbranch_execz .LBB695_38
.LBB695_36:                             ; =>This Inner Loop Header: Depth=1
	s_or_b64 s[36:37], s[36:37], exec
	s_cmp_eq_u64 s[6:7], s[40:41]
	s_cbranch_scc0 .LBB695_34
; %bb.37:                               ;   in Loop: Header=BB695_36 Depth=1
                                        ; implicit-def: $vgpr12_vgpr13
                                        ; implicit-def: $vgpr16_vgpr17
	s_mov_b64 s[40:41], s[26:27]
	s_branch .LBB695_35
.LBB695_38:
	s_or_b64 exec, exec, s[8:9]
	v_cmp_gt_i64_e32 vcc, s[26:27], v[20:21]
	s_orn2_b64 s[36:37], vcc, exec
.LBB695_39:
	s_or_b64 exec, exec, s[38:39]
.LBB695_40:
	v_mul_lo_u32 v16, v9, s26
	v_mul_lo_u32 v17, v8, s27
	v_mad_u64_u32 v[12:13], s[6:7], v8, s26, 0
	v_add3_u32 v13, v13, v17, v16
	s_and_b64 vcc, exec, s[4:5]
	v_lshlrev_b64 v[16:17], 1, v[12:13]
	s_cbranch_vccnz .LBB695_49
; %bb.41:
	v_mov_b32_e32 v12, s17
	v_add_co_u32_e32 v20, vcc, s16, v16
	v_addc_co_u32_e64 v21, s[6:7], v12, v17, vcc
	v_mov_b32_e32 v13, s17
	v_add_co_u32_e64 v12, s[6:7], s16, v18
	v_addc_co_u32_e64 v13, s[8:9], v13, v19, s[6:7]
	global_load_ushort v18, v[20:21], off
	global_load_ushort v28, v[12:13], off
	s_mov_b64 s[14:15], -1
	s_waitcnt vmcnt(0)
	v_cmp_eq_u16_e64 s[8:9], v18, v28
	s_and_saveexec_b64 s[38:39], s[8:9]
	s_cbranch_execz .LBB695_48
; %bb.42:
	v_mov_b32_e32 v13, s17
	v_addc_co_u32_e64 v13, s[6:7], v19, v13, s[6:7]
	v_add_co_u32_e64 v12, s[6:7], 2, v12
	v_mov_b32_e32 v18, s17
	v_addc_co_u32_e64 v13, s[6:7], 0, v13, s[6:7]
	v_addc_co_u32_e32 v19, vcc, v17, v18, vcc
	v_add_co_u32_e32 v18, vcc, 2, v20
	s_add_u32 s6, s26, -1
	v_addc_co_u32_e32 v19, vcc, 0, v19, vcc
	s_addc_u32 s7, s27, -1
	s_mov_b64 s[8:9], 0
	s_mov_b64 s[40:41], 0
                                        ; implicit-def: $sgpr14_sgpr15
	s_branch .LBB695_45
.LBB695_43:                             ;   in Loop: Header=BB695_45 Depth=1
	global_load_ushort v20, v[18:19], off
	global_load_ushort v21, v[12:13], off
	v_add_co_u32_e32 v12, vcc, 2, v12
	v_addc_co_u32_e32 v13, vcc, 0, v13, vcc
	v_add_co_u32_e32 v18, vcc, 2, v18
	v_addc_co_u32_e32 v19, vcc, 0, v19, vcc
	s_add_u32 s40, s40, 1
	s_addc_u32 s41, s41, 0
	s_andn2_b64 s[14:15], s[14:15], exec
	s_waitcnt vmcnt(0)
	v_cmp_ne_u16_e32 vcc, v20, v21
	s_and_b64 s[42:43], vcc, exec
	s_or_b64 s[14:15], s[14:15], s[42:43]
.LBB695_44:                             ;   in Loop: Header=BB695_45 Depth=1
	s_and_b64 s[42:43], exec, s[14:15]
	s_or_b64 s[8:9], s[42:43], s[8:9]
	v_pk_mov_b32 v[20:21], s[40:41], s[40:41] op_sel:[0,1]
	s_andn2_b64 exec, exec, s[8:9]
	s_cbranch_execz .LBB695_47
.LBB695_45:                             ; =>This Inner Loop Header: Depth=1
	s_or_b64 s[14:15], s[14:15], exec
	s_cmp_eq_u64 s[6:7], s[40:41]
	s_cbranch_scc0 .LBB695_43
; %bb.46:                               ;   in Loop: Header=BB695_45 Depth=1
                                        ; implicit-def: $vgpr12_vgpr13
                                        ; implicit-def: $vgpr18_vgpr19
	s_mov_b64 s[40:41], s[26:27]
	s_branch .LBB695_44
.LBB695_47:
	s_or_b64 exec, exec, s[8:9]
	v_cmp_gt_i64_e32 vcc, s[26:27], v[20:21]
	s_orn2_b64 s[14:15], vcc, exec
.LBB695_48:
	s_or_b64 exec, exec, s[38:39]
.LBB695_49:
	v_mul_lo_u32 v18, v7, s26
	v_mul_lo_u32 v19, v6, s27
	v_mad_u64_u32 v[12:13], s[6:7], v6, s26, 0
	v_add3_u32 v13, v13, v19, v18
	s_mov_b64 s[40:41], 0
	s_and_b64 vcc, exec, s[4:5]
	v_lshlrev_b64 v[12:13], 1, v[12:13]
	s_cbranch_vccnz .LBB695_58
; %bb.50:
	v_mov_b32_e32 v19, s17
	v_add_co_u32_e32 v18, vcc, s16, v12
	v_addc_co_u32_e64 v19, s[6:7], v19, v13, vcc
	v_mov_b32_e32 v21, s17
	v_add_co_u32_e64 v20, s[6:7], s16, v16
	v_addc_co_u32_e64 v21, s[8:9], v21, v17, s[6:7]
	global_load_ushort v16, v[18:19], off
	global_load_ushort v28, v[20:21], off
	s_mov_b64 s[40:41], -1
	s_waitcnt vmcnt(0)
	v_cmp_eq_u16_e64 s[8:9], v16, v28
	s_and_saveexec_b64 s[38:39], s[8:9]
	s_cbranch_execz .LBB695_57
; %bb.51:
	v_mov_b32_e32 v16, s17
	v_addc_co_u32_e64 v17, s[6:7], v17, v16, s[6:7]
	v_add_co_u32_e64 v16, s[6:7], 2, v20
	v_mov_b32_e32 v19, s17
	v_addc_co_u32_e64 v17, s[6:7], 0, v17, s[6:7]
	v_addc_co_u32_e32 v19, vcc, v13, v19, vcc
	v_add_co_u32_e32 v18, vcc, 2, v18
	s_add_u32 s6, s26, -1
	v_addc_co_u32_e32 v19, vcc, 0, v19, vcc
	s_addc_u32 s7, s27, -1
	s_mov_b64 s[8:9], 0
	s_mov_b64 s[42:43], 0
                                        ; implicit-def: $sgpr40_sgpr41
	s_branch .LBB695_54
.LBB695_52:                             ;   in Loop: Header=BB695_54 Depth=1
	global_load_ushort v20, v[18:19], off
	global_load_ushort v21, v[16:17], off
	v_add_co_u32_e32 v16, vcc, 2, v16
	v_addc_co_u32_e32 v17, vcc, 0, v17, vcc
	v_add_co_u32_e32 v18, vcc, 2, v18
	v_addc_co_u32_e32 v19, vcc, 0, v19, vcc
	s_add_u32 s42, s42, 1
	s_addc_u32 s43, s43, 0
	s_andn2_b64 s[40:41], s[40:41], exec
	s_waitcnt vmcnt(0)
	v_cmp_ne_u16_e32 vcc, v20, v21
	s_and_b64 s[44:45], vcc, exec
	s_or_b64 s[40:41], s[40:41], s[44:45]
.LBB695_53:                             ;   in Loop: Header=BB695_54 Depth=1
	s_and_b64 s[44:45], exec, s[40:41]
	s_or_b64 s[8:9], s[44:45], s[8:9]
	v_pk_mov_b32 v[20:21], s[42:43], s[42:43] op_sel:[0,1]
	s_andn2_b64 exec, exec, s[8:9]
	s_cbranch_execz .LBB695_56
.LBB695_54:                             ; =>This Inner Loop Header: Depth=1
	s_or_b64 s[40:41], s[40:41], exec
	s_cmp_eq_u64 s[6:7], s[42:43]
	s_cbranch_scc0 .LBB695_52
; %bb.55:                               ;   in Loop: Header=BB695_54 Depth=1
                                        ; implicit-def: $vgpr16_vgpr17
                                        ; implicit-def: $vgpr18_vgpr19
	s_mov_b64 s[42:43], s[26:27]
	s_branch .LBB695_53
.LBB695_56:
	s_or_b64 exec, exec, s[8:9]
	v_cmp_gt_i64_e32 vcc, s[26:27], v[20:21]
	s_orn2_b64 s[40:41], vcc, exec
.LBB695_57:
	s_or_b64 exec, exec, s[38:39]
.LBB695_58:
	s_waitcnt vmcnt(0)
	v_pk_mov_b32 v[16:17], v[14:15], v[14:15] op_sel:[0,1]
	s_waitcnt lgkmcnt(0)
	s_barrier
	s_and_saveexec_b64 s[6:7], s[2:3]
	s_cbranch_execz .LBB695_60
; %bb.59:
	v_add_u32_e32 v16, -8, v27
	ds_read_b64 v[16:17], v16
.LBB695_60:
	s_or_b64 exec, exec, s[6:7]
	v_cndmask_b32_e64 v19, 0, 1, s[36:37]
	v_cndmask_b32_e64 v18, 0, 1, s[14:15]
	;; [unrolled: 1-line block ×3, first 2 shown]
	v_lshlrev_b16_e32 v19, 8, v19
	v_lshlrev_b16_e32 v28, 8, v20
	v_or_b32_sdwa v29, v18, v19 dst_sel:WORD_1 dst_unused:UNUSED_PAD src0_sel:DWORD src1_sel:DWORD
	s_mov_b64 s[14:15], 0
	s_and_b64 vcc, exec, s[4:5]
	s_mov_b64 s[36:37], 0
	s_cbranch_vccnz .LBB695_69
; %bb.61:
	s_waitcnt lgkmcnt(0)
	v_mul_lo_u32 v18, v17, s26
	v_mul_lo_u32 v19, v16, s27
	v_mad_u64_u32 v[16:17], s[6:7], v16, s26, 0
	v_add3_u32 v17, v17, v19, v18
	v_lshlrev_b64 v[16:17], 1, v[16:17]
	v_mov_b32_e32 v19, s17
	v_add_co_u32_e32 v18, vcc, s16, v16
	v_addc_co_u32_e64 v19, s[6:7], v19, v17, vcc
	v_mov_b32_e32 v16, s17
	v_add_co_u32_e64 v20, s[6:7], s16, v12
	v_addc_co_u32_e64 v21, s[8:9], v16, v13, s[6:7]
	global_load_ushort v12, v[18:19], off
	global_load_ushort v16, v[20:21], off
	s_mov_b64 s[36:37], -1
	s_waitcnt vmcnt(0)
	v_cmp_eq_u16_e64 s[8:9], v12, v16
	s_and_saveexec_b64 s[38:39], s[8:9]
	s_cbranch_execz .LBB695_68
; %bb.62:
	v_mov_b32_e32 v12, s17
	v_addc_co_u32_e64 v13, s[6:7], v13, v12, s[6:7]
	v_add_co_u32_e64 v12, s[6:7], 2, v20
	v_mov_b32_e32 v16, s17
	v_addc_co_u32_e64 v13, s[6:7], 0, v13, s[6:7]
	v_addc_co_u32_e32 v17, vcc, v17, v16, vcc
	v_add_co_u32_e32 v16, vcc, 2, v18
	s_add_u32 s6, s26, -1
	v_addc_co_u32_e32 v17, vcc, 0, v17, vcc
	s_addc_u32 s7, s27, -1
	s_mov_b64 s[8:9], 0
	s_mov_b64 s[40:41], 0
                                        ; implicit-def: $sgpr36_sgpr37
	s_branch .LBB695_65
.LBB695_63:                             ;   in Loop: Header=BB695_65 Depth=1
	global_load_ushort v18, v[16:17], off
	global_load_ushort v19, v[12:13], off
	v_add_co_u32_e32 v12, vcc, 2, v12
	v_addc_co_u32_e32 v13, vcc, 0, v13, vcc
	v_add_co_u32_e32 v16, vcc, 2, v16
	v_addc_co_u32_e32 v17, vcc, 0, v17, vcc
	s_add_u32 s40, s40, 1
	s_addc_u32 s41, s41, 0
	s_andn2_b64 s[36:37], s[36:37], exec
	s_waitcnt vmcnt(0)
	v_cmp_ne_u16_e32 vcc, v18, v19
	s_and_b64 s[42:43], vcc, exec
	s_or_b64 s[36:37], s[36:37], s[42:43]
.LBB695_64:                             ;   in Loop: Header=BB695_65 Depth=1
	s_and_b64 s[42:43], exec, s[36:37]
	s_or_b64 s[8:9], s[42:43], s[8:9]
	v_pk_mov_b32 v[18:19], s[40:41], s[40:41] op_sel:[0,1]
	s_andn2_b64 exec, exec, s[8:9]
	s_cbranch_execz .LBB695_67
.LBB695_65:                             ; =>This Inner Loop Header: Depth=1
	s_or_b64 s[36:37], s[36:37], exec
	s_cmp_eq_u64 s[6:7], s[40:41]
	s_cbranch_scc0 .LBB695_63
; %bb.66:                               ;   in Loop: Header=BB695_65 Depth=1
                                        ; implicit-def: $vgpr12_vgpr13
                                        ; implicit-def: $vgpr16_vgpr17
	s_mov_b64 s[40:41], s[26:27]
	s_branch .LBB695_64
.LBB695_67:
	s_or_b64 exec, exec, s[8:9]
	v_cmp_gt_i64_e32 vcc, s[26:27], v[18:19]
	s_orn2_b64 s[36:37], vcc, exec
.LBB695_68:
	s_or_b64 exec, exec, s[38:39]
.LBB695_69:
	v_cndmask_b32_e64 v13, 0, 1, s[10:11]
	s_waitcnt lgkmcnt(0)
	v_or_b32_e32 v16, v28, v29
	s_and_b64 vcc, exec, s[14:15]
	s_cbranch_vccz .LBB695_128
.LBB695_70:
	v_cmp_gt_u32_e32 vcc, s48, v23
	s_mov_b64 s[14:15], 0
	s_mov_b64 s[10:11], 0
	s_and_saveexec_b64 s[36:37], vcc
	s_cbranch_execz .LBB695_81
; %bb.71:
	s_and_b64 vcc, exec, s[4:5]
	s_mov_b64 s[38:39], 0
	s_cbranch_vccnz .LBB695_80
; %bb.72:
	v_mul_lo_u32 v16, v5, s26
	v_mul_lo_u32 v17, v4, s27
	v_mad_u64_u32 v[12:13], s[6:7], v4, s26, 0
	v_add3_u32 v13, v13, v17, v16
	v_mul_lo_u32 v16, v11, s26
	v_mul_lo_u32 v17, v10, s27
	v_mad_u64_u32 v[20:21], s[6:7], v10, s26, 0
	v_add3_u32 v21, v21, v17, v16
	v_lshlrev_b64 v[16:17], 1, v[12:13]
	v_mov_b32_e32 v12, s17
	v_add_co_u32_e32 v18, vcc, s16, v16
	v_addc_co_u32_e64 v19, s[6:7], v12, v17, vcc
	v_lshlrev_b64 v[12:13], 1, v[20:21]
	v_mov_b32_e32 v16, s17
	v_add_co_u32_e64 v20, s[6:7], s16, v12
	v_addc_co_u32_e64 v21, s[8:9], v16, v13, s[6:7]
	global_load_ushort v12, v[18:19], off
	global_load_ushort v16, v[20:21], off
	s_mov_b64 s[38:39], -1
	s_waitcnt vmcnt(0)
	v_cmp_eq_u16_e64 s[8:9], v12, v16
	s_and_saveexec_b64 s[10:11], s[8:9]
	s_cbranch_execz .LBB695_79
; %bb.73:
	v_mov_b32_e32 v12, s17
	v_addc_co_u32_e64 v13, s[6:7], v13, v12, s[6:7]
	v_add_co_u32_e64 v12, s[6:7], 2, v20
	v_mov_b32_e32 v16, s17
	v_addc_co_u32_e64 v13, s[6:7], 0, v13, s[6:7]
	v_addc_co_u32_e32 v17, vcc, v17, v16, vcc
	v_add_co_u32_e32 v16, vcc, 2, v18
	s_add_u32 s6, s26, -1
	v_addc_co_u32_e32 v17, vcc, 0, v17, vcc
	s_addc_u32 s7, s27, -1
	s_mov_b64 s[8:9], 0
	s_mov_b64 s[40:41], 0
                                        ; implicit-def: $sgpr38_sgpr39
	s_branch .LBB695_76
.LBB695_74:                             ;   in Loop: Header=BB695_76 Depth=1
	global_load_ushort v18, v[16:17], off
	global_load_ushort v19, v[12:13], off
	v_add_co_u32_e32 v12, vcc, 2, v12
	v_addc_co_u32_e32 v13, vcc, 0, v13, vcc
	v_add_co_u32_e32 v16, vcc, 2, v16
	v_addc_co_u32_e32 v17, vcc, 0, v17, vcc
	s_add_u32 s40, s40, 1
	s_addc_u32 s41, s41, 0
	s_andn2_b64 s[38:39], s[38:39], exec
	s_waitcnt vmcnt(0)
	v_cmp_ne_u16_e32 vcc, v18, v19
	s_and_b64 s[42:43], vcc, exec
	s_or_b64 s[38:39], s[38:39], s[42:43]
.LBB695_75:                             ;   in Loop: Header=BB695_76 Depth=1
	s_and_b64 s[42:43], exec, s[38:39]
	s_or_b64 s[8:9], s[42:43], s[8:9]
	v_pk_mov_b32 v[18:19], s[40:41], s[40:41] op_sel:[0,1]
	s_andn2_b64 exec, exec, s[8:9]
	s_cbranch_execz .LBB695_78
.LBB695_76:                             ; =>This Inner Loop Header: Depth=1
	s_or_b64 s[38:39], s[38:39], exec
	s_cmp_eq_u64 s[6:7], s[40:41]
	s_cbranch_scc0 .LBB695_74
; %bb.77:                               ;   in Loop: Header=BB695_76 Depth=1
                                        ; implicit-def: $vgpr12_vgpr13
                                        ; implicit-def: $vgpr16_vgpr17
	s_mov_b64 s[40:41], s[26:27]
	s_branch .LBB695_75
.LBB695_78:
	s_or_b64 exec, exec, s[8:9]
	v_cmp_gt_i64_e32 vcc, s[26:27], v[18:19]
	s_orn2_b64 s[38:39], vcc, exec
.LBB695_79:
	s_or_b64 exec, exec, s[10:11]
.LBB695_80:
	s_and_b64 s[10:11], s[38:39], exec
.LBB695_81:
	s_or_b64 exec, exec, s[36:37]
	v_cmp_gt_u32_e32 vcc, s48, v25
	s_and_saveexec_b64 s[36:37], vcc
	s_cbranch_execz .LBB695_92
; %bb.82:
	s_and_b64 vcc, exec, s[4:5]
	s_mov_b64 s[38:39], 0
	s_cbranch_vccnz .LBB695_91
; %bb.83:
	v_mul_lo_u32 v16, v3, s26
	v_mul_lo_u32 v17, v2, s27
	v_mad_u64_u32 v[12:13], s[6:7], v2, s26, 0
	v_add3_u32 v13, v13, v17, v16
	v_mul_lo_u32 v16, v5, s26
	v_mul_lo_u32 v17, v4, s27
	v_mad_u64_u32 v[20:21], s[6:7], v4, s26, 0
	v_add3_u32 v21, v21, v17, v16
	v_lshlrev_b64 v[16:17], 1, v[12:13]
	v_mov_b32_e32 v12, s17
	v_add_co_u32_e32 v18, vcc, s16, v16
	v_addc_co_u32_e64 v19, s[6:7], v12, v17, vcc
	v_lshlrev_b64 v[12:13], 1, v[20:21]
	v_mov_b32_e32 v16, s17
	v_add_co_u32_e64 v20, s[6:7], s16, v12
	v_addc_co_u32_e64 v21, s[8:9], v16, v13, s[6:7]
	global_load_ushort v12, v[18:19], off
	global_load_ushort v16, v[20:21], off
	s_mov_b64 s[38:39], -1
	s_waitcnt vmcnt(0)
	v_cmp_eq_u16_e64 s[8:9], v12, v16
	s_and_saveexec_b64 s[14:15], s[8:9]
	s_cbranch_execz .LBB695_90
; %bb.84:
	v_mov_b32_e32 v12, s17
	v_addc_co_u32_e64 v13, s[6:7], v13, v12, s[6:7]
	v_add_co_u32_e64 v12, s[6:7], 2, v20
	v_mov_b32_e32 v16, s17
	v_addc_co_u32_e64 v13, s[6:7], 0, v13, s[6:7]
	v_addc_co_u32_e32 v17, vcc, v17, v16, vcc
	v_add_co_u32_e32 v16, vcc, 2, v18
	s_add_u32 s6, s26, -1
	v_addc_co_u32_e32 v17, vcc, 0, v17, vcc
	s_addc_u32 s7, s27, -1
	s_mov_b64 s[8:9], 0
	s_mov_b64 s[40:41], 0
                                        ; implicit-def: $sgpr38_sgpr39
	s_branch .LBB695_87
.LBB695_85:                             ;   in Loop: Header=BB695_87 Depth=1
	global_load_ushort v18, v[16:17], off
	global_load_ushort v19, v[12:13], off
	v_add_co_u32_e32 v12, vcc, 2, v12
	v_addc_co_u32_e32 v13, vcc, 0, v13, vcc
	v_add_co_u32_e32 v16, vcc, 2, v16
	v_addc_co_u32_e32 v17, vcc, 0, v17, vcc
	s_add_u32 s40, s40, 1
	s_addc_u32 s41, s41, 0
	s_andn2_b64 s[38:39], s[38:39], exec
	s_waitcnt vmcnt(0)
	v_cmp_ne_u16_e32 vcc, v18, v19
	s_and_b64 s[42:43], vcc, exec
	s_or_b64 s[38:39], s[38:39], s[42:43]
.LBB695_86:                             ;   in Loop: Header=BB695_87 Depth=1
	s_and_b64 s[42:43], exec, s[38:39]
	s_or_b64 s[8:9], s[42:43], s[8:9]
	v_pk_mov_b32 v[18:19], s[40:41], s[40:41] op_sel:[0,1]
	s_andn2_b64 exec, exec, s[8:9]
	s_cbranch_execz .LBB695_89
.LBB695_87:                             ; =>This Inner Loop Header: Depth=1
	s_or_b64 s[38:39], s[38:39], exec
	s_cmp_eq_u64 s[6:7], s[40:41]
	s_cbranch_scc0 .LBB695_85
; %bb.88:                               ;   in Loop: Header=BB695_87 Depth=1
                                        ; implicit-def: $vgpr12_vgpr13
                                        ; implicit-def: $vgpr16_vgpr17
	s_mov_b64 s[40:41], s[26:27]
	s_branch .LBB695_86
.LBB695_89:
	s_or_b64 exec, exec, s[8:9]
	v_cmp_gt_i64_e32 vcc, s[26:27], v[18:19]
	s_orn2_b64 s[38:39], vcc, exec
.LBB695_90:
	s_or_b64 exec, exec, s[14:15]
.LBB695_91:
	s_and_b64 s[14:15], s[38:39], exec
.LBB695_92:
	s_or_b64 exec, exec, s[36:37]
	v_cmp_gt_u32_e32 vcc, s48, v22
	s_mov_b64 s[36:37], 0
	s_mov_b64 s[38:39], 0
	s_and_saveexec_b64 s[40:41], vcc
	s_cbranch_execz .LBB695_103
; %bb.93:
	s_and_b64 vcc, exec, s[4:5]
	s_mov_b64 s[42:43], 0
	s_cbranch_vccnz .LBB695_102
; %bb.94:
	v_mul_lo_u32 v16, v9, s26
	v_mul_lo_u32 v17, v8, s27
	v_mad_u64_u32 v[12:13], s[6:7], v8, s26, 0
	v_add3_u32 v13, v13, v17, v16
	v_mul_lo_u32 v16, v3, s26
	v_mul_lo_u32 v17, v2, s27
	v_mad_u64_u32 v[20:21], s[6:7], v2, s26, 0
	v_add3_u32 v21, v21, v17, v16
	v_lshlrev_b64 v[16:17], 1, v[12:13]
	v_mov_b32_e32 v12, s17
	v_add_co_u32_e32 v18, vcc, s16, v16
	v_addc_co_u32_e64 v19, s[6:7], v12, v17, vcc
	v_lshlrev_b64 v[12:13], 1, v[20:21]
	v_mov_b32_e32 v16, s17
	v_add_co_u32_e64 v20, s[6:7], s16, v12
	v_addc_co_u32_e64 v21, s[8:9], v16, v13, s[6:7]
	global_load_ushort v12, v[18:19], off
	global_load_ushort v16, v[20:21], off
	s_mov_b64 s[42:43], -1
	s_waitcnt vmcnt(0)
	v_cmp_eq_u16_e64 s[8:9], v12, v16
	s_and_saveexec_b64 s[38:39], s[8:9]
	s_cbranch_execz .LBB695_101
; %bb.95:
	v_mov_b32_e32 v12, s17
	v_addc_co_u32_e64 v13, s[6:7], v13, v12, s[6:7]
	v_add_co_u32_e64 v12, s[6:7], 2, v20
	v_mov_b32_e32 v16, s17
	v_addc_co_u32_e64 v13, s[6:7], 0, v13, s[6:7]
	v_addc_co_u32_e32 v17, vcc, v17, v16, vcc
	v_add_co_u32_e32 v16, vcc, 2, v18
	s_add_u32 s6, s26, -1
	v_addc_co_u32_e32 v17, vcc, 0, v17, vcc
	s_addc_u32 s7, s27, -1
	s_mov_b64 s[8:9], 0
	s_mov_b64 s[44:45], 0
                                        ; implicit-def: $sgpr42_sgpr43
	s_branch .LBB695_98
.LBB695_96:                             ;   in Loop: Header=BB695_98 Depth=1
	global_load_ushort v18, v[16:17], off
	global_load_ushort v19, v[12:13], off
	v_add_co_u32_e32 v12, vcc, 2, v12
	v_addc_co_u32_e32 v13, vcc, 0, v13, vcc
	v_add_co_u32_e32 v16, vcc, 2, v16
	v_addc_co_u32_e32 v17, vcc, 0, v17, vcc
	s_add_u32 s44, s44, 1
	s_addc_u32 s45, s45, 0
	s_andn2_b64 s[42:43], s[42:43], exec
	s_waitcnt vmcnt(0)
	v_cmp_ne_u16_e32 vcc, v18, v19
	s_and_b64 s[46:47], vcc, exec
	s_or_b64 s[42:43], s[42:43], s[46:47]
.LBB695_97:                             ;   in Loop: Header=BB695_98 Depth=1
	s_and_b64 s[46:47], exec, s[42:43]
	s_or_b64 s[8:9], s[46:47], s[8:9]
	v_pk_mov_b32 v[18:19], s[44:45], s[44:45] op_sel:[0,1]
	s_andn2_b64 exec, exec, s[8:9]
	s_cbranch_execz .LBB695_100
.LBB695_98:                             ; =>This Inner Loop Header: Depth=1
	s_or_b64 s[42:43], s[42:43], exec
	s_cmp_eq_u64 s[6:7], s[44:45]
	s_cbranch_scc0 .LBB695_96
; %bb.99:                               ;   in Loop: Header=BB695_98 Depth=1
                                        ; implicit-def: $vgpr12_vgpr13
                                        ; implicit-def: $vgpr16_vgpr17
	s_mov_b64 s[44:45], s[26:27]
	s_branch .LBB695_97
.LBB695_100:
	s_or_b64 exec, exec, s[8:9]
	v_cmp_gt_i64_e32 vcc, s[26:27], v[18:19]
	s_orn2_b64 s[42:43], vcc, exec
.LBB695_101:
	s_or_b64 exec, exec, s[38:39]
.LBB695_102:
	s_and_b64 s[38:39], s[42:43], exec
.LBB695_103:
	s_or_b64 exec, exec, s[40:41]
	v_cmp_gt_u32_e32 vcc, s48, v24
	s_and_saveexec_b64 s[40:41], vcc
	s_cbranch_execz .LBB695_114
; %bb.104:
	s_and_b64 vcc, exec, s[4:5]
	s_mov_b64 s[42:43], 0
	s_cbranch_vccnz .LBB695_113
; %bb.105:
	v_mul_lo_u32 v16, v7, s26
	v_mul_lo_u32 v17, v6, s27
	v_mad_u64_u32 v[12:13], s[6:7], v6, s26, 0
	v_add3_u32 v13, v13, v17, v16
	v_mul_lo_u32 v16, v9, s26
	v_mul_lo_u32 v17, v8, s27
	v_mad_u64_u32 v[20:21], s[6:7], v8, s26, 0
	v_add3_u32 v21, v21, v17, v16
	v_lshlrev_b64 v[16:17], 1, v[12:13]
	v_mov_b32_e32 v12, s17
	v_add_co_u32_e32 v18, vcc, s16, v16
	v_addc_co_u32_e64 v19, s[6:7], v12, v17, vcc
	v_lshlrev_b64 v[12:13], 1, v[20:21]
	v_mov_b32_e32 v16, s17
	v_add_co_u32_e64 v20, s[6:7], s16, v12
	v_addc_co_u32_e64 v21, s[8:9], v16, v13, s[6:7]
	global_load_ushort v12, v[18:19], off
	global_load_ushort v16, v[20:21], off
	s_mov_b64 s[42:43], -1
	s_waitcnt vmcnt(0)
	v_cmp_eq_u16_e64 s[8:9], v12, v16
	s_and_saveexec_b64 s[36:37], s[8:9]
	s_cbranch_execz .LBB695_112
; %bb.106:
	v_mov_b32_e32 v12, s17
	v_addc_co_u32_e64 v13, s[6:7], v13, v12, s[6:7]
	v_add_co_u32_e64 v12, s[6:7], 2, v20
	v_mov_b32_e32 v16, s17
	v_addc_co_u32_e64 v13, s[6:7], 0, v13, s[6:7]
	v_addc_co_u32_e32 v17, vcc, v17, v16, vcc
	v_add_co_u32_e32 v16, vcc, 2, v18
	s_add_u32 s6, s26, -1
	v_addc_co_u32_e32 v17, vcc, 0, v17, vcc
	s_addc_u32 s7, s27, -1
	s_mov_b64 s[8:9], 0
	s_mov_b64 s[44:45], 0
                                        ; implicit-def: $sgpr42_sgpr43
	s_branch .LBB695_109
.LBB695_107:                            ;   in Loop: Header=BB695_109 Depth=1
	global_load_ushort v18, v[16:17], off
	global_load_ushort v19, v[12:13], off
	v_add_co_u32_e32 v12, vcc, 2, v12
	v_addc_co_u32_e32 v13, vcc, 0, v13, vcc
	v_add_co_u32_e32 v16, vcc, 2, v16
	v_addc_co_u32_e32 v17, vcc, 0, v17, vcc
	s_add_u32 s44, s44, 1
	s_addc_u32 s45, s45, 0
	s_andn2_b64 s[42:43], s[42:43], exec
	s_waitcnt vmcnt(0)
	v_cmp_ne_u16_e32 vcc, v18, v19
	s_and_b64 s[46:47], vcc, exec
	s_or_b64 s[42:43], s[42:43], s[46:47]
.LBB695_108:                            ;   in Loop: Header=BB695_109 Depth=1
	s_and_b64 s[46:47], exec, s[42:43]
	s_or_b64 s[8:9], s[46:47], s[8:9]
	v_pk_mov_b32 v[18:19], s[44:45], s[44:45] op_sel:[0,1]
	s_andn2_b64 exec, exec, s[8:9]
	s_cbranch_execz .LBB695_111
.LBB695_109:                            ; =>This Inner Loop Header: Depth=1
	s_or_b64 s[42:43], s[42:43], exec
	s_cmp_eq_u64 s[6:7], s[44:45]
	s_cbranch_scc0 .LBB695_107
; %bb.110:                              ;   in Loop: Header=BB695_109 Depth=1
                                        ; implicit-def: $vgpr12_vgpr13
                                        ; implicit-def: $vgpr16_vgpr17
	s_mov_b64 s[44:45], s[26:27]
	s_branch .LBB695_108
.LBB695_111:
	s_or_b64 exec, exec, s[8:9]
	v_cmp_gt_i64_e32 vcc, s[26:27], v[18:19]
	s_orn2_b64 s[42:43], vcc, exec
.LBB695_112:
	s_or_b64 exec, exec, s[36:37]
.LBB695_113:
	s_and_b64 s[36:37], s[42:43], exec
.LBB695_114:
	s_or_b64 exec, exec, s[40:41]
	s_waitcnt lgkmcnt(0)
	s_barrier
	s_and_saveexec_b64 s[6:7], s[2:3]
	s_cbranch_execz .LBB695_116
; %bb.115:
	v_add_u32_e32 v12, -8, v27
	s_waitcnt vmcnt(0)
	ds_read_b64 v[14:15], v12
.LBB695_116:
	s_or_b64 exec, exec, s[6:7]
	v_cndmask_b32_e64 v13, 0, 1, s[14:15]
	v_cndmask_b32_e64 v12, 0, 1, s[38:39]
	;; [unrolled: 1-line block ×3, first 2 shown]
	v_lshlrev_b16_e32 v13, 8, v13
	v_cmp_gt_u32_e32 vcc, s48, v1
	v_lshlrev_b16_e32 v20, 8, v16
	v_or_b32_sdwa v21, v12, v13 dst_sel:WORD_1 dst_unused:UNUSED_PAD src0_sel:DWORD src1_sel:DWORD
	s_mov_b64 s[36:37], 0
	s_and_saveexec_b64 s[8:9], vcc
	s_cbranch_execz .LBB695_127
; %bb.117:
	s_and_b64 vcc, exec, s[4:5]
	s_cbranch_vccnz .LBB695_126
; %bb.118:
	s_waitcnt vmcnt(0) lgkmcnt(0)
	v_mul_lo_u32 v15, v15, s26
	v_mul_lo_u32 v16, v14, s27
	v_mad_u64_u32 v[12:13], s[4:5], v14, s26, 0
	v_add3_u32 v13, v13, v16, v15
	v_mul_lo_u32 v14, v7, s26
	v_mul_lo_u32 v15, v6, s27
	v_mad_u64_u32 v[18:19], s[4:5], v6, s26, 0
	v_add3_u32 v19, v19, v15, v14
	v_lshlrev_b64 v[14:15], 1, v[12:13]
	v_mov_b32_e32 v12, s17
	v_add_co_u32_e32 v16, vcc, s16, v14
	v_addc_co_u32_e64 v17, s[4:5], v12, v15, vcc
	v_lshlrev_b64 v[12:13], 1, v[18:19]
	v_mov_b32_e32 v14, s17
	v_add_co_u32_e64 v18, s[4:5], s16, v12
	v_addc_co_u32_e64 v19, s[6:7], v14, v13, s[4:5]
	global_load_ushort v12, v[16:17], off
	global_load_ushort v14, v[18:19], off
	s_mov_b64 s[36:37], -1
	s_waitcnt vmcnt(0)
	v_cmp_eq_u16_e64 s[6:7], v12, v14
	s_and_saveexec_b64 s[14:15], s[6:7]
	s_cbranch_execz .LBB695_125
; %bb.119:
	v_mov_b32_e32 v12, s17
	v_addc_co_u32_e64 v13, s[4:5], v13, v12, s[4:5]
	v_add_co_u32_e64 v12, s[4:5], 2, v18
	v_mov_b32_e32 v14, s17
	v_addc_co_u32_e64 v13, s[4:5], 0, v13, s[4:5]
	v_addc_co_u32_e32 v15, vcc, v15, v14, vcc
	v_add_co_u32_e32 v14, vcc, 2, v16
	s_add_u32 s4, s26, -1
	v_addc_co_u32_e32 v15, vcc, 0, v15, vcc
	s_addc_u32 s5, s27, -1
	s_mov_b64 s[6:7], 0
	s_mov_b64 s[38:39], 0
                                        ; implicit-def: $sgpr36_sgpr37
	s_branch .LBB695_122
.LBB695_120:                            ;   in Loop: Header=BB695_122 Depth=1
	global_load_ushort v16, v[14:15], off
	global_load_ushort v17, v[12:13], off
	v_add_co_u32_e32 v12, vcc, 2, v12
	v_addc_co_u32_e32 v13, vcc, 0, v13, vcc
	v_add_co_u32_e32 v14, vcc, 2, v14
	v_addc_co_u32_e32 v15, vcc, 0, v15, vcc
	s_add_u32 s38, s38, 1
	s_addc_u32 s39, s39, 0
	s_andn2_b64 s[36:37], s[36:37], exec
	s_waitcnt vmcnt(0)
	v_cmp_ne_u16_e32 vcc, v16, v17
	s_and_b64 s[40:41], vcc, exec
	s_or_b64 s[36:37], s[36:37], s[40:41]
.LBB695_121:                            ;   in Loop: Header=BB695_122 Depth=1
	s_and_b64 s[40:41], exec, s[36:37]
	s_or_b64 s[6:7], s[40:41], s[6:7]
	v_pk_mov_b32 v[16:17], s[38:39], s[38:39] op_sel:[0,1]
	s_andn2_b64 exec, exec, s[6:7]
	s_cbranch_execz .LBB695_124
.LBB695_122:                            ; =>This Inner Loop Header: Depth=1
	s_or_b64 s[36:37], s[36:37], exec
	s_cmp_eq_u64 s[4:5], s[38:39]
	s_cbranch_scc0 .LBB695_120
; %bb.123:                              ;   in Loop: Header=BB695_122 Depth=1
                                        ; implicit-def: $vgpr12_vgpr13
                                        ; implicit-def: $vgpr14_vgpr15
	s_mov_b64 s[38:39], s[26:27]
	s_branch .LBB695_121
.LBB695_124:
	s_or_b64 exec, exec, s[6:7]
	v_cmp_gt_i64_e32 vcc, s[26:27], v[16:17]
	s_orn2_b64 s[36:37], vcc, exec
.LBB695_125:
	s_or_b64 exec, exec, s[14:15]
.LBB695_126:
	s_and_b64 s[36:37], s[36:37], exec
.LBB695_127:
	s_or_b64 exec, exec, s[8:9]
	v_cndmask_b32_e64 v13, 0, 1, s[10:11]
	v_or_b32_e32 v16, v20, v21
.LBB695_128:
	s_mov_b64 s[14:15], -1
	s_cbranch_execnz .LBB695_237
.LBB695_129:
	v_lshlrev_b32_e32 v12, 5, v0
	v_sub_u32_e32 v26, v26, v12
	s_mov_b64 s[36:37], 0
	v_cmp_gt_i64_e64 s[10:11], s[26:27], 0
	s_and_b64 vcc, exec, s[30:31]
	ds_write_b64 v26, v[10:11]
	s_cbranch_vccz .LBB695_137
; %bb.130:
	s_waitcnt vmcnt(0) lgkmcnt(1)
	v_mul_lo_u32 v14, v5, s26
	v_mul_lo_u32 v15, v4, s27
	v_mad_u64_u32 v[12:13], s[4:5], v4, s26, 0
	v_add3_u32 v13, v13, v15, v14
	v_cndmask_b32_e64 v14, 0, 1, s[10:11]
	v_cmp_ne_u32_e64 s[4:5], 1, v14
	s_andn2_b64 vcc, exec, s[10:11]
	v_lshlrev_b64 v[12:13], 1, v[12:13]
	s_cbranch_vccnz .LBB695_140
; %bb.131:
	v_mul_lo_u32 v16, v11, s26
	v_mul_lo_u32 v17, v10, s27
	v_mad_u64_u32 v[14:15], s[6:7], v10, s26, 0
	v_add3_u32 v15, v15, v17, v16
	v_mov_b32_e32 v17, s17
	v_add_co_u32_e32 v16, vcc, s16, v12
	v_addc_co_u32_e64 v17, s[6:7], v17, v13, vcc
	v_lshlrev_b64 v[14:15], 1, v[14:15]
	v_mov_b32_e32 v19, s17
	v_add_co_u32_e64 v18, s[6:7], s16, v14
	v_addc_co_u32_e64 v19, s[8:9], v19, v15, s[6:7]
	global_load_ushort v14, v[16:17], off
	global_load_ushort v20, v[18:19], off
	s_mov_b64 s[36:37], -1
	s_waitcnt vmcnt(0)
	v_cmp_eq_u16_e64 s[8:9], v14, v20
	s_and_saveexec_b64 s[38:39], s[8:9]
	s_cbranch_execz .LBB695_139
; %bb.132:
	v_mov_b32_e32 v14, s17
	v_addc_co_u32_e64 v15, s[6:7], v15, v14, s[6:7]
	v_add_co_u32_e64 v14, s[6:7], 2, v18
	v_mov_b32_e32 v17, s17
	v_addc_co_u32_e64 v15, s[6:7], 0, v15, s[6:7]
	v_addc_co_u32_e32 v17, vcc, v13, v17, vcc
	v_add_co_u32_e32 v16, vcc, 2, v16
	s_add_u32 s6, s26, -1
	v_addc_co_u32_e32 v17, vcc, 0, v17, vcc
	s_addc_u32 s7, s27, -1
	s_mov_b64 s[8:9], 0
	s_mov_b64 s[40:41], 0
                                        ; implicit-def: $sgpr36_sgpr37
	s_branch .LBB695_135
.LBB695_133:                            ;   in Loop: Header=BB695_135 Depth=1
	global_load_ushort v18, v[16:17], off
	global_load_ushort v19, v[14:15], off
	v_add_co_u32_e32 v14, vcc, 2, v14
	v_addc_co_u32_e32 v15, vcc, 0, v15, vcc
	v_add_co_u32_e32 v16, vcc, 2, v16
	v_addc_co_u32_e32 v17, vcc, 0, v17, vcc
	s_add_u32 s40, s40, 1
	s_addc_u32 s41, s41, 0
	s_andn2_b64 s[36:37], s[36:37], exec
	s_waitcnt vmcnt(0)
	v_cmp_ne_u16_e32 vcc, v18, v19
	s_and_b64 s[42:43], vcc, exec
	s_or_b64 s[36:37], s[36:37], s[42:43]
.LBB695_134:                            ;   in Loop: Header=BB695_135 Depth=1
	s_and_b64 s[42:43], exec, s[36:37]
	s_or_b64 s[8:9], s[42:43], s[8:9]
	v_pk_mov_b32 v[18:19], s[40:41], s[40:41] op_sel:[0,1]
	s_andn2_b64 exec, exec, s[8:9]
	s_cbranch_execz .LBB695_138
.LBB695_135:                            ; =>This Inner Loop Header: Depth=1
	s_or_b64 s[36:37], s[36:37], exec
	s_cmp_eq_u64 s[6:7], s[40:41]
	s_cbranch_scc0 .LBB695_133
; %bb.136:                              ;   in Loop: Header=BB695_135 Depth=1
                                        ; implicit-def: $vgpr14_vgpr15
                                        ; implicit-def: $vgpr16_vgpr17
	s_mov_b64 s[40:41], s[26:27]
	s_branch .LBB695_134
.LBB695_137:
                                        ; implicit-def: $sgpr36_sgpr37
                                        ; implicit-def: $vgpr13
                                        ; implicit-def: $vgpr16
	s_cbranch_execnz .LBB695_179
	s_branch .LBB695_237
.LBB695_138:
	s_or_b64 exec, exec, s[8:9]
	v_cmp_gt_i64_e32 vcc, s[26:27], v[18:19]
	s_orn2_b64 s[36:37], vcc, exec
.LBB695_139:
	s_or_b64 exec, exec, s[38:39]
.LBB695_140:
	v_mul_lo_u32 v16, v3, s26
	v_mul_lo_u32 v17, v2, s27
	v_mad_u64_u32 v[14:15], s[6:7], v2, s26, 0
	v_add3_u32 v15, v15, v17, v16
	s_mov_b64 s[38:39], 0
	s_and_b64 vcc, exec, s[4:5]
	v_lshlrev_b64 v[14:15], 1, v[14:15]
	s_mov_b64 s[40:41], 0
	s_cbranch_vccnz .LBB695_149
; %bb.141:
	v_mov_b32_e32 v17, s17
	v_add_co_u32_e32 v16, vcc, s16, v14
	v_addc_co_u32_e64 v17, s[6:7], v17, v15, vcc
	v_mov_b32_e32 v19, s17
	v_add_co_u32_e64 v18, s[6:7], s16, v12
	v_addc_co_u32_e64 v19, s[8:9], v19, v13, s[6:7]
	global_load_ushort v12, v[16:17], off
	global_load_ushort v20, v[18:19], off
	s_mov_b64 s[40:41], -1
	s_waitcnt vmcnt(0)
	v_cmp_eq_u16_e64 s[8:9], v12, v20
	s_and_saveexec_b64 s[42:43], s[8:9]
	s_cbranch_execz .LBB695_148
; %bb.142:
	v_mov_b32_e32 v12, s17
	v_addc_co_u32_e64 v13, s[6:7], v13, v12, s[6:7]
	v_add_co_u32_e64 v12, s[6:7], 2, v18
	v_mov_b32_e32 v17, s17
	v_addc_co_u32_e64 v13, s[6:7], 0, v13, s[6:7]
	v_addc_co_u32_e32 v17, vcc, v15, v17, vcc
	v_add_co_u32_e32 v16, vcc, 2, v16
	s_add_u32 s6, s26, -1
	v_addc_co_u32_e32 v17, vcc, 0, v17, vcc
	s_addc_u32 s7, s27, -1
	s_mov_b64 s[8:9], 0
	s_mov_b64 s[44:45], 0
                                        ; implicit-def: $sgpr40_sgpr41
	s_branch .LBB695_145
.LBB695_143:                            ;   in Loop: Header=BB695_145 Depth=1
	global_load_ushort v18, v[16:17], off
	global_load_ushort v19, v[12:13], off
	v_add_co_u32_e32 v12, vcc, 2, v12
	v_addc_co_u32_e32 v13, vcc, 0, v13, vcc
	v_add_co_u32_e32 v16, vcc, 2, v16
	v_addc_co_u32_e32 v17, vcc, 0, v17, vcc
	s_add_u32 s44, s44, 1
	s_addc_u32 s45, s45, 0
	s_andn2_b64 s[40:41], s[40:41], exec
	s_waitcnt vmcnt(0)
	v_cmp_ne_u16_e32 vcc, v18, v19
	s_and_b64 s[46:47], vcc, exec
	s_or_b64 s[40:41], s[40:41], s[46:47]
.LBB695_144:                            ;   in Loop: Header=BB695_145 Depth=1
	s_and_b64 s[46:47], exec, s[40:41]
	s_or_b64 s[8:9], s[46:47], s[8:9]
	v_pk_mov_b32 v[18:19], s[44:45], s[44:45] op_sel:[0,1]
	s_andn2_b64 exec, exec, s[8:9]
	s_cbranch_execz .LBB695_147
.LBB695_145:                            ; =>This Inner Loop Header: Depth=1
	s_or_b64 s[40:41], s[40:41], exec
	s_cmp_eq_u64 s[6:7], s[44:45]
	s_cbranch_scc0 .LBB695_143
; %bb.146:                              ;   in Loop: Header=BB695_145 Depth=1
                                        ; implicit-def: $vgpr12_vgpr13
                                        ; implicit-def: $vgpr16_vgpr17
	s_mov_b64 s[44:45], s[26:27]
	s_branch .LBB695_144
.LBB695_147:
	s_or_b64 exec, exec, s[8:9]
	v_cmp_gt_i64_e32 vcc, s[26:27], v[18:19]
	s_orn2_b64 s[40:41], vcc, exec
.LBB695_148:
	s_or_b64 exec, exec, s[42:43]
.LBB695_149:
	v_mul_lo_u32 v16, v9, s26
	v_mul_lo_u32 v17, v8, s27
	v_mad_u64_u32 v[12:13], s[6:7], v8, s26, 0
	v_add3_u32 v13, v13, v17, v16
	s_and_b64 vcc, exec, s[4:5]
	v_lshlrev_b64 v[12:13], 1, v[12:13]
	s_cbranch_vccnz .LBB695_158
; %bb.150:
	v_mov_b32_e32 v17, s17
	v_add_co_u32_e32 v16, vcc, s16, v12
	v_addc_co_u32_e64 v17, s[6:7], v17, v13, vcc
	v_mov_b32_e32 v19, s17
	v_add_co_u32_e64 v18, s[6:7], s16, v14
	v_addc_co_u32_e64 v19, s[8:9], v19, v15, s[6:7]
	global_load_ushort v14, v[16:17], off
	global_load_ushort v20, v[18:19], off
	s_mov_b64 s[38:39], -1
	s_waitcnt vmcnt(0)
	v_cmp_eq_u16_e64 s[8:9], v14, v20
	s_and_saveexec_b64 s[42:43], s[8:9]
	s_cbranch_execz .LBB695_157
; %bb.151:
	v_mov_b32_e32 v14, s17
	v_addc_co_u32_e64 v15, s[6:7], v15, v14, s[6:7]
	v_add_co_u32_e64 v14, s[6:7], 2, v18
	v_mov_b32_e32 v17, s17
	v_addc_co_u32_e64 v15, s[6:7], 0, v15, s[6:7]
	v_addc_co_u32_e32 v17, vcc, v13, v17, vcc
	v_add_co_u32_e32 v16, vcc, 2, v16
	s_add_u32 s6, s26, -1
	v_addc_co_u32_e32 v17, vcc, 0, v17, vcc
	s_addc_u32 s7, s27, -1
	s_mov_b64 s[8:9], 0
	s_mov_b64 s[44:45], 0
                                        ; implicit-def: $sgpr38_sgpr39
	s_branch .LBB695_154
.LBB695_152:                            ;   in Loop: Header=BB695_154 Depth=1
	global_load_ushort v18, v[16:17], off
	global_load_ushort v19, v[14:15], off
	v_add_co_u32_e32 v14, vcc, 2, v14
	v_addc_co_u32_e32 v15, vcc, 0, v15, vcc
	v_add_co_u32_e32 v16, vcc, 2, v16
	v_addc_co_u32_e32 v17, vcc, 0, v17, vcc
	s_add_u32 s44, s44, 1
	s_addc_u32 s45, s45, 0
	s_andn2_b64 s[38:39], s[38:39], exec
	s_waitcnt vmcnt(0)
	v_cmp_ne_u16_e32 vcc, v18, v19
	s_and_b64 s[46:47], vcc, exec
	s_or_b64 s[38:39], s[38:39], s[46:47]
.LBB695_153:                            ;   in Loop: Header=BB695_154 Depth=1
	s_and_b64 s[46:47], exec, s[38:39]
	s_or_b64 s[8:9], s[46:47], s[8:9]
	v_pk_mov_b32 v[18:19], s[44:45], s[44:45] op_sel:[0,1]
	s_andn2_b64 exec, exec, s[8:9]
	s_cbranch_execz .LBB695_156
.LBB695_154:                            ; =>This Inner Loop Header: Depth=1
	s_or_b64 s[38:39], s[38:39], exec
	s_cmp_eq_u64 s[6:7], s[44:45]
	s_cbranch_scc0 .LBB695_152
; %bb.155:                              ;   in Loop: Header=BB695_154 Depth=1
                                        ; implicit-def: $vgpr14_vgpr15
                                        ; implicit-def: $vgpr16_vgpr17
	s_mov_b64 s[44:45], s[26:27]
	s_branch .LBB695_153
.LBB695_156:
	s_or_b64 exec, exec, s[8:9]
	v_cmp_gt_i64_e32 vcc, s[26:27], v[18:19]
	s_orn2_b64 s[38:39], vcc, exec
.LBB695_157:
	s_or_b64 exec, exec, s[42:43]
.LBB695_158:
	v_mul_lo_u32 v16, v7, s26
	v_mul_lo_u32 v17, v6, s27
	v_mad_u64_u32 v[14:15], s[6:7], v6, s26, 0
	v_add3_u32 v15, v15, v17, v16
	s_and_b64 vcc, exec, s[4:5]
	s_mov_b64 s[44:45], 0
	s_cbranch_vccnz .LBB695_167
; %bb.159:
	v_lshlrev_b64 v[16:17], 1, v[14:15]
	v_mov_b32_e32 v19, s17
	v_add_co_u32_e32 v18, vcc, s16, v16
	v_addc_co_u32_e64 v19, s[6:7], v19, v17, vcc
	v_mov_b32_e32 v16, s17
	v_add_co_u32_e64 v20, s[6:7], s16, v12
	v_addc_co_u32_e64 v21, s[8:9], v16, v13, s[6:7]
	global_load_ushort v12, v[18:19], off
	global_load_ushort v16, v[20:21], off
	s_mov_b64 s[44:45], -1
	s_waitcnt vmcnt(0)
	v_cmp_eq_u16_e64 s[8:9], v12, v16
	s_and_saveexec_b64 s[42:43], s[8:9]
	s_cbranch_execz .LBB695_166
; %bb.160:
	v_mov_b32_e32 v12, s17
	v_addc_co_u32_e64 v13, s[6:7], v13, v12, s[6:7]
	v_add_co_u32_e64 v12, s[6:7], 2, v20
	v_mov_b32_e32 v16, s17
	v_addc_co_u32_e64 v13, s[6:7], 0, v13, s[6:7]
	v_addc_co_u32_e32 v17, vcc, v17, v16, vcc
	v_add_co_u32_e32 v16, vcc, 2, v18
	s_add_u32 s6, s26, -1
	v_addc_co_u32_e32 v17, vcc, 0, v17, vcc
	s_addc_u32 s7, s27, -1
	s_mov_b64 s[8:9], 0
	s_mov_b64 s[46:47], 0
                                        ; implicit-def: $sgpr44_sgpr45
	s_branch .LBB695_163
.LBB695_161:                            ;   in Loop: Header=BB695_163 Depth=1
	global_load_ushort v18, v[16:17], off
	global_load_ushort v19, v[12:13], off
	v_add_co_u32_e32 v12, vcc, 2, v12
	v_addc_co_u32_e32 v13, vcc, 0, v13, vcc
	v_add_co_u32_e32 v16, vcc, 2, v16
	v_addc_co_u32_e32 v17, vcc, 0, v17, vcc
	s_add_u32 s46, s46, 1
	s_addc_u32 s47, s47, 0
	s_andn2_b64 s[44:45], s[44:45], exec
	s_waitcnt vmcnt(0)
	v_cmp_ne_u16_e32 vcc, v18, v19
	s_and_b64 s[50:51], vcc, exec
	s_or_b64 s[44:45], s[44:45], s[50:51]
.LBB695_162:                            ;   in Loop: Header=BB695_163 Depth=1
	s_and_b64 s[50:51], exec, s[44:45]
	s_or_b64 s[8:9], s[50:51], s[8:9]
	v_pk_mov_b32 v[18:19], s[46:47], s[46:47] op_sel:[0,1]
	s_andn2_b64 exec, exec, s[8:9]
	s_cbranch_execz .LBB695_165
.LBB695_163:                            ; =>This Inner Loop Header: Depth=1
	s_or_b64 s[44:45], s[44:45], exec
	s_cmp_eq_u64 s[6:7], s[46:47]
	s_cbranch_scc0 .LBB695_161
; %bb.164:                              ;   in Loop: Header=BB695_163 Depth=1
                                        ; implicit-def: $vgpr12_vgpr13
                                        ; implicit-def: $vgpr16_vgpr17
	s_mov_b64 s[46:47], s[26:27]
	s_branch .LBB695_162
.LBB695_165:
	s_or_b64 exec, exec, s[8:9]
	v_cmp_gt_i64_e32 vcc, s[26:27], v[18:19]
	s_orn2_b64 s[44:45], vcc, exec
.LBB695_166:
	s_or_b64 exec, exec, s[42:43]
.LBB695_167:
	v_cndmask_b32_e64 v13, 0, 1, s[40:41]
	v_cndmask_b32_e64 v16, 0, 1, s[44:45]
	;; [unrolled: 1-line block ×3, first 2 shown]
	v_lshlrev_b16_e32 v16, 8, v16
	v_lshlrev_b16_e32 v13, 8, v13
	v_or_b32_e32 v16, 1, v16
	v_or_b32_sdwa v12, v12, v13 dst_sel:WORD_1 dst_unused:UNUSED_PAD src0_sel:DWORD src1_sel:DWORD
	v_or_b32_sdwa v12, v16, v12 dst_sel:DWORD dst_unused:UNUSED_PAD src0_sel:WORD_0 src1_sel:DWORD
	v_cndmask_b32_e64 v13, 0, 1, s[36:37]
	s_waitcnt lgkmcnt(0)
	s_barrier
	s_waitcnt lgkmcnt(0)
                                        ; implicit-def: $sgpr36_sgpr37
                                        ; implicit-def: $vgpr16
	s_and_saveexec_b64 s[6:7], s[2:3]
	s_xor_b64 s[8:9], exec, s[6:7]
	s_cbranch_execz .LBB695_178
; %bb.168:
	s_mov_b32 s42, 0x3020104
	s_and_b64 vcc, exec, s[4:5]
	s_mov_b64 s[38:39], 0
	s_cbranch_vccnz .LBB695_177
; %bb.169:
	v_add_u32_e32 v16, -8, v26
	ds_read_b64 v[16:17], v16
	v_mov_b32_e32 v19, s17
	v_lshlrev_b64 v[14:15], 1, v[14:15]
	s_mov_b64 s[38:39], -1
	s_waitcnt lgkmcnt(0)
	v_mul_lo_u32 v18, v17, s26
	v_mul_lo_u32 v20, v16, s27
	v_mad_u64_u32 v[16:17], s[4:5], v16, s26, 0
	v_add3_u32 v17, v17, v20, v18
	v_lshlrev_b64 v[16:17], 1, v[16:17]
	v_add_co_u32_e32 v18, vcc, s16, v16
	v_addc_co_u32_e64 v19, s[4:5], v19, v17, vcc
	v_mov_b32_e32 v16, s17
	v_add_co_u32_e64 v20, s[4:5], s16, v14
	v_addc_co_u32_e64 v21, s[6:7], v16, v15, s[4:5]
	global_load_ushort v14, v[18:19], off
	global_load_ushort v16, v[20:21], off
	s_waitcnt vmcnt(0)
	v_cmp_eq_u16_e64 s[6:7], v14, v16
	s_and_saveexec_b64 s[36:37], s[6:7]
	s_cbranch_execz .LBB695_176
; %bb.170:
	v_mov_b32_e32 v14, s17
	v_addc_co_u32_e64 v15, s[4:5], v15, v14, s[4:5]
	v_add_co_u32_e64 v14, s[4:5], 2, v20
	v_mov_b32_e32 v16, s17
	v_addc_co_u32_e64 v15, s[4:5], 0, v15, s[4:5]
	v_addc_co_u32_e32 v17, vcc, v17, v16, vcc
	v_add_co_u32_e32 v16, vcc, 2, v18
	s_add_u32 s4, s26, -1
	v_addc_co_u32_e32 v17, vcc, 0, v17, vcc
	s_addc_u32 s5, s27, -1
	s_mov_b64 s[6:7], 0
	s_mov_b64 s[40:41], 0
                                        ; implicit-def: $sgpr38_sgpr39
	s_branch .LBB695_173
.LBB695_171:                            ;   in Loop: Header=BB695_173 Depth=1
	global_load_ushort v18, v[16:17], off
	global_load_ushort v19, v[14:15], off
	v_add_co_u32_e32 v14, vcc, 2, v14
	v_addc_co_u32_e32 v15, vcc, 0, v15, vcc
	v_add_co_u32_e32 v16, vcc, 2, v16
	v_addc_co_u32_e32 v17, vcc, 0, v17, vcc
	s_add_u32 s40, s40, 1
	s_addc_u32 s41, s41, 0
	s_andn2_b64 s[38:39], s[38:39], exec
	s_waitcnt vmcnt(0)
	v_cmp_ne_u16_e32 vcc, v18, v19
	s_and_b64 s[44:45], vcc, exec
	s_or_b64 s[38:39], s[38:39], s[44:45]
.LBB695_172:                            ;   in Loop: Header=BB695_173 Depth=1
	s_and_b64 s[44:45], exec, s[38:39]
	s_or_b64 s[6:7], s[44:45], s[6:7]
	v_pk_mov_b32 v[18:19], s[40:41], s[40:41] op_sel:[0,1]
	s_andn2_b64 exec, exec, s[6:7]
	s_cbranch_execz .LBB695_175
.LBB695_173:                            ; =>This Inner Loop Header: Depth=1
	s_or_b64 s[38:39], s[38:39], exec
	s_cmp_eq_u64 s[4:5], s[40:41]
	s_cbranch_scc0 .LBB695_171
; %bb.174:                              ;   in Loop: Header=BB695_173 Depth=1
                                        ; implicit-def: $vgpr14_vgpr15
                                        ; implicit-def: $vgpr16_vgpr17
	s_mov_b64 s[40:41], s[26:27]
	s_branch .LBB695_172
.LBB695_175:
	s_or_b64 exec, exec, s[6:7]
	v_cmp_gt_i64_e32 vcc, s[26:27], v[18:19]
	s_orn2_b64 s[38:39], vcc, exec
.LBB695_176:
	s_or_b64 exec, exec, s[36:37]
.LBB695_177:
	v_perm_b32 v16, v12, v12, s42
	s_and_b64 s[36:37], s[38:39], exec
	s_or_b64 s[14:15], s[14:15], exec
.LBB695_178:
	s_or_b64 exec, exec, s[8:9]
	s_branch .LBB695_237
.LBB695_179:
	v_cmp_gt_u32_e32 vcc, s48, v23
	s_mov_b64 s[36:37], 0
	s_mov_b64 s[8:9], 0
	s_and_saveexec_b64 s[38:39], vcc
	s_cbranch_execz .LBB695_190
; %bb.180:
	s_andn2_b64 vcc, exec, s[10:11]
	s_mov_b64 s[40:41], 0
	s_cbranch_vccnz .LBB695_189
; %bb.181:
	s_waitcnt vmcnt(0) lgkmcnt(1)
	v_mul_lo_u32 v14, v5, s26
	v_mul_lo_u32 v15, v4, s27
	v_mad_u64_u32 v[12:13], s[4:5], v4, s26, 0
	v_add3_u32 v13, v13, v15, v14
	v_mul_lo_u32 v14, v11, s26
	v_mul_lo_u32 v15, v10, s27
	v_mad_u64_u32 v[18:19], s[4:5], v10, s26, 0
	v_add3_u32 v19, v19, v15, v14
	v_lshlrev_b64 v[14:15], 1, v[12:13]
	v_mov_b32_e32 v12, s17
	v_add_co_u32_e32 v16, vcc, s16, v14
	v_addc_co_u32_e64 v17, s[4:5], v12, v15, vcc
	v_lshlrev_b64 v[12:13], 1, v[18:19]
	v_mov_b32_e32 v14, s17
	v_add_co_u32_e64 v18, s[4:5], s16, v12
	v_addc_co_u32_e64 v19, s[6:7], v14, v13, s[4:5]
	global_load_ushort v12, v[16:17], off
	global_load_ushort v14, v[18:19], off
	s_mov_b64 s[40:41], -1
	s_waitcnt vmcnt(0)
	v_cmp_eq_u16_e64 s[6:7], v12, v14
	s_and_saveexec_b64 s[8:9], s[6:7]
	s_cbranch_execz .LBB695_188
; %bb.182:
	v_mov_b32_e32 v12, s17
	v_addc_co_u32_e64 v13, s[4:5], v13, v12, s[4:5]
	v_add_co_u32_e64 v12, s[4:5], 2, v18
	v_mov_b32_e32 v14, s17
	v_addc_co_u32_e64 v13, s[4:5], 0, v13, s[4:5]
	v_addc_co_u32_e32 v15, vcc, v15, v14, vcc
	v_add_co_u32_e32 v14, vcc, 2, v16
	s_add_u32 s4, s26, -1
	v_addc_co_u32_e32 v15, vcc, 0, v15, vcc
	s_addc_u32 s5, s27, -1
	s_mov_b64 s[6:7], 0
	s_mov_b64 s[42:43], 0
                                        ; implicit-def: $sgpr40_sgpr41
	s_branch .LBB695_185
.LBB695_183:                            ;   in Loop: Header=BB695_185 Depth=1
	global_load_ushort v16, v[14:15], off
	global_load_ushort v17, v[12:13], off
	v_add_co_u32_e32 v12, vcc, 2, v12
	v_addc_co_u32_e32 v13, vcc, 0, v13, vcc
	v_add_co_u32_e32 v14, vcc, 2, v14
	v_addc_co_u32_e32 v15, vcc, 0, v15, vcc
	s_add_u32 s42, s42, 1
	s_addc_u32 s43, s43, 0
	s_andn2_b64 s[40:41], s[40:41], exec
	s_waitcnt vmcnt(0)
	v_cmp_ne_u16_e32 vcc, v16, v17
	s_and_b64 s[44:45], vcc, exec
	s_or_b64 s[40:41], s[40:41], s[44:45]
.LBB695_184:                            ;   in Loop: Header=BB695_185 Depth=1
	s_and_b64 s[44:45], exec, s[40:41]
	s_or_b64 s[6:7], s[44:45], s[6:7]
	v_pk_mov_b32 v[16:17], s[42:43], s[42:43] op_sel:[0,1]
	s_andn2_b64 exec, exec, s[6:7]
	s_cbranch_execz .LBB695_187
.LBB695_185:                            ; =>This Inner Loop Header: Depth=1
	s_or_b64 s[40:41], s[40:41], exec
	s_cmp_eq_u64 s[4:5], s[42:43]
	s_cbranch_scc0 .LBB695_183
; %bb.186:                              ;   in Loop: Header=BB695_185 Depth=1
                                        ; implicit-def: $vgpr12_vgpr13
                                        ; implicit-def: $vgpr14_vgpr15
	s_mov_b64 s[42:43], s[26:27]
	s_branch .LBB695_184
.LBB695_187:
	s_or_b64 exec, exec, s[6:7]
	v_cmp_gt_i64_e32 vcc, s[26:27], v[16:17]
	s_orn2_b64 s[40:41], vcc, exec
.LBB695_188:
	s_or_b64 exec, exec, s[8:9]
.LBB695_189:
	s_and_b64 s[8:9], s[40:41], exec
.LBB695_190:
	s_or_b64 exec, exec, s[38:39]
	v_cmp_gt_u32_e32 vcc, s48, v25
	s_and_saveexec_b64 s[38:39], vcc
	s_cbranch_execz .LBB695_201
; %bb.191:
	s_andn2_b64 vcc, exec, s[10:11]
	s_mov_b64 s[40:41], 0
	s_cbranch_vccnz .LBB695_200
; %bb.192:
	s_waitcnt vmcnt(0) lgkmcnt(1)
	v_mul_lo_u32 v14, v3, s26
	v_mul_lo_u32 v15, v2, s27
	v_mad_u64_u32 v[12:13], s[4:5], v2, s26, 0
	v_add3_u32 v13, v13, v15, v14
	v_mul_lo_u32 v14, v5, s26
	v_mul_lo_u32 v15, v4, s27
	v_mad_u64_u32 v[18:19], s[4:5], v4, s26, 0
	v_add3_u32 v19, v19, v15, v14
	v_lshlrev_b64 v[14:15], 1, v[12:13]
	v_mov_b32_e32 v12, s17
	v_add_co_u32_e32 v16, vcc, s16, v14
	v_addc_co_u32_e64 v17, s[4:5], v12, v15, vcc
	v_lshlrev_b64 v[12:13], 1, v[18:19]
	v_mov_b32_e32 v14, s17
	v_add_co_u32_e64 v18, s[4:5], s16, v12
	v_addc_co_u32_e64 v19, s[6:7], v14, v13, s[4:5]
	global_load_ushort v12, v[16:17], off
	global_load_ushort v14, v[18:19], off
	s_mov_b64 s[40:41], -1
	s_waitcnt vmcnt(0)
	v_cmp_eq_u16_e64 s[6:7], v12, v14
	s_and_saveexec_b64 s[36:37], s[6:7]
	s_cbranch_execz .LBB695_199
; %bb.193:
	v_mov_b32_e32 v12, s17
	v_addc_co_u32_e64 v13, s[4:5], v13, v12, s[4:5]
	v_add_co_u32_e64 v12, s[4:5], 2, v18
	v_mov_b32_e32 v14, s17
	v_addc_co_u32_e64 v13, s[4:5], 0, v13, s[4:5]
	v_addc_co_u32_e32 v15, vcc, v15, v14, vcc
	v_add_co_u32_e32 v14, vcc, 2, v16
	s_add_u32 s4, s26, -1
	v_addc_co_u32_e32 v15, vcc, 0, v15, vcc
	s_addc_u32 s5, s27, -1
	s_mov_b64 s[6:7], 0
	s_mov_b64 s[42:43], 0
                                        ; implicit-def: $sgpr40_sgpr41
	s_branch .LBB695_196
.LBB695_194:                            ;   in Loop: Header=BB695_196 Depth=1
	global_load_ushort v16, v[14:15], off
	global_load_ushort v17, v[12:13], off
	v_add_co_u32_e32 v12, vcc, 2, v12
	v_addc_co_u32_e32 v13, vcc, 0, v13, vcc
	v_add_co_u32_e32 v14, vcc, 2, v14
	v_addc_co_u32_e32 v15, vcc, 0, v15, vcc
	s_add_u32 s42, s42, 1
	s_addc_u32 s43, s43, 0
	s_andn2_b64 s[40:41], s[40:41], exec
	s_waitcnt vmcnt(0)
	v_cmp_ne_u16_e32 vcc, v16, v17
	s_and_b64 s[44:45], vcc, exec
	s_or_b64 s[40:41], s[40:41], s[44:45]
.LBB695_195:                            ;   in Loop: Header=BB695_196 Depth=1
	s_and_b64 s[44:45], exec, s[40:41]
	s_or_b64 s[6:7], s[44:45], s[6:7]
	v_pk_mov_b32 v[16:17], s[42:43], s[42:43] op_sel:[0,1]
	s_andn2_b64 exec, exec, s[6:7]
	s_cbranch_execz .LBB695_198
.LBB695_196:                            ; =>This Inner Loop Header: Depth=1
	s_or_b64 s[40:41], s[40:41], exec
	s_cmp_eq_u64 s[4:5], s[42:43]
	s_cbranch_scc0 .LBB695_194
; %bb.197:                              ;   in Loop: Header=BB695_196 Depth=1
                                        ; implicit-def: $vgpr12_vgpr13
                                        ; implicit-def: $vgpr14_vgpr15
	s_mov_b64 s[42:43], s[26:27]
	s_branch .LBB695_195
.LBB695_198:
	s_or_b64 exec, exec, s[6:7]
	v_cmp_gt_i64_e32 vcc, s[26:27], v[16:17]
	s_orn2_b64 s[40:41], vcc, exec
.LBB695_199:
	s_or_b64 exec, exec, s[36:37]
.LBB695_200:
	s_and_b64 s[36:37], s[40:41], exec
.LBB695_201:
	s_or_b64 exec, exec, s[38:39]
	v_cmp_gt_u32_e32 vcc, s48, v22
	s_mov_b64 s[38:39], 0
	s_mov_b64 s[40:41], 0
	s_and_saveexec_b64 s[42:43], vcc
	s_cbranch_execz .LBB695_212
; %bb.202:
	s_andn2_b64 vcc, exec, s[10:11]
	s_mov_b64 s[44:45], 0
	s_cbranch_vccnz .LBB695_211
; %bb.203:
	s_waitcnt vmcnt(0) lgkmcnt(1)
	v_mul_lo_u32 v14, v9, s26
	v_mul_lo_u32 v15, v8, s27
	v_mad_u64_u32 v[12:13], s[4:5], v8, s26, 0
	v_add3_u32 v13, v13, v15, v14
	v_mul_lo_u32 v14, v3, s26
	v_mul_lo_u32 v15, v2, s27
	v_mad_u64_u32 v[18:19], s[4:5], v2, s26, 0
	v_add3_u32 v19, v19, v15, v14
	v_lshlrev_b64 v[14:15], 1, v[12:13]
	v_mov_b32_e32 v12, s17
	v_add_co_u32_e32 v16, vcc, s16, v14
	v_addc_co_u32_e64 v17, s[4:5], v12, v15, vcc
	v_lshlrev_b64 v[12:13], 1, v[18:19]
	v_mov_b32_e32 v14, s17
	v_add_co_u32_e64 v18, s[4:5], s16, v12
	v_addc_co_u32_e64 v19, s[6:7], v14, v13, s[4:5]
	global_load_ushort v12, v[16:17], off
	global_load_ushort v14, v[18:19], off
	s_mov_b64 s[44:45], -1
	s_waitcnt vmcnt(0)
	v_cmp_eq_u16_e64 s[6:7], v12, v14
	s_and_saveexec_b64 s[40:41], s[6:7]
	s_cbranch_execz .LBB695_210
; %bb.204:
	v_mov_b32_e32 v12, s17
	v_addc_co_u32_e64 v13, s[4:5], v13, v12, s[4:5]
	v_add_co_u32_e64 v12, s[4:5], 2, v18
	v_mov_b32_e32 v14, s17
	v_addc_co_u32_e64 v13, s[4:5], 0, v13, s[4:5]
	v_addc_co_u32_e32 v15, vcc, v15, v14, vcc
	v_add_co_u32_e32 v14, vcc, 2, v16
	s_add_u32 s4, s26, -1
	v_addc_co_u32_e32 v15, vcc, 0, v15, vcc
	s_addc_u32 s5, s27, -1
	s_mov_b64 s[6:7], 0
	s_mov_b64 s[46:47], 0
                                        ; implicit-def: $sgpr44_sgpr45
	s_branch .LBB695_207
.LBB695_205:                            ;   in Loop: Header=BB695_207 Depth=1
	global_load_ushort v16, v[14:15], off
	global_load_ushort v17, v[12:13], off
	v_add_co_u32_e32 v12, vcc, 2, v12
	v_addc_co_u32_e32 v13, vcc, 0, v13, vcc
	v_add_co_u32_e32 v14, vcc, 2, v14
	v_addc_co_u32_e32 v15, vcc, 0, v15, vcc
	s_add_u32 s46, s46, 1
	s_addc_u32 s47, s47, 0
	s_andn2_b64 s[44:45], s[44:45], exec
	s_waitcnt vmcnt(0)
	v_cmp_ne_u16_e32 vcc, v16, v17
	s_and_b64 s[50:51], vcc, exec
	s_or_b64 s[44:45], s[44:45], s[50:51]
.LBB695_206:                            ;   in Loop: Header=BB695_207 Depth=1
	s_and_b64 s[50:51], exec, s[44:45]
	s_or_b64 s[6:7], s[50:51], s[6:7]
	v_pk_mov_b32 v[16:17], s[46:47], s[46:47] op_sel:[0,1]
	s_andn2_b64 exec, exec, s[6:7]
	s_cbranch_execz .LBB695_209
.LBB695_207:                            ; =>This Inner Loop Header: Depth=1
	s_or_b64 s[44:45], s[44:45], exec
	s_cmp_eq_u64 s[4:5], s[46:47]
	s_cbranch_scc0 .LBB695_205
; %bb.208:                              ;   in Loop: Header=BB695_207 Depth=1
                                        ; implicit-def: $vgpr12_vgpr13
                                        ; implicit-def: $vgpr14_vgpr15
	s_mov_b64 s[46:47], s[26:27]
	s_branch .LBB695_206
.LBB695_209:
	s_or_b64 exec, exec, s[6:7]
	v_cmp_gt_i64_e32 vcc, s[26:27], v[16:17]
	s_orn2_b64 s[44:45], vcc, exec
.LBB695_210:
	s_or_b64 exec, exec, s[40:41]
.LBB695_211:
	s_and_b64 s[40:41], s[44:45], exec
.LBB695_212:
	s_or_b64 exec, exec, s[42:43]
	v_cmp_gt_u32_e32 vcc, s48, v24
	s_and_saveexec_b64 s[42:43], vcc
	s_cbranch_execz .LBB695_223
; %bb.213:
	s_andn2_b64 vcc, exec, s[10:11]
	s_mov_b64 s[44:45], 0
	s_cbranch_vccnz .LBB695_222
; %bb.214:
	s_waitcnt vmcnt(0) lgkmcnt(1)
	v_mul_lo_u32 v14, v7, s26
	v_mul_lo_u32 v15, v6, s27
	v_mad_u64_u32 v[12:13], s[4:5], v6, s26, 0
	v_add3_u32 v13, v13, v15, v14
	v_mul_lo_u32 v14, v9, s26
	v_mul_lo_u32 v15, v8, s27
	v_mad_u64_u32 v[18:19], s[4:5], v8, s26, 0
	v_add3_u32 v19, v19, v15, v14
	v_lshlrev_b64 v[14:15], 1, v[12:13]
	v_mov_b32_e32 v12, s17
	v_add_co_u32_e32 v16, vcc, s16, v14
	v_addc_co_u32_e64 v17, s[4:5], v12, v15, vcc
	v_lshlrev_b64 v[12:13], 1, v[18:19]
	v_mov_b32_e32 v14, s17
	v_add_co_u32_e64 v18, s[4:5], s16, v12
	v_addc_co_u32_e64 v19, s[6:7], v14, v13, s[4:5]
	global_load_ushort v12, v[16:17], off
	global_load_ushort v14, v[18:19], off
	s_mov_b64 s[44:45], -1
	s_waitcnt vmcnt(0)
	v_cmp_eq_u16_e64 s[6:7], v12, v14
	s_and_saveexec_b64 s[38:39], s[6:7]
	s_cbranch_execz .LBB695_221
; %bb.215:
	v_mov_b32_e32 v12, s17
	v_addc_co_u32_e64 v13, s[4:5], v13, v12, s[4:5]
	v_add_co_u32_e64 v12, s[4:5], 2, v18
	v_mov_b32_e32 v14, s17
	v_addc_co_u32_e64 v13, s[4:5], 0, v13, s[4:5]
	v_addc_co_u32_e32 v15, vcc, v15, v14, vcc
	v_add_co_u32_e32 v14, vcc, 2, v16
	s_add_u32 s4, s26, -1
	v_addc_co_u32_e32 v15, vcc, 0, v15, vcc
	s_addc_u32 s5, s27, -1
	s_mov_b64 s[6:7], 0
	s_mov_b64 s[46:47], 0
                                        ; implicit-def: $sgpr44_sgpr45
	s_branch .LBB695_218
.LBB695_216:                            ;   in Loop: Header=BB695_218 Depth=1
	global_load_ushort v16, v[14:15], off
	global_load_ushort v17, v[12:13], off
	v_add_co_u32_e32 v12, vcc, 2, v12
	v_addc_co_u32_e32 v13, vcc, 0, v13, vcc
	v_add_co_u32_e32 v14, vcc, 2, v14
	v_addc_co_u32_e32 v15, vcc, 0, v15, vcc
	s_add_u32 s46, s46, 1
	s_addc_u32 s47, s47, 0
	s_andn2_b64 s[44:45], s[44:45], exec
	s_waitcnt vmcnt(0)
	v_cmp_ne_u16_e32 vcc, v16, v17
	s_and_b64 s[50:51], vcc, exec
	s_or_b64 s[44:45], s[44:45], s[50:51]
.LBB695_217:                            ;   in Loop: Header=BB695_218 Depth=1
	s_and_b64 s[50:51], exec, s[44:45]
	s_or_b64 s[6:7], s[50:51], s[6:7]
	v_pk_mov_b32 v[16:17], s[46:47], s[46:47] op_sel:[0,1]
	s_andn2_b64 exec, exec, s[6:7]
	s_cbranch_execz .LBB695_220
.LBB695_218:                            ; =>This Inner Loop Header: Depth=1
	s_or_b64 s[44:45], s[44:45], exec
	s_cmp_eq_u64 s[4:5], s[46:47]
	s_cbranch_scc0 .LBB695_216
; %bb.219:                              ;   in Loop: Header=BB695_218 Depth=1
                                        ; implicit-def: $vgpr12_vgpr13
                                        ; implicit-def: $vgpr14_vgpr15
	s_mov_b64 s[46:47], s[26:27]
	s_branch .LBB695_217
.LBB695_220:
	s_or_b64 exec, exec, s[6:7]
	v_cmp_gt_i64_e32 vcc, s[26:27], v[16:17]
	s_orn2_b64 s[44:45], vcc, exec
.LBB695_221:
	s_or_b64 exec, exec, s[38:39]
.LBB695_222:
	s_and_b64 s[38:39], s[44:45], exec
.LBB695_223:
	s_or_b64 exec, exec, s[42:43]
	v_cndmask_b32_e64 v13, 0, 1, s[36:37]
	s_waitcnt vmcnt(0) lgkmcnt(1)
	v_cndmask_b32_e64 v14, 0, 1, s[38:39]
	v_cndmask_b32_e64 v12, 0, 1, s[40:41]
	v_lshlrev_b16_e32 v14, 8, v14
	v_lshlrev_b16_e32 v13, 8, v13
	v_or_b32_e32 v14, 1, v14
	v_or_b32_sdwa v12, v12, v13 dst_sel:WORD_1 dst_unused:UNUSED_PAD src0_sel:DWORD src1_sel:DWORD
	v_or_b32_sdwa v12, v14, v12 dst_sel:DWORD dst_unused:UNUSED_PAD src0_sel:WORD_0 src1_sel:DWORD
	v_cndmask_b32_e64 v13, 0, 1, s[8:9]
	s_waitcnt lgkmcnt(0)
	s_barrier
	s_waitcnt lgkmcnt(0)
                                        ; implicit-def: $sgpr36_sgpr37
                                        ; implicit-def: $vgpr16
	s_and_saveexec_b64 s[6:7], s[2:3]
	s_cbranch_execz .LBB695_236
; %bb.224:
	v_cmp_gt_u32_e32 vcc, s48, v1
	s_mov_b32 s38, 0x3020104
	s_mov_b64 s[2:3], 0
	s_and_saveexec_b64 s[8:9], vcc
	s_cbranch_execz .LBB695_235
; %bb.225:
	s_andn2_b64 vcc, exec, s[10:11]
	s_mov_b64 s[36:37], 0
	s_cbranch_vccnz .LBB695_234
; %bb.226:
	v_add_u32_e32 v14, -8, v26
	ds_read_b64 v[14:15], v14
	v_mul_lo_u32 v16, v7, s26
	v_mad_u64_u32 v[20:21], s[2:3], v6, s26, 0
	s_mov_b64 s[36:37], -1
	s_waitcnt lgkmcnt(0)
	v_mul_lo_u32 v17, v15, s26
	v_mul_lo_u32 v18, v14, s27
	v_mad_u64_u32 v[14:15], s[2:3], v14, s26, 0
	v_add3_u32 v15, v15, v18, v17
	v_mul_lo_u32 v17, v6, s27
	v_add3_u32 v21, v21, v17, v16
	v_lshlrev_b64 v[16:17], 1, v[14:15]
	v_mov_b32_e32 v14, s17
	v_add_co_u32_e32 v18, vcc, s16, v16
	v_addc_co_u32_e64 v19, s[2:3], v14, v17, vcc
	v_lshlrev_b64 v[14:15], 1, v[20:21]
	v_mov_b32_e32 v16, s17
	v_add_co_u32_e64 v20, s[2:3], s16, v14
	v_addc_co_u32_e64 v21, s[4:5], v16, v15, s[2:3]
	global_load_ushort v14, v[18:19], off
	global_load_ushort v16, v[20:21], off
	s_waitcnt vmcnt(0)
	v_cmp_eq_u16_e64 s[4:5], v14, v16
	s_and_saveexec_b64 s[10:11], s[4:5]
	s_cbranch_execz .LBB695_233
; %bb.227:
	v_mov_b32_e32 v14, s17
	v_addc_co_u32_e64 v15, s[2:3], v15, v14, s[2:3]
	v_add_co_u32_e64 v14, s[2:3], 2, v20
	v_mov_b32_e32 v16, s17
	v_addc_co_u32_e64 v15, s[2:3], 0, v15, s[2:3]
	v_addc_co_u32_e32 v17, vcc, v17, v16, vcc
	v_add_co_u32_e32 v16, vcc, 2, v18
	s_add_u32 s2, s26, -1
	v_addc_co_u32_e32 v17, vcc, 0, v17, vcc
	s_addc_u32 s3, s27, -1
	s_mov_b64 s[4:5], 0
	s_mov_b64 s[36:37], 0
                                        ; implicit-def: $sgpr16_sgpr17
	s_branch .LBB695_230
.LBB695_228:                            ;   in Loop: Header=BB695_230 Depth=1
	global_load_ushort v18, v[16:17], off
	global_load_ushort v19, v[14:15], off
	v_add_co_u32_e32 v14, vcc, 2, v14
	v_addc_co_u32_e32 v15, vcc, 0, v15, vcc
	v_add_co_u32_e32 v16, vcc, 2, v16
	v_addc_co_u32_e32 v17, vcc, 0, v17, vcc
	s_add_u32 s36, s36, 1
	s_addc_u32 s37, s37, 0
	s_andn2_b64 s[16:17], s[16:17], exec
	s_waitcnt vmcnt(0)
	v_cmp_ne_u16_e32 vcc, v18, v19
	s_and_b64 s[40:41], vcc, exec
	s_or_b64 s[16:17], s[16:17], s[40:41]
.LBB695_229:                            ;   in Loop: Header=BB695_230 Depth=1
	s_and_b64 s[40:41], exec, s[16:17]
	s_or_b64 s[4:5], s[40:41], s[4:5]
	v_pk_mov_b32 v[18:19], s[36:37], s[36:37] op_sel:[0,1]
	s_andn2_b64 exec, exec, s[4:5]
	s_cbranch_execz .LBB695_232
.LBB695_230:                            ; =>This Inner Loop Header: Depth=1
	s_or_b64 s[16:17], s[16:17], exec
	s_cmp_eq_u64 s[2:3], s[36:37]
	s_cbranch_scc0 .LBB695_228
; %bb.231:                              ;   in Loop: Header=BB695_230 Depth=1
                                        ; implicit-def: $vgpr14_vgpr15
                                        ; implicit-def: $vgpr16_vgpr17
	s_mov_b64 s[36:37], s[26:27]
	s_branch .LBB695_229
.LBB695_232:
	s_or_b64 exec, exec, s[4:5]
	v_cmp_gt_i64_e32 vcc, s[26:27], v[18:19]
	s_orn2_b64 s[36:37], vcc, exec
.LBB695_233:
	s_or_b64 exec, exec, s[10:11]
.LBB695_234:
	s_and_b64 s[2:3], s[36:37], exec
.LBB695_235:
	s_or_b64 exec, exec, s[8:9]
	v_perm_b32 v16, v12, v12, s38
	s_and_b64 s[36:37], s[2:3], exec
	s_or_b64 s[14:15], s[14:15], exec
.LBB695_236:
	s_or_b64 exec, exec, s[6:7]
.LBB695_237:
	s_and_saveexec_b64 s[2:3], s[14:15]
	s_cbranch_execz .LBB695_239
; %bb.238:
	s_waitcnt vmcnt(0) lgkmcnt(0)
	v_lshrrev_b32_e32 v14, 24, v16
	s_movk_i32 s4, 0xff
	v_lshlrev_b16_e32 v14, 8, v14
	v_and_b32_sdwa v15, v16, s4 dst_sel:DWORD dst_unused:UNUSED_PAD src0_sel:WORD_1 src1_sel:DWORD
	v_or_b32_sdwa v14, v15, v14 dst_sel:WORD_1 dst_unused:UNUSED_PAD src0_sel:DWORD src1_sel:DWORD
	v_mov_b32_e32 v15, 8
	v_cndmask_b32_e64 v12, 0, 1, s[36:37]
	v_lshrrev_b32_sdwa v15, v15, v16 dst_sel:BYTE_1 dst_unused:UNUSED_PAD src0_sel:DWORD src1_sel:DWORD
	v_or_b32_e32 v12, v12, v15
	s_mov_b32 s4, 0xffff
	v_or_b32_sdwa v12, v12, v14 dst_sel:DWORD dst_unused:UNUSED_PAD src0_sel:WORD_0 src1_sel:DWORD
	v_and_b32_sdwa v13, s4, v13 dst_sel:DWORD dst_unused:UNUSED_PAD src0_sel:DWORD src1_sel:BYTE_0
.LBB695_239:
	s_or_b64 exec, exec, s[2:3]
	s_andn2_b64 vcc, exec, s[12:13]
	s_cbranch_vccnz .LBB695_241
; %bb.240:
	v_cmp_gt_u32_e32 vcc, s48, v1
	v_cndmask_b32_e32 v1, 0, v12, vcc
	v_and_b32_e32 v1, 0xffff00ff, v1
	v_cmp_gt_u32_e64 s[2:3], s48, v24
	v_cndmask_b32_e64 v1, v1, v12, s[2:3]
	s_waitcnt vmcnt(0) lgkmcnt(0)
	v_lshrrev_b32_e32 v14, 24, v1
	s_mov_b32 s4, 0x40c0100
	v_perm_b32 v1, v14, v1, s4
	v_cmp_gt_u32_e64 s[4:5], s48, v22
	v_cmp_gt_u32_e64 s[6:7], s48, v25
	v_cndmask_b32_e64 v1, v1, v12, s[4:5]
	s_or_b64 s[4:5], s[6:7], s[4:5]
	s_or_b64 s[2:3], s[4:5], s[2:3]
	s_or_b64 vcc, s[2:3], vcc
	v_and_b32_e32 v1, 0xffffff, v1
	v_cndmask_b32_e32 v14, 0, v13, vcc
	v_cndmask_b32_e64 v1, v1, v12, s[6:7]
	v_and_b32_e32 v14, 0xffffff00, v14
	v_cmp_gt_u32_e32 vcc, s48, v23
	v_cndmask_b32_e32 v1, v1, v12, vcc
	v_cndmask_b32_e32 v12, v14, v13, vcc
	s_mov_b32 s2, 0x3020104
	v_and_b32_e32 v13, 0xff, v12
	v_perm_b32 v12, v1, v1, s2
.LBB695_241:
	v_and_b32_e32 v1, 0xff, v12
	v_bfe_u32 v25, v12, 8, 8
	v_bfe_u32 v27, v12, 16, 8
	s_waitcnt vmcnt(0) lgkmcnt(0)
	v_alignbit_b32 v14, v13, v12, 24
	v_and_b32_e32 v28, 0xff, v14
	v_and_b32_e32 v14, 0xff, v13
	v_add3_u32 v15, v25, v1, v27
	v_add3_u32 v31, v15, v28, v14
	v_mbcnt_lo_u32_b32 v14, -1, 0
	v_mbcnt_hi_u32_b32 v29, -1, v14
	v_and_b32_e32 v14, 15, v29
	v_cmp_eq_u32_e64 s[14:15], 0, v14
	v_cmp_lt_u32_e64 s[12:13], 1, v14
	v_cmp_lt_u32_e64 s[10:11], 3, v14
	;; [unrolled: 1-line block ×3, first 2 shown]
	v_and_b32_e32 v14, 16, v29
	v_cmp_eq_u32_e64 s[6:7], 0, v14
	v_or_b32_e32 v14, 63, v0
	v_cmp_lt_u32_e64 s[2:3], 31, v29
	v_lshrrev_b32_e32 v30, 6, v0
	v_cmp_eq_u32_e64 s[4:5], v14, v0
	s_and_b64 vcc, exec, s[34:35]
	s_barrier
	s_cbranch_vccz .LBB695_272
; %bb.242:
	v_mov_b32_dpp v14, v31 row_shr:1 row_mask:0xf bank_mask:0xf
	v_cndmask_b32_e64 v14, v14, 0, s[14:15]
	v_add_u32_e32 v14, v14, v31
	s_nop 1
	v_mov_b32_dpp v15, v14 row_shr:2 row_mask:0xf bank_mask:0xf
	v_cndmask_b32_e64 v15, 0, v15, s[12:13]
	v_add_u32_e32 v14, v14, v15
	s_nop 1
	;; [unrolled: 4-line block ×4, first 2 shown]
	v_mov_b32_dpp v15, v14 row_bcast:15 row_mask:0xf bank_mask:0xf
	v_cndmask_b32_e64 v15, v15, 0, s[6:7]
	v_add_u32_e32 v14, v14, v15
	s_nop 1
	v_mov_b32_dpp v15, v14 row_bcast:31 row_mask:0xf bank_mask:0xf
	v_cndmask_b32_e64 v15, 0, v15, s[2:3]
	v_add_u32_e32 v14, v14, v15
	s_and_saveexec_b64 s[16:17], s[4:5]
	s_cbranch_execz .LBB695_244
; %bb.243:
	v_lshlrev_b32_e32 v15, 2, v30
	ds_write_b32 v15, v14
.LBB695_244:
	s_or_b64 exec, exec, s[16:17]
	v_cmp_gt_u32_e32 vcc, 4, v0
	s_waitcnt lgkmcnt(0)
	s_barrier
	s_and_saveexec_b64 s[16:17], vcc
	s_cbranch_execz .LBB695_246
; %bb.245:
	v_lshlrev_b32_e32 v15, 2, v0
	ds_read_b32 v16, v15
	v_and_b32_e32 v17, 3, v29
	v_cmp_ne_u32_e32 vcc, 0, v17
	s_waitcnt lgkmcnt(0)
	v_mov_b32_dpp v18, v16 row_shr:1 row_mask:0xf bank_mask:0xf
	v_cndmask_b32_e32 v18, 0, v18, vcc
	v_add_u32_e32 v16, v18, v16
	v_cmp_lt_u32_e32 vcc, 1, v17
	s_nop 0
	v_mov_b32_dpp v18, v16 row_shr:2 row_mask:0xf bank_mask:0xf
	v_cndmask_b32_e32 v17, 0, v18, vcc
	v_add_u32_e32 v16, v16, v17
	ds_write_b32 v15, v16
.LBB695_246:
	s_or_b64 exec, exec, s[16:17]
	v_cmp_gt_u32_e32 vcc, 64, v0
	v_cmp_lt_u32_e64 s[16:17], 63, v0
	s_waitcnt lgkmcnt(0)
	s_barrier
	s_waitcnt lgkmcnt(0)
                                        ; implicit-def: $vgpr24
	s_and_saveexec_b64 s[26:27], s[16:17]
	s_cbranch_execz .LBB695_248
; %bb.247:
	v_lshl_add_u32 v15, v30, 2, -4
	ds_read_b32 v24, v15
	s_waitcnt lgkmcnt(0)
	v_add_u32_e32 v14, v24, v14
.LBB695_248:
	s_or_b64 exec, exec, s[26:27]
	v_add_u32_e32 v15, -1, v29
	v_and_b32_e32 v16, 64, v29
	v_cmp_lt_i32_e64 s[16:17], v15, v16
	v_cndmask_b32_e64 v15, v15, v29, s[16:17]
	v_lshlrev_b32_e32 v15, 2, v15
	ds_bpermute_b32 v26, v15, v14
	v_cmp_eq_u32_e64 s[16:17], 0, v29
	s_and_saveexec_b64 s[26:27], vcc
	s_cbranch_execz .LBB695_271
; %bb.249:
	v_mov_b32_e32 v23, 0
	ds_read_b32 v14, v23 offset:12
	s_and_saveexec_b64 s[34:35], s[16:17]
	s_cbranch_execz .LBB695_251
; %bb.250:
	s_add_i32 s36, s33, 64
	s_mov_b32 s37, 0
	s_lshl_b64 s[36:37], s[36:37], 3
	s_add_u32 s36, s18, s36
	v_mov_b32_e32 v15, 1
	s_addc_u32 s37, s19, s37
	s_waitcnt lgkmcnt(0)
	global_store_dwordx2 v23, v[14:15], s[36:37]
.LBB695_251:
	s_or_b64 exec, exec, s[34:35]
	v_xad_u32 v16, v29, -1, s33
	v_add_u32_e32 v22, 64, v16
	v_lshlrev_b64 v[18:19], 3, v[22:23]
	v_mov_b32_e32 v15, s19
	v_add_co_u32_e32 v18, vcc, s18, v18
	v_addc_co_u32_e32 v19, vcc, v15, v19, vcc
	global_load_dwordx2 v[20:21], v[18:19], off glc
	s_waitcnt vmcnt(0)
	v_cmp_eq_u16_sdwa s[36:37], v21, v23 src0_sel:BYTE_0 src1_sel:DWORD
	s_and_saveexec_b64 s[34:35], s[36:37]
	s_cbranch_execz .LBB695_257
; %bb.252:
	s_mov_b32 s38, 1
	s_mov_b64 s[36:37], 0
	v_mov_b32_e32 v15, 0
.LBB695_253:                            ; =>This Loop Header: Depth=1
                                        ;     Child Loop BB695_254 Depth 2
	s_max_u32 s39, s38, 1
.LBB695_254:                            ;   Parent Loop BB695_253 Depth=1
                                        ; =>  This Inner Loop Header: Depth=2
	s_add_i32 s39, s39, -1
	s_cmp_eq_u32 s39, 0
	s_sleep 1
	s_cbranch_scc0 .LBB695_254
; %bb.255:                              ;   in Loop: Header=BB695_253 Depth=1
	global_load_dwordx2 v[20:21], v[18:19], off glc
	s_cmp_lt_u32 s38, 32
	s_cselect_b64 s[40:41], -1, 0
	s_cmp_lg_u64 s[40:41], 0
	s_addc_u32 s38, s38, 0
	s_waitcnt vmcnt(0)
	v_cmp_ne_u16_sdwa s[40:41], v21, v15 src0_sel:BYTE_0 src1_sel:DWORD
	s_or_b64 s[36:37], s[40:41], s[36:37]
	s_andn2_b64 exec, exec, s[36:37]
	s_cbranch_execnz .LBB695_253
; %bb.256:
	s_or_b64 exec, exec, s[36:37]
.LBB695_257:
	s_or_b64 exec, exec, s[34:35]
	v_and_b32_e32 v32, 63, v29
	v_mov_b32_e32 v15, 2
	v_cmp_ne_u32_e32 vcc, 63, v32
	v_cmp_eq_u16_sdwa s[34:35], v21, v15 src0_sel:BYTE_0 src1_sel:DWORD
	v_lshlrev_b64 v[18:19], v29, -1
	v_addc_co_u32_e32 v23, vcc, 0, v29, vcc
	v_and_b32_e32 v17, s35, v19
	v_lshlrev_b32_e32 v33, 2, v23
	v_or_b32_e32 v17, 0x80000000, v17
	ds_bpermute_b32 v23, v33, v20
	v_and_b32_e32 v22, s34, v18
	v_ffbl_b32_e32 v17, v17
	v_add_u32_e32 v17, 32, v17
	v_ffbl_b32_e32 v22, v22
	v_min_u32_e32 v17, v22, v17
	v_cmp_lt_u32_e32 vcc, v32, v17
	s_waitcnt lgkmcnt(0)
	v_cndmask_b32_e32 v22, 0, v23, vcc
	v_cmp_gt_u32_e32 vcc, 62, v32
	v_add_u32_e32 v20, v22, v20
	v_cndmask_b32_e64 v22, 0, 1, vcc
	v_lshlrev_b32_e32 v22, 1, v22
	v_add_lshl_u32 v34, v22, v29, 2
	ds_bpermute_b32 v22, v34, v20
	v_add_u32_e32 v35, 2, v32
	v_cmp_le_u32_e32 vcc, v35, v17
	v_add_u32_e32 v37, 4, v32
	v_add_u32_e32 v39, 8, v32
	s_waitcnt lgkmcnt(0)
	v_cndmask_b32_e32 v22, 0, v22, vcc
	v_cmp_gt_u32_e32 vcc, 60, v32
	v_add_u32_e32 v20, v20, v22
	v_cndmask_b32_e64 v22, 0, 1, vcc
	v_lshlrev_b32_e32 v22, 2, v22
	v_add_lshl_u32 v36, v22, v29, 2
	ds_bpermute_b32 v22, v36, v20
	v_cmp_le_u32_e32 vcc, v37, v17
	v_add_u32_e32 v42, 16, v32
	v_add_u32_e32 v44, 32, v32
	s_waitcnt lgkmcnt(0)
	v_cndmask_b32_e32 v22, 0, v22, vcc
	v_cmp_gt_u32_e32 vcc, 56, v32
	v_add_u32_e32 v20, v20, v22
	v_cndmask_b32_e64 v22, 0, 1, vcc
	v_lshlrev_b32_e32 v22, 3, v22
	v_add_lshl_u32 v38, v22, v29, 2
	ds_bpermute_b32 v22, v38, v20
	v_cmp_le_u32_e32 vcc, v39, v17
	s_waitcnt lgkmcnt(0)
	v_cndmask_b32_e32 v22, 0, v22, vcc
	v_cmp_gt_u32_e32 vcc, 48, v32
	v_add_u32_e32 v20, v20, v22
	v_cndmask_b32_e64 v22, 0, 1, vcc
	v_lshlrev_b32_e32 v22, 4, v22
	v_add_lshl_u32 v41, v22, v29, 2
	ds_bpermute_b32 v22, v41, v20
	v_cmp_le_u32_e32 vcc, v42, v17
	;; [unrolled: 9-line block ×3, first 2 shown]
	s_waitcnt lgkmcnt(0)
	v_cndmask_b32_e32 v17, 0, v22, vcc
	v_add_u32_e32 v20, v20, v17
	v_mov_b32_e32 v17, 0
	s_branch .LBB695_259
.LBB695_258:                            ;   in Loop: Header=BB695_259 Depth=1
	s_or_b64 exec, exec, s[34:35]
	v_cmp_eq_u16_sdwa s[34:35], v21, v15 src0_sel:BYTE_0 src1_sel:DWORD
	v_and_b32_e32 v22, s35, v19
	v_or_b32_e32 v22, 0x80000000, v22
	ds_bpermute_b32 v45, v33, v20
	v_and_b32_e32 v23, s34, v18
	v_ffbl_b32_e32 v22, v22
	v_add_u32_e32 v22, 32, v22
	v_ffbl_b32_e32 v23, v23
	v_min_u32_e32 v22, v23, v22
	v_cmp_lt_u32_e32 vcc, v32, v22
	s_waitcnt lgkmcnt(0)
	v_cndmask_b32_e32 v23, 0, v45, vcc
	v_add_u32_e32 v20, v23, v20
	ds_bpermute_b32 v23, v34, v20
	v_cmp_le_u32_e32 vcc, v35, v22
	v_subrev_u32_e32 v16, 64, v16
	s_waitcnt lgkmcnt(0)
	v_cndmask_b32_e32 v23, 0, v23, vcc
	v_add_u32_e32 v20, v20, v23
	ds_bpermute_b32 v23, v36, v20
	v_cmp_le_u32_e32 vcc, v37, v22
	s_waitcnt lgkmcnt(0)
	v_cndmask_b32_e32 v23, 0, v23, vcc
	v_add_u32_e32 v20, v20, v23
	ds_bpermute_b32 v23, v38, v20
	v_cmp_le_u32_e32 vcc, v39, v22
	;; [unrolled: 5-line block ×4, first 2 shown]
	s_waitcnt lgkmcnt(0)
	v_cndmask_b32_e32 v22, 0, v23, vcc
	v_add3_u32 v20, v22, v40, v20
.LBB695_259:                            ; =>This Loop Header: Depth=1
                                        ;     Child Loop BB695_262 Depth 2
                                        ;       Child Loop BB695_263 Depth 3
	v_cmp_ne_u16_sdwa s[34:35], v21, v15 src0_sel:BYTE_0 src1_sel:DWORD
	v_cndmask_b32_e64 v21, 0, 1, s[34:35]
	;;#ASMSTART
	;;#ASMEND
	v_cmp_ne_u32_e32 vcc, 0, v21
	s_cmp_lg_u64 vcc, exec
	v_mov_b32_e32 v40, v20
	s_cbranch_scc1 .LBB695_266
; %bb.260:                              ;   in Loop: Header=BB695_259 Depth=1
	v_lshlrev_b64 v[20:21], 3, v[16:17]
	v_mov_b32_e32 v23, s19
	v_add_co_u32_e32 v22, vcc, s18, v20
	v_addc_co_u32_e32 v23, vcc, v23, v21, vcc
	global_load_dwordx2 v[20:21], v[22:23], off glc
	s_waitcnt vmcnt(0)
	v_cmp_eq_u16_sdwa s[36:37], v21, v17 src0_sel:BYTE_0 src1_sel:DWORD
	s_and_saveexec_b64 s[34:35], s[36:37]
	s_cbranch_execz .LBB695_258
; %bb.261:                              ;   in Loop: Header=BB695_259 Depth=1
	s_mov_b32 s38, 1
	s_mov_b64 s[36:37], 0
.LBB695_262:                            ;   Parent Loop BB695_259 Depth=1
                                        ; =>  This Loop Header: Depth=2
                                        ;       Child Loop BB695_263 Depth 3
	s_max_u32 s39, s38, 1
.LBB695_263:                            ;   Parent Loop BB695_259 Depth=1
                                        ;     Parent Loop BB695_262 Depth=2
                                        ; =>    This Inner Loop Header: Depth=3
	s_add_i32 s39, s39, -1
	s_cmp_eq_u32 s39, 0
	s_sleep 1
	s_cbranch_scc0 .LBB695_263
; %bb.264:                              ;   in Loop: Header=BB695_262 Depth=2
	global_load_dwordx2 v[20:21], v[22:23], off glc
	s_cmp_lt_u32 s38, 32
	s_cselect_b64 s[40:41], -1, 0
	s_cmp_lg_u64 s[40:41], 0
	s_addc_u32 s38, s38, 0
	s_waitcnt vmcnt(0)
	v_cmp_ne_u16_sdwa s[40:41], v21, v17 src0_sel:BYTE_0 src1_sel:DWORD
	s_or_b64 s[36:37], s[40:41], s[36:37]
	s_andn2_b64 exec, exec, s[36:37]
	s_cbranch_execnz .LBB695_262
; %bb.265:                              ;   in Loop: Header=BB695_259 Depth=1
	s_or_b64 exec, exec, s[36:37]
	s_branch .LBB695_258
.LBB695_266:                            ;   in Loop: Header=BB695_259 Depth=1
                                        ; implicit-def: $vgpr20
                                        ; implicit-def: $vgpr21
	s_cbranch_execz .LBB695_259
; %bb.267:
	s_and_saveexec_b64 s[34:35], s[16:17]
	s_cbranch_execz .LBB695_269
; %bb.268:
	s_add_i32 s36, s33, 64
	s_mov_b32 s37, 0
	s_lshl_b64 s[36:37], s[36:37], 3
	s_add_u32 s36, s18, s36
	v_add_u32_e32 v16, v40, v14
	v_mov_b32_e32 v17, 2
	s_addc_u32 s37, s19, s37
	v_mov_b32_e32 v15, 0
	s_movk_i32 s33, 0x2800
	global_store_dwordx2 v15, v[16:17], s[36:37]
	v_add_u32_e64 v15, s33, 0
	ds_write2_b32 v15, v14, v40 offset1:2
.LBB695_269:
	s_or_b64 exec, exec, s[34:35]
	s_and_b64 exec, exec, s[0:1]
	s_cbranch_execz .LBB695_271
; %bb.270:
	v_mov_b32_e32 v14, 0
	ds_write_b32 v14, v40 offset:12
.LBB695_271:
	s_or_b64 exec, exec, s[26:27]
	v_mov_b32_e32 v14, 0
	s_waitcnt lgkmcnt(0)
	s_barrier
	ds_read_b32 v14, v14 offset:12
	v_cndmask_b32_e64 v15, v26, v24, s[16:17]
	v_cndmask_b32_e64 v15, v15, 0, s[0:1]
	s_movk_i32 s16, 0x2800
	s_waitcnt lgkmcnt(0)
	v_add_u32_e32 v26, v14, v15
	v_add_u32_e64 v14, s16, 0
	s_barrier
	ds_read2_b32 v[14:15], v14 offset1:2
	v_add_u32_e32 v24, v26, v1
	v_add_u32_e32 v22, v24, v25
	;; [unrolled: 1-line block ×4, first 2 shown]
	v_lshrrev_b64 v[16:17], 24, v[12:13]
	s_branch .LBB695_282
.LBB695_272:
                                        ; implicit-def: $vgpr18
                                        ; implicit-def: $vgpr20
                                        ; implicit-def: $vgpr22
                                        ; implicit-def: $vgpr24
                                        ; implicit-def: $vgpr26
                                        ; implicit-def: $vgpr15
	v_lshrrev_b64 v[16:17], 24, v[12:13]
	s_cbranch_execz .LBB695_282
; %bb.273:
	s_waitcnt lgkmcnt(0)
	v_mov_b32_dpp v14, v31 row_shr:1 row_mask:0xf bank_mask:0xf
	v_cndmask_b32_e64 v14, v14, 0, s[14:15]
	v_add_u32_e32 v14, v14, v31
	s_nop 1
	v_mov_b32_dpp v15, v14 row_shr:2 row_mask:0xf bank_mask:0xf
	v_cndmask_b32_e64 v15, 0, v15, s[12:13]
	v_add_u32_e32 v14, v14, v15
	s_nop 1
	v_mov_b32_dpp v15, v14 row_shr:4 row_mask:0xf bank_mask:0xf
	v_cndmask_b32_e64 v15, 0, v15, s[10:11]
	v_add_u32_e32 v14, v14, v15
	s_nop 1
	v_mov_b32_dpp v15, v14 row_shr:8 row_mask:0xf bank_mask:0xf
	v_cndmask_b32_e64 v15, 0, v15, s[8:9]
	v_add_u32_e32 v14, v14, v15
	s_nop 1
	v_mov_b32_dpp v15, v14 row_bcast:15 row_mask:0xf bank_mask:0xf
	v_cndmask_b32_e64 v15, v15, 0, s[6:7]
	v_add_u32_e32 v14, v14, v15
	s_nop 1
	v_mov_b32_dpp v15, v14 row_bcast:31 row_mask:0xf bank_mask:0xf
	v_cndmask_b32_e64 v15, 0, v15, s[2:3]
	v_add_u32_e32 v14, v14, v15
	s_and_saveexec_b64 s[2:3], s[4:5]
	s_cbranch_execz .LBB695_275
; %bb.274:
	v_lshlrev_b32_e32 v15, 2, v30
	ds_write_b32 v15, v14
.LBB695_275:
	s_or_b64 exec, exec, s[2:3]
	v_cmp_gt_u32_e32 vcc, 4, v0
	s_waitcnt lgkmcnt(0)
	s_barrier
	s_and_saveexec_b64 s[2:3], vcc
	s_cbranch_execz .LBB695_277
; %bb.276:
	v_lshlrev_b32_e32 v15, 2, v0
	ds_read_b32 v17, v15
	v_and_b32_e32 v18, 3, v29
	v_cmp_ne_u32_e32 vcc, 0, v18
	s_waitcnt lgkmcnt(0)
	v_mov_b32_dpp v19, v17 row_shr:1 row_mask:0xf bank_mask:0xf
	v_cndmask_b32_e32 v19, 0, v19, vcc
	v_add_u32_e32 v17, v19, v17
	v_cmp_lt_u32_e32 vcc, 1, v18
	s_nop 0
	v_mov_b32_dpp v19, v17 row_shr:2 row_mask:0xf bank_mask:0xf
	v_cndmask_b32_e32 v18, 0, v19, vcc
	v_add_u32_e32 v17, v17, v18
	ds_write_b32 v15, v17
.LBB695_277:
	s_or_b64 exec, exec, s[2:3]
	v_cmp_lt_u32_e32 vcc, 63, v0
	v_mov_b32_e32 v15, 0
	v_mov_b32_e32 v17, 0
	s_waitcnt lgkmcnt(0)
	s_barrier
	s_and_saveexec_b64 s[2:3], vcc
	s_cbranch_execz .LBB695_279
; %bb.278:
	v_lshl_add_u32 v17, v30, 2, -4
	ds_read_b32 v17, v17
.LBB695_279:
	s_or_b64 exec, exec, s[2:3]
	v_add_u32_e32 v18, -1, v29
	v_and_b32_e32 v19, 64, v29
	v_cmp_lt_i32_e32 vcc, v18, v19
	v_cndmask_b32_e32 v18, v18, v29, vcc
	s_waitcnt lgkmcnt(0)
	v_add_u32_e32 v14, v17, v14
	v_lshlrev_b32_e32 v18, 2, v18
	ds_bpermute_b32 v18, v18, v14
	ds_read_b32 v14, v15 offset:12
	s_and_saveexec_b64 s[2:3], s[0:1]
	s_cbranch_execz .LBB695_281
; %bb.280:
	v_mov_b32_e32 v19, 0
	v_mov_b32_e32 v15, 2
	s_waitcnt lgkmcnt(0)
	global_store_dwordx2 v19, v[14:15], s[18:19] offset:512
.LBB695_281:
	s_or_b64 exec, exec, s[2:3]
	v_cmp_eq_u32_e32 vcc, 0, v29
	s_waitcnt lgkmcnt(1)
	v_cndmask_b32_e32 v17, v18, v17, vcc
	v_cndmask_b32_e64 v26, v17, 0, s[0:1]
	v_add_u32_e32 v24, v26, v1
	v_add_u32_e32 v22, v24, v25
	;; [unrolled: 1-line block ×3, first 2 shown]
	v_mov_b32_e32 v15, 0
	v_add_u32_e32 v18, v20, v28
	s_waitcnt lgkmcnt(0)
	s_barrier
.LBB695_282:
	s_movk_i32 s2, 0x101
	s_waitcnt lgkmcnt(0)
	v_cmp_gt_u32_e32 vcc, s2, v14
	v_lshrrev_b32_e32 v1, 8, v12
	s_mov_b64 s[2:3], -1
	s_cbranch_vccnz .LBB695_286
; %bb.283:
	s_and_b64 vcc, exec, s[2:3]
	s_cbranch_vccnz .LBB695_302
.LBB695_284:
	s_and_b64 s[0:1], s[0:1], s[24:25]
	s_and_saveexec_b64 s[2:3], s[0:1]
	s_cbranch_execnz .LBB695_316
.LBB695_285:
	s_endpgm
.LBB695_286:
	v_add_u32_e32 v17, v15, v14
	v_cmp_lt_u32_e32 vcc, v26, v17
	s_or_b64 s[4:5], s[30:31], vcc
	s_and_saveexec_b64 s[2:3], s[4:5]
	s_cbranch_execz .LBB695_289
; %bb.287:
	v_and_b32_e32 v19, 1, v12
	v_cmp_eq_u32_e32 vcc, 1, v19
	s_and_b64 exec, exec, vcc
	s_cbranch_execz .LBB695_289
; %bb.288:
	s_lshl_b64 s[4:5], s[22:23], 3
	s_add_u32 s4, s28, s4
	v_mov_b32_e32 v27, 0
	s_addc_u32 s5, s29, s5
	v_lshlrev_b64 v[28:29], 3, v[26:27]
	v_mov_b32_e32 v19, s5
	v_add_co_u32_e32 v28, vcc, s4, v28
	v_addc_co_u32_e32 v29, vcc, v19, v29, vcc
	global_store_dwordx2 v[28:29], v[6:7], off
.LBB695_289:
	s_or_b64 exec, exec, s[2:3]
	v_cmp_lt_u32_e32 vcc, v24, v17
	s_or_b64 s[4:5], s[30:31], vcc
	s_and_saveexec_b64 s[2:3], s[4:5]
	s_cbranch_execz .LBB695_292
; %bb.290:
	v_and_b32_e32 v19, 1, v1
	v_cmp_eq_u32_e32 vcc, 1, v19
	s_and_b64 exec, exec, vcc
	s_cbranch_execz .LBB695_292
; %bb.291:
	s_lshl_b64 s[4:5], s[22:23], 3
	s_add_u32 s4, s28, s4
	v_mov_b32_e32 v25, 0
	s_addc_u32 s5, s29, s5
	v_lshlrev_b64 v[28:29], 3, v[24:25]
	v_mov_b32_e32 v19, s5
	v_add_co_u32_e32 v28, vcc, s4, v28
	v_addc_co_u32_e32 v29, vcc, v19, v29, vcc
	global_store_dwordx2 v[28:29], v[8:9], off
.LBB695_292:
	s_or_b64 exec, exec, s[2:3]
	v_cmp_lt_u32_e32 vcc, v22, v17
	s_or_b64 s[4:5], s[30:31], vcc
	s_and_saveexec_b64 s[2:3], s[4:5]
	s_cbranch_execz .LBB695_295
; %bb.293:
	v_mov_b32_e32 v19, 1
	v_and_b32_sdwa v19, v19, v12 dst_sel:DWORD dst_unused:UNUSED_PAD src0_sel:DWORD src1_sel:WORD_1
	v_cmp_eq_u32_e32 vcc, 1, v19
	s_and_b64 exec, exec, vcc
	s_cbranch_execz .LBB695_295
; %bb.294:
	s_lshl_b64 s[4:5], s[22:23], 3
	s_add_u32 s4, s28, s4
	v_mov_b32_e32 v23, 0
	s_addc_u32 s5, s29, s5
	v_lshlrev_b64 v[28:29], 3, v[22:23]
	v_mov_b32_e32 v19, s5
	v_add_co_u32_e32 v28, vcc, s4, v28
	v_addc_co_u32_e32 v29, vcc, v19, v29, vcc
	global_store_dwordx2 v[28:29], v[2:3], off
.LBB695_295:
	s_or_b64 exec, exec, s[2:3]
	v_cmp_lt_u32_e32 vcc, v20, v17
	s_or_b64 s[4:5], s[30:31], vcc
	s_and_saveexec_b64 s[2:3], s[4:5]
	s_cbranch_execz .LBB695_298
; %bb.296:
	v_and_b32_e32 v19, 1, v16
	v_cmp_eq_u32_e32 vcc, 1, v19
	s_and_b64 exec, exec, vcc
	s_cbranch_execz .LBB695_298
; %bb.297:
	s_lshl_b64 s[4:5], s[22:23], 3
	s_add_u32 s4, s28, s4
	v_mov_b32_e32 v21, 0
	s_addc_u32 s5, s29, s5
	v_lshlrev_b64 v[28:29], 3, v[20:21]
	v_mov_b32_e32 v19, s5
	v_add_co_u32_e32 v28, vcc, s4, v28
	v_addc_co_u32_e32 v29, vcc, v19, v29, vcc
	global_store_dwordx2 v[28:29], v[4:5], off
.LBB695_298:
	s_or_b64 exec, exec, s[2:3]
	v_cmp_lt_u32_e32 vcc, v18, v17
	s_or_b64 s[4:5], s[30:31], vcc
	s_and_saveexec_b64 s[2:3], s[4:5]
	s_cbranch_execz .LBB695_301
; %bb.299:
	v_and_b32_e32 v17, 1, v13
	v_cmp_eq_u32_e32 vcc, 1, v17
	s_and_b64 exec, exec, vcc
	s_cbranch_execz .LBB695_301
; %bb.300:
	s_lshl_b64 s[4:5], s[22:23], 3
	s_add_u32 s4, s28, s4
	v_mov_b32_e32 v19, 0
	s_addc_u32 s5, s29, s5
	v_lshlrev_b64 v[28:29], 3, v[18:19]
	v_mov_b32_e32 v17, s5
	v_add_co_u32_e32 v28, vcc, s4, v28
	v_addc_co_u32_e32 v29, vcc, v17, v29, vcc
	global_store_dwordx2 v[28:29], v[10:11], off
.LBB695_301:
	s_or_b64 exec, exec, s[2:3]
	s_branch .LBB695_284
.LBB695_302:
	v_and_b32_e32 v17, 1, v12
	v_cmp_eq_u32_e32 vcc, 1, v17
	s_and_saveexec_b64 s[2:3], vcc
	s_cbranch_execz .LBB695_304
; %bb.303:
	v_sub_u32_e32 v17, v26, v15
	v_lshlrev_b32_e32 v17, 3, v17
	ds_write_b64 v17, v[6:7]
.LBB695_304:
	s_or_b64 exec, exec, s[2:3]
	v_and_b32_e32 v1, 1, v1
	v_cmp_eq_u32_e32 vcc, 1, v1
	s_and_saveexec_b64 s[2:3], vcc
	s_cbranch_execz .LBB695_306
; %bb.305:
	v_sub_u32_e32 v1, v24, v15
	v_lshlrev_b32_e32 v1, 3, v1
	ds_write_b64 v1, v[8:9]
.LBB695_306:
	s_or_b64 exec, exec, s[2:3]
	v_mov_b32_e32 v1, 1
	v_and_b32_sdwa v1, v1, v12 dst_sel:DWORD dst_unused:UNUSED_PAD src0_sel:DWORD src1_sel:WORD_1
	v_cmp_eq_u32_e32 vcc, 1, v1
	s_and_saveexec_b64 s[2:3], vcc
	s_cbranch_execz .LBB695_308
; %bb.307:
	v_sub_u32_e32 v1, v22, v15
	v_lshlrev_b32_e32 v1, 3, v1
	ds_write_b64 v1, v[2:3]
.LBB695_308:
	s_or_b64 exec, exec, s[2:3]
	v_and_b32_e32 v1, 1, v16
	v_cmp_eq_u32_e32 vcc, 1, v1
	s_and_saveexec_b64 s[2:3], vcc
	s_cbranch_execz .LBB695_310
; %bb.309:
	v_sub_u32_e32 v1, v20, v15
	v_lshlrev_b32_e32 v1, 3, v1
	ds_write_b64 v1, v[4:5]
.LBB695_310:
	s_or_b64 exec, exec, s[2:3]
	v_and_b32_e32 v1, 1, v13
	v_cmp_eq_u32_e32 vcc, 1, v1
	s_and_saveexec_b64 s[2:3], vcc
	s_cbranch_execz .LBB695_312
; %bb.311:
	v_sub_u32_e32 v1, v18, v15
	v_lshlrev_b32_e32 v1, 3, v1
	ds_write_b64 v1, v[10:11]
.LBB695_312:
	s_or_b64 exec, exec, s[2:3]
	v_cmp_lt_u32_e32 vcc, v0, v14
	s_waitcnt lgkmcnt(0)
	s_barrier
	s_and_saveexec_b64 s[2:3], vcc
	s_cbranch_execz .LBB695_315
; %bb.313:
	v_mov_b32_e32 v1, 0
	v_mov_b32_e32 v2, v15
	;; [unrolled: 1-line block ×3, first 2 shown]
	v_lshlrev_b64 v[2:3], 3, v[2:3]
	v_mov_b32_e32 v4, s29
	v_add_co_u32_e32 v2, vcc, s28, v2
	v_addc_co_u32_e32 v3, vcc, v4, v3, vcc
	s_lshl_b64 s[4:5], s[22:23], 3
	v_mov_b32_e32 v4, s5
	v_add_co_u32_e32 v2, vcc, s4, v2
	v_addc_co_u32_e32 v3, vcc, v3, v4, vcc
	v_lshlrev_b32_e32 v4, 3, v0
	s_mov_b64 s[4:5], 0
.LBB695_314:                            ; =>This Inner Loop Header: Depth=1
	ds_read_b64 v[6:7], v4
	v_lshlrev_b64 v[8:9], 3, v[0:1]
	v_add_co_u32_e32 v8, vcc, v2, v8
	v_add_u32_e32 v0, 0x100, v0
	v_addc_co_u32_e32 v9, vcc, v3, v9, vcc
	v_cmp_ge_u32_e32 vcc, v0, v14
	v_add_u32_e32 v4, 0x800, v4
	s_or_b64 s[4:5], vcc, s[4:5]
	s_waitcnt lgkmcnt(0)
	global_store_dwordx2 v[8:9], v[6:7], off
	s_andn2_b64 exec, exec, s[4:5]
	s_cbranch_execnz .LBB695_314
.LBB695_315:
	s_or_b64 exec, exec, s[2:3]
	s_and_b64 s[0:1], s[0:1], s[24:25]
	s_and_saveexec_b64 s[2:3], s[0:1]
	s_cbranch_execz .LBB695_285
.LBB695_316:
	v_mov_b32_e32 v0, s23
	v_add_co_u32_e32 v1, vcc, s22, v14
	v_addc_co_u32_e32 v3, vcc, 0, v0, vcc
	v_add_co_u32_e32 v0, vcc, v1, v15
	v_mov_b32_e32 v2, 0
	v_addc_co_u32_e32 v1, vcc, 0, v3, vcc
	global_store_dwordx2 v2, v[0:1], s[20:21]
	s_endpgm
	.section	.rodata,"a",@progbits
	.p2align	6, 0x0
	.amdhsa_kernel _ZN7rocprim17ROCPRIM_400000_NS6detail17trampoline_kernelINS0_14default_configENS1_25partition_config_selectorILNS1_17partition_subalgoE8ElNS0_10empty_typeEbEEZZNS1_14partition_implILS5_8ELb0ES3_jPlPS6_PKS6_NS0_5tupleIJS9_S6_EEENSD_IJSA_SA_EEENS0_18inequality_wrapperIZN2at6native12_GLOBAL__N_124unique_dim_cuda_templateIsEESt5tupleIJNSH_6TensorESM_SM_EERKSM_lbbbEUlllE0_EEPmJS6_EEE10hipError_tPvRmT3_T4_T5_T6_T7_T9_mT8_P12ihipStream_tbDpT10_ENKUlT_T0_E_clISt17integral_constantIbLb1EES1C_EEDaS17_S18_EUlS17_E_NS1_11comp_targetILNS1_3genE4ELNS1_11target_archE910ELNS1_3gpuE8ELNS1_3repE0EEENS1_30default_config_static_selectorELNS0_4arch9wavefront6targetE1EEEvT1_
		.amdhsa_group_segment_fixed_size 10252
		.amdhsa_private_segment_fixed_size 0
		.amdhsa_kernarg_size 136
		.amdhsa_user_sgpr_count 6
		.amdhsa_user_sgpr_private_segment_buffer 1
		.amdhsa_user_sgpr_dispatch_ptr 0
		.amdhsa_user_sgpr_queue_ptr 0
		.amdhsa_user_sgpr_kernarg_segment_ptr 1
		.amdhsa_user_sgpr_dispatch_id 0
		.amdhsa_user_sgpr_flat_scratch_init 0
		.amdhsa_user_sgpr_kernarg_preload_length 0
		.amdhsa_user_sgpr_kernarg_preload_offset 0
		.amdhsa_user_sgpr_private_segment_size 0
		.amdhsa_uses_dynamic_stack 0
		.amdhsa_system_sgpr_private_segment_wavefront_offset 0
		.amdhsa_system_sgpr_workgroup_id_x 1
		.amdhsa_system_sgpr_workgroup_id_y 0
		.amdhsa_system_sgpr_workgroup_id_z 0
		.amdhsa_system_sgpr_workgroup_info 0
		.amdhsa_system_vgpr_workitem_id 0
		.amdhsa_next_free_vgpr 46
		.amdhsa_next_free_sgpr 52
		.amdhsa_accum_offset 48
		.amdhsa_reserve_vcc 1
		.amdhsa_reserve_flat_scratch 0
		.amdhsa_float_round_mode_32 0
		.amdhsa_float_round_mode_16_64 0
		.amdhsa_float_denorm_mode_32 3
		.amdhsa_float_denorm_mode_16_64 3
		.amdhsa_dx10_clamp 1
		.amdhsa_ieee_mode 1
		.amdhsa_fp16_overflow 0
		.amdhsa_tg_split 0
		.amdhsa_exception_fp_ieee_invalid_op 0
		.amdhsa_exception_fp_denorm_src 0
		.amdhsa_exception_fp_ieee_div_zero 0
		.amdhsa_exception_fp_ieee_overflow 0
		.amdhsa_exception_fp_ieee_underflow 0
		.amdhsa_exception_fp_ieee_inexact 0
		.amdhsa_exception_int_div_zero 0
	.end_amdhsa_kernel
	.section	.text._ZN7rocprim17ROCPRIM_400000_NS6detail17trampoline_kernelINS0_14default_configENS1_25partition_config_selectorILNS1_17partition_subalgoE8ElNS0_10empty_typeEbEEZZNS1_14partition_implILS5_8ELb0ES3_jPlPS6_PKS6_NS0_5tupleIJS9_S6_EEENSD_IJSA_SA_EEENS0_18inequality_wrapperIZN2at6native12_GLOBAL__N_124unique_dim_cuda_templateIsEESt5tupleIJNSH_6TensorESM_SM_EERKSM_lbbbEUlllE0_EEPmJS6_EEE10hipError_tPvRmT3_T4_T5_T6_T7_T9_mT8_P12ihipStream_tbDpT10_ENKUlT_T0_E_clISt17integral_constantIbLb1EES1C_EEDaS17_S18_EUlS17_E_NS1_11comp_targetILNS1_3genE4ELNS1_11target_archE910ELNS1_3gpuE8ELNS1_3repE0EEENS1_30default_config_static_selectorELNS0_4arch9wavefront6targetE1EEEvT1_,"axG",@progbits,_ZN7rocprim17ROCPRIM_400000_NS6detail17trampoline_kernelINS0_14default_configENS1_25partition_config_selectorILNS1_17partition_subalgoE8ElNS0_10empty_typeEbEEZZNS1_14partition_implILS5_8ELb0ES3_jPlPS6_PKS6_NS0_5tupleIJS9_S6_EEENSD_IJSA_SA_EEENS0_18inequality_wrapperIZN2at6native12_GLOBAL__N_124unique_dim_cuda_templateIsEESt5tupleIJNSH_6TensorESM_SM_EERKSM_lbbbEUlllE0_EEPmJS6_EEE10hipError_tPvRmT3_T4_T5_T6_T7_T9_mT8_P12ihipStream_tbDpT10_ENKUlT_T0_E_clISt17integral_constantIbLb1EES1C_EEDaS17_S18_EUlS17_E_NS1_11comp_targetILNS1_3genE4ELNS1_11target_archE910ELNS1_3gpuE8ELNS1_3repE0EEENS1_30default_config_static_selectorELNS0_4arch9wavefront6targetE1EEEvT1_,comdat
.Lfunc_end695:
	.size	_ZN7rocprim17ROCPRIM_400000_NS6detail17trampoline_kernelINS0_14default_configENS1_25partition_config_selectorILNS1_17partition_subalgoE8ElNS0_10empty_typeEbEEZZNS1_14partition_implILS5_8ELb0ES3_jPlPS6_PKS6_NS0_5tupleIJS9_S6_EEENSD_IJSA_SA_EEENS0_18inequality_wrapperIZN2at6native12_GLOBAL__N_124unique_dim_cuda_templateIsEESt5tupleIJNSH_6TensorESM_SM_EERKSM_lbbbEUlllE0_EEPmJS6_EEE10hipError_tPvRmT3_T4_T5_T6_T7_T9_mT8_P12ihipStream_tbDpT10_ENKUlT_T0_E_clISt17integral_constantIbLb1EES1C_EEDaS17_S18_EUlS17_E_NS1_11comp_targetILNS1_3genE4ELNS1_11target_archE910ELNS1_3gpuE8ELNS1_3repE0EEENS1_30default_config_static_selectorELNS0_4arch9wavefront6targetE1EEEvT1_, .Lfunc_end695-_ZN7rocprim17ROCPRIM_400000_NS6detail17trampoline_kernelINS0_14default_configENS1_25partition_config_selectorILNS1_17partition_subalgoE8ElNS0_10empty_typeEbEEZZNS1_14partition_implILS5_8ELb0ES3_jPlPS6_PKS6_NS0_5tupleIJS9_S6_EEENSD_IJSA_SA_EEENS0_18inequality_wrapperIZN2at6native12_GLOBAL__N_124unique_dim_cuda_templateIsEESt5tupleIJNSH_6TensorESM_SM_EERKSM_lbbbEUlllE0_EEPmJS6_EEE10hipError_tPvRmT3_T4_T5_T6_T7_T9_mT8_P12ihipStream_tbDpT10_ENKUlT_T0_E_clISt17integral_constantIbLb1EES1C_EEDaS17_S18_EUlS17_E_NS1_11comp_targetILNS1_3genE4ELNS1_11target_archE910ELNS1_3gpuE8ELNS1_3repE0EEENS1_30default_config_static_selectorELNS0_4arch9wavefront6targetE1EEEvT1_
                                        ; -- End function
	.section	.AMDGPU.csdata,"",@progbits
; Kernel info:
; codeLenInByte = 11652
; NumSgprs: 56
; NumVgprs: 46
; NumAgprs: 0
; TotalNumVgprs: 46
; ScratchSize: 0
; MemoryBound: 0
; FloatMode: 240
; IeeeMode: 1
; LDSByteSize: 10252 bytes/workgroup (compile time only)
; SGPRBlocks: 6
; VGPRBlocks: 5
; NumSGPRsForWavesPerEU: 56
; NumVGPRsForWavesPerEU: 46
; AccumOffset: 48
; Occupancy: 6
; WaveLimiterHint : 1
; COMPUTE_PGM_RSRC2:SCRATCH_EN: 0
; COMPUTE_PGM_RSRC2:USER_SGPR: 6
; COMPUTE_PGM_RSRC2:TRAP_HANDLER: 0
; COMPUTE_PGM_RSRC2:TGID_X_EN: 1
; COMPUTE_PGM_RSRC2:TGID_Y_EN: 0
; COMPUTE_PGM_RSRC2:TGID_Z_EN: 0
; COMPUTE_PGM_RSRC2:TIDIG_COMP_CNT: 0
; COMPUTE_PGM_RSRC3_GFX90A:ACCUM_OFFSET: 11
; COMPUTE_PGM_RSRC3_GFX90A:TG_SPLIT: 0
	.section	.text._ZN7rocprim17ROCPRIM_400000_NS6detail17trampoline_kernelINS0_14default_configENS1_25partition_config_selectorILNS1_17partition_subalgoE8ElNS0_10empty_typeEbEEZZNS1_14partition_implILS5_8ELb0ES3_jPlPS6_PKS6_NS0_5tupleIJS9_S6_EEENSD_IJSA_SA_EEENS0_18inequality_wrapperIZN2at6native12_GLOBAL__N_124unique_dim_cuda_templateIsEESt5tupleIJNSH_6TensorESM_SM_EERKSM_lbbbEUlllE0_EEPmJS6_EEE10hipError_tPvRmT3_T4_T5_T6_T7_T9_mT8_P12ihipStream_tbDpT10_ENKUlT_T0_E_clISt17integral_constantIbLb1EES1C_EEDaS17_S18_EUlS17_E_NS1_11comp_targetILNS1_3genE3ELNS1_11target_archE908ELNS1_3gpuE7ELNS1_3repE0EEENS1_30default_config_static_selectorELNS0_4arch9wavefront6targetE1EEEvT1_,"axG",@progbits,_ZN7rocprim17ROCPRIM_400000_NS6detail17trampoline_kernelINS0_14default_configENS1_25partition_config_selectorILNS1_17partition_subalgoE8ElNS0_10empty_typeEbEEZZNS1_14partition_implILS5_8ELb0ES3_jPlPS6_PKS6_NS0_5tupleIJS9_S6_EEENSD_IJSA_SA_EEENS0_18inequality_wrapperIZN2at6native12_GLOBAL__N_124unique_dim_cuda_templateIsEESt5tupleIJNSH_6TensorESM_SM_EERKSM_lbbbEUlllE0_EEPmJS6_EEE10hipError_tPvRmT3_T4_T5_T6_T7_T9_mT8_P12ihipStream_tbDpT10_ENKUlT_T0_E_clISt17integral_constantIbLb1EES1C_EEDaS17_S18_EUlS17_E_NS1_11comp_targetILNS1_3genE3ELNS1_11target_archE908ELNS1_3gpuE7ELNS1_3repE0EEENS1_30default_config_static_selectorELNS0_4arch9wavefront6targetE1EEEvT1_,comdat
	.globl	_ZN7rocprim17ROCPRIM_400000_NS6detail17trampoline_kernelINS0_14default_configENS1_25partition_config_selectorILNS1_17partition_subalgoE8ElNS0_10empty_typeEbEEZZNS1_14partition_implILS5_8ELb0ES3_jPlPS6_PKS6_NS0_5tupleIJS9_S6_EEENSD_IJSA_SA_EEENS0_18inequality_wrapperIZN2at6native12_GLOBAL__N_124unique_dim_cuda_templateIsEESt5tupleIJNSH_6TensorESM_SM_EERKSM_lbbbEUlllE0_EEPmJS6_EEE10hipError_tPvRmT3_T4_T5_T6_T7_T9_mT8_P12ihipStream_tbDpT10_ENKUlT_T0_E_clISt17integral_constantIbLb1EES1C_EEDaS17_S18_EUlS17_E_NS1_11comp_targetILNS1_3genE3ELNS1_11target_archE908ELNS1_3gpuE7ELNS1_3repE0EEENS1_30default_config_static_selectorELNS0_4arch9wavefront6targetE1EEEvT1_ ; -- Begin function _ZN7rocprim17ROCPRIM_400000_NS6detail17trampoline_kernelINS0_14default_configENS1_25partition_config_selectorILNS1_17partition_subalgoE8ElNS0_10empty_typeEbEEZZNS1_14partition_implILS5_8ELb0ES3_jPlPS6_PKS6_NS0_5tupleIJS9_S6_EEENSD_IJSA_SA_EEENS0_18inequality_wrapperIZN2at6native12_GLOBAL__N_124unique_dim_cuda_templateIsEESt5tupleIJNSH_6TensorESM_SM_EERKSM_lbbbEUlllE0_EEPmJS6_EEE10hipError_tPvRmT3_T4_T5_T6_T7_T9_mT8_P12ihipStream_tbDpT10_ENKUlT_T0_E_clISt17integral_constantIbLb1EES1C_EEDaS17_S18_EUlS17_E_NS1_11comp_targetILNS1_3genE3ELNS1_11target_archE908ELNS1_3gpuE7ELNS1_3repE0EEENS1_30default_config_static_selectorELNS0_4arch9wavefront6targetE1EEEvT1_
	.p2align	8
	.type	_ZN7rocprim17ROCPRIM_400000_NS6detail17trampoline_kernelINS0_14default_configENS1_25partition_config_selectorILNS1_17partition_subalgoE8ElNS0_10empty_typeEbEEZZNS1_14partition_implILS5_8ELb0ES3_jPlPS6_PKS6_NS0_5tupleIJS9_S6_EEENSD_IJSA_SA_EEENS0_18inequality_wrapperIZN2at6native12_GLOBAL__N_124unique_dim_cuda_templateIsEESt5tupleIJNSH_6TensorESM_SM_EERKSM_lbbbEUlllE0_EEPmJS6_EEE10hipError_tPvRmT3_T4_T5_T6_T7_T9_mT8_P12ihipStream_tbDpT10_ENKUlT_T0_E_clISt17integral_constantIbLb1EES1C_EEDaS17_S18_EUlS17_E_NS1_11comp_targetILNS1_3genE3ELNS1_11target_archE908ELNS1_3gpuE7ELNS1_3repE0EEENS1_30default_config_static_selectorELNS0_4arch9wavefront6targetE1EEEvT1_,@function
_ZN7rocprim17ROCPRIM_400000_NS6detail17trampoline_kernelINS0_14default_configENS1_25partition_config_selectorILNS1_17partition_subalgoE8ElNS0_10empty_typeEbEEZZNS1_14partition_implILS5_8ELb0ES3_jPlPS6_PKS6_NS0_5tupleIJS9_S6_EEENSD_IJSA_SA_EEENS0_18inequality_wrapperIZN2at6native12_GLOBAL__N_124unique_dim_cuda_templateIsEESt5tupleIJNSH_6TensorESM_SM_EERKSM_lbbbEUlllE0_EEPmJS6_EEE10hipError_tPvRmT3_T4_T5_T6_T7_T9_mT8_P12ihipStream_tbDpT10_ENKUlT_T0_E_clISt17integral_constantIbLb1EES1C_EEDaS17_S18_EUlS17_E_NS1_11comp_targetILNS1_3genE3ELNS1_11target_archE908ELNS1_3gpuE7ELNS1_3repE0EEENS1_30default_config_static_selectorELNS0_4arch9wavefront6targetE1EEEvT1_: ; @_ZN7rocprim17ROCPRIM_400000_NS6detail17trampoline_kernelINS0_14default_configENS1_25partition_config_selectorILNS1_17partition_subalgoE8ElNS0_10empty_typeEbEEZZNS1_14partition_implILS5_8ELb0ES3_jPlPS6_PKS6_NS0_5tupleIJS9_S6_EEENSD_IJSA_SA_EEENS0_18inequality_wrapperIZN2at6native12_GLOBAL__N_124unique_dim_cuda_templateIsEESt5tupleIJNSH_6TensorESM_SM_EERKSM_lbbbEUlllE0_EEPmJS6_EEE10hipError_tPvRmT3_T4_T5_T6_T7_T9_mT8_P12ihipStream_tbDpT10_ENKUlT_T0_E_clISt17integral_constantIbLb1EES1C_EEDaS17_S18_EUlS17_E_NS1_11comp_targetILNS1_3genE3ELNS1_11target_archE908ELNS1_3gpuE7ELNS1_3repE0EEENS1_30default_config_static_selectorELNS0_4arch9wavefront6targetE1EEEvT1_
; %bb.0:
	.section	.rodata,"a",@progbits
	.p2align	6, 0x0
	.amdhsa_kernel _ZN7rocprim17ROCPRIM_400000_NS6detail17trampoline_kernelINS0_14default_configENS1_25partition_config_selectorILNS1_17partition_subalgoE8ElNS0_10empty_typeEbEEZZNS1_14partition_implILS5_8ELb0ES3_jPlPS6_PKS6_NS0_5tupleIJS9_S6_EEENSD_IJSA_SA_EEENS0_18inequality_wrapperIZN2at6native12_GLOBAL__N_124unique_dim_cuda_templateIsEESt5tupleIJNSH_6TensorESM_SM_EERKSM_lbbbEUlllE0_EEPmJS6_EEE10hipError_tPvRmT3_T4_T5_T6_T7_T9_mT8_P12ihipStream_tbDpT10_ENKUlT_T0_E_clISt17integral_constantIbLb1EES1C_EEDaS17_S18_EUlS17_E_NS1_11comp_targetILNS1_3genE3ELNS1_11target_archE908ELNS1_3gpuE7ELNS1_3repE0EEENS1_30default_config_static_selectorELNS0_4arch9wavefront6targetE1EEEvT1_
		.amdhsa_group_segment_fixed_size 0
		.amdhsa_private_segment_fixed_size 0
		.amdhsa_kernarg_size 136
		.amdhsa_user_sgpr_count 6
		.amdhsa_user_sgpr_private_segment_buffer 1
		.amdhsa_user_sgpr_dispatch_ptr 0
		.amdhsa_user_sgpr_queue_ptr 0
		.amdhsa_user_sgpr_kernarg_segment_ptr 1
		.amdhsa_user_sgpr_dispatch_id 0
		.amdhsa_user_sgpr_flat_scratch_init 0
		.amdhsa_user_sgpr_kernarg_preload_length 0
		.amdhsa_user_sgpr_kernarg_preload_offset 0
		.amdhsa_user_sgpr_private_segment_size 0
		.amdhsa_uses_dynamic_stack 0
		.amdhsa_system_sgpr_private_segment_wavefront_offset 0
		.amdhsa_system_sgpr_workgroup_id_x 1
		.amdhsa_system_sgpr_workgroup_id_y 0
		.amdhsa_system_sgpr_workgroup_id_z 0
		.amdhsa_system_sgpr_workgroup_info 0
		.amdhsa_system_vgpr_workitem_id 0
		.amdhsa_next_free_vgpr 1
		.amdhsa_next_free_sgpr 0
		.amdhsa_accum_offset 4
		.amdhsa_reserve_vcc 0
		.amdhsa_reserve_flat_scratch 0
		.amdhsa_float_round_mode_32 0
		.amdhsa_float_round_mode_16_64 0
		.amdhsa_float_denorm_mode_32 3
		.amdhsa_float_denorm_mode_16_64 3
		.amdhsa_dx10_clamp 1
		.amdhsa_ieee_mode 1
		.amdhsa_fp16_overflow 0
		.amdhsa_tg_split 0
		.amdhsa_exception_fp_ieee_invalid_op 0
		.amdhsa_exception_fp_denorm_src 0
		.amdhsa_exception_fp_ieee_div_zero 0
		.amdhsa_exception_fp_ieee_overflow 0
		.amdhsa_exception_fp_ieee_underflow 0
		.amdhsa_exception_fp_ieee_inexact 0
		.amdhsa_exception_int_div_zero 0
	.end_amdhsa_kernel
	.section	.text._ZN7rocprim17ROCPRIM_400000_NS6detail17trampoline_kernelINS0_14default_configENS1_25partition_config_selectorILNS1_17partition_subalgoE8ElNS0_10empty_typeEbEEZZNS1_14partition_implILS5_8ELb0ES3_jPlPS6_PKS6_NS0_5tupleIJS9_S6_EEENSD_IJSA_SA_EEENS0_18inequality_wrapperIZN2at6native12_GLOBAL__N_124unique_dim_cuda_templateIsEESt5tupleIJNSH_6TensorESM_SM_EERKSM_lbbbEUlllE0_EEPmJS6_EEE10hipError_tPvRmT3_T4_T5_T6_T7_T9_mT8_P12ihipStream_tbDpT10_ENKUlT_T0_E_clISt17integral_constantIbLb1EES1C_EEDaS17_S18_EUlS17_E_NS1_11comp_targetILNS1_3genE3ELNS1_11target_archE908ELNS1_3gpuE7ELNS1_3repE0EEENS1_30default_config_static_selectorELNS0_4arch9wavefront6targetE1EEEvT1_,"axG",@progbits,_ZN7rocprim17ROCPRIM_400000_NS6detail17trampoline_kernelINS0_14default_configENS1_25partition_config_selectorILNS1_17partition_subalgoE8ElNS0_10empty_typeEbEEZZNS1_14partition_implILS5_8ELb0ES3_jPlPS6_PKS6_NS0_5tupleIJS9_S6_EEENSD_IJSA_SA_EEENS0_18inequality_wrapperIZN2at6native12_GLOBAL__N_124unique_dim_cuda_templateIsEESt5tupleIJNSH_6TensorESM_SM_EERKSM_lbbbEUlllE0_EEPmJS6_EEE10hipError_tPvRmT3_T4_T5_T6_T7_T9_mT8_P12ihipStream_tbDpT10_ENKUlT_T0_E_clISt17integral_constantIbLb1EES1C_EEDaS17_S18_EUlS17_E_NS1_11comp_targetILNS1_3genE3ELNS1_11target_archE908ELNS1_3gpuE7ELNS1_3repE0EEENS1_30default_config_static_selectorELNS0_4arch9wavefront6targetE1EEEvT1_,comdat
.Lfunc_end696:
	.size	_ZN7rocprim17ROCPRIM_400000_NS6detail17trampoline_kernelINS0_14default_configENS1_25partition_config_selectorILNS1_17partition_subalgoE8ElNS0_10empty_typeEbEEZZNS1_14partition_implILS5_8ELb0ES3_jPlPS6_PKS6_NS0_5tupleIJS9_S6_EEENSD_IJSA_SA_EEENS0_18inequality_wrapperIZN2at6native12_GLOBAL__N_124unique_dim_cuda_templateIsEESt5tupleIJNSH_6TensorESM_SM_EERKSM_lbbbEUlllE0_EEPmJS6_EEE10hipError_tPvRmT3_T4_T5_T6_T7_T9_mT8_P12ihipStream_tbDpT10_ENKUlT_T0_E_clISt17integral_constantIbLb1EES1C_EEDaS17_S18_EUlS17_E_NS1_11comp_targetILNS1_3genE3ELNS1_11target_archE908ELNS1_3gpuE7ELNS1_3repE0EEENS1_30default_config_static_selectorELNS0_4arch9wavefront6targetE1EEEvT1_, .Lfunc_end696-_ZN7rocprim17ROCPRIM_400000_NS6detail17trampoline_kernelINS0_14default_configENS1_25partition_config_selectorILNS1_17partition_subalgoE8ElNS0_10empty_typeEbEEZZNS1_14partition_implILS5_8ELb0ES3_jPlPS6_PKS6_NS0_5tupleIJS9_S6_EEENSD_IJSA_SA_EEENS0_18inequality_wrapperIZN2at6native12_GLOBAL__N_124unique_dim_cuda_templateIsEESt5tupleIJNSH_6TensorESM_SM_EERKSM_lbbbEUlllE0_EEPmJS6_EEE10hipError_tPvRmT3_T4_T5_T6_T7_T9_mT8_P12ihipStream_tbDpT10_ENKUlT_T0_E_clISt17integral_constantIbLb1EES1C_EEDaS17_S18_EUlS17_E_NS1_11comp_targetILNS1_3genE3ELNS1_11target_archE908ELNS1_3gpuE7ELNS1_3repE0EEENS1_30default_config_static_selectorELNS0_4arch9wavefront6targetE1EEEvT1_
                                        ; -- End function
	.section	.AMDGPU.csdata,"",@progbits
; Kernel info:
; codeLenInByte = 0
; NumSgprs: 4
; NumVgprs: 0
; NumAgprs: 0
; TotalNumVgprs: 0
; ScratchSize: 0
; MemoryBound: 0
; FloatMode: 240
; IeeeMode: 1
; LDSByteSize: 0 bytes/workgroup (compile time only)
; SGPRBlocks: 0
; VGPRBlocks: 0
; NumSGPRsForWavesPerEU: 4
; NumVGPRsForWavesPerEU: 1
; AccumOffset: 4
; Occupancy: 8
; WaveLimiterHint : 0
; COMPUTE_PGM_RSRC2:SCRATCH_EN: 0
; COMPUTE_PGM_RSRC2:USER_SGPR: 6
; COMPUTE_PGM_RSRC2:TRAP_HANDLER: 0
; COMPUTE_PGM_RSRC2:TGID_X_EN: 1
; COMPUTE_PGM_RSRC2:TGID_Y_EN: 0
; COMPUTE_PGM_RSRC2:TGID_Z_EN: 0
; COMPUTE_PGM_RSRC2:TIDIG_COMP_CNT: 0
; COMPUTE_PGM_RSRC3_GFX90A:ACCUM_OFFSET: 0
; COMPUTE_PGM_RSRC3_GFX90A:TG_SPLIT: 0
	.section	.text._ZN7rocprim17ROCPRIM_400000_NS6detail17trampoline_kernelINS0_14default_configENS1_25partition_config_selectorILNS1_17partition_subalgoE8ElNS0_10empty_typeEbEEZZNS1_14partition_implILS5_8ELb0ES3_jPlPS6_PKS6_NS0_5tupleIJS9_S6_EEENSD_IJSA_SA_EEENS0_18inequality_wrapperIZN2at6native12_GLOBAL__N_124unique_dim_cuda_templateIsEESt5tupleIJNSH_6TensorESM_SM_EERKSM_lbbbEUlllE0_EEPmJS6_EEE10hipError_tPvRmT3_T4_T5_T6_T7_T9_mT8_P12ihipStream_tbDpT10_ENKUlT_T0_E_clISt17integral_constantIbLb1EES1C_EEDaS17_S18_EUlS17_E_NS1_11comp_targetILNS1_3genE2ELNS1_11target_archE906ELNS1_3gpuE6ELNS1_3repE0EEENS1_30default_config_static_selectorELNS0_4arch9wavefront6targetE1EEEvT1_,"axG",@progbits,_ZN7rocprim17ROCPRIM_400000_NS6detail17trampoline_kernelINS0_14default_configENS1_25partition_config_selectorILNS1_17partition_subalgoE8ElNS0_10empty_typeEbEEZZNS1_14partition_implILS5_8ELb0ES3_jPlPS6_PKS6_NS0_5tupleIJS9_S6_EEENSD_IJSA_SA_EEENS0_18inequality_wrapperIZN2at6native12_GLOBAL__N_124unique_dim_cuda_templateIsEESt5tupleIJNSH_6TensorESM_SM_EERKSM_lbbbEUlllE0_EEPmJS6_EEE10hipError_tPvRmT3_T4_T5_T6_T7_T9_mT8_P12ihipStream_tbDpT10_ENKUlT_T0_E_clISt17integral_constantIbLb1EES1C_EEDaS17_S18_EUlS17_E_NS1_11comp_targetILNS1_3genE2ELNS1_11target_archE906ELNS1_3gpuE6ELNS1_3repE0EEENS1_30default_config_static_selectorELNS0_4arch9wavefront6targetE1EEEvT1_,comdat
	.globl	_ZN7rocprim17ROCPRIM_400000_NS6detail17trampoline_kernelINS0_14default_configENS1_25partition_config_selectorILNS1_17partition_subalgoE8ElNS0_10empty_typeEbEEZZNS1_14partition_implILS5_8ELb0ES3_jPlPS6_PKS6_NS0_5tupleIJS9_S6_EEENSD_IJSA_SA_EEENS0_18inequality_wrapperIZN2at6native12_GLOBAL__N_124unique_dim_cuda_templateIsEESt5tupleIJNSH_6TensorESM_SM_EERKSM_lbbbEUlllE0_EEPmJS6_EEE10hipError_tPvRmT3_T4_T5_T6_T7_T9_mT8_P12ihipStream_tbDpT10_ENKUlT_T0_E_clISt17integral_constantIbLb1EES1C_EEDaS17_S18_EUlS17_E_NS1_11comp_targetILNS1_3genE2ELNS1_11target_archE906ELNS1_3gpuE6ELNS1_3repE0EEENS1_30default_config_static_selectorELNS0_4arch9wavefront6targetE1EEEvT1_ ; -- Begin function _ZN7rocprim17ROCPRIM_400000_NS6detail17trampoline_kernelINS0_14default_configENS1_25partition_config_selectorILNS1_17partition_subalgoE8ElNS0_10empty_typeEbEEZZNS1_14partition_implILS5_8ELb0ES3_jPlPS6_PKS6_NS0_5tupleIJS9_S6_EEENSD_IJSA_SA_EEENS0_18inequality_wrapperIZN2at6native12_GLOBAL__N_124unique_dim_cuda_templateIsEESt5tupleIJNSH_6TensorESM_SM_EERKSM_lbbbEUlllE0_EEPmJS6_EEE10hipError_tPvRmT3_T4_T5_T6_T7_T9_mT8_P12ihipStream_tbDpT10_ENKUlT_T0_E_clISt17integral_constantIbLb1EES1C_EEDaS17_S18_EUlS17_E_NS1_11comp_targetILNS1_3genE2ELNS1_11target_archE906ELNS1_3gpuE6ELNS1_3repE0EEENS1_30default_config_static_selectorELNS0_4arch9wavefront6targetE1EEEvT1_
	.p2align	8
	.type	_ZN7rocprim17ROCPRIM_400000_NS6detail17trampoline_kernelINS0_14default_configENS1_25partition_config_selectorILNS1_17partition_subalgoE8ElNS0_10empty_typeEbEEZZNS1_14partition_implILS5_8ELb0ES3_jPlPS6_PKS6_NS0_5tupleIJS9_S6_EEENSD_IJSA_SA_EEENS0_18inequality_wrapperIZN2at6native12_GLOBAL__N_124unique_dim_cuda_templateIsEESt5tupleIJNSH_6TensorESM_SM_EERKSM_lbbbEUlllE0_EEPmJS6_EEE10hipError_tPvRmT3_T4_T5_T6_T7_T9_mT8_P12ihipStream_tbDpT10_ENKUlT_T0_E_clISt17integral_constantIbLb1EES1C_EEDaS17_S18_EUlS17_E_NS1_11comp_targetILNS1_3genE2ELNS1_11target_archE906ELNS1_3gpuE6ELNS1_3repE0EEENS1_30default_config_static_selectorELNS0_4arch9wavefront6targetE1EEEvT1_,@function
_ZN7rocprim17ROCPRIM_400000_NS6detail17trampoline_kernelINS0_14default_configENS1_25partition_config_selectorILNS1_17partition_subalgoE8ElNS0_10empty_typeEbEEZZNS1_14partition_implILS5_8ELb0ES3_jPlPS6_PKS6_NS0_5tupleIJS9_S6_EEENSD_IJSA_SA_EEENS0_18inequality_wrapperIZN2at6native12_GLOBAL__N_124unique_dim_cuda_templateIsEESt5tupleIJNSH_6TensorESM_SM_EERKSM_lbbbEUlllE0_EEPmJS6_EEE10hipError_tPvRmT3_T4_T5_T6_T7_T9_mT8_P12ihipStream_tbDpT10_ENKUlT_T0_E_clISt17integral_constantIbLb1EES1C_EEDaS17_S18_EUlS17_E_NS1_11comp_targetILNS1_3genE2ELNS1_11target_archE906ELNS1_3gpuE6ELNS1_3repE0EEENS1_30default_config_static_selectorELNS0_4arch9wavefront6targetE1EEEvT1_: ; @_ZN7rocprim17ROCPRIM_400000_NS6detail17trampoline_kernelINS0_14default_configENS1_25partition_config_selectorILNS1_17partition_subalgoE8ElNS0_10empty_typeEbEEZZNS1_14partition_implILS5_8ELb0ES3_jPlPS6_PKS6_NS0_5tupleIJS9_S6_EEENSD_IJSA_SA_EEENS0_18inequality_wrapperIZN2at6native12_GLOBAL__N_124unique_dim_cuda_templateIsEESt5tupleIJNSH_6TensorESM_SM_EERKSM_lbbbEUlllE0_EEPmJS6_EEE10hipError_tPvRmT3_T4_T5_T6_T7_T9_mT8_P12ihipStream_tbDpT10_ENKUlT_T0_E_clISt17integral_constantIbLb1EES1C_EEDaS17_S18_EUlS17_E_NS1_11comp_targetILNS1_3genE2ELNS1_11target_archE906ELNS1_3gpuE6ELNS1_3repE0EEENS1_30default_config_static_selectorELNS0_4arch9wavefront6targetE1EEEvT1_
; %bb.0:
	.section	.rodata,"a",@progbits
	.p2align	6, 0x0
	.amdhsa_kernel _ZN7rocprim17ROCPRIM_400000_NS6detail17trampoline_kernelINS0_14default_configENS1_25partition_config_selectorILNS1_17partition_subalgoE8ElNS0_10empty_typeEbEEZZNS1_14partition_implILS5_8ELb0ES3_jPlPS6_PKS6_NS0_5tupleIJS9_S6_EEENSD_IJSA_SA_EEENS0_18inequality_wrapperIZN2at6native12_GLOBAL__N_124unique_dim_cuda_templateIsEESt5tupleIJNSH_6TensorESM_SM_EERKSM_lbbbEUlllE0_EEPmJS6_EEE10hipError_tPvRmT3_T4_T5_T6_T7_T9_mT8_P12ihipStream_tbDpT10_ENKUlT_T0_E_clISt17integral_constantIbLb1EES1C_EEDaS17_S18_EUlS17_E_NS1_11comp_targetILNS1_3genE2ELNS1_11target_archE906ELNS1_3gpuE6ELNS1_3repE0EEENS1_30default_config_static_selectorELNS0_4arch9wavefront6targetE1EEEvT1_
		.amdhsa_group_segment_fixed_size 0
		.amdhsa_private_segment_fixed_size 0
		.amdhsa_kernarg_size 136
		.amdhsa_user_sgpr_count 6
		.amdhsa_user_sgpr_private_segment_buffer 1
		.amdhsa_user_sgpr_dispatch_ptr 0
		.amdhsa_user_sgpr_queue_ptr 0
		.amdhsa_user_sgpr_kernarg_segment_ptr 1
		.amdhsa_user_sgpr_dispatch_id 0
		.amdhsa_user_sgpr_flat_scratch_init 0
		.amdhsa_user_sgpr_kernarg_preload_length 0
		.amdhsa_user_sgpr_kernarg_preload_offset 0
		.amdhsa_user_sgpr_private_segment_size 0
		.amdhsa_uses_dynamic_stack 0
		.amdhsa_system_sgpr_private_segment_wavefront_offset 0
		.amdhsa_system_sgpr_workgroup_id_x 1
		.amdhsa_system_sgpr_workgroup_id_y 0
		.amdhsa_system_sgpr_workgroup_id_z 0
		.amdhsa_system_sgpr_workgroup_info 0
		.amdhsa_system_vgpr_workitem_id 0
		.amdhsa_next_free_vgpr 1
		.amdhsa_next_free_sgpr 0
		.amdhsa_accum_offset 4
		.amdhsa_reserve_vcc 0
		.amdhsa_reserve_flat_scratch 0
		.amdhsa_float_round_mode_32 0
		.amdhsa_float_round_mode_16_64 0
		.amdhsa_float_denorm_mode_32 3
		.amdhsa_float_denorm_mode_16_64 3
		.amdhsa_dx10_clamp 1
		.amdhsa_ieee_mode 1
		.amdhsa_fp16_overflow 0
		.amdhsa_tg_split 0
		.amdhsa_exception_fp_ieee_invalid_op 0
		.amdhsa_exception_fp_denorm_src 0
		.amdhsa_exception_fp_ieee_div_zero 0
		.amdhsa_exception_fp_ieee_overflow 0
		.amdhsa_exception_fp_ieee_underflow 0
		.amdhsa_exception_fp_ieee_inexact 0
		.amdhsa_exception_int_div_zero 0
	.end_amdhsa_kernel
	.section	.text._ZN7rocprim17ROCPRIM_400000_NS6detail17trampoline_kernelINS0_14default_configENS1_25partition_config_selectorILNS1_17partition_subalgoE8ElNS0_10empty_typeEbEEZZNS1_14partition_implILS5_8ELb0ES3_jPlPS6_PKS6_NS0_5tupleIJS9_S6_EEENSD_IJSA_SA_EEENS0_18inequality_wrapperIZN2at6native12_GLOBAL__N_124unique_dim_cuda_templateIsEESt5tupleIJNSH_6TensorESM_SM_EERKSM_lbbbEUlllE0_EEPmJS6_EEE10hipError_tPvRmT3_T4_T5_T6_T7_T9_mT8_P12ihipStream_tbDpT10_ENKUlT_T0_E_clISt17integral_constantIbLb1EES1C_EEDaS17_S18_EUlS17_E_NS1_11comp_targetILNS1_3genE2ELNS1_11target_archE906ELNS1_3gpuE6ELNS1_3repE0EEENS1_30default_config_static_selectorELNS0_4arch9wavefront6targetE1EEEvT1_,"axG",@progbits,_ZN7rocprim17ROCPRIM_400000_NS6detail17trampoline_kernelINS0_14default_configENS1_25partition_config_selectorILNS1_17partition_subalgoE8ElNS0_10empty_typeEbEEZZNS1_14partition_implILS5_8ELb0ES3_jPlPS6_PKS6_NS0_5tupleIJS9_S6_EEENSD_IJSA_SA_EEENS0_18inequality_wrapperIZN2at6native12_GLOBAL__N_124unique_dim_cuda_templateIsEESt5tupleIJNSH_6TensorESM_SM_EERKSM_lbbbEUlllE0_EEPmJS6_EEE10hipError_tPvRmT3_T4_T5_T6_T7_T9_mT8_P12ihipStream_tbDpT10_ENKUlT_T0_E_clISt17integral_constantIbLb1EES1C_EEDaS17_S18_EUlS17_E_NS1_11comp_targetILNS1_3genE2ELNS1_11target_archE906ELNS1_3gpuE6ELNS1_3repE0EEENS1_30default_config_static_selectorELNS0_4arch9wavefront6targetE1EEEvT1_,comdat
.Lfunc_end697:
	.size	_ZN7rocprim17ROCPRIM_400000_NS6detail17trampoline_kernelINS0_14default_configENS1_25partition_config_selectorILNS1_17partition_subalgoE8ElNS0_10empty_typeEbEEZZNS1_14partition_implILS5_8ELb0ES3_jPlPS6_PKS6_NS0_5tupleIJS9_S6_EEENSD_IJSA_SA_EEENS0_18inequality_wrapperIZN2at6native12_GLOBAL__N_124unique_dim_cuda_templateIsEESt5tupleIJNSH_6TensorESM_SM_EERKSM_lbbbEUlllE0_EEPmJS6_EEE10hipError_tPvRmT3_T4_T5_T6_T7_T9_mT8_P12ihipStream_tbDpT10_ENKUlT_T0_E_clISt17integral_constantIbLb1EES1C_EEDaS17_S18_EUlS17_E_NS1_11comp_targetILNS1_3genE2ELNS1_11target_archE906ELNS1_3gpuE6ELNS1_3repE0EEENS1_30default_config_static_selectorELNS0_4arch9wavefront6targetE1EEEvT1_, .Lfunc_end697-_ZN7rocprim17ROCPRIM_400000_NS6detail17trampoline_kernelINS0_14default_configENS1_25partition_config_selectorILNS1_17partition_subalgoE8ElNS0_10empty_typeEbEEZZNS1_14partition_implILS5_8ELb0ES3_jPlPS6_PKS6_NS0_5tupleIJS9_S6_EEENSD_IJSA_SA_EEENS0_18inequality_wrapperIZN2at6native12_GLOBAL__N_124unique_dim_cuda_templateIsEESt5tupleIJNSH_6TensorESM_SM_EERKSM_lbbbEUlllE0_EEPmJS6_EEE10hipError_tPvRmT3_T4_T5_T6_T7_T9_mT8_P12ihipStream_tbDpT10_ENKUlT_T0_E_clISt17integral_constantIbLb1EES1C_EEDaS17_S18_EUlS17_E_NS1_11comp_targetILNS1_3genE2ELNS1_11target_archE906ELNS1_3gpuE6ELNS1_3repE0EEENS1_30default_config_static_selectorELNS0_4arch9wavefront6targetE1EEEvT1_
                                        ; -- End function
	.section	.AMDGPU.csdata,"",@progbits
; Kernel info:
; codeLenInByte = 0
; NumSgprs: 4
; NumVgprs: 0
; NumAgprs: 0
; TotalNumVgprs: 0
; ScratchSize: 0
; MemoryBound: 0
; FloatMode: 240
; IeeeMode: 1
; LDSByteSize: 0 bytes/workgroup (compile time only)
; SGPRBlocks: 0
; VGPRBlocks: 0
; NumSGPRsForWavesPerEU: 4
; NumVGPRsForWavesPerEU: 1
; AccumOffset: 4
; Occupancy: 8
; WaveLimiterHint : 0
; COMPUTE_PGM_RSRC2:SCRATCH_EN: 0
; COMPUTE_PGM_RSRC2:USER_SGPR: 6
; COMPUTE_PGM_RSRC2:TRAP_HANDLER: 0
; COMPUTE_PGM_RSRC2:TGID_X_EN: 1
; COMPUTE_PGM_RSRC2:TGID_Y_EN: 0
; COMPUTE_PGM_RSRC2:TGID_Z_EN: 0
; COMPUTE_PGM_RSRC2:TIDIG_COMP_CNT: 0
; COMPUTE_PGM_RSRC3_GFX90A:ACCUM_OFFSET: 0
; COMPUTE_PGM_RSRC3_GFX90A:TG_SPLIT: 0
	.section	.text._ZN7rocprim17ROCPRIM_400000_NS6detail17trampoline_kernelINS0_14default_configENS1_25partition_config_selectorILNS1_17partition_subalgoE8ElNS0_10empty_typeEbEEZZNS1_14partition_implILS5_8ELb0ES3_jPlPS6_PKS6_NS0_5tupleIJS9_S6_EEENSD_IJSA_SA_EEENS0_18inequality_wrapperIZN2at6native12_GLOBAL__N_124unique_dim_cuda_templateIsEESt5tupleIJNSH_6TensorESM_SM_EERKSM_lbbbEUlllE0_EEPmJS6_EEE10hipError_tPvRmT3_T4_T5_T6_T7_T9_mT8_P12ihipStream_tbDpT10_ENKUlT_T0_E_clISt17integral_constantIbLb1EES1C_EEDaS17_S18_EUlS17_E_NS1_11comp_targetILNS1_3genE10ELNS1_11target_archE1200ELNS1_3gpuE4ELNS1_3repE0EEENS1_30default_config_static_selectorELNS0_4arch9wavefront6targetE1EEEvT1_,"axG",@progbits,_ZN7rocprim17ROCPRIM_400000_NS6detail17trampoline_kernelINS0_14default_configENS1_25partition_config_selectorILNS1_17partition_subalgoE8ElNS0_10empty_typeEbEEZZNS1_14partition_implILS5_8ELb0ES3_jPlPS6_PKS6_NS0_5tupleIJS9_S6_EEENSD_IJSA_SA_EEENS0_18inequality_wrapperIZN2at6native12_GLOBAL__N_124unique_dim_cuda_templateIsEESt5tupleIJNSH_6TensorESM_SM_EERKSM_lbbbEUlllE0_EEPmJS6_EEE10hipError_tPvRmT3_T4_T5_T6_T7_T9_mT8_P12ihipStream_tbDpT10_ENKUlT_T0_E_clISt17integral_constantIbLb1EES1C_EEDaS17_S18_EUlS17_E_NS1_11comp_targetILNS1_3genE10ELNS1_11target_archE1200ELNS1_3gpuE4ELNS1_3repE0EEENS1_30default_config_static_selectorELNS0_4arch9wavefront6targetE1EEEvT1_,comdat
	.globl	_ZN7rocprim17ROCPRIM_400000_NS6detail17trampoline_kernelINS0_14default_configENS1_25partition_config_selectorILNS1_17partition_subalgoE8ElNS0_10empty_typeEbEEZZNS1_14partition_implILS5_8ELb0ES3_jPlPS6_PKS6_NS0_5tupleIJS9_S6_EEENSD_IJSA_SA_EEENS0_18inequality_wrapperIZN2at6native12_GLOBAL__N_124unique_dim_cuda_templateIsEESt5tupleIJNSH_6TensorESM_SM_EERKSM_lbbbEUlllE0_EEPmJS6_EEE10hipError_tPvRmT3_T4_T5_T6_T7_T9_mT8_P12ihipStream_tbDpT10_ENKUlT_T0_E_clISt17integral_constantIbLb1EES1C_EEDaS17_S18_EUlS17_E_NS1_11comp_targetILNS1_3genE10ELNS1_11target_archE1200ELNS1_3gpuE4ELNS1_3repE0EEENS1_30default_config_static_selectorELNS0_4arch9wavefront6targetE1EEEvT1_ ; -- Begin function _ZN7rocprim17ROCPRIM_400000_NS6detail17trampoline_kernelINS0_14default_configENS1_25partition_config_selectorILNS1_17partition_subalgoE8ElNS0_10empty_typeEbEEZZNS1_14partition_implILS5_8ELb0ES3_jPlPS6_PKS6_NS0_5tupleIJS9_S6_EEENSD_IJSA_SA_EEENS0_18inequality_wrapperIZN2at6native12_GLOBAL__N_124unique_dim_cuda_templateIsEESt5tupleIJNSH_6TensorESM_SM_EERKSM_lbbbEUlllE0_EEPmJS6_EEE10hipError_tPvRmT3_T4_T5_T6_T7_T9_mT8_P12ihipStream_tbDpT10_ENKUlT_T0_E_clISt17integral_constantIbLb1EES1C_EEDaS17_S18_EUlS17_E_NS1_11comp_targetILNS1_3genE10ELNS1_11target_archE1200ELNS1_3gpuE4ELNS1_3repE0EEENS1_30default_config_static_selectorELNS0_4arch9wavefront6targetE1EEEvT1_
	.p2align	8
	.type	_ZN7rocprim17ROCPRIM_400000_NS6detail17trampoline_kernelINS0_14default_configENS1_25partition_config_selectorILNS1_17partition_subalgoE8ElNS0_10empty_typeEbEEZZNS1_14partition_implILS5_8ELb0ES3_jPlPS6_PKS6_NS0_5tupleIJS9_S6_EEENSD_IJSA_SA_EEENS0_18inequality_wrapperIZN2at6native12_GLOBAL__N_124unique_dim_cuda_templateIsEESt5tupleIJNSH_6TensorESM_SM_EERKSM_lbbbEUlllE0_EEPmJS6_EEE10hipError_tPvRmT3_T4_T5_T6_T7_T9_mT8_P12ihipStream_tbDpT10_ENKUlT_T0_E_clISt17integral_constantIbLb1EES1C_EEDaS17_S18_EUlS17_E_NS1_11comp_targetILNS1_3genE10ELNS1_11target_archE1200ELNS1_3gpuE4ELNS1_3repE0EEENS1_30default_config_static_selectorELNS0_4arch9wavefront6targetE1EEEvT1_,@function
_ZN7rocprim17ROCPRIM_400000_NS6detail17trampoline_kernelINS0_14default_configENS1_25partition_config_selectorILNS1_17partition_subalgoE8ElNS0_10empty_typeEbEEZZNS1_14partition_implILS5_8ELb0ES3_jPlPS6_PKS6_NS0_5tupleIJS9_S6_EEENSD_IJSA_SA_EEENS0_18inequality_wrapperIZN2at6native12_GLOBAL__N_124unique_dim_cuda_templateIsEESt5tupleIJNSH_6TensorESM_SM_EERKSM_lbbbEUlllE0_EEPmJS6_EEE10hipError_tPvRmT3_T4_T5_T6_T7_T9_mT8_P12ihipStream_tbDpT10_ENKUlT_T0_E_clISt17integral_constantIbLb1EES1C_EEDaS17_S18_EUlS17_E_NS1_11comp_targetILNS1_3genE10ELNS1_11target_archE1200ELNS1_3gpuE4ELNS1_3repE0EEENS1_30default_config_static_selectorELNS0_4arch9wavefront6targetE1EEEvT1_: ; @_ZN7rocprim17ROCPRIM_400000_NS6detail17trampoline_kernelINS0_14default_configENS1_25partition_config_selectorILNS1_17partition_subalgoE8ElNS0_10empty_typeEbEEZZNS1_14partition_implILS5_8ELb0ES3_jPlPS6_PKS6_NS0_5tupleIJS9_S6_EEENSD_IJSA_SA_EEENS0_18inequality_wrapperIZN2at6native12_GLOBAL__N_124unique_dim_cuda_templateIsEESt5tupleIJNSH_6TensorESM_SM_EERKSM_lbbbEUlllE0_EEPmJS6_EEE10hipError_tPvRmT3_T4_T5_T6_T7_T9_mT8_P12ihipStream_tbDpT10_ENKUlT_T0_E_clISt17integral_constantIbLb1EES1C_EEDaS17_S18_EUlS17_E_NS1_11comp_targetILNS1_3genE10ELNS1_11target_archE1200ELNS1_3gpuE4ELNS1_3repE0EEENS1_30default_config_static_selectorELNS0_4arch9wavefront6targetE1EEEvT1_
; %bb.0:
	.section	.rodata,"a",@progbits
	.p2align	6, 0x0
	.amdhsa_kernel _ZN7rocprim17ROCPRIM_400000_NS6detail17trampoline_kernelINS0_14default_configENS1_25partition_config_selectorILNS1_17partition_subalgoE8ElNS0_10empty_typeEbEEZZNS1_14partition_implILS5_8ELb0ES3_jPlPS6_PKS6_NS0_5tupleIJS9_S6_EEENSD_IJSA_SA_EEENS0_18inequality_wrapperIZN2at6native12_GLOBAL__N_124unique_dim_cuda_templateIsEESt5tupleIJNSH_6TensorESM_SM_EERKSM_lbbbEUlllE0_EEPmJS6_EEE10hipError_tPvRmT3_T4_T5_T6_T7_T9_mT8_P12ihipStream_tbDpT10_ENKUlT_T0_E_clISt17integral_constantIbLb1EES1C_EEDaS17_S18_EUlS17_E_NS1_11comp_targetILNS1_3genE10ELNS1_11target_archE1200ELNS1_3gpuE4ELNS1_3repE0EEENS1_30default_config_static_selectorELNS0_4arch9wavefront6targetE1EEEvT1_
		.amdhsa_group_segment_fixed_size 0
		.amdhsa_private_segment_fixed_size 0
		.amdhsa_kernarg_size 136
		.amdhsa_user_sgpr_count 6
		.amdhsa_user_sgpr_private_segment_buffer 1
		.amdhsa_user_sgpr_dispatch_ptr 0
		.amdhsa_user_sgpr_queue_ptr 0
		.amdhsa_user_sgpr_kernarg_segment_ptr 1
		.amdhsa_user_sgpr_dispatch_id 0
		.amdhsa_user_sgpr_flat_scratch_init 0
		.amdhsa_user_sgpr_kernarg_preload_length 0
		.amdhsa_user_sgpr_kernarg_preload_offset 0
		.amdhsa_user_sgpr_private_segment_size 0
		.amdhsa_uses_dynamic_stack 0
		.amdhsa_system_sgpr_private_segment_wavefront_offset 0
		.amdhsa_system_sgpr_workgroup_id_x 1
		.amdhsa_system_sgpr_workgroup_id_y 0
		.amdhsa_system_sgpr_workgroup_id_z 0
		.amdhsa_system_sgpr_workgroup_info 0
		.amdhsa_system_vgpr_workitem_id 0
		.amdhsa_next_free_vgpr 1
		.amdhsa_next_free_sgpr 0
		.amdhsa_accum_offset 4
		.amdhsa_reserve_vcc 0
		.amdhsa_reserve_flat_scratch 0
		.amdhsa_float_round_mode_32 0
		.amdhsa_float_round_mode_16_64 0
		.amdhsa_float_denorm_mode_32 3
		.amdhsa_float_denorm_mode_16_64 3
		.amdhsa_dx10_clamp 1
		.amdhsa_ieee_mode 1
		.amdhsa_fp16_overflow 0
		.amdhsa_tg_split 0
		.amdhsa_exception_fp_ieee_invalid_op 0
		.amdhsa_exception_fp_denorm_src 0
		.amdhsa_exception_fp_ieee_div_zero 0
		.amdhsa_exception_fp_ieee_overflow 0
		.amdhsa_exception_fp_ieee_underflow 0
		.amdhsa_exception_fp_ieee_inexact 0
		.amdhsa_exception_int_div_zero 0
	.end_amdhsa_kernel
	.section	.text._ZN7rocprim17ROCPRIM_400000_NS6detail17trampoline_kernelINS0_14default_configENS1_25partition_config_selectorILNS1_17partition_subalgoE8ElNS0_10empty_typeEbEEZZNS1_14partition_implILS5_8ELb0ES3_jPlPS6_PKS6_NS0_5tupleIJS9_S6_EEENSD_IJSA_SA_EEENS0_18inequality_wrapperIZN2at6native12_GLOBAL__N_124unique_dim_cuda_templateIsEESt5tupleIJNSH_6TensorESM_SM_EERKSM_lbbbEUlllE0_EEPmJS6_EEE10hipError_tPvRmT3_T4_T5_T6_T7_T9_mT8_P12ihipStream_tbDpT10_ENKUlT_T0_E_clISt17integral_constantIbLb1EES1C_EEDaS17_S18_EUlS17_E_NS1_11comp_targetILNS1_3genE10ELNS1_11target_archE1200ELNS1_3gpuE4ELNS1_3repE0EEENS1_30default_config_static_selectorELNS0_4arch9wavefront6targetE1EEEvT1_,"axG",@progbits,_ZN7rocprim17ROCPRIM_400000_NS6detail17trampoline_kernelINS0_14default_configENS1_25partition_config_selectorILNS1_17partition_subalgoE8ElNS0_10empty_typeEbEEZZNS1_14partition_implILS5_8ELb0ES3_jPlPS6_PKS6_NS0_5tupleIJS9_S6_EEENSD_IJSA_SA_EEENS0_18inequality_wrapperIZN2at6native12_GLOBAL__N_124unique_dim_cuda_templateIsEESt5tupleIJNSH_6TensorESM_SM_EERKSM_lbbbEUlllE0_EEPmJS6_EEE10hipError_tPvRmT3_T4_T5_T6_T7_T9_mT8_P12ihipStream_tbDpT10_ENKUlT_T0_E_clISt17integral_constantIbLb1EES1C_EEDaS17_S18_EUlS17_E_NS1_11comp_targetILNS1_3genE10ELNS1_11target_archE1200ELNS1_3gpuE4ELNS1_3repE0EEENS1_30default_config_static_selectorELNS0_4arch9wavefront6targetE1EEEvT1_,comdat
.Lfunc_end698:
	.size	_ZN7rocprim17ROCPRIM_400000_NS6detail17trampoline_kernelINS0_14default_configENS1_25partition_config_selectorILNS1_17partition_subalgoE8ElNS0_10empty_typeEbEEZZNS1_14partition_implILS5_8ELb0ES3_jPlPS6_PKS6_NS0_5tupleIJS9_S6_EEENSD_IJSA_SA_EEENS0_18inequality_wrapperIZN2at6native12_GLOBAL__N_124unique_dim_cuda_templateIsEESt5tupleIJNSH_6TensorESM_SM_EERKSM_lbbbEUlllE0_EEPmJS6_EEE10hipError_tPvRmT3_T4_T5_T6_T7_T9_mT8_P12ihipStream_tbDpT10_ENKUlT_T0_E_clISt17integral_constantIbLb1EES1C_EEDaS17_S18_EUlS17_E_NS1_11comp_targetILNS1_3genE10ELNS1_11target_archE1200ELNS1_3gpuE4ELNS1_3repE0EEENS1_30default_config_static_selectorELNS0_4arch9wavefront6targetE1EEEvT1_, .Lfunc_end698-_ZN7rocprim17ROCPRIM_400000_NS6detail17trampoline_kernelINS0_14default_configENS1_25partition_config_selectorILNS1_17partition_subalgoE8ElNS0_10empty_typeEbEEZZNS1_14partition_implILS5_8ELb0ES3_jPlPS6_PKS6_NS0_5tupleIJS9_S6_EEENSD_IJSA_SA_EEENS0_18inequality_wrapperIZN2at6native12_GLOBAL__N_124unique_dim_cuda_templateIsEESt5tupleIJNSH_6TensorESM_SM_EERKSM_lbbbEUlllE0_EEPmJS6_EEE10hipError_tPvRmT3_T4_T5_T6_T7_T9_mT8_P12ihipStream_tbDpT10_ENKUlT_T0_E_clISt17integral_constantIbLb1EES1C_EEDaS17_S18_EUlS17_E_NS1_11comp_targetILNS1_3genE10ELNS1_11target_archE1200ELNS1_3gpuE4ELNS1_3repE0EEENS1_30default_config_static_selectorELNS0_4arch9wavefront6targetE1EEEvT1_
                                        ; -- End function
	.section	.AMDGPU.csdata,"",@progbits
; Kernel info:
; codeLenInByte = 0
; NumSgprs: 4
; NumVgprs: 0
; NumAgprs: 0
; TotalNumVgprs: 0
; ScratchSize: 0
; MemoryBound: 0
; FloatMode: 240
; IeeeMode: 1
; LDSByteSize: 0 bytes/workgroup (compile time only)
; SGPRBlocks: 0
; VGPRBlocks: 0
; NumSGPRsForWavesPerEU: 4
; NumVGPRsForWavesPerEU: 1
; AccumOffset: 4
; Occupancy: 8
; WaveLimiterHint : 0
; COMPUTE_PGM_RSRC2:SCRATCH_EN: 0
; COMPUTE_PGM_RSRC2:USER_SGPR: 6
; COMPUTE_PGM_RSRC2:TRAP_HANDLER: 0
; COMPUTE_PGM_RSRC2:TGID_X_EN: 1
; COMPUTE_PGM_RSRC2:TGID_Y_EN: 0
; COMPUTE_PGM_RSRC2:TGID_Z_EN: 0
; COMPUTE_PGM_RSRC2:TIDIG_COMP_CNT: 0
; COMPUTE_PGM_RSRC3_GFX90A:ACCUM_OFFSET: 0
; COMPUTE_PGM_RSRC3_GFX90A:TG_SPLIT: 0
	.section	.text._ZN7rocprim17ROCPRIM_400000_NS6detail17trampoline_kernelINS0_14default_configENS1_25partition_config_selectorILNS1_17partition_subalgoE8ElNS0_10empty_typeEbEEZZNS1_14partition_implILS5_8ELb0ES3_jPlPS6_PKS6_NS0_5tupleIJS9_S6_EEENSD_IJSA_SA_EEENS0_18inequality_wrapperIZN2at6native12_GLOBAL__N_124unique_dim_cuda_templateIsEESt5tupleIJNSH_6TensorESM_SM_EERKSM_lbbbEUlllE0_EEPmJS6_EEE10hipError_tPvRmT3_T4_T5_T6_T7_T9_mT8_P12ihipStream_tbDpT10_ENKUlT_T0_E_clISt17integral_constantIbLb1EES1C_EEDaS17_S18_EUlS17_E_NS1_11comp_targetILNS1_3genE9ELNS1_11target_archE1100ELNS1_3gpuE3ELNS1_3repE0EEENS1_30default_config_static_selectorELNS0_4arch9wavefront6targetE1EEEvT1_,"axG",@progbits,_ZN7rocprim17ROCPRIM_400000_NS6detail17trampoline_kernelINS0_14default_configENS1_25partition_config_selectorILNS1_17partition_subalgoE8ElNS0_10empty_typeEbEEZZNS1_14partition_implILS5_8ELb0ES3_jPlPS6_PKS6_NS0_5tupleIJS9_S6_EEENSD_IJSA_SA_EEENS0_18inequality_wrapperIZN2at6native12_GLOBAL__N_124unique_dim_cuda_templateIsEESt5tupleIJNSH_6TensorESM_SM_EERKSM_lbbbEUlllE0_EEPmJS6_EEE10hipError_tPvRmT3_T4_T5_T6_T7_T9_mT8_P12ihipStream_tbDpT10_ENKUlT_T0_E_clISt17integral_constantIbLb1EES1C_EEDaS17_S18_EUlS17_E_NS1_11comp_targetILNS1_3genE9ELNS1_11target_archE1100ELNS1_3gpuE3ELNS1_3repE0EEENS1_30default_config_static_selectorELNS0_4arch9wavefront6targetE1EEEvT1_,comdat
	.globl	_ZN7rocprim17ROCPRIM_400000_NS6detail17trampoline_kernelINS0_14default_configENS1_25partition_config_selectorILNS1_17partition_subalgoE8ElNS0_10empty_typeEbEEZZNS1_14partition_implILS5_8ELb0ES3_jPlPS6_PKS6_NS0_5tupleIJS9_S6_EEENSD_IJSA_SA_EEENS0_18inequality_wrapperIZN2at6native12_GLOBAL__N_124unique_dim_cuda_templateIsEESt5tupleIJNSH_6TensorESM_SM_EERKSM_lbbbEUlllE0_EEPmJS6_EEE10hipError_tPvRmT3_T4_T5_T6_T7_T9_mT8_P12ihipStream_tbDpT10_ENKUlT_T0_E_clISt17integral_constantIbLb1EES1C_EEDaS17_S18_EUlS17_E_NS1_11comp_targetILNS1_3genE9ELNS1_11target_archE1100ELNS1_3gpuE3ELNS1_3repE0EEENS1_30default_config_static_selectorELNS0_4arch9wavefront6targetE1EEEvT1_ ; -- Begin function _ZN7rocprim17ROCPRIM_400000_NS6detail17trampoline_kernelINS0_14default_configENS1_25partition_config_selectorILNS1_17partition_subalgoE8ElNS0_10empty_typeEbEEZZNS1_14partition_implILS5_8ELb0ES3_jPlPS6_PKS6_NS0_5tupleIJS9_S6_EEENSD_IJSA_SA_EEENS0_18inequality_wrapperIZN2at6native12_GLOBAL__N_124unique_dim_cuda_templateIsEESt5tupleIJNSH_6TensorESM_SM_EERKSM_lbbbEUlllE0_EEPmJS6_EEE10hipError_tPvRmT3_T4_T5_T6_T7_T9_mT8_P12ihipStream_tbDpT10_ENKUlT_T0_E_clISt17integral_constantIbLb1EES1C_EEDaS17_S18_EUlS17_E_NS1_11comp_targetILNS1_3genE9ELNS1_11target_archE1100ELNS1_3gpuE3ELNS1_3repE0EEENS1_30default_config_static_selectorELNS0_4arch9wavefront6targetE1EEEvT1_
	.p2align	8
	.type	_ZN7rocprim17ROCPRIM_400000_NS6detail17trampoline_kernelINS0_14default_configENS1_25partition_config_selectorILNS1_17partition_subalgoE8ElNS0_10empty_typeEbEEZZNS1_14partition_implILS5_8ELb0ES3_jPlPS6_PKS6_NS0_5tupleIJS9_S6_EEENSD_IJSA_SA_EEENS0_18inequality_wrapperIZN2at6native12_GLOBAL__N_124unique_dim_cuda_templateIsEESt5tupleIJNSH_6TensorESM_SM_EERKSM_lbbbEUlllE0_EEPmJS6_EEE10hipError_tPvRmT3_T4_T5_T6_T7_T9_mT8_P12ihipStream_tbDpT10_ENKUlT_T0_E_clISt17integral_constantIbLb1EES1C_EEDaS17_S18_EUlS17_E_NS1_11comp_targetILNS1_3genE9ELNS1_11target_archE1100ELNS1_3gpuE3ELNS1_3repE0EEENS1_30default_config_static_selectorELNS0_4arch9wavefront6targetE1EEEvT1_,@function
_ZN7rocprim17ROCPRIM_400000_NS6detail17trampoline_kernelINS0_14default_configENS1_25partition_config_selectorILNS1_17partition_subalgoE8ElNS0_10empty_typeEbEEZZNS1_14partition_implILS5_8ELb0ES3_jPlPS6_PKS6_NS0_5tupleIJS9_S6_EEENSD_IJSA_SA_EEENS0_18inequality_wrapperIZN2at6native12_GLOBAL__N_124unique_dim_cuda_templateIsEESt5tupleIJNSH_6TensorESM_SM_EERKSM_lbbbEUlllE0_EEPmJS6_EEE10hipError_tPvRmT3_T4_T5_T6_T7_T9_mT8_P12ihipStream_tbDpT10_ENKUlT_T0_E_clISt17integral_constantIbLb1EES1C_EEDaS17_S18_EUlS17_E_NS1_11comp_targetILNS1_3genE9ELNS1_11target_archE1100ELNS1_3gpuE3ELNS1_3repE0EEENS1_30default_config_static_selectorELNS0_4arch9wavefront6targetE1EEEvT1_: ; @_ZN7rocprim17ROCPRIM_400000_NS6detail17trampoline_kernelINS0_14default_configENS1_25partition_config_selectorILNS1_17partition_subalgoE8ElNS0_10empty_typeEbEEZZNS1_14partition_implILS5_8ELb0ES3_jPlPS6_PKS6_NS0_5tupleIJS9_S6_EEENSD_IJSA_SA_EEENS0_18inequality_wrapperIZN2at6native12_GLOBAL__N_124unique_dim_cuda_templateIsEESt5tupleIJNSH_6TensorESM_SM_EERKSM_lbbbEUlllE0_EEPmJS6_EEE10hipError_tPvRmT3_T4_T5_T6_T7_T9_mT8_P12ihipStream_tbDpT10_ENKUlT_T0_E_clISt17integral_constantIbLb1EES1C_EEDaS17_S18_EUlS17_E_NS1_11comp_targetILNS1_3genE9ELNS1_11target_archE1100ELNS1_3gpuE3ELNS1_3repE0EEENS1_30default_config_static_selectorELNS0_4arch9wavefront6targetE1EEEvT1_
; %bb.0:
	.section	.rodata,"a",@progbits
	.p2align	6, 0x0
	.amdhsa_kernel _ZN7rocprim17ROCPRIM_400000_NS6detail17trampoline_kernelINS0_14default_configENS1_25partition_config_selectorILNS1_17partition_subalgoE8ElNS0_10empty_typeEbEEZZNS1_14partition_implILS5_8ELb0ES3_jPlPS6_PKS6_NS0_5tupleIJS9_S6_EEENSD_IJSA_SA_EEENS0_18inequality_wrapperIZN2at6native12_GLOBAL__N_124unique_dim_cuda_templateIsEESt5tupleIJNSH_6TensorESM_SM_EERKSM_lbbbEUlllE0_EEPmJS6_EEE10hipError_tPvRmT3_T4_T5_T6_T7_T9_mT8_P12ihipStream_tbDpT10_ENKUlT_T0_E_clISt17integral_constantIbLb1EES1C_EEDaS17_S18_EUlS17_E_NS1_11comp_targetILNS1_3genE9ELNS1_11target_archE1100ELNS1_3gpuE3ELNS1_3repE0EEENS1_30default_config_static_selectorELNS0_4arch9wavefront6targetE1EEEvT1_
		.amdhsa_group_segment_fixed_size 0
		.amdhsa_private_segment_fixed_size 0
		.amdhsa_kernarg_size 136
		.amdhsa_user_sgpr_count 6
		.amdhsa_user_sgpr_private_segment_buffer 1
		.amdhsa_user_sgpr_dispatch_ptr 0
		.amdhsa_user_sgpr_queue_ptr 0
		.amdhsa_user_sgpr_kernarg_segment_ptr 1
		.amdhsa_user_sgpr_dispatch_id 0
		.amdhsa_user_sgpr_flat_scratch_init 0
		.amdhsa_user_sgpr_kernarg_preload_length 0
		.amdhsa_user_sgpr_kernarg_preload_offset 0
		.amdhsa_user_sgpr_private_segment_size 0
		.amdhsa_uses_dynamic_stack 0
		.amdhsa_system_sgpr_private_segment_wavefront_offset 0
		.amdhsa_system_sgpr_workgroup_id_x 1
		.amdhsa_system_sgpr_workgroup_id_y 0
		.amdhsa_system_sgpr_workgroup_id_z 0
		.amdhsa_system_sgpr_workgroup_info 0
		.amdhsa_system_vgpr_workitem_id 0
		.amdhsa_next_free_vgpr 1
		.amdhsa_next_free_sgpr 0
		.amdhsa_accum_offset 4
		.amdhsa_reserve_vcc 0
		.amdhsa_reserve_flat_scratch 0
		.amdhsa_float_round_mode_32 0
		.amdhsa_float_round_mode_16_64 0
		.amdhsa_float_denorm_mode_32 3
		.amdhsa_float_denorm_mode_16_64 3
		.amdhsa_dx10_clamp 1
		.amdhsa_ieee_mode 1
		.amdhsa_fp16_overflow 0
		.amdhsa_tg_split 0
		.amdhsa_exception_fp_ieee_invalid_op 0
		.amdhsa_exception_fp_denorm_src 0
		.amdhsa_exception_fp_ieee_div_zero 0
		.amdhsa_exception_fp_ieee_overflow 0
		.amdhsa_exception_fp_ieee_underflow 0
		.amdhsa_exception_fp_ieee_inexact 0
		.amdhsa_exception_int_div_zero 0
	.end_amdhsa_kernel
	.section	.text._ZN7rocprim17ROCPRIM_400000_NS6detail17trampoline_kernelINS0_14default_configENS1_25partition_config_selectorILNS1_17partition_subalgoE8ElNS0_10empty_typeEbEEZZNS1_14partition_implILS5_8ELb0ES3_jPlPS6_PKS6_NS0_5tupleIJS9_S6_EEENSD_IJSA_SA_EEENS0_18inequality_wrapperIZN2at6native12_GLOBAL__N_124unique_dim_cuda_templateIsEESt5tupleIJNSH_6TensorESM_SM_EERKSM_lbbbEUlllE0_EEPmJS6_EEE10hipError_tPvRmT3_T4_T5_T6_T7_T9_mT8_P12ihipStream_tbDpT10_ENKUlT_T0_E_clISt17integral_constantIbLb1EES1C_EEDaS17_S18_EUlS17_E_NS1_11comp_targetILNS1_3genE9ELNS1_11target_archE1100ELNS1_3gpuE3ELNS1_3repE0EEENS1_30default_config_static_selectorELNS0_4arch9wavefront6targetE1EEEvT1_,"axG",@progbits,_ZN7rocprim17ROCPRIM_400000_NS6detail17trampoline_kernelINS0_14default_configENS1_25partition_config_selectorILNS1_17partition_subalgoE8ElNS0_10empty_typeEbEEZZNS1_14partition_implILS5_8ELb0ES3_jPlPS6_PKS6_NS0_5tupleIJS9_S6_EEENSD_IJSA_SA_EEENS0_18inequality_wrapperIZN2at6native12_GLOBAL__N_124unique_dim_cuda_templateIsEESt5tupleIJNSH_6TensorESM_SM_EERKSM_lbbbEUlllE0_EEPmJS6_EEE10hipError_tPvRmT3_T4_T5_T6_T7_T9_mT8_P12ihipStream_tbDpT10_ENKUlT_T0_E_clISt17integral_constantIbLb1EES1C_EEDaS17_S18_EUlS17_E_NS1_11comp_targetILNS1_3genE9ELNS1_11target_archE1100ELNS1_3gpuE3ELNS1_3repE0EEENS1_30default_config_static_selectorELNS0_4arch9wavefront6targetE1EEEvT1_,comdat
.Lfunc_end699:
	.size	_ZN7rocprim17ROCPRIM_400000_NS6detail17trampoline_kernelINS0_14default_configENS1_25partition_config_selectorILNS1_17partition_subalgoE8ElNS0_10empty_typeEbEEZZNS1_14partition_implILS5_8ELb0ES3_jPlPS6_PKS6_NS0_5tupleIJS9_S6_EEENSD_IJSA_SA_EEENS0_18inequality_wrapperIZN2at6native12_GLOBAL__N_124unique_dim_cuda_templateIsEESt5tupleIJNSH_6TensorESM_SM_EERKSM_lbbbEUlllE0_EEPmJS6_EEE10hipError_tPvRmT3_T4_T5_T6_T7_T9_mT8_P12ihipStream_tbDpT10_ENKUlT_T0_E_clISt17integral_constantIbLb1EES1C_EEDaS17_S18_EUlS17_E_NS1_11comp_targetILNS1_3genE9ELNS1_11target_archE1100ELNS1_3gpuE3ELNS1_3repE0EEENS1_30default_config_static_selectorELNS0_4arch9wavefront6targetE1EEEvT1_, .Lfunc_end699-_ZN7rocprim17ROCPRIM_400000_NS6detail17trampoline_kernelINS0_14default_configENS1_25partition_config_selectorILNS1_17partition_subalgoE8ElNS0_10empty_typeEbEEZZNS1_14partition_implILS5_8ELb0ES3_jPlPS6_PKS6_NS0_5tupleIJS9_S6_EEENSD_IJSA_SA_EEENS0_18inequality_wrapperIZN2at6native12_GLOBAL__N_124unique_dim_cuda_templateIsEESt5tupleIJNSH_6TensorESM_SM_EERKSM_lbbbEUlllE0_EEPmJS6_EEE10hipError_tPvRmT3_T4_T5_T6_T7_T9_mT8_P12ihipStream_tbDpT10_ENKUlT_T0_E_clISt17integral_constantIbLb1EES1C_EEDaS17_S18_EUlS17_E_NS1_11comp_targetILNS1_3genE9ELNS1_11target_archE1100ELNS1_3gpuE3ELNS1_3repE0EEENS1_30default_config_static_selectorELNS0_4arch9wavefront6targetE1EEEvT1_
                                        ; -- End function
	.section	.AMDGPU.csdata,"",@progbits
; Kernel info:
; codeLenInByte = 0
; NumSgprs: 4
; NumVgprs: 0
; NumAgprs: 0
; TotalNumVgprs: 0
; ScratchSize: 0
; MemoryBound: 0
; FloatMode: 240
; IeeeMode: 1
; LDSByteSize: 0 bytes/workgroup (compile time only)
; SGPRBlocks: 0
; VGPRBlocks: 0
; NumSGPRsForWavesPerEU: 4
; NumVGPRsForWavesPerEU: 1
; AccumOffset: 4
; Occupancy: 8
; WaveLimiterHint : 0
; COMPUTE_PGM_RSRC2:SCRATCH_EN: 0
; COMPUTE_PGM_RSRC2:USER_SGPR: 6
; COMPUTE_PGM_RSRC2:TRAP_HANDLER: 0
; COMPUTE_PGM_RSRC2:TGID_X_EN: 1
; COMPUTE_PGM_RSRC2:TGID_Y_EN: 0
; COMPUTE_PGM_RSRC2:TGID_Z_EN: 0
; COMPUTE_PGM_RSRC2:TIDIG_COMP_CNT: 0
; COMPUTE_PGM_RSRC3_GFX90A:ACCUM_OFFSET: 0
; COMPUTE_PGM_RSRC3_GFX90A:TG_SPLIT: 0
	.section	.text._ZN7rocprim17ROCPRIM_400000_NS6detail17trampoline_kernelINS0_14default_configENS1_25partition_config_selectorILNS1_17partition_subalgoE8ElNS0_10empty_typeEbEEZZNS1_14partition_implILS5_8ELb0ES3_jPlPS6_PKS6_NS0_5tupleIJS9_S6_EEENSD_IJSA_SA_EEENS0_18inequality_wrapperIZN2at6native12_GLOBAL__N_124unique_dim_cuda_templateIsEESt5tupleIJNSH_6TensorESM_SM_EERKSM_lbbbEUlllE0_EEPmJS6_EEE10hipError_tPvRmT3_T4_T5_T6_T7_T9_mT8_P12ihipStream_tbDpT10_ENKUlT_T0_E_clISt17integral_constantIbLb1EES1C_EEDaS17_S18_EUlS17_E_NS1_11comp_targetILNS1_3genE8ELNS1_11target_archE1030ELNS1_3gpuE2ELNS1_3repE0EEENS1_30default_config_static_selectorELNS0_4arch9wavefront6targetE1EEEvT1_,"axG",@progbits,_ZN7rocprim17ROCPRIM_400000_NS6detail17trampoline_kernelINS0_14default_configENS1_25partition_config_selectorILNS1_17partition_subalgoE8ElNS0_10empty_typeEbEEZZNS1_14partition_implILS5_8ELb0ES3_jPlPS6_PKS6_NS0_5tupleIJS9_S6_EEENSD_IJSA_SA_EEENS0_18inequality_wrapperIZN2at6native12_GLOBAL__N_124unique_dim_cuda_templateIsEESt5tupleIJNSH_6TensorESM_SM_EERKSM_lbbbEUlllE0_EEPmJS6_EEE10hipError_tPvRmT3_T4_T5_T6_T7_T9_mT8_P12ihipStream_tbDpT10_ENKUlT_T0_E_clISt17integral_constantIbLb1EES1C_EEDaS17_S18_EUlS17_E_NS1_11comp_targetILNS1_3genE8ELNS1_11target_archE1030ELNS1_3gpuE2ELNS1_3repE0EEENS1_30default_config_static_selectorELNS0_4arch9wavefront6targetE1EEEvT1_,comdat
	.globl	_ZN7rocprim17ROCPRIM_400000_NS6detail17trampoline_kernelINS0_14default_configENS1_25partition_config_selectorILNS1_17partition_subalgoE8ElNS0_10empty_typeEbEEZZNS1_14partition_implILS5_8ELb0ES3_jPlPS6_PKS6_NS0_5tupleIJS9_S6_EEENSD_IJSA_SA_EEENS0_18inequality_wrapperIZN2at6native12_GLOBAL__N_124unique_dim_cuda_templateIsEESt5tupleIJNSH_6TensorESM_SM_EERKSM_lbbbEUlllE0_EEPmJS6_EEE10hipError_tPvRmT3_T4_T5_T6_T7_T9_mT8_P12ihipStream_tbDpT10_ENKUlT_T0_E_clISt17integral_constantIbLb1EES1C_EEDaS17_S18_EUlS17_E_NS1_11comp_targetILNS1_3genE8ELNS1_11target_archE1030ELNS1_3gpuE2ELNS1_3repE0EEENS1_30default_config_static_selectorELNS0_4arch9wavefront6targetE1EEEvT1_ ; -- Begin function _ZN7rocprim17ROCPRIM_400000_NS6detail17trampoline_kernelINS0_14default_configENS1_25partition_config_selectorILNS1_17partition_subalgoE8ElNS0_10empty_typeEbEEZZNS1_14partition_implILS5_8ELb0ES3_jPlPS6_PKS6_NS0_5tupleIJS9_S6_EEENSD_IJSA_SA_EEENS0_18inequality_wrapperIZN2at6native12_GLOBAL__N_124unique_dim_cuda_templateIsEESt5tupleIJNSH_6TensorESM_SM_EERKSM_lbbbEUlllE0_EEPmJS6_EEE10hipError_tPvRmT3_T4_T5_T6_T7_T9_mT8_P12ihipStream_tbDpT10_ENKUlT_T0_E_clISt17integral_constantIbLb1EES1C_EEDaS17_S18_EUlS17_E_NS1_11comp_targetILNS1_3genE8ELNS1_11target_archE1030ELNS1_3gpuE2ELNS1_3repE0EEENS1_30default_config_static_selectorELNS0_4arch9wavefront6targetE1EEEvT1_
	.p2align	8
	.type	_ZN7rocprim17ROCPRIM_400000_NS6detail17trampoline_kernelINS0_14default_configENS1_25partition_config_selectorILNS1_17partition_subalgoE8ElNS0_10empty_typeEbEEZZNS1_14partition_implILS5_8ELb0ES3_jPlPS6_PKS6_NS0_5tupleIJS9_S6_EEENSD_IJSA_SA_EEENS0_18inequality_wrapperIZN2at6native12_GLOBAL__N_124unique_dim_cuda_templateIsEESt5tupleIJNSH_6TensorESM_SM_EERKSM_lbbbEUlllE0_EEPmJS6_EEE10hipError_tPvRmT3_T4_T5_T6_T7_T9_mT8_P12ihipStream_tbDpT10_ENKUlT_T0_E_clISt17integral_constantIbLb1EES1C_EEDaS17_S18_EUlS17_E_NS1_11comp_targetILNS1_3genE8ELNS1_11target_archE1030ELNS1_3gpuE2ELNS1_3repE0EEENS1_30default_config_static_selectorELNS0_4arch9wavefront6targetE1EEEvT1_,@function
_ZN7rocprim17ROCPRIM_400000_NS6detail17trampoline_kernelINS0_14default_configENS1_25partition_config_selectorILNS1_17partition_subalgoE8ElNS0_10empty_typeEbEEZZNS1_14partition_implILS5_8ELb0ES3_jPlPS6_PKS6_NS0_5tupleIJS9_S6_EEENSD_IJSA_SA_EEENS0_18inequality_wrapperIZN2at6native12_GLOBAL__N_124unique_dim_cuda_templateIsEESt5tupleIJNSH_6TensorESM_SM_EERKSM_lbbbEUlllE0_EEPmJS6_EEE10hipError_tPvRmT3_T4_T5_T6_T7_T9_mT8_P12ihipStream_tbDpT10_ENKUlT_T0_E_clISt17integral_constantIbLb1EES1C_EEDaS17_S18_EUlS17_E_NS1_11comp_targetILNS1_3genE8ELNS1_11target_archE1030ELNS1_3gpuE2ELNS1_3repE0EEENS1_30default_config_static_selectorELNS0_4arch9wavefront6targetE1EEEvT1_: ; @_ZN7rocprim17ROCPRIM_400000_NS6detail17trampoline_kernelINS0_14default_configENS1_25partition_config_selectorILNS1_17partition_subalgoE8ElNS0_10empty_typeEbEEZZNS1_14partition_implILS5_8ELb0ES3_jPlPS6_PKS6_NS0_5tupleIJS9_S6_EEENSD_IJSA_SA_EEENS0_18inequality_wrapperIZN2at6native12_GLOBAL__N_124unique_dim_cuda_templateIsEESt5tupleIJNSH_6TensorESM_SM_EERKSM_lbbbEUlllE0_EEPmJS6_EEE10hipError_tPvRmT3_T4_T5_T6_T7_T9_mT8_P12ihipStream_tbDpT10_ENKUlT_T0_E_clISt17integral_constantIbLb1EES1C_EEDaS17_S18_EUlS17_E_NS1_11comp_targetILNS1_3genE8ELNS1_11target_archE1030ELNS1_3gpuE2ELNS1_3repE0EEENS1_30default_config_static_selectorELNS0_4arch9wavefront6targetE1EEEvT1_
; %bb.0:
	.section	.rodata,"a",@progbits
	.p2align	6, 0x0
	.amdhsa_kernel _ZN7rocprim17ROCPRIM_400000_NS6detail17trampoline_kernelINS0_14default_configENS1_25partition_config_selectorILNS1_17partition_subalgoE8ElNS0_10empty_typeEbEEZZNS1_14partition_implILS5_8ELb0ES3_jPlPS6_PKS6_NS0_5tupleIJS9_S6_EEENSD_IJSA_SA_EEENS0_18inequality_wrapperIZN2at6native12_GLOBAL__N_124unique_dim_cuda_templateIsEESt5tupleIJNSH_6TensorESM_SM_EERKSM_lbbbEUlllE0_EEPmJS6_EEE10hipError_tPvRmT3_T4_T5_T6_T7_T9_mT8_P12ihipStream_tbDpT10_ENKUlT_T0_E_clISt17integral_constantIbLb1EES1C_EEDaS17_S18_EUlS17_E_NS1_11comp_targetILNS1_3genE8ELNS1_11target_archE1030ELNS1_3gpuE2ELNS1_3repE0EEENS1_30default_config_static_selectorELNS0_4arch9wavefront6targetE1EEEvT1_
		.amdhsa_group_segment_fixed_size 0
		.amdhsa_private_segment_fixed_size 0
		.amdhsa_kernarg_size 136
		.amdhsa_user_sgpr_count 6
		.amdhsa_user_sgpr_private_segment_buffer 1
		.amdhsa_user_sgpr_dispatch_ptr 0
		.amdhsa_user_sgpr_queue_ptr 0
		.amdhsa_user_sgpr_kernarg_segment_ptr 1
		.amdhsa_user_sgpr_dispatch_id 0
		.amdhsa_user_sgpr_flat_scratch_init 0
		.amdhsa_user_sgpr_kernarg_preload_length 0
		.amdhsa_user_sgpr_kernarg_preload_offset 0
		.amdhsa_user_sgpr_private_segment_size 0
		.amdhsa_uses_dynamic_stack 0
		.amdhsa_system_sgpr_private_segment_wavefront_offset 0
		.amdhsa_system_sgpr_workgroup_id_x 1
		.amdhsa_system_sgpr_workgroup_id_y 0
		.amdhsa_system_sgpr_workgroup_id_z 0
		.amdhsa_system_sgpr_workgroup_info 0
		.amdhsa_system_vgpr_workitem_id 0
		.amdhsa_next_free_vgpr 1
		.amdhsa_next_free_sgpr 0
		.amdhsa_accum_offset 4
		.amdhsa_reserve_vcc 0
		.amdhsa_reserve_flat_scratch 0
		.amdhsa_float_round_mode_32 0
		.amdhsa_float_round_mode_16_64 0
		.amdhsa_float_denorm_mode_32 3
		.amdhsa_float_denorm_mode_16_64 3
		.amdhsa_dx10_clamp 1
		.amdhsa_ieee_mode 1
		.amdhsa_fp16_overflow 0
		.amdhsa_tg_split 0
		.amdhsa_exception_fp_ieee_invalid_op 0
		.amdhsa_exception_fp_denorm_src 0
		.amdhsa_exception_fp_ieee_div_zero 0
		.amdhsa_exception_fp_ieee_overflow 0
		.amdhsa_exception_fp_ieee_underflow 0
		.amdhsa_exception_fp_ieee_inexact 0
		.amdhsa_exception_int_div_zero 0
	.end_amdhsa_kernel
	.section	.text._ZN7rocprim17ROCPRIM_400000_NS6detail17trampoline_kernelINS0_14default_configENS1_25partition_config_selectorILNS1_17partition_subalgoE8ElNS0_10empty_typeEbEEZZNS1_14partition_implILS5_8ELb0ES3_jPlPS6_PKS6_NS0_5tupleIJS9_S6_EEENSD_IJSA_SA_EEENS0_18inequality_wrapperIZN2at6native12_GLOBAL__N_124unique_dim_cuda_templateIsEESt5tupleIJNSH_6TensorESM_SM_EERKSM_lbbbEUlllE0_EEPmJS6_EEE10hipError_tPvRmT3_T4_T5_T6_T7_T9_mT8_P12ihipStream_tbDpT10_ENKUlT_T0_E_clISt17integral_constantIbLb1EES1C_EEDaS17_S18_EUlS17_E_NS1_11comp_targetILNS1_3genE8ELNS1_11target_archE1030ELNS1_3gpuE2ELNS1_3repE0EEENS1_30default_config_static_selectorELNS0_4arch9wavefront6targetE1EEEvT1_,"axG",@progbits,_ZN7rocprim17ROCPRIM_400000_NS6detail17trampoline_kernelINS0_14default_configENS1_25partition_config_selectorILNS1_17partition_subalgoE8ElNS0_10empty_typeEbEEZZNS1_14partition_implILS5_8ELb0ES3_jPlPS6_PKS6_NS0_5tupleIJS9_S6_EEENSD_IJSA_SA_EEENS0_18inequality_wrapperIZN2at6native12_GLOBAL__N_124unique_dim_cuda_templateIsEESt5tupleIJNSH_6TensorESM_SM_EERKSM_lbbbEUlllE0_EEPmJS6_EEE10hipError_tPvRmT3_T4_T5_T6_T7_T9_mT8_P12ihipStream_tbDpT10_ENKUlT_T0_E_clISt17integral_constantIbLb1EES1C_EEDaS17_S18_EUlS17_E_NS1_11comp_targetILNS1_3genE8ELNS1_11target_archE1030ELNS1_3gpuE2ELNS1_3repE0EEENS1_30default_config_static_selectorELNS0_4arch9wavefront6targetE1EEEvT1_,comdat
.Lfunc_end700:
	.size	_ZN7rocprim17ROCPRIM_400000_NS6detail17trampoline_kernelINS0_14default_configENS1_25partition_config_selectorILNS1_17partition_subalgoE8ElNS0_10empty_typeEbEEZZNS1_14partition_implILS5_8ELb0ES3_jPlPS6_PKS6_NS0_5tupleIJS9_S6_EEENSD_IJSA_SA_EEENS0_18inequality_wrapperIZN2at6native12_GLOBAL__N_124unique_dim_cuda_templateIsEESt5tupleIJNSH_6TensorESM_SM_EERKSM_lbbbEUlllE0_EEPmJS6_EEE10hipError_tPvRmT3_T4_T5_T6_T7_T9_mT8_P12ihipStream_tbDpT10_ENKUlT_T0_E_clISt17integral_constantIbLb1EES1C_EEDaS17_S18_EUlS17_E_NS1_11comp_targetILNS1_3genE8ELNS1_11target_archE1030ELNS1_3gpuE2ELNS1_3repE0EEENS1_30default_config_static_selectorELNS0_4arch9wavefront6targetE1EEEvT1_, .Lfunc_end700-_ZN7rocprim17ROCPRIM_400000_NS6detail17trampoline_kernelINS0_14default_configENS1_25partition_config_selectorILNS1_17partition_subalgoE8ElNS0_10empty_typeEbEEZZNS1_14partition_implILS5_8ELb0ES3_jPlPS6_PKS6_NS0_5tupleIJS9_S6_EEENSD_IJSA_SA_EEENS0_18inequality_wrapperIZN2at6native12_GLOBAL__N_124unique_dim_cuda_templateIsEESt5tupleIJNSH_6TensorESM_SM_EERKSM_lbbbEUlllE0_EEPmJS6_EEE10hipError_tPvRmT3_T4_T5_T6_T7_T9_mT8_P12ihipStream_tbDpT10_ENKUlT_T0_E_clISt17integral_constantIbLb1EES1C_EEDaS17_S18_EUlS17_E_NS1_11comp_targetILNS1_3genE8ELNS1_11target_archE1030ELNS1_3gpuE2ELNS1_3repE0EEENS1_30default_config_static_selectorELNS0_4arch9wavefront6targetE1EEEvT1_
                                        ; -- End function
	.section	.AMDGPU.csdata,"",@progbits
; Kernel info:
; codeLenInByte = 0
; NumSgprs: 4
; NumVgprs: 0
; NumAgprs: 0
; TotalNumVgprs: 0
; ScratchSize: 0
; MemoryBound: 0
; FloatMode: 240
; IeeeMode: 1
; LDSByteSize: 0 bytes/workgroup (compile time only)
; SGPRBlocks: 0
; VGPRBlocks: 0
; NumSGPRsForWavesPerEU: 4
; NumVGPRsForWavesPerEU: 1
; AccumOffset: 4
; Occupancy: 8
; WaveLimiterHint : 0
; COMPUTE_PGM_RSRC2:SCRATCH_EN: 0
; COMPUTE_PGM_RSRC2:USER_SGPR: 6
; COMPUTE_PGM_RSRC2:TRAP_HANDLER: 0
; COMPUTE_PGM_RSRC2:TGID_X_EN: 1
; COMPUTE_PGM_RSRC2:TGID_Y_EN: 0
; COMPUTE_PGM_RSRC2:TGID_Z_EN: 0
; COMPUTE_PGM_RSRC2:TIDIG_COMP_CNT: 0
; COMPUTE_PGM_RSRC3_GFX90A:ACCUM_OFFSET: 0
; COMPUTE_PGM_RSRC3_GFX90A:TG_SPLIT: 0
	.section	.text._ZN7rocprim17ROCPRIM_400000_NS6detail17trampoline_kernelINS0_14default_configENS1_25partition_config_selectorILNS1_17partition_subalgoE8ElNS0_10empty_typeEbEEZZNS1_14partition_implILS5_8ELb0ES3_jPlPS6_PKS6_NS0_5tupleIJS9_S6_EEENSD_IJSA_SA_EEENS0_18inequality_wrapperIZN2at6native12_GLOBAL__N_124unique_dim_cuda_templateIsEESt5tupleIJNSH_6TensorESM_SM_EERKSM_lbbbEUlllE0_EEPmJS6_EEE10hipError_tPvRmT3_T4_T5_T6_T7_T9_mT8_P12ihipStream_tbDpT10_ENKUlT_T0_E_clISt17integral_constantIbLb1EES1B_IbLb0EEEEDaS17_S18_EUlS17_E_NS1_11comp_targetILNS1_3genE0ELNS1_11target_archE4294967295ELNS1_3gpuE0ELNS1_3repE0EEENS1_30default_config_static_selectorELNS0_4arch9wavefront6targetE1EEEvT1_,"axG",@progbits,_ZN7rocprim17ROCPRIM_400000_NS6detail17trampoline_kernelINS0_14default_configENS1_25partition_config_selectorILNS1_17partition_subalgoE8ElNS0_10empty_typeEbEEZZNS1_14partition_implILS5_8ELb0ES3_jPlPS6_PKS6_NS0_5tupleIJS9_S6_EEENSD_IJSA_SA_EEENS0_18inequality_wrapperIZN2at6native12_GLOBAL__N_124unique_dim_cuda_templateIsEESt5tupleIJNSH_6TensorESM_SM_EERKSM_lbbbEUlllE0_EEPmJS6_EEE10hipError_tPvRmT3_T4_T5_T6_T7_T9_mT8_P12ihipStream_tbDpT10_ENKUlT_T0_E_clISt17integral_constantIbLb1EES1B_IbLb0EEEEDaS17_S18_EUlS17_E_NS1_11comp_targetILNS1_3genE0ELNS1_11target_archE4294967295ELNS1_3gpuE0ELNS1_3repE0EEENS1_30default_config_static_selectorELNS0_4arch9wavefront6targetE1EEEvT1_,comdat
	.globl	_ZN7rocprim17ROCPRIM_400000_NS6detail17trampoline_kernelINS0_14default_configENS1_25partition_config_selectorILNS1_17partition_subalgoE8ElNS0_10empty_typeEbEEZZNS1_14partition_implILS5_8ELb0ES3_jPlPS6_PKS6_NS0_5tupleIJS9_S6_EEENSD_IJSA_SA_EEENS0_18inequality_wrapperIZN2at6native12_GLOBAL__N_124unique_dim_cuda_templateIsEESt5tupleIJNSH_6TensorESM_SM_EERKSM_lbbbEUlllE0_EEPmJS6_EEE10hipError_tPvRmT3_T4_T5_T6_T7_T9_mT8_P12ihipStream_tbDpT10_ENKUlT_T0_E_clISt17integral_constantIbLb1EES1B_IbLb0EEEEDaS17_S18_EUlS17_E_NS1_11comp_targetILNS1_3genE0ELNS1_11target_archE4294967295ELNS1_3gpuE0ELNS1_3repE0EEENS1_30default_config_static_selectorELNS0_4arch9wavefront6targetE1EEEvT1_ ; -- Begin function _ZN7rocprim17ROCPRIM_400000_NS6detail17trampoline_kernelINS0_14default_configENS1_25partition_config_selectorILNS1_17partition_subalgoE8ElNS0_10empty_typeEbEEZZNS1_14partition_implILS5_8ELb0ES3_jPlPS6_PKS6_NS0_5tupleIJS9_S6_EEENSD_IJSA_SA_EEENS0_18inequality_wrapperIZN2at6native12_GLOBAL__N_124unique_dim_cuda_templateIsEESt5tupleIJNSH_6TensorESM_SM_EERKSM_lbbbEUlllE0_EEPmJS6_EEE10hipError_tPvRmT3_T4_T5_T6_T7_T9_mT8_P12ihipStream_tbDpT10_ENKUlT_T0_E_clISt17integral_constantIbLb1EES1B_IbLb0EEEEDaS17_S18_EUlS17_E_NS1_11comp_targetILNS1_3genE0ELNS1_11target_archE4294967295ELNS1_3gpuE0ELNS1_3repE0EEENS1_30default_config_static_selectorELNS0_4arch9wavefront6targetE1EEEvT1_
	.p2align	8
	.type	_ZN7rocprim17ROCPRIM_400000_NS6detail17trampoline_kernelINS0_14default_configENS1_25partition_config_selectorILNS1_17partition_subalgoE8ElNS0_10empty_typeEbEEZZNS1_14partition_implILS5_8ELb0ES3_jPlPS6_PKS6_NS0_5tupleIJS9_S6_EEENSD_IJSA_SA_EEENS0_18inequality_wrapperIZN2at6native12_GLOBAL__N_124unique_dim_cuda_templateIsEESt5tupleIJNSH_6TensorESM_SM_EERKSM_lbbbEUlllE0_EEPmJS6_EEE10hipError_tPvRmT3_T4_T5_T6_T7_T9_mT8_P12ihipStream_tbDpT10_ENKUlT_T0_E_clISt17integral_constantIbLb1EES1B_IbLb0EEEEDaS17_S18_EUlS17_E_NS1_11comp_targetILNS1_3genE0ELNS1_11target_archE4294967295ELNS1_3gpuE0ELNS1_3repE0EEENS1_30default_config_static_selectorELNS0_4arch9wavefront6targetE1EEEvT1_,@function
_ZN7rocprim17ROCPRIM_400000_NS6detail17trampoline_kernelINS0_14default_configENS1_25partition_config_selectorILNS1_17partition_subalgoE8ElNS0_10empty_typeEbEEZZNS1_14partition_implILS5_8ELb0ES3_jPlPS6_PKS6_NS0_5tupleIJS9_S6_EEENSD_IJSA_SA_EEENS0_18inequality_wrapperIZN2at6native12_GLOBAL__N_124unique_dim_cuda_templateIsEESt5tupleIJNSH_6TensorESM_SM_EERKSM_lbbbEUlllE0_EEPmJS6_EEE10hipError_tPvRmT3_T4_T5_T6_T7_T9_mT8_P12ihipStream_tbDpT10_ENKUlT_T0_E_clISt17integral_constantIbLb1EES1B_IbLb0EEEEDaS17_S18_EUlS17_E_NS1_11comp_targetILNS1_3genE0ELNS1_11target_archE4294967295ELNS1_3gpuE0ELNS1_3repE0EEENS1_30default_config_static_selectorELNS0_4arch9wavefront6targetE1EEEvT1_: ; @_ZN7rocprim17ROCPRIM_400000_NS6detail17trampoline_kernelINS0_14default_configENS1_25partition_config_selectorILNS1_17partition_subalgoE8ElNS0_10empty_typeEbEEZZNS1_14partition_implILS5_8ELb0ES3_jPlPS6_PKS6_NS0_5tupleIJS9_S6_EEENSD_IJSA_SA_EEENS0_18inequality_wrapperIZN2at6native12_GLOBAL__N_124unique_dim_cuda_templateIsEESt5tupleIJNSH_6TensorESM_SM_EERKSM_lbbbEUlllE0_EEPmJS6_EEE10hipError_tPvRmT3_T4_T5_T6_T7_T9_mT8_P12ihipStream_tbDpT10_ENKUlT_T0_E_clISt17integral_constantIbLb1EES1B_IbLb0EEEEDaS17_S18_EUlS17_E_NS1_11comp_targetILNS1_3genE0ELNS1_11target_archE4294967295ELNS1_3gpuE0ELNS1_3repE0EEENS1_30default_config_static_selectorELNS0_4arch9wavefront6targetE1EEEvT1_
; %bb.0:
	.section	.rodata,"a",@progbits
	.p2align	6, 0x0
	.amdhsa_kernel _ZN7rocprim17ROCPRIM_400000_NS6detail17trampoline_kernelINS0_14default_configENS1_25partition_config_selectorILNS1_17partition_subalgoE8ElNS0_10empty_typeEbEEZZNS1_14partition_implILS5_8ELb0ES3_jPlPS6_PKS6_NS0_5tupleIJS9_S6_EEENSD_IJSA_SA_EEENS0_18inequality_wrapperIZN2at6native12_GLOBAL__N_124unique_dim_cuda_templateIsEESt5tupleIJNSH_6TensorESM_SM_EERKSM_lbbbEUlllE0_EEPmJS6_EEE10hipError_tPvRmT3_T4_T5_T6_T7_T9_mT8_P12ihipStream_tbDpT10_ENKUlT_T0_E_clISt17integral_constantIbLb1EES1B_IbLb0EEEEDaS17_S18_EUlS17_E_NS1_11comp_targetILNS1_3genE0ELNS1_11target_archE4294967295ELNS1_3gpuE0ELNS1_3repE0EEENS1_30default_config_static_selectorELNS0_4arch9wavefront6targetE1EEEvT1_
		.amdhsa_group_segment_fixed_size 0
		.amdhsa_private_segment_fixed_size 0
		.amdhsa_kernarg_size 120
		.amdhsa_user_sgpr_count 6
		.amdhsa_user_sgpr_private_segment_buffer 1
		.amdhsa_user_sgpr_dispatch_ptr 0
		.amdhsa_user_sgpr_queue_ptr 0
		.amdhsa_user_sgpr_kernarg_segment_ptr 1
		.amdhsa_user_sgpr_dispatch_id 0
		.amdhsa_user_sgpr_flat_scratch_init 0
		.amdhsa_user_sgpr_kernarg_preload_length 0
		.amdhsa_user_sgpr_kernarg_preload_offset 0
		.amdhsa_user_sgpr_private_segment_size 0
		.amdhsa_uses_dynamic_stack 0
		.amdhsa_system_sgpr_private_segment_wavefront_offset 0
		.amdhsa_system_sgpr_workgroup_id_x 1
		.amdhsa_system_sgpr_workgroup_id_y 0
		.amdhsa_system_sgpr_workgroup_id_z 0
		.amdhsa_system_sgpr_workgroup_info 0
		.amdhsa_system_vgpr_workitem_id 0
		.amdhsa_next_free_vgpr 1
		.amdhsa_next_free_sgpr 0
		.amdhsa_accum_offset 4
		.amdhsa_reserve_vcc 0
		.amdhsa_reserve_flat_scratch 0
		.amdhsa_float_round_mode_32 0
		.amdhsa_float_round_mode_16_64 0
		.amdhsa_float_denorm_mode_32 3
		.amdhsa_float_denorm_mode_16_64 3
		.amdhsa_dx10_clamp 1
		.amdhsa_ieee_mode 1
		.amdhsa_fp16_overflow 0
		.amdhsa_tg_split 0
		.amdhsa_exception_fp_ieee_invalid_op 0
		.amdhsa_exception_fp_denorm_src 0
		.amdhsa_exception_fp_ieee_div_zero 0
		.amdhsa_exception_fp_ieee_overflow 0
		.amdhsa_exception_fp_ieee_underflow 0
		.amdhsa_exception_fp_ieee_inexact 0
		.amdhsa_exception_int_div_zero 0
	.end_amdhsa_kernel
	.section	.text._ZN7rocprim17ROCPRIM_400000_NS6detail17trampoline_kernelINS0_14default_configENS1_25partition_config_selectorILNS1_17partition_subalgoE8ElNS0_10empty_typeEbEEZZNS1_14partition_implILS5_8ELb0ES3_jPlPS6_PKS6_NS0_5tupleIJS9_S6_EEENSD_IJSA_SA_EEENS0_18inequality_wrapperIZN2at6native12_GLOBAL__N_124unique_dim_cuda_templateIsEESt5tupleIJNSH_6TensorESM_SM_EERKSM_lbbbEUlllE0_EEPmJS6_EEE10hipError_tPvRmT3_T4_T5_T6_T7_T9_mT8_P12ihipStream_tbDpT10_ENKUlT_T0_E_clISt17integral_constantIbLb1EES1B_IbLb0EEEEDaS17_S18_EUlS17_E_NS1_11comp_targetILNS1_3genE0ELNS1_11target_archE4294967295ELNS1_3gpuE0ELNS1_3repE0EEENS1_30default_config_static_selectorELNS0_4arch9wavefront6targetE1EEEvT1_,"axG",@progbits,_ZN7rocprim17ROCPRIM_400000_NS6detail17trampoline_kernelINS0_14default_configENS1_25partition_config_selectorILNS1_17partition_subalgoE8ElNS0_10empty_typeEbEEZZNS1_14partition_implILS5_8ELb0ES3_jPlPS6_PKS6_NS0_5tupleIJS9_S6_EEENSD_IJSA_SA_EEENS0_18inequality_wrapperIZN2at6native12_GLOBAL__N_124unique_dim_cuda_templateIsEESt5tupleIJNSH_6TensorESM_SM_EERKSM_lbbbEUlllE0_EEPmJS6_EEE10hipError_tPvRmT3_T4_T5_T6_T7_T9_mT8_P12ihipStream_tbDpT10_ENKUlT_T0_E_clISt17integral_constantIbLb1EES1B_IbLb0EEEEDaS17_S18_EUlS17_E_NS1_11comp_targetILNS1_3genE0ELNS1_11target_archE4294967295ELNS1_3gpuE0ELNS1_3repE0EEENS1_30default_config_static_selectorELNS0_4arch9wavefront6targetE1EEEvT1_,comdat
.Lfunc_end701:
	.size	_ZN7rocprim17ROCPRIM_400000_NS6detail17trampoline_kernelINS0_14default_configENS1_25partition_config_selectorILNS1_17partition_subalgoE8ElNS0_10empty_typeEbEEZZNS1_14partition_implILS5_8ELb0ES3_jPlPS6_PKS6_NS0_5tupleIJS9_S6_EEENSD_IJSA_SA_EEENS0_18inequality_wrapperIZN2at6native12_GLOBAL__N_124unique_dim_cuda_templateIsEESt5tupleIJNSH_6TensorESM_SM_EERKSM_lbbbEUlllE0_EEPmJS6_EEE10hipError_tPvRmT3_T4_T5_T6_T7_T9_mT8_P12ihipStream_tbDpT10_ENKUlT_T0_E_clISt17integral_constantIbLb1EES1B_IbLb0EEEEDaS17_S18_EUlS17_E_NS1_11comp_targetILNS1_3genE0ELNS1_11target_archE4294967295ELNS1_3gpuE0ELNS1_3repE0EEENS1_30default_config_static_selectorELNS0_4arch9wavefront6targetE1EEEvT1_, .Lfunc_end701-_ZN7rocprim17ROCPRIM_400000_NS6detail17trampoline_kernelINS0_14default_configENS1_25partition_config_selectorILNS1_17partition_subalgoE8ElNS0_10empty_typeEbEEZZNS1_14partition_implILS5_8ELb0ES3_jPlPS6_PKS6_NS0_5tupleIJS9_S6_EEENSD_IJSA_SA_EEENS0_18inequality_wrapperIZN2at6native12_GLOBAL__N_124unique_dim_cuda_templateIsEESt5tupleIJNSH_6TensorESM_SM_EERKSM_lbbbEUlllE0_EEPmJS6_EEE10hipError_tPvRmT3_T4_T5_T6_T7_T9_mT8_P12ihipStream_tbDpT10_ENKUlT_T0_E_clISt17integral_constantIbLb1EES1B_IbLb0EEEEDaS17_S18_EUlS17_E_NS1_11comp_targetILNS1_3genE0ELNS1_11target_archE4294967295ELNS1_3gpuE0ELNS1_3repE0EEENS1_30default_config_static_selectorELNS0_4arch9wavefront6targetE1EEEvT1_
                                        ; -- End function
	.section	.AMDGPU.csdata,"",@progbits
; Kernel info:
; codeLenInByte = 0
; NumSgprs: 4
; NumVgprs: 0
; NumAgprs: 0
; TotalNumVgprs: 0
; ScratchSize: 0
; MemoryBound: 0
; FloatMode: 240
; IeeeMode: 1
; LDSByteSize: 0 bytes/workgroup (compile time only)
; SGPRBlocks: 0
; VGPRBlocks: 0
; NumSGPRsForWavesPerEU: 4
; NumVGPRsForWavesPerEU: 1
; AccumOffset: 4
; Occupancy: 8
; WaveLimiterHint : 0
; COMPUTE_PGM_RSRC2:SCRATCH_EN: 0
; COMPUTE_PGM_RSRC2:USER_SGPR: 6
; COMPUTE_PGM_RSRC2:TRAP_HANDLER: 0
; COMPUTE_PGM_RSRC2:TGID_X_EN: 1
; COMPUTE_PGM_RSRC2:TGID_Y_EN: 0
; COMPUTE_PGM_RSRC2:TGID_Z_EN: 0
; COMPUTE_PGM_RSRC2:TIDIG_COMP_CNT: 0
; COMPUTE_PGM_RSRC3_GFX90A:ACCUM_OFFSET: 0
; COMPUTE_PGM_RSRC3_GFX90A:TG_SPLIT: 0
	.section	.text._ZN7rocprim17ROCPRIM_400000_NS6detail17trampoline_kernelINS0_14default_configENS1_25partition_config_selectorILNS1_17partition_subalgoE8ElNS0_10empty_typeEbEEZZNS1_14partition_implILS5_8ELb0ES3_jPlPS6_PKS6_NS0_5tupleIJS9_S6_EEENSD_IJSA_SA_EEENS0_18inequality_wrapperIZN2at6native12_GLOBAL__N_124unique_dim_cuda_templateIsEESt5tupleIJNSH_6TensorESM_SM_EERKSM_lbbbEUlllE0_EEPmJS6_EEE10hipError_tPvRmT3_T4_T5_T6_T7_T9_mT8_P12ihipStream_tbDpT10_ENKUlT_T0_E_clISt17integral_constantIbLb1EES1B_IbLb0EEEEDaS17_S18_EUlS17_E_NS1_11comp_targetILNS1_3genE5ELNS1_11target_archE942ELNS1_3gpuE9ELNS1_3repE0EEENS1_30default_config_static_selectorELNS0_4arch9wavefront6targetE1EEEvT1_,"axG",@progbits,_ZN7rocprim17ROCPRIM_400000_NS6detail17trampoline_kernelINS0_14default_configENS1_25partition_config_selectorILNS1_17partition_subalgoE8ElNS0_10empty_typeEbEEZZNS1_14partition_implILS5_8ELb0ES3_jPlPS6_PKS6_NS0_5tupleIJS9_S6_EEENSD_IJSA_SA_EEENS0_18inequality_wrapperIZN2at6native12_GLOBAL__N_124unique_dim_cuda_templateIsEESt5tupleIJNSH_6TensorESM_SM_EERKSM_lbbbEUlllE0_EEPmJS6_EEE10hipError_tPvRmT3_T4_T5_T6_T7_T9_mT8_P12ihipStream_tbDpT10_ENKUlT_T0_E_clISt17integral_constantIbLb1EES1B_IbLb0EEEEDaS17_S18_EUlS17_E_NS1_11comp_targetILNS1_3genE5ELNS1_11target_archE942ELNS1_3gpuE9ELNS1_3repE0EEENS1_30default_config_static_selectorELNS0_4arch9wavefront6targetE1EEEvT1_,comdat
	.globl	_ZN7rocprim17ROCPRIM_400000_NS6detail17trampoline_kernelINS0_14default_configENS1_25partition_config_selectorILNS1_17partition_subalgoE8ElNS0_10empty_typeEbEEZZNS1_14partition_implILS5_8ELb0ES3_jPlPS6_PKS6_NS0_5tupleIJS9_S6_EEENSD_IJSA_SA_EEENS0_18inequality_wrapperIZN2at6native12_GLOBAL__N_124unique_dim_cuda_templateIsEESt5tupleIJNSH_6TensorESM_SM_EERKSM_lbbbEUlllE0_EEPmJS6_EEE10hipError_tPvRmT3_T4_T5_T6_T7_T9_mT8_P12ihipStream_tbDpT10_ENKUlT_T0_E_clISt17integral_constantIbLb1EES1B_IbLb0EEEEDaS17_S18_EUlS17_E_NS1_11comp_targetILNS1_3genE5ELNS1_11target_archE942ELNS1_3gpuE9ELNS1_3repE0EEENS1_30default_config_static_selectorELNS0_4arch9wavefront6targetE1EEEvT1_ ; -- Begin function _ZN7rocprim17ROCPRIM_400000_NS6detail17trampoline_kernelINS0_14default_configENS1_25partition_config_selectorILNS1_17partition_subalgoE8ElNS0_10empty_typeEbEEZZNS1_14partition_implILS5_8ELb0ES3_jPlPS6_PKS6_NS0_5tupleIJS9_S6_EEENSD_IJSA_SA_EEENS0_18inequality_wrapperIZN2at6native12_GLOBAL__N_124unique_dim_cuda_templateIsEESt5tupleIJNSH_6TensorESM_SM_EERKSM_lbbbEUlllE0_EEPmJS6_EEE10hipError_tPvRmT3_T4_T5_T6_T7_T9_mT8_P12ihipStream_tbDpT10_ENKUlT_T0_E_clISt17integral_constantIbLb1EES1B_IbLb0EEEEDaS17_S18_EUlS17_E_NS1_11comp_targetILNS1_3genE5ELNS1_11target_archE942ELNS1_3gpuE9ELNS1_3repE0EEENS1_30default_config_static_selectorELNS0_4arch9wavefront6targetE1EEEvT1_
	.p2align	8
	.type	_ZN7rocprim17ROCPRIM_400000_NS6detail17trampoline_kernelINS0_14default_configENS1_25partition_config_selectorILNS1_17partition_subalgoE8ElNS0_10empty_typeEbEEZZNS1_14partition_implILS5_8ELb0ES3_jPlPS6_PKS6_NS0_5tupleIJS9_S6_EEENSD_IJSA_SA_EEENS0_18inequality_wrapperIZN2at6native12_GLOBAL__N_124unique_dim_cuda_templateIsEESt5tupleIJNSH_6TensorESM_SM_EERKSM_lbbbEUlllE0_EEPmJS6_EEE10hipError_tPvRmT3_T4_T5_T6_T7_T9_mT8_P12ihipStream_tbDpT10_ENKUlT_T0_E_clISt17integral_constantIbLb1EES1B_IbLb0EEEEDaS17_S18_EUlS17_E_NS1_11comp_targetILNS1_3genE5ELNS1_11target_archE942ELNS1_3gpuE9ELNS1_3repE0EEENS1_30default_config_static_selectorELNS0_4arch9wavefront6targetE1EEEvT1_,@function
_ZN7rocprim17ROCPRIM_400000_NS6detail17trampoline_kernelINS0_14default_configENS1_25partition_config_selectorILNS1_17partition_subalgoE8ElNS0_10empty_typeEbEEZZNS1_14partition_implILS5_8ELb0ES3_jPlPS6_PKS6_NS0_5tupleIJS9_S6_EEENSD_IJSA_SA_EEENS0_18inequality_wrapperIZN2at6native12_GLOBAL__N_124unique_dim_cuda_templateIsEESt5tupleIJNSH_6TensorESM_SM_EERKSM_lbbbEUlllE0_EEPmJS6_EEE10hipError_tPvRmT3_T4_T5_T6_T7_T9_mT8_P12ihipStream_tbDpT10_ENKUlT_T0_E_clISt17integral_constantIbLb1EES1B_IbLb0EEEEDaS17_S18_EUlS17_E_NS1_11comp_targetILNS1_3genE5ELNS1_11target_archE942ELNS1_3gpuE9ELNS1_3repE0EEENS1_30default_config_static_selectorELNS0_4arch9wavefront6targetE1EEEvT1_: ; @_ZN7rocprim17ROCPRIM_400000_NS6detail17trampoline_kernelINS0_14default_configENS1_25partition_config_selectorILNS1_17partition_subalgoE8ElNS0_10empty_typeEbEEZZNS1_14partition_implILS5_8ELb0ES3_jPlPS6_PKS6_NS0_5tupleIJS9_S6_EEENSD_IJSA_SA_EEENS0_18inequality_wrapperIZN2at6native12_GLOBAL__N_124unique_dim_cuda_templateIsEESt5tupleIJNSH_6TensorESM_SM_EERKSM_lbbbEUlllE0_EEPmJS6_EEE10hipError_tPvRmT3_T4_T5_T6_T7_T9_mT8_P12ihipStream_tbDpT10_ENKUlT_T0_E_clISt17integral_constantIbLb1EES1B_IbLb0EEEEDaS17_S18_EUlS17_E_NS1_11comp_targetILNS1_3genE5ELNS1_11target_archE942ELNS1_3gpuE9ELNS1_3repE0EEENS1_30default_config_static_selectorELNS0_4arch9wavefront6targetE1EEEvT1_
; %bb.0:
	.section	.rodata,"a",@progbits
	.p2align	6, 0x0
	.amdhsa_kernel _ZN7rocprim17ROCPRIM_400000_NS6detail17trampoline_kernelINS0_14default_configENS1_25partition_config_selectorILNS1_17partition_subalgoE8ElNS0_10empty_typeEbEEZZNS1_14partition_implILS5_8ELb0ES3_jPlPS6_PKS6_NS0_5tupleIJS9_S6_EEENSD_IJSA_SA_EEENS0_18inequality_wrapperIZN2at6native12_GLOBAL__N_124unique_dim_cuda_templateIsEESt5tupleIJNSH_6TensorESM_SM_EERKSM_lbbbEUlllE0_EEPmJS6_EEE10hipError_tPvRmT3_T4_T5_T6_T7_T9_mT8_P12ihipStream_tbDpT10_ENKUlT_T0_E_clISt17integral_constantIbLb1EES1B_IbLb0EEEEDaS17_S18_EUlS17_E_NS1_11comp_targetILNS1_3genE5ELNS1_11target_archE942ELNS1_3gpuE9ELNS1_3repE0EEENS1_30default_config_static_selectorELNS0_4arch9wavefront6targetE1EEEvT1_
		.amdhsa_group_segment_fixed_size 0
		.amdhsa_private_segment_fixed_size 0
		.amdhsa_kernarg_size 120
		.amdhsa_user_sgpr_count 6
		.amdhsa_user_sgpr_private_segment_buffer 1
		.amdhsa_user_sgpr_dispatch_ptr 0
		.amdhsa_user_sgpr_queue_ptr 0
		.amdhsa_user_sgpr_kernarg_segment_ptr 1
		.amdhsa_user_sgpr_dispatch_id 0
		.amdhsa_user_sgpr_flat_scratch_init 0
		.amdhsa_user_sgpr_kernarg_preload_length 0
		.amdhsa_user_sgpr_kernarg_preload_offset 0
		.amdhsa_user_sgpr_private_segment_size 0
		.amdhsa_uses_dynamic_stack 0
		.amdhsa_system_sgpr_private_segment_wavefront_offset 0
		.amdhsa_system_sgpr_workgroup_id_x 1
		.amdhsa_system_sgpr_workgroup_id_y 0
		.amdhsa_system_sgpr_workgroup_id_z 0
		.amdhsa_system_sgpr_workgroup_info 0
		.amdhsa_system_vgpr_workitem_id 0
		.amdhsa_next_free_vgpr 1
		.amdhsa_next_free_sgpr 0
		.amdhsa_accum_offset 4
		.amdhsa_reserve_vcc 0
		.amdhsa_reserve_flat_scratch 0
		.amdhsa_float_round_mode_32 0
		.amdhsa_float_round_mode_16_64 0
		.amdhsa_float_denorm_mode_32 3
		.amdhsa_float_denorm_mode_16_64 3
		.amdhsa_dx10_clamp 1
		.amdhsa_ieee_mode 1
		.amdhsa_fp16_overflow 0
		.amdhsa_tg_split 0
		.amdhsa_exception_fp_ieee_invalid_op 0
		.amdhsa_exception_fp_denorm_src 0
		.amdhsa_exception_fp_ieee_div_zero 0
		.amdhsa_exception_fp_ieee_overflow 0
		.amdhsa_exception_fp_ieee_underflow 0
		.amdhsa_exception_fp_ieee_inexact 0
		.amdhsa_exception_int_div_zero 0
	.end_amdhsa_kernel
	.section	.text._ZN7rocprim17ROCPRIM_400000_NS6detail17trampoline_kernelINS0_14default_configENS1_25partition_config_selectorILNS1_17partition_subalgoE8ElNS0_10empty_typeEbEEZZNS1_14partition_implILS5_8ELb0ES3_jPlPS6_PKS6_NS0_5tupleIJS9_S6_EEENSD_IJSA_SA_EEENS0_18inequality_wrapperIZN2at6native12_GLOBAL__N_124unique_dim_cuda_templateIsEESt5tupleIJNSH_6TensorESM_SM_EERKSM_lbbbEUlllE0_EEPmJS6_EEE10hipError_tPvRmT3_T4_T5_T6_T7_T9_mT8_P12ihipStream_tbDpT10_ENKUlT_T0_E_clISt17integral_constantIbLb1EES1B_IbLb0EEEEDaS17_S18_EUlS17_E_NS1_11comp_targetILNS1_3genE5ELNS1_11target_archE942ELNS1_3gpuE9ELNS1_3repE0EEENS1_30default_config_static_selectorELNS0_4arch9wavefront6targetE1EEEvT1_,"axG",@progbits,_ZN7rocprim17ROCPRIM_400000_NS6detail17trampoline_kernelINS0_14default_configENS1_25partition_config_selectorILNS1_17partition_subalgoE8ElNS0_10empty_typeEbEEZZNS1_14partition_implILS5_8ELb0ES3_jPlPS6_PKS6_NS0_5tupleIJS9_S6_EEENSD_IJSA_SA_EEENS0_18inequality_wrapperIZN2at6native12_GLOBAL__N_124unique_dim_cuda_templateIsEESt5tupleIJNSH_6TensorESM_SM_EERKSM_lbbbEUlllE0_EEPmJS6_EEE10hipError_tPvRmT3_T4_T5_T6_T7_T9_mT8_P12ihipStream_tbDpT10_ENKUlT_T0_E_clISt17integral_constantIbLb1EES1B_IbLb0EEEEDaS17_S18_EUlS17_E_NS1_11comp_targetILNS1_3genE5ELNS1_11target_archE942ELNS1_3gpuE9ELNS1_3repE0EEENS1_30default_config_static_selectorELNS0_4arch9wavefront6targetE1EEEvT1_,comdat
.Lfunc_end702:
	.size	_ZN7rocprim17ROCPRIM_400000_NS6detail17trampoline_kernelINS0_14default_configENS1_25partition_config_selectorILNS1_17partition_subalgoE8ElNS0_10empty_typeEbEEZZNS1_14partition_implILS5_8ELb0ES3_jPlPS6_PKS6_NS0_5tupleIJS9_S6_EEENSD_IJSA_SA_EEENS0_18inequality_wrapperIZN2at6native12_GLOBAL__N_124unique_dim_cuda_templateIsEESt5tupleIJNSH_6TensorESM_SM_EERKSM_lbbbEUlllE0_EEPmJS6_EEE10hipError_tPvRmT3_T4_T5_T6_T7_T9_mT8_P12ihipStream_tbDpT10_ENKUlT_T0_E_clISt17integral_constantIbLb1EES1B_IbLb0EEEEDaS17_S18_EUlS17_E_NS1_11comp_targetILNS1_3genE5ELNS1_11target_archE942ELNS1_3gpuE9ELNS1_3repE0EEENS1_30default_config_static_selectorELNS0_4arch9wavefront6targetE1EEEvT1_, .Lfunc_end702-_ZN7rocprim17ROCPRIM_400000_NS6detail17trampoline_kernelINS0_14default_configENS1_25partition_config_selectorILNS1_17partition_subalgoE8ElNS0_10empty_typeEbEEZZNS1_14partition_implILS5_8ELb0ES3_jPlPS6_PKS6_NS0_5tupleIJS9_S6_EEENSD_IJSA_SA_EEENS0_18inequality_wrapperIZN2at6native12_GLOBAL__N_124unique_dim_cuda_templateIsEESt5tupleIJNSH_6TensorESM_SM_EERKSM_lbbbEUlllE0_EEPmJS6_EEE10hipError_tPvRmT3_T4_T5_T6_T7_T9_mT8_P12ihipStream_tbDpT10_ENKUlT_T0_E_clISt17integral_constantIbLb1EES1B_IbLb0EEEEDaS17_S18_EUlS17_E_NS1_11comp_targetILNS1_3genE5ELNS1_11target_archE942ELNS1_3gpuE9ELNS1_3repE0EEENS1_30default_config_static_selectorELNS0_4arch9wavefront6targetE1EEEvT1_
                                        ; -- End function
	.section	.AMDGPU.csdata,"",@progbits
; Kernel info:
; codeLenInByte = 0
; NumSgprs: 4
; NumVgprs: 0
; NumAgprs: 0
; TotalNumVgprs: 0
; ScratchSize: 0
; MemoryBound: 0
; FloatMode: 240
; IeeeMode: 1
; LDSByteSize: 0 bytes/workgroup (compile time only)
; SGPRBlocks: 0
; VGPRBlocks: 0
; NumSGPRsForWavesPerEU: 4
; NumVGPRsForWavesPerEU: 1
; AccumOffset: 4
; Occupancy: 8
; WaveLimiterHint : 0
; COMPUTE_PGM_RSRC2:SCRATCH_EN: 0
; COMPUTE_PGM_RSRC2:USER_SGPR: 6
; COMPUTE_PGM_RSRC2:TRAP_HANDLER: 0
; COMPUTE_PGM_RSRC2:TGID_X_EN: 1
; COMPUTE_PGM_RSRC2:TGID_Y_EN: 0
; COMPUTE_PGM_RSRC2:TGID_Z_EN: 0
; COMPUTE_PGM_RSRC2:TIDIG_COMP_CNT: 0
; COMPUTE_PGM_RSRC3_GFX90A:ACCUM_OFFSET: 0
; COMPUTE_PGM_RSRC3_GFX90A:TG_SPLIT: 0
	.section	.text._ZN7rocprim17ROCPRIM_400000_NS6detail17trampoline_kernelINS0_14default_configENS1_25partition_config_selectorILNS1_17partition_subalgoE8ElNS0_10empty_typeEbEEZZNS1_14partition_implILS5_8ELb0ES3_jPlPS6_PKS6_NS0_5tupleIJS9_S6_EEENSD_IJSA_SA_EEENS0_18inequality_wrapperIZN2at6native12_GLOBAL__N_124unique_dim_cuda_templateIsEESt5tupleIJNSH_6TensorESM_SM_EERKSM_lbbbEUlllE0_EEPmJS6_EEE10hipError_tPvRmT3_T4_T5_T6_T7_T9_mT8_P12ihipStream_tbDpT10_ENKUlT_T0_E_clISt17integral_constantIbLb1EES1B_IbLb0EEEEDaS17_S18_EUlS17_E_NS1_11comp_targetILNS1_3genE4ELNS1_11target_archE910ELNS1_3gpuE8ELNS1_3repE0EEENS1_30default_config_static_selectorELNS0_4arch9wavefront6targetE1EEEvT1_,"axG",@progbits,_ZN7rocprim17ROCPRIM_400000_NS6detail17trampoline_kernelINS0_14default_configENS1_25partition_config_selectorILNS1_17partition_subalgoE8ElNS0_10empty_typeEbEEZZNS1_14partition_implILS5_8ELb0ES3_jPlPS6_PKS6_NS0_5tupleIJS9_S6_EEENSD_IJSA_SA_EEENS0_18inequality_wrapperIZN2at6native12_GLOBAL__N_124unique_dim_cuda_templateIsEESt5tupleIJNSH_6TensorESM_SM_EERKSM_lbbbEUlllE0_EEPmJS6_EEE10hipError_tPvRmT3_T4_T5_T6_T7_T9_mT8_P12ihipStream_tbDpT10_ENKUlT_T0_E_clISt17integral_constantIbLb1EES1B_IbLb0EEEEDaS17_S18_EUlS17_E_NS1_11comp_targetILNS1_3genE4ELNS1_11target_archE910ELNS1_3gpuE8ELNS1_3repE0EEENS1_30default_config_static_selectorELNS0_4arch9wavefront6targetE1EEEvT1_,comdat
	.globl	_ZN7rocprim17ROCPRIM_400000_NS6detail17trampoline_kernelINS0_14default_configENS1_25partition_config_selectorILNS1_17partition_subalgoE8ElNS0_10empty_typeEbEEZZNS1_14partition_implILS5_8ELb0ES3_jPlPS6_PKS6_NS0_5tupleIJS9_S6_EEENSD_IJSA_SA_EEENS0_18inequality_wrapperIZN2at6native12_GLOBAL__N_124unique_dim_cuda_templateIsEESt5tupleIJNSH_6TensorESM_SM_EERKSM_lbbbEUlllE0_EEPmJS6_EEE10hipError_tPvRmT3_T4_T5_T6_T7_T9_mT8_P12ihipStream_tbDpT10_ENKUlT_T0_E_clISt17integral_constantIbLb1EES1B_IbLb0EEEEDaS17_S18_EUlS17_E_NS1_11comp_targetILNS1_3genE4ELNS1_11target_archE910ELNS1_3gpuE8ELNS1_3repE0EEENS1_30default_config_static_selectorELNS0_4arch9wavefront6targetE1EEEvT1_ ; -- Begin function _ZN7rocprim17ROCPRIM_400000_NS6detail17trampoline_kernelINS0_14default_configENS1_25partition_config_selectorILNS1_17partition_subalgoE8ElNS0_10empty_typeEbEEZZNS1_14partition_implILS5_8ELb0ES3_jPlPS6_PKS6_NS0_5tupleIJS9_S6_EEENSD_IJSA_SA_EEENS0_18inequality_wrapperIZN2at6native12_GLOBAL__N_124unique_dim_cuda_templateIsEESt5tupleIJNSH_6TensorESM_SM_EERKSM_lbbbEUlllE0_EEPmJS6_EEE10hipError_tPvRmT3_T4_T5_T6_T7_T9_mT8_P12ihipStream_tbDpT10_ENKUlT_T0_E_clISt17integral_constantIbLb1EES1B_IbLb0EEEEDaS17_S18_EUlS17_E_NS1_11comp_targetILNS1_3genE4ELNS1_11target_archE910ELNS1_3gpuE8ELNS1_3repE0EEENS1_30default_config_static_selectorELNS0_4arch9wavefront6targetE1EEEvT1_
	.p2align	8
	.type	_ZN7rocprim17ROCPRIM_400000_NS6detail17trampoline_kernelINS0_14default_configENS1_25partition_config_selectorILNS1_17partition_subalgoE8ElNS0_10empty_typeEbEEZZNS1_14partition_implILS5_8ELb0ES3_jPlPS6_PKS6_NS0_5tupleIJS9_S6_EEENSD_IJSA_SA_EEENS0_18inequality_wrapperIZN2at6native12_GLOBAL__N_124unique_dim_cuda_templateIsEESt5tupleIJNSH_6TensorESM_SM_EERKSM_lbbbEUlllE0_EEPmJS6_EEE10hipError_tPvRmT3_T4_T5_T6_T7_T9_mT8_P12ihipStream_tbDpT10_ENKUlT_T0_E_clISt17integral_constantIbLb1EES1B_IbLb0EEEEDaS17_S18_EUlS17_E_NS1_11comp_targetILNS1_3genE4ELNS1_11target_archE910ELNS1_3gpuE8ELNS1_3repE0EEENS1_30default_config_static_selectorELNS0_4arch9wavefront6targetE1EEEvT1_,@function
_ZN7rocprim17ROCPRIM_400000_NS6detail17trampoline_kernelINS0_14default_configENS1_25partition_config_selectorILNS1_17partition_subalgoE8ElNS0_10empty_typeEbEEZZNS1_14partition_implILS5_8ELb0ES3_jPlPS6_PKS6_NS0_5tupleIJS9_S6_EEENSD_IJSA_SA_EEENS0_18inequality_wrapperIZN2at6native12_GLOBAL__N_124unique_dim_cuda_templateIsEESt5tupleIJNSH_6TensorESM_SM_EERKSM_lbbbEUlllE0_EEPmJS6_EEE10hipError_tPvRmT3_T4_T5_T6_T7_T9_mT8_P12ihipStream_tbDpT10_ENKUlT_T0_E_clISt17integral_constantIbLb1EES1B_IbLb0EEEEDaS17_S18_EUlS17_E_NS1_11comp_targetILNS1_3genE4ELNS1_11target_archE910ELNS1_3gpuE8ELNS1_3repE0EEENS1_30default_config_static_selectorELNS0_4arch9wavefront6targetE1EEEvT1_: ; @_ZN7rocprim17ROCPRIM_400000_NS6detail17trampoline_kernelINS0_14default_configENS1_25partition_config_selectorILNS1_17partition_subalgoE8ElNS0_10empty_typeEbEEZZNS1_14partition_implILS5_8ELb0ES3_jPlPS6_PKS6_NS0_5tupleIJS9_S6_EEENSD_IJSA_SA_EEENS0_18inequality_wrapperIZN2at6native12_GLOBAL__N_124unique_dim_cuda_templateIsEESt5tupleIJNSH_6TensorESM_SM_EERKSM_lbbbEUlllE0_EEPmJS6_EEE10hipError_tPvRmT3_T4_T5_T6_T7_T9_mT8_P12ihipStream_tbDpT10_ENKUlT_T0_E_clISt17integral_constantIbLb1EES1B_IbLb0EEEEDaS17_S18_EUlS17_E_NS1_11comp_targetILNS1_3genE4ELNS1_11target_archE910ELNS1_3gpuE8ELNS1_3repE0EEENS1_30default_config_static_selectorELNS0_4arch9wavefront6targetE1EEEvT1_
; %bb.0:
	s_load_dwordx8 s[20:27], s[4:5], 0x40
	s_load_dwordx4 s[0:3], s[4:5], 0x8
	s_load_dwordx4 s[28:31], s[4:5], 0x60
	s_load_dword s7, s[4:5], 0x70
	s_waitcnt lgkmcnt(0)
	v_mov_b32_e32 v2, s24
	s_lshl_b64 s[8:9], s[2:3], 3
	s_add_u32 s12, s0, s8
	s_mul_i32 s8, s7, 0x500
	s_addc_u32 s13, s1, s9
	s_add_i32 s1, s8, s2
	s_add_i32 s10, s7, -1
	s_sub_i32 s7, s24, s1
	s_add_u32 s8, s2, s8
	s_addc_u32 s9, s3, 0
	v_mov_b32_e32 v3, s25
	s_cmp_eq_u32 s6, s10
	s_load_dwordx2 s[22:23], s[22:23], 0x0
	v_cmp_ge_u64_e32 vcc, s[8:9], v[2:3]
	s_cselect_b64 s[24:25], -1, 0
	s_mul_i32 s0, s6, 0x500
	s_mov_b32 s1, 0
	s_and_b64 s[10:11], s[24:25], vcc
	s_xor_b64 s[34:35], s[10:11], -1
	s_lshl_b64 s[0:1], s[0:1], 3
	s_add_u32 s0, s12, s0
	s_mov_b64 s[8:9], -1
	s_addc_u32 s1, s13, s1
	s_and_b64 vcc, exec, s[34:35]
	s_cbranch_vccz .LBB703_2
; %bb.1:
	v_lshlrev_b32_e32 v1, 3, v0
	v_mov_b32_e32 v2, s1
	v_add_co_u32_e32 v12, vcc, s0, v1
	v_addc_co_u32_e32 v13, vcc, 0, v2, vcc
	v_add_co_u32_e32 v2, vcc, 0x1000, v12
	v_addc_co_u32_e32 v3, vcc, 0, v13, vcc
	global_load_dwordx2 v[4:5], v1, s[0:1]
	global_load_dwordx2 v[6:7], v1, s[0:1] offset:2048
	global_load_dwordx2 v[8:9], v[2:3], off
	global_load_dwordx2 v[10:11], v[2:3], off offset:2048
	v_add_co_u32_e32 v2, vcc, 0x2000, v12
	v_addc_co_u32_e32 v3, vcc, 0, v13, vcc
	global_load_dwordx2 v[2:3], v[2:3], off
	s_mov_b64 s[8:9], 0
	s_waitcnt vmcnt(3)
	ds_write2st64_b64 v1, v[4:5], v[6:7] offset1:4
	s_waitcnt vmcnt(1)
	ds_write2st64_b64 v1, v[8:9], v[10:11] offset0:8 offset1:12
	s_waitcnt vmcnt(0)
	ds_write_b64 v1, v[2:3] offset:8192
	s_waitcnt lgkmcnt(0)
	s_barrier
.LBB703_2:
	s_andn2_b64 vcc, exec, s[8:9]
	s_addk_i32 s7, 0x500
	s_cbranch_vccnz .LBB703_14
; %bb.3:
	v_cmp_gt_u32_e32 vcc, s7, v0
                                        ; implicit-def: $vgpr2_vgpr3_vgpr4_vgpr5_vgpr6_vgpr7_vgpr8_vgpr9_vgpr10_vgpr11_vgpr12_vgpr13_vgpr14_vgpr15_vgpr16_vgpr17
	s_and_saveexec_b64 s[8:9], vcc
	s_cbranch_execz .LBB703_5
; %bb.4:
	v_lshlrev_b32_e32 v1, 3, v0
	global_load_dwordx2 v[2:3], v1, s[0:1]
.LBB703_5:
	s_or_b64 exec, exec, s[8:9]
	v_or_b32_e32 v1, 0x100, v0
	v_cmp_gt_u32_e32 vcc, s7, v1
	s_and_saveexec_b64 s[8:9], vcc
	s_cbranch_execz .LBB703_7
; %bb.6:
	v_lshlrev_b32_e32 v1, 3, v0
	global_load_dwordx2 v[4:5], v1, s[0:1] offset:2048
.LBB703_7:
	s_or_b64 exec, exec, s[8:9]
	v_or_b32_e32 v1, 0x200, v0
	v_cmp_gt_u32_e32 vcc, s7, v1
	s_and_saveexec_b64 s[8:9], vcc
	s_cbranch_execz .LBB703_9
; %bb.8:
	v_lshlrev_b32_e32 v1, 3, v1
	global_load_dwordx2 v[6:7], v1, s[0:1]
.LBB703_9:
	s_or_b64 exec, exec, s[8:9]
	v_or_b32_e32 v1, 0x300, v0
	v_cmp_gt_u32_e32 vcc, s7, v1
	s_and_saveexec_b64 s[8:9], vcc
	s_cbranch_execz .LBB703_11
; %bb.10:
	v_lshlrev_b32_e32 v1, 3, v1
	global_load_dwordx2 v[8:9], v1, s[0:1]
.LBB703_11:
	;; [unrolled: 9-line block ×3, first 2 shown]
	s_or_b64 exec, exec, s[8:9]
	v_lshlrev_b32_e32 v1, 3, v0
	s_waitcnt vmcnt(0)
	ds_write2st64_b64 v1, v[2:3], v[4:5] offset1:4
	ds_write2st64_b64 v1, v[6:7], v[8:9] offset0:8 offset1:12
	ds_write_b64 v1, v[10:11] offset:8192
	s_waitcnt lgkmcnt(0)
	s_barrier
.LBB703_14:
	v_mul_u32_u24_e32 v1, 5, v0
	v_lshlrev_b32_e32 v20, 3, v1
	s_waitcnt lgkmcnt(0)
	ds_read2_b64 v[6:9], v20 offset1:1
	ds_read2_b64 v[2:5], v20 offset0:2 offset1:3
	ds_read_b64 v[10:11], v20 offset:32
	s_cmp_lg_u32 s6, 0
	s_cselect_b64 s[16:17], -1, 0
	s_cmp_lg_u64 s[2:3], 0
	s_cselect_b64 s[2:3], -1, 0
	s_or_b64 s[2:3], s[16:17], s[2:3]
	v_mad_u32_u24 v24, v0, 5, 1
	v_mad_u32_u24 v22, v0, 5, 2
	;; [unrolled: 1-line block ×4, first 2 shown]
	s_mov_b64 s[12:13], 0
	s_and_b64 vcc, exec, s[2:3]
	v_cmp_gt_i64_e64 s[2:3], s[26:27], 0
	s_waitcnt lgkmcnt(0)
	s_barrier
	s_cbranch_vccz .LBB703_23
; %bb.15:
	s_add_u32 s0, s0, -8
	s_addc_u32 s1, s1, -1
	s_load_dwordx2 s[12:13], s[0:1], 0x0
	v_cndmask_b32_e64 v12, 0, 1, s[2:3]
	v_lshlrev_b32_e32 v21, 3, v0
	s_mov_b64 s[14:15], 0
	s_and_b64 vcc, exec, s[34:35]
	v_cmp_ne_u32_e64 s[0:1], 1, v12
	ds_write_b64 v21, v[10:11]
	s_cbranch_vccz .LBB703_24
; %bb.16:
	v_mul_lo_u32 v14, v5, s26
	v_mul_lo_u32 v15, v4, s27
	v_mad_u64_u32 v[12:13], s[2:3], v4, s26, 0
	v_add3_u32 v13, v13, v15, v14
	s_and_b64 vcc, exec, s[0:1]
	v_lshlrev_b64 v[12:13], 1, v[12:13]
	s_cbranch_vccnz .LBB703_27
; %bb.17:
	v_mul_lo_u32 v16, v11, s26
	v_mul_lo_u32 v17, v10, s27
	v_mad_u64_u32 v[14:15], s[2:3], v10, s26, 0
	v_add3_u32 v15, v15, v17, v16
	v_mov_b32_e32 v17, s29
	v_add_co_u32_e32 v16, vcc, s28, v12
	v_addc_co_u32_e64 v17, s[2:3], v17, v13, vcc
	v_lshlrev_b64 v[14:15], 1, v[14:15]
	v_mov_b32_e32 v19, s29
	v_add_co_u32_e64 v18, s[2:3], s28, v14
	v_addc_co_u32_e64 v19, s[8:9], v19, v15, s[2:3]
	global_load_ushort v14, v[16:17], off
	global_load_ushort v26, v[18:19], off
	s_mov_b64 s[14:15], -1
	s_waitcnt vmcnt(0)
	v_cmp_eq_u16_e64 s[8:9], v14, v26
	s_and_saveexec_b64 s[18:19], s[8:9]
	s_cbranch_execz .LBB703_26
; %bb.18:
	v_mov_b32_e32 v14, s29
	v_addc_co_u32_e64 v15, s[2:3], v15, v14, s[2:3]
	v_add_co_u32_e64 v14, s[2:3], 2, v18
	v_mov_b32_e32 v17, s29
	v_addc_co_u32_e64 v15, s[2:3], 0, v15, s[2:3]
	v_addc_co_u32_e32 v17, vcc, v13, v17, vcc
	v_add_co_u32_e32 v16, vcc, 2, v16
	s_add_u32 s2, s26, -1
	v_addc_co_u32_e32 v17, vcc, 0, v17, vcc
	s_addc_u32 s3, s27, -1
	s_mov_b64 s[8:9], 0
	s_mov_b64 s[36:37], 0
                                        ; implicit-def: $sgpr14_sgpr15
	s_branch .LBB703_21
.LBB703_19:                             ;   in Loop: Header=BB703_21 Depth=1
	global_load_ushort v18, v[16:17], off
	global_load_ushort v19, v[14:15], off
	v_add_co_u32_e32 v14, vcc, 2, v14
	v_addc_co_u32_e32 v15, vcc, 0, v15, vcc
	v_add_co_u32_e32 v16, vcc, 2, v16
	v_addc_co_u32_e32 v17, vcc, 0, v17, vcc
	s_add_u32 s36, s36, 1
	s_addc_u32 s37, s37, 0
	s_andn2_b64 s[14:15], s[14:15], exec
	s_waitcnt vmcnt(0)
	v_cmp_ne_u16_e32 vcc, v18, v19
	s_and_b64 s[38:39], vcc, exec
	s_or_b64 s[14:15], s[14:15], s[38:39]
.LBB703_20:                             ;   in Loop: Header=BB703_21 Depth=1
	s_and_b64 s[38:39], exec, s[14:15]
	s_or_b64 s[8:9], s[38:39], s[8:9]
	v_pk_mov_b32 v[18:19], s[36:37], s[36:37] op_sel:[0,1]
	s_andn2_b64 exec, exec, s[8:9]
	s_cbranch_execz .LBB703_25
.LBB703_21:                             ; =>This Inner Loop Header: Depth=1
	s_or_b64 s[14:15], s[14:15], exec
	s_cmp_eq_u64 s[2:3], s[36:37]
	s_cbranch_scc0 .LBB703_19
; %bb.22:                               ;   in Loop: Header=BB703_21 Depth=1
                                        ; implicit-def: $vgpr14_vgpr15
                                        ; implicit-def: $vgpr16_vgpr17
	s_mov_b64 s[36:37], s[26:27]
	s_branch .LBB703_20
.LBB703_23:
                                        ; implicit-def: $sgpr18_sgpr19
                                        ; implicit-def: $vgpr13
                                        ; implicit-def: $vgpr16
	s_branch .LBB703_125
.LBB703_24:
                                        ; implicit-def: $sgpr18_sgpr19
                                        ; implicit-def: $vgpr13
                                        ; implicit-def: $vgpr16
	s_cbranch_execnz .LBB703_66
	s_branch .LBB703_124
.LBB703_25:
	s_or_b64 exec, exec, s[8:9]
	v_cmp_gt_i64_e32 vcc, s[26:27], v[18:19]
	s_orn2_b64 s[14:15], vcc, exec
.LBB703_26:
	s_or_b64 exec, exec, s[18:19]
.LBB703_27:
	v_mul_lo_u32 v16, v3, s26
	v_mul_lo_u32 v17, v2, s27
	v_mad_u64_u32 v[14:15], s[2:3], v2, s26, 0
	v_add3_u32 v15, v15, v17, v16
	s_mov_b64 s[18:19], 0
	s_and_b64 vcc, exec, s[0:1]
	v_lshlrev_b64 v[16:17], 1, v[14:15]
	s_mov_b64 s[36:37], 0
	s_cbranch_vccnz .LBB703_36
; %bb.28:
	v_mov_b32_e32 v15, s29
	v_add_co_u32_e32 v14, vcc, s28, v16
	v_addc_co_u32_e64 v15, s[2:3], v15, v17, vcc
	v_mov_b32_e32 v19, s29
	v_add_co_u32_e64 v18, s[2:3], s28, v12
	v_addc_co_u32_e64 v19, s[8:9], v19, v13, s[2:3]
	global_load_ushort v12, v[14:15], off
	global_load_ushort v26, v[18:19], off
	s_mov_b64 s[36:37], -1
	s_waitcnt vmcnt(0)
	v_cmp_eq_u16_e64 s[8:9], v12, v26
	s_and_saveexec_b64 s[38:39], s[8:9]
	s_cbranch_execz .LBB703_35
; %bb.29:
	v_mov_b32_e32 v12, s29
	v_addc_co_u32_e64 v13, s[2:3], v13, v12, s[2:3]
	v_add_co_u32_e64 v12, s[2:3], 2, v18
	v_mov_b32_e32 v15, s29
	v_addc_co_u32_e64 v13, s[2:3], 0, v13, s[2:3]
	v_addc_co_u32_e32 v15, vcc, v17, v15, vcc
	v_add_co_u32_e32 v14, vcc, 2, v14
	s_add_u32 s2, s26, -1
	v_addc_co_u32_e32 v15, vcc, 0, v15, vcc
	s_addc_u32 s3, s27, -1
	s_mov_b64 s[8:9], 0
	s_mov_b64 s[40:41], 0
                                        ; implicit-def: $sgpr36_sgpr37
	s_branch .LBB703_32
.LBB703_30:                             ;   in Loop: Header=BB703_32 Depth=1
	global_load_ushort v18, v[14:15], off
	global_load_ushort v19, v[12:13], off
	v_add_co_u32_e32 v12, vcc, 2, v12
	v_addc_co_u32_e32 v13, vcc, 0, v13, vcc
	v_add_co_u32_e32 v14, vcc, 2, v14
	v_addc_co_u32_e32 v15, vcc, 0, v15, vcc
	s_add_u32 s40, s40, 1
	s_addc_u32 s41, s41, 0
	s_andn2_b64 s[36:37], s[36:37], exec
	s_waitcnt vmcnt(0)
	v_cmp_ne_u16_e32 vcc, v18, v19
	s_and_b64 s[42:43], vcc, exec
	s_or_b64 s[36:37], s[36:37], s[42:43]
.LBB703_31:                             ;   in Loop: Header=BB703_32 Depth=1
	s_and_b64 s[42:43], exec, s[36:37]
	s_or_b64 s[8:9], s[42:43], s[8:9]
	v_pk_mov_b32 v[18:19], s[40:41], s[40:41] op_sel:[0,1]
	s_andn2_b64 exec, exec, s[8:9]
	s_cbranch_execz .LBB703_34
.LBB703_32:                             ; =>This Inner Loop Header: Depth=1
	s_or_b64 s[36:37], s[36:37], exec
	s_cmp_eq_u64 s[2:3], s[40:41]
	s_cbranch_scc0 .LBB703_30
; %bb.33:                               ;   in Loop: Header=BB703_32 Depth=1
                                        ; implicit-def: $vgpr12_vgpr13
                                        ; implicit-def: $vgpr14_vgpr15
	s_mov_b64 s[40:41], s[26:27]
	s_branch .LBB703_31
.LBB703_34:
	s_or_b64 exec, exec, s[8:9]
	v_cmp_gt_i64_e32 vcc, s[26:27], v[18:19]
	s_orn2_b64 s[36:37], vcc, exec
.LBB703_35:
	s_or_b64 exec, exec, s[38:39]
.LBB703_36:
	v_mul_lo_u32 v14, v9, s26
	v_mul_lo_u32 v15, v8, s27
	v_mad_u64_u32 v[12:13], s[2:3], v8, s26, 0
	v_add3_u32 v13, v13, v15, v14
	s_and_b64 vcc, exec, s[0:1]
	v_lshlrev_b64 v[14:15], 1, v[12:13]
	s_cbranch_vccnz .LBB703_45
; %bb.37:
	v_mov_b32_e32 v12, s29
	v_add_co_u32_e32 v18, vcc, s28, v14
	v_addc_co_u32_e64 v19, s[2:3], v12, v15, vcc
	v_mov_b32_e32 v13, s29
	v_add_co_u32_e64 v12, s[2:3], s28, v16
	v_addc_co_u32_e64 v13, s[8:9], v13, v17, s[2:3]
	global_load_ushort v16, v[18:19], off
	global_load_ushort v26, v[12:13], off
	s_mov_b64 s[18:19], -1
	s_waitcnt vmcnt(0)
	v_cmp_eq_u16_e64 s[8:9], v16, v26
	s_and_saveexec_b64 s[38:39], s[8:9]
	s_cbranch_execz .LBB703_44
; %bb.38:
	v_mov_b32_e32 v13, s29
	v_addc_co_u32_e64 v13, s[2:3], v17, v13, s[2:3]
	v_add_co_u32_e64 v12, s[2:3], 2, v12
	v_mov_b32_e32 v16, s29
	v_addc_co_u32_e64 v13, s[2:3], 0, v13, s[2:3]
	v_addc_co_u32_e32 v17, vcc, v15, v16, vcc
	v_add_co_u32_e32 v16, vcc, 2, v18
	s_add_u32 s2, s26, -1
	v_addc_co_u32_e32 v17, vcc, 0, v17, vcc
	s_addc_u32 s3, s27, -1
	s_mov_b64 s[8:9], 0
	s_mov_b64 s[40:41], 0
                                        ; implicit-def: $sgpr18_sgpr19
	s_branch .LBB703_41
.LBB703_39:                             ;   in Loop: Header=BB703_41 Depth=1
	global_load_ushort v18, v[16:17], off
	global_load_ushort v19, v[12:13], off
	v_add_co_u32_e32 v12, vcc, 2, v12
	v_addc_co_u32_e32 v13, vcc, 0, v13, vcc
	v_add_co_u32_e32 v16, vcc, 2, v16
	v_addc_co_u32_e32 v17, vcc, 0, v17, vcc
	s_add_u32 s40, s40, 1
	s_addc_u32 s41, s41, 0
	s_andn2_b64 s[18:19], s[18:19], exec
	s_waitcnt vmcnt(0)
	v_cmp_ne_u16_e32 vcc, v18, v19
	s_and_b64 s[42:43], vcc, exec
	s_or_b64 s[18:19], s[18:19], s[42:43]
.LBB703_40:                             ;   in Loop: Header=BB703_41 Depth=1
	s_and_b64 s[42:43], exec, s[18:19]
	s_or_b64 s[8:9], s[42:43], s[8:9]
	v_pk_mov_b32 v[18:19], s[40:41], s[40:41] op_sel:[0,1]
	s_andn2_b64 exec, exec, s[8:9]
	s_cbranch_execz .LBB703_43
.LBB703_41:                             ; =>This Inner Loop Header: Depth=1
	s_or_b64 s[18:19], s[18:19], exec
	s_cmp_eq_u64 s[2:3], s[40:41]
	s_cbranch_scc0 .LBB703_39
; %bb.42:                               ;   in Loop: Header=BB703_41 Depth=1
                                        ; implicit-def: $vgpr12_vgpr13
                                        ; implicit-def: $vgpr16_vgpr17
	s_mov_b64 s[40:41], s[26:27]
	s_branch .LBB703_40
.LBB703_43:
	s_or_b64 exec, exec, s[8:9]
	v_cmp_gt_i64_e32 vcc, s[26:27], v[18:19]
	s_orn2_b64 s[18:19], vcc, exec
.LBB703_44:
	s_or_b64 exec, exec, s[38:39]
.LBB703_45:
	v_mul_lo_u32 v16, v7, s26
	v_mul_lo_u32 v17, v6, s27
	v_mad_u64_u32 v[12:13], s[2:3], v6, s26, 0
	v_add3_u32 v13, v13, v17, v16
	s_mov_b64 s[40:41], 0
	s_and_b64 vcc, exec, s[0:1]
	v_lshlrev_b64 v[12:13], 1, v[12:13]
	s_cbranch_vccnz .LBB703_54
; %bb.46:
	v_mov_b32_e32 v17, s29
	v_add_co_u32_e32 v16, vcc, s28, v12
	v_addc_co_u32_e64 v17, s[2:3], v17, v13, vcc
	v_mov_b32_e32 v19, s29
	v_add_co_u32_e64 v18, s[2:3], s28, v14
	v_addc_co_u32_e64 v19, s[8:9], v19, v15, s[2:3]
	global_load_ushort v14, v[16:17], off
	global_load_ushort v26, v[18:19], off
	s_mov_b64 s[40:41], -1
	s_waitcnt vmcnt(0)
	v_cmp_eq_u16_e64 s[8:9], v14, v26
	s_and_saveexec_b64 s[38:39], s[8:9]
	s_cbranch_execz .LBB703_53
; %bb.47:
	v_mov_b32_e32 v14, s29
	v_addc_co_u32_e64 v15, s[2:3], v15, v14, s[2:3]
	v_add_co_u32_e64 v14, s[2:3], 2, v18
	v_mov_b32_e32 v17, s29
	v_addc_co_u32_e64 v15, s[2:3], 0, v15, s[2:3]
	v_addc_co_u32_e32 v17, vcc, v13, v17, vcc
	v_add_co_u32_e32 v16, vcc, 2, v16
	s_add_u32 s2, s26, -1
	v_addc_co_u32_e32 v17, vcc, 0, v17, vcc
	s_addc_u32 s3, s27, -1
	s_mov_b64 s[8:9], 0
	s_mov_b64 s[42:43], 0
                                        ; implicit-def: $sgpr40_sgpr41
	s_branch .LBB703_50
.LBB703_48:                             ;   in Loop: Header=BB703_50 Depth=1
	global_load_ushort v18, v[16:17], off
	global_load_ushort v19, v[14:15], off
	v_add_co_u32_e32 v14, vcc, 2, v14
	v_addc_co_u32_e32 v15, vcc, 0, v15, vcc
	v_add_co_u32_e32 v16, vcc, 2, v16
	v_addc_co_u32_e32 v17, vcc, 0, v17, vcc
	s_add_u32 s42, s42, 1
	s_addc_u32 s43, s43, 0
	s_andn2_b64 s[40:41], s[40:41], exec
	s_waitcnt vmcnt(0)
	v_cmp_ne_u16_e32 vcc, v18, v19
	s_and_b64 s[44:45], vcc, exec
	s_or_b64 s[40:41], s[40:41], s[44:45]
.LBB703_49:                             ;   in Loop: Header=BB703_50 Depth=1
	s_and_b64 s[44:45], exec, s[40:41]
	s_or_b64 s[8:9], s[44:45], s[8:9]
	v_pk_mov_b32 v[18:19], s[42:43], s[42:43] op_sel:[0,1]
	s_andn2_b64 exec, exec, s[8:9]
	s_cbranch_execz .LBB703_52
.LBB703_50:                             ; =>This Inner Loop Header: Depth=1
	s_or_b64 s[40:41], s[40:41], exec
	s_cmp_eq_u64 s[2:3], s[42:43]
	s_cbranch_scc0 .LBB703_48
; %bb.51:                               ;   in Loop: Header=BB703_50 Depth=1
                                        ; implicit-def: $vgpr14_vgpr15
                                        ; implicit-def: $vgpr16_vgpr17
	s_mov_b64 s[42:43], s[26:27]
	s_branch .LBB703_49
.LBB703_52:
	s_or_b64 exec, exec, s[8:9]
	v_cmp_gt_i64_e32 vcc, s[26:27], v[18:19]
	s_orn2_b64 s[40:41], vcc, exec
.LBB703_53:
	s_or_b64 exec, exec, s[38:39]
.LBB703_54:
	v_cmp_ne_u32_e32 vcc, 0, v0
	s_waitcnt lgkmcnt(0)
	v_pk_mov_b32 v[14:15], s[12:13], s[12:13] op_sel:[0,1]
	s_barrier
	s_and_saveexec_b64 s[2:3], vcc
	s_cbranch_execz .LBB703_56
; %bb.55:
	v_add_u32_e32 v14, -8, v21
	ds_read_b64 v[14:15], v14
.LBB703_56:
	s_or_b64 exec, exec, s[2:3]
	v_cndmask_b32_e64 v17, 0, 1, s[36:37]
	v_cndmask_b32_e64 v16, 0, 1, s[18:19]
	v_cndmask_b32_e64 v18, 0, 1, s[40:41]
	v_lshlrev_b16_e32 v17, 8, v17
	v_lshlrev_b16_e32 v26, 8, v18
	v_or_b32_sdwa v27, v16, v17 dst_sel:WORD_1 dst_unused:UNUSED_PAD src0_sel:DWORD src1_sel:DWORD
	s_mov_b64 s[36:37], 0
	s_and_b64 vcc, exec, s[0:1]
	s_mov_b64 s[18:19], 0
	s_cbranch_vccnz .LBB703_65
; %bb.57:
	s_waitcnt lgkmcnt(0)
	v_mul_lo_u32 v16, v15, s26
	v_mul_lo_u32 v17, v14, s27
	v_mad_u64_u32 v[14:15], s[2:3], v14, s26, 0
	v_add3_u32 v15, v15, v17, v16
	v_lshlrev_b64 v[14:15], 1, v[14:15]
	v_mov_b32_e32 v17, s29
	v_add_co_u32_e32 v16, vcc, s28, v14
	v_addc_co_u32_e64 v17, s[2:3], v17, v15, vcc
	v_mov_b32_e32 v14, s29
	v_add_co_u32_e64 v18, s[2:3], s28, v12
	v_addc_co_u32_e64 v19, s[8:9], v14, v13, s[2:3]
	global_load_ushort v12, v[16:17], off
	global_load_ushort v14, v[18:19], off
	s_mov_b64 s[18:19], -1
	s_waitcnt vmcnt(0)
	v_cmp_eq_u16_e64 s[8:9], v12, v14
	s_and_saveexec_b64 s[38:39], s[8:9]
	s_cbranch_execz .LBB703_64
; %bb.58:
	v_mov_b32_e32 v12, s29
	v_addc_co_u32_e64 v13, s[2:3], v13, v12, s[2:3]
	v_add_co_u32_e64 v12, s[2:3], 2, v18
	v_mov_b32_e32 v14, s29
	v_addc_co_u32_e64 v13, s[2:3], 0, v13, s[2:3]
	v_addc_co_u32_e32 v15, vcc, v15, v14, vcc
	v_add_co_u32_e32 v14, vcc, 2, v16
	s_add_u32 s2, s26, -1
	v_addc_co_u32_e32 v15, vcc, 0, v15, vcc
	s_addc_u32 s3, s27, -1
	s_mov_b64 s[8:9], 0
	s_mov_b64 s[40:41], 0
                                        ; implicit-def: $sgpr18_sgpr19
	s_branch .LBB703_61
.LBB703_59:                             ;   in Loop: Header=BB703_61 Depth=1
	global_load_ushort v16, v[14:15], off
	global_load_ushort v17, v[12:13], off
	v_add_co_u32_e32 v12, vcc, 2, v12
	v_addc_co_u32_e32 v13, vcc, 0, v13, vcc
	v_add_co_u32_e32 v14, vcc, 2, v14
	v_addc_co_u32_e32 v15, vcc, 0, v15, vcc
	s_add_u32 s40, s40, 1
	s_addc_u32 s41, s41, 0
	s_andn2_b64 s[18:19], s[18:19], exec
	s_waitcnt vmcnt(0)
	v_cmp_ne_u16_e32 vcc, v16, v17
	s_and_b64 s[42:43], vcc, exec
	s_or_b64 s[18:19], s[18:19], s[42:43]
.LBB703_60:                             ;   in Loop: Header=BB703_61 Depth=1
	s_and_b64 s[42:43], exec, s[18:19]
	s_or_b64 s[8:9], s[42:43], s[8:9]
	v_pk_mov_b32 v[16:17], s[40:41], s[40:41] op_sel:[0,1]
	s_andn2_b64 exec, exec, s[8:9]
	s_cbranch_execz .LBB703_63
.LBB703_61:                             ; =>This Inner Loop Header: Depth=1
	s_or_b64 s[18:19], s[18:19], exec
	s_cmp_eq_u64 s[2:3], s[40:41]
	s_cbranch_scc0 .LBB703_59
; %bb.62:                               ;   in Loop: Header=BB703_61 Depth=1
                                        ; implicit-def: $vgpr12_vgpr13
                                        ; implicit-def: $vgpr14_vgpr15
	s_mov_b64 s[40:41], s[26:27]
	s_branch .LBB703_60
.LBB703_63:
	s_or_b64 exec, exec, s[8:9]
	v_cmp_gt_i64_e32 vcc, s[26:27], v[16:17]
	s_orn2_b64 s[18:19], vcc, exec
.LBB703_64:
	s_or_b64 exec, exec, s[38:39]
.LBB703_65:
	v_cndmask_b32_e64 v13, 0, 1, s[14:15]
	v_or_b32_e32 v16, v26, v27
	s_and_b64 vcc, exec, s[36:37]
	s_cbranch_vccz .LBB703_124
.LBB703_66:
	v_cmp_gt_u32_e32 vcc, s7, v23
	s_mov_b64 s[18:19], 0
	s_mov_b64 s[14:15], 0
	s_and_saveexec_b64 s[36:37], vcc
	s_cbranch_execz .LBB703_77
; %bb.67:
	s_and_b64 vcc, exec, s[0:1]
	s_mov_b64 s[38:39], 0
	s_cbranch_vccnz .LBB703_76
; %bb.68:
	s_waitcnt lgkmcnt(0)
	v_mul_lo_u32 v14, v5, s26
	v_mul_lo_u32 v15, v4, s27
	v_mad_u64_u32 v[12:13], s[2:3], v4, s26, 0
	v_add3_u32 v13, v13, v15, v14
	v_mul_lo_u32 v14, v11, s26
	v_mul_lo_u32 v15, v10, s27
	v_mad_u64_u32 v[18:19], s[2:3], v10, s26, 0
	v_add3_u32 v19, v19, v15, v14
	v_lshlrev_b64 v[14:15], 1, v[12:13]
	v_mov_b32_e32 v12, s29
	v_add_co_u32_e32 v16, vcc, s28, v14
	v_addc_co_u32_e64 v17, s[2:3], v12, v15, vcc
	v_lshlrev_b64 v[12:13], 1, v[18:19]
	v_mov_b32_e32 v14, s29
	v_add_co_u32_e64 v18, s[2:3], s28, v12
	v_addc_co_u32_e64 v19, s[8:9], v14, v13, s[2:3]
	global_load_ushort v12, v[16:17], off
	global_load_ushort v14, v[18:19], off
	s_mov_b64 s[38:39], -1
	s_waitcnt vmcnt(0)
	v_cmp_eq_u16_e64 s[8:9], v12, v14
	s_and_saveexec_b64 s[14:15], s[8:9]
	s_cbranch_execz .LBB703_75
; %bb.69:
	v_mov_b32_e32 v12, s29
	v_addc_co_u32_e64 v13, s[2:3], v13, v12, s[2:3]
	v_add_co_u32_e64 v12, s[2:3], 2, v18
	v_mov_b32_e32 v14, s29
	v_addc_co_u32_e64 v13, s[2:3], 0, v13, s[2:3]
	v_addc_co_u32_e32 v15, vcc, v15, v14, vcc
	v_add_co_u32_e32 v14, vcc, 2, v16
	s_add_u32 s2, s26, -1
	v_addc_co_u32_e32 v15, vcc, 0, v15, vcc
	s_addc_u32 s3, s27, -1
	s_mov_b64 s[8:9], 0
	s_mov_b64 s[40:41], 0
                                        ; implicit-def: $sgpr38_sgpr39
	s_branch .LBB703_72
.LBB703_70:                             ;   in Loop: Header=BB703_72 Depth=1
	global_load_ushort v16, v[14:15], off
	global_load_ushort v17, v[12:13], off
	v_add_co_u32_e32 v12, vcc, 2, v12
	v_addc_co_u32_e32 v13, vcc, 0, v13, vcc
	v_add_co_u32_e32 v14, vcc, 2, v14
	v_addc_co_u32_e32 v15, vcc, 0, v15, vcc
	s_add_u32 s40, s40, 1
	s_addc_u32 s41, s41, 0
	s_andn2_b64 s[38:39], s[38:39], exec
	s_waitcnt vmcnt(0)
	v_cmp_ne_u16_e32 vcc, v16, v17
	s_and_b64 s[42:43], vcc, exec
	s_or_b64 s[38:39], s[38:39], s[42:43]
.LBB703_71:                             ;   in Loop: Header=BB703_72 Depth=1
	s_and_b64 s[42:43], exec, s[38:39]
	s_or_b64 s[8:9], s[42:43], s[8:9]
	v_pk_mov_b32 v[16:17], s[40:41], s[40:41] op_sel:[0,1]
	s_andn2_b64 exec, exec, s[8:9]
	s_cbranch_execz .LBB703_74
.LBB703_72:                             ; =>This Inner Loop Header: Depth=1
	s_or_b64 s[38:39], s[38:39], exec
	s_cmp_eq_u64 s[2:3], s[40:41]
	s_cbranch_scc0 .LBB703_70
; %bb.73:                               ;   in Loop: Header=BB703_72 Depth=1
                                        ; implicit-def: $vgpr12_vgpr13
                                        ; implicit-def: $vgpr14_vgpr15
	s_mov_b64 s[40:41], s[26:27]
	s_branch .LBB703_71
.LBB703_74:
	s_or_b64 exec, exec, s[8:9]
	v_cmp_gt_i64_e32 vcc, s[26:27], v[16:17]
	s_orn2_b64 s[38:39], vcc, exec
.LBB703_75:
	s_or_b64 exec, exec, s[14:15]
.LBB703_76:
	s_and_b64 s[14:15], s[38:39], exec
.LBB703_77:
	s_or_b64 exec, exec, s[36:37]
	v_cmp_gt_u32_e32 vcc, s7, v25
	s_and_saveexec_b64 s[36:37], vcc
	s_cbranch_execz .LBB703_88
; %bb.78:
	s_and_b64 vcc, exec, s[0:1]
	s_mov_b64 s[38:39], 0
	s_cbranch_vccnz .LBB703_87
; %bb.79:
	s_waitcnt lgkmcnt(0)
	v_mul_lo_u32 v14, v3, s26
	v_mul_lo_u32 v15, v2, s27
	v_mad_u64_u32 v[12:13], s[2:3], v2, s26, 0
	v_add3_u32 v13, v13, v15, v14
	v_mul_lo_u32 v14, v5, s26
	v_mul_lo_u32 v15, v4, s27
	v_mad_u64_u32 v[18:19], s[2:3], v4, s26, 0
	v_add3_u32 v19, v19, v15, v14
	v_lshlrev_b64 v[14:15], 1, v[12:13]
	v_mov_b32_e32 v12, s29
	v_add_co_u32_e32 v16, vcc, s28, v14
	v_addc_co_u32_e64 v17, s[2:3], v12, v15, vcc
	v_lshlrev_b64 v[12:13], 1, v[18:19]
	v_mov_b32_e32 v14, s29
	v_add_co_u32_e64 v18, s[2:3], s28, v12
	v_addc_co_u32_e64 v19, s[8:9], v14, v13, s[2:3]
	global_load_ushort v12, v[16:17], off
	global_load_ushort v14, v[18:19], off
	s_mov_b64 s[38:39], -1
	s_waitcnt vmcnt(0)
	v_cmp_eq_u16_e64 s[8:9], v12, v14
	s_and_saveexec_b64 s[18:19], s[8:9]
	s_cbranch_execz .LBB703_86
; %bb.80:
	v_mov_b32_e32 v12, s29
	v_addc_co_u32_e64 v13, s[2:3], v13, v12, s[2:3]
	v_add_co_u32_e64 v12, s[2:3], 2, v18
	v_mov_b32_e32 v14, s29
	v_addc_co_u32_e64 v13, s[2:3], 0, v13, s[2:3]
	v_addc_co_u32_e32 v15, vcc, v15, v14, vcc
	v_add_co_u32_e32 v14, vcc, 2, v16
	s_add_u32 s2, s26, -1
	v_addc_co_u32_e32 v15, vcc, 0, v15, vcc
	s_addc_u32 s3, s27, -1
	s_mov_b64 s[8:9], 0
	s_mov_b64 s[40:41], 0
                                        ; implicit-def: $sgpr38_sgpr39
	s_branch .LBB703_83
.LBB703_81:                             ;   in Loop: Header=BB703_83 Depth=1
	global_load_ushort v16, v[14:15], off
	global_load_ushort v17, v[12:13], off
	v_add_co_u32_e32 v12, vcc, 2, v12
	v_addc_co_u32_e32 v13, vcc, 0, v13, vcc
	v_add_co_u32_e32 v14, vcc, 2, v14
	v_addc_co_u32_e32 v15, vcc, 0, v15, vcc
	s_add_u32 s40, s40, 1
	s_addc_u32 s41, s41, 0
	s_andn2_b64 s[38:39], s[38:39], exec
	s_waitcnt vmcnt(0)
	v_cmp_ne_u16_e32 vcc, v16, v17
	s_and_b64 s[42:43], vcc, exec
	s_or_b64 s[38:39], s[38:39], s[42:43]
.LBB703_82:                             ;   in Loop: Header=BB703_83 Depth=1
	s_and_b64 s[42:43], exec, s[38:39]
	s_or_b64 s[8:9], s[42:43], s[8:9]
	v_pk_mov_b32 v[16:17], s[40:41], s[40:41] op_sel:[0,1]
	s_andn2_b64 exec, exec, s[8:9]
	s_cbranch_execz .LBB703_85
.LBB703_83:                             ; =>This Inner Loop Header: Depth=1
	s_or_b64 s[38:39], s[38:39], exec
	s_cmp_eq_u64 s[2:3], s[40:41]
	s_cbranch_scc0 .LBB703_81
; %bb.84:                               ;   in Loop: Header=BB703_83 Depth=1
                                        ; implicit-def: $vgpr12_vgpr13
                                        ; implicit-def: $vgpr14_vgpr15
	s_mov_b64 s[40:41], s[26:27]
	s_branch .LBB703_82
.LBB703_85:
	s_or_b64 exec, exec, s[8:9]
	v_cmp_gt_i64_e32 vcc, s[26:27], v[16:17]
	s_orn2_b64 s[38:39], vcc, exec
.LBB703_86:
	s_or_b64 exec, exec, s[18:19]
.LBB703_87:
	s_and_b64 s[18:19], s[38:39], exec
.LBB703_88:
	s_or_b64 exec, exec, s[36:37]
	v_cmp_gt_u32_e32 vcc, s7, v22
	s_mov_b64 s[36:37], 0
	s_mov_b64 s[38:39], 0
	s_and_saveexec_b64 s[40:41], vcc
	s_cbranch_execz .LBB703_99
; %bb.89:
	s_and_b64 vcc, exec, s[0:1]
	s_mov_b64 s[42:43], 0
	s_cbranch_vccnz .LBB703_98
; %bb.90:
	s_waitcnt lgkmcnt(0)
	v_mul_lo_u32 v14, v9, s26
	v_mul_lo_u32 v15, v8, s27
	v_mad_u64_u32 v[12:13], s[2:3], v8, s26, 0
	v_add3_u32 v13, v13, v15, v14
	v_mul_lo_u32 v14, v3, s26
	v_mul_lo_u32 v15, v2, s27
	v_mad_u64_u32 v[18:19], s[2:3], v2, s26, 0
	v_add3_u32 v19, v19, v15, v14
	v_lshlrev_b64 v[14:15], 1, v[12:13]
	v_mov_b32_e32 v12, s29
	v_add_co_u32_e32 v16, vcc, s28, v14
	v_addc_co_u32_e64 v17, s[2:3], v12, v15, vcc
	v_lshlrev_b64 v[12:13], 1, v[18:19]
	v_mov_b32_e32 v14, s29
	v_add_co_u32_e64 v18, s[2:3], s28, v12
	v_addc_co_u32_e64 v19, s[8:9], v14, v13, s[2:3]
	global_load_ushort v12, v[16:17], off
	global_load_ushort v14, v[18:19], off
	s_mov_b64 s[42:43], -1
	s_waitcnt vmcnt(0)
	v_cmp_eq_u16_e64 s[8:9], v12, v14
	s_and_saveexec_b64 s[38:39], s[8:9]
	s_cbranch_execz .LBB703_97
; %bb.91:
	v_mov_b32_e32 v12, s29
	v_addc_co_u32_e64 v13, s[2:3], v13, v12, s[2:3]
	v_add_co_u32_e64 v12, s[2:3], 2, v18
	v_mov_b32_e32 v14, s29
	v_addc_co_u32_e64 v13, s[2:3], 0, v13, s[2:3]
	v_addc_co_u32_e32 v15, vcc, v15, v14, vcc
	v_add_co_u32_e32 v14, vcc, 2, v16
	s_add_u32 s2, s26, -1
	v_addc_co_u32_e32 v15, vcc, 0, v15, vcc
	s_addc_u32 s3, s27, -1
	s_mov_b64 s[8:9], 0
	s_mov_b64 s[44:45], 0
                                        ; implicit-def: $sgpr42_sgpr43
	s_branch .LBB703_94
.LBB703_92:                             ;   in Loop: Header=BB703_94 Depth=1
	global_load_ushort v16, v[14:15], off
	global_load_ushort v17, v[12:13], off
	v_add_co_u32_e32 v12, vcc, 2, v12
	v_addc_co_u32_e32 v13, vcc, 0, v13, vcc
	v_add_co_u32_e32 v14, vcc, 2, v14
	v_addc_co_u32_e32 v15, vcc, 0, v15, vcc
	s_add_u32 s44, s44, 1
	s_addc_u32 s45, s45, 0
	s_andn2_b64 s[42:43], s[42:43], exec
	s_waitcnt vmcnt(0)
	v_cmp_ne_u16_e32 vcc, v16, v17
	s_and_b64 s[46:47], vcc, exec
	s_or_b64 s[42:43], s[42:43], s[46:47]
.LBB703_93:                             ;   in Loop: Header=BB703_94 Depth=1
	s_and_b64 s[46:47], exec, s[42:43]
	s_or_b64 s[8:9], s[46:47], s[8:9]
	v_pk_mov_b32 v[16:17], s[44:45], s[44:45] op_sel:[0,1]
	s_andn2_b64 exec, exec, s[8:9]
	s_cbranch_execz .LBB703_96
.LBB703_94:                             ; =>This Inner Loop Header: Depth=1
	s_or_b64 s[42:43], s[42:43], exec
	s_cmp_eq_u64 s[2:3], s[44:45]
	s_cbranch_scc0 .LBB703_92
; %bb.95:                               ;   in Loop: Header=BB703_94 Depth=1
                                        ; implicit-def: $vgpr12_vgpr13
                                        ; implicit-def: $vgpr14_vgpr15
	s_mov_b64 s[44:45], s[26:27]
	s_branch .LBB703_93
.LBB703_96:
	s_or_b64 exec, exec, s[8:9]
	v_cmp_gt_i64_e32 vcc, s[26:27], v[16:17]
	s_orn2_b64 s[42:43], vcc, exec
.LBB703_97:
	s_or_b64 exec, exec, s[38:39]
.LBB703_98:
	s_and_b64 s[38:39], s[42:43], exec
.LBB703_99:
	s_or_b64 exec, exec, s[40:41]
	v_cmp_gt_u32_e32 vcc, s7, v24
	s_and_saveexec_b64 s[40:41], vcc
	s_cbranch_execz .LBB703_110
; %bb.100:
	s_and_b64 vcc, exec, s[0:1]
	s_mov_b64 s[42:43], 0
	s_cbranch_vccnz .LBB703_109
; %bb.101:
	s_waitcnt lgkmcnt(0)
	v_mul_lo_u32 v14, v7, s26
	v_mul_lo_u32 v15, v6, s27
	v_mad_u64_u32 v[12:13], s[2:3], v6, s26, 0
	v_add3_u32 v13, v13, v15, v14
	v_mul_lo_u32 v14, v9, s26
	v_mul_lo_u32 v15, v8, s27
	v_mad_u64_u32 v[18:19], s[2:3], v8, s26, 0
	v_add3_u32 v19, v19, v15, v14
	v_lshlrev_b64 v[14:15], 1, v[12:13]
	v_mov_b32_e32 v12, s29
	v_add_co_u32_e32 v16, vcc, s28, v14
	v_addc_co_u32_e64 v17, s[2:3], v12, v15, vcc
	v_lshlrev_b64 v[12:13], 1, v[18:19]
	v_mov_b32_e32 v14, s29
	v_add_co_u32_e64 v18, s[2:3], s28, v12
	v_addc_co_u32_e64 v19, s[8:9], v14, v13, s[2:3]
	global_load_ushort v12, v[16:17], off
	global_load_ushort v14, v[18:19], off
	s_mov_b64 s[42:43], -1
	s_waitcnt vmcnt(0)
	v_cmp_eq_u16_e64 s[8:9], v12, v14
	s_and_saveexec_b64 s[36:37], s[8:9]
	s_cbranch_execz .LBB703_108
; %bb.102:
	v_mov_b32_e32 v12, s29
	v_addc_co_u32_e64 v13, s[2:3], v13, v12, s[2:3]
	v_add_co_u32_e64 v12, s[2:3], 2, v18
	v_mov_b32_e32 v14, s29
	v_addc_co_u32_e64 v13, s[2:3], 0, v13, s[2:3]
	v_addc_co_u32_e32 v15, vcc, v15, v14, vcc
	v_add_co_u32_e32 v14, vcc, 2, v16
	s_add_u32 s2, s26, -1
	v_addc_co_u32_e32 v15, vcc, 0, v15, vcc
	s_addc_u32 s3, s27, -1
	s_mov_b64 s[8:9], 0
	s_mov_b64 s[44:45], 0
                                        ; implicit-def: $sgpr42_sgpr43
	s_branch .LBB703_105
.LBB703_103:                            ;   in Loop: Header=BB703_105 Depth=1
	global_load_ushort v16, v[14:15], off
	global_load_ushort v17, v[12:13], off
	v_add_co_u32_e32 v12, vcc, 2, v12
	v_addc_co_u32_e32 v13, vcc, 0, v13, vcc
	v_add_co_u32_e32 v14, vcc, 2, v14
	v_addc_co_u32_e32 v15, vcc, 0, v15, vcc
	s_add_u32 s44, s44, 1
	s_addc_u32 s45, s45, 0
	s_andn2_b64 s[42:43], s[42:43], exec
	s_waitcnt vmcnt(0)
	v_cmp_ne_u16_e32 vcc, v16, v17
	s_and_b64 s[46:47], vcc, exec
	s_or_b64 s[42:43], s[42:43], s[46:47]
.LBB703_104:                            ;   in Loop: Header=BB703_105 Depth=1
	s_and_b64 s[46:47], exec, s[42:43]
	s_or_b64 s[8:9], s[46:47], s[8:9]
	v_pk_mov_b32 v[16:17], s[44:45], s[44:45] op_sel:[0,1]
	s_andn2_b64 exec, exec, s[8:9]
	s_cbranch_execz .LBB703_107
.LBB703_105:                            ; =>This Inner Loop Header: Depth=1
	s_or_b64 s[42:43], s[42:43], exec
	s_cmp_eq_u64 s[2:3], s[44:45]
	s_cbranch_scc0 .LBB703_103
; %bb.106:                              ;   in Loop: Header=BB703_105 Depth=1
                                        ; implicit-def: $vgpr12_vgpr13
                                        ; implicit-def: $vgpr14_vgpr15
	s_mov_b64 s[44:45], s[26:27]
	s_branch .LBB703_104
.LBB703_107:
	s_or_b64 exec, exec, s[8:9]
	v_cmp_gt_i64_e32 vcc, s[26:27], v[16:17]
	s_orn2_b64 s[42:43], vcc, exec
.LBB703_108:
	s_or_b64 exec, exec, s[36:37]
.LBB703_109:
	s_and_b64 s[36:37], s[42:43], exec
.LBB703_110:
	s_or_b64 exec, exec, s[40:41]
	v_cmp_ne_u32_e32 vcc, 0, v0
	s_waitcnt lgkmcnt(0)
	v_pk_mov_b32 v[12:13], s[12:13], s[12:13] op_sel:[0,1]
	s_barrier
	s_and_saveexec_b64 s[2:3], vcc
	s_cbranch_execz .LBB703_112
; %bb.111:
	v_add_u32_e32 v12, -8, v21
	ds_read_b64 v[12:13], v12
.LBB703_112:
	s_or_b64 exec, exec, s[2:3]
	v_cndmask_b32_e64 v15, 0, 1, s[18:19]
	v_cndmask_b32_e64 v14, 0, 1, s[38:39]
	;; [unrolled: 1-line block ×3, first 2 shown]
	v_lshlrev_b16_e32 v15, 8, v15
	v_cmp_gt_u32_e32 vcc, s7, v1
	v_lshlrev_b16_e32 v21, 8, v16
	v_or_b32_sdwa v26, v14, v15 dst_sel:WORD_1 dst_unused:UNUSED_PAD src0_sel:DWORD src1_sel:DWORD
	s_mov_b64 s[18:19], 0
	s_and_saveexec_b64 s[8:9], vcc
	s_cbranch_execz .LBB703_123
; %bb.113:
	s_and_b64 vcc, exec, s[0:1]
	s_cbranch_vccnz .LBB703_122
; %bb.114:
	s_waitcnt lgkmcnt(0)
	v_mul_lo_u32 v14, v13, s26
	v_mul_lo_u32 v15, v12, s27
	v_mad_u64_u32 v[12:13], s[0:1], v12, s26, 0
	v_add3_u32 v13, v13, v15, v14
	v_mul_lo_u32 v14, v7, s26
	v_mul_lo_u32 v15, v6, s27
	v_mad_u64_u32 v[18:19], s[0:1], v6, s26, 0
	v_add3_u32 v19, v19, v15, v14
	v_lshlrev_b64 v[14:15], 1, v[12:13]
	v_mov_b32_e32 v12, s29
	v_add_co_u32_e32 v16, vcc, s28, v14
	v_addc_co_u32_e64 v17, s[0:1], v12, v15, vcc
	v_lshlrev_b64 v[12:13], 1, v[18:19]
	v_mov_b32_e32 v14, s29
	v_add_co_u32_e64 v18, s[0:1], s28, v12
	v_addc_co_u32_e64 v19, s[2:3], v14, v13, s[0:1]
	global_load_ushort v12, v[16:17], off
	global_load_ushort v14, v[18:19], off
	s_mov_b64 s[18:19], -1
	s_waitcnt vmcnt(0)
	v_cmp_eq_u16_e64 s[2:3], v12, v14
	s_and_saveexec_b64 s[12:13], s[2:3]
	s_cbranch_execz .LBB703_121
; %bb.115:
	v_mov_b32_e32 v12, s29
	v_addc_co_u32_e64 v13, s[0:1], v13, v12, s[0:1]
	v_add_co_u32_e64 v12, s[0:1], 2, v18
	v_mov_b32_e32 v14, s29
	v_addc_co_u32_e64 v13, s[0:1], 0, v13, s[0:1]
	v_addc_co_u32_e32 v15, vcc, v15, v14, vcc
	v_add_co_u32_e32 v14, vcc, 2, v16
	s_add_u32 s0, s26, -1
	v_addc_co_u32_e32 v15, vcc, 0, v15, vcc
	s_addc_u32 s1, s27, -1
	s_mov_b64 s[2:3], 0
	s_mov_b64 s[36:37], 0
                                        ; implicit-def: $sgpr18_sgpr19
	s_branch .LBB703_118
.LBB703_116:                            ;   in Loop: Header=BB703_118 Depth=1
	global_load_ushort v16, v[14:15], off
	global_load_ushort v17, v[12:13], off
	v_add_co_u32_e32 v12, vcc, 2, v12
	v_addc_co_u32_e32 v13, vcc, 0, v13, vcc
	v_add_co_u32_e32 v14, vcc, 2, v14
	v_addc_co_u32_e32 v15, vcc, 0, v15, vcc
	s_add_u32 s36, s36, 1
	s_addc_u32 s37, s37, 0
	s_andn2_b64 s[18:19], s[18:19], exec
	s_waitcnt vmcnt(0)
	v_cmp_ne_u16_e32 vcc, v16, v17
	s_and_b64 s[38:39], vcc, exec
	s_or_b64 s[18:19], s[18:19], s[38:39]
.LBB703_117:                            ;   in Loop: Header=BB703_118 Depth=1
	s_and_b64 s[38:39], exec, s[18:19]
	s_or_b64 s[2:3], s[38:39], s[2:3]
	v_pk_mov_b32 v[16:17], s[36:37], s[36:37] op_sel:[0,1]
	s_andn2_b64 exec, exec, s[2:3]
	s_cbranch_execz .LBB703_120
.LBB703_118:                            ; =>This Inner Loop Header: Depth=1
	s_or_b64 s[18:19], s[18:19], exec
	s_cmp_eq_u64 s[0:1], s[36:37]
	s_cbranch_scc0 .LBB703_116
; %bb.119:                              ;   in Loop: Header=BB703_118 Depth=1
                                        ; implicit-def: $vgpr12_vgpr13
                                        ; implicit-def: $vgpr14_vgpr15
	s_mov_b64 s[36:37], s[26:27]
	s_branch .LBB703_117
.LBB703_120:
	s_or_b64 exec, exec, s[2:3]
	v_cmp_gt_i64_e32 vcc, s[26:27], v[16:17]
	s_orn2_b64 s[18:19], vcc, exec
.LBB703_121:
	s_or_b64 exec, exec, s[12:13]
.LBB703_122:
	s_and_b64 s[18:19], s[18:19], exec
.LBB703_123:
	s_or_b64 exec, exec, s[8:9]
	s_waitcnt lgkmcnt(0)
	v_cndmask_b32_e64 v13, 0, 1, s[14:15]
	v_or_b32_e32 v16, v21, v26
.LBB703_124:
	s_waitcnt lgkmcnt(0)
	s_mov_b64 s[12:13], -1
	s_cbranch_execnz .LBB703_233
.LBB703_125:
	v_lshlrev_b32_e32 v12, 5, v0
	v_sub_u32_e32 v26, v20, v12
	s_mov_b64 s[18:19], 0
	v_cmp_gt_i64_e64 s[14:15], s[26:27], 0
	s_and_b64 vcc, exec, s[34:35]
	ds_write_b64 v26, v[10:11]
	s_cbranch_vccz .LBB703_133
; %bb.126:
	v_mul_lo_u32 v14, v5, s26
	v_mul_lo_u32 v15, v4, s27
	v_mad_u64_u32 v[12:13], s[0:1], v4, s26, 0
	v_add3_u32 v13, v13, v15, v14
	v_cndmask_b32_e64 v14, 0, 1, s[14:15]
	v_cmp_ne_u32_e64 s[0:1], 1, v14
	s_andn2_b64 vcc, exec, s[14:15]
	v_lshlrev_b64 v[12:13], 1, v[12:13]
	s_cbranch_vccnz .LBB703_136
; %bb.127:
	v_mul_lo_u32 v16, v11, s26
	v_mul_lo_u32 v17, v10, s27
	v_mad_u64_u32 v[14:15], s[2:3], v10, s26, 0
	v_add3_u32 v15, v15, v17, v16
	v_mov_b32_e32 v17, s29
	v_add_co_u32_e32 v16, vcc, s28, v12
	v_addc_co_u32_e64 v17, s[2:3], v17, v13, vcc
	v_lshlrev_b64 v[14:15], 1, v[14:15]
	v_mov_b32_e32 v19, s29
	v_add_co_u32_e64 v18, s[2:3], s28, v14
	v_addc_co_u32_e64 v19, s[8:9], v19, v15, s[2:3]
	global_load_ushort v14, v[16:17], off
	global_load_ushort v20, v[18:19], off
	s_mov_b64 s[18:19], -1
	s_waitcnt vmcnt(0)
	v_cmp_eq_u16_e64 s[8:9], v14, v20
	s_and_saveexec_b64 s[36:37], s[8:9]
	s_cbranch_execz .LBB703_135
; %bb.128:
	v_mov_b32_e32 v14, s29
	v_addc_co_u32_e64 v15, s[2:3], v15, v14, s[2:3]
	v_add_co_u32_e64 v14, s[2:3], 2, v18
	v_mov_b32_e32 v17, s29
	v_addc_co_u32_e64 v15, s[2:3], 0, v15, s[2:3]
	v_addc_co_u32_e32 v17, vcc, v13, v17, vcc
	v_add_co_u32_e32 v16, vcc, 2, v16
	s_add_u32 s2, s26, -1
	v_addc_co_u32_e32 v17, vcc, 0, v17, vcc
	s_addc_u32 s3, s27, -1
	s_mov_b64 s[8:9], 0
	s_mov_b64 s[38:39], 0
                                        ; implicit-def: $sgpr18_sgpr19
	s_branch .LBB703_131
.LBB703_129:                            ;   in Loop: Header=BB703_131 Depth=1
	global_load_ushort v18, v[16:17], off
	global_load_ushort v19, v[14:15], off
	v_add_co_u32_e32 v14, vcc, 2, v14
	v_addc_co_u32_e32 v15, vcc, 0, v15, vcc
	v_add_co_u32_e32 v16, vcc, 2, v16
	v_addc_co_u32_e32 v17, vcc, 0, v17, vcc
	s_add_u32 s38, s38, 1
	s_addc_u32 s39, s39, 0
	s_andn2_b64 s[18:19], s[18:19], exec
	s_waitcnt vmcnt(0)
	v_cmp_ne_u16_e32 vcc, v18, v19
	s_and_b64 s[40:41], vcc, exec
	s_or_b64 s[18:19], s[18:19], s[40:41]
.LBB703_130:                            ;   in Loop: Header=BB703_131 Depth=1
	s_and_b64 s[40:41], exec, s[18:19]
	s_or_b64 s[8:9], s[40:41], s[8:9]
	v_pk_mov_b32 v[18:19], s[38:39], s[38:39] op_sel:[0,1]
	s_andn2_b64 exec, exec, s[8:9]
	s_cbranch_execz .LBB703_134
.LBB703_131:                            ; =>This Inner Loop Header: Depth=1
	s_or_b64 s[18:19], s[18:19], exec
	s_cmp_eq_u64 s[2:3], s[38:39]
	s_cbranch_scc0 .LBB703_129
; %bb.132:                              ;   in Loop: Header=BB703_131 Depth=1
                                        ; implicit-def: $vgpr14_vgpr15
                                        ; implicit-def: $vgpr16_vgpr17
	s_mov_b64 s[38:39], s[26:27]
	s_branch .LBB703_130
.LBB703_133:
                                        ; implicit-def: $sgpr18_sgpr19
                                        ; implicit-def: $vgpr13
                                        ; implicit-def: $vgpr16
	s_cbranch_execnz .LBB703_175
	s_branch .LBB703_233
.LBB703_134:
	s_or_b64 exec, exec, s[8:9]
	v_cmp_gt_i64_e32 vcc, s[26:27], v[18:19]
	s_orn2_b64 s[18:19], vcc, exec
.LBB703_135:
	s_or_b64 exec, exec, s[36:37]
.LBB703_136:
	v_mul_lo_u32 v16, v3, s26
	v_mul_lo_u32 v17, v2, s27
	v_mad_u64_u32 v[14:15], s[2:3], v2, s26, 0
	v_add3_u32 v15, v15, v17, v16
	s_mov_b64 s[36:37], 0
	s_and_b64 vcc, exec, s[0:1]
	v_lshlrev_b64 v[14:15], 1, v[14:15]
	s_mov_b64 s[38:39], 0
	s_cbranch_vccnz .LBB703_145
; %bb.137:
	v_mov_b32_e32 v17, s29
	v_add_co_u32_e32 v16, vcc, s28, v14
	v_addc_co_u32_e64 v17, s[2:3], v17, v15, vcc
	v_mov_b32_e32 v19, s29
	v_add_co_u32_e64 v18, s[2:3], s28, v12
	v_addc_co_u32_e64 v19, s[8:9], v19, v13, s[2:3]
	global_load_ushort v12, v[16:17], off
	global_load_ushort v20, v[18:19], off
	s_mov_b64 s[38:39], -1
	s_waitcnt vmcnt(0)
	v_cmp_eq_u16_e64 s[8:9], v12, v20
	s_and_saveexec_b64 s[40:41], s[8:9]
	s_cbranch_execz .LBB703_144
; %bb.138:
	v_mov_b32_e32 v12, s29
	v_addc_co_u32_e64 v13, s[2:3], v13, v12, s[2:3]
	v_add_co_u32_e64 v12, s[2:3], 2, v18
	v_mov_b32_e32 v17, s29
	v_addc_co_u32_e64 v13, s[2:3], 0, v13, s[2:3]
	v_addc_co_u32_e32 v17, vcc, v15, v17, vcc
	v_add_co_u32_e32 v16, vcc, 2, v16
	s_add_u32 s2, s26, -1
	v_addc_co_u32_e32 v17, vcc, 0, v17, vcc
	s_addc_u32 s3, s27, -1
	s_mov_b64 s[8:9], 0
	s_mov_b64 s[42:43], 0
                                        ; implicit-def: $sgpr38_sgpr39
	s_branch .LBB703_141
.LBB703_139:                            ;   in Loop: Header=BB703_141 Depth=1
	global_load_ushort v18, v[16:17], off
	global_load_ushort v19, v[12:13], off
	v_add_co_u32_e32 v12, vcc, 2, v12
	v_addc_co_u32_e32 v13, vcc, 0, v13, vcc
	v_add_co_u32_e32 v16, vcc, 2, v16
	v_addc_co_u32_e32 v17, vcc, 0, v17, vcc
	s_add_u32 s42, s42, 1
	s_addc_u32 s43, s43, 0
	s_andn2_b64 s[38:39], s[38:39], exec
	s_waitcnt vmcnt(0)
	v_cmp_ne_u16_e32 vcc, v18, v19
	s_and_b64 s[44:45], vcc, exec
	s_or_b64 s[38:39], s[38:39], s[44:45]
.LBB703_140:                            ;   in Loop: Header=BB703_141 Depth=1
	s_and_b64 s[44:45], exec, s[38:39]
	s_or_b64 s[8:9], s[44:45], s[8:9]
	v_pk_mov_b32 v[18:19], s[42:43], s[42:43] op_sel:[0,1]
	s_andn2_b64 exec, exec, s[8:9]
	s_cbranch_execz .LBB703_143
.LBB703_141:                            ; =>This Inner Loop Header: Depth=1
	s_or_b64 s[38:39], s[38:39], exec
	s_cmp_eq_u64 s[2:3], s[42:43]
	s_cbranch_scc0 .LBB703_139
; %bb.142:                              ;   in Loop: Header=BB703_141 Depth=1
                                        ; implicit-def: $vgpr12_vgpr13
                                        ; implicit-def: $vgpr16_vgpr17
	s_mov_b64 s[42:43], s[26:27]
	s_branch .LBB703_140
.LBB703_143:
	s_or_b64 exec, exec, s[8:9]
	v_cmp_gt_i64_e32 vcc, s[26:27], v[18:19]
	s_orn2_b64 s[38:39], vcc, exec
.LBB703_144:
	s_or_b64 exec, exec, s[40:41]
.LBB703_145:
	v_mul_lo_u32 v16, v9, s26
	v_mul_lo_u32 v17, v8, s27
	v_mad_u64_u32 v[12:13], s[2:3], v8, s26, 0
	v_add3_u32 v13, v13, v17, v16
	s_and_b64 vcc, exec, s[0:1]
	v_lshlrev_b64 v[12:13], 1, v[12:13]
	s_cbranch_vccnz .LBB703_154
; %bb.146:
	v_mov_b32_e32 v17, s29
	v_add_co_u32_e32 v16, vcc, s28, v12
	v_addc_co_u32_e64 v17, s[2:3], v17, v13, vcc
	v_mov_b32_e32 v19, s29
	v_add_co_u32_e64 v18, s[2:3], s28, v14
	v_addc_co_u32_e64 v19, s[8:9], v19, v15, s[2:3]
	global_load_ushort v14, v[16:17], off
	global_load_ushort v20, v[18:19], off
	s_mov_b64 s[36:37], -1
	s_waitcnt vmcnt(0)
	v_cmp_eq_u16_e64 s[8:9], v14, v20
	s_and_saveexec_b64 s[40:41], s[8:9]
	s_cbranch_execz .LBB703_153
; %bb.147:
	v_mov_b32_e32 v14, s29
	v_addc_co_u32_e64 v15, s[2:3], v15, v14, s[2:3]
	v_add_co_u32_e64 v14, s[2:3], 2, v18
	v_mov_b32_e32 v17, s29
	v_addc_co_u32_e64 v15, s[2:3], 0, v15, s[2:3]
	v_addc_co_u32_e32 v17, vcc, v13, v17, vcc
	v_add_co_u32_e32 v16, vcc, 2, v16
	s_add_u32 s2, s26, -1
	v_addc_co_u32_e32 v17, vcc, 0, v17, vcc
	s_addc_u32 s3, s27, -1
	s_mov_b64 s[8:9], 0
	s_mov_b64 s[42:43], 0
                                        ; implicit-def: $sgpr36_sgpr37
	s_branch .LBB703_150
.LBB703_148:                            ;   in Loop: Header=BB703_150 Depth=1
	global_load_ushort v18, v[16:17], off
	global_load_ushort v19, v[14:15], off
	v_add_co_u32_e32 v14, vcc, 2, v14
	v_addc_co_u32_e32 v15, vcc, 0, v15, vcc
	v_add_co_u32_e32 v16, vcc, 2, v16
	v_addc_co_u32_e32 v17, vcc, 0, v17, vcc
	s_add_u32 s42, s42, 1
	s_addc_u32 s43, s43, 0
	s_andn2_b64 s[36:37], s[36:37], exec
	s_waitcnt vmcnt(0)
	v_cmp_ne_u16_e32 vcc, v18, v19
	s_and_b64 s[44:45], vcc, exec
	s_or_b64 s[36:37], s[36:37], s[44:45]
.LBB703_149:                            ;   in Loop: Header=BB703_150 Depth=1
	s_and_b64 s[44:45], exec, s[36:37]
	s_or_b64 s[8:9], s[44:45], s[8:9]
	v_pk_mov_b32 v[18:19], s[42:43], s[42:43] op_sel:[0,1]
	s_andn2_b64 exec, exec, s[8:9]
	s_cbranch_execz .LBB703_152
.LBB703_150:                            ; =>This Inner Loop Header: Depth=1
	s_or_b64 s[36:37], s[36:37], exec
	s_cmp_eq_u64 s[2:3], s[42:43]
	s_cbranch_scc0 .LBB703_148
; %bb.151:                              ;   in Loop: Header=BB703_150 Depth=1
                                        ; implicit-def: $vgpr14_vgpr15
                                        ; implicit-def: $vgpr16_vgpr17
	s_mov_b64 s[42:43], s[26:27]
	s_branch .LBB703_149
.LBB703_152:
	s_or_b64 exec, exec, s[8:9]
	v_cmp_gt_i64_e32 vcc, s[26:27], v[18:19]
	s_orn2_b64 s[36:37], vcc, exec
.LBB703_153:
	s_or_b64 exec, exec, s[40:41]
.LBB703_154:
	v_mul_lo_u32 v16, v7, s26
	v_mul_lo_u32 v17, v6, s27
	v_mad_u64_u32 v[14:15], s[2:3], v6, s26, 0
	v_add3_u32 v15, v15, v17, v16
	s_and_b64 vcc, exec, s[0:1]
	s_mov_b64 s[42:43], 0
	s_cbranch_vccnz .LBB703_163
; %bb.155:
	v_lshlrev_b64 v[16:17], 1, v[14:15]
	v_mov_b32_e32 v19, s29
	v_add_co_u32_e32 v18, vcc, s28, v16
	v_addc_co_u32_e64 v19, s[2:3], v19, v17, vcc
	v_mov_b32_e32 v16, s29
	v_add_co_u32_e64 v20, s[2:3], s28, v12
	v_addc_co_u32_e64 v21, s[8:9], v16, v13, s[2:3]
	global_load_ushort v12, v[18:19], off
	global_load_ushort v16, v[20:21], off
	s_mov_b64 s[42:43], -1
	s_waitcnt vmcnt(0)
	v_cmp_eq_u16_e64 s[8:9], v12, v16
	s_and_saveexec_b64 s[40:41], s[8:9]
	s_cbranch_execz .LBB703_162
; %bb.156:
	v_mov_b32_e32 v12, s29
	v_addc_co_u32_e64 v13, s[2:3], v13, v12, s[2:3]
	v_add_co_u32_e64 v12, s[2:3], 2, v20
	v_mov_b32_e32 v16, s29
	v_addc_co_u32_e64 v13, s[2:3], 0, v13, s[2:3]
	v_addc_co_u32_e32 v17, vcc, v17, v16, vcc
	v_add_co_u32_e32 v16, vcc, 2, v18
	s_add_u32 s2, s26, -1
	v_addc_co_u32_e32 v17, vcc, 0, v17, vcc
	s_addc_u32 s3, s27, -1
	s_mov_b64 s[8:9], 0
	s_mov_b64 s[44:45], 0
                                        ; implicit-def: $sgpr42_sgpr43
	s_branch .LBB703_159
.LBB703_157:                            ;   in Loop: Header=BB703_159 Depth=1
	global_load_ushort v18, v[16:17], off
	global_load_ushort v19, v[12:13], off
	v_add_co_u32_e32 v12, vcc, 2, v12
	v_addc_co_u32_e32 v13, vcc, 0, v13, vcc
	v_add_co_u32_e32 v16, vcc, 2, v16
	v_addc_co_u32_e32 v17, vcc, 0, v17, vcc
	s_add_u32 s44, s44, 1
	s_addc_u32 s45, s45, 0
	s_andn2_b64 s[42:43], s[42:43], exec
	s_waitcnt vmcnt(0)
	v_cmp_ne_u16_e32 vcc, v18, v19
	s_and_b64 s[46:47], vcc, exec
	s_or_b64 s[42:43], s[42:43], s[46:47]
.LBB703_158:                            ;   in Loop: Header=BB703_159 Depth=1
	s_and_b64 s[46:47], exec, s[42:43]
	s_or_b64 s[8:9], s[46:47], s[8:9]
	v_pk_mov_b32 v[18:19], s[44:45], s[44:45] op_sel:[0,1]
	s_andn2_b64 exec, exec, s[8:9]
	s_cbranch_execz .LBB703_161
.LBB703_159:                            ; =>This Inner Loop Header: Depth=1
	s_or_b64 s[42:43], s[42:43], exec
	s_cmp_eq_u64 s[2:3], s[44:45]
	s_cbranch_scc0 .LBB703_157
; %bb.160:                              ;   in Loop: Header=BB703_159 Depth=1
                                        ; implicit-def: $vgpr12_vgpr13
                                        ; implicit-def: $vgpr16_vgpr17
	s_mov_b64 s[44:45], s[26:27]
	s_branch .LBB703_158
.LBB703_161:
	s_or_b64 exec, exec, s[8:9]
	v_cmp_gt_i64_e32 vcc, s[26:27], v[18:19]
	s_orn2_b64 s[42:43], vcc, exec
.LBB703_162:
	s_or_b64 exec, exec, s[40:41]
.LBB703_163:
	v_cndmask_b32_e64 v13, 0, 1, s[38:39]
	v_cndmask_b32_e64 v16, 0, 1, s[42:43]
	;; [unrolled: 1-line block ×3, first 2 shown]
	v_lshlrev_b16_e32 v16, 8, v16
	v_lshlrev_b16_e32 v13, 8, v13
	v_or_b32_e32 v16, 1, v16
	v_or_b32_sdwa v12, v12, v13 dst_sel:WORD_1 dst_unused:UNUSED_PAD src0_sel:DWORD src1_sel:DWORD
	v_or_b32_sdwa v12, v16, v12 dst_sel:DWORD dst_unused:UNUSED_PAD src0_sel:WORD_0 src1_sel:DWORD
	v_cndmask_b32_e64 v13, 0, 1, s[18:19]
	v_cmp_ne_u32_e32 vcc, 0, v0
	s_waitcnt lgkmcnt(0)
	s_barrier
	s_waitcnt lgkmcnt(0)
                                        ; implicit-def: $sgpr18_sgpr19
                                        ; implicit-def: $vgpr16
	s_and_saveexec_b64 s[2:3], vcc
	s_xor_b64 s[8:9], exec, s[2:3]
	s_cbranch_execz .LBB703_174
; %bb.164:
	s_mov_b32 s33, 0x3020104
	s_and_b64 vcc, exec, s[0:1]
	s_mov_b64 s[36:37], 0
	s_cbranch_vccnz .LBB703_173
; %bb.165:
	v_add_u32_e32 v16, -8, v26
	ds_read_b64 v[16:17], v16
	v_mov_b32_e32 v19, s29
	v_lshlrev_b64 v[14:15], 1, v[14:15]
	s_mov_b64 s[36:37], -1
	s_waitcnt lgkmcnt(0)
	v_mul_lo_u32 v18, v17, s26
	v_mul_lo_u32 v20, v16, s27
	v_mad_u64_u32 v[16:17], s[0:1], v16, s26, 0
	v_add3_u32 v17, v17, v20, v18
	v_lshlrev_b64 v[16:17], 1, v[16:17]
	v_add_co_u32_e32 v18, vcc, s28, v16
	v_addc_co_u32_e64 v19, s[0:1], v19, v17, vcc
	v_mov_b32_e32 v16, s29
	v_add_co_u32_e64 v20, s[0:1], s28, v14
	v_addc_co_u32_e64 v21, s[2:3], v16, v15, s[0:1]
	global_load_ushort v14, v[18:19], off
	global_load_ushort v16, v[20:21], off
	s_waitcnt vmcnt(0)
	v_cmp_eq_u16_e64 s[2:3], v14, v16
	s_and_saveexec_b64 s[18:19], s[2:3]
	s_cbranch_execz .LBB703_172
; %bb.166:
	v_mov_b32_e32 v14, s29
	v_addc_co_u32_e64 v15, s[0:1], v15, v14, s[0:1]
	v_add_co_u32_e64 v14, s[0:1], 2, v20
	v_mov_b32_e32 v16, s29
	v_addc_co_u32_e64 v15, s[0:1], 0, v15, s[0:1]
	v_addc_co_u32_e32 v17, vcc, v17, v16, vcc
	v_add_co_u32_e32 v16, vcc, 2, v18
	s_add_u32 s0, s26, -1
	v_addc_co_u32_e32 v17, vcc, 0, v17, vcc
	s_addc_u32 s1, s27, -1
	s_mov_b64 s[2:3], 0
	s_mov_b64 s[38:39], 0
                                        ; implicit-def: $sgpr36_sgpr37
	s_branch .LBB703_169
.LBB703_167:                            ;   in Loop: Header=BB703_169 Depth=1
	global_load_ushort v18, v[16:17], off
	global_load_ushort v19, v[14:15], off
	v_add_co_u32_e32 v14, vcc, 2, v14
	v_addc_co_u32_e32 v15, vcc, 0, v15, vcc
	v_add_co_u32_e32 v16, vcc, 2, v16
	v_addc_co_u32_e32 v17, vcc, 0, v17, vcc
	s_add_u32 s38, s38, 1
	s_addc_u32 s39, s39, 0
	s_andn2_b64 s[36:37], s[36:37], exec
	s_waitcnt vmcnt(0)
	v_cmp_ne_u16_e32 vcc, v18, v19
	s_and_b64 s[40:41], vcc, exec
	s_or_b64 s[36:37], s[36:37], s[40:41]
.LBB703_168:                            ;   in Loop: Header=BB703_169 Depth=1
	s_and_b64 s[40:41], exec, s[36:37]
	s_or_b64 s[2:3], s[40:41], s[2:3]
	v_pk_mov_b32 v[18:19], s[38:39], s[38:39] op_sel:[0,1]
	s_andn2_b64 exec, exec, s[2:3]
	s_cbranch_execz .LBB703_171
.LBB703_169:                            ; =>This Inner Loop Header: Depth=1
	s_or_b64 s[36:37], s[36:37], exec
	s_cmp_eq_u64 s[0:1], s[38:39]
	s_cbranch_scc0 .LBB703_167
; %bb.170:                              ;   in Loop: Header=BB703_169 Depth=1
                                        ; implicit-def: $vgpr14_vgpr15
                                        ; implicit-def: $vgpr16_vgpr17
	s_mov_b64 s[38:39], s[26:27]
	s_branch .LBB703_168
.LBB703_171:
	s_or_b64 exec, exec, s[2:3]
	v_cmp_gt_i64_e32 vcc, s[26:27], v[18:19]
	s_orn2_b64 s[36:37], vcc, exec
.LBB703_172:
	s_or_b64 exec, exec, s[18:19]
.LBB703_173:
	v_perm_b32 v16, v12, v12, s33
	s_and_b64 s[18:19], s[36:37], exec
	s_or_b64 s[12:13], s[12:13], exec
.LBB703_174:
	s_or_b64 exec, exec, s[8:9]
	s_branch .LBB703_233
.LBB703_175:
	v_cmp_gt_u32_e32 vcc, s7, v23
	s_mov_b64 s[18:19], 0
	s_mov_b64 s[8:9], 0
	s_and_saveexec_b64 s[36:37], vcc
	s_cbranch_execz .LBB703_186
; %bb.176:
	s_andn2_b64 vcc, exec, s[14:15]
	s_mov_b64 s[38:39], 0
	s_cbranch_vccnz .LBB703_185
; %bb.177:
	v_mul_lo_u32 v14, v5, s26
	v_mul_lo_u32 v15, v4, s27
	v_mad_u64_u32 v[12:13], s[0:1], v4, s26, 0
	v_add3_u32 v13, v13, v15, v14
	v_mul_lo_u32 v14, v11, s26
	v_mul_lo_u32 v15, v10, s27
	v_mad_u64_u32 v[18:19], s[0:1], v10, s26, 0
	v_add3_u32 v19, v19, v15, v14
	v_lshlrev_b64 v[14:15], 1, v[12:13]
	v_mov_b32_e32 v12, s29
	v_add_co_u32_e32 v16, vcc, s28, v14
	v_addc_co_u32_e64 v17, s[0:1], v12, v15, vcc
	v_lshlrev_b64 v[12:13], 1, v[18:19]
	v_mov_b32_e32 v14, s29
	v_add_co_u32_e64 v18, s[0:1], s28, v12
	v_addc_co_u32_e64 v19, s[2:3], v14, v13, s[0:1]
	global_load_ushort v12, v[16:17], off
	global_load_ushort v14, v[18:19], off
	s_mov_b64 s[38:39], -1
	s_waitcnt vmcnt(0)
	v_cmp_eq_u16_e64 s[2:3], v12, v14
	s_and_saveexec_b64 s[8:9], s[2:3]
	s_cbranch_execz .LBB703_184
; %bb.178:
	v_mov_b32_e32 v12, s29
	v_addc_co_u32_e64 v13, s[0:1], v13, v12, s[0:1]
	v_add_co_u32_e64 v12, s[0:1], 2, v18
	v_mov_b32_e32 v14, s29
	v_addc_co_u32_e64 v13, s[0:1], 0, v13, s[0:1]
	v_addc_co_u32_e32 v15, vcc, v15, v14, vcc
	v_add_co_u32_e32 v14, vcc, 2, v16
	s_add_u32 s0, s26, -1
	v_addc_co_u32_e32 v15, vcc, 0, v15, vcc
	s_addc_u32 s1, s27, -1
	s_mov_b64 s[2:3], 0
	s_mov_b64 s[40:41], 0
                                        ; implicit-def: $sgpr38_sgpr39
	s_branch .LBB703_181
.LBB703_179:                            ;   in Loop: Header=BB703_181 Depth=1
	global_load_ushort v16, v[14:15], off
	global_load_ushort v17, v[12:13], off
	v_add_co_u32_e32 v12, vcc, 2, v12
	v_addc_co_u32_e32 v13, vcc, 0, v13, vcc
	v_add_co_u32_e32 v14, vcc, 2, v14
	v_addc_co_u32_e32 v15, vcc, 0, v15, vcc
	s_add_u32 s40, s40, 1
	s_addc_u32 s41, s41, 0
	s_andn2_b64 s[38:39], s[38:39], exec
	s_waitcnt vmcnt(0)
	v_cmp_ne_u16_e32 vcc, v16, v17
	s_and_b64 s[42:43], vcc, exec
	s_or_b64 s[38:39], s[38:39], s[42:43]
.LBB703_180:                            ;   in Loop: Header=BB703_181 Depth=1
	s_and_b64 s[42:43], exec, s[38:39]
	s_or_b64 s[2:3], s[42:43], s[2:3]
	v_pk_mov_b32 v[16:17], s[40:41], s[40:41] op_sel:[0,1]
	s_andn2_b64 exec, exec, s[2:3]
	s_cbranch_execz .LBB703_183
.LBB703_181:                            ; =>This Inner Loop Header: Depth=1
	s_or_b64 s[38:39], s[38:39], exec
	s_cmp_eq_u64 s[0:1], s[40:41]
	s_cbranch_scc0 .LBB703_179
; %bb.182:                              ;   in Loop: Header=BB703_181 Depth=1
                                        ; implicit-def: $vgpr12_vgpr13
                                        ; implicit-def: $vgpr14_vgpr15
	s_mov_b64 s[40:41], s[26:27]
	s_branch .LBB703_180
.LBB703_183:
	s_or_b64 exec, exec, s[2:3]
	v_cmp_gt_i64_e32 vcc, s[26:27], v[16:17]
	s_orn2_b64 s[38:39], vcc, exec
.LBB703_184:
	s_or_b64 exec, exec, s[8:9]
.LBB703_185:
	s_and_b64 s[8:9], s[38:39], exec
.LBB703_186:
	s_or_b64 exec, exec, s[36:37]
	v_cmp_gt_u32_e32 vcc, s7, v25
	s_and_saveexec_b64 s[36:37], vcc
	s_cbranch_execz .LBB703_197
; %bb.187:
	s_andn2_b64 vcc, exec, s[14:15]
	s_mov_b64 s[38:39], 0
	s_cbranch_vccnz .LBB703_196
; %bb.188:
	v_mul_lo_u32 v14, v3, s26
	v_mul_lo_u32 v15, v2, s27
	v_mad_u64_u32 v[12:13], s[0:1], v2, s26, 0
	v_add3_u32 v13, v13, v15, v14
	v_mul_lo_u32 v14, v5, s26
	v_mul_lo_u32 v15, v4, s27
	v_mad_u64_u32 v[18:19], s[0:1], v4, s26, 0
	v_add3_u32 v19, v19, v15, v14
	v_lshlrev_b64 v[14:15], 1, v[12:13]
	v_mov_b32_e32 v12, s29
	v_add_co_u32_e32 v16, vcc, s28, v14
	v_addc_co_u32_e64 v17, s[0:1], v12, v15, vcc
	v_lshlrev_b64 v[12:13], 1, v[18:19]
	v_mov_b32_e32 v14, s29
	v_add_co_u32_e64 v18, s[0:1], s28, v12
	v_addc_co_u32_e64 v19, s[2:3], v14, v13, s[0:1]
	global_load_ushort v12, v[16:17], off
	global_load_ushort v14, v[18:19], off
	s_mov_b64 s[38:39], -1
	s_waitcnt vmcnt(0)
	v_cmp_eq_u16_e64 s[2:3], v12, v14
	s_and_saveexec_b64 s[18:19], s[2:3]
	s_cbranch_execz .LBB703_195
; %bb.189:
	v_mov_b32_e32 v12, s29
	v_addc_co_u32_e64 v13, s[0:1], v13, v12, s[0:1]
	v_add_co_u32_e64 v12, s[0:1], 2, v18
	v_mov_b32_e32 v14, s29
	v_addc_co_u32_e64 v13, s[0:1], 0, v13, s[0:1]
	v_addc_co_u32_e32 v15, vcc, v15, v14, vcc
	v_add_co_u32_e32 v14, vcc, 2, v16
	s_add_u32 s0, s26, -1
	v_addc_co_u32_e32 v15, vcc, 0, v15, vcc
	s_addc_u32 s1, s27, -1
	s_mov_b64 s[2:3], 0
	s_mov_b64 s[40:41], 0
                                        ; implicit-def: $sgpr38_sgpr39
	s_branch .LBB703_192
.LBB703_190:                            ;   in Loop: Header=BB703_192 Depth=1
	global_load_ushort v16, v[14:15], off
	global_load_ushort v17, v[12:13], off
	v_add_co_u32_e32 v12, vcc, 2, v12
	v_addc_co_u32_e32 v13, vcc, 0, v13, vcc
	v_add_co_u32_e32 v14, vcc, 2, v14
	v_addc_co_u32_e32 v15, vcc, 0, v15, vcc
	s_add_u32 s40, s40, 1
	s_addc_u32 s41, s41, 0
	s_andn2_b64 s[38:39], s[38:39], exec
	s_waitcnt vmcnt(0)
	v_cmp_ne_u16_e32 vcc, v16, v17
	s_and_b64 s[42:43], vcc, exec
	s_or_b64 s[38:39], s[38:39], s[42:43]
.LBB703_191:                            ;   in Loop: Header=BB703_192 Depth=1
	s_and_b64 s[42:43], exec, s[38:39]
	s_or_b64 s[2:3], s[42:43], s[2:3]
	v_pk_mov_b32 v[16:17], s[40:41], s[40:41] op_sel:[0,1]
	s_andn2_b64 exec, exec, s[2:3]
	s_cbranch_execz .LBB703_194
.LBB703_192:                            ; =>This Inner Loop Header: Depth=1
	s_or_b64 s[38:39], s[38:39], exec
	s_cmp_eq_u64 s[0:1], s[40:41]
	s_cbranch_scc0 .LBB703_190
; %bb.193:                              ;   in Loop: Header=BB703_192 Depth=1
                                        ; implicit-def: $vgpr12_vgpr13
                                        ; implicit-def: $vgpr14_vgpr15
	s_mov_b64 s[40:41], s[26:27]
	s_branch .LBB703_191
.LBB703_194:
	s_or_b64 exec, exec, s[2:3]
	v_cmp_gt_i64_e32 vcc, s[26:27], v[16:17]
	s_orn2_b64 s[38:39], vcc, exec
.LBB703_195:
	s_or_b64 exec, exec, s[18:19]
.LBB703_196:
	s_and_b64 s[18:19], s[38:39], exec
.LBB703_197:
	s_or_b64 exec, exec, s[36:37]
	v_cmp_gt_u32_e32 vcc, s7, v22
	s_mov_b64 s[36:37], 0
	s_mov_b64 s[38:39], 0
	s_and_saveexec_b64 s[40:41], vcc
	s_cbranch_execz .LBB703_208
; %bb.198:
	s_andn2_b64 vcc, exec, s[14:15]
	s_mov_b64 s[42:43], 0
	s_cbranch_vccnz .LBB703_207
; %bb.199:
	v_mul_lo_u32 v14, v9, s26
	v_mul_lo_u32 v15, v8, s27
	v_mad_u64_u32 v[12:13], s[0:1], v8, s26, 0
	v_add3_u32 v13, v13, v15, v14
	v_mul_lo_u32 v14, v3, s26
	v_mul_lo_u32 v15, v2, s27
	v_mad_u64_u32 v[18:19], s[0:1], v2, s26, 0
	v_add3_u32 v19, v19, v15, v14
	v_lshlrev_b64 v[14:15], 1, v[12:13]
	v_mov_b32_e32 v12, s29
	v_add_co_u32_e32 v16, vcc, s28, v14
	v_addc_co_u32_e64 v17, s[0:1], v12, v15, vcc
	v_lshlrev_b64 v[12:13], 1, v[18:19]
	v_mov_b32_e32 v14, s29
	v_add_co_u32_e64 v18, s[0:1], s28, v12
	v_addc_co_u32_e64 v19, s[2:3], v14, v13, s[0:1]
	global_load_ushort v12, v[16:17], off
	global_load_ushort v14, v[18:19], off
	s_mov_b64 s[42:43], -1
	s_waitcnt vmcnt(0)
	v_cmp_eq_u16_e64 s[2:3], v12, v14
	s_and_saveexec_b64 s[38:39], s[2:3]
	s_cbranch_execz .LBB703_206
; %bb.200:
	v_mov_b32_e32 v12, s29
	v_addc_co_u32_e64 v13, s[0:1], v13, v12, s[0:1]
	v_add_co_u32_e64 v12, s[0:1], 2, v18
	v_mov_b32_e32 v14, s29
	v_addc_co_u32_e64 v13, s[0:1], 0, v13, s[0:1]
	v_addc_co_u32_e32 v15, vcc, v15, v14, vcc
	v_add_co_u32_e32 v14, vcc, 2, v16
	s_add_u32 s0, s26, -1
	v_addc_co_u32_e32 v15, vcc, 0, v15, vcc
	s_addc_u32 s1, s27, -1
	s_mov_b64 s[2:3], 0
	s_mov_b64 s[44:45], 0
                                        ; implicit-def: $sgpr42_sgpr43
	s_branch .LBB703_203
.LBB703_201:                            ;   in Loop: Header=BB703_203 Depth=1
	global_load_ushort v16, v[14:15], off
	global_load_ushort v17, v[12:13], off
	v_add_co_u32_e32 v12, vcc, 2, v12
	v_addc_co_u32_e32 v13, vcc, 0, v13, vcc
	v_add_co_u32_e32 v14, vcc, 2, v14
	v_addc_co_u32_e32 v15, vcc, 0, v15, vcc
	s_add_u32 s44, s44, 1
	s_addc_u32 s45, s45, 0
	s_andn2_b64 s[42:43], s[42:43], exec
	s_waitcnt vmcnt(0)
	v_cmp_ne_u16_e32 vcc, v16, v17
	s_and_b64 s[46:47], vcc, exec
	s_or_b64 s[42:43], s[42:43], s[46:47]
.LBB703_202:                            ;   in Loop: Header=BB703_203 Depth=1
	s_and_b64 s[46:47], exec, s[42:43]
	s_or_b64 s[2:3], s[46:47], s[2:3]
	v_pk_mov_b32 v[16:17], s[44:45], s[44:45] op_sel:[0,1]
	s_andn2_b64 exec, exec, s[2:3]
	s_cbranch_execz .LBB703_205
.LBB703_203:                            ; =>This Inner Loop Header: Depth=1
	s_or_b64 s[42:43], s[42:43], exec
	s_cmp_eq_u64 s[0:1], s[44:45]
	s_cbranch_scc0 .LBB703_201
; %bb.204:                              ;   in Loop: Header=BB703_203 Depth=1
                                        ; implicit-def: $vgpr12_vgpr13
                                        ; implicit-def: $vgpr14_vgpr15
	s_mov_b64 s[44:45], s[26:27]
	s_branch .LBB703_202
.LBB703_205:
	s_or_b64 exec, exec, s[2:3]
	v_cmp_gt_i64_e32 vcc, s[26:27], v[16:17]
	s_orn2_b64 s[42:43], vcc, exec
.LBB703_206:
	s_or_b64 exec, exec, s[38:39]
.LBB703_207:
	s_and_b64 s[38:39], s[42:43], exec
.LBB703_208:
	s_or_b64 exec, exec, s[40:41]
	v_cmp_gt_u32_e32 vcc, s7, v24
	s_and_saveexec_b64 s[40:41], vcc
	s_cbranch_execz .LBB703_219
; %bb.209:
	s_andn2_b64 vcc, exec, s[14:15]
	s_mov_b64 s[42:43], 0
	s_cbranch_vccnz .LBB703_218
; %bb.210:
	v_mul_lo_u32 v14, v7, s26
	v_mul_lo_u32 v15, v6, s27
	v_mad_u64_u32 v[12:13], s[0:1], v6, s26, 0
	v_add3_u32 v13, v13, v15, v14
	v_mul_lo_u32 v14, v9, s26
	v_mul_lo_u32 v15, v8, s27
	v_mad_u64_u32 v[18:19], s[0:1], v8, s26, 0
	v_add3_u32 v19, v19, v15, v14
	v_lshlrev_b64 v[14:15], 1, v[12:13]
	v_mov_b32_e32 v12, s29
	v_add_co_u32_e32 v16, vcc, s28, v14
	v_addc_co_u32_e64 v17, s[0:1], v12, v15, vcc
	v_lshlrev_b64 v[12:13], 1, v[18:19]
	v_mov_b32_e32 v14, s29
	v_add_co_u32_e64 v18, s[0:1], s28, v12
	v_addc_co_u32_e64 v19, s[2:3], v14, v13, s[0:1]
	global_load_ushort v12, v[16:17], off
	global_load_ushort v14, v[18:19], off
	s_mov_b64 s[42:43], -1
	s_waitcnt vmcnt(0)
	v_cmp_eq_u16_e64 s[2:3], v12, v14
	s_and_saveexec_b64 s[36:37], s[2:3]
	s_cbranch_execz .LBB703_217
; %bb.211:
	v_mov_b32_e32 v12, s29
	v_addc_co_u32_e64 v13, s[0:1], v13, v12, s[0:1]
	v_add_co_u32_e64 v12, s[0:1], 2, v18
	v_mov_b32_e32 v14, s29
	v_addc_co_u32_e64 v13, s[0:1], 0, v13, s[0:1]
	v_addc_co_u32_e32 v15, vcc, v15, v14, vcc
	v_add_co_u32_e32 v14, vcc, 2, v16
	s_add_u32 s0, s26, -1
	v_addc_co_u32_e32 v15, vcc, 0, v15, vcc
	s_addc_u32 s1, s27, -1
	s_mov_b64 s[2:3], 0
	s_mov_b64 s[44:45], 0
                                        ; implicit-def: $sgpr42_sgpr43
	s_branch .LBB703_214
.LBB703_212:                            ;   in Loop: Header=BB703_214 Depth=1
	global_load_ushort v16, v[14:15], off
	global_load_ushort v17, v[12:13], off
	v_add_co_u32_e32 v12, vcc, 2, v12
	v_addc_co_u32_e32 v13, vcc, 0, v13, vcc
	v_add_co_u32_e32 v14, vcc, 2, v14
	v_addc_co_u32_e32 v15, vcc, 0, v15, vcc
	s_add_u32 s44, s44, 1
	s_addc_u32 s45, s45, 0
	s_andn2_b64 s[42:43], s[42:43], exec
	s_waitcnt vmcnt(0)
	v_cmp_ne_u16_e32 vcc, v16, v17
	s_and_b64 s[46:47], vcc, exec
	s_or_b64 s[42:43], s[42:43], s[46:47]
.LBB703_213:                            ;   in Loop: Header=BB703_214 Depth=1
	s_and_b64 s[46:47], exec, s[42:43]
	s_or_b64 s[2:3], s[46:47], s[2:3]
	v_pk_mov_b32 v[16:17], s[44:45], s[44:45] op_sel:[0,1]
	s_andn2_b64 exec, exec, s[2:3]
	s_cbranch_execz .LBB703_216
.LBB703_214:                            ; =>This Inner Loop Header: Depth=1
	s_or_b64 s[42:43], s[42:43], exec
	s_cmp_eq_u64 s[0:1], s[44:45]
	s_cbranch_scc0 .LBB703_212
; %bb.215:                              ;   in Loop: Header=BB703_214 Depth=1
                                        ; implicit-def: $vgpr12_vgpr13
                                        ; implicit-def: $vgpr14_vgpr15
	s_mov_b64 s[44:45], s[26:27]
	s_branch .LBB703_213
.LBB703_216:
	s_or_b64 exec, exec, s[2:3]
	v_cmp_gt_i64_e32 vcc, s[26:27], v[16:17]
	s_orn2_b64 s[42:43], vcc, exec
.LBB703_217:
	s_or_b64 exec, exec, s[36:37]
.LBB703_218:
	s_and_b64 s[36:37], s[42:43], exec
.LBB703_219:
	s_or_b64 exec, exec, s[40:41]
	v_cndmask_b32_e64 v13, 0, 1, s[18:19]
	v_cndmask_b32_e64 v14, 0, 1, s[36:37]
	;; [unrolled: 1-line block ×3, first 2 shown]
	v_lshlrev_b16_e32 v14, 8, v14
	v_lshlrev_b16_e32 v13, 8, v13
	v_or_b32_e32 v14, 1, v14
	v_or_b32_sdwa v12, v12, v13 dst_sel:WORD_1 dst_unused:UNUSED_PAD src0_sel:DWORD src1_sel:DWORD
	v_or_b32_sdwa v12, v14, v12 dst_sel:DWORD dst_unused:UNUSED_PAD src0_sel:WORD_0 src1_sel:DWORD
	v_cndmask_b32_e64 v13, 0, 1, s[8:9]
	v_cmp_ne_u32_e32 vcc, 0, v0
	s_waitcnt lgkmcnt(0)
	s_barrier
	s_waitcnt lgkmcnt(0)
                                        ; implicit-def: $sgpr18_sgpr19
                                        ; implicit-def: $vgpr16
	s_and_saveexec_b64 s[8:9], vcc
	s_cbranch_execz .LBB703_232
; %bb.220:
	v_cmp_gt_u32_e32 vcc, s7, v1
	s_mov_b32 s33, 0x3020104
	s_mov_b64 s[0:1], 0
	s_and_saveexec_b64 s[18:19], vcc
	s_cbranch_execz .LBB703_231
; %bb.221:
	s_andn2_b64 vcc, exec, s[14:15]
	s_mov_b64 s[36:37], 0
	s_cbranch_vccnz .LBB703_230
; %bb.222:
	v_add_u32_e32 v14, -8, v26
	ds_read_b64 v[14:15], v14
	v_mul_lo_u32 v16, v7, s26
	v_mad_u64_u32 v[20:21], s[0:1], v6, s26, 0
	s_mov_b64 s[36:37], -1
	s_waitcnt lgkmcnt(0)
	v_mul_lo_u32 v17, v15, s26
	v_mul_lo_u32 v18, v14, s27
	v_mad_u64_u32 v[14:15], s[0:1], v14, s26, 0
	v_add3_u32 v15, v15, v18, v17
	v_mul_lo_u32 v17, v6, s27
	v_add3_u32 v21, v21, v17, v16
	v_lshlrev_b64 v[16:17], 1, v[14:15]
	v_mov_b32_e32 v14, s29
	v_add_co_u32_e32 v18, vcc, s28, v16
	v_addc_co_u32_e64 v19, s[0:1], v14, v17, vcc
	v_lshlrev_b64 v[14:15], 1, v[20:21]
	v_mov_b32_e32 v16, s29
	v_add_co_u32_e64 v20, s[0:1], s28, v14
	v_addc_co_u32_e64 v21, s[2:3], v16, v15, s[0:1]
	global_load_ushort v14, v[18:19], off
	global_load_ushort v16, v[20:21], off
	s_waitcnt vmcnt(0)
	v_cmp_eq_u16_e64 s[2:3], v14, v16
	s_and_saveexec_b64 s[14:15], s[2:3]
	s_cbranch_execz .LBB703_229
; %bb.223:
	v_mov_b32_e32 v14, s29
	v_addc_co_u32_e64 v15, s[0:1], v15, v14, s[0:1]
	v_add_co_u32_e64 v14, s[0:1], 2, v20
	v_mov_b32_e32 v16, s29
	v_addc_co_u32_e64 v15, s[0:1], 0, v15, s[0:1]
	v_addc_co_u32_e32 v17, vcc, v17, v16, vcc
	v_add_co_u32_e32 v16, vcc, 2, v18
	s_add_u32 s0, s26, -1
	v_addc_co_u32_e32 v17, vcc, 0, v17, vcc
	s_addc_u32 s1, s27, -1
	s_mov_b64 s[2:3], 0
	s_mov_b64 s[36:37], 0
                                        ; implicit-def: $sgpr28_sgpr29
	s_branch .LBB703_226
.LBB703_224:                            ;   in Loop: Header=BB703_226 Depth=1
	global_load_ushort v18, v[16:17], off
	global_load_ushort v19, v[14:15], off
	v_add_co_u32_e32 v14, vcc, 2, v14
	v_addc_co_u32_e32 v15, vcc, 0, v15, vcc
	v_add_co_u32_e32 v16, vcc, 2, v16
	v_addc_co_u32_e32 v17, vcc, 0, v17, vcc
	s_add_u32 s36, s36, 1
	s_addc_u32 s37, s37, 0
	s_andn2_b64 s[28:29], s[28:29], exec
	s_waitcnt vmcnt(0)
	v_cmp_ne_u16_e32 vcc, v18, v19
	s_and_b64 s[38:39], vcc, exec
	s_or_b64 s[28:29], s[28:29], s[38:39]
.LBB703_225:                            ;   in Loop: Header=BB703_226 Depth=1
	s_and_b64 s[38:39], exec, s[28:29]
	s_or_b64 s[2:3], s[38:39], s[2:3]
	v_pk_mov_b32 v[18:19], s[36:37], s[36:37] op_sel:[0,1]
	s_andn2_b64 exec, exec, s[2:3]
	s_cbranch_execz .LBB703_228
.LBB703_226:                            ; =>This Inner Loop Header: Depth=1
	s_or_b64 s[28:29], s[28:29], exec
	s_cmp_eq_u64 s[0:1], s[36:37]
	s_cbranch_scc0 .LBB703_224
; %bb.227:                              ;   in Loop: Header=BB703_226 Depth=1
                                        ; implicit-def: $vgpr14_vgpr15
                                        ; implicit-def: $vgpr16_vgpr17
	s_mov_b64 s[36:37], s[26:27]
	s_branch .LBB703_225
.LBB703_228:
	s_or_b64 exec, exec, s[2:3]
	v_cmp_gt_i64_e32 vcc, s[26:27], v[18:19]
	s_orn2_b64 s[36:37], vcc, exec
.LBB703_229:
	s_or_b64 exec, exec, s[14:15]
.LBB703_230:
	s_and_b64 s[0:1], s[36:37], exec
.LBB703_231:
	s_or_b64 exec, exec, s[18:19]
	v_perm_b32 v16, v12, v12, s33
	s_and_b64 s[18:19], s[0:1], exec
	s_or_b64 s[12:13], s[12:13], exec
.LBB703_232:
	s_or_b64 exec, exec, s[8:9]
.LBB703_233:
	s_and_saveexec_b64 s[0:1], s[12:13]
	s_cbranch_execz .LBB703_235
; %bb.234:
	v_lshrrev_b32_e32 v14, 24, v16
	s_movk_i32 s2, 0xff
	v_lshlrev_b16_e32 v14, 8, v14
	v_and_b32_sdwa v15, v16, s2 dst_sel:DWORD dst_unused:UNUSED_PAD src0_sel:WORD_1 src1_sel:DWORD
	v_or_b32_sdwa v14, v15, v14 dst_sel:WORD_1 dst_unused:UNUSED_PAD src0_sel:DWORD src1_sel:DWORD
	v_mov_b32_e32 v15, 8
	v_cndmask_b32_e64 v12, 0, 1, s[18:19]
	v_lshrrev_b32_sdwa v15, v15, v16 dst_sel:BYTE_1 dst_unused:UNUSED_PAD src0_sel:DWORD src1_sel:DWORD
	v_or_b32_e32 v12, v12, v15
	s_mov_b32 s2, 0xffff
	v_or_b32_sdwa v12, v12, v14 dst_sel:DWORD dst_unused:UNUSED_PAD src0_sel:WORD_0 src1_sel:DWORD
	v_and_b32_sdwa v13, s2, v13 dst_sel:DWORD dst_unused:UNUSED_PAD src0_sel:DWORD src1_sel:BYTE_0
.LBB703_235:
	s_or_b64 exec, exec, s[0:1]
	s_andn2_b64 vcc, exec, s[10:11]
	s_cbranch_vccnz .LBB703_237
; %bb.236:
	v_cmp_gt_u32_e32 vcc, s7, v1
	v_cndmask_b32_e32 v1, 0, v12, vcc
	v_and_b32_e32 v1, 0xffff00ff, v1
	v_cmp_gt_u32_e64 s[0:1], s7, v24
	v_cndmask_b32_e64 v1, v1, v12, s[0:1]
	v_lshrrev_b32_e32 v14, 24, v1
	s_mov_b32 s2, 0x40c0100
	v_perm_b32 v1, v14, v1, s2
	v_cmp_gt_u32_e64 s[2:3], s7, v22
	v_cmp_gt_u32_e64 s[8:9], s7, v25
	v_cndmask_b32_e64 v1, v1, v12, s[2:3]
	s_or_b64 s[2:3], s[8:9], s[2:3]
	s_or_b64 s[0:1], s[2:3], s[0:1]
	s_or_b64 vcc, s[0:1], vcc
	v_and_b32_e32 v1, 0xffffff, v1
	v_cndmask_b32_e32 v14, 0, v13, vcc
	v_cndmask_b32_e64 v1, v1, v12, s[8:9]
	v_and_b32_e32 v14, 0xffffff00, v14
	v_cmp_gt_u32_e32 vcc, s7, v23
	v_cndmask_b32_e32 v1, v1, v12, vcc
	v_cndmask_b32_e32 v12, v14, v13, vcc
	s_mov_b32 s0, 0x3020104
	v_and_b32_e32 v13, 0xff, v12
	v_perm_b32 v12, v1, v1, s0
.LBB703_237:
	v_and_b32_e32 v1, 0xff, v12
	v_bfe_u32 v25, v12, 8, 8
	v_bfe_u32 v27, v12, 16, 8
	v_alignbit_b32 v14, v13, v12, 24
	v_and_b32_e32 v28, 0xff, v14
	v_and_b32_e32 v14, 0xff, v13
	v_add3_u32 v15, v25, v1, v27
	v_add3_u32 v31, v15, v28, v14
	v_mbcnt_lo_u32_b32 v14, -1, 0
	v_mbcnt_hi_u32_b32 v29, -1, v14
	v_and_b32_e32 v14, 15, v29
	v_cmp_eq_u32_e64 s[14:15], 0, v14
	v_cmp_lt_u32_e64 s[12:13], 1, v14
	v_cmp_lt_u32_e64 s[10:11], 3, v14
	;; [unrolled: 1-line block ×3, first 2 shown]
	v_and_b32_e32 v14, 16, v29
	v_cmp_eq_u32_e64 s[18:19], 0, v14
	v_or_b32_e32 v14, 63, v0
	v_cmp_lt_u32_e64 s[0:1], 31, v29
	v_lshrrev_b32_e32 v30, 6, v0
	v_cmp_eq_u32_e64 s[2:3], v14, v0
	s_and_b64 vcc, exec, s[16:17]
	s_waitcnt lgkmcnt(0)
	s_barrier
	s_cbranch_vccz .LBB703_268
; %bb.238:
	v_mov_b32_dpp v14, v31 row_shr:1 row_mask:0xf bank_mask:0xf
	v_cndmask_b32_e64 v14, v14, 0, s[14:15]
	v_add_u32_e32 v14, v14, v31
	s_nop 1
	v_mov_b32_dpp v15, v14 row_shr:2 row_mask:0xf bank_mask:0xf
	v_cndmask_b32_e64 v15, 0, v15, s[12:13]
	v_add_u32_e32 v14, v14, v15
	s_nop 1
	;; [unrolled: 4-line block ×4, first 2 shown]
	v_mov_b32_dpp v15, v14 row_bcast:15 row_mask:0xf bank_mask:0xf
	v_cndmask_b32_e64 v15, v15, 0, s[18:19]
	v_add_u32_e32 v14, v14, v15
	s_nop 1
	v_mov_b32_dpp v15, v14 row_bcast:31 row_mask:0xf bank_mask:0xf
	v_cndmask_b32_e64 v15, 0, v15, s[0:1]
	v_add_u32_e32 v14, v14, v15
	s_and_saveexec_b64 s[16:17], s[2:3]
	s_cbranch_execz .LBB703_240
; %bb.239:
	v_lshlrev_b32_e32 v15, 2, v30
	ds_write_b32 v15, v14
.LBB703_240:
	s_or_b64 exec, exec, s[16:17]
	v_cmp_gt_u32_e32 vcc, 4, v0
	s_waitcnt lgkmcnt(0)
	s_barrier
	s_and_saveexec_b64 s[16:17], vcc
	s_cbranch_execz .LBB703_242
; %bb.241:
	v_lshlrev_b32_e32 v15, 2, v0
	ds_read_b32 v16, v15
	v_and_b32_e32 v17, 3, v29
	v_cmp_ne_u32_e32 vcc, 0, v17
	s_waitcnt lgkmcnt(0)
	v_mov_b32_dpp v18, v16 row_shr:1 row_mask:0xf bank_mask:0xf
	v_cndmask_b32_e32 v18, 0, v18, vcc
	v_add_u32_e32 v16, v18, v16
	v_cmp_lt_u32_e32 vcc, 1, v17
	s_nop 0
	v_mov_b32_dpp v18, v16 row_shr:2 row_mask:0xf bank_mask:0xf
	v_cndmask_b32_e32 v17, 0, v18, vcc
	v_add_u32_e32 v16, v16, v17
	ds_write_b32 v15, v16
.LBB703_242:
	s_or_b64 exec, exec, s[16:17]
	v_cmp_gt_u32_e32 vcc, 64, v0
	v_cmp_lt_u32_e64 s[16:17], 63, v0
	s_waitcnt lgkmcnt(0)
	s_barrier
	s_waitcnt lgkmcnt(0)
                                        ; implicit-def: $vgpr24
	s_and_saveexec_b64 s[26:27], s[16:17]
	s_cbranch_execz .LBB703_244
; %bb.243:
	v_lshl_add_u32 v15, v30, 2, -4
	ds_read_b32 v24, v15
	s_waitcnt lgkmcnt(0)
	v_add_u32_e32 v14, v24, v14
.LBB703_244:
	s_or_b64 exec, exec, s[26:27]
	v_add_u32_e32 v15, -1, v29
	v_and_b32_e32 v16, 64, v29
	v_cmp_lt_i32_e64 s[16:17], v15, v16
	v_cndmask_b32_e64 v15, v15, v29, s[16:17]
	v_lshlrev_b32_e32 v15, 2, v15
	ds_bpermute_b32 v26, v15, v14
	v_cmp_eq_u32_e64 s[16:17], 0, v29
	s_and_saveexec_b64 s[26:27], vcc
	s_cbranch_execz .LBB703_267
; %bb.245:
	v_mov_b32_e32 v23, 0
	ds_read_b32 v14, v23 offset:12
	s_and_saveexec_b64 s[28:29], s[16:17]
	s_cbranch_execz .LBB703_247
; %bb.246:
	s_add_i32 s36, s6, 64
	s_mov_b32 s37, 0
	s_lshl_b64 s[36:37], s[36:37], 3
	s_add_u32 s36, s30, s36
	v_mov_b32_e32 v15, 1
	s_addc_u32 s37, s31, s37
	s_waitcnt lgkmcnt(0)
	global_store_dwordx2 v23, v[14:15], s[36:37]
.LBB703_247:
	s_or_b64 exec, exec, s[28:29]
	v_xad_u32 v16, v29, -1, s6
	v_add_u32_e32 v22, 64, v16
	v_lshlrev_b64 v[18:19], 3, v[22:23]
	v_mov_b32_e32 v15, s31
	v_add_co_u32_e32 v18, vcc, s30, v18
	v_addc_co_u32_e32 v19, vcc, v15, v19, vcc
	global_load_dwordx2 v[20:21], v[18:19], off glc
	s_waitcnt vmcnt(0)
	v_cmp_eq_u16_sdwa s[36:37], v21, v23 src0_sel:BYTE_0 src1_sel:DWORD
	s_and_saveexec_b64 s[28:29], s[36:37]
	s_cbranch_execz .LBB703_253
; %bb.248:
	s_mov_b32 s7, 1
	s_mov_b64 s[36:37], 0
	v_mov_b32_e32 v15, 0
.LBB703_249:                            ; =>This Loop Header: Depth=1
                                        ;     Child Loop BB703_250 Depth 2
	s_max_u32 s33, s7, 1
.LBB703_250:                            ;   Parent Loop BB703_249 Depth=1
                                        ; =>  This Inner Loop Header: Depth=2
	s_add_i32 s33, s33, -1
	s_cmp_eq_u32 s33, 0
	s_sleep 1
	s_cbranch_scc0 .LBB703_250
; %bb.251:                              ;   in Loop: Header=BB703_249 Depth=1
	global_load_dwordx2 v[20:21], v[18:19], off glc
	s_cmp_lt_u32 s7, 32
	s_cselect_b64 s[38:39], -1, 0
	s_cmp_lg_u64 s[38:39], 0
	s_addc_u32 s7, s7, 0
	s_waitcnt vmcnt(0)
	v_cmp_ne_u16_sdwa s[38:39], v21, v15 src0_sel:BYTE_0 src1_sel:DWORD
	s_or_b64 s[36:37], s[38:39], s[36:37]
	s_andn2_b64 exec, exec, s[36:37]
	s_cbranch_execnz .LBB703_249
; %bb.252:
	s_or_b64 exec, exec, s[36:37]
.LBB703_253:
	s_or_b64 exec, exec, s[28:29]
	v_and_b32_e32 v32, 63, v29
	v_mov_b32_e32 v15, 2
	v_cmp_ne_u32_e32 vcc, 63, v32
	v_cmp_eq_u16_sdwa s[28:29], v21, v15 src0_sel:BYTE_0 src1_sel:DWORD
	v_lshlrev_b64 v[18:19], v29, -1
	v_addc_co_u32_e32 v23, vcc, 0, v29, vcc
	v_and_b32_e32 v17, s29, v19
	v_lshlrev_b32_e32 v33, 2, v23
	v_or_b32_e32 v17, 0x80000000, v17
	ds_bpermute_b32 v23, v33, v20
	v_and_b32_e32 v22, s28, v18
	v_ffbl_b32_e32 v17, v17
	v_add_u32_e32 v17, 32, v17
	v_ffbl_b32_e32 v22, v22
	v_min_u32_e32 v17, v22, v17
	v_cmp_lt_u32_e32 vcc, v32, v17
	s_waitcnt lgkmcnt(0)
	v_cndmask_b32_e32 v22, 0, v23, vcc
	v_cmp_gt_u32_e32 vcc, 62, v32
	v_add_u32_e32 v20, v22, v20
	v_cndmask_b32_e64 v22, 0, 1, vcc
	v_lshlrev_b32_e32 v22, 1, v22
	v_add_lshl_u32 v34, v22, v29, 2
	ds_bpermute_b32 v22, v34, v20
	v_add_u32_e32 v35, 2, v32
	v_cmp_le_u32_e32 vcc, v35, v17
	v_add_u32_e32 v37, 4, v32
	v_add_u32_e32 v39, 8, v32
	s_waitcnt lgkmcnt(0)
	v_cndmask_b32_e32 v22, 0, v22, vcc
	v_cmp_gt_u32_e32 vcc, 60, v32
	v_add_u32_e32 v20, v20, v22
	v_cndmask_b32_e64 v22, 0, 1, vcc
	v_lshlrev_b32_e32 v22, 2, v22
	v_add_lshl_u32 v36, v22, v29, 2
	ds_bpermute_b32 v22, v36, v20
	v_cmp_le_u32_e32 vcc, v37, v17
	v_add_u32_e32 v42, 16, v32
	v_add_u32_e32 v44, 32, v32
	s_waitcnt lgkmcnt(0)
	v_cndmask_b32_e32 v22, 0, v22, vcc
	v_cmp_gt_u32_e32 vcc, 56, v32
	v_add_u32_e32 v20, v20, v22
	v_cndmask_b32_e64 v22, 0, 1, vcc
	v_lshlrev_b32_e32 v22, 3, v22
	v_add_lshl_u32 v38, v22, v29, 2
	ds_bpermute_b32 v22, v38, v20
	v_cmp_le_u32_e32 vcc, v39, v17
	s_waitcnt lgkmcnt(0)
	v_cndmask_b32_e32 v22, 0, v22, vcc
	v_cmp_gt_u32_e32 vcc, 48, v32
	v_add_u32_e32 v20, v20, v22
	v_cndmask_b32_e64 v22, 0, 1, vcc
	v_lshlrev_b32_e32 v22, 4, v22
	v_add_lshl_u32 v41, v22, v29, 2
	ds_bpermute_b32 v22, v41, v20
	v_cmp_le_u32_e32 vcc, v42, v17
	;; [unrolled: 9-line block ×3, first 2 shown]
	s_waitcnt lgkmcnt(0)
	v_cndmask_b32_e32 v17, 0, v22, vcc
	v_add_u32_e32 v20, v20, v17
	v_mov_b32_e32 v17, 0
	s_branch .LBB703_255
.LBB703_254:                            ;   in Loop: Header=BB703_255 Depth=1
	s_or_b64 exec, exec, s[28:29]
	v_cmp_eq_u16_sdwa s[28:29], v21, v15 src0_sel:BYTE_0 src1_sel:DWORD
	v_and_b32_e32 v22, s29, v19
	v_or_b32_e32 v22, 0x80000000, v22
	ds_bpermute_b32 v45, v33, v20
	v_and_b32_e32 v23, s28, v18
	v_ffbl_b32_e32 v22, v22
	v_add_u32_e32 v22, 32, v22
	v_ffbl_b32_e32 v23, v23
	v_min_u32_e32 v22, v23, v22
	v_cmp_lt_u32_e32 vcc, v32, v22
	s_waitcnt lgkmcnt(0)
	v_cndmask_b32_e32 v23, 0, v45, vcc
	v_add_u32_e32 v20, v23, v20
	ds_bpermute_b32 v23, v34, v20
	v_cmp_le_u32_e32 vcc, v35, v22
	v_subrev_u32_e32 v16, 64, v16
	s_waitcnt lgkmcnt(0)
	v_cndmask_b32_e32 v23, 0, v23, vcc
	v_add_u32_e32 v20, v20, v23
	ds_bpermute_b32 v23, v36, v20
	v_cmp_le_u32_e32 vcc, v37, v22
	s_waitcnt lgkmcnt(0)
	v_cndmask_b32_e32 v23, 0, v23, vcc
	v_add_u32_e32 v20, v20, v23
	ds_bpermute_b32 v23, v38, v20
	v_cmp_le_u32_e32 vcc, v39, v22
	;; [unrolled: 5-line block ×4, first 2 shown]
	s_waitcnt lgkmcnt(0)
	v_cndmask_b32_e32 v22, 0, v23, vcc
	v_add3_u32 v20, v22, v40, v20
.LBB703_255:                            ; =>This Loop Header: Depth=1
                                        ;     Child Loop BB703_258 Depth 2
                                        ;       Child Loop BB703_259 Depth 3
	v_cmp_ne_u16_sdwa s[28:29], v21, v15 src0_sel:BYTE_0 src1_sel:DWORD
	v_cndmask_b32_e64 v21, 0, 1, s[28:29]
	;;#ASMSTART
	;;#ASMEND
	v_cmp_ne_u32_e32 vcc, 0, v21
	s_cmp_lg_u64 vcc, exec
	v_mov_b32_e32 v40, v20
	s_cbranch_scc1 .LBB703_262
; %bb.256:                              ;   in Loop: Header=BB703_255 Depth=1
	v_lshlrev_b64 v[20:21], 3, v[16:17]
	v_mov_b32_e32 v23, s31
	v_add_co_u32_e32 v22, vcc, s30, v20
	v_addc_co_u32_e32 v23, vcc, v23, v21, vcc
	global_load_dwordx2 v[20:21], v[22:23], off glc
	s_waitcnt vmcnt(0)
	v_cmp_eq_u16_sdwa s[36:37], v21, v17 src0_sel:BYTE_0 src1_sel:DWORD
	s_and_saveexec_b64 s[28:29], s[36:37]
	s_cbranch_execz .LBB703_254
; %bb.257:                              ;   in Loop: Header=BB703_255 Depth=1
	s_mov_b32 s7, 1
	s_mov_b64 s[36:37], 0
.LBB703_258:                            ;   Parent Loop BB703_255 Depth=1
                                        ; =>  This Loop Header: Depth=2
                                        ;       Child Loop BB703_259 Depth 3
	s_max_u32 s33, s7, 1
.LBB703_259:                            ;   Parent Loop BB703_255 Depth=1
                                        ;     Parent Loop BB703_258 Depth=2
                                        ; =>    This Inner Loop Header: Depth=3
	s_add_i32 s33, s33, -1
	s_cmp_eq_u32 s33, 0
	s_sleep 1
	s_cbranch_scc0 .LBB703_259
; %bb.260:                              ;   in Loop: Header=BB703_258 Depth=2
	global_load_dwordx2 v[20:21], v[22:23], off glc
	s_cmp_lt_u32 s7, 32
	s_cselect_b64 s[38:39], -1, 0
	s_cmp_lg_u64 s[38:39], 0
	s_addc_u32 s7, s7, 0
	s_waitcnt vmcnt(0)
	v_cmp_ne_u16_sdwa s[38:39], v21, v17 src0_sel:BYTE_0 src1_sel:DWORD
	s_or_b64 s[36:37], s[38:39], s[36:37]
	s_andn2_b64 exec, exec, s[36:37]
	s_cbranch_execnz .LBB703_258
; %bb.261:                              ;   in Loop: Header=BB703_255 Depth=1
	s_or_b64 exec, exec, s[36:37]
	s_branch .LBB703_254
.LBB703_262:                            ;   in Loop: Header=BB703_255 Depth=1
                                        ; implicit-def: $vgpr20
                                        ; implicit-def: $vgpr21
	s_cbranch_execz .LBB703_255
; %bb.263:
	s_and_saveexec_b64 s[28:29], s[16:17]
	s_cbranch_execz .LBB703_265
; %bb.264:
	s_add_i32 s6, s6, 64
	s_mov_b32 s7, 0
	s_lshl_b64 s[6:7], s[6:7], 3
	s_add_u32 s6, s30, s6
	v_add_u32_e32 v16, v40, v14
	v_mov_b32_e32 v17, 2
	s_addc_u32 s7, s31, s7
	v_mov_b32_e32 v15, 0
	global_store_dwordx2 v15, v[16:17], s[6:7]
	s_movk_i32 s6, 0x2800
	v_add_u32_e64 v15, s6, 0
	ds_write2_b32 v15, v14, v40 offset1:2
.LBB703_265:
	s_or_b64 exec, exec, s[28:29]
	v_cmp_eq_u32_e32 vcc, 0, v0
	s_and_b64 exec, exec, vcc
	s_cbranch_execz .LBB703_267
; %bb.266:
	v_mov_b32_e32 v14, 0
	ds_write_b32 v14, v40 offset:12
.LBB703_267:
	s_or_b64 exec, exec, s[26:27]
	v_mov_b32_e32 v14, 0
	s_waitcnt lgkmcnt(0)
	s_barrier
	ds_read_b32 v14, v14 offset:12
	v_cndmask_b32_e64 v15, v26, v24, s[16:17]
	v_cmp_ne_u32_e32 vcc, 0, v0
	v_cndmask_b32_e32 v15, 0, v15, vcc
	s_movk_i32 s6, 0x2800
	s_waitcnt lgkmcnt(0)
	v_add_u32_e32 v26, v14, v15
	v_add_u32_e64 v14, s6, 0
	s_barrier
	ds_read2_b32 v[14:15], v14 offset1:2
	v_add_u32_e32 v24, v26, v1
	v_add_u32_e32 v22, v24, v25
	;; [unrolled: 1-line block ×4, first 2 shown]
	s_load_dwordx2 s[4:5], s[4:5], 0x28
	v_lshrrev_b64 v[16:17], 24, v[12:13]
	s_branch .LBB703_278
.LBB703_268:
                                        ; implicit-def: $vgpr18
                                        ; implicit-def: $vgpr20
                                        ; implicit-def: $vgpr22
                                        ; implicit-def: $vgpr24
                                        ; implicit-def: $vgpr26
                                        ; implicit-def: $vgpr15
	s_load_dwordx2 s[4:5], s[4:5], 0x28
	v_lshrrev_b64 v[16:17], 24, v[12:13]
	s_cbranch_execz .LBB703_278
; %bb.269:
	s_waitcnt lgkmcnt(0)
	v_mov_b32_dpp v14, v31 row_shr:1 row_mask:0xf bank_mask:0xf
	v_cndmask_b32_e64 v14, v14, 0, s[14:15]
	v_add_u32_e32 v14, v14, v31
	s_nop 1
	v_mov_b32_dpp v15, v14 row_shr:2 row_mask:0xf bank_mask:0xf
	v_cndmask_b32_e64 v15, 0, v15, s[12:13]
	v_add_u32_e32 v14, v14, v15
	s_nop 1
	;; [unrolled: 4-line block ×4, first 2 shown]
	v_mov_b32_dpp v15, v14 row_bcast:15 row_mask:0xf bank_mask:0xf
	v_cndmask_b32_e64 v15, v15, 0, s[18:19]
	v_add_u32_e32 v14, v14, v15
	s_nop 1
	v_mov_b32_dpp v15, v14 row_bcast:31 row_mask:0xf bank_mask:0xf
	v_cndmask_b32_e64 v15, 0, v15, s[0:1]
	v_add_u32_e32 v14, v14, v15
	s_and_saveexec_b64 s[0:1], s[2:3]
	s_cbranch_execz .LBB703_271
; %bb.270:
	v_lshlrev_b32_e32 v15, 2, v30
	ds_write_b32 v15, v14
.LBB703_271:
	s_or_b64 exec, exec, s[0:1]
	v_cmp_gt_u32_e32 vcc, 4, v0
	s_waitcnt lgkmcnt(0)
	s_barrier
	s_and_saveexec_b64 s[0:1], vcc
	s_cbranch_execz .LBB703_273
; %bb.272:
	v_lshlrev_b32_e32 v15, 2, v0
	ds_read_b32 v17, v15
	v_and_b32_e32 v18, 3, v29
	v_cmp_ne_u32_e32 vcc, 0, v18
	s_waitcnt lgkmcnt(0)
	v_mov_b32_dpp v19, v17 row_shr:1 row_mask:0xf bank_mask:0xf
	v_cndmask_b32_e32 v19, 0, v19, vcc
	v_add_u32_e32 v17, v19, v17
	v_cmp_lt_u32_e32 vcc, 1, v18
	s_nop 0
	v_mov_b32_dpp v19, v17 row_shr:2 row_mask:0xf bank_mask:0xf
	v_cndmask_b32_e32 v18, 0, v19, vcc
	v_add_u32_e32 v17, v17, v18
	ds_write_b32 v15, v17
.LBB703_273:
	s_or_b64 exec, exec, s[0:1]
	v_cmp_lt_u32_e32 vcc, 63, v0
	v_mov_b32_e32 v15, 0
	v_mov_b32_e32 v17, 0
	s_waitcnt lgkmcnt(0)
	s_barrier
	s_and_saveexec_b64 s[0:1], vcc
	s_cbranch_execz .LBB703_275
; %bb.274:
	v_lshl_add_u32 v17, v30, 2, -4
	ds_read_b32 v17, v17
.LBB703_275:
	s_or_b64 exec, exec, s[0:1]
	v_add_u32_e32 v18, -1, v29
	v_and_b32_e32 v19, 64, v29
	v_cmp_lt_i32_e32 vcc, v18, v19
	v_cndmask_b32_e32 v18, v18, v29, vcc
	s_waitcnt lgkmcnt(0)
	v_add_u32_e32 v14, v17, v14
	v_lshlrev_b32_e32 v18, 2, v18
	ds_bpermute_b32 v18, v18, v14
	ds_read_b32 v14, v15 offset:12
	v_cmp_eq_u32_e32 vcc, 0, v0
	s_and_saveexec_b64 s[0:1], vcc
	s_cbranch_execz .LBB703_277
; %bb.276:
	v_mov_b32_e32 v19, 0
	v_mov_b32_e32 v15, 2
	s_waitcnt lgkmcnt(0)
	global_store_dwordx2 v19, v[14:15], s[30:31] offset:512
.LBB703_277:
	s_or_b64 exec, exec, s[0:1]
	v_cmp_eq_u32_e64 s[0:1], 0, v29
	s_waitcnt lgkmcnt(1)
	v_cndmask_b32_e64 v17, v18, v17, s[0:1]
	v_cndmask_b32_e64 v26, v17, 0, vcc
	v_add_u32_e32 v24, v26, v1
	v_add_u32_e32 v22, v24, v25
	;; [unrolled: 1-line block ×3, first 2 shown]
	v_mov_b32_e32 v15, 0
	v_add_u32_e32 v18, v20, v28
	s_waitcnt lgkmcnt(0)
	s_barrier
.LBB703_278:
	s_movk_i32 s0, 0x101
	s_waitcnt lgkmcnt(0)
	v_cmp_gt_u32_e32 vcc, s0, v14
	v_lshrrev_b32_e32 v1, 8, v12
	s_mov_b64 s[0:1], -1
	s_cbranch_vccnz .LBB703_282
; %bb.279:
	s_and_b64 vcc, exec, s[0:1]
	s_cbranch_vccnz .LBB703_298
.LBB703_280:
	v_cmp_eq_u32_e32 vcc, 0, v0
	s_and_b64 s[0:1], vcc, s[24:25]
	s_and_saveexec_b64 s[2:3], s[0:1]
	s_cbranch_execnz .LBB703_312
.LBB703_281:
	s_endpgm
.LBB703_282:
	v_add_u32_e32 v17, v15, v14
	v_cmp_lt_u32_e32 vcc, v26, v17
	s_or_b64 s[2:3], s[34:35], vcc
	s_and_saveexec_b64 s[0:1], s[2:3]
	s_cbranch_execz .LBB703_285
; %bb.283:
	v_and_b32_e32 v19, 1, v12
	v_cmp_eq_u32_e32 vcc, 1, v19
	s_and_b64 exec, exec, vcc
	s_cbranch_execz .LBB703_285
; %bb.284:
	s_lshl_b64 s[2:3], s[22:23], 3
	s_add_u32 s2, s4, s2
	v_mov_b32_e32 v27, 0
	s_addc_u32 s3, s5, s3
	v_lshlrev_b64 v[28:29], 3, v[26:27]
	v_mov_b32_e32 v19, s3
	v_add_co_u32_e32 v28, vcc, s2, v28
	v_addc_co_u32_e32 v29, vcc, v19, v29, vcc
	global_store_dwordx2 v[28:29], v[6:7], off
.LBB703_285:
	s_or_b64 exec, exec, s[0:1]
	v_cmp_lt_u32_e32 vcc, v24, v17
	s_or_b64 s[2:3], s[34:35], vcc
	s_and_saveexec_b64 s[0:1], s[2:3]
	s_cbranch_execz .LBB703_288
; %bb.286:
	v_and_b32_e32 v19, 1, v1
	v_cmp_eq_u32_e32 vcc, 1, v19
	s_and_b64 exec, exec, vcc
	s_cbranch_execz .LBB703_288
; %bb.287:
	s_lshl_b64 s[2:3], s[22:23], 3
	s_add_u32 s2, s4, s2
	v_mov_b32_e32 v25, 0
	s_addc_u32 s3, s5, s3
	v_lshlrev_b64 v[28:29], 3, v[24:25]
	v_mov_b32_e32 v19, s3
	v_add_co_u32_e32 v28, vcc, s2, v28
	v_addc_co_u32_e32 v29, vcc, v19, v29, vcc
	global_store_dwordx2 v[28:29], v[8:9], off
.LBB703_288:
	s_or_b64 exec, exec, s[0:1]
	v_cmp_lt_u32_e32 vcc, v22, v17
	s_or_b64 s[2:3], s[34:35], vcc
	s_and_saveexec_b64 s[0:1], s[2:3]
	s_cbranch_execz .LBB703_291
; %bb.289:
	v_mov_b32_e32 v19, 1
	v_and_b32_sdwa v19, v19, v12 dst_sel:DWORD dst_unused:UNUSED_PAD src0_sel:DWORD src1_sel:WORD_1
	v_cmp_eq_u32_e32 vcc, 1, v19
	s_and_b64 exec, exec, vcc
	s_cbranch_execz .LBB703_291
; %bb.290:
	s_lshl_b64 s[2:3], s[22:23], 3
	s_add_u32 s2, s4, s2
	v_mov_b32_e32 v23, 0
	s_addc_u32 s3, s5, s3
	v_lshlrev_b64 v[28:29], 3, v[22:23]
	v_mov_b32_e32 v19, s3
	v_add_co_u32_e32 v28, vcc, s2, v28
	v_addc_co_u32_e32 v29, vcc, v19, v29, vcc
	global_store_dwordx2 v[28:29], v[2:3], off
.LBB703_291:
	s_or_b64 exec, exec, s[0:1]
	v_cmp_lt_u32_e32 vcc, v20, v17
	s_or_b64 s[2:3], s[34:35], vcc
	s_and_saveexec_b64 s[0:1], s[2:3]
	s_cbranch_execz .LBB703_294
; %bb.292:
	v_and_b32_e32 v19, 1, v16
	v_cmp_eq_u32_e32 vcc, 1, v19
	s_and_b64 exec, exec, vcc
	s_cbranch_execz .LBB703_294
; %bb.293:
	s_lshl_b64 s[2:3], s[22:23], 3
	s_add_u32 s2, s4, s2
	v_mov_b32_e32 v21, 0
	s_addc_u32 s3, s5, s3
	v_lshlrev_b64 v[28:29], 3, v[20:21]
	v_mov_b32_e32 v19, s3
	v_add_co_u32_e32 v28, vcc, s2, v28
	v_addc_co_u32_e32 v29, vcc, v19, v29, vcc
	global_store_dwordx2 v[28:29], v[4:5], off
.LBB703_294:
	s_or_b64 exec, exec, s[0:1]
	v_cmp_lt_u32_e32 vcc, v18, v17
	s_or_b64 s[2:3], s[34:35], vcc
	s_and_saveexec_b64 s[0:1], s[2:3]
	s_cbranch_execz .LBB703_297
; %bb.295:
	v_and_b32_e32 v17, 1, v13
	v_cmp_eq_u32_e32 vcc, 1, v17
	s_and_b64 exec, exec, vcc
	s_cbranch_execz .LBB703_297
; %bb.296:
	s_lshl_b64 s[2:3], s[22:23], 3
	s_add_u32 s2, s4, s2
	v_mov_b32_e32 v19, 0
	s_addc_u32 s3, s5, s3
	v_lshlrev_b64 v[28:29], 3, v[18:19]
	v_mov_b32_e32 v17, s3
	v_add_co_u32_e32 v28, vcc, s2, v28
	v_addc_co_u32_e32 v29, vcc, v17, v29, vcc
	global_store_dwordx2 v[28:29], v[10:11], off
.LBB703_297:
	s_or_b64 exec, exec, s[0:1]
	s_branch .LBB703_280
.LBB703_298:
	v_and_b32_e32 v17, 1, v12
	v_cmp_eq_u32_e32 vcc, 1, v17
	s_and_saveexec_b64 s[0:1], vcc
	s_cbranch_execz .LBB703_300
; %bb.299:
	v_sub_u32_e32 v17, v26, v15
	v_lshlrev_b32_e32 v17, 3, v17
	ds_write_b64 v17, v[6:7]
.LBB703_300:
	s_or_b64 exec, exec, s[0:1]
	v_and_b32_e32 v1, 1, v1
	v_cmp_eq_u32_e32 vcc, 1, v1
	s_and_saveexec_b64 s[0:1], vcc
	s_cbranch_execz .LBB703_302
; %bb.301:
	v_sub_u32_e32 v1, v24, v15
	v_lshlrev_b32_e32 v1, 3, v1
	ds_write_b64 v1, v[8:9]
.LBB703_302:
	s_or_b64 exec, exec, s[0:1]
	v_mov_b32_e32 v1, 1
	v_and_b32_sdwa v1, v1, v12 dst_sel:DWORD dst_unused:UNUSED_PAD src0_sel:DWORD src1_sel:WORD_1
	v_cmp_eq_u32_e32 vcc, 1, v1
	s_and_saveexec_b64 s[0:1], vcc
	s_cbranch_execz .LBB703_304
; %bb.303:
	v_sub_u32_e32 v1, v22, v15
	v_lshlrev_b32_e32 v1, 3, v1
	ds_write_b64 v1, v[2:3]
.LBB703_304:
	s_or_b64 exec, exec, s[0:1]
	v_and_b32_e32 v1, 1, v16
	v_cmp_eq_u32_e32 vcc, 1, v1
	s_and_saveexec_b64 s[0:1], vcc
	s_cbranch_execz .LBB703_306
; %bb.305:
	v_sub_u32_e32 v1, v20, v15
	v_lshlrev_b32_e32 v1, 3, v1
	ds_write_b64 v1, v[4:5]
.LBB703_306:
	s_or_b64 exec, exec, s[0:1]
	v_and_b32_e32 v1, 1, v13
	v_cmp_eq_u32_e32 vcc, 1, v1
	s_and_saveexec_b64 s[0:1], vcc
	s_cbranch_execz .LBB703_308
; %bb.307:
	v_sub_u32_e32 v1, v18, v15
	v_lshlrev_b32_e32 v1, 3, v1
	ds_write_b64 v1, v[10:11]
.LBB703_308:
	s_or_b64 exec, exec, s[0:1]
	v_cmp_lt_u32_e32 vcc, v0, v14
	s_waitcnt lgkmcnt(0)
	s_barrier
	s_and_saveexec_b64 s[0:1], vcc
	s_cbranch_execz .LBB703_311
; %bb.309:
	v_mov_b32_e32 v3, 0
	v_mov_b32_e32 v2, v15
	v_lshlrev_b64 v[4:5], 3, v[2:3]
	v_mov_b32_e32 v1, s5
	v_add_co_u32_e32 v2, vcc, s4, v4
	v_addc_co_u32_e32 v4, vcc, v1, v5, vcc
	s_lshl_b64 s[2:3], s[22:23], 3
	v_mov_b32_e32 v5, s3
	v_add_co_u32_e32 v1, vcc, s2, v2
	v_addc_co_u32_e32 v4, vcc, v4, v5, vcc
	v_lshlrev_b32_e32 v5, 3, v0
	s_mov_b64 s[2:3], 0
	v_mov_b32_e32 v2, v0
.LBB703_310:                            ; =>This Inner Loop Header: Depth=1
	ds_read_b64 v[6:7], v5
	v_lshlrev_b64 v[8:9], 3, v[2:3]
	v_add_co_u32_e32 v8, vcc, v1, v8
	v_add_u32_e32 v2, 0x100, v2
	v_addc_co_u32_e32 v9, vcc, v4, v9, vcc
	v_cmp_ge_u32_e32 vcc, v2, v14
	v_add_u32_e32 v5, 0x800, v5
	s_or_b64 s[2:3], vcc, s[2:3]
	s_waitcnt lgkmcnt(0)
	global_store_dwordx2 v[8:9], v[6:7], off
	s_andn2_b64 exec, exec, s[2:3]
	s_cbranch_execnz .LBB703_310
.LBB703_311:
	s_or_b64 exec, exec, s[0:1]
	v_cmp_eq_u32_e32 vcc, 0, v0
	s_and_b64 s[0:1], vcc, s[24:25]
	s_and_saveexec_b64 s[2:3], s[0:1]
	s_cbranch_execz .LBB703_281
.LBB703_312:
	v_mov_b32_e32 v0, s23
	v_add_co_u32_e32 v1, vcc, s22, v14
	v_addc_co_u32_e32 v3, vcc, 0, v0, vcc
	v_add_co_u32_e32 v0, vcc, v1, v15
	v_mov_b32_e32 v2, 0
	v_addc_co_u32_e32 v1, vcc, 0, v3, vcc
	global_store_dwordx2 v2, v[0:1], s[20:21]
	s_endpgm
	.section	.rodata,"a",@progbits
	.p2align	6, 0x0
	.amdhsa_kernel _ZN7rocprim17ROCPRIM_400000_NS6detail17trampoline_kernelINS0_14default_configENS1_25partition_config_selectorILNS1_17partition_subalgoE8ElNS0_10empty_typeEbEEZZNS1_14partition_implILS5_8ELb0ES3_jPlPS6_PKS6_NS0_5tupleIJS9_S6_EEENSD_IJSA_SA_EEENS0_18inequality_wrapperIZN2at6native12_GLOBAL__N_124unique_dim_cuda_templateIsEESt5tupleIJNSH_6TensorESM_SM_EERKSM_lbbbEUlllE0_EEPmJS6_EEE10hipError_tPvRmT3_T4_T5_T6_T7_T9_mT8_P12ihipStream_tbDpT10_ENKUlT_T0_E_clISt17integral_constantIbLb1EES1B_IbLb0EEEEDaS17_S18_EUlS17_E_NS1_11comp_targetILNS1_3genE4ELNS1_11target_archE910ELNS1_3gpuE8ELNS1_3repE0EEENS1_30default_config_static_selectorELNS0_4arch9wavefront6targetE1EEEvT1_
		.amdhsa_group_segment_fixed_size 10252
		.amdhsa_private_segment_fixed_size 0
		.amdhsa_kernarg_size 120
		.amdhsa_user_sgpr_count 6
		.amdhsa_user_sgpr_private_segment_buffer 1
		.amdhsa_user_sgpr_dispatch_ptr 0
		.amdhsa_user_sgpr_queue_ptr 0
		.amdhsa_user_sgpr_kernarg_segment_ptr 1
		.amdhsa_user_sgpr_dispatch_id 0
		.amdhsa_user_sgpr_flat_scratch_init 0
		.amdhsa_user_sgpr_kernarg_preload_length 0
		.amdhsa_user_sgpr_kernarg_preload_offset 0
		.amdhsa_user_sgpr_private_segment_size 0
		.amdhsa_uses_dynamic_stack 0
		.amdhsa_system_sgpr_private_segment_wavefront_offset 0
		.amdhsa_system_sgpr_workgroup_id_x 1
		.amdhsa_system_sgpr_workgroup_id_y 0
		.amdhsa_system_sgpr_workgroup_id_z 0
		.amdhsa_system_sgpr_workgroup_info 0
		.amdhsa_system_vgpr_workitem_id 0
		.amdhsa_next_free_vgpr 46
		.amdhsa_next_free_sgpr 48
		.amdhsa_accum_offset 48
		.amdhsa_reserve_vcc 1
		.amdhsa_reserve_flat_scratch 0
		.amdhsa_float_round_mode_32 0
		.amdhsa_float_round_mode_16_64 0
		.amdhsa_float_denorm_mode_32 3
		.amdhsa_float_denorm_mode_16_64 3
		.amdhsa_dx10_clamp 1
		.amdhsa_ieee_mode 1
		.amdhsa_fp16_overflow 0
		.amdhsa_tg_split 0
		.amdhsa_exception_fp_ieee_invalid_op 0
		.amdhsa_exception_fp_denorm_src 0
		.amdhsa_exception_fp_ieee_div_zero 0
		.amdhsa_exception_fp_ieee_overflow 0
		.amdhsa_exception_fp_ieee_underflow 0
		.amdhsa_exception_fp_ieee_inexact 0
		.amdhsa_exception_int_div_zero 0
	.end_amdhsa_kernel
	.section	.text._ZN7rocprim17ROCPRIM_400000_NS6detail17trampoline_kernelINS0_14default_configENS1_25partition_config_selectorILNS1_17partition_subalgoE8ElNS0_10empty_typeEbEEZZNS1_14partition_implILS5_8ELb0ES3_jPlPS6_PKS6_NS0_5tupleIJS9_S6_EEENSD_IJSA_SA_EEENS0_18inequality_wrapperIZN2at6native12_GLOBAL__N_124unique_dim_cuda_templateIsEESt5tupleIJNSH_6TensorESM_SM_EERKSM_lbbbEUlllE0_EEPmJS6_EEE10hipError_tPvRmT3_T4_T5_T6_T7_T9_mT8_P12ihipStream_tbDpT10_ENKUlT_T0_E_clISt17integral_constantIbLb1EES1B_IbLb0EEEEDaS17_S18_EUlS17_E_NS1_11comp_targetILNS1_3genE4ELNS1_11target_archE910ELNS1_3gpuE8ELNS1_3repE0EEENS1_30default_config_static_selectorELNS0_4arch9wavefront6targetE1EEEvT1_,"axG",@progbits,_ZN7rocprim17ROCPRIM_400000_NS6detail17trampoline_kernelINS0_14default_configENS1_25partition_config_selectorILNS1_17partition_subalgoE8ElNS0_10empty_typeEbEEZZNS1_14partition_implILS5_8ELb0ES3_jPlPS6_PKS6_NS0_5tupleIJS9_S6_EEENSD_IJSA_SA_EEENS0_18inequality_wrapperIZN2at6native12_GLOBAL__N_124unique_dim_cuda_templateIsEESt5tupleIJNSH_6TensorESM_SM_EERKSM_lbbbEUlllE0_EEPmJS6_EEE10hipError_tPvRmT3_T4_T5_T6_T7_T9_mT8_P12ihipStream_tbDpT10_ENKUlT_T0_E_clISt17integral_constantIbLb1EES1B_IbLb0EEEEDaS17_S18_EUlS17_E_NS1_11comp_targetILNS1_3genE4ELNS1_11target_archE910ELNS1_3gpuE8ELNS1_3repE0EEENS1_30default_config_static_selectorELNS0_4arch9wavefront6targetE1EEEvT1_,comdat
.Lfunc_end703:
	.size	_ZN7rocprim17ROCPRIM_400000_NS6detail17trampoline_kernelINS0_14default_configENS1_25partition_config_selectorILNS1_17partition_subalgoE8ElNS0_10empty_typeEbEEZZNS1_14partition_implILS5_8ELb0ES3_jPlPS6_PKS6_NS0_5tupleIJS9_S6_EEENSD_IJSA_SA_EEENS0_18inequality_wrapperIZN2at6native12_GLOBAL__N_124unique_dim_cuda_templateIsEESt5tupleIJNSH_6TensorESM_SM_EERKSM_lbbbEUlllE0_EEPmJS6_EEE10hipError_tPvRmT3_T4_T5_T6_T7_T9_mT8_P12ihipStream_tbDpT10_ENKUlT_T0_E_clISt17integral_constantIbLb1EES1B_IbLb0EEEEDaS17_S18_EUlS17_E_NS1_11comp_targetILNS1_3genE4ELNS1_11target_archE910ELNS1_3gpuE8ELNS1_3repE0EEENS1_30default_config_static_selectorELNS0_4arch9wavefront6targetE1EEEvT1_, .Lfunc_end703-_ZN7rocprim17ROCPRIM_400000_NS6detail17trampoline_kernelINS0_14default_configENS1_25partition_config_selectorILNS1_17partition_subalgoE8ElNS0_10empty_typeEbEEZZNS1_14partition_implILS5_8ELb0ES3_jPlPS6_PKS6_NS0_5tupleIJS9_S6_EEENSD_IJSA_SA_EEENS0_18inequality_wrapperIZN2at6native12_GLOBAL__N_124unique_dim_cuda_templateIsEESt5tupleIJNSH_6TensorESM_SM_EERKSM_lbbbEUlllE0_EEPmJS6_EEE10hipError_tPvRmT3_T4_T5_T6_T7_T9_mT8_P12ihipStream_tbDpT10_ENKUlT_T0_E_clISt17integral_constantIbLb1EES1B_IbLb0EEEEDaS17_S18_EUlS17_E_NS1_11comp_targetILNS1_3genE4ELNS1_11target_archE910ELNS1_3gpuE8ELNS1_3repE0EEENS1_30default_config_static_selectorELNS0_4arch9wavefront6targetE1EEEvT1_
                                        ; -- End function
	.section	.AMDGPU.csdata,"",@progbits
; Kernel info:
; codeLenInByte = 11456
; NumSgprs: 52
; NumVgprs: 46
; NumAgprs: 0
; TotalNumVgprs: 46
; ScratchSize: 0
; MemoryBound: 0
; FloatMode: 240
; IeeeMode: 1
; LDSByteSize: 10252 bytes/workgroup (compile time only)
; SGPRBlocks: 6
; VGPRBlocks: 5
; NumSGPRsForWavesPerEU: 52
; NumVGPRsForWavesPerEU: 46
; AccumOffset: 48
; Occupancy: 6
; WaveLimiterHint : 1
; COMPUTE_PGM_RSRC2:SCRATCH_EN: 0
; COMPUTE_PGM_RSRC2:USER_SGPR: 6
; COMPUTE_PGM_RSRC2:TRAP_HANDLER: 0
; COMPUTE_PGM_RSRC2:TGID_X_EN: 1
; COMPUTE_PGM_RSRC2:TGID_Y_EN: 0
; COMPUTE_PGM_RSRC2:TGID_Z_EN: 0
; COMPUTE_PGM_RSRC2:TIDIG_COMP_CNT: 0
; COMPUTE_PGM_RSRC3_GFX90A:ACCUM_OFFSET: 11
; COMPUTE_PGM_RSRC3_GFX90A:TG_SPLIT: 0
	.section	.text._ZN7rocprim17ROCPRIM_400000_NS6detail17trampoline_kernelINS0_14default_configENS1_25partition_config_selectorILNS1_17partition_subalgoE8ElNS0_10empty_typeEbEEZZNS1_14partition_implILS5_8ELb0ES3_jPlPS6_PKS6_NS0_5tupleIJS9_S6_EEENSD_IJSA_SA_EEENS0_18inequality_wrapperIZN2at6native12_GLOBAL__N_124unique_dim_cuda_templateIsEESt5tupleIJNSH_6TensorESM_SM_EERKSM_lbbbEUlllE0_EEPmJS6_EEE10hipError_tPvRmT3_T4_T5_T6_T7_T9_mT8_P12ihipStream_tbDpT10_ENKUlT_T0_E_clISt17integral_constantIbLb1EES1B_IbLb0EEEEDaS17_S18_EUlS17_E_NS1_11comp_targetILNS1_3genE3ELNS1_11target_archE908ELNS1_3gpuE7ELNS1_3repE0EEENS1_30default_config_static_selectorELNS0_4arch9wavefront6targetE1EEEvT1_,"axG",@progbits,_ZN7rocprim17ROCPRIM_400000_NS6detail17trampoline_kernelINS0_14default_configENS1_25partition_config_selectorILNS1_17partition_subalgoE8ElNS0_10empty_typeEbEEZZNS1_14partition_implILS5_8ELb0ES3_jPlPS6_PKS6_NS0_5tupleIJS9_S6_EEENSD_IJSA_SA_EEENS0_18inequality_wrapperIZN2at6native12_GLOBAL__N_124unique_dim_cuda_templateIsEESt5tupleIJNSH_6TensorESM_SM_EERKSM_lbbbEUlllE0_EEPmJS6_EEE10hipError_tPvRmT3_T4_T5_T6_T7_T9_mT8_P12ihipStream_tbDpT10_ENKUlT_T0_E_clISt17integral_constantIbLb1EES1B_IbLb0EEEEDaS17_S18_EUlS17_E_NS1_11comp_targetILNS1_3genE3ELNS1_11target_archE908ELNS1_3gpuE7ELNS1_3repE0EEENS1_30default_config_static_selectorELNS0_4arch9wavefront6targetE1EEEvT1_,comdat
	.globl	_ZN7rocprim17ROCPRIM_400000_NS6detail17trampoline_kernelINS0_14default_configENS1_25partition_config_selectorILNS1_17partition_subalgoE8ElNS0_10empty_typeEbEEZZNS1_14partition_implILS5_8ELb0ES3_jPlPS6_PKS6_NS0_5tupleIJS9_S6_EEENSD_IJSA_SA_EEENS0_18inequality_wrapperIZN2at6native12_GLOBAL__N_124unique_dim_cuda_templateIsEESt5tupleIJNSH_6TensorESM_SM_EERKSM_lbbbEUlllE0_EEPmJS6_EEE10hipError_tPvRmT3_T4_T5_T6_T7_T9_mT8_P12ihipStream_tbDpT10_ENKUlT_T0_E_clISt17integral_constantIbLb1EES1B_IbLb0EEEEDaS17_S18_EUlS17_E_NS1_11comp_targetILNS1_3genE3ELNS1_11target_archE908ELNS1_3gpuE7ELNS1_3repE0EEENS1_30default_config_static_selectorELNS0_4arch9wavefront6targetE1EEEvT1_ ; -- Begin function _ZN7rocprim17ROCPRIM_400000_NS6detail17trampoline_kernelINS0_14default_configENS1_25partition_config_selectorILNS1_17partition_subalgoE8ElNS0_10empty_typeEbEEZZNS1_14partition_implILS5_8ELb0ES3_jPlPS6_PKS6_NS0_5tupleIJS9_S6_EEENSD_IJSA_SA_EEENS0_18inequality_wrapperIZN2at6native12_GLOBAL__N_124unique_dim_cuda_templateIsEESt5tupleIJNSH_6TensorESM_SM_EERKSM_lbbbEUlllE0_EEPmJS6_EEE10hipError_tPvRmT3_T4_T5_T6_T7_T9_mT8_P12ihipStream_tbDpT10_ENKUlT_T0_E_clISt17integral_constantIbLb1EES1B_IbLb0EEEEDaS17_S18_EUlS17_E_NS1_11comp_targetILNS1_3genE3ELNS1_11target_archE908ELNS1_3gpuE7ELNS1_3repE0EEENS1_30default_config_static_selectorELNS0_4arch9wavefront6targetE1EEEvT1_
	.p2align	8
	.type	_ZN7rocprim17ROCPRIM_400000_NS6detail17trampoline_kernelINS0_14default_configENS1_25partition_config_selectorILNS1_17partition_subalgoE8ElNS0_10empty_typeEbEEZZNS1_14partition_implILS5_8ELb0ES3_jPlPS6_PKS6_NS0_5tupleIJS9_S6_EEENSD_IJSA_SA_EEENS0_18inequality_wrapperIZN2at6native12_GLOBAL__N_124unique_dim_cuda_templateIsEESt5tupleIJNSH_6TensorESM_SM_EERKSM_lbbbEUlllE0_EEPmJS6_EEE10hipError_tPvRmT3_T4_T5_T6_T7_T9_mT8_P12ihipStream_tbDpT10_ENKUlT_T0_E_clISt17integral_constantIbLb1EES1B_IbLb0EEEEDaS17_S18_EUlS17_E_NS1_11comp_targetILNS1_3genE3ELNS1_11target_archE908ELNS1_3gpuE7ELNS1_3repE0EEENS1_30default_config_static_selectorELNS0_4arch9wavefront6targetE1EEEvT1_,@function
_ZN7rocprim17ROCPRIM_400000_NS6detail17trampoline_kernelINS0_14default_configENS1_25partition_config_selectorILNS1_17partition_subalgoE8ElNS0_10empty_typeEbEEZZNS1_14partition_implILS5_8ELb0ES3_jPlPS6_PKS6_NS0_5tupleIJS9_S6_EEENSD_IJSA_SA_EEENS0_18inequality_wrapperIZN2at6native12_GLOBAL__N_124unique_dim_cuda_templateIsEESt5tupleIJNSH_6TensorESM_SM_EERKSM_lbbbEUlllE0_EEPmJS6_EEE10hipError_tPvRmT3_T4_T5_T6_T7_T9_mT8_P12ihipStream_tbDpT10_ENKUlT_T0_E_clISt17integral_constantIbLb1EES1B_IbLb0EEEEDaS17_S18_EUlS17_E_NS1_11comp_targetILNS1_3genE3ELNS1_11target_archE908ELNS1_3gpuE7ELNS1_3repE0EEENS1_30default_config_static_selectorELNS0_4arch9wavefront6targetE1EEEvT1_: ; @_ZN7rocprim17ROCPRIM_400000_NS6detail17trampoline_kernelINS0_14default_configENS1_25partition_config_selectorILNS1_17partition_subalgoE8ElNS0_10empty_typeEbEEZZNS1_14partition_implILS5_8ELb0ES3_jPlPS6_PKS6_NS0_5tupleIJS9_S6_EEENSD_IJSA_SA_EEENS0_18inequality_wrapperIZN2at6native12_GLOBAL__N_124unique_dim_cuda_templateIsEESt5tupleIJNSH_6TensorESM_SM_EERKSM_lbbbEUlllE0_EEPmJS6_EEE10hipError_tPvRmT3_T4_T5_T6_T7_T9_mT8_P12ihipStream_tbDpT10_ENKUlT_T0_E_clISt17integral_constantIbLb1EES1B_IbLb0EEEEDaS17_S18_EUlS17_E_NS1_11comp_targetILNS1_3genE3ELNS1_11target_archE908ELNS1_3gpuE7ELNS1_3repE0EEENS1_30default_config_static_selectorELNS0_4arch9wavefront6targetE1EEEvT1_
; %bb.0:
	.section	.rodata,"a",@progbits
	.p2align	6, 0x0
	.amdhsa_kernel _ZN7rocprim17ROCPRIM_400000_NS6detail17trampoline_kernelINS0_14default_configENS1_25partition_config_selectorILNS1_17partition_subalgoE8ElNS0_10empty_typeEbEEZZNS1_14partition_implILS5_8ELb0ES3_jPlPS6_PKS6_NS0_5tupleIJS9_S6_EEENSD_IJSA_SA_EEENS0_18inequality_wrapperIZN2at6native12_GLOBAL__N_124unique_dim_cuda_templateIsEESt5tupleIJNSH_6TensorESM_SM_EERKSM_lbbbEUlllE0_EEPmJS6_EEE10hipError_tPvRmT3_T4_T5_T6_T7_T9_mT8_P12ihipStream_tbDpT10_ENKUlT_T0_E_clISt17integral_constantIbLb1EES1B_IbLb0EEEEDaS17_S18_EUlS17_E_NS1_11comp_targetILNS1_3genE3ELNS1_11target_archE908ELNS1_3gpuE7ELNS1_3repE0EEENS1_30default_config_static_selectorELNS0_4arch9wavefront6targetE1EEEvT1_
		.amdhsa_group_segment_fixed_size 0
		.amdhsa_private_segment_fixed_size 0
		.amdhsa_kernarg_size 120
		.amdhsa_user_sgpr_count 6
		.amdhsa_user_sgpr_private_segment_buffer 1
		.amdhsa_user_sgpr_dispatch_ptr 0
		.amdhsa_user_sgpr_queue_ptr 0
		.amdhsa_user_sgpr_kernarg_segment_ptr 1
		.amdhsa_user_sgpr_dispatch_id 0
		.amdhsa_user_sgpr_flat_scratch_init 0
		.amdhsa_user_sgpr_kernarg_preload_length 0
		.amdhsa_user_sgpr_kernarg_preload_offset 0
		.amdhsa_user_sgpr_private_segment_size 0
		.amdhsa_uses_dynamic_stack 0
		.amdhsa_system_sgpr_private_segment_wavefront_offset 0
		.amdhsa_system_sgpr_workgroup_id_x 1
		.amdhsa_system_sgpr_workgroup_id_y 0
		.amdhsa_system_sgpr_workgroup_id_z 0
		.amdhsa_system_sgpr_workgroup_info 0
		.amdhsa_system_vgpr_workitem_id 0
		.amdhsa_next_free_vgpr 1
		.amdhsa_next_free_sgpr 0
		.amdhsa_accum_offset 4
		.amdhsa_reserve_vcc 0
		.amdhsa_reserve_flat_scratch 0
		.amdhsa_float_round_mode_32 0
		.amdhsa_float_round_mode_16_64 0
		.amdhsa_float_denorm_mode_32 3
		.amdhsa_float_denorm_mode_16_64 3
		.amdhsa_dx10_clamp 1
		.amdhsa_ieee_mode 1
		.amdhsa_fp16_overflow 0
		.amdhsa_tg_split 0
		.amdhsa_exception_fp_ieee_invalid_op 0
		.amdhsa_exception_fp_denorm_src 0
		.amdhsa_exception_fp_ieee_div_zero 0
		.amdhsa_exception_fp_ieee_overflow 0
		.amdhsa_exception_fp_ieee_underflow 0
		.amdhsa_exception_fp_ieee_inexact 0
		.amdhsa_exception_int_div_zero 0
	.end_amdhsa_kernel
	.section	.text._ZN7rocprim17ROCPRIM_400000_NS6detail17trampoline_kernelINS0_14default_configENS1_25partition_config_selectorILNS1_17partition_subalgoE8ElNS0_10empty_typeEbEEZZNS1_14partition_implILS5_8ELb0ES3_jPlPS6_PKS6_NS0_5tupleIJS9_S6_EEENSD_IJSA_SA_EEENS0_18inequality_wrapperIZN2at6native12_GLOBAL__N_124unique_dim_cuda_templateIsEESt5tupleIJNSH_6TensorESM_SM_EERKSM_lbbbEUlllE0_EEPmJS6_EEE10hipError_tPvRmT3_T4_T5_T6_T7_T9_mT8_P12ihipStream_tbDpT10_ENKUlT_T0_E_clISt17integral_constantIbLb1EES1B_IbLb0EEEEDaS17_S18_EUlS17_E_NS1_11comp_targetILNS1_3genE3ELNS1_11target_archE908ELNS1_3gpuE7ELNS1_3repE0EEENS1_30default_config_static_selectorELNS0_4arch9wavefront6targetE1EEEvT1_,"axG",@progbits,_ZN7rocprim17ROCPRIM_400000_NS6detail17trampoline_kernelINS0_14default_configENS1_25partition_config_selectorILNS1_17partition_subalgoE8ElNS0_10empty_typeEbEEZZNS1_14partition_implILS5_8ELb0ES3_jPlPS6_PKS6_NS0_5tupleIJS9_S6_EEENSD_IJSA_SA_EEENS0_18inequality_wrapperIZN2at6native12_GLOBAL__N_124unique_dim_cuda_templateIsEESt5tupleIJNSH_6TensorESM_SM_EERKSM_lbbbEUlllE0_EEPmJS6_EEE10hipError_tPvRmT3_T4_T5_T6_T7_T9_mT8_P12ihipStream_tbDpT10_ENKUlT_T0_E_clISt17integral_constantIbLb1EES1B_IbLb0EEEEDaS17_S18_EUlS17_E_NS1_11comp_targetILNS1_3genE3ELNS1_11target_archE908ELNS1_3gpuE7ELNS1_3repE0EEENS1_30default_config_static_selectorELNS0_4arch9wavefront6targetE1EEEvT1_,comdat
.Lfunc_end704:
	.size	_ZN7rocprim17ROCPRIM_400000_NS6detail17trampoline_kernelINS0_14default_configENS1_25partition_config_selectorILNS1_17partition_subalgoE8ElNS0_10empty_typeEbEEZZNS1_14partition_implILS5_8ELb0ES3_jPlPS6_PKS6_NS0_5tupleIJS9_S6_EEENSD_IJSA_SA_EEENS0_18inequality_wrapperIZN2at6native12_GLOBAL__N_124unique_dim_cuda_templateIsEESt5tupleIJNSH_6TensorESM_SM_EERKSM_lbbbEUlllE0_EEPmJS6_EEE10hipError_tPvRmT3_T4_T5_T6_T7_T9_mT8_P12ihipStream_tbDpT10_ENKUlT_T0_E_clISt17integral_constantIbLb1EES1B_IbLb0EEEEDaS17_S18_EUlS17_E_NS1_11comp_targetILNS1_3genE3ELNS1_11target_archE908ELNS1_3gpuE7ELNS1_3repE0EEENS1_30default_config_static_selectorELNS0_4arch9wavefront6targetE1EEEvT1_, .Lfunc_end704-_ZN7rocprim17ROCPRIM_400000_NS6detail17trampoline_kernelINS0_14default_configENS1_25partition_config_selectorILNS1_17partition_subalgoE8ElNS0_10empty_typeEbEEZZNS1_14partition_implILS5_8ELb0ES3_jPlPS6_PKS6_NS0_5tupleIJS9_S6_EEENSD_IJSA_SA_EEENS0_18inequality_wrapperIZN2at6native12_GLOBAL__N_124unique_dim_cuda_templateIsEESt5tupleIJNSH_6TensorESM_SM_EERKSM_lbbbEUlllE0_EEPmJS6_EEE10hipError_tPvRmT3_T4_T5_T6_T7_T9_mT8_P12ihipStream_tbDpT10_ENKUlT_T0_E_clISt17integral_constantIbLb1EES1B_IbLb0EEEEDaS17_S18_EUlS17_E_NS1_11comp_targetILNS1_3genE3ELNS1_11target_archE908ELNS1_3gpuE7ELNS1_3repE0EEENS1_30default_config_static_selectorELNS0_4arch9wavefront6targetE1EEEvT1_
                                        ; -- End function
	.section	.AMDGPU.csdata,"",@progbits
; Kernel info:
; codeLenInByte = 0
; NumSgprs: 4
; NumVgprs: 0
; NumAgprs: 0
; TotalNumVgprs: 0
; ScratchSize: 0
; MemoryBound: 0
; FloatMode: 240
; IeeeMode: 1
; LDSByteSize: 0 bytes/workgroup (compile time only)
; SGPRBlocks: 0
; VGPRBlocks: 0
; NumSGPRsForWavesPerEU: 4
; NumVGPRsForWavesPerEU: 1
; AccumOffset: 4
; Occupancy: 8
; WaveLimiterHint : 0
; COMPUTE_PGM_RSRC2:SCRATCH_EN: 0
; COMPUTE_PGM_RSRC2:USER_SGPR: 6
; COMPUTE_PGM_RSRC2:TRAP_HANDLER: 0
; COMPUTE_PGM_RSRC2:TGID_X_EN: 1
; COMPUTE_PGM_RSRC2:TGID_Y_EN: 0
; COMPUTE_PGM_RSRC2:TGID_Z_EN: 0
; COMPUTE_PGM_RSRC2:TIDIG_COMP_CNT: 0
; COMPUTE_PGM_RSRC3_GFX90A:ACCUM_OFFSET: 0
; COMPUTE_PGM_RSRC3_GFX90A:TG_SPLIT: 0
	.section	.text._ZN7rocprim17ROCPRIM_400000_NS6detail17trampoline_kernelINS0_14default_configENS1_25partition_config_selectorILNS1_17partition_subalgoE8ElNS0_10empty_typeEbEEZZNS1_14partition_implILS5_8ELb0ES3_jPlPS6_PKS6_NS0_5tupleIJS9_S6_EEENSD_IJSA_SA_EEENS0_18inequality_wrapperIZN2at6native12_GLOBAL__N_124unique_dim_cuda_templateIsEESt5tupleIJNSH_6TensorESM_SM_EERKSM_lbbbEUlllE0_EEPmJS6_EEE10hipError_tPvRmT3_T4_T5_T6_T7_T9_mT8_P12ihipStream_tbDpT10_ENKUlT_T0_E_clISt17integral_constantIbLb1EES1B_IbLb0EEEEDaS17_S18_EUlS17_E_NS1_11comp_targetILNS1_3genE2ELNS1_11target_archE906ELNS1_3gpuE6ELNS1_3repE0EEENS1_30default_config_static_selectorELNS0_4arch9wavefront6targetE1EEEvT1_,"axG",@progbits,_ZN7rocprim17ROCPRIM_400000_NS6detail17trampoline_kernelINS0_14default_configENS1_25partition_config_selectorILNS1_17partition_subalgoE8ElNS0_10empty_typeEbEEZZNS1_14partition_implILS5_8ELb0ES3_jPlPS6_PKS6_NS0_5tupleIJS9_S6_EEENSD_IJSA_SA_EEENS0_18inequality_wrapperIZN2at6native12_GLOBAL__N_124unique_dim_cuda_templateIsEESt5tupleIJNSH_6TensorESM_SM_EERKSM_lbbbEUlllE0_EEPmJS6_EEE10hipError_tPvRmT3_T4_T5_T6_T7_T9_mT8_P12ihipStream_tbDpT10_ENKUlT_T0_E_clISt17integral_constantIbLb1EES1B_IbLb0EEEEDaS17_S18_EUlS17_E_NS1_11comp_targetILNS1_3genE2ELNS1_11target_archE906ELNS1_3gpuE6ELNS1_3repE0EEENS1_30default_config_static_selectorELNS0_4arch9wavefront6targetE1EEEvT1_,comdat
	.globl	_ZN7rocprim17ROCPRIM_400000_NS6detail17trampoline_kernelINS0_14default_configENS1_25partition_config_selectorILNS1_17partition_subalgoE8ElNS0_10empty_typeEbEEZZNS1_14partition_implILS5_8ELb0ES3_jPlPS6_PKS6_NS0_5tupleIJS9_S6_EEENSD_IJSA_SA_EEENS0_18inequality_wrapperIZN2at6native12_GLOBAL__N_124unique_dim_cuda_templateIsEESt5tupleIJNSH_6TensorESM_SM_EERKSM_lbbbEUlllE0_EEPmJS6_EEE10hipError_tPvRmT3_T4_T5_T6_T7_T9_mT8_P12ihipStream_tbDpT10_ENKUlT_T0_E_clISt17integral_constantIbLb1EES1B_IbLb0EEEEDaS17_S18_EUlS17_E_NS1_11comp_targetILNS1_3genE2ELNS1_11target_archE906ELNS1_3gpuE6ELNS1_3repE0EEENS1_30default_config_static_selectorELNS0_4arch9wavefront6targetE1EEEvT1_ ; -- Begin function _ZN7rocprim17ROCPRIM_400000_NS6detail17trampoline_kernelINS0_14default_configENS1_25partition_config_selectorILNS1_17partition_subalgoE8ElNS0_10empty_typeEbEEZZNS1_14partition_implILS5_8ELb0ES3_jPlPS6_PKS6_NS0_5tupleIJS9_S6_EEENSD_IJSA_SA_EEENS0_18inequality_wrapperIZN2at6native12_GLOBAL__N_124unique_dim_cuda_templateIsEESt5tupleIJNSH_6TensorESM_SM_EERKSM_lbbbEUlllE0_EEPmJS6_EEE10hipError_tPvRmT3_T4_T5_T6_T7_T9_mT8_P12ihipStream_tbDpT10_ENKUlT_T0_E_clISt17integral_constantIbLb1EES1B_IbLb0EEEEDaS17_S18_EUlS17_E_NS1_11comp_targetILNS1_3genE2ELNS1_11target_archE906ELNS1_3gpuE6ELNS1_3repE0EEENS1_30default_config_static_selectorELNS0_4arch9wavefront6targetE1EEEvT1_
	.p2align	8
	.type	_ZN7rocprim17ROCPRIM_400000_NS6detail17trampoline_kernelINS0_14default_configENS1_25partition_config_selectorILNS1_17partition_subalgoE8ElNS0_10empty_typeEbEEZZNS1_14partition_implILS5_8ELb0ES3_jPlPS6_PKS6_NS0_5tupleIJS9_S6_EEENSD_IJSA_SA_EEENS0_18inequality_wrapperIZN2at6native12_GLOBAL__N_124unique_dim_cuda_templateIsEESt5tupleIJNSH_6TensorESM_SM_EERKSM_lbbbEUlllE0_EEPmJS6_EEE10hipError_tPvRmT3_T4_T5_T6_T7_T9_mT8_P12ihipStream_tbDpT10_ENKUlT_T0_E_clISt17integral_constantIbLb1EES1B_IbLb0EEEEDaS17_S18_EUlS17_E_NS1_11comp_targetILNS1_3genE2ELNS1_11target_archE906ELNS1_3gpuE6ELNS1_3repE0EEENS1_30default_config_static_selectorELNS0_4arch9wavefront6targetE1EEEvT1_,@function
_ZN7rocprim17ROCPRIM_400000_NS6detail17trampoline_kernelINS0_14default_configENS1_25partition_config_selectorILNS1_17partition_subalgoE8ElNS0_10empty_typeEbEEZZNS1_14partition_implILS5_8ELb0ES3_jPlPS6_PKS6_NS0_5tupleIJS9_S6_EEENSD_IJSA_SA_EEENS0_18inequality_wrapperIZN2at6native12_GLOBAL__N_124unique_dim_cuda_templateIsEESt5tupleIJNSH_6TensorESM_SM_EERKSM_lbbbEUlllE0_EEPmJS6_EEE10hipError_tPvRmT3_T4_T5_T6_T7_T9_mT8_P12ihipStream_tbDpT10_ENKUlT_T0_E_clISt17integral_constantIbLb1EES1B_IbLb0EEEEDaS17_S18_EUlS17_E_NS1_11comp_targetILNS1_3genE2ELNS1_11target_archE906ELNS1_3gpuE6ELNS1_3repE0EEENS1_30default_config_static_selectorELNS0_4arch9wavefront6targetE1EEEvT1_: ; @_ZN7rocprim17ROCPRIM_400000_NS6detail17trampoline_kernelINS0_14default_configENS1_25partition_config_selectorILNS1_17partition_subalgoE8ElNS0_10empty_typeEbEEZZNS1_14partition_implILS5_8ELb0ES3_jPlPS6_PKS6_NS0_5tupleIJS9_S6_EEENSD_IJSA_SA_EEENS0_18inequality_wrapperIZN2at6native12_GLOBAL__N_124unique_dim_cuda_templateIsEESt5tupleIJNSH_6TensorESM_SM_EERKSM_lbbbEUlllE0_EEPmJS6_EEE10hipError_tPvRmT3_T4_T5_T6_T7_T9_mT8_P12ihipStream_tbDpT10_ENKUlT_T0_E_clISt17integral_constantIbLb1EES1B_IbLb0EEEEDaS17_S18_EUlS17_E_NS1_11comp_targetILNS1_3genE2ELNS1_11target_archE906ELNS1_3gpuE6ELNS1_3repE0EEENS1_30default_config_static_selectorELNS0_4arch9wavefront6targetE1EEEvT1_
; %bb.0:
	.section	.rodata,"a",@progbits
	.p2align	6, 0x0
	.amdhsa_kernel _ZN7rocprim17ROCPRIM_400000_NS6detail17trampoline_kernelINS0_14default_configENS1_25partition_config_selectorILNS1_17partition_subalgoE8ElNS0_10empty_typeEbEEZZNS1_14partition_implILS5_8ELb0ES3_jPlPS6_PKS6_NS0_5tupleIJS9_S6_EEENSD_IJSA_SA_EEENS0_18inequality_wrapperIZN2at6native12_GLOBAL__N_124unique_dim_cuda_templateIsEESt5tupleIJNSH_6TensorESM_SM_EERKSM_lbbbEUlllE0_EEPmJS6_EEE10hipError_tPvRmT3_T4_T5_T6_T7_T9_mT8_P12ihipStream_tbDpT10_ENKUlT_T0_E_clISt17integral_constantIbLb1EES1B_IbLb0EEEEDaS17_S18_EUlS17_E_NS1_11comp_targetILNS1_3genE2ELNS1_11target_archE906ELNS1_3gpuE6ELNS1_3repE0EEENS1_30default_config_static_selectorELNS0_4arch9wavefront6targetE1EEEvT1_
		.amdhsa_group_segment_fixed_size 0
		.amdhsa_private_segment_fixed_size 0
		.amdhsa_kernarg_size 120
		.amdhsa_user_sgpr_count 6
		.amdhsa_user_sgpr_private_segment_buffer 1
		.amdhsa_user_sgpr_dispatch_ptr 0
		.amdhsa_user_sgpr_queue_ptr 0
		.amdhsa_user_sgpr_kernarg_segment_ptr 1
		.amdhsa_user_sgpr_dispatch_id 0
		.amdhsa_user_sgpr_flat_scratch_init 0
		.amdhsa_user_sgpr_kernarg_preload_length 0
		.amdhsa_user_sgpr_kernarg_preload_offset 0
		.amdhsa_user_sgpr_private_segment_size 0
		.amdhsa_uses_dynamic_stack 0
		.amdhsa_system_sgpr_private_segment_wavefront_offset 0
		.amdhsa_system_sgpr_workgroup_id_x 1
		.amdhsa_system_sgpr_workgroup_id_y 0
		.amdhsa_system_sgpr_workgroup_id_z 0
		.amdhsa_system_sgpr_workgroup_info 0
		.amdhsa_system_vgpr_workitem_id 0
		.amdhsa_next_free_vgpr 1
		.amdhsa_next_free_sgpr 0
		.amdhsa_accum_offset 4
		.amdhsa_reserve_vcc 0
		.amdhsa_reserve_flat_scratch 0
		.amdhsa_float_round_mode_32 0
		.amdhsa_float_round_mode_16_64 0
		.amdhsa_float_denorm_mode_32 3
		.amdhsa_float_denorm_mode_16_64 3
		.amdhsa_dx10_clamp 1
		.amdhsa_ieee_mode 1
		.amdhsa_fp16_overflow 0
		.amdhsa_tg_split 0
		.amdhsa_exception_fp_ieee_invalid_op 0
		.amdhsa_exception_fp_denorm_src 0
		.amdhsa_exception_fp_ieee_div_zero 0
		.amdhsa_exception_fp_ieee_overflow 0
		.amdhsa_exception_fp_ieee_underflow 0
		.amdhsa_exception_fp_ieee_inexact 0
		.amdhsa_exception_int_div_zero 0
	.end_amdhsa_kernel
	.section	.text._ZN7rocprim17ROCPRIM_400000_NS6detail17trampoline_kernelINS0_14default_configENS1_25partition_config_selectorILNS1_17partition_subalgoE8ElNS0_10empty_typeEbEEZZNS1_14partition_implILS5_8ELb0ES3_jPlPS6_PKS6_NS0_5tupleIJS9_S6_EEENSD_IJSA_SA_EEENS0_18inequality_wrapperIZN2at6native12_GLOBAL__N_124unique_dim_cuda_templateIsEESt5tupleIJNSH_6TensorESM_SM_EERKSM_lbbbEUlllE0_EEPmJS6_EEE10hipError_tPvRmT3_T4_T5_T6_T7_T9_mT8_P12ihipStream_tbDpT10_ENKUlT_T0_E_clISt17integral_constantIbLb1EES1B_IbLb0EEEEDaS17_S18_EUlS17_E_NS1_11comp_targetILNS1_3genE2ELNS1_11target_archE906ELNS1_3gpuE6ELNS1_3repE0EEENS1_30default_config_static_selectorELNS0_4arch9wavefront6targetE1EEEvT1_,"axG",@progbits,_ZN7rocprim17ROCPRIM_400000_NS6detail17trampoline_kernelINS0_14default_configENS1_25partition_config_selectorILNS1_17partition_subalgoE8ElNS0_10empty_typeEbEEZZNS1_14partition_implILS5_8ELb0ES3_jPlPS6_PKS6_NS0_5tupleIJS9_S6_EEENSD_IJSA_SA_EEENS0_18inequality_wrapperIZN2at6native12_GLOBAL__N_124unique_dim_cuda_templateIsEESt5tupleIJNSH_6TensorESM_SM_EERKSM_lbbbEUlllE0_EEPmJS6_EEE10hipError_tPvRmT3_T4_T5_T6_T7_T9_mT8_P12ihipStream_tbDpT10_ENKUlT_T0_E_clISt17integral_constantIbLb1EES1B_IbLb0EEEEDaS17_S18_EUlS17_E_NS1_11comp_targetILNS1_3genE2ELNS1_11target_archE906ELNS1_3gpuE6ELNS1_3repE0EEENS1_30default_config_static_selectorELNS0_4arch9wavefront6targetE1EEEvT1_,comdat
.Lfunc_end705:
	.size	_ZN7rocprim17ROCPRIM_400000_NS6detail17trampoline_kernelINS0_14default_configENS1_25partition_config_selectorILNS1_17partition_subalgoE8ElNS0_10empty_typeEbEEZZNS1_14partition_implILS5_8ELb0ES3_jPlPS6_PKS6_NS0_5tupleIJS9_S6_EEENSD_IJSA_SA_EEENS0_18inequality_wrapperIZN2at6native12_GLOBAL__N_124unique_dim_cuda_templateIsEESt5tupleIJNSH_6TensorESM_SM_EERKSM_lbbbEUlllE0_EEPmJS6_EEE10hipError_tPvRmT3_T4_T5_T6_T7_T9_mT8_P12ihipStream_tbDpT10_ENKUlT_T0_E_clISt17integral_constantIbLb1EES1B_IbLb0EEEEDaS17_S18_EUlS17_E_NS1_11comp_targetILNS1_3genE2ELNS1_11target_archE906ELNS1_3gpuE6ELNS1_3repE0EEENS1_30default_config_static_selectorELNS0_4arch9wavefront6targetE1EEEvT1_, .Lfunc_end705-_ZN7rocprim17ROCPRIM_400000_NS6detail17trampoline_kernelINS0_14default_configENS1_25partition_config_selectorILNS1_17partition_subalgoE8ElNS0_10empty_typeEbEEZZNS1_14partition_implILS5_8ELb0ES3_jPlPS6_PKS6_NS0_5tupleIJS9_S6_EEENSD_IJSA_SA_EEENS0_18inequality_wrapperIZN2at6native12_GLOBAL__N_124unique_dim_cuda_templateIsEESt5tupleIJNSH_6TensorESM_SM_EERKSM_lbbbEUlllE0_EEPmJS6_EEE10hipError_tPvRmT3_T4_T5_T6_T7_T9_mT8_P12ihipStream_tbDpT10_ENKUlT_T0_E_clISt17integral_constantIbLb1EES1B_IbLb0EEEEDaS17_S18_EUlS17_E_NS1_11comp_targetILNS1_3genE2ELNS1_11target_archE906ELNS1_3gpuE6ELNS1_3repE0EEENS1_30default_config_static_selectorELNS0_4arch9wavefront6targetE1EEEvT1_
                                        ; -- End function
	.section	.AMDGPU.csdata,"",@progbits
; Kernel info:
; codeLenInByte = 0
; NumSgprs: 4
; NumVgprs: 0
; NumAgprs: 0
; TotalNumVgprs: 0
; ScratchSize: 0
; MemoryBound: 0
; FloatMode: 240
; IeeeMode: 1
; LDSByteSize: 0 bytes/workgroup (compile time only)
; SGPRBlocks: 0
; VGPRBlocks: 0
; NumSGPRsForWavesPerEU: 4
; NumVGPRsForWavesPerEU: 1
; AccumOffset: 4
; Occupancy: 8
; WaveLimiterHint : 0
; COMPUTE_PGM_RSRC2:SCRATCH_EN: 0
; COMPUTE_PGM_RSRC2:USER_SGPR: 6
; COMPUTE_PGM_RSRC2:TRAP_HANDLER: 0
; COMPUTE_PGM_RSRC2:TGID_X_EN: 1
; COMPUTE_PGM_RSRC2:TGID_Y_EN: 0
; COMPUTE_PGM_RSRC2:TGID_Z_EN: 0
; COMPUTE_PGM_RSRC2:TIDIG_COMP_CNT: 0
; COMPUTE_PGM_RSRC3_GFX90A:ACCUM_OFFSET: 0
; COMPUTE_PGM_RSRC3_GFX90A:TG_SPLIT: 0
	.section	.text._ZN7rocprim17ROCPRIM_400000_NS6detail17trampoline_kernelINS0_14default_configENS1_25partition_config_selectorILNS1_17partition_subalgoE8ElNS0_10empty_typeEbEEZZNS1_14partition_implILS5_8ELb0ES3_jPlPS6_PKS6_NS0_5tupleIJS9_S6_EEENSD_IJSA_SA_EEENS0_18inequality_wrapperIZN2at6native12_GLOBAL__N_124unique_dim_cuda_templateIsEESt5tupleIJNSH_6TensorESM_SM_EERKSM_lbbbEUlllE0_EEPmJS6_EEE10hipError_tPvRmT3_T4_T5_T6_T7_T9_mT8_P12ihipStream_tbDpT10_ENKUlT_T0_E_clISt17integral_constantIbLb1EES1B_IbLb0EEEEDaS17_S18_EUlS17_E_NS1_11comp_targetILNS1_3genE10ELNS1_11target_archE1200ELNS1_3gpuE4ELNS1_3repE0EEENS1_30default_config_static_selectorELNS0_4arch9wavefront6targetE1EEEvT1_,"axG",@progbits,_ZN7rocprim17ROCPRIM_400000_NS6detail17trampoline_kernelINS0_14default_configENS1_25partition_config_selectorILNS1_17partition_subalgoE8ElNS0_10empty_typeEbEEZZNS1_14partition_implILS5_8ELb0ES3_jPlPS6_PKS6_NS0_5tupleIJS9_S6_EEENSD_IJSA_SA_EEENS0_18inequality_wrapperIZN2at6native12_GLOBAL__N_124unique_dim_cuda_templateIsEESt5tupleIJNSH_6TensorESM_SM_EERKSM_lbbbEUlllE0_EEPmJS6_EEE10hipError_tPvRmT3_T4_T5_T6_T7_T9_mT8_P12ihipStream_tbDpT10_ENKUlT_T0_E_clISt17integral_constantIbLb1EES1B_IbLb0EEEEDaS17_S18_EUlS17_E_NS1_11comp_targetILNS1_3genE10ELNS1_11target_archE1200ELNS1_3gpuE4ELNS1_3repE0EEENS1_30default_config_static_selectorELNS0_4arch9wavefront6targetE1EEEvT1_,comdat
	.globl	_ZN7rocprim17ROCPRIM_400000_NS6detail17trampoline_kernelINS0_14default_configENS1_25partition_config_selectorILNS1_17partition_subalgoE8ElNS0_10empty_typeEbEEZZNS1_14partition_implILS5_8ELb0ES3_jPlPS6_PKS6_NS0_5tupleIJS9_S6_EEENSD_IJSA_SA_EEENS0_18inequality_wrapperIZN2at6native12_GLOBAL__N_124unique_dim_cuda_templateIsEESt5tupleIJNSH_6TensorESM_SM_EERKSM_lbbbEUlllE0_EEPmJS6_EEE10hipError_tPvRmT3_T4_T5_T6_T7_T9_mT8_P12ihipStream_tbDpT10_ENKUlT_T0_E_clISt17integral_constantIbLb1EES1B_IbLb0EEEEDaS17_S18_EUlS17_E_NS1_11comp_targetILNS1_3genE10ELNS1_11target_archE1200ELNS1_3gpuE4ELNS1_3repE0EEENS1_30default_config_static_selectorELNS0_4arch9wavefront6targetE1EEEvT1_ ; -- Begin function _ZN7rocprim17ROCPRIM_400000_NS6detail17trampoline_kernelINS0_14default_configENS1_25partition_config_selectorILNS1_17partition_subalgoE8ElNS0_10empty_typeEbEEZZNS1_14partition_implILS5_8ELb0ES3_jPlPS6_PKS6_NS0_5tupleIJS9_S6_EEENSD_IJSA_SA_EEENS0_18inequality_wrapperIZN2at6native12_GLOBAL__N_124unique_dim_cuda_templateIsEESt5tupleIJNSH_6TensorESM_SM_EERKSM_lbbbEUlllE0_EEPmJS6_EEE10hipError_tPvRmT3_T4_T5_T6_T7_T9_mT8_P12ihipStream_tbDpT10_ENKUlT_T0_E_clISt17integral_constantIbLb1EES1B_IbLb0EEEEDaS17_S18_EUlS17_E_NS1_11comp_targetILNS1_3genE10ELNS1_11target_archE1200ELNS1_3gpuE4ELNS1_3repE0EEENS1_30default_config_static_selectorELNS0_4arch9wavefront6targetE1EEEvT1_
	.p2align	8
	.type	_ZN7rocprim17ROCPRIM_400000_NS6detail17trampoline_kernelINS0_14default_configENS1_25partition_config_selectorILNS1_17partition_subalgoE8ElNS0_10empty_typeEbEEZZNS1_14partition_implILS5_8ELb0ES3_jPlPS6_PKS6_NS0_5tupleIJS9_S6_EEENSD_IJSA_SA_EEENS0_18inequality_wrapperIZN2at6native12_GLOBAL__N_124unique_dim_cuda_templateIsEESt5tupleIJNSH_6TensorESM_SM_EERKSM_lbbbEUlllE0_EEPmJS6_EEE10hipError_tPvRmT3_T4_T5_T6_T7_T9_mT8_P12ihipStream_tbDpT10_ENKUlT_T0_E_clISt17integral_constantIbLb1EES1B_IbLb0EEEEDaS17_S18_EUlS17_E_NS1_11comp_targetILNS1_3genE10ELNS1_11target_archE1200ELNS1_3gpuE4ELNS1_3repE0EEENS1_30default_config_static_selectorELNS0_4arch9wavefront6targetE1EEEvT1_,@function
_ZN7rocprim17ROCPRIM_400000_NS6detail17trampoline_kernelINS0_14default_configENS1_25partition_config_selectorILNS1_17partition_subalgoE8ElNS0_10empty_typeEbEEZZNS1_14partition_implILS5_8ELb0ES3_jPlPS6_PKS6_NS0_5tupleIJS9_S6_EEENSD_IJSA_SA_EEENS0_18inequality_wrapperIZN2at6native12_GLOBAL__N_124unique_dim_cuda_templateIsEESt5tupleIJNSH_6TensorESM_SM_EERKSM_lbbbEUlllE0_EEPmJS6_EEE10hipError_tPvRmT3_T4_T5_T6_T7_T9_mT8_P12ihipStream_tbDpT10_ENKUlT_T0_E_clISt17integral_constantIbLb1EES1B_IbLb0EEEEDaS17_S18_EUlS17_E_NS1_11comp_targetILNS1_3genE10ELNS1_11target_archE1200ELNS1_3gpuE4ELNS1_3repE0EEENS1_30default_config_static_selectorELNS0_4arch9wavefront6targetE1EEEvT1_: ; @_ZN7rocprim17ROCPRIM_400000_NS6detail17trampoline_kernelINS0_14default_configENS1_25partition_config_selectorILNS1_17partition_subalgoE8ElNS0_10empty_typeEbEEZZNS1_14partition_implILS5_8ELb0ES3_jPlPS6_PKS6_NS0_5tupleIJS9_S6_EEENSD_IJSA_SA_EEENS0_18inequality_wrapperIZN2at6native12_GLOBAL__N_124unique_dim_cuda_templateIsEESt5tupleIJNSH_6TensorESM_SM_EERKSM_lbbbEUlllE0_EEPmJS6_EEE10hipError_tPvRmT3_T4_T5_T6_T7_T9_mT8_P12ihipStream_tbDpT10_ENKUlT_T0_E_clISt17integral_constantIbLb1EES1B_IbLb0EEEEDaS17_S18_EUlS17_E_NS1_11comp_targetILNS1_3genE10ELNS1_11target_archE1200ELNS1_3gpuE4ELNS1_3repE0EEENS1_30default_config_static_selectorELNS0_4arch9wavefront6targetE1EEEvT1_
; %bb.0:
	.section	.rodata,"a",@progbits
	.p2align	6, 0x0
	.amdhsa_kernel _ZN7rocprim17ROCPRIM_400000_NS6detail17trampoline_kernelINS0_14default_configENS1_25partition_config_selectorILNS1_17partition_subalgoE8ElNS0_10empty_typeEbEEZZNS1_14partition_implILS5_8ELb0ES3_jPlPS6_PKS6_NS0_5tupleIJS9_S6_EEENSD_IJSA_SA_EEENS0_18inequality_wrapperIZN2at6native12_GLOBAL__N_124unique_dim_cuda_templateIsEESt5tupleIJNSH_6TensorESM_SM_EERKSM_lbbbEUlllE0_EEPmJS6_EEE10hipError_tPvRmT3_T4_T5_T6_T7_T9_mT8_P12ihipStream_tbDpT10_ENKUlT_T0_E_clISt17integral_constantIbLb1EES1B_IbLb0EEEEDaS17_S18_EUlS17_E_NS1_11comp_targetILNS1_3genE10ELNS1_11target_archE1200ELNS1_3gpuE4ELNS1_3repE0EEENS1_30default_config_static_selectorELNS0_4arch9wavefront6targetE1EEEvT1_
		.amdhsa_group_segment_fixed_size 0
		.amdhsa_private_segment_fixed_size 0
		.amdhsa_kernarg_size 120
		.amdhsa_user_sgpr_count 6
		.amdhsa_user_sgpr_private_segment_buffer 1
		.amdhsa_user_sgpr_dispatch_ptr 0
		.amdhsa_user_sgpr_queue_ptr 0
		.amdhsa_user_sgpr_kernarg_segment_ptr 1
		.amdhsa_user_sgpr_dispatch_id 0
		.amdhsa_user_sgpr_flat_scratch_init 0
		.amdhsa_user_sgpr_kernarg_preload_length 0
		.amdhsa_user_sgpr_kernarg_preload_offset 0
		.amdhsa_user_sgpr_private_segment_size 0
		.amdhsa_uses_dynamic_stack 0
		.amdhsa_system_sgpr_private_segment_wavefront_offset 0
		.amdhsa_system_sgpr_workgroup_id_x 1
		.amdhsa_system_sgpr_workgroup_id_y 0
		.amdhsa_system_sgpr_workgroup_id_z 0
		.amdhsa_system_sgpr_workgroup_info 0
		.amdhsa_system_vgpr_workitem_id 0
		.amdhsa_next_free_vgpr 1
		.amdhsa_next_free_sgpr 0
		.amdhsa_accum_offset 4
		.amdhsa_reserve_vcc 0
		.amdhsa_reserve_flat_scratch 0
		.amdhsa_float_round_mode_32 0
		.amdhsa_float_round_mode_16_64 0
		.amdhsa_float_denorm_mode_32 3
		.amdhsa_float_denorm_mode_16_64 3
		.amdhsa_dx10_clamp 1
		.amdhsa_ieee_mode 1
		.amdhsa_fp16_overflow 0
		.amdhsa_tg_split 0
		.amdhsa_exception_fp_ieee_invalid_op 0
		.amdhsa_exception_fp_denorm_src 0
		.amdhsa_exception_fp_ieee_div_zero 0
		.amdhsa_exception_fp_ieee_overflow 0
		.amdhsa_exception_fp_ieee_underflow 0
		.amdhsa_exception_fp_ieee_inexact 0
		.amdhsa_exception_int_div_zero 0
	.end_amdhsa_kernel
	.section	.text._ZN7rocprim17ROCPRIM_400000_NS6detail17trampoline_kernelINS0_14default_configENS1_25partition_config_selectorILNS1_17partition_subalgoE8ElNS0_10empty_typeEbEEZZNS1_14partition_implILS5_8ELb0ES3_jPlPS6_PKS6_NS0_5tupleIJS9_S6_EEENSD_IJSA_SA_EEENS0_18inequality_wrapperIZN2at6native12_GLOBAL__N_124unique_dim_cuda_templateIsEESt5tupleIJNSH_6TensorESM_SM_EERKSM_lbbbEUlllE0_EEPmJS6_EEE10hipError_tPvRmT3_T4_T5_T6_T7_T9_mT8_P12ihipStream_tbDpT10_ENKUlT_T0_E_clISt17integral_constantIbLb1EES1B_IbLb0EEEEDaS17_S18_EUlS17_E_NS1_11comp_targetILNS1_3genE10ELNS1_11target_archE1200ELNS1_3gpuE4ELNS1_3repE0EEENS1_30default_config_static_selectorELNS0_4arch9wavefront6targetE1EEEvT1_,"axG",@progbits,_ZN7rocprim17ROCPRIM_400000_NS6detail17trampoline_kernelINS0_14default_configENS1_25partition_config_selectorILNS1_17partition_subalgoE8ElNS0_10empty_typeEbEEZZNS1_14partition_implILS5_8ELb0ES3_jPlPS6_PKS6_NS0_5tupleIJS9_S6_EEENSD_IJSA_SA_EEENS0_18inequality_wrapperIZN2at6native12_GLOBAL__N_124unique_dim_cuda_templateIsEESt5tupleIJNSH_6TensorESM_SM_EERKSM_lbbbEUlllE0_EEPmJS6_EEE10hipError_tPvRmT3_T4_T5_T6_T7_T9_mT8_P12ihipStream_tbDpT10_ENKUlT_T0_E_clISt17integral_constantIbLb1EES1B_IbLb0EEEEDaS17_S18_EUlS17_E_NS1_11comp_targetILNS1_3genE10ELNS1_11target_archE1200ELNS1_3gpuE4ELNS1_3repE0EEENS1_30default_config_static_selectorELNS0_4arch9wavefront6targetE1EEEvT1_,comdat
.Lfunc_end706:
	.size	_ZN7rocprim17ROCPRIM_400000_NS6detail17trampoline_kernelINS0_14default_configENS1_25partition_config_selectorILNS1_17partition_subalgoE8ElNS0_10empty_typeEbEEZZNS1_14partition_implILS5_8ELb0ES3_jPlPS6_PKS6_NS0_5tupleIJS9_S6_EEENSD_IJSA_SA_EEENS0_18inequality_wrapperIZN2at6native12_GLOBAL__N_124unique_dim_cuda_templateIsEESt5tupleIJNSH_6TensorESM_SM_EERKSM_lbbbEUlllE0_EEPmJS6_EEE10hipError_tPvRmT3_T4_T5_T6_T7_T9_mT8_P12ihipStream_tbDpT10_ENKUlT_T0_E_clISt17integral_constantIbLb1EES1B_IbLb0EEEEDaS17_S18_EUlS17_E_NS1_11comp_targetILNS1_3genE10ELNS1_11target_archE1200ELNS1_3gpuE4ELNS1_3repE0EEENS1_30default_config_static_selectorELNS0_4arch9wavefront6targetE1EEEvT1_, .Lfunc_end706-_ZN7rocprim17ROCPRIM_400000_NS6detail17trampoline_kernelINS0_14default_configENS1_25partition_config_selectorILNS1_17partition_subalgoE8ElNS0_10empty_typeEbEEZZNS1_14partition_implILS5_8ELb0ES3_jPlPS6_PKS6_NS0_5tupleIJS9_S6_EEENSD_IJSA_SA_EEENS0_18inequality_wrapperIZN2at6native12_GLOBAL__N_124unique_dim_cuda_templateIsEESt5tupleIJNSH_6TensorESM_SM_EERKSM_lbbbEUlllE0_EEPmJS6_EEE10hipError_tPvRmT3_T4_T5_T6_T7_T9_mT8_P12ihipStream_tbDpT10_ENKUlT_T0_E_clISt17integral_constantIbLb1EES1B_IbLb0EEEEDaS17_S18_EUlS17_E_NS1_11comp_targetILNS1_3genE10ELNS1_11target_archE1200ELNS1_3gpuE4ELNS1_3repE0EEENS1_30default_config_static_selectorELNS0_4arch9wavefront6targetE1EEEvT1_
                                        ; -- End function
	.section	.AMDGPU.csdata,"",@progbits
; Kernel info:
; codeLenInByte = 0
; NumSgprs: 4
; NumVgprs: 0
; NumAgprs: 0
; TotalNumVgprs: 0
; ScratchSize: 0
; MemoryBound: 0
; FloatMode: 240
; IeeeMode: 1
; LDSByteSize: 0 bytes/workgroup (compile time only)
; SGPRBlocks: 0
; VGPRBlocks: 0
; NumSGPRsForWavesPerEU: 4
; NumVGPRsForWavesPerEU: 1
; AccumOffset: 4
; Occupancy: 8
; WaveLimiterHint : 0
; COMPUTE_PGM_RSRC2:SCRATCH_EN: 0
; COMPUTE_PGM_RSRC2:USER_SGPR: 6
; COMPUTE_PGM_RSRC2:TRAP_HANDLER: 0
; COMPUTE_PGM_RSRC2:TGID_X_EN: 1
; COMPUTE_PGM_RSRC2:TGID_Y_EN: 0
; COMPUTE_PGM_RSRC2:TGID_Z_EN: 0
; COMPUTE_PGM_RSRC2:TIDIG_COMP_CNT: 0
; COMPUTE_PGM_RSRC3_GFX90A:ACCUM_OFFSET: 0
; COMPUTE_PGM_RSRC3_GFX90A:TG_SPLIT: 0
	.section	.text._ZN7rocprim17ROCPRIM_400000_NS6detail17trampoline_kernelINS0_14default_configENS1_25partition_config_selectorILNS1_17partition_subalgoE8ElNS0_10empty_typeEbEEZZNS1_14partition_implILS5_8ELb0ES3_jPlPS6_PKS6_NS0_5tupleIJS9_S6_EEENSD_IJSA_SA_EEENS0_18inequality_wrapperIZN2at6native12_GLOBAL__N_124unique_dim_cuda_templateIsEESt5tupleIJNSH_6TensorESM_SM_EERKSM_lbbbEUlllE0_EEPmJS6_EEE10hipError_tPvRmT3_T4_T5_T6_T7_T9_mT8_P12ihipStream_tbDpT10_ENKUlT_T0_E_clISt17integral_constantIbLb1EES1B_IbLb0EEEEDaS17_S18_EUlS17_E_NS1_11comp_targetILNS1_3genE9ELNS1_11target_archE1100ELNS1_3gpuE3ELNS1_3repE0EEENS1_30default_config_static_selectorELNS0_4arch9wavefront6targetE1EEEvT1_,"axG",@progbits,_ZN7rocprim17ROCPRIM_400000_NS6detail17trampoline_kernelINS0_14default_configENS1_25partition_config_selectorILNS1_17partition_subalgoE8ElNS0_10empty_typeEbEEZZNS1_14partition_implILS5_8ELb0ES3_jPlPS6_PKS6_NS0_5tupleIJS9_S6_EEENSD_IJSA_SA_EEENS0_18inequality_wrapperIZN2at6native12_GLOBAL__N_124unique_dim_cuda_templateIsEESt5tupleIJNSH_6TensorESM_SM_EERKSM_lbbbEUlllE0_EEPmJS6_EEE10hipError_tPvRmT3_T4_T5_T6_T7_T9_mT8_P12ihipStream_tbDpT10_ENKUlT_T0_E_clISt17integral_constantIbLb1EES1B_IbLb0EEEEDaS17_S18_EUlS17_E_NS1_11comp_targetILNS1_3genE9ELNS1_11target_archE1100ELNS1_3gpuE3ELNS1_3repE0EEENS1_30default_config_static_selectorELNS0_4arch9wavefront6targetE1EEEvT1_,comdat
	.globl	_ZN7rocprim17ROCPRIM_400000_NS6detail17trampoline_kernelINS0_14default_configENS1_25partition_config_selectorILNS1_17partition_subalgoE8ElNS0_10empty_typeEbEEZZNS1_14partition_implILS5_8ELb0ES3_jPlPS6_PKS6_NS0_5tupleIJS9_S6_EEENSD_IJSA_SA_EEENS0_18inequality_wrapperIZN2at6native12_GLOBAL__N_124unique_dim_cuda_templateIsEESt5tupleIJNSH_6TensorESM_SM_EERKSM_lbbbEUlllE0_EEPmJS6_EEE10hipError_tPvRmT3_T4_T5_T6_T7_T9_mT8_P12ihipStream_tbDpT10_ENKUlT_T0_E_clISt17integral_constantIbLb1EES1B_IbLb0EEEEDaS17_S18_EUlS17_E_NS1_11comp_targetILNS1_3genE9ELNS1_11target_archE1100ELNS1_3gpuE3ELNS1_3repE0EEENS1_30default_config_static_selectorELNS0_4arch9wavefront6targetE1EEEvT1_ ; -- Begin function _ZN7rocprim17ROCPRIM_400000_NS6detail17trampoline_kernelINS0_14default_configENS1_25partition_config_selectorILNS1_17partition_subalgoE8ElNS0_10empty_typeEbEEZZNS1_14partition_implILS5_8ELb0ES3_jPlPS6_PKS6_NS0_5tupleIJS9_S6_EEENSD_IJSA_SA_EEENS0_18inequality_wrapperIZN2at6native12_GLOBAL__N_124unique_dim_cuda_templateIsEESt5tupleIJNSH_6TensorESM_SM_EERKSM_lbbbEUlllE0_EEPmJS6_EEE10hipError_tPvRmT3_T4_T5_T6_T7_T9_mT8_P12ihipStream_tbDpT10_ENKUlT_T0_E_clISt17integral_constantIbLb1EES1B_IbLb0EEEEDaS17_S18_EUlS17_E_NS1_11comp_targetILNS1_3genE9ELNS1_11target_archE1100ELNS1_3gpuE3ELNS1_3repE0EEENS1_30default_config_static_selectorELNS0_4arch9wavefront6targetE1EEEvT1_
	.p2align	8
	.type	_ZN7rocprim17ROCPRIM_400000_NS6detail17trampoline_kernelINS0_14default_configENS1_25partition_config_selectorILNS1_17partition_subalgoE8ElNS0_10empty_typeEbEEZZNS1_14partition_implILS5_8ELb0ES3_jPlPS6_PKS6_NS0_5tupleIJS9_S6_EEENSD_IJSA_SA_EEENS0_18inequality_wrapperIZN2at6native12_GLOBAL__N_124unique_dim_cuda_templateIsEESt5tupleIJNSH_6TensorESM_SM_EERKSM_lbbbEUlllE0_EEPmJS6_EEE10hipError_tPvRmT3_T4_T5_T6_T7_T9_mT8_P12ihipStream_tbDpT10_ENKUlT_T0_E_clISt17integral_constantIbLb1EES1B_IbLb0EEEEDaS17_S18_EUlS17_E_NS1_11comp_targetILNS1_3genE9ELNS1_11target_archE1100ELNS1_3gpuE3ELNS1_3repE0EEENS1_30default_config_static_selectorELNS0_4arch9wavefront6targetE1EEEvT1_,@function
_ZN7rocprim17ROCPRIM_400000_NS6detail17trampoline_kernelINS0_14default_configENS1_25partition_config_selectorILNS1_17partition_subalgoE8ElNS0_10empty_typeEbEEZZNS1_14partition_implILS5_8ELb0ES3_jPlPS6_PKS6_NS0_5tupleIJS9_S6_EEENSD_IJSA_SA_EEENS0_18inequality_wrapperIZN2at6native12_GLOBAL__N_124unique_dim_cuda_templateIsEESt5tupleIJNSH_6TensorESM_SM_EERKSM_lbbbEUlllE0_EEPmJS6_EEE10hipError_tPvRmT3_T4_T5_T6_T7_T9_mT8_P12ihipStream_tbDpT10_ENKUlT_T0_E_clISt17integral_constantIbLb1EES1B_IbLb0EEEEDaS17_S18_EUlS17_E_NS1_11comp_targetILNS1_3genE9ELNS1_11target_archE1100ELNS1_3gpuE3ELNS1_3repE0EEENS1_30default_config_static_selectorELNS0_4arch9wavefront6targetE1EEEvT1_: ; @_ZN7rocprim17ROCPRIM_400000_NS6detail17trampoline_kernelINS0_14default_configENS1_25partition_config_selectorILNS1_17partition_subalgoE8ElNS0_10empty_typeEbEEZZNS1_14partition_implILS5_8ELb0ES3_jPlPS6_PKS6_NS0_5tupleIJS9_S6_EEENSD_IJSA_SA_EEENS0_18inequality_wrapperIZN2at6native12_GLOBAL__N_124unique_dim_cuda_templateIsEESt5tupleIJNSH_6TensorESM_SM_EERKSM_lbbbEUlllE0_EEPmJS6_EEE10hipError_tPvRmT3_T4_T5_T6_T7_T9_mT8_P12ihipStream_tbDpT10_ENKUlT_T0_E_clISt17integral_constantIbLb1EES1B_IbLb0EEEEDaS17_S18_EUlS17_E_NS1_11comp_targetILNS1_3genE9ELNS1_11target_archE1100ELNS1_3gpuE3ELNS1_3repE0EEENS1_30default_config_static_selectorELNS0_4arch9wavefront6targetE1EEEvT1_
; %bb.0:
	.section	.rodata,"a",@progbits
	.p2align	6, 0x0
	.amdhsa_kernel _ZN7rocprim17ROCPRIM_400000_NS6detail17trampoline_kernelINS0_14default_configENS1_25partition_config_selectorILNS1_17partition_subalgoE8ElNS0_10empty_typeEbEEZZNS1_14partition_implILS5_8ELb0ES3_jPlPS6_PKS6_NS0_5tupleIJS9_S6_EEENSD_IJSA_SA_EEENS0_18inequality_wrapperIZN2at6native12_GLOBAL__N_124unique_dim_cuda_templateIsEESt5tupleIJNSH_6TensorESM_SM_EERKSM_lbbbEUlllE0_EEPmJS6_EEE10hipError_tPvRmT3_T4_T5_T6_T7_T9_mT8_P12ihipStream_tbDpT10_ENKUlT_T0_E_clISt17integral_constantIbLb1EES1B_IbLb0EEEEDaS17_S18_EUlS17_E_NS1_11comp_targetILNS1_3genE9ELNS1_11target_archE1100ELNS1_3gpuE3ELNS1_3repE0EEENS1_30default_config_static_selectorELNS0_4arch9wavefront6targetE1EEEvT1_
		.amdhsa_group_segment_fixed_size 0
		.amdhsa_private_segment_fixed_size 0
		.amdhsa_kernarg_size 120
		.amdhsa_user_sgpr_count 6
		.amdhsa_user_sgpr_private_segment_buffer 1
		.amdhsa_user_sgpr_dispatch_ptr 0
		.amdhsa_user_sgpr_queue_ptr 0
		.amdhsa_user_sgpr_kernarg_segment_ptr 1
		.amdhsa_user_sgpr_dispatch_id 0
		.amdhsa_user_sgpr_flat_scratch_init 0
		.amdhsa_user_sgpr_kernarg_preload_length 0
		.amdhsa_user_sgpr_kernarg_preload_offset 0
		.amdhsa_user_sgpr_private_segment_size 0
		.amdhsa_uses_dynamic_stack 0
		.amdhsa_system_sgpr_private_segment_wavefront_offset 0
		.amdhsa_system_sgpr_workgroup_id_x 1
		.amdhsa_system_sgpr_workgroup_id_y 0
		.amdhsa_system_sgpr_workgroup_id_z 0
		.amdhsa_system_sgpr_workgroup_info 0
		.amdhsa_system_vgpr_workitem_id 0
		.amdhsa_next_free_vgpr 1
		.amdhsa_next_free_sgpr 0
		.amdhsa_accum_offset 4
		.amdhsa_reserve_vcc 0
		.amdhsa_reserve_flat_scratch 0
		.amdhsa_float_round_mode_32 0
		.amdhsa_float_round_mode_16_64 0
		.amdhsa_float_denorm_mode_32 3
		.amdhsa_float_denorm_mode_16_64 3
		.amdhsa_dx10_clamp 1
		.amdhsa_ieee_mode 1
		.amdhsa_fp16_overflow 0
		.amdhsa_tg_split 0
		.amdhsa_exception_fp_ieee_invalid_op 0
		.amdhsa_exception_fp_denorm_src 0
		.amdhsa_exception_fp_ieee_div_zero 0
		.amdhsa_exception_fp_ieee_overflow 0
		.amdhsa_exception_fp_ieee_underflow 0
		.amdhsa_exception_fp_ieee_inexact 0
		.amdhsa_exception_int_div_zero 0
	.end_amdhsa_kernel
	.section	.text._ZN7rocprim17ROCPRIM_400000_NS6detail17trampoline_kernelINS0_14default_configENS1_25partition_config_selectorILNS1_17partition_subalgoE8ElNS0_10empty_typeEbEEZZNS1_14partition_implILS5_8ELb0ES3_jPlPS6_PKS6_NS0_5tupleIJS9_S6_EEENSD_IJSA_SA_EEENS0_18inequality_wrapperIZN2at6native12_GLOBAL__N_124unique_dim_cuda_templateIsEESt5tupleIJNSH_6TensorESM_SM_EERKSM_lbbbEUlllE0_EEPmJS6_EEE10hipError_tPvRmT3_T4_T5_T6_T7_T9_mT8_P12ihipStream_tbDpT10_ENKUlT_T0_E_clISt17integral_constantIbLb1EES1B_IbLb0EEEEDaS17_S18_EUlS17_E_NS1_11comp_targetILNS1_3genE9ELNS1_11target_archE1100ELNS1_3gpuE3ELNS1_3repE0EEENS1_30default_config_static_selectorELNS0_4arch9wavefront6targetE1EEEvT1_,"axG",@progbits,_ZN7rocprim17ROCPRIM_400000_NS6detail17trampoline_kernelINS0_14default_configENS1_25partition_config_selectorILNS1_17partition_subalgoE8ElNS0_10empty_typeEbEEZZNS1_14partition_implILS5_8ELb0ES3_jPlPS6_PKS6_NS0_5tupleIJS9_S6_EEENSD_IJSA_SA_EEENS0_18inequality_wrapperIZN2at6native12_GLOBAL__N_124unique_dim_cuda_templateIsEESt5tupleIJNSH_6TensorESM_SM_EERKSM_lbbbEUlllE0_EEPmJS6_EEE10hipError_tPvRmT3_T4_T5_T6_T7_T9_mT8_P12ihipStream_tbDpT10_ENKUlT_T0_E_clISt17integral_constantIbLb1EES1B_IbLb0EEEEDaS17_S18_EUlS17_E_NS1_11comp_targetILNS1_3genE9ELNS1_11target_archE1100ELNS1_3gpuE3ELNS1_3repE0EEENS1_30default_config_static_selectorELNS0_4arch9wavefront6targetE1EEEvT1_,comdat
.Lfunc_end707:
	.size	_ZN7rocprim17ROCPRIM_400000_NS6detail17trampoline_kernelINS0_14default_configENS1_25partition_config_selectorILNS1_17partition_subalgoE8ElNS0_10empty_typeEbEEZZNS1_14partition_implILS5_8ELb0ES3_jPlPS6_PKS6_NS0_5tupleIJS9_S6_EEENSD_IJSA_SA_EEENS0_18inequality_wrapperIZN2at6native12_GLOBAL__N_124unique_dim_cuda_templateIsEESt5tupleIJNSH_6TensorESM_SM_EERKSM_lbbbEUlllE0_EEPmJS6_EEE10hipError_tPvRmT3_T4_T5_T6_T7_T9_mT8_P12ihipStream_tbDpT10_ENKUlT_T0_E_clISt17integral_constantIbLb1EES1B_IbLb0EEEEDaS17_S18_EUlS17_E_NS1_11comp_targetILNS1_3genE9ELNS1_11target_archE1100ELNS1_3gpuE3ELNS1_3repE0EEENS1_30default_config_static_selectorELNS0_4arch9wavefront6targetE1EEEvT1_, .Lfunc_end707-_ZN7rocprim17ROCPRIM_400000_NS6detail17trampoline_kernelINS0_14default_configENS1_25partition_config_selectorILNS1_17partition_subalgoE8ElNS0_10empty_typeEbEEZZNS1_14partition_implILS5_8ELb0ES3_jPlPS6_PKS6_NS0_5tupleIJS9_S6_EEENSD_IJSA_SA_EEENS0_18inequality_wrapperIZN2at6native12_GLOBAL__N_124unique_dim_cuda_templateIsEESt5tupleIJNSH_6TensorESM_SM_EERKSM_lbbbEUlllE0_EEPmJS6_EEE10hipError_tPvRmT3_T4_T5_T6_T7_T9_mT8_P12ihipStream_tbDpT10_ENKUlT_T0_E_clISt17integral_constantIbLb1EES1B_IbLb0EEEEDaS17_S18_EUlS17_E_NS1_11comp_targetILNS1_3genE9ELNS1_11target_archE1100ELNS1_3gpuE3ELNS1_3repE0EEENS1_30default_config_static_selectorELNS0_4arch9wavefront6targetE1EEEvT1_
                                        ; -- End function
	.section	.AMDGPU.csdata,"",@progbits
; Kernel info:
; codeLenInByte = 0
; NumSgprs: 4
; NumVgprs: 0
; NumAgprs: 0
; TotalNumVgprs: 0
; ScratchSize: 0
; MemoryBound: 0
; FloatMode: 240
; IeeeMode: 1
; LDSByteSize: 0 bytes/workgroup (compile time only)
; SGPRBlocks: 0
; VGPRBlocks: 0
; NumSGPRsForWavesPerEU: 4
; NumVGPRsForWavesPerEU: 1
; AccumOffset: 4
; Occupancy: 8
; WaveLimiterHint : 0
; COMPUTE_PGM_RSRC2:SCRATCH_EN: 0
; COMPUTE_PGM_RSRC2:USER_SGPR: 6
; COMPUTE_PGM_RSRC2:TRAP_HANDLER: 0
; COMPUTE_PGM_RSRC2:TGID_X_EN: 1
; COMPUTE_PGM_RSRC2:TGID_Y_EN: 0
; COMPUTE_PGM_RSRC2:TGID_Z_EN: 0
; COMPUTE_PGM_RSRC2:TIDIG_COMP_CNT: 0
; COMPUTE_PGM_RSRC3_GFX90A:ACCUM_OFFSET: 0
; COMPUTE_PGM_RSRC3_GFX90A:TG_SPLIT: 0
	.section	.text._ZN7rocprim17ROCPRIM_400000_NS6detail17trampoline_kernelINS0_14default_configENS1_25partition_config_selectorILNS1_17partition_subalgoE8ElNS0_10empty_typeEbEEZZNS1_14partition_implILS5_8ELb0ES3_jPlPS6_PKS6_NS0_5tupleIJS9_S6_EEENSD_IJSA_SA_EEENS0_18inequality_wrapperIZN2at6native12_GLOBAL__N_124unique_dim_cuda_templateIsEESt5tupleIJNSH_6TensorESM_SM_EERKSM_lbbbEUlllE0_EEPmJS6_EEE10hipError_tPvRmT3_T4_T5_T6_T7_T9_mT8_P12ihipStream_tbDpT10_ENKUlT_T0_E_clISt17integral_constantIbLb1EES1B_IbLb0EEEEDaS17_S18_EUlS17_E_NS1_11comp_targetILNS1_3genE8ELNS1_11target_archE1030ELNS1_3gpuE2ELNS1_3repE0EEENS1_30default_config_static_selectorELNS0_4arch9wavefront6targetE1EEEvT1_,"axG",@progbits,_ZN7rocprim17ROCPRIM_400000_NS6detail17trampoline_kernelINS0_14default_configENS1_25partition_config_selectorILNS1_17partition_subalgoE8ElNS0_10empty_typeEbEEZZNS1_14partition_implILS5_8ELb0ES3_jPlPS6_PKS6_NS0_5tupleIJS9_S6_EEENSD_IJSA_SA_EEENS0_18inequality_wrapperIZN2at6native12_GLOBAL__N_124unique_dim_cuda_templateIsEESt5tupleIJNSH_6TensorESM_SM_EERKSM_lbbbEUlllE0_EEPmJS6_EEE10hipError_tPvRmT3_T4_T5_T6_T7_T9_mT8_P12ihipStream_tbDpT10_ENKUlT_T0_E_clISt17integral_constantIbLb1EES1B_IbLb0EEEEDaS17_S18_EUlS17_E_NS1_11comp_targetILNS1_3genE8ELNS1_11target_archE1030ELNS1_3gpuE2ELNS1_3repE0EEENS1_30default_config_static_selectorELNS0_4arch9wavefront6targetE1EEEvT1_,comdat
	.globl	_ZN7rocprim17ROCPRIM_400000_NS6detail17trampoline_kernelINS0_14default_configENS1_25partition_config_selectorILNS1_17partition_subalgoE8ElNS0_10empty_typeEbEEZZNS1_14partition_implILS5_8ELb0ES3_jPlPS6_PKS6_NS0_5tupleIJS9_S6_EEENSD_IJSA_SA_EEENS0_18inequality_wrapperIZN2at6native12_GLOBAL__N_124unique_dim_cuda_templateIsEESt5tupleIJNSH_6TensorESM_SM_EERKSM_lbbbEUlllE0_EEPmJS6_EEE10hipError_tPvRmT3_T4_T5_T6_T7_T9_mT8_P12ihipStream_tbDpT10_ENKUlT_T0_E_clISt17integral_constantIbLb1EES1B_IbLb0EEEEDaS17_S18_EUlS17_E_NS1_11comp_targetILNS1_3genE8ELNS1_11target_archE1030ELNS1_3gpuE2ELNS1_3repE0EEENS1_30default_config_static_selectorELNS0_4arch9wavefront6targetE1EEEvT1_ ; -- Begin function _ZN7rocprim17ROCPRIM_400000_NS6detail17trampoline_kernelINS0_14default_configENS1_25partition_config_selectorILNS1_17partition_subalgoE8ElNS0_10empty_typeEbEEZZNS1_14partition_implILS5_8ELb0ES3_jPlPS6_PKS6_NS0_5tupleIJS9_S6_EEENSD_IJSA_SA_EEENS0_18inequality_wrapperIZN2at6native12_GLOBAL__N_124unique_dim_cuda_templateIsEESt5tupleIJNSH_6TensorESM_SM_EERKSM_lbbbEUlllE0_EEPmJS6_EEE10hipError_tPvRmT3_T4_T5_T6_T7_T9_mT8_P12ihipStream_tbDpT10_ENKUlT_T0_E_clISt17integral_constantIbLb1EES1B_IbLb0EEEEDaS17_S18_EUlS17_E_NS1_11comp_targetILNS1_3genE8ELNS1_11target_archE1030ELNS1_3gpuE2ELNS1_3repE0EEENS1_30default_config_static_selectorELNS0_4arch9wavefront6targetE1EEEvT1_
	.p2align	8
	.type	_ZN7rocprim17ROCPRIM_400000_NS6detail17trampoline_kernelINS0_14default_configENS1_25partition_config_selectorILNS1_17partition_subalgoE8ElNS0_10empty_typeEbEEZZNS1_14partition_implILS5_8ELb0ES3_jPlPS6_PKS6_NS0_5tupleIJS9_S6_EEENSD_IJSA_SA_EEENS0_18inequality_wrapperIZN2at6native12_GLOBAL__N_124unique_dim_cuda_templateIsEESt5tupleIJNSH_6TensorESM_SM_EERKSM_lbbbEUlllE0_EEPmJS6_EEE10hipError_tPvRmT3_T4_T5_T6_T7_T9_mT8_P12ihipStream_tbDpT10_ENKUlT_T0_E_clISt17integral_constantIbLb1EES1B_IbLb0EEEEDaS17_S18_EUlS17_E_NS1_11comp_targetILNS1_3genE8ELNS1_11target_archE1030ELNS1_3gpuE2ELNS1_3repE0EEENS1_30default_config_static_selectorELNS0_4arch9wavefront6targetE1EEEvT1_,@function
_ZN7rocprim17ROCPRIM_400000_NS6detail17trampoline_kernelINS0_14default_configENS1_25partition_config_selectorILNS1_17partition_subalgoE8ElNS0_10empty_typeEbEEZZNS1_14partition_implILS5_8ELb0ES3_jPlPS6_PKS6_NS0_5tupleIJS9_S6_EEENSD_IJSA_SA_EEENS0_18inequality_wrapperIZN2at6native12_GLOBAL__N_124unique_dim_cuda_templateIsEESt5tupleIJNSH_6TensorESM_SM_EERKSM_lbbbEUlllE0_EEPmJS6_EEE10hipError_tPvRmT3_T4_T5_T6_T7_T9_mT8_P12ihipStream_tbDpT10_ENKUlT_T0_E_clISt17integral_constantIbLb1EES1B_IbLb0EEEEDaS17_S18_EUlS17_E_NS1_11comp_targetILNS1_3genE8ELNS1_11target_archE1030ELNS1_3gpuE2ELNS1_3repE0EEENS1_30default_config_static_selectorELNS0_4arch9wavefront6targetE1EEEvT1_: ; @_ZN7rocprim17ROCPRIM_400000_NS6detail17trampoline_kernelINS0_14default_configENS1_25partition_config_selectorILNS1_17partition_subalgoE8ElNS0_10empty_typeEbEEZZNS1_14partition_implILS5_8ELb0ES3_jPlPS6_PKS6_NS0_5tupleIJS9_S6_EEENSD_IJSA_SA_EEENS0_18inequality_wrapperIZN2at6native12_GLOBAL__N_124unique_dim_cuda_templateIsEESt5tupleIJNSH_6TensorESM_SM_EERKSM_lbbbEUlllE0_EEPmJS6_EEE10hipError_tPvRmT3_T4_T5_T6_T7_T9_mT8_P12ihipStream_tbDpT10_ENKUlT_T0_E_clISt17integral_constantIbLb1EES1B_IbLb0EEEEDaS17_S18_EUlS17_E_NS1_11comp_targetILNS1_3genE8ELNS1_11target_archE1030ELNS1_3gpuE2ELNS1_3repE0EEENS1_30default_config_static_selectorELNS0_4arch9wavefront6targetE1EEEvT1_
; %bb.0:
	.section	.rodata,"a",@progbits
	.p2align	6, 0x0
	.amdhsa_kernel _ZN7rocprim17ROCPRIM_400000_NS6detail17trampoline_kernelINS0_14default_configENS1_25partition_config_selectorILNS1_17partition_subalgoE8ElNS0_10empty_typeEbEEZZNS1_14partition_implILS5_8ELb0ES3_jPlPS6_PKS6_NS0_5tupleIJS9_S6_EEENSD_IJSA_SA_EEENS0_18inequality_wrapperIZN2at6native12_GLOBAL__N_124unique_dim_cuda_templateIsEESt5tupleIJNSH_6TensorESM_SM_EERKSM_lbbbEUlllE0_EEPmJS6_EEE10hipError_tPvRmT3_T4_T5_T6_T7_T9_mT8_P12ihipStream_tbDpT10_ENKUlT_T0_E_clISt17integral_constantIbLb1EES1B_IbLb0EEEEDaS17_S18_EUlS17_E_NS1_11comp_targetILNS1_3genE8ELNS1_11target_archE1030ELNS1_3gpuE2ELNS1_3repE0EEENS1_30default_config_static_selectorELNS0_4arch9wavefront6targetE1EEEvT1_
		.amdhsa_group_segment_fixed_size 0
		.amdhsa_private_segment_fixed_size 0
		.amdhsa_kernarg_size 120
		.amdhsa_user_sgpr_count 6
		.amdhsa_user_sgpr_private_segment_buffer 1
		.amdhsa_user_sgpr_dispatch_ptr 0
		.amdhsa_user_sgpr_queue_ptr 0
		.amdhsa_user_sgpr_kernarg_segment_ptr 1
		.amdhsa_user_sgpr_dispatch_id 0
		.amdhsa_user_sgpr_flat_scratch_init 0
		.amdhsa_user_sgpr_kernarg_preload_length 0
		.amdhsa_user_sgpr_kernarg_preload_offset 0
		.amdhsa_user_sgpr_private_segment_size 0
		.amdhsa_uses_dynamic_stack 0
		.amdhsa_system_sgpr_private_segment_wavefront_offset 0
		.amdhsa_system_sgpr_workgroup_id_x 1
		.amdhsa_system_sgpr_workgroup_id_y 0
		.amdhsa_system_sgpr_workgroup_id_z 0
		.amdhsa_system_sgpr_workgroup_info 0
		.amdhsa_system_vgpr_workitem_id 0
		.amdhsa_next_free_vgpr 1
		.amdhsa_next_free_sgpr 0
		.amdhsa_accum_offset 4
		.amdhsa_reserve_vcc 0
		.amdhsa_reserve_flat_scratch 0
		.amdhsa_float_round_mode_32 0
		.amdhsa_float_round_mode_16_64 0
		.amdhsa_float_denorm_mode_32 3
		.amdhsa_float_denorm_mode_16_64 3
		.amdhsa_dx10_clamp 1
		.amdhsa_ieee_mode 1
		.amdhsa_fp16_overflow 0
		.amdhsa_tg_split 0
		.amdhsa_exception_fp_ieee_invalid_op 0
		.amdhsa_exception_fp_denorm_src 0
		.amdhsa_exception_fp_ieee_div_zero 0
		.amdhsa_exception_fp_ieee_overflow 0
		.amdhsa_exception_fp_ieee_underflow 0
		.amdhsa_exception_fp_ieee_inexact 0
		.amdhsa_exception_int_div_zero 0
	.end_amdhsa_kernel
	.section	.text._ZN7rocprim17ROCPRIM_400000_NS6detail17trampoline_kernelINS0_14default_configENS1_25partition_config_selectorILNS1_17partition_subalgoE8ElNS0_10empty_typeEbEEZZNS1_14partition_implILS5_8ELb0ES3_jPlPS6_PKS6_NS0_5tupleIJS9_S6_EEENSD_IJSA_SA_EEENS0_18inequality_wrapperIZN2at6native12_GLOBAL__N_124unique_dim_cuda_templateIsEESt5tupleIJNSH_6TensorESM_SM_EERKSM_lbbbEUlllE0_EEPmJS6_EEE10hipError_tPvRmT3_T4_T5_T6_T7_T9_mT8_P12ihipStream_tbDpT10_ENKUlT_T0_E_clISt17integral_constantIbLb1EES1B_IbLb0EEEEDaS17_S18_EUlS17_E_NS1_11comp_targetILNS1_3genE8ELNS1_11target_archE1030ELNS1_3gpuE2ELNS1_3repE0EEENS1_30default_config_static_selectorELNS0_4arch9wavefront6targetE1EEEvT1_,"axG",@progbits,_ZN7rocprim17ROCPRIM_400000_NS6detail17trampoline_kernelINS0_14default_configENS1_25partition_config_selectorILNS1_17partition_subalgoE8ElNS0_10empty_typeEbEEZZNS1_14partition_implILS5_8ELb0ES3_jPlPS6_PKS6_NS0_5tupleIJS9_S6_EEENSD_IJSA_SA_EEENS0_18inequality_wrapperIZN2at6native12_GLOBAL__N_124unique_dim_cuda_templateIsEESt5tupleIJNSH_6TensorESM_SM_EERKSM_lbbbEUlllE0_EEPmJS6_EEE10hipError_tPvRmT3_T4_T5_T6_T7_T9_mT8_P12ihipStream_tbDpT10_ENKUlT_T0_E_clISt17integral_constantIbLb1EES1B_IbLb0EEEEDaS17_S18_EUlS17_E_NS1_11comp_targetILNS1_3genE8ELNS1_11target_archE1030ELNS1_3gpuE2ELNS1_3repE0EEENS1_30default_config_static_selectorELNS0_4arch9wavefront6targetE1EEEvT1_,comdat
.Lfunc_end708:
	.size	_ZN7rocprim17ROCPRIM_400000_NS6detail17trampoline_kernelINS0_14default_configENS1_25partition_config_selectorILNS1_17partition_subalgoE8ElNS0_10empty_typeEbEEZZNS1_14partition_implILS5_8ELb0ES3_jPlPS6_PKS6_NS0_5tupleIJS9_S6_EEENSD_IJSA_SA_EEENS0_18inequality_wrapperIZN2at6native12_GLOBAL__N_124unique_dim_cuda_templateIsEESt5tupleIJNSH_6TensorESM_SM_EERKSM_lbbbEUlllE0_EEPmJS6_EEE10hipError_tPvRmT3_T4_T5_T6_T7_T9_mT8_P12ihipStream_tbDpT10_ENKUlT_T0_E_clISt17integral_constantIbLb1EES1B_IbLb0EEEEDaS17_S18_EUlS17_E_NS1_11comp_targetILNS1_3genE8ELNS1_11target_archE1030ELNS1_3gpuE2ELNS1_3repE0EEENS1_30default_config_static_selectorELNS0_4arch9wavefront6targetE1EEEvT1_, .Lfunc_end708-_ZN7rocprim17ROCPRIM_400000_NS6detail17trampoline_kernelINS0_14default_configENS1_25partition_config_selectorILNS1_17partition_subalgoE8ElNS0_10empty_typeEbEEZZNS1_14partition_implILS5_8ELb0ES3_jPlPS6_PKS6_NS0_5tupleIJS9_S6_EEENSD_IJSA_SA_EEENS0_18inequality_wrapperIZN2at6native12_GLOBAL__N_124unique_dim_cuda_templateIsEESt5tupleIJNSH_6TensorESM_SM_EERKSM_lbbbEUlllE0_EEPmJS6_EEE10hipError_tPvRmT3_T4_T5_T6_T7_T9_mT8_P12ihipStream_tbDpT10_ENKUlT_T0_E_clISt17integral_constantIbLb1EES1B_IbLb0EEEEDaS17_S18_EUlS17_E_NS1_11comp_targetILNS1_3genE8ELNS1_11target_archE1030ELNS1_3gpuE2ELNS1_3repE0EEENS1_30default_config_static_selectorELNS0_4arch9wavefront6targetE1EEEvT1_
                                        ; -- End function
	.section	.AMDGPU.csdata,"",@progbits
; Kernel info:
; codeLenInByte = 0
; NumSgprs: 4
; NumVgprs: 0
; NumAgprs: 0
; TotalNumVgprs: 0
; ScratchSize: 0
; MemoryBound: 0
; FloatMode: 240
; IeeeMode: 1
; LDSByteSize: 0 bytes/workgroup (compile time only)
; SGPRBlocks: 0
; VGPRBlocks: 0
; NumSGPRsForWavesPerEU: 4
; NumVGPRsForWavesPerEU: 1
; AccumOffset: 4
; Occupancy: 8
; WaveLimiterHint : 0
; COMPUTE_PGM_RSRC2:SCRATCH_EN: 0
; COMPUTE_PGM_RSRC2:USER_SGPR: 6
; COMPUTE_PGM_RSRC2:TRAP_HANDLER: 0
; COMPUTE_PGM_RSRC2:TGID_X_EN: 1
; COMPUTE_PGM_RSRC2:TGID_Y_EN: 0
; COMPUTE_PGM_RSRC2:TGID_Z_EN: 0
; COMPUTE_PGM_RSRC2:TIDIG_COMP_CNT: 0
; COMPUTE_PGM_RSRC3_GFX90A:ACCUM_OFFSET: 0
; COMPUTE_PGM_RSRC3_GFX90A:TG_SPLIT: 0
	.section	.text._ZN7rocprim17ROCPRIM_400000_NS6detail17trampoline_kernelINS0_14default_configENS1_25partition_config_selectorILNS1_17partition_subalgoE8ElNS0_10empty_typeEbEEZZNS1_14partition_implILS5_8ELb0ES3_jPlPS6_PKS6_NS0_5tupleIJS9_S6_EEENSD_IJSA_SA_EEENS0_18inequality_wrapperIZN2at6native12_GLOBAL__N_124unique_dim_cuda_templateIsEESt5tupleIJNSH_6TensorESM_SM_EERKSM_lbbbEUlllE0_EEPmJS6_EEE10hipError_tPvRmT3_T4_T5_T6_T7_T9_mT8_P12ihipStream_tbDpT10_ENKUlT_T0_E_clISt17integral_constantIbLb0EES1B_IbLb1EEEEDaS17_S18_EUlS17_E_NS1_11comp_targetILNS1_3genE0ELNS1_11target_archE4294967295ELNS1_3gpuE0ELNS1_3repE0EEENS1_30default_config_static_selectorELNS0_4arch9wavefront6targetE1EEEvT1_,"axG",@progbits,_ZN7rocprim17ROCPRIM_400000_NS6detail17trampoline_kernelINS0_14default_configENS1_25partition_config_selectorILNS1_17partition_subalgoE8ElNS0_10empty_typeEbEEZZNS1_14partition_implILS5_8ELb0ES3_jPlPS6_PKS6_NS0_5tupleIJS9_S6_EEENSD_IJSA_SA_EEENS0_18inequality_wrapperIZN2at6native12_GLOBAL__N_124unique_dim_cuda_templateIsEESt5tupleIJNSH_6TensorESM_SM_EERKSM_lbbbEUlllE0_EEPmJS6_EEE10hipError_tPvRmT3_T4_T5_T6_T7_T9_mT8_P12ihipStream_tbDpT10_ENKUlT_T0_E_clISt17integral_constantIbLb0EES1B_IbLb1EEEEDaS17_S18_EUlS17_E_NS1_11comp_targetILNS1_3genE0ELNS1_11target_archE4294967295ELNS1_3gpuE0ELNS1_3repE0EEENS1_30default_config_static_selectorELNS0_4arch9wavefront6targetE1EEEvT1_,comdat
	.globl	_ZN7rocprim17ROCPRIM_400000_NS6detail17trampoline_kernelINS0_14default_configENS1_25partition_config_selectorILNS1_17partition_subalgoE8ElNS0_10empty_typeEbEEZZNS1_14partition_implILS5_8ELb0ES3_jPlPS6_PKS6_NS0_5tupleIJS9_S6_EEENSD_IJSA_SA_EEENS0_18inequality_wrapperIZN2at6native12_GLOBAL__N_124unique_dim_cuda_templateIsEESt5tupleIJNSH_6TensorESM_SM_EERKSM_lbbbEUlllE0_EEPmJS6_EEE10hipError_tPvRmT3_T4_T5_T6_T7_T9_mT8_P12ihipStream_tbDpT10_ENKUlT_T0_E_clISt17integral_constantIbLb0EES1B_IbLb1EEEEDaS17_S18_EUlS17_E_NS1_11comp_targetILNS1_3genE0ELNS1_11target_archE4294967295ELNS1_3gpuE0ELNS1_3repE0EEENS1_30default_config_static_selectorELNS0_4arch9wavefront6targetE1EEEvT1_ ; -- Begin function _ZN7rocprim17ROCPRIM_400000_NS6detail17trampoline_kernelINS0_14default_configENS1_25partition_config_selectorILNS1_17partition_subalgoE8ElNS0_10empty_typeEbEEZZNS1_14partition_implILS5_8ELb0ES3_jPlPS6_PKS6_NS0_5tupleIJS9_S6_EEENSD_IJSA_SA_EEENS0_18inequality_wrapperIZN2at6native12_GLOBAL__N_124unique_dim_cuda_templateIsEESt5tupleIJNSH_6TensorESM_SM_EERKSM_lbbbEUlllE0_EEPmJS6_EEE10hipError_tPvRmT3_T4_T5_T6_T7_T9_mT8_P12ihipStream_tbDpT10_ENKUlT_T0_E_clISt17integral_constantIbLb0EES1B_IbLb1EEEEDaS17_S18_EUlS17_E_NS1_11comp_targetILNS1_3genE0ELNS1_11target_archE4294967295ELNS1_3gpuE0ELNS1_3repE0EEENS1_30default_config_static_selectorELNS0_4arch9wavefront6targetE1EEEvT1_
	.p2align	8
	.type	_ZN7rocprim17ROCPRIM_400000_NS6detail17trampoline_kernelINS0_14default_configENS1_25partition_config_selectorILNS1_17partition_subalgoE8ElNS0_10empty_typeEbEEZZNS1_14partition_implILS5_8ELb0ES3_jPlPS6_PKS6_NS0_5tupleIJS9_S6_EEENSD_IJSA_SA_EEENS0_18inequality_wrapperIZN2at6native12_GLOBAL__N_124unique_dim_cuda_templateIsEESt5tupleIJNSH_6TensorESM_SM_EERKSM_lbbbEUlllE0_EEPmJS6_EEE10hipError_tPvRmT3_T4_T5_T6_T7_T9_mT8_P12ihipStream_tbDpT10_ENKUlT_T0_E_clISt17integral_constantIbLb0EES1B_IbLb1EEEEDaS17_S18_EUlS17_E_NS1_11comp_targetILNS1_3genE0ELNS1_11target_archE4294967295ELNS1_3gpuE0ELNS1_3repE0EEENS1_30default_config_static_selectorELNS0_4arch9wavefront6targetE1EEEvT1_,@function
_ZN7rocprim17ROCPRIM_400000_NS6detail17trampoline_kernelINS0_14default_configENS1_25partition_config_selectorILNS1_17partition_subalgoE8ElNS0_10empty_typeEbEEZZNS1_14partition_implILS5_8ELb0ES3_jPlPS6_PKS6_NS0_5tupleIJS9_S6_EEENSD_IJSA_SA_EEENS0_18inequality_wrapperIZN2at6native12_GLOBAL__N_124unique_dim_cuda_templateIsEESt5tupleIJNSH_6TensorESM_SM_EERKSM_lbbbEUlllE0_EEPmJS6_EEE10hipError_tPvRmT3_T4_T5_T6_T7_T9_mT8_P12ihipStream_tbDpT10_ENKUlT_T0_E_clISt17integral_constantIbLb0EES1B_IbLb1EEEEDaS17_S18_EUlS17_E_NS1_11comp_targetILNS1_3genE0ELNS1_11target_archE4294967295ELNS1_3gpuE0ELNS1_3repE0EEENS1_30default_config_static_selectorELNS0_4arch9wavefront6targetE1EEEvT1_: ; @_ZN7rocprim17ROCPRIM_400000_NS6detail17trampoline_kernelINS0_14default_configENS1_25partition_config_selectorILNS1_17partition_subalgoE8ElNS0_10empty_typeEbEEZZNS1_14partition_implILS5_8ELb0ES3_jPlPS6_PKS6_NS0_5tupleIJS9_S6_EEENSD_IJSA_SA_EEENS0_18inequality_wrapperIZN2at6native12_GLOBAL__N_124unique_dim_cuda_templateIsEESt5tupleIJNSH_6TensorESM_SM_EERKSM_lbbbEUlllE0_EEPmJS6_EEE10hipError_tPvRmT3_T4_T5_T6_T7_T9_mT8_P12ihipStream_tbDpT10_ENKUlT_T0_E_clISt17integral_constantIbLb0EES1B_IbLb1EEEEDaS17_S18_EUlS17_E_NS1_11comp_targetILNS1_3genE0ELNS1_11target_archE4294967295ELNS1_3gpuE0ELNS1_3repE0EEENS1_30default_config_static_selectorELNS0_4arch9wavefront6targetE1EEEvT1_
; %bb.0:
	.section	.rodata,"a",@progbits
	.p2align	6, 0x0
	.amdhsa_kernel _ZN7rocprim17ROCPRIM_400000_NS6detail17trampoline_kernelINS0_14default_configENS1_25partition_config_selectorILNS1_17partition_subalgoE8ElNS0_10empty_typeEbEEZZNS1_14partition_implILS5_8ELb0ES3_jPlPS6_PKS6_NS0_5tupleIJS9_S6_EEENSD_IJSA_SA_EEENS0_18inequality_wrapperIZN2at6native12_GLOBAL__N_124unique_dim_cuda_templateIsEESt5tupleIJNSH_6TensorESM_SM_EERKSM_lbbbEUlllE0_EEPmJS6_EEE10hipError_tPvRmT3_T4_T5_T6_T7_T9_mT8_P12ihipStream_tbDpT10_ENKUlT_T0_E_clISt17integral_constantIbLb0EES1B_IbLb1EEEEDaS17_S18_EUlS17_E_NS1_11comp_targetILNS1_3genE0ELNS1_11target_archE4294967295ELNS1_3gpuE0ELNS1_3repE0EEENS1_30default_config_static_selectorELNS0_4arch9wavefront6targetE1EEEvT1_
		.amdhsa_group_segment_fixed_size 0
		.amdhsa_private_segment_fixed_size 0
		.amdhsa_kernarg_size 136
		.amdhsa_user_sgpr_count 6
		.amdhsa_user_sgpr_private_segment_buffer 1
		.amdhsa_user_sgpr_dispatch_ptr 0
		.amdhsa_user_sgpr_queue_ptr 0
		.amdhsa_user_sgpr_kernarg_segment_ptr 1
		.amdhsa_user_sgpr_dispatch_id 0
		.amdhsa_user_sgpr_flat_scratch_init 0
		.amdhsa_user_sgpr_kernarg_preload_length 0
		.amdhsa_user_sgpr_kernarg_preload_offset 0
		.amdhsa_user_sgpr_private_segment_size 0
		.amdhsa_uses_dynamic_stack 0
		.amdhsa_system_sgpr_private_segment_wavefront_offset 0
		.amdhsa_system_sgpr_workgroup_id_x 1
		.amdhsa_system_sgpr_workgroup_id_y 0
		.amdhsa_system_sgpr_workgroup_id_z 0
		.amdhsa_system_sgpr_workgroup_info 0
		.amdhsa_system_vgpr_workitem_id 0
		.amdhsa_next_free_vgpr 1
		.amdhsa_next_free_sgpr 0
		.amdhsa_accum_offset 4
		.amdhsa_reserve_vcc 0
		.amdhsa_reserve_flat_scratch 0
		.amdhsa_float_round_mode_32 0
		.amdhsa_float_round_mode_16_64 0
		.amdhsa_float_denorm_mode_32 3
		.amdhsa_float_denorm_mode_16_64 3
		.amdhsa_dx10_clamp 1
		.amdhsa_ieee_mode 1
		.amdhsa_fp16_overflow 0
		.amdhsa_tg_split 0
		.amdhsa_exception_fp_ieee_invalid_op 0
		.amdhsa_exception_fp_denorm_src 0
		.amdhsa_exception_fp_ieee_div_zero 0
		.amdhsa_exception_fp_ieee_overflow 0
		.amdhsa_exception_fp_ieee_underflow 0
		.amdhsa_exception_fp_ieee_inexact 0
		.amdhsa_exception_int_div_zero 0
	.end_amdhsa_kernel
	.section	.text._ZN7rocprim17ROCPRIM_400000_NS6detail17trampoline_kernelINS0_14default_configENS1_25partition_config_selectorILNS1_17partition_subalgoE8ElNS0_10empty_typeEbEEZZNS1_14partition_implILS5_8ELb0ES3_jPlPS6_PKS6_NS0_5tupleIJS9_S6_EEENSD_IJSA_SA_EEENS0_18inequality_wrapperIZN2at6native12_GLOBAL__N_124unique_dim_cuda_templateIsEESt5tupleIJNSH_6TensorESM_SM_EERKSM_lbbbEUlllE0_EEPmJS6_EEE10hipError_tPvRmT3_T4_T5_T6_T7_T9_mT8_P12ihipStream_tbDpT10_ENKUlT_T0_E_clISt17integral_constantIbLb0EES1B_IbLb1EEEEDaS17_S18_EUlS17_E_NS1_11comp_targetILNS1_3genE0ELNS1_11target_archE4294967295ELNS1_3gpuE0ELNS1_3repE0EEENS1_30default_config_static_selectorELNS0_4arch9wavefront6targetE1EEEvT1_,"axG",@progbits,_ZN7rocprim17ROCPRIM_400000_NS6detail17trampoline_kernelINS0_14default_configENS1_25partition_config_selectorILNS1_17partition_subalgoE8ElNS0_10empty_typeEbEEZZNS1_14partition_implILS5_8ELb0ES3_jPlPS6_PKS6_NS0_5tupleIJS9_S6_EEENSD_IJSA_SA_EEENS0_18inequality_wrapperIZN2at6native12_GLOBAL__N_124unique_dim_cuda_templateIsEESt5tupleIJNSH_6TensorESM_SM_EERKSM_lbbbEUlllE0_EEPmJS6_EEE10hipError_tPvRmT3_T4_T5_T6_T7_T9_mT8_P12ihipStream_tbDpT10_ENKUlT_T0_E_clISt17integral_constantIbLb0EES1B_IbLb1EEEEDaS17_S18_EUlS17_E_NS1_11comp_targetILNS1_3genE0ELNS1_11target_archE4294967295ELNS1_3gpuE0ELNS1_3repE0EEENS1_30default_config_static_selectorELNS0_4arch9wavefront6targetE1EEEvT1_,comdat
.Lfunc_end709:
	.size	_ZN7rocprim17ROCPRIM_400000_NS6detail17trampoline_kernelINS0_14default_configENS1_25partition_config_selectorILNS1_17partition_subalgoE8ElNS0_10empty_typeEbEEZZNS1_14partition_implILS5_8ELb0ES3_jPlPS6_PKS6_NS0_5tupleIJS9_S6_EEENSD_IJSA_SA_EEENS0_18inequality_wrapperIZN2at6native12_GLOBAL__N_124unique_dim_cuda_templateIsEESt5tupleIJNSH_6TensorESM_SM_EERKSM_lbbbEUlllE0_EEPmJS6_EEE10hipError_tPvRmT3_T4_T5_T6_T7_T9_mT8_P12ihipStream_tbDpT10_ENKUlT_T0_E_clISt17integral_constantIbLb0EES1B_IbLb1EEEEDaS17_S18_EUlS17_E_NS1_11comp_targetILNS1_3genE0ELNS1_11target_archE4294967295ELNS1_3gpuE0ELNS1_3repE0EEENS1_30default_config_static_selectorELNS0_4arch9wavefront6targetE1EEEvT1_, .Lfunc_end709-_ZN7rocprim17ROCPRIM_400000_NS6detail17trampoline_kernelINS0_14default_configENS1_25partition_config_selectorILNS1_17partition_subalgoE8ElNS0_10empty_typeEbEEZZNS1_14partition_implILS5_8ELb0ES3_jPlPS6_PKS6_NS0_5tupleIJS9_S6_EEENSD_IJSA_SA_EEENS0_18inequality_wrapperIZN2at6native12_GLOBAL__N_124unique_dim_cuda_templateIsEESt5tupleIJNSH_6TensorESM_SM_EERKSM_lbbbEUlllE0_EEPmJS6_EEE10hipError_tPvRmT3_T4_T5_T6_T7_T9_mT8_P12ihipStream_tbDpT10_ENKUlT_T0_E_clISt17integral_constantIbLb0EES1B_IbLb1EEEEDaS17_S18_EUlS17_E_NS1_11comp_targetILNS1_3genE0ELNS1_11target_archE4294967295ELNS1_3gpuE0ELNS1_3repE0EEENS1_30default_config_static_selectorELNS0_4arch9wavefront6targetE1EEEvT1_
                                        ; -- End function
	.section	.AMDGPU.csdata,"",@progbits
; Kernel info:
; codeLenInByte = 0
; NumSgprs: 4
; NumVgprs: 0
; NumAgprs: 0
; TotalNumVgprs: 0
; ScratchSize: 0
; MemoryBound: 0
; FloatMode: 240
; IeeeMode: 1
; LDSByteSize: 0 bytes/workgroup (compile time only)
; SGPRBlocks: 0
; VGPRBlocks: 0
; NumSGPRsForWavesPerEU: 4
; NumVGPRsForWavesPerEU: 1
; AccumOffset: 4
; Occupancy: 8
; WaveLimiterHint : 0
; COMPUTE_PGM_RSRC2:SCRATCH_EN: 0
; COMPUTE_PGM_RSRC2:USER_SGPR: 6
; COMPUTE_PGM_RSRC2:TRAP_HANDLER: 0
; COMPUTE_PGM_RSRC2:TGID_X_EN: 1
; COMPUTE_PGM_RSRC2:TGID_Y_EN: 0
; COMPUTE_PGM_RSRC2:TGID_Z_EN: 0
; COMPUTE_PGM_RSRC2:TIDIG_COMP_CNT: 0
; COMPUTE_PGM_RSRC3_GFX90A:ACCUM_OFFSET: 0
; COMPUTE_PGM_RSRC3_GFX90A:TG_SPLIT: 0
	.section	.text._ZN7rocprim17ROCPRIM_400000_NS6detail17trampoline_kernelINS0_14default_configENS1_25partition_config_selectorILNS1_17partition_subalgoE8ElNS0_10empty_typeEbEEZZNS1_14partition_implILS5_8ELb0ES3_jPlPS6_PKS6_NS0_5tupleIJS9_S6_EEENSD_IJSA_SA_EEENS0_18inequality_wrapperIZN2at6native12_GLOBAL__N_124unique_dim_cuda_templateIsEESt5tupleIJNSH_6TensorESM_SM_EERKSM_lbbbEUlllE0_EEPmJS6_EEE10hipError_tPvRmT3_T4_T5_T6_T7_T9_mT8_P12ihipStream_tbDpT10_ENKUlT_T0_E_clISt17integral_constantIbLb0EES1B_IbLb1EEEEDaS17_S18_EUlS17_E_NS1_11comp_targetILNS1_3genE5ELNS1_11target_archE942ELNS1_3gpuE9ELNS1_3repE0EEENS1_30default_config_static_selectorELNS0_4arch9wavefront6targetE1EEEvT1_,"axG",@progbits,_ZN7rocprim17ROCPRIM_400000_NS6detail17trampoline_kernelINS0_14default_configENS1_25partition_config_selectorILNS1_17partition_subalgoE8ElNS0_10empty_typeEbEEZZNS1_14partition_implILS5_8ELb0ES3_jPlPS6_PKS6_NS0_5tupleIJS9_S6_EEENSD_IJSA_SA_EEENS0_18inequality_wrapperIZN2at6native12_GLOBAL__N_124unique_dim_cuda_templateIsEESt5tupleIJNSH_6TensorESM_SM_EERKSM_lbbbEUlllE0_EEPmJS6_EEE10hipError_tPvRmT3_T4_T5_T6_T7_T9_mT8_P12ihipStream_tbDpT10_ENKUlT_T0_E_clISt17integral_constantIbLb0EES1B_IbLb1EEEEDaS17_S18_EUlS17_E_NS1_11comp_targetILNS1_3genE5ELNS1_11target_archE942ELNS1_3gpuE9ELNS1_3repE0EEENS1_30default_config_static_selectorELNS0_4arch9wavefront6targetE1EEEvT1_,comdat
	.globl	_ZN7rocprim17ROCPRIM_400000_NS6detail17trampoline_kernelINS0_14default_configENS1_25partition_config_selectorILNS1_17partition_subalgoE8ElNS0_10empty_typeEbEEZZNS1_14partition_implILS5_8ELb0ES3_jPlPS6_PKS6_NS0_5tupleIJS9_S6_EEENSD_IJSA_SA_EEENS0_18inequality_wrapperIZN2at6native12_GLOBAL__N_124unique_dim_cuda_templateIsEESt5tupleIJNSH_6TensorESM_SM_EERKSM_lbbbEUlllE0_EEPmJS6_EEE10hipError_tPvRmT3_T4_T5_T6_T7_T9_mT8_P12ihipStream_tbDpT10_ENKUlT_T0_E_clISt17integral_constantIbLb0EES1B_IbLb1EEEEDaS17_S18_EUlS17_E_NS1_11comp_targetILNS1_3genE5ELNS1_11target_archE942ELNS1_3gpuE9ELNS1_3repE0EEENS1_30default_config_static_selectorELNS0_4arch9wavefront6targetE1EEEvT1_ ; -- Begin function _ZN7rocprim17ROCPRIM_400000_NS6detail17trampoline_kernelINS0_14default_configENS1_25partition_config_selectorILNS1_17partition_subalgoE8ElNS0_10empty_typeEbEEZZNS1_14partition_implILS5_8ELb0ES3_jPlPS6_PKS6_NS0_5tupleIJS9_S6_EEENSD_IJSA_SA_EEENS0_18inequality_wrapperIZN2at6native12_GLOBAL__N_124unique_dim_cuda_templateIsEESt5tupleIJNSH_6TensorESM_SM_EERKSM_lbbbEUlllE0_EEPmJS6_EEE10hipError_tPvRmT3_T4_T5_T6_T7_T9_mT8_P12ihipStream_tbDpT10_ENKUlT_T0_E_clISt17integral_constantIbLb0EES1B_IbLb1EEEEDaS17_S18_EUlS17_E_NS1_11comp_targetILNS1_3genE5ELNS1_11target_archE942ELNS1_3gpuE9ELNS1_3repE0EEENS1_30default_config_static_selectorELNS0_4arch9wavefront6targetE1EEEvT1_
	.p2align	8
	.type	_ZN7rocprim17ROCPRIM_400000_NS6detail17trampoline_kernelINS0_14default_configENS1_25partition_config_selectorILNS1_17partition_subalgoE8ElNS0_10empty_typeEbEEZZNS1_14partition_implILS5_8ELb0ES3_jPlPS6_PKS6_NS0_5tupleIJS9_S6_EEENSD_IJSA_SA_EEENS0_18inequality_wrapperIZN2at6native12_GLOBAL__N_124unique_dim_cuda_templateIsEESt5tupleIJNSH_6TensorESM_SM_EERKSM_lbbbEUlllE0_EEPmJS6_EEE10hipError_tPvRmT3_T4_T5_T6_T7_T9_mT8_P12ihipStream_tbDpT10_ENKUlT_T0_E_clISt17integral_constantIbLb0EES1B_IbLb1EEEEDaS17_S18_EUlS17_E_NS1_11comp_targetILNS1_3genE5ELNS1_11target_archE942ELNS1_3gpuE9ELNS1_3repE0EEENS1_30default_config_static_selectorELNS0_4arch9wavefront6targetE1EEEvT1_,@function
_ZN7rocprim17ROCPRIM_400000_NS6detail17trampoline_kernelINS0_14default_configENS1_25partition_config_selectorILNS1_17partition_subalgoE8ElNS0_10empty_typeEbEEZZNS1_14partition_implILS5_8ELb0ES3_jPlPS6_PKS6_NS0_5tupleIJS9_S6_EEENSD_IJSA_SA_EEENS0_18inequality_wrapperIZN2at6native12_GLOBAL__N_124unique_dim_cuda_templateIsEESt5tupleIJNSH_6TensorESM_SM_EERKSM_lbbbEUlllE0_EEPmJS6_EEE10hipError_tPvRmT3_T4_T5_T6_T7_T9_mT8_P12ihipStream_tbDpT10_ENKUlT_T0_E_clISt17integral_constantIbLb0EES1B_IbLb1EEEEDaS17_S18_EUlS17_E_NS1_11comp_targetILNS1_3genE5ELNS1_11target_archE942ELNS1_3gpuE9ELNS1_3repE0EEENS1_30default_config_static_selectorELNS0_4arch9wavefront6targetE1EEEvT1_: ; @_ZN7rocprim17ROCPRIM_400000_NS6detail17trampoline_kernelINS0_14default_configENS1_25partition_config_selectorILNS1_17partition_subalgoE8ElNS0_10empty_typeEbEEZZNS1_14partition_implILS5_8ELb0ES3_jPlPS6_PKS6_NS0_5tupleIJS9_S6_EEENSD_IJSA_SA_EEENS0_18inequality_wrapperIZN2at6native12_GLOBAL__N_124unique_dim_cuda_templateIsEESt5tupleIJNSH_6TensorESM_SM_EERKSM_lbbbEUlllE0_EEPmJS6_EEE10hipError_tPvRmT3_T4_T5_T6_T7_T9_mT8_P12ihipStream_tbDpT10_ENKUlT_T0_E_clISt17integral_constantIbLb0EES1B_IbLb1EEEEDaS17_S18_EUlS17_E_NS1_11comp_targetILNS1_3genE5ELNS1_11target_archE942ELNS1_3gpuE9ELNS1_3repE0EEENS1_30default_config_static_selectorELNS0_4arch9wavefront6targetE1EEEvT1_
; %bb.0:
	.section	.rodata,"a",@progbits
	.p2align	6, 0x0
	.amdhsa_kernel _ZN7rocprim17ROCPRIM_400000_NS6detail17trampoline_kernelINS0_14default_configENS1_25partition_config_selectorILNS1_17partition_subalgoE8ElNS0_10empty_typeEbEEZZNS1_14partition_implILS5_8ELb0ES3_jPlPS6_PKS6_NS0_5tupleIJS9_S6_EEENSD_IJSA_SA_EEENS0_18inequality_wrapperIZN2at6native12_GLOBAL__N_124unique_dim_cuda_templateIsEESt5tupleIJNSH_6TensorESM_SM_EERKSM_lbbbEUlllE0_EEPmJS6_EEE10hipError_tPvRmT3_T4_T5_T6_T7_T9_mT8_P12ihipStream_tbDpT10_ENKUlT_T0_E_clISt17integral_constantIbLb0EES1B_IbLb1EEEEDaS17_S18_EUlS17_E_NS1_11comp_targetILNS1_3genE5ELNS1_11target_archE942ELNS1_3gpuE9ELNS1_3repE0EEENS1_30default_config_static_selectorELNS0_4arch9wavefront6targetE1EEEvT1_
		.amdhsa_group_segment_fixed_size 0
		.amdhsa_private_segment_fixed_size 0
		.amdhsa_kernarg_size 136
		.amdhsa_user_sgpr_count 6
		.amdhsa_user_sgpr_private_segment_buffer 1
		.amdhsa_user_sgpr_dispatch_ptr 0
		.amdhsa_user_sgpr_queue_ptr 0
		.amdhsa_user_sgpr_kernarg_segment_ptr 1
		.amdhsa_user_sgpr_dispatch_id 0
		.amdhsa_user_sgpr_flat_scratch_init 0
		.amdhsa_user_sgpr_kernarg_preload_length 0
		.amdhsa_user_sgpr_kernarg_preload_offset 0
		.amdhsa_user_sgpr_private_segment_size 0
		.amdhsa_uses_dynamic_stack 0
		.amdhsa_system_sgpr_private_segment_wavefront_offset 0
		.amdhsa_system_sgpr_workgroup_id_x 1
		.amdhsa_system_sgpr_workgroup_id_y 0
		.amdhsa_system_sgpr_workgroup_id_z 0
		.amdhsa_system_sgpr_workgroup_info 0
		.amdhsa_system_vgpr_workitem_id 0
		.amdhsa_next_free_vgpr 1
		.amdhsa_next_free_sgpr 0
		.amdhsa_accum_offset 4
		.amdhsa_reserve_vcc 0
		.amdhsa_reserve_flat_scratch 0
		.amdhsa_float_round_mode_32 0
		.amdhsa_float_round_mode_16_64 0
		.amdhsa_float_denorm_mode_32 3
		.amdhsa_float_denorm_mode_16_64 3
		.amdhsa_dx10_clamp 1
		.amdhsa_ieee_mode 1
		.amdhsa_fp16_overflow 0
		.amdhsa_tg_split 0
		.amdhsa_exception_fp_ieee_invalid_op 0
		.amdhsa_exception_fp_denorm_src 0
		.amdhsa_exception_fp_ieee_div_zero 0
		.amdhsa_exception_fp_ieee_overflow 0
		.amdhsa_exception_fp_ieee_underflow 0
		.amdhsa_exception_fp_ieee_inexact 0
		.amdhsa_exception_int_div_zero 0
	.end_amdhsa_kernel
	.section	.text._ZN7rocprim17ROCPRIM_400000_NS6detail17trampoline_kernelINS0_14default_configENS1_25partition_config_selectorILNS1_17partition_subalgoE8ElNS0_10empty_typeEbEEZZNS1_14partition_implILS5_8ELb0ES3_jPlPS6_PKS6_NS0_5tupleIJS9_S6_EEENSD_IJSA_SA_EEENS0_18inequality_wrapperIZN2at6native12_GLOBAL__N_124unique_dim_cuda_templateIsEESt5tupleIJNSH_6TensorESM_SM_EERKSM_lbbbEUlllE0_EEPmJS6_EEE10hipError_tPvRmT3_T4_T5_T6_T7_T9_mT8_P12ihipStream_tbDpT10_ENKUlT_T0_E_clISt17integral_constantIbLb0EES1B_IbLb1EEEEDaS17_S18_EUlS17_E_NS1_11comp_targetILNS1_3genE5ELNS1_11target_archE942ELNS1_3gpuE9ELNS1_3repE0EEENS1_30default_config_static_selectorELNS0_4arch9wavefront6targetE1EEEvT1_,"axG",@progbits,_ZN7rocprim17ROCPRIM_400000_NS6detail17trampoline_kernelINS0_14default_configENS1_25partition_config_selectorILNS1_17partition_subalgoE8ElNS0_10empty_typeEbEEZZNS1_14partition_implILS5_8ELb0ES3_jPlPS6_PKS6_NS0_5tupleIJS9_S6_EEENSD_IJSA_SA_EEENS0_18inequality_wrapperIZN2at6native12_GLOBAL__N_124unique_dim_cuda_templateIsEESt5tupleIJNSH_6TensorESM_SM_EERKSM_lbbbEUlllE0_EEPmJS6_EEE10hipError_tPvRmT3_T4_T5_T6_T7_T9_mT8_P12ihipStream_tbDpT10_ENKUlT_T0_E_clISt17integral_constantIbLb0EES1B_IbLb1EEEEDaS17_S18_EUlS17_E_NS1_11comp_targetILNS1_3genE5ELNS1_11target_archE942ELNS1_3gpuE9ELNS1_3repE0EEENS1_30default_config_static_selectorELNS0_4arch9wavefront6targetE1EEEvT1_,comdat
.Lfunc_end710:
	.size	_ZN7rocprim17ROCPRIM_400000_NS6detail17trampoline_kernelINS0_14default_configENS1_25partition_config_selectorILNS1_17partition_subalgoE8ElNS0_10empty_typeEbEEZZNS1_14partition_implILS5_8ELb0ES3_jPlPS6_PKS6_NS0_5tupleIJS9_S6_EEENSD_IJSA_SA_EEENS0_18inequality_wrapperIZN2at6native12_GLOBAL__N_124unique_dim_cuda_templateIsEESt5tupleIJNSH_6TensorESM_SM_EERKSM_lbbbEUlllE0_EEPmJS6_EEE10hipError_tPvRmT3_T4_T5_T6_T7_T9_mT8_P12ihipStream_tbDpT10_ENKUlT_T0_E_clISt17integral_constantIbLb0EES1B_IbLb1EEEEDaS17_S18_EUlS17_E_NS1_11comp_targetILNS1_3genE5ELNS1_11target_archE942ELNS1_3gpuE9ELNS1_3repE0EEENS1_30default_config_static_selectorELNS0_4arch9wavefront6targetE1EEEvT1_, .Lfunc_end710-_ZN7rocprim17ROCPRIM_400000_NS6detail17trampoline_kernelINS0_14default_configENS1_25partition_config_selectorILNS1_17partition_subalgoE8ElNS0_10empty_typeEbEEZZNS1_14partition_implILS5_8ELb0ES3_jPlPS6_PKS6_NS0_5tupleIJS9_S6_EEENSD_IJSA_SA_EEENS0_18inequality_wrapperIZN2at6native12_GLOBAL__N_124unique_dim_cuda_templateIsEESt5tupleIJNSH_6TensorESM_SM_EERKSM_lbbbEUlllE0_EEPmJS6_EEE10hipError_tPvRmT3_T4_T5_T6_T7_T9_mT8_P12ihipStream_tbDpT10_ENKUlT_T0_E_clISt17integral_constantIbLb0EES1B_IbLb1EEEEDaS17_S18_EUlS17_E_NS1_11comp_targetILNS1_3genE5ELNS1_11target_archE942ELNS1_3gpuE9ELNS1_3repE0EEENS1_30default_config_static_selectorELNS0_4arch9wavefront6targetE1EEEvT1_
                                        ; -- End function
	.section	.AMDGPU.csdata,"",@progbits
; Kernel info:
; codeLenInByte = 0
; NumSgprs: 4
; NumVgprs: 0
; NumAgprs: 0
; TotalNumVgprs: 0
; ScratchSize: 0
; MemoryBound: 0
; FloatMode: 240
; IeeeMode: 1
; LDSByteSize: 0 bytes/workgroup (compile time only)
; SGPRBlocks: 0
; VGPRBlocks: 0
; NumSGPRsForWavesPerEU: 4
; NumVGPRsForWavesPerEU: 1
; AccumOffset: 4
; Occupancy: 8
; WaveLimiterHint : 0
; COMPUTE_PGM_RSRC2:SCRATCH_EN: 0
; COMPUTE_PGM_RSRC2:USER_SGPR: 6
; COMPUTE_PGM_RSRC2:TRAP_HANDLER: 0
; COMPUTE_PGM_RSRC2:TGID_X_EN: 1
; COMPUTE_PGM_RSRC2:TGID_Y_EN: 0
; COMPUTE_PGM_RSRC2:TGID_Z_EN: 0
; COMPUTE_PGM_RSRC2:TIDIG_COMP_CNT: 0
; COMPUTE_PGM_RSRC3_GFX90A:ACCUM_OFFSET: 0
; COMPUTE_PGM_RSRC3_GFX90A:TG_SPLIT: 0
	.section	.text._ZN7rocprim17ROCPRIM_400000_NS6detail17trampoline_kernelINS0_14default_configENS1_25partition_config_selectorILNS1_17partition_subalgoE8ElNS0_10empty_typeEbEEZZNS1_14partition_implILS5_8ELb0ES3_jPlPS6_PKS6_NS0_5tupleIJS9_S6_EEENSD_IJSA_SA_EEENS0_18inequality_wrapperIZN2at6native12_GLOBAL__N_124unique_dim_cuda_templateIsEESt5tupleIJNSH_6TensorESM_SM_EERKSM_lbbbEUlllE0_EEPmJS6_EEE10hipError_tPvRmT3_T4_T5_T6_T7_T9_mT8_P12ihipStream_tbDpT10_ENKUlT_T0_E_clISt17integral_constantIbLb0EES1B_IbLb1EEEEDaS17_S18_EUlS17_E_NS1_11comp_targetILNS1_3genE4ELNS1_11target_archE910ELNS1_3gpuE8ELNS1_3repE0EEENS1_30default_config_static_selectorELNS0_4arch9wavefront6targetE1EEEvT1_,"axG",@progbits,_ZN7rocprim17ROCPRIM_400000_NS6detail17trampoline_kernelINS0_14default_configENS1_25partition_config_selectorILNS1_17partition_subalgoE8ElNS0_10empty_typeEbEEZZNS1_14partition_implILS5_8ELb0ES3_jPlPS6_PKS6_NS0_5tupleIJS9_S6_EEENSD_IJSA_SA_EEENS0_18inequality_wrapperIZN2at6native12_GLOBAL__N_124unique_dim_cuda_templateIsEESt5tupleIJNSH_6TensorESM_SM_EERKSM_lbbbEUlllE0_EEPmJS6_EEE10hipError_tPvRmT3_T4_T5_T6_T7_T9_mT8_P12ihipStream_tbDpT10_ENKUlT_T0_E_clISt17integral_constantIbLb0EES1B_IbLb1EEEEDaS17_S18_EUlS17_E_NS1_11comp_targetILNS1_3genE4ELNS1_11target_archE910ELNS1_3gpuE8ELNS1_3repE0EEENS1_30default_config_static_selectorELNS0_4arch9wavefront6targetE1EEEvT1_,comdat
	.globl	_ZN7rocprim17ROCPRIM_400000_NS6detail17trampoline_kernelINS0_14default_configENS1_25partition_config_selectorILNS1_17partition_subalgoE8ElNS0_10empty_typeEbEEZZNS1_14partition_implILS5_8ELb0ES3_jPlPS6_PKS6_NS0_5tupleIJS9_S6_EEENSD_IJSA_SA_EEENS0_18inequality_wrapperIZN2at6native12_GLOBAL__N_124unique_dim_cuda_templateIsEESt5tupleIJNSH_6TensorESM_SM_EERKSM_lbbbEUlllE0_EEPmJS6_EEE10hipError_tPvRmT3_T4_T5_T6_T7_T9_mT8_P12ihipStream_tbDpT10_ENKUlT_T0_E_clISt17integral_constantIbLb0EES1B_IbLb1EEEEDaS17_S18_EUlS17_E_NS1_11comp_targetILNS1_3genE4ELNS1_11target_archE910ELNS1_3gpuE8ELNS1_3repE0EEENS1_30default_config_static_selectorELNS0_4arch9wavefront6targetE1EEEvT1_ ; -- Begin function _ZN7rocprim17ROCPRIM_400000_NS6detail17trampoline_kernelINS0_14default_configENS1_25partition_config_selectorILNS1_17partition_subalgoE8ElNS0_10empty_typeEbEEZZNS1_14partition_implILS5_8ELb0ES3_jPlPS6_PKS6_NS0_5tupleIJS9_S6_EEENSD_IJSA_SA_EEENS0_18inequality_wrapperIZN2at6native12_GLOBAL__N_124unique_dim_cuda_templateIsEESt5tupleIJNSH_6TensorESM_SM_EERKSM_lbbbEUlllE0_EEPmJS6_EEE10hipError_tPvRmT3_T4_T5_T6_T7_T9_mT8_P12ihipStream_tbDpT10_ENKUlT_T0_E_clISt17integral_constantIbLb0EES1B_IbLb1EEEEDaS17_S18_EUlS17_E_NS1_11comp_targetILNS1_3genE4ELNS1_11target_archE910ELNS1_3gpuE8ELNS1_3repE0EEENS1_30default_config_static_selectorELNS0_4arch9wavefront6targetE1EEEvT1_
	.p2align	8
	.type	_ZN7rocprim17ROCPRIM_400000_NS6detail17trampoline_kernelINS0_14default_configENS1_25partition_config_selectorILNS1_17partition_subalgoE8ElNS0_10empty_typeEbEEZZNS1_14partition_implILS5_8ELb0ES3_jPlPS6_PKS6_NS0_5tupleIJS9_S6_EEENSD_IJSA_SA_EEENS0_18inequality_wrapperIZN2at6native12_GLOBAL__N_124unique_dim_cuda_templateIsEESt5tupleIJNSH_6TensorESM_SM_EERKSM_lbbbEUlllE0_EEPmJS6_EEE10hipError_tPvRmT3_T4_T5_T6_T7_T9_mT8_P12ihipStream_tbDpT10_ENKUlT_T0_E_clISt17integral_constantIbLb0EES1B_IbLb1EEEEDaS17_S18_EUlS17_E_NS1_11comp_targetILNS1_3genE4ELNS1_11target_archE910ELNS1_3gpuE8ELNS1_3repE0EEENS1_30default_config_static_selectorELNS0_4arch9wavefront6targetE1EEEvT1_,@function
_ZN7rocprim17ROCPRIM_400000_NS6detail17trampoline_kernelINS0_14default_configENS1_25partition_config_selectorILNS1_17partition_subalgoE8ElNS0_10empty_typeEbEEZZNS1_14partition_implILS5_8ELb0ES3_jPlPS6_PKS6_NS0_5tupleIJS9_S6_EEENSD_IJSA_SA_EEENS0_18inequality_wrapperIZN2at6native12_GLOBAL__N_124unique_dim_cuda_templateIsEESt5tupleIJNSH_6TensorESM_SM_EERKSM_lbbbEUlllE0_EEPmJS6_EEE10hipError_tPvRmT3_T4_T5_T6_T7_T9_mT8_P12ihipStream_tbDpT10_ENKUlT_T0_E_clISt17integral_constantIbLb0EES1B_IbLb1EEEEDaS17_S18_EUlS17_E_NS1_11comp_targetILNS1_3genE4ELNS1_11target_archE910ELNS1_3gpuE8ELNS1_3repE0EEENS1_30default_config_static_selectorELNS0_4arch9wavefront6targetE1EEEvT1_: ; @_ZN7rocprim17ROCPRIM_400000_NS6detail17trampoline_kernelINS0_14default_configENS1_25partition_config_selectorILNS1_17partition_subalgoE8ElNS0_10empty_typeEbEEZZNS1_14partition_implILS5_8ELb0ES3_jPlPS6_PKS6_NS0_5tupleIJS9_S6_EEENSD_IJSA_SA_EEENS0_18inequality_wrapperIZN2at6native12_GLOBAL__N_124unique_dim_cuda_templateIsEESt5tupleIJNSH_6TensorESM_SM_EERKSM_lbbbEUlllE0_EEPmJS6_EEE10hipError_tPvRmT3_T4_T5_T6_T7_T9_mT8_P12ihipStream_tbDpT10_ENKUlT_T0_E_clISt17integral_constantIbLb0EES1B_IbLb1EEEEDaS17_S18_EUlS17_E_NS1_11comp_targetILNS1_3genE4ELNS1_11target_archE910ELNS1_3gpuE8ELNS1_3repE0EEENS1_30default_config_static_selectorELNS0_4arch9wavefront6targetE1EEEvT1_
; %bb.0:
	s_load_dwordx2 s[28:29], s[4:5], 0x28
	s_load_dwordx8 s[20:27], s[4:5], 0x40
	s_load_dwordx4 s[16:19], s[4:5], 0x60
	v_cmp_ne_u32_e64 s[2:3], 0, v0
	v_cmp_eq_u32_e64 s[0:1], 0, v0
	s_and_saveexec_b64 s[6:7], s[0:1]
	s_cbranch_execz .LBB711_4
; %bb.1:
	s_mov_b64 s[10:11], exec
	v_mbcnt_lo_u32_b32 v1, s10, 0
	v_mbcnt_hi_u32_b32 v1, s11, v1
	v_cmp_eq_u32_e32 vcc, 0, v1
                                        ; implicit-def: $vgpr2
	s_and_saveexec_b64 s[8:9], vcc
	s_cbranch_execz .LBB711_3
; %bb.2:
	s_load_dwordx2 s[12:13], s[4:5], 0x78
	s_bcnt1_i32_b64 s10, s[10:11]
	v_mov_b32_e32 v2, 0
	v_mov_b32_e32 v3, s10
	s_waitcnt lgkmcnt(0)
	global_atomic_add v2, v2, v3, s[12:13] glc
.LBB711_3:
	s_or_b64 exec, exec, s[8:9]
	s_waitcnt vmcnt(0)
	v_readfirstlane_b32 s8, v2
	v_add_u32_e32 v1, s8, v1
	v_mov_b32_e32 v2, 0
	ds_write_b32 v2, v1
.LBB711_4:
	s_or_b64 exec, exec, s[6:7]
	v_mov_b32_e32 v3, 0
	s_load_dwordx4 s[8:11], s[4:5], 0x8
	s_load_dword s12, s[4:5], 0x70
	s_waitcnt lgkmcnt(0)
	s_barrier
	ds_read_b32 v1, v3
	s_waitcnt lgkmcnt(0)
	s_barrier
	global_load_dwordx2 v[4:5], v3, s[22:23]
	s_lshl_b64 s[4:5], s[10:11], 3
	s_mul_i32 s14, s12, 0x500
	s_add_u32 s8, s8, s4
	s_addc_u32 s4, s9, s5
	s_add_i32 s5, s14, s10
	s_add_i32 s12, s12, -1
	s_sub_i32 s48, s24, s5
	v_mov_b32_e32 v8, s4
	s_add_u32 s4, s10, s14
	s_addc_u32 s5, s11, 0
	v_readfirstlane_b32 s33, v1
	v_mov_b32_e32 v6, s24
	v_mov_b32_e32 v7, s25
	s_movk_i32 s13, 0x500
	s_cmp_eq_u32 s33, s12
	v_mul_lo_u32 v2, v1, s13
	v_cmp_ge_u64_e32 vcc, s[4:5], v[6:7]
	s_cselect_b64 s[24:25], -1, 0
	v_lshlrev_b64 v[2:3], 3, v[2:3]
	s_and_b64 s[12:13], vcc, s[24:25]
	v_add_co_u32_e64 v18, s[4:5], s8, v2
	s_xor_b64 s[30:31], s[12:13], -1
	s_mov_b64 s[6:7], -1
	v_addc_co_u32_e64 v19, s[4:5], v8, v3, s[4:5]
	s_and_b64 vcc, exec, s[30:31]
	s_waitcnt vmcnt(0)
	v_readfirstlane_b32 s22, v4
	v_readfirstlane_b32 s23, v5
	s_cbranch_vccz .LBB711_6
; %bb.5:
	v_lshlrev_b32_e32 v1, 3, v0
	v_add_co_u32_e32 v12, vcc, v18, v1
	v_addc_co_u32_e32 v13, vcc, 0, v19, vcc
	v_add_co_u32_e32 v2, vcc, 0x1000, v12
	v_readfirstlane_b32 s4, v18
	v_readfirstlane_b32 s5, v19
	v_addc_co_u32_e32 v3, vcc, 0, v13, vcc
	s_nop 3
	global_load_dwordx2 v[4:5], v1, s[4:5]
	global_load_dwordx2 v[6:7], v1, s[4:5] offset:2048
	global_load_dwordx2 v[8:9], v[2:3], off
	global_load_dwordx2 v[10:11], v[2:3], off offset:2048
	v_add_co_u32_e32 v2, vcc, 0x2000, v12
	v_addc_co_u32_e32 v3, vcc, 0, v13, vcc
	global_load_dwordx2 v[2:3], v[2:3], off
	s_mov_b64 s[6:7], 0
	s_waitcnt vmcnt(3)
	ds_write2st64_b64 v1, v[4:5], v[6:7] offset1:4
	s_waitcnt vmcnt(1)
	ds_write2st64_b64 v1, v[8:9], v[10:11] offset0:8 offset1:12
	s_waitcnt vmcnt(0)
	ds_write_b64 v1, v[2:3] offset:8192
	s_waitcnt lgkmcnt(0)
	s_barrier
.LBB711_6:
	s_andn2_b64 vcc, exec, s[6:7]
	s_addk_i32 s48, 0x500
	s_cbranch_vccnz .LBB711_18
; %bb.7:
	v_cmp_gt_u32_e32 vcc, s48, v0
                                        ; implicit-def: $vgpr2_vgpr3_vgpr4_vgpr5_vgpr6_vgpr7_vgpr8_vgpr9_vgpr10_vgpr11_vgpr12_vgpr13_vgpr14_vgpr15_vgpr16_vgpr17
	s_and_saveexec_b64 s[4:5], vcc
	s_cbranch_execz .LBB711_9
; %bb.8:
	v_lshlrev_b32_e32 v1, 3, v0
	v_readfirstlane_b32 s6, v18
	v_readfirstlane_b32 s7, v19
	s_nop 4
	global_load_dwordx2 v[2:3], v1, s[6:7]
.LBB711_9:
	s_or_b64 exec, exec, s[4:5]
	v_or_b32_e32 v1, 0x100, v0
	v_cmp_gt_u32_e32 vcc, s48, v1
	s_and_saveexec_b64 s[4:5], vcc
	s_cbranch_execz .LBB711_11
; %bb.10:
	v_lshlrev_b32_e32 v1, 3, v0
	v_readfirstlane_b32 s6, v18
	v_readfirstlane_b32 s7, v19
	s_nop 4
	global_load_dwordx2 v[4:5], v1, s[6:7] offset:2048
.LBB711_11:
	s_or_b64 exec, exec, s[4:5]
	v_or_b32_e32 v1, 0x200, v0
	v_cmp_gt_u32_e32 vcc, s48, v1
	s_and_saveexec_b64 s[4:5], vcc
	s_cbranch_execz .LBB711_13
; %bb.12:
	v_lshlrev_b32_e32 v1, 3, v1
	v_readfirstlane_b32 s6, v18
	v_readfirstlane_b32 s7, v19
	s_nop 4
	global_load_dwordx2 v[6:7], v1, s[6:7]
.LBB711_13:
	s_or_b64 exec, exec, s[4:5]
	v_or_b32_e32 v1, 0x300, v0
	v_cmp_gt_u32_e32 vcc, s48, v1
	s_and_saveexec_b64 s[4:5], vcc
	s_cbranch_execz .LBB711_15
; %bb.14:
	v_lshlrev_b32_e32 v1, 3, v1
	v_readfirstlane_b32 s6, v18
	v_readfirstlane_b32 s7, v19
	s_nop 4
	global_load_dwordx2 v[8:9], v1, s[6:7]
.LBB711_15:
	;; [unrolled: 12-line block ×3, first 2 shown]
	s_or_b64 exec, exec, s[4:5]
	v_lshlrev_b32_e32 v1, 3, v0
	s_waitcnt vmcnt(0)
	ds_write2st64_b64 v1, v[2:3], v[4:5] offset1:4
	ds_write2st64_b64 v1, v[6:7], v[8:9] offset0:8 offset1:12
	ds_write_b64 v1, v[10:11] offset:8192
	s_waitcnt lgkmcnt(0)
	s_barrier
.LBB711_18:
	v_mul_u32_u24_e32 v1, 5, v0
	v_lshlrev_b32_e32 v26, 3, v1
	ds_read2_b64 v[6:9], v26 offset1:1
	ds_read2_b64 v[2:5], v26 offset0:2 offset1:3
	ds_read_b64 v[10:11], v26 offset:32
	s_cmp_lg_u32 s33, 0
	s_cselect_b64 s[34:35], -1, 0
	s_cmp_lg_u64 s[10:11], 0
	s_cselect_b64 s[4:5], -1, 0
	s_or_b64 s[4:5], s[4:5], s[34:35]
	v_mad_u32_u24 v24, v0, 5, 1
	v_mad_u32_u24 v22, v0, 5, 2
	;; [unrolled: 1-line block ×4, first 2 shown]
	s_mov_b64 s[14:15], 0
	s_and_b64 vcc, exec, s[4:5]
	v_cmp_gt_i64_e64 s[4:5], s[26:27], 0
	s_waitcnt lgkmcnt(0)
	s_barrier
	s_cbranch_vccz .LBB711_27
; %bb.19:
	global_load_dwordx2 v[14:15], v[18:19], off offset:-8
	v_cndmask_b32_e64 v12, 0, 1, s[4:5]
	v_lshlrev_b32_e32 v27, 3, v0
	s_mov_b64 s[10:11], 0
	s_and_b64 vcc, exec, s[30:31]
	v_cmp_ne_u32_e64 s[4:5], 1, v12
	ds_write_b64 v27, v[10:11]
	s_cbranch_vccz .LBB711_28
; %bb.20:
	v_mul_lo_u32 v16, v5, s26
	v_mul_lo_u32 v17, v4, s27
	v_mad_u64_u32 v[12:13], s[6:7], v4, s26, 0
	v_add3_u32 v13, v13, v17, v16
	s_and_b64 vcc, exec, s[4:5]
	v_lshlrev_b64 v[12:13], 1, v[12:13]
	s_cbranch_vccnz .LBB711_31
; %bb.21:
	v_mul_lo_u32 v18, v11, s26
	v_mul_lo_u32 v19, v10, s27
	v_mad_u64_u32 v[16:17], s[6:7], v10, s26, 0
	v_add3_u32 v17, v17, v19, v18
	v_mov_b32_e32 v19, s17
	v_add_co_u32_e32 v18, vcc, s16, v12
	v_addc_co_u32_e64 v19, s[6:7], v19, v13, vcc
	v_lshlrev_b64 v[16:17], 1, v[16:17]
	v_mov_b32_e32 v21, s17
	v_add_co_u32_e64 v20, s[6:7], s16, v16
	v_addc_co_u32_e64 v21, s[8:9], v21, v17, s[6:7]
	global_load_ushort v16, v[18:19], off
	global_load_ushort v28, v[20:21], off
	s_mov_b64 s[10:11], -1
	s_waitcnt vmcnt(0)
	v_cmp_eq_u16_e64 s[8:9], v16, v28
	s_and_saveexec_b64 s[14:15], s[8:9]
	s_cbranch_execz .LBB711_30
; %bb.22:
	v_mov_b32_e32 v16, s17
	v_addc_co_u32_e64 v17, s[6:7], v17, v16, s[6:7]
	v_add_co_u32_e64 v16, s[6:7], 2, v20
	v_mov_b32_e32 v19, s17
	v_addc_co_u32_e64 v17, s[6:7], 0, v17, s[6:7]
	v_addc_co_u32_e32 v19, vcc, v13, v19, vcc
	v_add_co_u32_e32 v18, vcc, 2, v18
	s_add_u32 s6, s26, -1
	v_addc_co_u32_e32 v19, vcc, 0, v19, vcc
	s_addc_u32 s7, s27, -1
	s_mov_b64 s[8:9], 0
	s_mov_b64 s[36:37], 0
                                        ; implicit-def: $sgpr10_sgpr11
	s_branch .LBB711_25
.LBB711_23:                             ;   in Loop: Header=BB711_25 Depth=1
	global_load_ushort v20, v[18:19], off
	global_load_ushort v21, v[16:17], off
	v_add_co_u32_e32 v16, vcc, 2, v16
	v_addc_co_u32_e32 v17, vcc, 0, v17, vcc
	v_add_co_u32_e32 v18, vcc, 2, v18
	v_addc_co_u32_e32 v19, vcc, 0, v19, vcc
	s_add_u32 s36, s36, 1
	s_addc_u32 s37, s37, 0
	s_andn2_b64 s[10:11], s[10:11], exec
	s_waitcnt vmcnt(0)
	v_cmp_ne_u16_e32 vcc, v20, v21
	s_and_b64 s[38:39], vcc, exec
	s_or_b64 s[10:11], s[10:11], s[38:39]
.LBB711_24:                             ;   in Loop: Header=BB711_25 Depth=1
	s_and_b64 s[38:39], exec, s[10:11]
	s_or_b64 s[8:9], s[38:39], s[8:9]
	v_pk_mov_b32 v[20:21], s[36:37], s[36:37] op_sel:[0,1]
	s_andn2_b64 exec, exec, s[8:9]
	s_cbranch_execz .LBB711_29
.LBB711_25:                             ; =>This Inner Loop Header: Depth=1
	s_or_b64 s[10:11], s[10:11], exec
	s_cmp_eq_u64 s[6:7], s[36:37]
	s_cbranch_scc0 .LBB711_23
; %bb.26:                               ;   in Loop: Header=BB711_25 Depth=1
                                        ; implicit-def: $vgpr16_vgpr17
                                        ; implicit-def: $vgpr18_vgpr19
	s_mov_b64 s[36:37], s[26:27]
	s_branch .LBB711_24
.LBB711_27:
                                        ; implicit-def: $sgpr36_sgpr37
                                        ; implicit-def: $vgpr13
                                        ; implicit-def: $vgpr16
	s_branch .LBB711_129
.LBB711_28:
                                        ; implicit-def: $sgpr36_sgpr37
                                        ; implicit-def: $vgpr13
                                        ; implicit-def: $vgpr16
	s_cbranch_execnz .LBB711_70
	s_branch .LBB711_128
.LBB711_29:
	s_or_b64 exec, exec, s[8:9]
	v_cmp_gt_i64_e32 vcc, s[26:27], v[20:21]
	s_orn2_b64 s[10:11], vcc, exec
.LBB711_30:
	s_or_b64 exec, exec, s[14:15]
.LBB711_31:
	v_mul_lo_u32 v18, v3, s26
	v_mul_lo_u32 v19, v2, s27
	v_mad_u64_u32 v[16:17], s[6:7], v2, s26, 0
	v_add3_u32 v17, v17, v19, v18
	s_mov_b64 s[14:15], 0
	s_and_b64 vcc, exec, s[4:5]
	v_lshlrev_b64 v[18:19], 1, v[16:17]
	s_mov_b64 s[36:37], 0
	s_cbranch_vccnz .LBB711_40
; %bb.32:
	v_mov_b32_e32 v17, s17
	v_add_co_u32_e32 v16, vcc, s16, v18
	v_addc_co_u32_e64 v17, s[6:7], v17, v19, vcc
	v_mov_b32_e32 v21, s17
	v_add_co_u32_e64 v20, s[6:7], s16, v12
	v_addc_co_u32_e64 v21, s[8:9], v21, v13, s[6:7]
	global_load_ushort v12, v[16:17], off
	global_load_ushort v28, v[20:21], off
	s_mov_b64 s[36:37], -1
	s_waitcnt vmcnt(0)
	v_cmp_eq_u16_e64 s[8:9], v12, v28
	s_and_saveexec_b64 s[38:39], s[8:9]
	s_cbranch_execz .LBB711_39
; %bb.33:
	v_mov_b32_e32 v12, s17
	v_addc_co_u32_e64 v13, s[6:7], v13, v12, s[6:7]
	v_add_co_u32_e64 v12, s[6:7], 2, v20
	v_mov_b32_e32 v17, s17
	v_addc_co_u32_e64 v13, s[6:7], 0, v13, s[6:7]
	v_addc_co_u32_e32 v17, vcc, v19, v17, vcc
	v_add_co_u32_e32 v16, vcc, 2, v16
	s_add_u32 s6, s26, -1
	v_addc_co_u32_e32 v17, vcc, 0, v17, vcc
	s_addc_u32 s7, s27, -1
	s_mov_b64 s[8:9], 0
	s_mov_b64 s[40:41], 0
                                        ; implicit-def: $sgpr36_sgpr37
	s_branch .LBB711_36
.LBB711_34:                             ;   in Loop: Header=BB711_36 Depth=1
	global_load_ushort v20, v[16:17], off
	global_load_ushort v21, v[12:13], off
	v_add_co_u32_e32 v12, vcc, 2, v12
	v_addc_co_u32_e32 v13, vcc, 0, v13, vcc
	v_add_co_u32_e32 v16, vcc, 2, v16
	v_addc_co_u32_e32 v17, vcc, 0, v17, vcc
	s_add_u32 s40, s40, 1
	s_addc_u32 s41, s41, 0
	s_andn2_b64 s[36:37], s[36:37], exec
	s_waitcnt vmcnt(0)
	v_cmp_ne_u16_e32 vcc, v20, v21
	s_and_b64 s[42:43], vcc, exec
	s_or_b64 s[36:37], s[36:37], s[42:43]
.LBB711_35:                             ;   in Loop: Header=BB711_36 Depth=1
	s_and_b64 s[42:43], exec, s[36:37]
	s_or_b64 s[8:9], s[42:43], s[8:9]
	v_pk_mov_b32 v[20:21], s[40:41], s[40:41] op_sel:[0,1]
	s_andn2_b64 exec, exec, s[8:9]
	s_cbranch_execz .LBB711_38
.LBB711_36:                             ; =>This Inner Loop Header: Depth=1
	s_or_b64 s[36:37], s[36:37], exec
	s_cmp_eq_u64 s[6:7], s[40:41]
	s_cbranch_scc0 .LBB711_34
; %bb.37:                               ;   in Loop: Header=BB711_36 Depth=1
                                        ; implicit-def: $vgpr12_vgpr13
                                        ; implicit-def: $vgpr16_vgpr17
	s_mov_b64 s[40:41], s[26:27]
	s_branch .LBB711_35
.LBB711_38:
	s_or_b64 exec, exec, s[8:9]
	v_cmp_gt_i64_e32 vcc, s[26:27], v[20:21]
	s_orn2_b64 s[36:37], vcc, exec
.LBB711_39:
	s_or_b64 exec, exec, s[38:39]
.LBB711_40:
	v_mul_lo_u32 v16, v9, s26
	v_mul_lo_u32 v17, v8, s27
	v_mad_u64_u32 v[12:13], s[6:7], v8, s26, 0
	v_add3_u32 v13, v13, v17, v16
	s_and_b64 vcc, exec, s[4:5]
	v_lshlrev_b64 v[16:17], 1, v[12:13]
	s_cbranch_vccnz .LBB711_49
; %bb.41:
	v_mov_b32_e32 v12, s17
	v_add_co_u32_e32 v20, vcc, s16, v16
	v_addc_co_u32_e64 v21, s[6:7], v12, v17, vcc
	v_mov_b32_e32 v13, s17
	v_add_co_u32_e64 v12, s[6:7], s16, v18
	v_addc_co_u32_e64 v13, s[8:9], v13, v19, s[6:7]
	global_load_ushort v18, v[20:21], off
	global_load_ushort v28, v[12:13], off
	s_mov_b64 s[14:15], -1
	s_waitcnt vmcnt(0)
	v_cmp_eq_u16_e64 s[8:9], v18, v28
	s_and_saveexec_b64 s[38:39], s[8:9]
	s_cbranch_execz .LBB711_48
; %bb.42:
	v_mov_b32_e32 v13, s17
	v_addc_co_u32_e64 v13, s[6:7], v19, v13, s[6:7]
	v_add_co_u32_e64 v12, s[6:7], 2, v12
	v_mov_b32_e32 v18, s17
	v_addc_co_u32_e64 v13, s[6:7], 0, v13, s[6:7]
	v_addc_co_u32_e32 v19, vcc, v17, v18, vcc
	v_add_co_u32_e32 v18, vcc, 2, v20
	s_add_u32 s6, s26, -1
	v_addc_co_u32_e32 v19, vcc, 0, v19, vcc
	s_addc_u32 s7, s27, -1
	s_mov_b64 s[8:9], 0
	s_mov_b64 s[40:41], 0
                                        ; implicit-def: $sgpr14_sgpr15
	s_branch .LBB711_45
.LBB711_43:                             ;   in Loop: Header=BB711_45 Depth=1
	global_load_ushort v20, v[18:19], off
	global_load_ushort v21, v[12:13], off
	v_add_co_u32_e32 v12, vcc, 2, v12
	v_addc_co_u32_e32 v13, vcc, 0, v13, vcc
	v_add_co_u32_e32 v18, vcc, 2, v18
	v_addc_co_u32_e32 v19, vcc, 0, v19, vcc
	s_add_u32 s40, s40, 1
	s_addc_u32 s41, s41, 0
	s_andn2_b64 s[14:15], s[14:15], exec
	s_waitcnt vmcnt(0)
	v_cmp_ne_u16_e32 vcc, v20, v21
	s_and_b64 s[42:43], vcc, exec
	s_or_b64 s[14:15], s[14:15], s[42:43]
.LBB711_44:                             ;   in Loop: Header=BB711_45 Depth=1
	s_and_b64 s[42:43], exec, s[14:15]
	s_or_b64 s[8:9], s[42:43], s[8:9]
	v_pk_mov_b32 v[20:21], s[40:41], s[40:41] op_sel:[0,1]
	s_andn2_b64 exec, exec, s[8:9]
	s_cbranch_execz .LBB711_47
.LBB711_45:                             ; =>This Inner Loop Header: Depth=1
	s_or_b64 s[14:15], s[14:15], exec
	s_cmp_eq_u64 s[6:7], s[40:41]
	s_cbranch_scc0 .LBB711_43
; %bb.46:                               ;   in Loop: Header=BB711_45 Depth=1
                                        ; implicit-def: $vgpr12_vgpr13
                                        ; implicit-def: $vgpr18_vgpr19
	s_mov_b64 s[40:41], s[26:27]
	s_branch .LBB711_44
.LBB711_47:
	s_or_b64 exec, exec, s[8:9]
	v_cmp_gt_i64_e32 vcc, s[26:27], v[20:21]
	s_orn2_b64 s[14:15], vcc, exec
.LBB711_48:
	s_or_b64 exec, exec, s[38:39]
.LBB711_49:
	v_mul_lo_u32 v18, v7, s26
	v_mul_lo_u32 v19, v6, s27
	v_mad_u64_u32 v[12:13], s[6:7], v6, s26, 0
	v_add3_u32 v13, v13, v19, v18
	s_mov_b64 s[40:41], 0
	s_and_b64 vcc, exec, s[4:5]
	v_lshlrev_b64 v[12:13], 1, v[12:13]
	s_cbranch_vccnz .LBB711_58
; %bb.50:
	v_mov_b32_e32 v19, s17
	v_add_co_u32_e32 v18, vcc, s16, v12
	v_addc_co_u32_e64 v19, s[6:7], v19, v13, vcc
	v_mov_b32_e32 v21, s17
	v_add_co_u32_e64 v20, s[6:7], s16, v16
	v_addc_co_u32_e64 v21, s[8:9], v21, v17, s[6:7]
	global_load_ushort v16, v[18:19], off
	global_load_ushort v28, v[20:21], off
	s_mov_b64 s[40:41], -1
	s_waitcnt vmcnt(0)
	v_cmp_eq_u16_e64 s[8:9], v16, v28
	s_and_saveexec_b64 s[38:39], s[8:9]
	s_cbranch_execz .LBB711_57
; %bb.51:
	v_mov_b32_e32 v16, s17
	v_addc_co_u32_e64 v17, s[6:7], v17, v16, s[6:7]
	v_add_co_u32_e64 v16, s[6:7], 2, v20
	v_mov_b32_e32 v19, s17
	v_addc_co_u32_e64 v17, s[6:7], 0, v17, s[6:7]
	v_addc_co_u32_e32 v19, vcc, v13, v19, vcc
	v_add_co_u32_e32 v18, vcc, 2, v18
	s_add_u32 s6, s26, -1
	v_addc_co_u32_e32 v19, vcc, 0, v19, vcc
	s_addc_u32 s7, s27, -1
	s_mov_b64 s[8:9], 0
	s_mov_b64 s[42:43], 0
                                        ; implicit-def: $sgpr40_sgpr41
	s_branch .LBB711_54
.LBB711_52:                             ;   in Loop: Header=BB711_54 Depth=1
	global_load_ushort v20, v[18:19], off
	global_load_ushort v21, v[16:17], off
	v_add_co_u32_e32 v16, vcc, 2, v16
	v_addc_co_u32_e32 v17, vcc, 0, v17, vcc
	v_add_co_u32_e32 v18, vcc, 2, v18
	v_addc_co_u32_e32 v19, vcc, 0, v19, vcc
	s_add_u32 s42, s42, 1
	s_addc_u32 s43, s43, 0
	s_andn2_b64 s[40:41], s[40:41], exec
	s_waitcnt vmcnt(0)
	v_cmp_ne_u16_e32 vcc, v20, v21
	s_and_b64 s[44:45], vcc, exec
	s_or_b64 s[40:41], s[40:41], s[44:45]
.LBB711_53:                             ;   in Loop: Header=BB711_54 Depth=1
	s_and_b64 s[44:45], exec, s[40:41]
	s_or_b64 s[8:9], s[44:45], s[8:9]
	v_pk_mov_b32 v[20:21], s[42:43], s[42:43] op_sel:[0,1]
	s_andn2_b64 exec, exec, s[8:9]
	s_cbranch_execz .LBB711_56
.LBB711_54:                             ; =>This Inner Loop Header: Depth=1
	s_or_b64 s[40:41], s[40:41], exec
	s_cmp_eq_u64 s[6:7], s[42:43]
	s_cbranch_scc0 .LBB711_52
; %bb.55:                               ;   in Loop: Header=BB711_54 Depth=1
                                        ; implicit-def: $vgpr16_vgpr17
                                        ; implicit-def: $vgpr18_vgpr19
	s_mov_b64 s[42:43], s[26:27]
	s_branch .LBB711_53
.LBB711_56:
	s_or_b64 exec, exec, s[8:9]
	v_cmp_gt_i64_e32 vcc, s[26:27], v[20:21]
	s_orn2_b64 s[40:41], vcc, exec
.LBB711_57:
	s_or_b64 exec, exec, s[38:39]
.LBB711_58:
	s_waitcnt vmcnt(0)
	v_pk_mov_b32 v[16:17], v[14:15], v[14:15] op_sel:[0,1]
	s_waitcnt lgkmcnt(0)
	s_barrier
	s_and_saveexec_b64 s[6:7], s[2:3]
	s_cbranch_execz .LBB711_60
; %bb.59:
	v_add_u32_e32 v16, -8, v27
	ds_read_b64 v[16:17], v16
.LBB711_60:
	s_or_b64 exec, exec, s[6:7]
	v_cndmask_b32_e64 v19, 0, 1, s[36:37]
	v_cndmask_b32_e64 v18, 0, 1, s[14:15]
	;; [unrolled: 1-line block ×3, first 2 shown]
	v_lshlrev_b16_e32 v19, 8, v19
	v_lshlrev_b16_e32 v28, 8, v20
	v_or_b32_sdwa v29, v18, v19 dst_sel:WORD_1 dst_unused:UNUSED_PAD src0_sel:DWORD src1_sel:DWORD
	s_mov_b64 s[14:15], 0
	s_and_b64 vcc, exec, s[4:5]
	s_mov_b64 s[36:37], 0
	s_cbranch_vccnz .LBB711_69
; %bb.61:
	s_waitcnt lgkmcnt(0)
	v_mul_lo_u32 v18, v17, s26
	v_mul_lo_u32 v19, v16, s27
	v_mad_u64_u32 v[16:17], s[6:7], v16, s26, 0
	v_add3_u32 v17, v17, v19, v18
	v_lshlrev_b64 v[16:17], 1, v[16:17]
	v_mov_b32_e32 v19, s17
	v_add_co_u32_e32 v18, vcc, s16, v16
	v_addc_co_u32_e64 v19, s[6:7], v19, v17, vcc
	v_mov_b32_e32 v16, s17
	v_add_co_u32_e64 v20, s[6:7], s16, v12
	v_addc_co_u32_e64 v21, s[8:9], v16, v13, s[6:7]
	global_load_ushort v12, v[18:19], off
	global_load_ushort v16, v[20:21], off
	s_mov_b64 s[36:37], -1
	s_waitcnt vmcnt(0)
	v_cmp_eq_u16_e64 s[8:9], v12, v16
	s_and_saveexec_b64 s[38:39], s[8:9]
	s_cbranch_execz .LBB711_68
; %bb.62:
	v_mov_b32_e32 v12, s17
	v_addc_co_u32_e64 v13, s[6:7], v13, v12, s[6:7]
	v_add_co_u32_e64 v12, s[6:7], 2, v20
	v_mov_b32_e32 v16, s17
	v_addc_co_u32_e64 v13, s[6:7], 0, v13, s[6:7]
	v_addc_co_u32_e32 v17, vcc, v17, v16, vcc
	v_add_co_u32_e32 v16, vcc, 2, v18
	s_add_u32 s6, s26, -1
	v_addc_co_u32_e32 v17, vcc, 0, v17, vcc
	s_addc_u32 s7, s27, -1
	s_mov_b64 s[8:9], 0
	s_mov_b64 s[40:41], 0
                                        ; implicit-def: $sgpr36_sgpr37
	s_branch .LBB711_65
.LBB711_63:                             ;   in Loop: Header=BB711_65 Depth=1
	global_load_ushort v18, v[16:17], off
	global_load_ushort v19, v[12:13], off
	v_add_co_u32_e32 v12, vcc, 2, v12
	v_addc_co_u32_e32 v13, vcc, 0, v13, vcc
	v_add_co_u32_e32 v16, vcc, 2, v16
	v_addc_co_u32_e32 v17, vcc, 0, v17, vcc
	s_add_u32 s40, s40, 1
	s_addc_u32 s41, s41, 0
	s_andn2_b64 s[36:37], s[36:37], exec
	s_waitcnt vmcnt(0)
	v_cmp_ne_u16_e32 vcc, v18, v19
	s_and_b64 s[42:43], vcc, exec
	s_or_b64 s[36:37], s[36:37], s[42:43]
.LBB711_64:                             ;   in Loop: Header=BB711_65 Depth=1
	s_and_b64 s[42:43], exec, s[36:37]
	s_or_b64 s[8:9], s[42:43], s[8:9]
	v_pk_mov_b32 v[18:19], s[40:41], s[40:41] op_sel:[0,1]
	s_andn2_b64 exec, exec, s[8:9]
	s_cbranch_execz .LBB711_67
.LBB711_65:                             ; =>This Inner Loop Header: Depth=1
	s_or_b64 s[36:37], s[36:37], exec
	s_cmp_eq_u64 s[6:7], s[40:41]
	s_cbranch_scc0 .LBB711_63
; %bb.66:                               ;   in Loop: Header=BB711_65 Depth=1
                                        ; implicit-def: $vgpr12_vgpr13
                                        ; implicit-def: $vgpr16_vgpr17
	s_mov_b64 s[40:41], s[26:27]
	s_branch .LBB711_64
.LBB711_67:
	s_or_b64 exec, exec, s[8:9]
	v_cmp_gt_i64_e32 vcc, s[26:27], v[18:19]
	s_orn2_b64 s[36:37], vcc, exec
.LBB711_68:
	s_or_b64 exec, exec, s[38:39]
.LBB711_69:
	v_cndmask_b32_e64 v13, 0, 1, s[10:11]
	s_waitcnt lgkmcnt(0)
	v_or_b32_e32 v16, v28, v29
	s_and_b64 vcc, exec, s[14:15]
	s_cbranch_vccz .LBB711_128
.LBB711_70:
	v_cmp_gt_u32_e32 vcc, s48, v23
	s_mov_b64 s[14:15], 0
	s_mov_b64 s[10:11], 0
	s_and_saveexec_b64 s[36:37], vcc
	s_cbranch_execz .LBB711_81
; %bb.71:
	s_and_b64 vcc, exec, s[4:5]
	s_mov_b64 s[38:39], 0
	s_cbranch_vccnz .LBB711_80
; %bb.72:
	v_mul_lo_u32 v16, v5, s26
	v_mul_lo_u32 v17, v4, s27
	v_mad_u64_u32 v[12:13], s[6:7], v4, s26, 0
	v_add3_u32 v13, v13, v17, v16
	v_mul_lo_u32 v16, v11, s26
	v_mul_lo_u32 v17, v10, s27
	v_mad_u64_u32 v[20:21], s[6:7], v10, s26, 0
	v_add3_u32 v21, v21, v17, v16
	v_lshlrev_b64 v[16:17], 1, v[12:13]
	v_mov_b32_e32 v12, s17
	v_add_co_u32_e32 v18, vcc, s16, v16
	v_addc_co_u32_e64 v19, s[6:7], v12, v17, vcc
	v_lshlrev_b64 v[12:13], 1, v[20:21]
	v_mov_b32_e32 v16, s17
	v_add_co_u32_e64 v20, s[6:7], s16, v12
	v_addc_co_u32_e64 v21, s[8:9], v16, v13, s[6:7]
	global_load_ushort v12, v[18:19], off
	global_load_ushort v16, v[20:21], off
	s_mov_b64 s[38:39], -1
	s_waitcnt vmcnt(0)
	v_cmp_eq_u16_e64 s[8:9], v12, v16
	s_and_saveexec_b64 s[10:11], s[8:9]
	s_cbranch_execz .LBB711_79
; %bb.73:
	v_mov_b32_e32 v12, s17
	v_addc_co_u32_e64 v13, s[6:7], v13, v12, s[6:7]
	v_add_co_u32_e64 v12, s[6:7], 2, v20
	v_mov_b32_e32 v16, s17
	v_addc_co_u32_e64 v13, s[6:7], 0, v13, s[6:7]
	v_addc_co_u32_e32 v17, vcc, v17, v16, vcc
	v_add_co_u32_e32 v16, vcc, 2, v18
	s_add_u32 s6, s26, -1
	v_addc_co_u32_e32 v17, vcc, 0, v17, vcc
	s_addc_u32 s7, s27, -1
	s_mov_b64 s[8:9], 0
	s_mov_b64 s[40:41], 0
                                        ; implicit-def: $sgpr38_sgpr39
	s_branch .LBB711_76
.LBB711_74:                             ;   in Loop: Header=BB711_76 Depth=1
	global_load_ushort v18, v[16:17], off
	global_load_ushort v19, v[12:13], off
	v_add_co_u32_e32 v12, vcc, 2, v12
	v_addc_co_u32_e32 v13, vcc, 0, v13, vcc
	v_add_co_u32_e32 v16, vcc, 2, v16
	v_addc_co_u32_e32 v17, vcc, 0, v17, vcc
	s_add_u32 s40, s40, 1
	s_addc_u32 s41, s41, 0
	s_andn2_b64 s[38:39], s[38:39], exec
	s_waitcnt vmcnt(0)
	v_cmp_ne_u16_e32 vcc, v18, v19
	s_and_b64 s[42:43], vcc, exec
	s_or_b64 s[38:39], s[38:39], s[42:43]
.LBB711_75:                             ;   in Loop: Header=BB711_76 Depth=1
	s_and_b64 s[42:43], exec, s[38:39]
	s_or_b64 s[8:9], s[42:43], s[8:9]
	v_pk_mov_b32 v[18:19], s[40:41], s[40:41] op_sel:[0,1]
	s_andn2_b64 exec, exec, s[8:9]
	s_cbranch_execz .LBB711_78
.LBB711_76:                             ; =>This Inner Loop Header: Depth=1
	s_or_b64 s[38:39], s[38:39], exec
	s_cmp_eq_u64 s[6:7], s[40:41]
	s_cbranch_scc0 .LBB711_74
; %bb.77:                               ;   in Loop: Header=BB711_76 Depth=1
                                        ; implicit-def: $vgpr12_vgpr13
                                        ; implicit-def: $vgpr16_vgpr17
	s_mov_b64 s[40:41], s[26:27]
	s_branch .LBB711_75
.LBB711_78:
	s_or_b64 exec, exec, s[8:9]
	v_cmp_gt_i64_e32 vcc, s[26:27], v[18:19]
	s_orn2_b64 s[38:39], vcc, exec
.LBB711_79:
	s_or_b64 exec, exec, s[10:11]
.LBB711_80:
	s_and_b64 s[10:11], s[38:39], exec
.LBB711_81:
	s_or_b64 exec, exec, s[36:37]
	v_cmp_gt_u32_e32 vcc, s48, v25
	s_and_saveexec_b64 s[36:37], vcc
	s_cbranch_execz .LBB711_92
; %bb.82:
	s_and_b64 vcc, exec, s[4:5]
	s_mov_b64 s[38:39], 0
	s_cbranch_vccnz .LBB711_91
; %bb.83:
	v_mul_lo_u32 v16, v3, s26
	v_mul_lo_u32 v17, v2, s27
	v_mad_u64_u32 v[12:13], s[6:7], v2, s26, 0
	v_add3_u32 v13, v13, v17, v16
	v_mul_lo_u32 v16, v5, s26
	v_mul_lo_u32 v17, v4, s27
	v_mad_u64_u32 v[20:21], s[6:7], v4, s26, 0
	v_add3_u32 v21, v21, v17, v16
	v_lshlrev_b64 v[16:17], 1, v[12:13]
	v_mov_b32_e32 v12, s17
	v_add_co_u32_e32 v18, vcc, s16, v16
	v_addc_co_u32_e64 v19, s[6:7], v12, v17, vcc
	v_lshlrev_b64 v[12:13], 1, v[20:21]
	v_mov_b32_e32 v16, s17
	v_add_co_u32_e64 v20, s[6:7], s16, v12
	v_addc_co_u32_e64 v21, s[8:9], v16, v13, s[6:7]
	global_load_ushort v12, v[18:19], off
	global_load_ushort v16, v[20:21], off
	s_mov_b64 s[38:39], -1
	s_waitcnt vmcnt(0)
	v_cmp_eq_u16_e64 s[8:9], v12, v16
	s_and_saveexec_b64 s[14:15], s[8:9]
	s_cbranch_execz .LBB711_90
; %bb.84:
	v_mov_b32_e32 v12, s17
	v_addc_co_u32_e64 v13, s[6:7], v13, v12, s[6:7]
	v_add_co_u32_e64 v12, s[6:7], 2, v20
	v_mov_b32_e32 v16, s17
	v_addc_co_u32_e64 v13, s[6:7], 0, v13, s[6:7]
	v_addc_co_u32_e32 v17, vcc, v17, v16, vcc
	v_add_co_u32_e32 v16, vcc, 2, v18
	s_add_u32 s6, s26, -1
	v_addc_co_u32_e32 v17, vcc, 0, v17, vcc
	s_addc_u32 s7, s27, -1
	s_mov_b64 s[8:9], 0
	s_mov_b64 s[40:41], 0
                                        ; implicit-def: $sgpr38_sgpr39
	s_branch .LBB711_87
.LBB711_85:                             ;   in Loop: Header=BB711_87 Depth=1
	global_load_ushort v18, v[16:17], off
	global_load_ushort v19, v[12:13], off
	v_add_co_u32_e32 v12, vcc, 2, v12
	v_addc_co_u32_e32 v13, vcc, 0, v13, vcc
	v_add_co_u32_e32 v16, vcc, 2, v16
	v_addc_co_u32_e32 v17, vcc, 0, v17, vcc
	s_add_u32 s40, s40, 1
	s_addc_u32 s41, s41, 0
	s_andn2_b64 s[38:39], s[38:39], exec
	s_waitcnt vmcnt(0)
	v_cmp_ne_u16_e32 vcc, v18, v19
	s_and_b64 s[42:43], vcc, exec
	s_or_b64 s[38:39], s[38:39], s[42:43]
.LBB711_86:                             ;   in Loop: Header=BB711_87 Depth=1
	s_and_b64 s[42:43], exec, s[38:39]
	s_or_b64 s[8:9], s[42:43], s[8:9]
	v_pk_mov_b32 v[18:19], s[40:41], s[40:41] op_sel:[0,1]
	s_andn2_b64 exec, exec, s[8:9]
	s_cbranch_execz .LBB711_89
.LBB711_87:                             ; =>This Inner Loop Header: Depth=1
	s_or_b64 s[38:39], s[38:39], exec
	s_cmp_eq_u64 s[6:7], s[40:41]
	s_cbranch_scc0 .LBB711_85
; %bb.88:                               ;   in Loop: Header=BB711_87 Depth=1
                                        ; implicit-def: $vgpr12_vgpr13
                                        ; implicit-def: $vgpr16_vgpr17
	s_mov_b64 s[40:41], s[26:27]
	s_branch .LBB711_86
.LBB711_89:
	s_or_b64 exec, exec, s[8:9]
	v_cmp_gt_i64_e32 vcc, s[26:27], v[18:19]
	s_orn2_b64 s[38:39], vcc, exec
.LBB711_90:
	s_or_b64 exec, exec, s[14:15]
.LBB711_91:
	s_and_b64 s[14:15], s[38:39], exec
.LBB711_92:
	s_or_b64 exec, exec, s[36:37]
	v_cmp_gt_u32_e32 vcc, s48, v22
	s_mov_b64 s[36:37], 0
	s_mov_b64 s[38:39], 0
	s_and_saveexec_b64 s[40:41], vcc
	s_cbranch_execz .LBB711_103
; %bb.93:
	s_and_b64 vcc, exec, s[4:5]
	s_mov_b64 s[42:43], 0
	s_cbranch_vccnz .LBB711_102
; %bb.94:
	v_mul_lo_u32 v16, v9, s26
	v_mul_lo_u32 v17, v8, s27
	v_mad_u64_u32 v[12:13], s[6:7], v8, s26, 0
	v_add3_u32 v13, v13, v17, v16
	v_mul_lo_u32 v16, v3, s26
	v_mul_lo_u32 v17, v2, s27
	v_mad_u64_u32 v[20:21], s[6:7], v2, s26, 0
	v_add3_u32 v21, v21, v17, v16
	v_lshlrev_b64 v[16:17], 1, v[12:13]
	v_mov_b32_e32 v12, s17
	v_add_co_u32_e32 v18, vcc, s16, v16
	v_addc_co_u32_e64 v19, s[6:7], v12, v17, vcc
	v_lshlrev_b64 v[12:13], 1, v[20:21]
	v_mov_b32_e32 v16, s17
	v_add_co_u32_e64 v20, s[6:7], s16, v12
	v_addc_co_u32_e64 v21, s[8:9], v16, v13, s[6:7]
	global_load_ushort v12, v[18:19], off
	global_load_ushort v16, v[20:21], off
	s_mov_b64 s[42:43], -1
	s_waitcnt vmcnt(0)
	v_cmp_eq_u16_e64 s[8:9], v12, v16
	s_and_saveexec_b64 s[38:39], s[8:9]
	s_cbranch_execz .LBB711_101
; %bb.95:
	v_mov_b32_e32 v12, s17
	v_addc_co_u32_e64 v13, s[6:7], v13, v12, s[6:7]
	v_add_co_u32_e64 v12, s[6:7], 2, v20
	v_mov_b32_e32 v16, s17
	v_addc_co_u32_e64 v13, s[6:7], 0, v13, s[6:7]
	v_addc_co_u32_e32 v17, vcc, v17, v16, vcc
	v_add_co_u32_e32 v16, vcc, 2, v18
	s_add_u32 s6, s26, -1
	v_addc_co_u32_e32 v17, vcc, 0, v17, vcc
	s_addc_u32 s7, s27, -1
	s_mov_b64 s[8:9], 0
	s_mov_b64 s[44:45], 0
                                        ; implicit-def: $sgpr42_sgpr43
	s_branch .LBB711_98
.LBB711_96:                             ;   in Loop: Header=BB711_98 Depth=1
	global_load_ushort v18, v[16:17], off
	global_load_ushort v19, v[12:13], off
	v_add_co_u32_e32 v12, vcc, 2, v12
	v_addc_co_u32_e32 v13, vcc, 0, v13, vcc
	v_add_co_u32_e32 v16, vcc, 2, v16
	v_addc_co_u32_e32 v17, vcc, 0, v17, vcc
	s_add_u32 s44, s44, 1
	s_addc_u32 s45, s45, 0
	s_andn2_b64 s[42:43], s[42:43], exec
	s_waitcnt vmcnt(0)
	v_cmp_ne_u16_e32 vcc, v18, v19
	s_and_b64 s[46:47], vcc, exec
	s_or_b64 s[42:43], s[42:43], s[46:47]
.LBB711_97:                             ;   in Loop: Header=BB711_98 Depth=1
	s_and_b64 s[46:47], exec, s[42:43]
	s_or_b64 s[8:9], s[46:47], s[8:9]
	v_pk_mov_b32 v[18:19], s[44:45], s[44:45] op_sel:[0,1]
	s_andn2_b64 exec, exec, s[8:9]
	s_cbranch_execz .LBB711_100
.LBB711_98:                             ; =>This Inner Loop Header: Depth=1
	s_or_b64 s[42:43], s[42:43], exec
	s_cmp_eq_u64 s[6:7], s[44:45]
	s_cbranch_scc0 .LBB711_96
; %bb.99:                               ;   in Loop: Header=BB711_98 Depth=1
                                        ; implicit-def: $vgpr12_vgpr13
                                        ; implicit-def: $vgpr16_vgpr17
	s_mov_b64 s[44:45], s[26:27]
	s_branch .LBB711_97
.LBB711_100:
	s_or_b64 exec, exec, s[8:9]
	v_cmp_gt_i64_e32 vcc, s[26:27], v[18:19]
	s_orn2_b64 s[42:43], vcc, exec
.LBB711_101:
	s_or_b64 exec, exec, s[38:39]
.LBB711_102:
	s_and_b64 s[38:39], s[42:43], exec
.LBB711_103:
	s_or_b64 exec, exec, s[40:41]
	v_cmp_gt_u32_e32 vcc, s48, v24
	s_and_saveexec_b64 s[40:41], vcc
	s_cbranch_execz .LBB711_114
; %bb.104:
	s_and_b64 vcc, exec, s[4:5]
	s_mov_b64 s[42:43], 0
	s_cbranch_vccnz .LBB711_113
; %bb.105:
	v_mul_lo_u32 v16, v7, s26
	v_mul_lo_u32 v17, v6, s27
	v_mad_u64_u32 v[12:13], s[6:7], v6, s26, 0
	v_add3_u32 v13, v13, v17, v16
	v_mul_lo_u32 v16, v9, s26
	v_mul_lo_u32 v17, v8, s27
	v_mad_u64_u32 v[20:21], s[6:7], v8, s26, 0
	v_add3_u32 v21, v21, v17, v16
	v_lshlrev_b64 v[16:17], 1, v[12:13]
	v_mov_b32_e32 v12, s17
	v_add_co_u32_e32 v18, vcc, s16, v16
	v_addc_co_u32_e64 v19, s[6:7], v12, v17, vcc
	v_lshlrev_b64 v[12:13], 1, v[20:21]
	v_mov_b32_e32 v16, s17
	v_add_co_u32_e64 v20, s[6:7], s16, v12
	v_addc_co_u32_e64 v21, s[8:9], v16, v13, s[6:7]
	global_load_ushort v12, v[18:19], off
	global_load_ushort v16, v[20:21], off
	s_mov_b64 s[42:43], -1
	s_waitcnt vmcnt(0)
	v_cmp_eq_u16_e64 s[8:9], v12, v16
	s_and_saveexec_b64 s[36:37], s[8:9]
	s_cbranch_execz .LBB711_112
; %bb.106:
	v_mov_b32_e32 v12, s17
	v_addc_co_u32_e64 v13, s[6:7], v13, v12, s[6:7]
	v_add_co_u32_e64 v12, s[6:7], 2, v20
	v_mov_b32_e32 v16, s17
	v_addc_co_u32_e64 v13, s[6:7], 0, v13, s[6:7]
	v_addc_co_u32_e32 v17, vcc, v17, v16, vcc
	v_add_co_u32_e32 v16, vcc, 2, v18
	s_add_u32 s6, s26, -1
	v_addc_co_u32_e32 v17, vcc, 0, v17, vcc
	s_addc_u32 s7, s27, -1
	s_mov_b64 s[8:9], 0
	s_mov_b64 s[44:45], 0
                                        ; implicit-def: $sgpr42_sgpr43
	s_branch .LBB711_109
.LBB711_107:                            ;   in Loop: Header=BB711_109 Depth=1
	global_load_ushort v18, v[16:17], off
	global_load_ushort v19, v[12:13], off
	v_add_co_u32_e32 v12, vcc, 2, v12
	v_addc_co_u32_e32 v13, vcc, 0, v13, vcc
	v_add_co_u32_e32 v16, vcc, 2, v16
	v_addc_co_u32_e32 v17, vcc, 0, v17, vcc
	s_add_u32 s44, s44, 1
	s_addc_u32 s45, s45, 0
	s_andn2_b64 s[42:43], s[42:43], exec
	s_waitcnt vmcnt(0)
	v_cmp_ne_u16_e32 vcc, v18, v19
	s_and_b64 s[46:47], vcc, exec
	s_or_b64 s[42:43], s[42:43], s[46:47]
.LBB711_108:                            ;   in Loop: Header=BB711_109 Depth=1
	s_and_b64 s[46:47], exec, s[42:43]
	s_or_b64 s[8:9], s[46:47], s[8:9]
	v_pk_mov_b32 v[18:19], s[44:45], s[44:45] op_sel:[0,1]
	s_andn2_b64 exec, exec, s[8:9]
	s_cbranch_execz .LBB711_111
.LBB711_109:                            ; =>This Inner Loop Header: Depth=1
	s_or_b64 s[42:43], s[42:43], exec
	s_cmp_eq_u64 s[6:7], s[44:45]
	s_cbranch_scc0 .LBB711_107
; %bb.110:                              ;   in Loop: Header=BB711_109 Depth=1
                                        ; implicit-def: $vgpr12_vgpr13
                                        ; implicit-def: $vgpr16_vgpr17
	s_mov_b64 s[44:45], s[26:27]
	s_branch .LBB711_108
.LBB711_111:
	s_or_b64 exec, exec, s[8:9]
	v_cmp_gt_i64_e32 vcc, s[26:27], v[18:19]
	s_orn2_b64 s[42:43], vcc, exec
.LBB711_112:
	s_or_b64 exec, exec, s[36:37]
.LBB711_113:
	s_and_b64 s[36:37], s[42:43], exec
.LBB711_114:
	s_or_b64 exec, exec, s[40:41]
	s_waitcnt lgkmcnt(0)
	s_barrier
	s_and_saveexec_b64 s[6:7], s[2:3]
	s_cbranch_execz .LBB711_116
; %bb.115:
	v_add_u32_e32 v12, -8, v27
	s_waitcnt vmcnt(0)
	ds_read_b64 v[14:15], v12
.LBB711_116:
	s_or_b64 exec, exec, s[6:7]
	v_cndmask_b32_e64 v13, 0, 1, s[14:15]
	v_cndmask_b32_e64 v12, 0, 1, s[38:39]
	;; [unrolled: 1-line block ×3, first 2 shown]
	v_lshlrev_b16_e32 v13, 8, v13
	v_cmp_gt_u32_e32 vcc, s48, v1
	v_lshlrev_b16_e32 v20, 8, v16
	v_or_b32_sdwa v21, v12, v13 dst_sel:WORD_1 dst_unused:UNUSED_PAD src0_sel:DWORD src1_sel:DWORD
	s_mov_b64 s[36:37], 0
	s_and_saveexec_b64 s[8:9], vcc
	s_cbranch_execz .LBB711_127
; %bb.117:
	s_and_b64 vcc, exec, s[4:5]
	s_cbranch_vccnz .LBB711_126
; %bb.118:
	s_waitcnt vmcnt(0) lgkmcnt(0)
	v_mul_lo_u32 v15, v15, s26
	v_mul_lo_u32 v16, v14, s27
	v_mad_u64_u32 v[12:13], s[4:5], v14, s26, 0
	v_add3_u32 v13, v13, v16, v15
	v_mul_lo_u32 v14, v7, s26
	v_mul_lo_u32 v15, v6, s27
	v_mad_u64_u32 v[18:19], s[4:5], v6, s26, 0
	v_add3_u32 v19, v19, v15, v14
	v_lshlrev_b64 v[14:15], 1, v[12:13]
	v_mov_b32_e32 v12, s17
	v_add_co_u32_e32 v16, vcc, s16, v14
	v_addc_co_u32_e64 v17, s[4:5], v12, v15, vcc
	v_lshlrev_b64 v[12:13], 1, v[18:19]
	v_mov_b32_e32 v14, s17
	v_add_co_u32_e64 v18, s[4:5], s16, v12
	v_addc_co_u32_e64 v19, s[6:7], v14, v13, s[4:5]
	global_load_ushort v12, v[16:17], off
	global_load_ushort v14, v[18:19], off
	s_mov_b64 s[36:37], -1
	s_waitcnt vmcnt(0)
	v_cmp_eq_u16_e64 s[6:7], v12, v14
	s_and_saveexec_b64 s[14:15], s[6:7]
	s_cbranch_execz .LBB711_125
; %bb.119:
	v_mov_b32_e32 v12, s17
	v_addc_co_u32_e64 v13, s[4:5], v13, v12, s[4:5]
	v_add_co_u32_e64 v12, s[4:5], 2, v18
	v_mov_b32_e32 v14, s17
	v_addc_co_u32_e64 v13, s[4:5], 0, v13, s[4:5]
	v_addc_co_u32_e32 v15, vcc, v15, v14, vcc
	v_add_co_u32_e32 v14, vcc, 2, v16
	s_add_u32 s4, s26, -1
	v_addc_co_u32_e32 v15, vcc, 0, v15, vcc
	s_addc_u32 s5, s27, -1
	s_mov_b64 s[6:7], 0
	s_mov_b64 s[38:39], 0
                                        ; implicit-def: $sgpr36_sgpr37
	s_branch .LBB711_122
.LBB711_120:                            ;   in Loop: Header=BB711_122 Depth=1
	global_load_ushort v16, v[14:15], off
	global_load_ushort v17, v[12:13], off
	v_add_co_u32_e32 v12, vcc, 2, v12
	v_addc_co_u32_e32 v13, vcc, 0, v13, vcc
	v_add_co_u32_e32 v14, vcc, 2, v14
	v_addc_co_u32_e32 v15, vcc, 0, v15, vcc
	s_add_u32 s38, s38, 1
	s_addc_u32 s39, s39, 0
	s_andn2_b64 s[36:37], s[36:37], exec
	s_waitcnt vmcnt(0)
	v_cmp_ne_u16_e32 vcc, v16, v17
	s_and_b64 s[40:41], vcc, exec
	s_or_b64 s[36:37], s[36:37], s[40:41]
.LBB711_121:                            ;   in Loop: Header=BB711_122 Depth=1
	s_and_b64 s[40:41], exec, s[36:37]
	s_or_b64 s[6:7], s[40:41], s[6:7]
	v_pk_mov_b32 v[16:17], s[38:39], s[38:39] op_sel:[0,1]
	s_andn2_b64 exec, exec, s[6:7]
	s_cbranch_execz .LBB711_124
.LBB711_122:                            ; =>This Inner Loop Header: Depth=1
	s_or_b64 s[36:37], s[36:37], exec
	s_cmp_eq_u64 s[4:5], s[38:39]
	s_cbranch_scc0 .LBB711_120
; %bb.123:                              ;   in Loop: Header=BB711_122 Depth=1
                                        ; implicit-def: $vgpr12_vgpr13
                                        ; implicit-def: $vgpr14_vgpr15
	s_mov_b64 s[38:39], s[26:27]
	s_branch .LBB711_121
.LBB711_124:
	s_or_b64 exec, exec, s[6:7]
	v_cmp_gt_i64_e32 vcc, s[26:27], v[16:17]
	s_orn2_b64 s[36:37], vcc, exec
.LBB711_125:
	s_or_b64 exec, exec, s[14:15]
.LBB711_126:
	s_and_b64 s[36:37], s[36:37], exec
.LBB711_127:
	s_or_b64 exec, exec, s[8:9]
	v_cndmask_b32_e64 v13, 0, 1, s[10:11]
	v_or_b32_e32 v16, v20, v21
.LBB711_128:
	s_mov_b64 s[14:15], -1
	s_cbranch_execnz .LBB711_237
.LBB711_129:
	v_lshlrev_b32_e32 v12, 5, v0
	v_sub_u32_e32 v26, v26, v12
	s_mov_b64 s[36:37], 0
	v_cmp_gt_i64_e64 s[10:11], s[26:27], 0
	s_and_b64 vcc, exec, s[30:31]
	ds_write_b64 v26, v[10:11]
	s_cbranch_vccz .LBB711_137
; %bb.130:
	s_waitcnt vmcnt(0) lgkmcnt(1)
	v_mul_lo_u32 v14, v5, s26
	v_mul_lo_u32 v15, v4, s27
	v_mad_u64_u32 v[12:13], s[4:5], v4, s26, 0
	v_add3_u32 v13, v13, v15, v14
	v_cndmask_b32_e64 v14, 0, 1, s[10:11]
	v_cmp_ne_u32_e64 s[4:5], 1, v14
	s_andn2_b64 vcc, exec, s[10:11]
	v_lshlrev_b64 v[12:13], 1, v[12:13]
	s_cbranch_vccnz .LBB711_140
; %bb.131:
	v_mul_lo_u32 v16, v11, s26
	v_mul_lo_u32 v17, v10, s27
	v_mad_u64_u32 v[14:15], s[6:7], v10, s26, 0
	v_add3_u32 v15, v15, v17, v16
	v_mov_b32_e32 v17, s17
	v_add_co_u32_e32 v16, vcc, s16, v12
	v_addc_co_u32_e64 v17, s[6:7], v17, v13, vcc
	v_lshlrev_b64 v[14:15], 1, v[14:15]
	v_mov_b32_e32 v19, s17
	v_add_co_u32_e64 v18, s[6:7], s16, v14
	v_addc_co_u32_e64 v19, s[8:9], v19, v15, s[6:7]
	global_load_ushort v14, v[16:17], off
	global_load_ushort v20, v[18:19], off
	s_mov_b64 s[36:37], -1
	s_waitcnt vmcnt(0)
	v_cmp_eq_u16_e64 s[8:9], v14, v20
	s_and_saveexec_b64 s[38:39], s[8:9]
	s_cbranch_execz .LBB711_139
; %bb.132:
	v_mov_b32_e32 v14, s17
	v_addc_co_u32_e64 v15, s[6:7], v15, v14, s[6:7]
	v_add_co_u32_e64 v14, s[6:7], 2, v18
	v_mov_b32_e32 v17, s17
	v_addc_co_u32_e64 v15, s[6:7], 0, v15, s[6:7]
	v_addc_co_u32_e32 v17, vcc, v13, v17, vcc
	v_add_co_u32_e32 v16, vcc, 2, v16
	s_add_u32 s6, s26, -1
	v_addc_co_u32_e32 v17, vcc, 0, v17, vcc
	s_addc_u32 s7, s27, -1
	s_mov_b64 s[8:9], 0
	s_mov_b64 s[40:41], 0
                                        ; implicit-def: $sgpr36_sgpr37
	s_branch .LBB711_135
.LBB711_133:                            ;   in Loop: Header=BB711_135 Depth=1
	global_load_ushort v18, v[16:17], off
	global_load_ushort v19, v[14:15], off
	v_add_co_u32_e32 v14, vcc, 2, v14
	v_addc_co_u32_e32 v15, vcc, 0, v15, vcc
	v_add_co_u32_e32 v16, vcc, 2, v16
	v_addc_co_u32_e32 v17, vcc, 0, v17, vcc
	s_add_u32 s40, s40, 1
	s_addc_u32 s41, s41, 0
	s_andn2_b64 s[36:37], s[36:37], exec
	s_waitcnt vmcnt(0)
	v_cmp_ne_u16_e32 vcc, v18, v19
	s_and_b64 s[42:43], vcc, exec
	s_or_b64 s[36:37], s[36:37], s[42:43]
.LBB711_134:                            ;   in Loop: Header=BB711_135 Depth=1
	s_and_b64 s[42:43], exec, s[36:37]
	s_or_b64 s[8:9], s[42:43], s[8:9]
	v_pk_mov_b32 v[18:19], s[40:41], s[40:41] op_sel:[0,1]
	s_andn2_b64 exec, exec, s[8:9]
	s_cbranch_execz .LBB711_138
.LBB711_135:                            ; =>This Inner Loop Header: Depth=1
	s_or_b64 s[36:37], s[36:37], exec
	s_cmp_eq_u64 s[6:7], s[40:41]
	s_cbranch_scc0 .LBB711_133
; %bb.136:                              ;   in Loop: Header=BB711_135 Depth=1
                                        ; implicit-def: $vgpr14_vgpr15
                                        ; implicit-def: $vgpr16_vgpr17
	s_mov_b64 s[40:41], s[26:27]
	s_branch .LBB711_134
.LBB711_137:
                                        ; implicit-def: $sgpr36_sgpr37
                                        ; implicit-def: $vgpr13
                                        ; implicit-def: $vgpr16
	s_cbranch_execnz .LBB711_179
	s_branch .LBB711_237
.LBB711_138:
	s_or_b64 exec, exec, s[8:9]
	v_cmp_gt_i64_e32 vcc, s[26:27], v[18:19]
	s_orn2_b64 s[36:37], vcc, exec
.LBB711_139:
	s_or_b64 exec, exec, s[38:39]
.LBB711_140:
	v_mul_lo_u32 v16, v3, s26
	v_mul_lo_u32 v17, v2, s27
	v_mad_u64_u32 v[14:15], s[6:7], v2, s26, 0
	v_add3_u32 v15, v15, v17, v16
	s_mov_b64 s[38:39], 0
	s_and_b64 vcc, exec, s[4:5]
	v_lshlrev_b64 v[14:15], 1, v[14:15]
	s_mov_b64 s[40:41], 0
	s_cbranch_vccnz .LBB711_149
; %bb.141:
	v_mov_b32_e32 v17, s17
	v_add_co_u32_e32 v16, vcc, s16, v14
	v_addc_co_u32_e64 v17, s[6:7], v17, v15, vcc
	v_mov_b32_e32 v19, s17
	v_add_co_u32_e64 v18, s[6:7], s16, v12
	v_addc_co_u32_e64 v19, s[8:9], v19, v13, s[6:7]
	global_load_ushort v12, v[16:17], off
	global_load_ushort v20, v[18:19], off
	s_mov_b64 s[40:41], -1
	s_waitcnt vmcnt(0)
	v_cmp_eq_u16_e64 s[8:9], v12, v20
	s_and_saveexec_b64 s[42:43], s[8:9]
	s_cbranch_execz .LBB711_148
; %bb.142:
	v_mov_b32_e32 v12, s17
	v_addc_co_u32_e64 v13, s[6:7], v13, v12, s[6:7]
	v_add_co_u32_e64 v12, s[6:7], 2, v18
	v_mov_b32_e32 v17, s17
	v_addc_co_u32_e64 v13, s[6:7], 0, v13, s[6:7]
	v_addc_co_u32_e32 v17, vcc, v15, v17, vcc
	v_add_co_u32_e32 v16, vcc, 2, v16
	s_add_u32 s6, s26, -1
	v_addc_co_u32_e32 v17, vcc, 0, v17, vcc
	s_addc_u32 s7, s27, -1
	s_mov_b64 s[8:9], 0
	s_mov_b64 s[44:45], 0
                                        ; implicit-def: $sgpr40_sgpr41
	s_branch .LBB711_145
.LBB711_143:                            ;   in Loop: Header=BB711_145 Depth=1
	global_load_ushort v18, v[16:17], off
	global_load_ushort v19, v[12:13], off
	v_add_co_u32_e32 v12, vcc, 2, v12
	v_addc_co_u32_e32 v13, vcc, 0, v13, vcc
	v_add_co_u32_e32 v16, vcc, 2, v16
	v_addc_co_u32_e32 v17, vcc, 0, v17, vcc
	s_add_u32 s44, s44, 1
	s_addc_u32 s45, s45, 0
	s_andn2_b64 s[40:41], s[40:41], exec
	s_waitcnt vmcnt(0)
	v_cmp_ne_u16_e32 vcc, v18, v19
	s_and_b64 s[46:47], vcc, exec
	s_or_b64 s[40:41], s[40:41], s[46:47]
.LBB711_144:                            ;   in Loop: Header=BB711_145 Depth=1
	s_and_b64 s[46:47], exec, s[40:41]
	s_or_b64 s[8:9], s[46:47], s[8:9]
	v_pk_mov_b32 v[18:19], s[44:45], s[44:45] op_sel:[0,1]
	s_andn2_b64 exec, exec, s[8:9]
	s_cbranch_execz .LBB711_147
.LBB711_145:                            ; =>This Inner Loop Header: Depth=1
	s_or_b64 s[40:41], s[40:41], exec
	s_cmp_eq_u64 s[6:7], s[44:45]
	s_cbranch_scc0 .LBB711_143
; %bb.146:                              ;   in Loop: Header=BB711_145 Depth=1
                                        ; implicit-def: $vgpr12_vgpr13
                                        ; implicit-def: $vgpr16_vgpr17
	s_mov_b64 s[44:45], s[26:27]
	s_branch .LBB711_144
.LBB711_147:
	s_or_b64 exec, exec, s[8:9]
	v_cmp_gt_i64_e32 vcc, s[26:27], v[18:19]
	s_orn2_b64 s[40:41], vcc, exec
.LBB711_148:
	s_or_b64 exec, exec, s[42:43]
.LBB711_149:
	v_mul_lo_u32 v16, v9, s26
	v_mul_lo_u32 v17, v8, s27
	v_mad_u64_u32 v[12:13], s[6:7], v8, s26, 0
	v_add3_u32 v13, v13, v17, v16
	s_and_b64 vcc, exec, s[4:5]
	v_lshlrev_b64 v[12:13], 1, v[12:13]
	s_cbranch_vccnz .LBB711_158
; %bb.150:
	v_mov_b32_e32 v17, s17
	v_add_co_u32_e32 v16, vcc, s16, v12
	v_addc_co_u32_e64 v17, s[6:7], v17, v13, vcc
	v_mov_b32_e32 v19, s17
	v_add_co_u32_e64 v18, s[6:7], s16, v14
	v_addc_co_u32_e64 v19, s[8:9], v19, v15, s[6:7]
	global_load_ushort v14, v[16:17], off
	global_load_ushort v20, v[18:19], off
	s_mov_b64 s[38:39], -1
	s_waitcnt vmcnt(0)
	v_cmp_eq_u16_e64 s[8:9], v14, v20
	s_and_saveexec_b64 s[42:43], s[8:9]
	s_cbranch_execz .LBB711_157
; %bb.151:
	v_mov_b32_e32 v14, s17
	v_addc_co_u32_e64 v15, s[6:7], v15, v14, s[6:7]
	v_add_co_u32_e64 v14, s[6:7], 2, v18
	v_mov_b32_e32 v17, s17
	v_addc_co_u32_e64 v15, s[6:7], 0, v15, s[6:7]
	v_addc_co_u32_e32 v17, vcc, v13, v17, vcc
	v_add_co_u32_e32 v16, vcc, 2, v16
	s_add_u32 s6, s26, -1
	v_addc_co_u32_e32 v17, vcc, 0, v17, vcc
	s_addc_u32 s7, s27, -1
	s_mov_b64 s[8:9], 0
	s_mov_b64 s[44:45], 0
                                        ; implicit-def: $sgpr38_sgpr39
	s_branch .LBB711_154
.LBB711_152:                            ;   in Loop: Header=BB711_154 Depth=1
	global_load_ushort v18, v[16:17], off
	global_load_ushort v19, v[14:15], off
	v_add_co_u32_e32 v14, vcc, 2, v14
	v_addc_co_u32_e32 v15, vcc, 0, v15, vcc
	v_add_co_u32_e32 v16, vcc, 2, v16
	v_addc_co_u32_e32 v17, vcc, 0, v17, vcc
	s_add_u32 s44, s44, 1
	s_addc_u32 s45, s45, 0
	s_andn2_b64 s[38:39], s[38:39], exec
	s_waitcnt vmcnt(0)
	v_cmp_ne_u16_e32 vcc, v18, v19
	s_and_b64 s[46:47], vcc, exec
	s_or_b64 s[38:39], s[38:39], s[46:47]
.LBB711_153:                            ;   in Loop: Header=BB711_154 Depth=1
	s_and_b64 s[46:47], exec, s[38:39]
	s_or_b64 s[8:9], s[46:47], s[8:9]
	v_pk_mov_b32 v[18:19], s[44:45], s[44:45] op_sel:[0,1]
	s_andn2_b64 exec, exec, s[8:9]
	s_cbranch_execz .LBB711_156
.LBB711_154:                            ; =>This Inner Loop Header: Depth=1
	s_or_b64 s[38:39], s[38:39], exec
	s_cmp_eq_u64 s[6:7], s[44:45]
	s_cbranch_scc0 .LBB711_152
; %bb.155:                              ;   in Loop: Header=BB711_154 Depth=1
                                        ; implicit-def: $vgpr14_vgpr15
                                        ; implicit-def: $vgpr16_vgpr17
	s_mov_b64 s[44:45], s[26:27]
	s_branch .LBB711_153
.LBB711_156:
	s_or_b64 exec, exec, s[8:9]
	v_cmp_gt_i64_e32 vcc, s[26:27], v[18:19]
	s_orn2_b64 s[38:39], vcc, exec
.LBB711_157:
	s_or_b64 exec, exec, s[42:43]
.LBB711_158:
	v_mul_lo_u32 v16, v7, s26
	v_mul_lo_u32 v17, v6, s27
	v_mad_u64_u32 v[14:15], s[6:7], v6, s26, 0
	v_add3_u32 v15, v15, v17, v16
	s_and_b64 vcc, exec, s[4:5]
	s_mov_b64 s[44:45], 0
	s_cbranch_vccnz .LBB711_167
; %bb.159:
	v_lshlrev_b64 v[16:17], 1, v[14:15]
	v_mov_b32_e32 v19, s17
	v_add_co_u32_e32 v18, vcc, s16, v16
	v_addc_co_u32_e64 v19, s[6:7], v19, v17, vcc
	v_mov_b32_e32 v16, s17
	v_add_co_u32_e64 v20, s[6:7], s16, v12
	v_addc_co_u32_e64 v21, s[8:9], v16, v13, s[6:7]
	global_load_ushort v12, v[18:19], off
	global_load_ushort v16, v[20:21], off
	s_mov_b64 s[44:45], -1
	s_waitcnt vmcnt(0)
	v_cmp_eq_u16_e64 s[8:9], v12, v16
	s_and_saveexec_b64 s[42:43], s[8:9]
	s_cbranch_execz .LBB711_166
; %bb.160:
	v_mov_b32_e32 v12, s17
	v_addc_co_u32_e64 v13, s[6:7], v13, v12, s[6:7]
	v_add_co_u32_e64 v12, s[6:7], 2, v20
	v_mov_b32_e32 v16, s17
	v_addc_co_u32_e64 v13, s[6:7], 0, v13, s[6:7]
	v_addc_co_u32_e32 v17, vcc, v17, v16, vcc
	v_add_co_u32_e32 v16, vcc, 2, v18
	s_add_u32 s6, s26, -1
	v_addc_co_u32_e32 v17, vcc, 0, v17, vcc
	s_addc_u32 s7, s27, -1
	s_mov_b64 s[8:9], 0
	s_mov_b64 s[46:47], 0
                                        ; implicit-def: $sgpr44_sgpr45
	s_branch .LBB711_163
.LBB711_161:                            ;   in Loop: Header=BB711_163 Depth=1
	global_load_ushort v18, v[16:17], off
	global_load_ushort v19, v[12:13], off
	v_add_co_u32_e32 v12, vcc, 2, v12
	v_addc_co_u32_e32 v13, vcc, 0, v13, vcc
	v_add_co_u32_e32 v16, vcc, 2, v16
	v_addc_co_u32_e32 v17, vcc, 0, v17, vcc
	s_add_u32 s46, s46, 1
	s_addc_u32 s47, s47, 0
	s_andn2_b64 s[44:45], s[44:45], exec
	s_waitcnt vmcnt(0)
	v_cmp_ne_u16_e32 vcc, v18, v19
	s_and_b64 s[50:51], vcc, exec
	s_or_b64 s[44:45], s[44:45], s[50:51]
.LBB711_162:                            ;   in Loop: Header=BB711_163 Depth=1
	s_and_b64 s[50:51], exec, s[44:45]
	s_or_b64 s[8:9], s[50:51], s[8:9]
	v_pk_mov_b32 v[18:19], s[46:47], s[46:47] op_sel:[0,1]
	s_andn2_b64 exec, exec, s[8:9]
	s_cbranch_execz .LBB711_165
.LBB711_163:                            ; =>This Inner Loop Header: Depth=1
	s_or_b64 s[44:45], s[44:45], exec
	s_cmp_eq_u64 s[6:7], s[46:47]
	s_cbranch_scc0 .LBB711_161
; %bb.164:                              ;   in Loop: Header=BB711_163 Depth=1
                                        ; implicit-def: $vgpr12_vgpr13
                                        ; implicit-def: $vgpr16_vgpr17
	s_mov_b64 s[46:47], s[26:27]
	s_branch .LBB711_162
.LBB711_165:
	s_or_b64 exec, exec, s[8:9]
	v_cmp_gt_i64_e32 vcc, s[26:27], v[18:19]
	s_orn2_b64 s[44:45], vcc, exec
.LBB711_166:
	s_or_b64 exec, exec, s[42:43]
.LBB711_167:
	v_cndmask_b32_e64 v13, 0, 1, s[40:41]
	v_cndmask_b32_e64 v16, 0, 1, s[44:45]
	;; [unrolled: 1-line block ×3, first 2 shown]
	v_lshlrev_b16_e32 v16, 8, v16
	v_lshlrev_b16_e32 v13, 8, v13
	v_or_b32_e32 v16, 1, v16
	v_or_b32_sdwa v12, v12, v13 dst_sel:WORD_1 dst_unused:UNUSED_PAD src0_sel:DWORD src1_sel:DWORD
	v_or_b32_sdwa v12, v16, v12 dst_sel:DWORD dst_unused:UNUSED_PAD src0_sel:WORD_0 src1_sel:DWORD
	v_cndmask_b32_e64 v13, 0, 1, s[36:37]
	s_waitcnt lgkmcnt(0)
	s_barrier
	s_waitcnt lgkmcnt(0)
                                        ; implicit-def: $sgpr36_sgpr37
                                        ; implicit-def: $vgpr16
	s_and_saveexec_b64 s[6:7], s[2:3]
	s_xor_b64 s[8:9], exec, s[6:7]
	s_cbranch_execz .LBB711_178
; %bb.168:
	s_mov_b32 s42, 0x3020104
	s_and_b64 vcc, exec, s[4:5]
	s_mov_b64 s[38:39], 0
	s_cbranch_vccnz .LBB711_177
; %bb.169:
	v_add_u32_e32 v16, -8, v26
	ds_read_b64 v[16:17], v16
	v_mov_b32_e32 v19, s17
	v_lshlrev_b64 v[14:15], 1, v[14:15]
	s_mov_b64 s[38:39], -1
	s_waitcnt lgkmcnt(0)
	v_mul_lo_u32 v18, v17, s26
	v_mul_lo_u32 v20, v16, s27
	v_mad_u64_u32 v[16:17], s[4:5], v16, s26, 0
	v_add3_u32 v17, v17, v20, v18
	v_lshlrev_b64 v[16:17], 1, v[16:17]
	v_add_co_u32_e32 v18, vcc, s16, v16
	v_addc_co_u32_e64 v19, s[4:5], v19, v17, vcc
	v_mov_b32_e32 v16, s17
	v_add_co_u32_e64 v20, s[4:5], s16, v14
	v_addc_co_u32_e64 v21, s[6:7], v16, v15, s[4:5]
	global_load_ushort v14, v[18:19], off
	global_load_ushort v16, v[20:21], off
	s_waitcnt vmcnt(0)
	v_cmp_eq_u16_e64 s[6:7], v14, v16
	s_and_saveexec_b64 s[36:37], s[6:7]
	s_cbranch_execz .LBB711_176
; %bb.170:
	v_mov_b32_e32 v14, s17
	v_addc_co_u32_e64 v15, s[4:5], v15, v14, s[4:5]
	v_add_co_u32_e64 v14, s[4:5], 2, v20
	v_mov_b32_e32 v16, s17
	v_addc_co_u32_e64 v15, s[4:5], 0, v15, s[4:5]
	v_addc_co_u32_e32 v17, vcc, v17, v16, vcc
	v_add_co_u32_e32 v16, vcc, 2, v18
	s_add_u32 s4, s26, -1
	v_addc_co_u32_e32 v17, vcc, 0, v17, vcc
	s_addc_u32 s5, s27, -1
	s_mov_b64 s[6:7], 0
	s_mov_b64 s[40:41], 0
                                        ; implicit-def: $sgpr38_sgpr39
	s_branch .LBB711_173
.LBB711_171:                            ;   in Loop: Header=BB711_173 Depth=1
	global_load_ushort v18, v[16:17], off
	global_load_ushort v19, v[14:15], off
	v_add_co_u32_e32 v14, vcc, 2, v14
	v_addc_co_u32_e32 v15, vcc, 0, v15, vcc
	v_add_co_u32_e32 v16, vcc, 2, v16
	v_addc_co_u32_e32 v17, vcc, 0, v17, vcc
	s_add_u32 s40, s40, 1
	s_addc_u32 s41, s41, 0
	s_andn2_b64 s[38:39], s[38:39], exec
	s_waitcnt vmcnt(0)
	v_cmp_ne_u16_e32 vcc, v18, v19
	s_and_b64 s[44:45], vcc, exec
	s_or_b64 s[38:39], s[38:39], s[44:45]
.LBB711_172:                            ;   in Loop: Header=BB711_173 Depth=1
	s_and_b64 s[44:45], exec, s[38:39]
	s_or_b64 s[6:7], s[44:45], s[6:7]
	v_pk_mov_b32 v[18:19], s[40:41], s[40:41] op_sel:[0,1]
	s_andn2_b64 exec, exec, s[6:7]
	s_cbranch_execz .LBB711_175
.LBB711_173:                            ; =>This Inner Loop Header: Depth=1
	s_or_b64 s[38:39], s[38:39], exec
	s_cmp_eq_u64 s[4:5], s[40:41]
	s_cbranch_scc0 .LBB711_171
; %bb.174:                              ;   in Loop: Header=BB711_173 Depth=1
                                        ; implicit-def: $vgpr14_vgpr15
                                        ; implicit-def: $vgpr16_vgpr17
	s_mov_b64 s[40:41], s[26:27]
	s_branch .LBB711_172
.LBB711_175:
	s_or_b64 exec, exec, s[6:7]
	v_cmp_gt_i64_e32 vcc, s[26:27], v[18:19]
	s_orn2_b64 s[38:39], vcc, exec
.LBB711_176:
	s_or_b64 exec, exec, s[36:37]
.LBB711_177:
	v_perm_b32 v16, v12, v12, s42
	s_and_b64 s[36:37], s[38:39], exec
	s_or_b64 s[14:15], s[14:15], exec
.LBB711_178:
	s_or_b64 exec, exec, s[8:9]
	s_branch .LBB711_237
.LBB711_179:
	v_cmp_gt_u32_e32 vcc, s48, v23
	s_mov_b64 s[36:37], 0
	s_mov_b64 s[8:9], 0
	s_and_saveexec_b64 s[38:39], vcc
	s_cbranch_execz .LBB711_190
; %bb.180:
	s_andn2_b64 vcc, exec, s[10:11]
	s_mov_b64 s[40:41], 0
	s_cbranch_vccnz .LBB711_189
; %bb.181:
	s_waitcnt vmcnt(0) lgkmcnt(1)
	v_mul_lo_u32 v14, v5, s26
	v_mul_lo_u32 v15, v4, s27
	v_mad_u64_u32 v[12:13], s[4:5], v4, s26, 0
	v_add3_u32 v13, v13, v15, v14
	v_mul_lo_u32 v14, v11, s26
	v_mul_lo_u32 v15, v10, s27
	v_mad_u64_u32 v[18:19], s[4:5], v10, s26, 0
	v_add3_u32 v19, v19, v15, v14
	v_lshlrev_b64 v[14:15], 1, v[12:13]
	v_mov_b32_e32 v12, s17
	v_add_co_u32_e32 v16, vcc, s16, v14
	v_addc_co_u32_e64 v17, s[4:5], v12, v15, vcc
	v_lshlrev_b64 v[12:13], 1, v[18:19]
	v_mov_b32_e32 v14, s17
	v_add_co_u32_e64 v18, s[4:5], s16, v12
	v_addc_co_u32_e64 v19, s[6:7], v14, v13, s[4:5]
	global_load_ushort v12, v[16:17], off
	global_load_ushort v14, v[18:19], off
	s_mov_b64 s[40:41], -1
	s_waitcnt vmcnt(0)
	v_cmp_eq_u16_e64 s[6:7], v12, v14
	s_and_saveexec_b64 s[8:9], s[6:7]
	s_cbranch_execz .LBB711_188
; %bb.182:
	v_mov_b32_e32 v12, s17
	v_addc_co_u32_e64 v13, s[4:5], v13, v12, s[4:5]
	v_add_co_u32_e64 v12, s[4:5], 2, v18
	v_mov_b32_e32 v14, s17
	v_addc_co_u32_e64 v13, s[4:5], 0, v13, s[4:5]
	v_addc_co_u32_e32 v15, vcc, v15, v14, vcc
	v_add_co_u32_e32 v14, vcc, 2, v16
	s_add_u32 s4, s26, -1
	v_addc_co_u32_e32 v15, vcc, 0, v15, vcc
	s_addc_u32 s5, s27, -1
	s_mov_b64 s[6:7], 0
	s_mov_b64 s[42:43], 0
                                        ; implicit-def: $sgpr40_sgpr41
	s_branch .LBB711_185
.LBB711_183:                            ;   in Loop: Header=BB711_185 Depth=1
	global_load_ushort v16, v[14:15], off
	global_load_ushort v17, v[12:13], off
	v_add_co_u32_e32 v12, vcc, 2, v12
	v_addc_co_u32_e32 v13, vcc, 0, v13, vcc
	v_add_co_u32_e32 v14, vcc, 2, v14
	v_addc_co_u32_e32 v15, vcc, 0, v15, vcc
	s_add_u32 s42, s42, 1
	s_addc_u32 s43, s43, 0
	s_andn2_b64 s[40:41], s[40:41], exec
	s_waitcnt vmcnt(0)
	v_cmp_ne_u16_e32 vcc, v16, v17
	s_and_b64 s[44:45], vcc, exec
	s_or_b64 s[40:41], s[40:41], s[44:45]
.LBB711_184:                            ;   in Loop: Header=BB711_185 Depth=1
	s_and_b64 s[44:45], exec, s[40:41]
	s_or_b64 s[6:7], s[44:45], s[6:7]
	v_pk_mov_b32 v[16:17], s[42:43], s[42:43] op_sel:[0,1]
	s_andn2_b64 exec, exec, s[6:7]
	s_cbranch_execz .LBB711_187
.LBB711_185:                            ; =>This Inner Loop Header: Depth=1
	s_or_b64 s[40:41], s[40:41], exec
	s_cmp_eq_u64 s[4:5], s[42:43]
	s_cbranch_scc0 .LBB711_183
; %bb.186:                              ;   in Loop: Header=BB711_185 Depth=1
                                        ; implicit-def: $vgpr12_vgpr13
                                        ; implicit-def: $vgpr14_vgpr15
	s_mov_b64 s[42:43], s[26:27]
	s_branch .LBB711_184
.LBB711_187:
	s_or_b64 exec, exec, s[6:7]
	v_cmp_gt_i64_e32 vcc, s[26:27], v[16:17]
	s_orn2_b64 s[40:41], vcc, exec
.LBB711_188:
	s_or_b64 exec, exec, s[8:9]
.LBB711_189:
	s_and_b64 s[8:9], s[40:41], exec
.LBB711_190:
	s_or_b64 exec, exec, s[38:39]
	v_cmp_gt_u32_e32 vcc, s48, v25
	s_and_saveexec_b64 s[38:39], vcc
	s_cbranch_execz .LBB711_201
; %bb.191:
	s_andn2_b64 vcc, exec, s[10:11]
	s_mov_b64 s[40:41], 0
	s_cbranch_vccnz .LBB711_200
; %bb.192:
	s_waitcnt vmcnt(0) lgkmcnt(1)
	v_mul_lo_u32 v14, v3, s26
	v_mul_lo_u32 v15, v2, s27
	v_mad_u64_u32 v[12:13], s[4:5], v2, s26, 0
	v_add3_u32 v13, v13, v15, v14
	v_mul_lo_u32 v14, v5, s26
	v_mul_lo_u32 v15, v4, s27
	v_mad_u64_u32 v[18:19], s[4:5], v4, s26, 0
	v_add3_u32 v19, v19, v15, v14
	v_lshlrev_b64 v[14:15], 1, v[12:13]
	v_mov_b32_e32 v12, s17
	v_add_co_u32_e32 v16, vcc, s16, v14
	v_addc_co_u32_e64 v17, s[4:5], v12, v15, vcc
	v_lshlrev_b64 v[12:13], 1, v[18:19]
	v_mov_b32_e32 v14, s17
	v_add_co_u32_e64 v18, s[4:5], s16, v12
	v_addc_co_u32_e64 v19, s[6:7], v14, v13, s[4:5]
	global_load_ushort v12, v[16:17], off
	global_load_ushort v14, v[18:19], off
	s_mov_b64 s[40:41], -1
	s_waitcnt vmcnt(0)
	v_cmp_eq_u16_e64 s[6:7], v12, v14
	s_and_saveexec_b64 s[36:37], s[6:7]
	s_cbranch_execz .LBB711_199
; %bb.193:
	v_mov_b32_e32 v12, s17
	v_addc_co_u32_e64 v13, s[4:5], v13, v12, s[4:5]
	v_add_co_u32_e64 v12, s[4:5], 2, v18
	v_mov_b32_e32 v14, s17
	v_addc_co_u32_e64 v13, s[4:5], 0, v13, s[4:5]
	v_addc_co_u32_e32 v15, vcc, v15, v14, vcc
	v_add_co_u32_e32 v14, vcc, 2, v16
	s_add_u32 s4, s26, -1
	v_addc_co_u32_e32 v15, vcc, 0, v15, vcc
	s_addc_u32 s5, s27, -1
	s_mov_b64 s[6:7], 0
	s_mov_b64 s[42:43], 0
                                        ; implicit-def: $sgpr40_sgpr41
	s_branch .LBB711_196
.LBB711_194:                            ;   in Loop: Header=BB711_196 Depth=1
	global_load_ushort v16, v[14:15], off
	global_load_ushort v17, v[12:13], off
	v_add_co_u32_e32 v12, vcc, 2, v12
	v_addc_co_u32_e32 v13, vcc, 0, v13, vcc
	v_add_co_u32_e32 v14, vcc, 2, v14
	v_addc_co_u32_e32 v15, vcc, 0, v15, vcc
	s_add_u32 s42, s42, 1
	s_addc_u32 s43, s43, 0
	s_andn2_b64 s[40:41], s[40:41], exec
	s_waitcnt vmcnt(0)
	v_cmp_ne_u16_e32 vcc, v16, v17
	s_and_b64 s[44:45], vcc, exec
	s_or_b64 s[40:41], s[40:41], s[44:45]
.LBB711_195:                            ;   in Loop: Header=BB711_196 Depth=1
	s_and_b64 s[44:45], exec, s[40:41]
	s_or_b64 s[6:7], s[44:45], s[6:7]
	v_pk_mov_b32 v[16:17], s[42:43], s[42:43] op_sel:[0,1]
	s_andn2_b64 exec, exec, s[6:7]
	s_cbranch_execz .LBB711_198
.LBB711_196:                            ; =>This Inner Loop Header: Depth=1
	s_or_b64 s[40:41], s[40:41], exec
	s_cmp_eq_u64 s[4:5], s[42:43]
	s_cbranch_scc0 .LBB711_194
; %bb.197:                              ;   in Loop: Header=BB711_196 Depth=1
                                        ; implicit-def: $vgpr12_vgpr13
                                        ; implicit-def: $vgpr14_vgpr15
	s_mov_b64 s[42:43], s[26:27]
	s_branch .LBB711_195
.LBB711_198:
	s_or_b64 exec, exec, s[6:7]
	v_cmp_gt_i64_e32 vcc, s[26:27], v[16:17]
	s_orn2_b64 s[40:41], vcc, exec
.LBB711_199:
	s_or_b64 exec, exec, s[36:37]
.LBB711_200:
	s_and_b64 s[36:37], s[40:41], exec
.LBB711_201:
	s_or_b64 exec, exec, s[38:39]
	v_cmp_gt_u32_e32 vcc, s48, v22
	s_mov_b64 s[38:39], 0
	s_mov_b64 s[40:41], 0
	s_and_saveexec_b64 s[42:43], vcc
	s_cbranch_execz .LBB711_212
; %bb.202:
	s_andn2_b64 vcc, exec, s[10:11]
	s_mov_b64 s[44:45], 0
	s_cbranch_vccnz .LBB711_211
; %bb.203:
	s_waitcnt vmcnt(0) lgkmcnt(1)
	v_mul_lo_u32 v14, v9, s26
	v_mul_lo_u32 v15, v8, s27
	v_mad_u64_u32 v[12:13], s[4:5], v8, s26, 0
	v_add3_u32 v13, v13, v15, v14
	v_mul_lo_u32 v14, v3, s26
	v_mul_lo_u32 v15, v2, s27
	v_mad_u64_u32 v[18:19], s[4:5], v2, s26, 0
	v_add3_u32 v19, v19, v15, v14
	v_lshlrev_b64 v[14:15], 1, v[12:13]
	v_mov_b32_e32 v12, s17
	v_add_co_u32_e32 v16, vcc, s16, v14
	v_addc_co_u32_e64 v17, s[4:5], v12, v15, vcc
	v_lshlrev_b64 v[12:13], 1, v[18:19]
	v_mov_b32_e32 v14, s17
	v_add_co_u32_e64 v18, s[4:5], s16, v12
	v_addc_co_u32_e64 v19, s[6:7], v14, v13, s[4:5]
	global_load_ushort v12, v[16:17], off
	global_load_ushort v14, v[18:19], off
	s_mov_b64 s[44:45], -1
	s_waitcnt vmcnt(0)
	v_cmp_eq_u16_e64 s[6:7], v12, v14
	s_and_saveexec_b64 s[40:41], s[6:7]
	s_cbranch_execz .LBB711_210
; %bb.204:
	v_mov_b32_e32 v12, s17
	v_addc_co_u32_e64 v13, s[4:5], v13, v12, s[4:5]
	v_add_co_u32_e64 v12, s[4:5], 2, v18
	v_mov_b32_e32 v14, s17
	v_addc_co_u32_e64 v13, s[4:5], 0, v13, s[4:5]
	v_addc_co_u32_e32 v15, vcc, v15, v14, vcc
	v_add_co_u32_e32 v14, vcc, 2, v16
	s_add_u32 s4, s26, -1
	v_addc_co_u32_e32 v15, vcc, 0, v15, vcc
	s_addc_u32 s5, s27, -1
	s_mov_b64 s[6:7], 0
	s_mov_b64 s[46:47], 0
                                        ; implicit-def: $sgpr44_sgpr45
	s_branch .LBB711_207
.LBB711_205:                            ;   in Loop: Header=BB711_207 Depth=1
	global_load_ushort v16, v[14:15], off
	global_load_ushort v17, v[12:13], off
	v_add_co_u32_e32 v12, vcc, 2, v12
	v_addc_co_u32_e32 v13, vcc, 0, v13, vcc
	v_add_co_u32_e32 v14, vcc, 2, v14
	v_addc_co_u32_e32 v15, vcc, 0, v15, vcc
	s_add_u32 s46, s46, 1
	s_addc_u32 s47, s47, 0
	s_andn2_b64 s[44:45], s[44:45], exec
	s_waitcnt vmcnt(0)
	v_cmp_ne_u16_e32 vcc, v16, v17
	s_and_b64 s[50:51], vcc, exec
	s_or_b64 s[44:45], s[44:45], s[50:51]
.LBB711_206:                            ;   in Loop: Header=BB711_207 Depth=1
	s_and_b64 s[50:51], exec, s[44:45]
	s_or_b64 s[6:7], s[50:51], s[6:7]
	v_pk_mov_b32 v[16:17], s[46:47], s[46:47] op_sel:[0,1]
	s_andn2_b64 exec, exec, s[6:7]
	s_cbranch_execz .LBB711_209
.LBB711_207:                            ; =>This Inner Loop Header: Depth=1
	s_or_b64 s[44:45], s[44:45], exec
	s_cmp_eq_u64 s[4:5], s[46:47]
	s_cbranch_scc0 .LBB711_205
; %bb.208:                              ;   in Loop: Header=BB711_207 Depth=1
                                        ; implicit-def: $vgpr12_vgpr13
                                        ; implicit-def: $vgpr14_vgpr15
	s_mov_b64 s[46:47], s[26:27]
	s_branch .LBB711_206
.LBB711_209:
	s_or_b64 exec, exec, s[6:7]
	v_cmp_gt_i64_e32 vcc, s[26:27], v[16:17]
	s_orn2_b64 s[44:45], vcc, exec
.LBB711_210:
	s_or_b64 exec, exec, s[40:41]
.LBB711_211:
	s_and_b64 s[40:41], s[44:45], exec
.LBB711_212:
	s_or_b64 exec, exec, s[42:43]
	v_cmp_gt_u32_e32 vcc, s48, v24
	s_and_saveexec_b64 s[42:43], vcc
	s_cbranch_execz .LBB711_223
; %bb.213:
	s_andn2_b64 vcc, exec, s[10:11]
	s_mov_b64 s[44:45], 0
	s_cbranch_vccnz .LBB711_222
; %bb.214:
	s_waitcnt vmcnt(0) lgkmcnt(1)
	v_mul_lo_u32 v14, v7, s26
	v_mul_lo_u32 v15, v6, s27
	v_mad_u64_u32 v[12:13], s[4:5], v6, s26, 0
	v_add3_u32 v13, v13, v15, v14
	v_mul_lo_u32 v14, v9, s26
	v_mul_lo_u32 v15, v8, s27
	v_mad_u64_u32 v[18:19], s[4:5], v8, s26, 0
	v_add3_u32 v19, v19, v15, v14
	v_lshlrev_b64 v[14:15], 1, v[12:13]
	v_mov_b32_e32 v12, s17
	v_add_co_u32_e32 v16, vcc, s16, v14
	v_addc_co_u32_e64 v17, s[4:5], v12, v15, vcc
	v_lshlrev_b64 v[12:13], 1, v[18:19]
	v_mov_b32_e32 v14, s17
	v_add_co_u32_e64 v18, s[4:5], s16, v12
	v_addc_co_u32_e64 v19, s[6:7], v14, v13, s[4:5]
	global_load_ushort v12, v[16:17], off
	global_load_ushort v14, v[18:19], off
	s_mov_b64 s[44:45], -1
	s_waitcnt vmcnt(0)
	v_cmp_eq_u16_e64 s[6:7], v12, v14
	s_and_saveexec_b64 s[38:39], s[6:7]
	s_cbranch_execz .LBB711_221
; %bb.215:
	v_mov_b32_e32 v12, s17
	v_addc_co_u32_e64 v13, s[4:5], v13, v12, s[4:5]
	v_add_co_u32_e64 v12, s[4:5], 2, v18
	v_mov_b32_e32 v14, s17
	v_addc_co_u32_e64 v13, s[4:5], 0, v13, s[4:5]
	v_addc_co_u32_e32 v15, vcc, v15, v14, vcc
	v_add_co_u32_e32 v14, vcc, 2, v16
	s_add_u32 s4, s26, -1
	v_addc_co_u32_e32 v15, vcc, 0, v15, vcc
	s_addc_u32 s5, s27, -1
	s_mov_b64 s[6:7], 0
	s_mov_b64 s[46:47], 0
                                        ; implicit-def: $sgpr44_sgpr45
	s_branch .LBB711_218
.LBB711_216:                            ;   in Loop: Header=BB711_218 Depth=1
	global_load_ushort v16, v[14:15], off
	global_load_ushort v17, v[12:13], off
	v_add_co_u32_e32 v12, vcc, 2, v12
	v_addc_co_u32_e32 v13, vcc, 0, v13, vcc
	v_add_co_u32_e32 v14, vcc, 2, v14
	v_addc_co_u32_e32 v15, vcc, 0, v15, vcc
	s_add_u32 s46, s46, 1
	s_addc_u32 s47, s47, 0
	s_andn2_b64 s[44:45], s[44:45], exec
	s_waitcnt vmcnt(0)
	v_cmp_ne_u16_e32 vcc, v16, v17
	s_and_b64 s[50:51], vcc, exec
	s_or_b64 s[44:45], s[44:45], s[50:51]
.LBB711_217:                            ;   in Loop: Header=BB711_218 Depth=1
	s_and_b64 s[50:51], exec, s[44:45]
	s_or_b64 s[6:7], s[50:51], s[6:7]
	v_pk_mov_b32 v[16:17], s[46:47], s[46:47] op_sel:[0,1]
	s_andn2_b64 exec, exec, s[6:7]
	s_cbranch_execz .LBB711_220
.LBB711_218:                            ; =>This Inner Loop Header: Depth=1
	s_or_b64 s[44:45], s[44:45], exec
	s_cmp_eq_u64 s[4:5], s[46:47]
	s_cbranch_scc0 .LBB711_216
; %bb.219:                              ;   in Loop: Header=BB711_218 Depth=1
                                        ; implicit-def: $vgpr12_vgpr13
                                        ; implicit-def: $vgpr14_vgpr15
	s_mov_b64 s[46:47], s[26:27]
	s_branch .LBB711_217
.LBB711_220:
	s_or_b64 exec, exec, s[6:7]
	v_cmp_gt_i64_e32 vcc, s[26:27], v[16:17]
	s_orn2_b64 s[44:45], vcc, exec
.LBB711_221:
	s_or_b64 exec, exec, s[38:39]
.LBB711_222:
	s_and_b64 s[38:39], s[44:45], exec
.LBB711_223:
	s_or_b64 exec, exec, s[42:43]
	v_cndmask_b32_e64 v13, 0, 1, s[36:37]
	s_waitcnt vmcnt(0) lgkmcnt(1)
	v_cndmask_b32_e64 v14, 0, 1, s[38:39]
	v_cndmask_b32_e64 v12, 0, 1, s[40:41]
	v_lshlrev_b16_e32 v14, 8, v14
	v_lshlrev_b16_e32 v13, 8, v13
	v_or_b32_e32 v14, 1, v14
	v_or_b32_sdwa v12, v12, v13 dst_sel:WORD_1 dst_unused:UNUSED_PAD src0_sel:DWORD src1_sel:DWORD
	v_or_b32_sdwa v12, v14, v12 dst_sel:DWORD dst_unused:UNUSED_PAD src0_sel:WORD_0 src1_sel:DWORD
	v_cndmask_b32_e64 v13, 0, 1, s[8:9]
	s_waitcnt lgkmcnt(0)
	s_barrier
	s_waitcnt lgkmcnt(0)
                                        ; implicit-def: $sgpr36_sgpr37
                                        ; implicit-def: $vgpr16
	s_and_saveexec_b64 s[6:7], s[2:3]
	s_cbranch_execz .LBB711_236
; %bb.224:
	v_cmp_gt_u32_e32 vcc, s48, v1
	s_mov_b32 s38, 0x3020104
	s_mov_b64 s[2:3], 0
	s_and_saveexec_b64 s[8:9], vcc
	s_cbranch_execz .LBB711_235
; %bb.225:
	s_andn2_b64 vcc, exec, s[10:11]
	s_mov_b64 s[36:37], 0
	s_cbranch_vccnz .LBB711_234
; %bb.226:
	v_add_u32_e32 v14, -8, v26
	ds_read_b64 v[14:15], v14
	v_mul_lo_u32 v16, v7, s26
	v_mad_u64_u32 v[20:21], s[2:3], v6, s26, 0
	s_mov_b64 s[36:37], -1
	s_waitcnt lgkmcnt(0)
	v_mul_lo_u32 v17, v15, s26
	v_mul_lo_u32 v18, v14, s27
	v_mad_u64_u32 v[14:15], s[2:3], v14, s26, 0
	v_add3_u32 v15, v15, v18, v17
	v_mul_lo_u32 v17, v6, s27
	v_add3_u32 v21, v21, v17, v16
	v_lshlrev_b64 v[16:17], 1, v[14:15]
	v_mov_b32_e32 v14, s17
	v_add_co_u32_e32 v18, vcc, s16, v16
	v_addc_co_u32_e64 v19, s[2:3], v14, v17, vcc
	v_lshlrev_b64 v[14:15], 1, v[20:21]
	v_mov_b32_e32 v16, s17
	v_add_co_u32_e64 v20, s[2:3], s16, v14
	v_addc_co_u32_e64 v21, s[4:5], v16, v15, s[2:3]
	global_load_ushort v14, v[18:19], off
	global_load_ushort v16, v[20:21], off
	s_waitcnt vmcnt(0)
	v_cmp_eq_u16_e64 s[4:5], v14, v16
	s_and_saveexec_b64 s[10:11], s[4:5]
	s_cbranch_execz .LBB711_233
; %bb.227:
	v_mov_b32_e32 v14, s17
	v_addc_co_u32_e64 v15, s[2:3], v15, v14, s[2:3]
	v_add_co_u32_e64 v14, s[2:3], 2, v20
	v_mov_b32_e32 v16, s17
	v_addc_co_u32_e64 v15, s[2:3], 0, v15, s[2:3]
	v_addc_co_u32_e32 v17, vcc, v17, v16, vcc
	v_add_co_u32_e32 v16, vcc, 2, v18
	s_add_u32 s2, s26, -1
	v_addc_co_u32_e32 v17, vcc, 0, v17, vcc
	s_addc_u32 s3, s27, -1
	s_mov_b64 s[4:5], 0
	s_mov_b64 s[36:37], 0
                                        ; implicit-def: $sgpr16_sgpr17
	s_branch .LBB711_230
.LBB711_228:                            ;   in Loop: Header=BB711_230 Depth=1
	global_load_ushort v18, v[16:17], off
	global_load_ushort v19, v[14:15], off
	v_add_co_u32_e32 v14, vcc, 2, v14
	v_addc_co_u32_e32 v15, vcc, 0, v15, vcc
	v_add_co_u32_e32 v16, vcc, 2, v16
	v_addc_co_u32_e32 v17, vcc, 0, v17, vcc
	s_add_u32 s36, s36, 1
	s_addc_u32 s37, s37, 0
	s_andn2_b64 s[16:17], s[16:17], exec
	s_waitcnt vmcnt(0)
	v_cmp_ne_u16_e32 vcc, v18, v19
	s_and_b64 s[40:41], vcc, exec
	s_or_b64 s[16:17], s[16:17], s[40:41]
.LBB711_229:                            ;   in Loop: Header=BB711_230 Depth=1
	s_and_b64 s[40:41], exec, s[16:17]
	s_or_b64 s[4:5], s[40:41], s[4:5]
	v_pk_mov_b32 v[18:19], s[36:37], s[36:37] op_sel:[0,1]
	s_andn2_b64 exec, exec, s[4:5]
	s_cbranch_execz .LBB711_232
.LBB711_230:                            ; =>This Inner Loop Header: Depth=1
	s_or_b64 s[16:17], s[16:17], exec
	s_cmp_eq_u64 s[2:3], s[36:37]
	s_cbranch_scc0 .LBB711_228
; %bb.231:                              ;   in Loop: Header=BB711_230 Depth=1
                                        ; implicit-def: $vgpr14_vgpr15
                                        ; implicit-def: $vgpr16_vgpr17
	s_mov_b64 s[36:37], s[26:27]
	s_branch .LBB711_229
.LBB711_232:
	s_or_b64 exec, exec, s[4:5]
	v_cmp_gt_i64_e32 vcc, s[26:27], v[18:19]
	s_orn2_b64 s[36:37], vcc, exec
.LBB711_233:
	s_or_b64 exec, exec, s[10:11]
.LBB711_234:
	s_and_b64 s[2:3], s[36:37], exec
.LBB711_235:
	s_or_b64 exec, exec, s[8:9]
	v_perm_b32 v16, v12, v12, s38
	s_and_b64 s[36:37], s[2:3], exec
	s_or_b64 s[14:15], s[14:15], exec
.LBB711_236:
	s_or_b64 exec, exec, s[6:7]
.LBB711_237:
	s_and_saveexec_b64 s[2:3], s[14:15]
	s_cbranch_execz .LBB711_239
; %bb.238:
	s_waitcnt vmcnt(0) lgkmcnt(0)
	v_lshrrev_b32_e32 v14, 24, v16
	s_movk_i32 s4, 0xff
	v_lshlrev_b16_e32 v14, 8, v14
	v_and_b32_sdwa v15, v16, s4 dst_sel:DWORD dst_unused:UNUSED_PAD src0_sel:WORD_1 src1_sel:DWORD
	v_or_b32_sdwa v14, v15, v14 dst_sel:WORD_1 dst_unused:UNUSED_PAD src0_sel:DWORD src1_sel:DWORD
	v_mov_b32_e32 v15, 8
	v_cndmask_b32_e64 v12, 0, 1, s[36:37]
	v_lshrrev_b32_sdwa v15, v15, v16 dst_sel:BYTE_1 dst_unused:UNUSED_PAD src0_sel:DWORD src1_sel:DWORD
	v_or_b32_e32 v12, v12, v15
	s_mov_b32 s4, 0xffff
	v_or_b32_sdwa v12, v12, v14 dst_sel:DWORD dst_unused:UNUSED_PAD src0_sel:WORD_0 src1_sel:DWORD
	v_and_b32_sdwa v13, s4, v13 dst_sel:DWORD dst_unused:UNUSED_PAD src0_sel:DWORD src1_sel:BYTE_0
.LBB711_239:
	s_or_b64 exec, exec, s[2:3]
	s_andn2_b64 vcc, exec, s[12:13]
	s_cbranch_vccnz .LBB711_241
; %bb.240:
	v_cmp_gt_u32_e32 vcc, s48, v1
	v_cndmask_b32_e32 v1, 0, v12, vcc
	v_and_b32_e32 v1, 0xffff00ff, v1
	v_cmp_gt_u32_e64 s[2:3], s48, v24
	v_cndmask_b32_e64 v1, v1, v12, s[2:3]
	s_waitcnt vmcnt(0) lgkmcnt(0)
	v_lshrrev_b32_e32 v14, 24, v1
	s_mov_b32 s4, 0x40c0100
	v_perm_b32 v1, v14, v1, s4
	v_cmp_gt_u32_e64 s[4:5], s48, v22
	v_cmp_gt_u32_e64 s[6:7], s48, v25
	v_cndmask_b32_e64 v1, v1, v12, s[4:5]
	s_or_b64 s[4:5], s[6:7], s[4:5]
	s_or_b64 s[2:3], s[4:5], s[2:3]
	s_or_b64 vcc, s[2:3], vcc
	v_and_b32_e32 v1, 0xffffff, v1
	v_cndmask_b32_e32 v14, 0, v13, vcc
	v_cndmask_b32_e64 v1, v1, v12, s[6:7]
	v_and_b32_e32 v14, 0xffffff00, v14
	v_cmp_gt_u32_e32 vcc, s48, v23
	v_cndmask_b32_e32 v1, v1, v12, vcc
	v_cndmask_b32_e32 v12, v14, v13, vcc
	s_mov_b32 s2, 0x3020104
	v_and_b32_e32 v13, 0xff, v12
	v_perm_b32 v12, v1, v1, s2
.LBB711_241:
	v_and_b32_e32 v1, 0xff, v12
	v_bfe_u32 v25, v12, 8, 8
	v_bfe_u32 v27, v12, 16, 8
	s_waitcnt vmcnt(0) lgkmcnt(0)
	v_alignbit_b32 v14, v13, v12, 24
	v_and_b32_e32 v28, 0xff, v14
	v_and_b32_e32 v14, 0xff, v13
	v_add3_u32 v15, v25, v1, v27
	v_add3_u32 v31, v15, v28, v14
	v_mbcnt_lo_u32_b32 v14, -1, 0
	v_mbcnt_hi_u32_b32 v29, -1, v14
	v_and_b32_e32 v14, 15, v29
	v_cmp_eq_u32_e64 s[14:15], 0, v14
	v_cmp_lt_u32_e64 s[12:13], 1, v14
	v_cmp_lt_u32_e64 s[10:11], 3, v14
	;; [unrolled: 1-line block ×3, first 2 shown]
	v_and_b32_e32 v14, 16, v29
	v_cmp_eq_u32_e64 s[6:7], 0, v14
	v_or_b32_e32 v14, 63, v0
	v_cmp_lt_u32_e64 s[2:3], 31, v29
	v_lshrrev_b32_e32 v30, 6, v0
	v_cmp_eq_u32_e64 s[4:5], v14, v0
	s_and_b64 vcc, exec, s[34:35]
	s_barrier
	s_cbranch_vccz .LBB711_268
; %bb.242:
	v_mov_b32_dpp v14, v31 row_shr:1 row_mask:0xf bank_mask:0xf
	v_cndmask_b32_e64 v14, v14, 0, s[14:15]
	v_add_u32_e32 v14, v14, v31
	s_nop 1
	v_mov_b32_dpp v15, v14 row_shr:2 row_mask:0xf bank_mask:0xf
	v_cndmask_b32_e64 v15, 0, v15, s[12:13]
	v_add_u32_e32 v14, v14, v15
	s_nop 1
	;; [unrolled: 4-line block ×4, first 2 shown]
	v_mov_b32_dpp v15, v14 row_bcast:15 row_mask:0xf bank_mask:0xf
	v_cndmask_b32_e64 v15, v15, 0, s[6:7]
	v_add_u32_e32 v14, v14, v15
	s_nop 1
	v_mov_b32_dpp v15, v14 row_bcast:31 row_mask:0xf bank_mask:0xf
	v_cndmask_b32_e64 v15, 0, v15, s[2:3]
	v_add_u32_e32 v14, v14, v15
	s_and_saveexec_b64 s[16:17], s[4:5]
	s_cbranch_execz .LBB711_244
; %bb.243:
	v_lshlrev_b32_e32 v15, 2, v30
	ds_write_b32 v15, v14
.LBB711_244:
	s_or_b64 exec, exec, s[16:17]
	v_cmp_gt_u32_e32 vcc, 4, v0
	s_waitcnt lgkmcnt(0)
	s_barrier
	s_and_saveexec_b64 s[16:17], vcc
	s_cbranch_execz .LBB711_246
; %bb.245:
	v_lshlrev_b32_e32 v15, 2, v0
	ds_read_b32 v16, v15
	v_and_b32_e32 v17, 3, v29
	v_cmp_ne_u32_e32 vcc, 0, v17
	s_waitcnt lgkmcnt(0)
	v_mov_b32_dpp v18, v16 row_shr:1 row_mask:0xf bank_mask:0xf
	v_cndmask_b32_e32 v18, 0, v18, vcc
	v_add_u32_e32 v16, v18, v16
	v_cmp_lt_u32_e32 vcc, 1, v17
	s_nop 0
	v_mov_b32_dpp v18, v16 row_shr:2 row_mask:0xf bank_mask:0xf
	v_cndmask_b32_e32 v17, 0, v18, vcc
	v_add_u32_e32 v16, v16, v17
	ds_write_b32 v15, v16
.LBB711_246:
	s_or_b64 exec, exec, s[16:17]
	v_cmp_gt_u32_e32 vcc, 64, v0
	v_cmp_lt_u32_e64 s[16:17], 63, v0
	s_waitcnt lgkmcnt(0)
	s_barrier
	s_waitcnt lgkmcnt(0)
                                        ; implicit-def: $vgpr24
	s_and_saveexec_b64 s[26:27], s[16:17]
	s_cbranch_execz .LBB711_248
; %bb.247:
	v_lshl_add_u32 v15, v30, 2, -4
	ds_read_b32 v24, v15
	s_waitcnt lgkmcnt(0)
	v_add_u32_e32 v14, v24, v14
.LBB711_248:
	s_or_b64 exec, exec, s[26:27]
	v_add_u32_e32 v15, -1, v29
	v_and_b32_e32 v16, 64, v29
	v_cmp_lt_i32_e64 s[16:17], v15, v16
	v_cndmask_b32_e64 v15, v15, v29, s[16:17]
	v_lshlrev_b32_e32 v15, 2, v15
	ds_bpermute_b32 v26, v15, v14
	v_cmp_eq_u32_e64 s[16:17], 0, v29
	s_and_saveexec_b64 s[26:27], vcc
	s_cbranch_execz .LBB711_267
; %bb.249:
	v_mov_b32_e32 v21, 0
	ds_read_b32 v14, v21 offset:12
	s_and_saveexec_b64 s[34:35], s[16:17]
	s_cbranch_execz .LBB711_251
; %bb.250:
	s_add_i32 s36, s33, 64
	s_mov_b32 s37, 0
	s_lshl_b64 s[36:37], s[36:37], 3
	s_add_u32 s36, s18, s36
	v_mov_b32_e32 v15, 1
	s_addc_u32 s37, s19, s37
	s_waitcnt lgkmcnt(0)
	global_store_dwordx2 v21, v[14:15], s[36:37]
.LBB711_251:
	s_or_b64 exec, exec, s[34:35]
	v_xad_u32 v16, v29, -1, s33
	v_add_u32_e32 v20, 64, v16
	v_lshlrev_b64 v[18:19], 3, v[20:21]
	v_mov_b32_e32 v15, s19
	v_add_co_u32_e32 v22, vcc, s18, v18
	v_addc_co_u32_e32 v23, vcc, v15, v19, vcc
	global_load_dwordx2 v[18:19], v[22:23], off glc
	s_waitcnt vmcnt(0)
	v_cmp_eq_u16_sdwa s[36:37], v19, v21 src0_sel:BYTE_0 src1_sel:DWORD
	s_and_saveexec_b64 s[34:35], s[36:37]
	s_cbranch_execz .LBB711_255
; %bb.252:
	s_mov_b64 s[36:37], 0
	v_mov_b32_e32 v15, 0
.LBB711_253:                            ; =>This Inner Loop Header: Depth=1
	global_load_dwordx2 v[18:19], v[22:23], off glc
	s_waitcnt vmcnt(0)
	v_cmp_ne_u16_sdwa s[38:39], v19, v15 src0_sel:BYTE_0 src1_sel:DWORD
	s_or_b64 s[36:37], s[38:39], s[36:37]
	s_andn2_b64 exec, exec, s[36:37]
	s_cbranch_execnz .LBB711_253
; %bb.254:
	s_or_b64 exec, exec, s[36:37]
.LBB711_255:
	s_or_b64 exec, exec, s[34:35]
	v_and_b32_e32 v32, 63, v29
	v_mov_b32_e32 v15, 2
	v_cmp_ne_u32_e32 vcc, 63, v32
	v_cmp_eq_u16_sdwa s[34:35], v19, v15 src0_sel:BYTE_0 src1_sel:DWORD
	v_lshlrev_b64 v[20:21], v29, -1
	v_addc_co_u32_e32 v23, vcc, 0, v29, vcc
	v_and_b32_e32 v17, s35, v21
	v_lshlrev_b32_e32 v33, 2, v23
	v_or_b32_e32 v17, 0x80000000, v17
	ds_bpermute_b32 v23, v33, v18
	v_and_b32_e32 v22, s34, v20
	v_ffbl_b32_e32 v17, v17
	v_add_u32_e32 v17, 32, v17
	v_ffbl_b32_e32 v22, v22
	v_min_u32_e32 v17, v22, v17
	v_cmp_lt_u32_e32 vcc, v32, v17
	s_waitcnt lgkmcnt(0)
	v_cndmask_b32_e32 v22, 0, v23, vcc
	v_cmp_gt_u32_e32 vcc, 62, v32
	v_add_u32_e32 v18, v22, v18
	v_cndmask_b32_e64 v22, 0, 1, vcc
	v_lshlrev_b32_e32 v22, 1, v22
	v_add_lshl_u32 v34, v22, v29, 2
	ds_bpermute_b32 v22, v34, v18
	v_add_u32_e32 v35, 2, v32
	v_cmp_le_u32_e32 vcc, v35, v17
	v_add_u32_e32 v37, 4, v32
	v_add_u32_e32 v39, 8, v32
	s_waitcnt lgkmcnt(0)
	v_cndmask_b32_e32 v22, 0, v22, vcc
	v_cmp_gt_u32_e32 vcc, 60, v32
	v_add_u32_e32 v18, v18, v22
	v_cndmask_b32_e64 v22, 0, 1, vcc
	v_lshlrev_b32_e32 v22, 2, v22
	v_add_lshl_u32 v36, v22, v29, 2
	ds_bpermute_b32 v22, v36, v18
	v_cmp_le_u32_e32 vcc, v37, v17
	v_add_u32_e32 v42, 16, v32
	v_add_u32_e32 v44, 32, v32
	s_waitcnt lgkmcnt(0)
	v_cndmask_b32_e32 v22, 0, v22, vcc
	v_cmp_gt_u32_e32 vcc, 56, v32
	v_add_u32_e32 v18, v18, v22
	v_cndmask_b32_e64 v22, 0, 1, vcc
	v_lshlrev_b32_e32 v22, 3, v22
	v_add_lshl_u32 v38, v22, v29, 2
	ds_bpermute_b32 v22, v38, v18
	v_cmp_le_u32_e32 vcc, v39, v17
	s_waitcnt lgkmcnt(0)
	v_cndmask_b32_e32 v22, 0, v22, vcc
	v_cmp_gt_u32_e32 vcc, 48, v32
	v_add_u32_e32 v18, v18, v22
	v_cndmask_b32_e64 v22, 0, 1, vcc
	v_lshlrev_b32_e32 v22, 4, v22
	v_add_lshl_u32 v41, v22, v29, 2
	ds_bpermute_b32 v22, v41, v18
	v_cmp_le_u32_e32 vcc, v42, v17
	;; [unrolled: 9-line block ×3, first 2 shown]
	s_waitcnt lgkmcnt(0)
	v_cndmask_b32_e32 v17, 0, v22, vcc
	v_add_u32_e32 v18, v18, v17
	v_mov_b32_e32 v17, 0
	s_branch .LBB711_257
.LBB711_256:                            ;   in Loop: Header=BB711_257 Depth=1
	s_or_b64 exec, exec, s[34:35]
	v_cmp_eq_u16_sdwa s[34:35], v19, v15 src0_sel:BYTE_0 src1_sel:DWORD
	v_and_b32_e32 v22, s35, v21
	v_or_b32_e32 v22, 0x80000000, v22
	ds_bpermute_b32 v45, v33, v18
	v_and_b32_e32 v23, s34, v20
	v_ffbl_b32_e32 v22, v22
	v_add_u32_e32 v22, 32, v22
	v_ffbl_b32_e32 v23, v23
	v_min_u32_e32 v22, v23, v22
	v_cmp_lt_u32_e32 vcc, v32, v22
	s_waitcnt lgkmcnt(0)
	v_cndmask_b32_e32 v23, 0, v45, vcc
	v_add_u32_e32 v18, v23, v18
	ds_bpermute_b32 v23, v34, v18
	v_cmp_le_u32_e32 vcc, v35, v22
	v_subrev_u32_e32 v16, 64, v16
	s_waitcnt lgkmcnt(0)
	v_cndmask_b32_e32 v23, 0, v23, vcc
	v_add_u32_e32 v18, v18, v23
	ds_bpermute_b32 v23, v36, v18
	v_cmp_le_u32_e32 vcc, v37, v22
	s_waitcnt lgkmcnt(0)
	v_cndmask_b32_e32 v23, 0, v23, vcc
	v_add_u32_e32 v18, v18, v23
	ds_bpermute_b32 v23, v38, v18
	v_cmp_le_u32_e32 vcc, v39, v22
	s_waitcnt lgkmcnt(0)
	v_cndmask_b32_e32 v23, 0, v23, vcc
	v_add_u32_e32 v18, v18, v23
	ds_bpermute_b32 v23, v41, v18
	v_cmp_le_u32_e32 vcc, v42, v22
	s_waitcnt lgkmcnt(0)
	v_cndmask_b32_e32 v23, 0, v23, vcc
	v_add_u32_e32 v18, v18, v23
	ds_bpermute_b32 v23, v43, v18
	v_cmp_le_u32_e32 vcc, v44, v22
	s_waitcnt lgkmcnt(0)
	v_cndmask_b32_e32 v22, 0, v23, vcc
	v_add3_u32 v18, v22, v40, v18
.LBB711_257:                            ; =>This Loop Header: Depth=1
                                        ;     Child Loop BB711_260 Depth 2
	v_cmp_ne_u16_sdwa s[34:35], v19, v15 src0_sel:BYTE_0 src1_sel:DWORD
	v_cndmask_b32_e64 v19, 0, 1, s[34:35]
	;;#ASMSTART
	;;#ASMEND
	v_cmp_ne_u32_e32 vcc, 0, v19
	s_cmp_lg_u64 vcc, exec
	v_mov_b32_e32 v40, v18
	s_cbranch_scc1 .LBB711_262
; %bb.258:                              ;   in Loop: Header=BB711_257 Depth=1
	v_lshlrev_b64 v[18:19], 3, v[16:17]
	v_mov_b32_e32 v23, s19
	v_add_co_u32_e32 v22, vcc, s18, v18
	v_addc_co_u32_e32 v23, vcc, v23, v19, vcc
	global_load_dwordx2 v[18:19], v[22:23], off glc
	s_waitcnt vmcnt(0)
	v_cmp_eq_u16_sdwa s[36:37], v19, v17 src0_sel:BYTE_0 src1_sel:DWORD
	s_and_saveexec_b64 s[34:35], s[36:37]
	s_cbranch_execz .LBB711_256
; %bb.259:                              ;   in Loop: Header=BB711_257 Depth=1
	s_mov_b64 s[36:37], 0
.LBB711_260:                            ;   Parent Loop BB711_257 Depth=1
                                        ; =>  This Inner Loop Header: Depth=2
	global_load_dwordx2 v[18:19], v[22:23], off glc
	s_waitcnt vmcnt(0)
	v_cmp_ne_u16_sdwa s[38:39], v19, v17 src0_sel:BYTE_0 src1_sel:DWORD
	s_or_b64 s[36:37], s[38:39], s[36:37]
	s_andn2_b64 exec, exec, s[36:37]
	s_cbranch_execnz .LBB711_260
; %bb.261:                              ;   in Loop: Header=BB711_257 Depth=1
	s_or_b64 exec, exec, s[36:37]
	s_branch .LBB711_256
.LBB711_262:                            ;   in Loop: Header=BB711_257 Depth=1
                                        ; implicit-def: $vgpr18
                                        ; implicit-def: $vgpr19
	s_cbranch_execz .LBB711_257
; %bb.263:
	s_and_saveexec_b64 s[34:35], s[16:17]
	s_cbranch_execz .LBB711_265
; %bb.264:
	s_add_i32 s36, s33, 64
	s_mov_b32 s37, 0
	s_lshl_b64 s[36:37], s[36:37], 3
	s_add_u32 s36, s18, s36
	v_add_u32_e32 v16, v40, v14
	v_mov_b32_e32 v17, 2
	s_addc_u32 s37, s19, s37
	v_mov_b32_e32 v15, 0
	s_movk_i32 s33, 0x2800
	global_store_dwordx2 v15, v[16:17], s[36:37]
	v_add_u32_e64 v15, s33, 0
	ds_write2_b32 v15, v14, v40 offset1:2
.LBB711_265:
	s_or_b64 exec, exec, s[34:35]
	s_and_b64 exec, exec, s[0:1]
	s_cbranch_execz .LBB711_267
; %bb.266:
	v_mov_b32_e32 v14, 0
	ds_write_b32 v14, v40 offset:12
.LBB711_267:
	s_or_b64 exec, exec, s[26:27]
	v_mov_b32_e32 v14, 0
	s_waitcnt lgkmcnt(0)
	s_barrier
	ds_read_b32 v14, v14 offset:12
	v_cndmask_b32_e64 v15, v26, v24, s[16:17]
	v_cndmask_b32_e64 v15, v15, 0, s[0:1]
	s_movk_i32 s16, 0x2800
	s_waitcnt lgkmcnt(0)
	v_add_u32_e32 v26, v14, v15
	v_add_u32_e64 v14, s16, 0
	s_barrier
	ds_read2_b32 v[14:15], v14 offset1:2
	v_add_u32_e32 v24, v26, v1
	v_add_u32_e32 v22, v24, v25
	v_add_u32_e32 v20, v22, v27
	v_add_u32_e32 v18, v20, v28
	v_lshrrev_b64 v[16:17], 24, v[12:13]
	s_branch .LBB711_278
.LBB711_268:
                                        ; implicit-def: $vgpr18
                                        ; implicit-def: $vgpr20
                                        ; implicit-def: $vgpr22
                                        ; implicit-def: $vgpr24
                                        ; implicit-def: $vgpr26
                                        ; implicit-def: $vgpr15
	v_lshrrev_b64 v[16:17], 24, v[12:13]
	s_cbranch_execz .LBB711_278
; %bb.269:
	s_waitcnt lgkmcnt(0)
	v_mov_b32_dpp v14, v31 row_shr:1 row_mask:0xf bank_mask:0xf
	v_cndmask_b32_e64 v14, v14, 0, s[14:15]
	v_add_u32_e32 v14, v14, v31
	s_nop 1
	v_mov_b32_dpp v15, v14 row_shr:2 row_mask:0xf bank_mask:0xf
	v_cndmask_b32_e64 v15, 0, v15, s[12:13]
	v_add_u32_e32 v14, v14, v15
	s_nop 1
	v_mov_b32_dpp v15, v14 row_shr:4 row_mask:0xf bank_mask:0xf
	v_cndmask_b32_e64 v15, 0, v15, s[10:11]
	v_add_u32_e32 v14, v14, v15
	s_nop 1
	v_mov_b32_dpp v15, v14 row_shr:8 row_mask:0xf bank_mask:0xf
	v_cndmask_b32_e64 v15, 0, v15, s[8:9]
	v_add_u32_e32 v14, v14, v15
	s_nop 1
	v_mov_b32_dpp v15, v14 row_bcast:15 row_mask:0xf bank_mask:0xf
	v_cndmask_b32_e64 v15, v15, 0, s[6:7]
	v_add_u32_e32 v14, v14, v15
	s_nop 1
	v_mov_b32_dpp v15, v14 row_bcast:31 row_mask:0xf bank_mask:0xf
	v_cndmask_b32_e64 v15, 0, v15, s[2:3]
	v_add_u32_e32 v14, v14, v15
	s_and_saveexec_b64 s[2:3], s[4:5]
	s_cbranch_execz .LBB711_271
; %bb.270:
	v_lshlrev_b32_e32 v15, 2, v30
	ds_write_b32 v15, v14
.LBB711_271:
	s_or_b64 exec, exec, s[2:3]
	v_cmp_gt_u32_e32 vcc, 4, v0
	s_waitcnt lgkmcnt(0)
	s_barrier
	s_and_saveexec_b64 s[2:3], vcc
	s_cbranch_execz .LBB711_273
; %bb.272:
	v_lshlrev_b32_e32 v15, 2, v0
	ds_read_b32 v17, v15
	v_and_b32_e32 v18, 3, v29
	v_cmp_ne_u32_e32 vcc, 0, v18
	s_waitcnt lgkmcnt(0)
	v_mov_b32_dpp v19, v17 row_shr:1 row_mask:0xf bank_mask:0xf
	v_cndmask_b32_e32 v19, 0, v19, vcc
	v_add_u32_e32 v17, v19, v17
	v_cmp_lt_u32_e32 vcc, 1, v18
	s_nop 0
	v_mov_b32_dpp v19, v17 row_shr:2 row_mask:0xf bank_mask:0xf
	v_cndmask_b32_e32 v18, 0, v19, vcc
	v_add_u32_e32 v17, v17, v18
	ds_write_b32 v15, v17
.LBB711_273:
	s_or_b64 exec, exec, s[2:3]
	v_cmp_lt_u32_e32 vcc, 63, v0
	v_mov_b32_e32 v15, 0
	v_mov_b32_e32 v17, 0
	s_waitcnt lgkmcnt(0)
	s_barrier
	s_and_saveexec_b64 s[2:3], vcc
	s_cbranch_execz .LBB711_275
; %bb.274:
	v_lshl_add_u32 v17, v30, 2, -4
	ds_read_b32 v17, v17
.LBB711_275:
	s_or_b64 exec, exec, s[2:3]
	v_add_u32_e32 v18, -1, v29
	v_and_b32_e32 v19, 64, v29
	v_cmp_lt_i32_e32 vcc, v18, v19
	v_cndmask_b32_e32 v18, v18, v29, vcc
	s_waitcnt lgkmcnt(0)
	v_add_u32_e32 v14, v17, v14
	v_lshlrev_b32_e32 v18, 2, v18
	ds_bpermute_b32 v18, v18, v14
	ds_read_b32 v14, v15 offset:12
	s_and_saveexec_b64 s[2:3], s[0:1]
	s_cbranch_execz .LBB711_277
; %bb.276:
	v_mov_b32_e32 v19, 0
	v_mov_b32_e32 v15, 2
	s_waitcnt lgkmcnt(0)
	global_store_dwordx2 v19, v[14:15], s[18:19] offset:512
.LBB711_277:
	s_or_b64 exec, exec, s[2:3]
	v_cmp_eq_u32_e32 vcc, 0, v29
	s_waitcnt lgkmcnt(1)
	v_cndmask_b32_e32 v17, v18, v17, vcc
	v_cndmask_b32_e64 v26, v17, 0, s[0:1]
	v_add_u32_e32 v24, v26, v1
	v_add_u32_e32 v22, v24, v25
	;; [unrolled: 1-line block ×3, first 2 shown]
	v_mov_b32_e32 v15, 0
	v_add_u32_e32 v18, v20, v28
	s_waitcnt lgkmcnt(0)
	s_barrier
.LBB711_278:
	s_movk_i32 s2, 0x101
	s_waitcnt lgkmcnt(0)
	v_cmp_gt_u32_e32 vcc, s2, v14
	v_lshrrev_b32_e32 v1, 8, v12
	s_mov_b64 s[2:3], -1
	s_cbranch_vccnz .LBB711_282
; %bb.279:
	s_and_b64 vcc, exec, s[2:3]
	s_cbranch_vccnz .LBB711_298
.LBB711_280:
	s_and_b64 s[0:1], s[0:1], s[24:25]
	s_and_saveexec_b64 s[2:3], s[0:1]
	s_cbranch_execnz .LBB711_312
.LBB711_281:
	s_endpgm
.LBB711_282:
	v_add_u32_e32 v17, v15, v14
	v_cmp_lt_u32_e32 vcc, v26, v17
	s_or_b64 s[4:5], s[30:31], vcc
	s_and_saveexec_b64 s[2:3], s[4:5]
	s_cbranch_execz .LBB711_285
; %bb.283:
	v_and_b32_e32 v19, 1, v12
	v_cmp_eq_u32_e32 vcc, 1, v19
	s_and_b64 exec, exec, vcc
	s_cbranch_execz .LBB711_285
; %bb.284:
	s_lshl_b64 s[4:5], s[22:23], 3
	s_add_u32 s4, s28, s4
	v_mov_b32_e32 v27, 0
	s_addc_u32 s5, s29, s5
	v_lshlrev_b64 v[28:29], 3, v[26:27]
	v_mov_b32_e32 v19, s5
	v_add_co_u32_e32 v28, vcc, s4, v28
	v_addc_co_u32_e32 v29, vcc, v19, v29, vcc
	global_store_dwordx2 v[28:29], v[6:7], off
.LBB711_285:
	s_or_b64 exec, exec, s[2:3]
	v_cmp_lt_u32_e32 vcc, v24, v17
	s_or_b64 s[4:5], s[30:31], vcc
	s_and_saveexec_b64 s[2:3], s[4:5]
	s_cbranch_execz .LBB711_288
; %bb.286:
	v_and_b32_e32 v19, 1, v1
	v_cmp_eq_u32_e32 vcc, 1, v19
	s_and_b64 exec, exec, vcc
	s_cbranch_execz .LBB711_288
; %bb.287:
	s_lshl_b64 s[4:5], s[22:23], 3
	s_add_u32 s4, s28, s4
	v_mov_b32_e32 v25, 0
	s_addc_u32 s5, s29, s5
	v_lshlrev_b64 v[28:29], 3, v[24:25]
	v_mov_b32_e32 v19, s5
	v_add_co_u32_e32 v28, vcc, s4, v28
	v_addc_co_u32_e32 v29, vcc, v19, v29, vcc
	global_store_dwordx2 v[28:29], v[8:9], off
.LBB711_288:
	s_or_b64 exec, exec, s[2:3]
	v_cmp_lt_u32_e32 vcc, v22, v17
	s_or_b64 s[4:5], s[30:31], vcc
	s_and_saveexec_b64 s[2:3], s[4:5]
	s_cbranch_execz .LBB711_291
; %bb.289:
	v_mov_b32_e32 v19, 1
	v_and_b32_sdwa v19, v19, v12 dst_sel:DWORD dst_unused:UNUSED_PAD src0_sel:DWORD src1_sel:WORD_1
	v_cmp_eq_u32_e32 vcc, 1, v19
	s_and_b64 exec, exec, vcc
	s_cbranch_execz .LBB711_291
; %bb.290:
	s_lshl_b64 s[4:5], s[22:23], 3
	s_add_u32 s4, s28, s4
	v_mov_b32_e32 v23, 0
	s_addc_u32 s5, s29, s5
	v_lshlrev_b64 v[28:29], 3, v[22:23]
	v_mov_b32_e32 v19, s5
	v_add_co_u32_e32 v28, vcc, s4, v28
	v_addc_co_u32_e32 v29, vcc, v19, v29, vcc
	global_store_dwordx2 v[28:29], v[2:3], off
.LBB711_291:
	s_or_b64 exec, exec, s[2:3]
	v_cmp_lt_u32_e32 vcc, v20, v17
	s_or_b64 s[4:5], s[30:31], vcc
	s_and_saveexec_b64 s[2:3], s[4:5]
	s_cbranch_execz .LBB711_294
; %bb.292:
	v_and_b32_e32 v19, 1, v16
	v_cmp_eq_u32_e32 vcc, 1, v19
	s_and_b64 exec, exec, vcc
	s_cbranch_execz .LBB711_294
; %bb.293:
	s_lshl_b64 s[4:5], s[22:23], 3
	s_add_u32 s4, s28, s4
	v_mov_b32_e32 v21, 0
	s_addc_u32 s5, s29, s5
	v_lshlrev_b64 v[28:29], 3, v[20:21]
	v_mov_b32_e32 v19, s5
	v_add_co_u32_e32 v28, vcc, s4, v28
	v_addc_co_u32_e32 v29, vcc, v19, v29, vcc
	global_store_dwordx2 v[28:29], v[4:5], off
.LBB711_294:
	s_or_b64 exec, exec, s[2:3]
	v_cmp_lt_u32_e32 vcc, v18, v17
	s_or_b64 s[4:5], s[30:31], vcc
	s_and_saveexec_b64 s[2:3], s[4:5]
	s_cbranch_execz .LBB711_297
; %bb.295:
	v_and_b32_e32 v17, 1, v13
	v_cmp_eq_u32_e32 vcc, 1, v17
	s_and_b64 exec, exec, vcc
	s_cbranch_execz .LBB711_297
; %bb.296:
	s_lshl_b64 s[4:5], s[22:23], 3
	s_add_u32 s4, s28, s4
	v_mov_b32_e32 v19, 0
	s_addc_u32 s5, s29, s5
	v_lshlrev_b64 v[28:29], 3, v[18:19]
	v_mov_b32_e32 v17, s5
	v_add_co_u32_e32 v28, vcc, s4, v28
	v_addc_co_u32_e32 v29, vcc, v17, v29, vcc
	global_store_dwordx2 v[28:29], v[10:11], off
.LBB711_297:
	s_or_b64 exec, exec, s[2:3]
	s_branch .LBB711_280
.LBB711_298:
	v_and_b32_e32 v17, 1, v12
	v_cmp_eq_u32_e32 vcc, 1, v17
	s_and_saveexec_b64 s[2:3], vcc
	s_cbranch_execz .LBB711_300
; %bb.299:
	v_sub_u32_e32 v17, v26, v15
	v_lshlrev_b32_e32 v17, 3, v17
	ds_write_b64 v17, v[6:7]
.LBB711_300:
	s_or_b64 exec, exec, s[2:3]
	v_and_b32_e32 v1, 1, v1
	v_cmp_eq_u32_e32 vcc, 1, v1
	s_and_saveexec_b64 s[2:3], vcc
	s_cbranch_execz .LBB711_302
; %bb.301:
	v_sub_u32_e32 v1, v24, v15
	v_lshlrev_b32_e32 v1, 3, v1
	ds_write_b64 v1, v[8:9]
.LBB711_302:
	s_or_b64 exec, exec, s[2:3]
	v_mov_b32_e32 v1, 1
	v_and_b32_sdwa v1, v1, v12 dst_sel:DWORD dst_unused:UNUSED_PAD src0_sel:DWORD src1_sel:WORD_1
	v_cmp_eq_u32_e32 vcc, 1, v1
	s_and_saveexec_b64 s[2:3], vcc
	s_cbranch_execz .LBB711_304
; %bb.303:
	v_sub_u32_e32 v1, v22, v15
	v_lshlrev_b32_e32 v1, 3, v1
	ds_write_b64 v1, v[2:3]
.LBB711_304:
	s_or_b64 exec, exec, s[2:3]
	v_and_b32_e32 v1, 1, v16
	v_cmp_eq_u32_e32 vcc, 1, v1
	s_and_saveexec_b64 s[2:3], vcc
	s_cbranch_execz .LBB711_306
; %bb.305:
	v_sub_u32_e32 v1, v20, v15
	v_lshlrev_b32_e32 v1, 3, v1
	ds_write_b64 v1, v[4:5]
.LBB711_306:
	s_or_b64 exec, exec, s[2:3]
	v_and_b32_e32 v1, 1, v13
	v_cmp_eq_u32_e32 vcc, 1, v1
	s_and_saveexec_b64 s[2:3], vcc
	s_cbranch_execz .LBB711_308
; %bb.307:
	v_sub_u32_e32 v1, v18, v15
	v_lshlrev_b32_e32 v1, 3, v1
	ds_write_b64 v1, v[10:11]
.LBB711_308:
	s_or_b64 exec, exec, s[2:3]
	v_cmp_lt_u32_e32 vcc, v0, v14
	s_waitcnt lgkmcnt(0)
	s_barrier
	s_and_saveexec_b64 s[2:3], vcc
	s_cbranch_execz .LBB711_311
; %bb.309:
	v_mov_b32_e32 v1, 0
	v_mov_b32_e32 v2, v15
	;; [unrolled: 1-line block ×3, first 2 shown]
	v_lshlrev_b64 v[2:3], 3, v[2:3]
	v_mov_b32_e32 v4, s29
	v_add_co_u32_e32 v2, vcc, s28, v2
	v_addc_co_u32_e32 v3, vcc, v4, v3, vcc
	s_lshl_b64 s[4:5], s[22:23], 3
	v_mov_b32_e32 v4, s5
	v_add_co_u32_e32 v2, vcc, s4, v2
	v_addc_co_u32_e32 v3, vcc, v3, v4, vcc
	v_lshlrev_b32_e32 v4, 3, v0
	s_mov_b64 s[4:5], 0
.LBB711_310:                            ; =>This Inner Loop Header: Depth=1
	ds_read_b64 v[6:7], v4
	v_lshlrev_b64 v[8:9], 3, v[0:1]
	v_add_co_u32_e32 v8, vcc, v2, v8
	v_add_u32_e32 v0, 0x100, v0
	v_addc_co_u32_e32 v9, vcc, v3, v9, vcc
	v_cmp_ge_u32_e32 vcc, v0, v14
	v_add_u32_e32 v4, 0x800, v4
	s_or_b64 s[4:5], vcc, s[4:5]
	s_waitcnt lgkmcnt(0)
	global_store_dwordx2 v[8:9], v[6:7], off
	s_andn2_b64 exec, exec, s[4:5]
	s_cbranch_execnz .LBB711_310
.LBB711_311:
	s_or_b64 exec, exec, s[2:3]
	s_and_b64 s[0:1], s[0:1], s[24:25]
	s_and_saveexec_b64 s[2:3], s[0:1]
	s_cbranch_execz .LBB711_281
.LBB711_312:
	v_mov_b32_e32 v0, s23
	v_add_co_u32_e32 v1, vcc, s22, v14
	v_addc_co_u32_e32 v3, vcc, 0, v0, vcc
	v_add_co_u32_e32 v0, vcc, v1, v15
	v_mov_b32_e32 v2, 0
	v_addc_co_u32_e32 v1, vcc, 0, v3, vcc
	global_store_dwordx2 v2, v[0:1], s[20:21]
	s_endpgm
	.section	.rodata,"a",@progbits
	.p2align	6, 0x0
	.amdhsa_kernel _ZN7rocprim17ROCPRIM_400000_NS6detail17trampoline_kernelINS0_14default_configENS1_25partition_config_selectorILNS1_17partition_subalgoE8ElNS0_10empty_typeEbEEZZNS1_14partition_implILS5_8ELb0ES3_jPlPS6_PKS6_NS0_5tupleIJS9_S6_EEENSD_IJSA_SA_EEENS0_18inequality_wrapperIZN2at6native12_GLOBAL__N_124unique_dim_cuda_templateIsEESt5tupleIJNSH_6TensorESM_SM_EERKSM_lbbbEUlllE0_EEPmJS6_EEE10hipError_tPvRmT3_T4_T5_T6_T7_T9_mT8_P12ihipStream_tbDpT10_ENKUlT_T0_E_clISt17integral_constantIbLb0EES1B_IbLb1EEEEDaS17_S18_EUlS17_E_NS1_11comp_targetILNS1_3genE4ELNS1_11target_archE910ELNS1_3gpuE8ELNS1_3repE0EEENS1_30default_config_static_selectorELNS0_4arch9wavefront6targetE1EEEvT1_
		.amdhsa_group_segment_fixed_size 10252
		.amdhsa_private_segment_fixed_size 0
		.amdhsa_kernarg_size 136
		.amdhsa_user_sgpr_count 6
		.amdhsa_user_sgpr_private_segment_buffer 1
		.amdhsa_user_sgpr_dispatch_ptr 0
		.amdhsa_user_sgpr_queue_ptr 0
		.amdhsa_user_sgpr_kernarg_segment_ptr 1
		.amdhsa_user_sgpr_dispatch_id 0
		.amdhsa_user_sgpr_flat_scratch_init 0
		.amdhsa_user_sgpr_kernarg_preload_length 0
		.amdhsa_user_sgpr_kernarg_preload_offset 0
		.amdhsa_user_sgpr_private_segment_size 0
		.amdhsa_uses_dynamic_stack 0
		.amdhsa_system_sgpr_private_segment_wavefront_offset 0
		.amdhsa_system_sgpr_workgroup_id_x 1
		.amdhsa_system_sgpr_workgroup_id_y 0
		.amdhsa_system_sgpr_workgroup_id_z 0
		.amdhsa_system_sgpr_workgroup_info 0
		.amdhsa_system_vgpr_workitem_id 0
		.amdhsa_next_free_vgpr 46
		.amdhsa_next_free_sgpr 52
		.amdhsa_accum_offset 48
		.amdhsa_reserve_vcc 1
		.amdhsa_reserve_flat_scratch 0
		.amdhsa_float_round_mode_32 0
		.amdhsa_float_round_mode_16_64 0
		.amdhsa_float_denorm_mode_32 3
		.amdhsa_float_denorm_mode_16_64 3
		.amdhsa_dx10_clamp 1
		.amdhsa_ieee_mode 1
		.amdhsa_fp16_overflow 0
		.amdhsa_tg_split 0
		.amdhsa_exception_fp_ieee_invalid_op 0
		.amdhsa_exception_fp_denorm_src 0
		.amdhsa_exception_fp_ieee_div_zero 0
		.amdhsa_exception_fp_ieee_overflow 0
		.amdhsa_exception_fp_ieee_underflow 0
		.amdhsa_exception_fp_ieee_inexact 0
		.amdhsa_exception_int_div_zero 0
	.end_amdhsa_kernel
	.section	.text._ZN7rocprim17ROCPRIM_400000_NS6detail17trampoline_kernelINS0_14default_configENS1_25partition_config_selectorILNS1_17partition_subalgoE8ElNS0_10empty_typeEbEEZZNS1_14partition_implILS5_8ELb0ES3_jPlPS6_PKS6_NS0_5tupleIJS9_S6_EEENSD_IJSA_SA_EEENS0_18inequality_wrapperIZN2at6native12_GLOBAL__N_124unique_dim_cuda_templateIsEESt5tupleIJNSH_6TensorESM_SM_EERKSM_lbbbEUlllE0_EEPmJS6_EEE10hipError_tPvRmT3_T4_T5_T6_T7_T9_mT8_P12ihipStream_tbDpT10_ENKUlT_T0_E_clISt17integral_constantIbLb0EES1B_IbLb1EEEEDaS17_S18_EUlS17_E_NS1_11comp_targetILNS1_3genE4ELNS1_11target_archE910ELNS1_3gpuE8ELNS1_3repE0EEENS1_30default_config_static_selectorELNS0_4arch9wavefront6targetE1EEEvT1_,"axG",@progbits,_ZN7rocprim17ROCPRIM_400000_NS6detail17trampoline_kernelINS0_14default_configENS1_25partition_config_selectorILNS1_17partition_subalgoE8ElNS0_10empty_typeEbEEZZNS1_14partition_implILS5_8ELb0ES3_jPlPS6_PKS6_NS0_5tupleIJS9_S6_EEENSD_IJSA_SA_EEENS0_18inequality_wrapperIZN2at6native12_GLOBAL__N_124unique_dim_cuda_templateIsEESt5tupleIJNSH_6TensorESM_SM_EERKSM_lbbbEUlllE0_EEPmJS6_EEE10hipError_tPvRmT3_T4_T5_T6_T7_T9_mT8_P12ihipStream_tbDpT10_ENKUlT_T0_E_clISt17integral_constantIbLb0EES1B_IbLb1EEEEDaS17_S18_EUlS17_E_NS1_11comp_targetILNS1_3genE4ELNS1_11target_archE910ELNS1_3gpuE8ELNS1_3repE0EEENS1_30default_config_static_selectorELNS0_4arch9wavefront6targetE1EEEvT1_,comdat
.Lfunc_end711:
	.size	_ZN7rocprim17ROCPRIM_400000_NS6detail17trampoline_kernelINS0_14default_configENS1_25partition_config_selectorILNS1_17partition_subalgoE8ElNS0_10empty_typeEbEEZZNS1_14partition_implILS5_8ELb0ES3_jPlPS6_PKS6_NS0_5tupleIJS9_S6_EEENSD_IJSA_SA_EEENS0_18inequality_wrapperIZN2at6native12_GLOBAL__N_124unique_dim_cuda_templateIsEESt5tupleIJNSH_6TensorESM_SM_EERKSM_lbbbEUlllE0_EEPmJS6_EEE10hipError_tPvRmT3_T4_T5_T6_T7_T9_mT8_P12ihipStream_tbDpT10_ENKUlT_T0_E_clISt17integral_constantIbLb0EES1B_IbLb1EEEEDaS17_S18_EUlS17_E_NS1_11comp_targetILNS1_3genE4ELNS1_11target_archE910ELNS1_3gpuE8ELNS1_3repE0EEENS1_30default_config_static_selectorELNS0_4arch9wavefront6targetE1EEEvT1_, .Lfunc_end711-_ZN7rocprim17ROCPRIM_400000_NS6detail17trampoline_kernelINS0_14default_configENS1_25partition_config_selectorILNS1_17partition_subalgoE8ElNS0_10empty_typeEbEEZZNS1_14partition_implILS5_8ELb0ES3_jPlPS6_PKS6_NS0_5tupleIJS9_S6_EEENSD_IJSA_SA_EEENS0_18inequality_wrapperIZN2at6native12_GLOBAL__N_124unique_dim_cuda_templateIsEESt5tupleIJNSH_6TensorESM_SM_EERKSM_lbbbEUlllE0_EEPmJS6_EEE10hipError_tPvRmT3_T4_T5_T6_T7_T9_mT8_P12ihipStream_tbDpT10_ENKUlT_T0_E_clISt17integral_constantIbLb0EES1B_IbLb1EEEEDaS17_S18_EUlS17_E_NS1_11comp_targetILNS1_3genE4ELNS1_11target_archE910ELNS1_3gpuE8ELNS1_3repE0EEENS1_30default_config_static_selectorELNS0_4arch9wavefront6targetE1EEEvT1_
                                        ; -- End function
	.section	.AMDGPU.csdata,"",@progbits
; Kernel info:
; codeLenInByte = 11572
; NumSgprs: 56
; NumVgprs: 46
; NumAgprs: 0
; TotalNumVgprs: 46
; ScratchSize: 0
; MemoryBound: 0
; FloatMode: 240
; IeeeMode: 1
; LDSByteSize: 10252 bytes/workgroup (compile time only)
; SGPRBlocks: 6
; VGPRBlocks: 5
; NumSGPRsForWavesPerEU: 56
; NumVGPRsForWavesPerEU: 46
; AccumOffset: 48
; Occupancy: 6
; WaveLimiterHint : 1
; COMPUTE_PGM_RSRC2:SCRATCH_EN: 0
; COMPUTE_PGM_RSRC2:USER_SGPR: 6
; COMPUTE_PGM_RSRC2:TRAP_HANDLER: 0
; COMPUTE_PGM_RSRC2:TGID_X_EN: 1
; COMPUTE_PGM_RSRC2:TGID_Y_EN: 0
; COMPUTE_PGM_RSRC2:TGID_Z_EN: 0
; COMPUTE_PGM_RSRC2:TIDIG_COMP_CNT: 0
; COMPUTE_PGM_RSRC3_GFX90A:ACCUM_OFFSET: 11
; COMPUTE_PGM_RSRC3_GFX90A:TG_SPLIT: 0
	.section	.text._ZN7rocprim17ROCPRIM_400000_NS6detail17trampoline_kernelINS0_14default_configENS1_25partition_config_selectorILNS1_17partition_subalgoE8ElNS0_10empty_typeEbEEZZNS1_14partition_implILS5_8ELb0ES3_jPlPS6_PKS6_NS0_5tupleIJS9_S6_EEENSD_IJSA_SA_EEENS0_18inequality_wrapperIZN2at6native12_GLOBAL__N_124unique_dim_cuda_templateIsEESt5tupleIJNSH_6TensorESM_SM_EERKSM_lbbbEUlllE0_EEPmJS6_EEE10hipError_tPvRmT3_T4_T5_T6_T7_T9_mT8_P12ihipStream_tbDpT10_ENKUlT_T0_E_clISt17integral_constantIbLb0EES1B_IbLb1EEEEDaS17_S18_EUlS17_E_NS1_11comp_targetILNS1_3genE3ELNS1_11target_archE908ELNS1_3gpuE7ELNS1_3repE0EEENS1_30default_config_static_selectorELNS0_4arch9wavefront6targetE1EEEvT1_,"axG",@progbits,_ZN7rocprim17ROCPRIM_400000_NS6detail17trampoline_kernelINS0_14default_configENS1_25partition_config_selectorILNS1_17partition_subalgoE8ElNS0_10empty_typeEbEEZZNS1_14partition_implILS5_8ELb0ES3_jPlPS6_PKS6_NS0_5tupleIJS9_S6_EEENSD_IJSA_SA_EEENS0_18inequality_wrapperIZN2at6native12_GLOBAL__N_124unique_dim_cuda_templateIsEESt5tupleIJNSH_6TensorESM_SM_EERKSM_lbbbEUlllE0_EEPmJS6_EEE10hipError_tPvRmT3_T4_T5_T6_T7_T9_mT8_P12ihipStream_tbDpT10_ENKUlT_T0_E_clISt17integral_constantIbLb0EES1B_IbLb1EEEEDaS17_S18_EUlS17_E_NS1_11comp_targetILNS1_3genE3ELNS1_11target_archE908ELNS1_3gpuE7ELNS1_3repE0EEENS1_30default_config_static_selectorELNS0_4arch9wavefront6targetE1EEEvT1_,comdat
	.globl	_ZN7rocprim17ROCPRIM_400000_NS6detail17trampoline_kernelINS0_14default_configENS1_25partition_config_selectorILNS1_17partition_subalgoE8ElNS0_10empty_typeEbEEZZNS1_14partition_implILS5_8ELb0ES3_jPlPS6_PKS6_NS0_5tupleIJS9_S6_EEENSD_IJSA_SA_EEENS0_18inequality_wrapperIZN2at6native12_GLOBAL__N_124unique_dim_cuda_templateIsEESt5tupleIJNSH_6TensorESM_SM_EERKSM_lbbbEUlllE0_EEPmJS6_EEE10hipError_tPvRmT3_T4_T5_T6_T7_T9_mT8_P12ihipStream_tbDpT10_ENKUlT_T0_E_clISt17integral_constantIbLb0EES1B_IbLb1EEEEDaS17_S18_EUlS17_E_NS1_11comp_targetILNS1_3genE3ELNS1_11target_archE908ELNS1_3gpuE7ELNS1_3repE0EEENS1_30default_config_static_selectorELNS0_4arch9wavefront6targetE1EEEvT1_ ; -- Begin function _ZN7rocprim17ROCPRIM_400000_NS6detail17trampoline_kernelINS0_14default_configENS1_25partition_config_selectorILNS1_17partition_subalgoE8ElNS0_10empty_typeEbEEZZNS1_14partition_implILS5_8ELb0ES3_jPlPS6_PKS6_NS0_5tupleIJS9_S6_EEENSD_IJSA_SA_EEENS0_18inequality_wrapperIZN2at6native12_GLOBAL__N_124unique_dim_cuda_templateIsEESt5tupleIJNSH_6TensorESM_SM_EERKSM_lbbbEUlllE0_EEPmJS6_EEE10hipError_tPvRmT3_T4_T5_T6_T7_T9_mT8_P12ihipStream_tbDpT10_ENKUlT_T0_E_clISt17integral_constantIbLb0EES1B_IbLb1EEEEDaS17_S18_EUlS17_E_NS1_11comp_targetILNS1_3genE3ELNS1_11target_archE908ELNS1_3gpuE7ELNS1_3repE0EEENS1_30default_config_static_selectorELNS0_4arch9wavefront6targetE1EEEvT1_
	.p2align	8
	.type	_ZN7rocprim17ROCPRIM_400000_NS6detail17trampoline_kernelINS0_14default_configENS1_25partition_config_selectorILNS1_17partition_subalgoE8ElNS0_10empty_typeEbEEZZNS1_14partition_implILS5_8ELb0ES3_jPlPS6_PKS6_NS0_5tupleIJS9_S6_EEENSD_IJSA_SA_EEENS0_18inequality_wrapperIZN2at6native12_GLOBAL__N_124unique_dim_cuda_templateIsEESt5tupleIJNSH_6TensorESM_SM_EERKSM_lbbbEUlllE0_EEPmJS6_EEE10hipError_tPvRmT3_T4_T5_T6_T7_T9_mT8_P12ihipStream_tbDpT10_ENKUlT_T0_E_clISt17integral_constantIbLb0EES1B_IbLb1EEEEDaS17_S18_EUlS17_E_NS1_11comp_targetILNS1_3genE3ELNS1_11target_archE908ELNS1_3gpuE7ELNS1_3repE0EEENS1_30default_config_static_selectorELNS0_4arch9wavefront6targetE1EEEvT1_,@function
_ZN7rocprim17ROCPRIM_400000_NS6detail17trampoline_kernelINS0_14default_configENS1_25partition_config_selectorILNS1_17partition_subalgoE8ElNS0_10empty_typeEbEEZZNS1_14partition_implILS5_8ELb0ES3_jPlPS6_PKS6_NS0_5tupleIJS9_S6_EEENSD_IJSA_SA_EEENS0_18inequality_wrapperIZN2at6native12_GLOBAL__N_124unique_dim_cuda_templateIsEESt5tupleIJNSH_6TensorESM_SM_EERKSM_lbbbEUlllE0_EEPmJS6_EEE10hipError_tPvRmT3_T4_T5_T6_T7_T9_mT8_P12ihipStream_tbDpT10_ENKUlT_T0_E_clISt17integral_constantIbLb0EES1B_IbLb1EEEEDaS17_S18_EUlS17_E_NS1_11comp_targetILNS1_3genE3ELNS1_11target_archE908ELNS1_3gpuE7ELNS1_3repE0EEENS1_30default_config_static_selectorELNS0_4arch9wavefront6targetE1EEEvT1_: ; @_ZN7rocprim17ROCPRIM_400000_NS6detail17trampoline_kernelINS0_14default_configENS1_25partition_config_selectorILNS1_17partition_subalgoE8ElNS0_10empty_typeEbEEZZNS1_14partition_implILS5_8ELb0ES3_jPlPS6_PKS6_NS0_5tupleIJS9_S6_EEENSD_IJSA_SA_EEENS0_18inequality_wrapperIZN2at6native12_GLOBAL__N_124unique_dim_cuda_templateIsEESt5tupleIJNSH_6TensorESM_SM_EERKSM_lbbbEUlllE0_EEPmJS6_EEE10hipError_tPvRmT3_T4_T5_T6_T7_T9_mT8_P12ihipStream_tbDpT10_ENKUlT_T0_E_clISt17integral_constantIbLb0EES1B_IbLb1EEEEDaS17_S18_EUlS17_E_NS1_11comp_targetILNS1_3genE3ELNS1_11target_archE908ELNS1_3gpuE7ELNS1_3repE0EEENS1_30default_config_static_selectorELNS0_4arch9wavefront6targetE1EEEvT1_
; %bb.0:
	.section	.rodata,"a",@progbits
	.p2align	6, 0x0
	.amdhsa_kernel _ZN7rocprim17ROCPRIM_400000_NS6detail17trampoline_kernelINS0_14default_configENS1_25partition_config_selectorILNS1_17partition_subalgoE8ElNS0_10empty_typeEbEEZZNS1_14partition_implILS5_8ELb0ES3_jPlPS6_PKS6_NS0_5tupleIJS9_S6_EEENSD_IJSA_SA_EEENS0_18inequality_wrapperIZN2at6native12_GLOBAL__N_124unique_dim_cuda_templateIsEESt5tupleIJNSH_6TensorESM_SM_EERKSM_lbbbEUlllE0_EEPmJS6_EEE10hipError_tPvRmT3_T4_T5_T6_T7_T9_mT8_P12ihipStream_tbDpT10_ENKUlT_T0_E_clISt17integral_constantIbLb0EES1B_IbLb1EEEEDaS17_S18_EUlS17_E_NS1_11comp_targetILNS1_3genE3ELNS1_11target_archE908ELNS1_3gpuE7ELNS1_3repE0EEENS1_30default_config_static_selectorELNS0_4arch9wavefront6targetE1EEEvT1_
		.amdhsa_group_segment_fixed_size 0
		.amdhsa_private_segment_fixed_size 0
		.amdhsa_kernarg_size 136
		.amdhsa_user_sgpr_count 6
		.amdhsa_user_sgpr_private_segment_buffer 1
		.amdhsa_user_sgpr_dispatch_ptr 0
		.amdhsa_user_sgpr_queue_ptr 0
		.amdhsa_user_sgpr_kernarg_segment_ptr 1
		.amdhsa_user_sgpr_dispatch_id 0
		.amdhsa_user_sgpr_flat_scratch_init 0
		.amdhsa_user_sgpr_kernarg_preload_length 0
		.amdhsa_user_sgpr_kernarg_preload_offset 0
		.amdhsa_user_sgpr_private_segment_size 0
		.amdhsa_uses_dynamic_stack 0
		.amdhsa_system_sgpr_private_segment_wavefront_offset 0
		.amdhsa_system_sgpr_workgroup_id_x 1
		.amdhsa_system_sgpr_workgroup_id_y 0
		.amdhsa_system_sgpr_workgroup_id_z 0
		.amdhsa_system_sgpr_workgroup_info 0
		.amdhsa_system_vgpr_workitem_id 0
		.amdhsa_next_free_vgpr 1
		.amdhsa_next_free_sgpr 0
		.amdhsa_accum_offset 4
		.amdhsa_reserve_vcc 0
		.amdhsa_reserve_flat_scratch 0
		.amdhsa_float_round_mode_32 0
		.amdhsa_float_round_mode_16_64 0
		.amdhsa_float_denorm_mode_32 3
		.amdhsa_float_denorm_mode_16_64 3
		.amdhsa_dx10_clamp 1
		.amdhsa_ieee_mode 1
		.amdhsa_fp16_overflow 0
		.amdhsa_tg_split 0
		.amdhsa_exception_fp_ieee_invalid_op 0
		.amdhsa_exception_fp_denorm_src 0
		.amdhsa_exception_fp_ieee_div_zero 0
		.amdhsa_exception_fp_ieee_overflow 0
		.amdhsa_exception_fp_ieee_underflow 0
		.amdhsa_exception_fp_ieee_inexact 0
		.amdhsa_exception_int_div_zero 0
	.end_amdhsa_kernel
	.section	.text._ZN7rocprim17ROCPRIM_400000_NS6detail17trampoline_kernelINS0_14default_configENS1_25partition_config_selectorILNS1_17partition_subalgoE8ElNS0_10empty_typeEbEEZZNS1_14partition_implILS5_8ELb0ES3_jPlPS6_PKS6_NS0_5tupleIJS9_S6_EEENSD_IJSA_SA_EEENS0_18inequality_wrapperIZN2at6native12_GLOBAL__N_124unique_dim_cuda_templateIsEESt5tupleIJNSH_6TensorESM_SM_EERKSM_lbbbEUlllE0_EEPmJS6_EEE10hipError_tPvRmT3_T4_T5_T6_T7_T9_mT8_P12ihipStream_tbDpT10_ENKUlT_T0_E_clISt17integral_constantIbLb0EES1B_IbLb1EEEEDaS17_S18_EUlS17_E_NS1_11comp_targetILNS1_3genE3ELNS1_11target_archE908ELNS1_3gpuE7ELNS1_3repE0EEENS1_30default_config_static_selectorELNS0_4arch9wavefront6targetE1EEEvT1_,"axG",@progbits,_ZN7rocprim17ROCPRIM_400000_NS6detail17trampoline_kernelINS0_14default_configENS1_25partition_config_selectorILNS1_17partition_subalgoE8ElNS0_10empty_typeEbEEZZNS1_14partition_implILS5_8ELb0ES3_jPlPS6_PKS6_NS0_5tupleIJS9_S6_EEENSD_IJSA_SA_EEENS0_18inequality_wrapperIZN2at6native12_GLOBAL__N_124unique_dim_cuda_templateIsEESt5tupleIJNSH_6TensorESM_SM_EERKSM_lbbbEUlllE0_EEPmJS6_EEE10hipError_tPvRmT3_T4_T5_T6_T7_T9_mT8_P12ihipStream_tbDpT10_ENKUlT_T0_E_clISt17integral_constantIbLb0EES1B_IbLb1EEEEDaS17_S18_EUlS17_E_NS1_11comp_targetILNS1_3genE3ELNS1_11target_archE908ELNS1_3gpuE7ELNS1_3repE0EEENS1_30default_config_static_selectorELNS0_4arch9wavefront6targetE1EEEvT1_,comdat
.Lfunc_end712:
	.size	_ZN7rocprim17ROCPRIM_400000_NS6detail17trampoline_kernelINS0_14default_configENS1_25partition_config_selectorILNS1_17partition_subalgoE8ElNS0_10empty_typeEbEEZZNS1_14partition_implILS5_8ELb0ES3_jPlPS6_PKS6_NS0_5tupleIJS9_S6_EEENSD_IJSA_SA_EEENS0_18inequality_wrapperIZN2at6native12_GLOBAL__N_124unique_dim_cuda_templateIsEESt5tupleIJNSH_6TensorESM_SM_EERKSM_lbbbEUlllE0_EEPmJS6_EEE10hipError_tPvRmT3_T4_T5_T6_T7_T9_mT8_P12ihipStream_tbDpT10_ENKUlT_T0_E_clISt17integral_constantIbLb0EES1B_IbLb1EEEEDaS17_S18_EUlS17_E_NS1_11comp_targetILNS1_3genE3ELNS1_11target_archE908ELNS1_3gpuE7ELNS1_3repE0EEENS1_30default_config_static_selectorELNS0_4arch9wavefront6targetE1EEEvT1_, .Lfunc_end712-_ZN7rocprim17ROCPRIM_400000_NS6detail17trampoline_kernelINS0_14default_configENS1_25partition_config_selectorILNS1_17partition_subalgoE8ElNS0_10empty_typeEbEEZZNS1_14partition_implILS5_8ELb0ES3_jPlPS6_PKS6_NS0_5tupleIJS9_S6_EEENSD_IJSA_SA_EEENS0_18inequality_wrapperIZN2at6native12_GLOBAL__N_124unique_dim_cuda_templateIsEESt5tupleIJNSH_6TensorESM_SM_EERKSM_lbbbEUlllE0_EEPmJS6_EEE10hipError_tPvRmT3_T4_T5_T6_T7_T9_mT8_P12ihipStream_tbDpT10_ENKUlT_T0_E_clISt17integral_constantIbLb0EES1B_IbLb1EEEEDaS17_S18_EUlS17_E_NS1_11comp_targetILNS1_3genE3ELNS1_11target_archE908ELNS1_3gpuE7ELNS1_3repE0EEENS1_30default_config_static_selectorELNS0_4arch9wavefront6targetE1EEEvT1_
                                        ; -- End function
	.section	.AMDGPU.csdata,"",@progbits
; Kernel info:
; codeLenInByte = 0
; NumSgprs: 4
; NumVgprs: 0
; NumAgprs: 0
; TotalNumVgprs: 0
; ScratchSize: 0
; MemoryBound: 0
; FloatMode: 240
; IeeeMode: 1
; LDSByteSize: 0 bytes/workgroup (compile time only)
; SGPRBlocks: 0
; VGPRBlocks: 0
; NumSGPRsForWavesPerEU: 4
; NumVGPRsForWavesPerEU: 1
; AccumOffset: 4
; Occupancy: 8
; WaveLimiterHint : 0
; COMPUTE_PGM_RSRC2:SCRATCH_EN: 0
; COMPUTE_PGM_RSRC2:USER_SGPR: 6
; COMPUTE_PGM_RSRC2:TRAP_HANDLER: 0
; COMPUTE_PGM_RSRC2:TGID_X_EN: 1
; COMPUTE_PGM_RSRC2:TGID_Y_EN: 0
; COMPUTE_PGM_RSRC2:TGID_Z_EN: 0
; COMPUTE_PGM_RSRC2:TIDIG_COMP_CNT: 0
; COMPUTE_PGM_RSRC3_GFX90A:ACCUM_OFFSET: 0
; COMPUTE_PGM_RSRC3_GFX90A:TG_SPLIT: 0
	.section	.text._ZN7rocprim17ROCPRIM_400000_NS6detail17trampoline_kernelINS0_14default_configENS1_25partition_config_selectorILNS1_17partition_subalgoE8ElNS0_10empty_typeEbEEZZNS1_14partition_implILS5_8ELb0ES3_jPlPS6_PKS6_NS0_5tupleIJS9_S6_EEENSD_IJSA_SA_EEENS0_18inequality_wrapperIZN2at6native12_GLOBAL__N_124unique_dim_cuda_templateIsEESt5tupleIJNSH_6TensorESM_SM_EERKSM_lbbbEUlllE0_EEPmJS6_EEE10hipError_tPvRmT3_T4_T5_T6_T7_T9_mT8_P12ihipStream_tbDpT10_ENKUlT_T0_E_clISt17integral_constantIbLb0EES1B_IbLb1EEEEDaS17_S18_EUlS17_E_NS1_11comp_targetILNS1_3genE2ELNS1_11target_archE906ELNS1_3gpuE6ELNS1_3repE0EEENS1_30default_config_static_selectorELNS0_4arch9wavefront6targetE1EEEvT1_,"axG",@progbits,_ZN7rocprim17ROCPRIM_400000_NS6detail17trampoline_kernelINS0_14default_configENS1_25partition_config_selectorILNS1_17partition_subalgoE8ElNS0_10empty_typeEbEEZZNS1_14partition_implILS5_8ELb0ES3_jPlPS6_PKS6_NS0_5tupleIJS9_S6_EEENSD_IJSA_SA_EEENS0_18inequality_wrapperIZN2at6native12_GLOBAL__N_124unique_dim_cuda_templateIsEESt5tupleIJNSH_6TensorESM_SM_EERKSM_lbbbEUlllE0_EEPmJS6_EEE10hipError_tPvRmT3_T4_T5_T6_T7_T9_mT8_P12ihipStream_tbDpT10_ENKUlT_T0_E_clISt17integral_constantIbLb0EES1B_IbLb1EEEEDaS17_S18_EUlS17_E_NS1_11comp_targetILNS1_3genE2ELNS1_11target_archE906ELNS1_3gpuE6ELNS1_3repE0EEENS1_30default_config_static_selectorELNS0_4arch9wavefront6targetE1EEEvT1_,comdat
	.globl	_ZN7rocprim17ROCPRIM_400000_NS6detail17trampoline_kernelINS0_14default_configENS1_25partition_config_selectorILNS1_17partition_subalgoE8ElNS0_10empty_typeEbEEZZNS1_14partition_implILS5_8ELb0ES3_jPlPS6_PKS6_NS0_5tupleIJS9_S6_EEENSD_IJSA_SA_EEENS0_18inequality_wrapperIZN2at6native12_GLOBAL__N_124unique_dim_cuda_templateIsEESt5tupleIJNSH_6TensorESM_SM_EERKSM_lbbbEUlllE0_EEPmJS6_EEE10hipError_tPvRmT3_T4_T5_T6_T7_T9_mT8_P12ihipStream_tbDpT10_ENKUlT_T0_E_clISt17integral_constantIbLb0EES1B_IbLb1EEEEDaS17_S18_EUlS17_E_NS1_11comp_targetILNS1_3genE2ELNS1_11target_archE906ELNS1_3gpuE6ELNS1_3repE0EEENS1_30default_config_static_selectorELNS0_4arch9wavefront6targetE1EEEvT1_ ; -- Begin function _ZN7rocprim17ROCPRIM_400000_NS6detail17trampoline_kernelINS0_14default_configENS1_25partition_config_selectorILNS1_17partition_subalgoE8ElNS0_10empty_typeEbEEZZNS1_14partition_implILS5_8ELb0ES3_jPlPS6_PKS6_NS0_5tupleIJS9_S6_EEENSD_IJSA_SA_EEENS0_18inequality_wrapperIZN2at6native12_GLOBAL__N_124unique_dim_cuda_templateIsEESt5tupleIJNSH_6TensorESM_SM_EERKSM_lbbbEUlllE0_EEPmJS6_EEE10hipError_tPvRmT3_T4_T5_T6_T7_T9_mT8_P12ihipStream_tbDpT10_ENKUlT_T0_E_clISt17integral_constantIbLb0EES1B_IbLb1EEEEDaS17_S18_EUlS17_E_NS1_11comp_targetILNS1_3genE2ELNS1_11target_archE906ELNS1_3gpuE6ELNS1_3repE0EEENS1_30default_config_static_selectorELNS0_4arch9wavefront6targetE1EEEvT1_
	.p2align	8
	.type	_ZN7rocprim17ROCPRIM_400000_NS6detail17trampoline_kernelINS0_14default_configENS1_25partition_config_selectorILNS1_17partition_subalgoE8ElNS0_10empty_typeEbEEZZNS1_14partition_implILS5_8ELb0ES3_jPlPS6_PKS6_NS0_5tupleIJS9_S6_EEENSD_IJSA_SA_EEENS0_18inequality_wrapperIZN2at6native12_GLOBAL__N_124unique_dim_cuda_templateIsEESt5tupleIJNSH_6TensorESM_SM_EERKSM_lbbbEUlllE0_EEPmJS6_EEE10hipError_tPvRmT3_T4_T5_T6_T7_T9_mT8_P12ihipStream_tbDpT10_ENKUlT_T0_E_clISt17integral_constantIbLb0EES1B_IbLb1EEEEDaS17_S18_EUlS17_E_NS1_11comp_targetILNS1_3genE2ELNS1_11target_archE906ELNS1_3gpuE6ELNS1_3repE0EEENS1_30default_config_static_selectorELNS0_4arch9wavefront6targetE1EEEvT1_,@function
_ZN7rocprim17ROCPRIM_400000_NS6detail17trampoline_kernelINS0_14default_configENS1_25partition_config_selectorILNS1_17partition_subalgoE8ElNS0_10empty_typeEbEEZZNS1_14partition_implILS5_8ELb0ES3_jPlPS6_PKS6_NS0_5tupleIJS9_S6_EEENSD_IJSA_SA_EEENS0_18inequality_wrapperIZN2at6native12_GLOBAL__N_124unique_dim_cuda_templateIsEESt5tupleIJNSH_6TensorESM_SM_EERKSM_lbbbEUlllE0_EEPmJS6_EEE10hipError_tPvRmT3_T4_T5_T6_T7_T9_mT8_P12ihipStream_tbDpT10_ENKUlT_T0_E_clISt17integral_constantIbLb0EES1B_IbLb1EEEEDaS17_S18_EUlS17_E_NS1_11comp_targetILNS1_3genE2ELNS1_11target_archE906ELNS1_3gpuE6ELNS1_3repE0EEENS1_30default_config_static_selectorELNS0_4arch9wavefront6targetE1EEEvT1_: ; @_ZN7rocprim17ROCPRIM_400000_NS6detail17trampoline_kernelINS0_14default_configENS1_25partition_config_selectorILNS1_17partition_subalgoE8ElNS0_10empty_typeEbEEZZNS1_14partition_implILS5_8ELb0ES3_jPlPS6_PKS6_NS0_5tupleIJS9_S6_EEENSD_IJSA_SA_EEENS0_18inequality_wrapperIZN2at6native12_GLOBAL__N_124unique_dim_cuda_templateIsEESt5tupleIJNSH_6TensorESM_SM_EERKSM_lbbbEUlllE0_EEPmJS6_EEE10hipError_tPvRmT3_T4_T5_T6_T7_T9_mT8_P12ihipStream_tbDpT10_ENKUlT_T0_E_clISt17integral_constantIbLb0EES1B_IbLb1EEEEDaS17_S18_EUlS17_E_NS1_11comp_targetILNS1_3genE2ELNS1_11target_archE906ELNS1_3gpuE6ELNS1_3repE0EEENS1_30default_config_static_selectorELNS0_4arch9wavefront6targetE1EEEvT1_
; %bb.0:
	.section	.rodata,"a",@progbits
	.p2align	6, 0x0
	.amdhsa_kernel _ZN7rocprim17ROCPRIM_400000_NS6detail17trampoline_kernelINS0_14default_configENS1_25partition_config_selectorILNS1_17partition_subalgoE8ElNS0_10empty_typeEbEEZZNS1_14partition_implILS5_8ELb0ES3_jPlPS6_PKS6_NS0_5tupleIJS9_S6_EEENSD_IJSA_SA_EEENS0_18inequality_wrapperIZN2at6native12_GLOBAL__N_124unique_dim_cuda_templateIsEESt5tupleIJNSH_6TensorESM_SM_EERKSM_lbbbEUlllE0_EEPmJS6_EEE10hipError_tPvRmT3_T4_T5_T6_T7_T9_mT8_P12ihipStream_tbDpT10_ENKUlT_T0_E_clISt17integral_constantIbLb0EES1B_IbLb1EEEEDaS17_S18_EUlS17_E_NS1_11comp_targetILNS1_3genE2ELNS1_11target_archE906ELNS1_3gpuE6ELNS1_3repE0EEENS1_30default_config_static_selectorELNS0_4arch9wavefront6targetE1EEEvT1_
		.amdhsa_group_segment_fixed_size 0
		.amdhsa_private_segment_fixed_size 0
		.amdhsa_kernarg_size 136
		.amdhsa_user_sgpr_count 6
		.amdhsa_user_sgpr_private_segment_buffer 1
		.amdhsa_user_sgpr_dispatch_ptr 0
		.amdhsa_user_sgpr_queue_ptr 0
		.amdhsa_user_sgpr_kernarg_segment_ptr 1
		.amdhsa_user_sgpr_dispatch_id 0
		.amdhsa_user_sgpr_flat_scratch_init 0
		.amdhsa_user_sgpr_kernarg_preload_length 0
		.amdhsa_user_sgpr_kernarg_preload_offset 0
		.amdhsa_user_sgpr_private_segment_size 0
		.amdhsa_uses_dynamic_stack 0
		.amdhsa_system_sgpr_private_segment_wavefront_offset 0
		.amdhsa_system_sgpr_workgroup_id_x 1
		.amdhsa_system_sgpr_workgroup_id_y 0
		.amdhsa_system_sgpr_workgroup_id_z 0
		.amdhsa_system_sgpr_workgroup_info 0
		.amdhsa_system_vgpr_workitem_id 0
		.amdhsa_next_free_vgpr 1
		.amdhsa_next_free_sgpr 0
		.amdhsa_accum_offset 4
		.amdhsa_reserve_vcc 0
		.amdhsa_reserve_flat_scratch 0
		.amdhsa_float_round_mode_32 0
		.amdhsa_float_round_mode_16_64 0
		.amdhsa_float_denorm_mode_32 3
		.amdhsa_float_denorm_mode_16_64 3
		.amdhsa_dx10_clamp 1
		.amdhsa_ieee_mode 1
		.amdhsa_fp16_overflow 0
		.amdhsa_tg_split 0
		.amdhsa_exception_fp_ieee_invalid_op 0
		.amdhsa_exception_fp_denorm_src 0
		.amdhsa_exception_fp_ieee_div_zero 0
		.amdhsa_exception_fp_ieee_overflow 0
		.amdhsa_exception_fp_ieee_underflow 0
		.amdhsa_exception_fp_ieee_inexact 0
		.amdhsa_exception_int_div_zero 0
	.end_amdhsa_kernel
	.section	.text._ZN7rocprim17ROCPRIM_400000_NS6detail17trampoline_kernelINS0_14default_configENS1_25partition_config_selectorILNS1_17partition_subalgoE8ElNS0_10empty_typeEbEEZZNS1_14partition_implILS5_8ELb0ES3_jPlPS6_PKS6_NS0_5tupleIJS9_S6_EEENSD_IJSA_SA_EEENS0_18inequality_wrapperIZN2at6native12_GLOBAL__N_124unique_dim_cuda_templateIsEESt5tupleIJNSH_6TensorESM_SM_EERKSM_lbbbEUlllE0_EEPmJS6_EEE10hipError_tPvRmT3_T4_T5_T6_T7_T9_mT8_P12ihipStream_tbDpT10_ENKUlT_T0_E_clISt17integral_constantIbLb0EES1B_IbLb1EEEEDaS17_S18_EUlS17_E_NS1_11comp_targetILNS1_3genE2ELNS1_11target_archE906ELNS1_3gpuE6ELNS1_3repE0EEENS1_30default_config_static_selectorELNS0_4arch9wavefront6targetE1EEEvT1_,"axG",@progbits,_ZN7rocprim17ROCPRIM_400000_NS6detail17trampoline_kernelINS0_14default_configENS1_25partition_config_selectorILNS1_17partition_subalgoE8ElNS0_10empty_typeEbEEZZNS1_14partition_implILS5_8ELb0ES3_jPlPS6_PKS6_NS0_5tupleIJS9_S6_EEENSD_IJSA_SA_EEENS0_18inequality_wrapperIZN2at6native12_GLOBAL__N_124unique_dim_cuda_templateIsEESt5tupleIJNSH_6TensorESM_SM_EERKSM_lbbbEUlllE0_EEPmJS6_EEE10hipError_tPvRmT3_T4_T5_T6_T7_T9_mT8_P12ihipStream_tbDpT10_ENKUlT_T0_E_clISt17integral_constantIbLb0EES1B_IbLb1EEEEDaS17_S18_EUlS17_E_NS1_11comp_targetILNS1_3genE2ELNS1_11target_archE906ELNS1_3gpuE6ELNS1_3repE0EEENS1_30default_config_static_selectorELNS0_4arch9wavefront6targetE1EEEvT1_,comdat
.Lfunc_end713:
	.size	_ZN7rocprim17ROCPRIM_400000_NS6detail17trampoline_kernelINS0_14default_configENS1_25partition_config_selectorILNS1_17partition_subalgoE8ElNS0_10empty_typeEbEEZZNS1_14partition_implILS5_8ELb0ES3_jPlPS6_PKS6_NS0_5tupleIJS9_S6_EEENSD_IJSA_SA_EEENS0_18inequality_wrapperIZN2at6native12_GLOBAL__N_124unique_dim_cuda_templateIsEESt5tupleIJNSH_6TensorESM_SM_EERKSM_lbbbEUlllE0_EEPmJS6_EEE10hipError_tPvRmT3_T4_T5_T6_T7_T9_mT8_P12ihipStream_tbDpT10_ENKUlT_T0_E_clISt17integral_constantIbLb0EES1B_IbLb1EEEEDaS17_S18_EUlS17_E_NS1_11comp_targetILNS1_3genE2ELNS1_11target_archE906ELNS1_3gpuE6ELNS1_3repE0EEENS1_30default_config_static_selectorELNS0_4arch9wavefront6targetE1EEEvT1_, .Lfunc_end713-_ZN7rocprim17ROCPRIM_400000_NS6detail17trampoline_kernelINS0_14default_configENS1_25partition_config_selectorILNS1_17partition_subalgoE8ElNS0_10empty_typeEbEEZZNS1_14partition_implILS5_8ELb0ES3_jPlPS6_PKS6_NS0_5tupleIJS9_S6_EEENSD_IJSA_SA_EEENS0_18inequality_wrapperIZN2at6native12_GLOBAL__N_124unique_dim_cuda_templateIsEESt5tupleIJNSH_6TensorESM_SM_EERKSM_lbbbEUlllE0_EEPmJS6_EEE10hipError_tPvRmT3_T4_T5_T6_T7_T9_mT8_P12ihipStream_tbDpT10_ENKUlT_T0_E_clISt17integral_constantIbLb0EES1B_IbLb1EEEEDaS17_S18_EUlS17_E_NS1_11comp_targetILNS1_3genE2ELNS1_11target_archE906ELNS1_3gpuE6ELNS1_3repE0EEENS1_30default_config_static_selectorELNS0_4arch9wavefront6targetE1EEEvT1_
                                        ; -- End function
	.section	.AMDGPU.csdata,"",@progbits
; Kernel info:
; codeLenInByte = 0
; NumSgprs: 4
; NumVgprs: 0
; NumAgprs: 0
; TotalNumVgprs: 0
; ScratchSize: 0
; MemoryBound: 0
; FloatMode: 240
; IeeeMode: 1
; LDSByteSize: 0 bytes/workgroup (compile time only)
; SGPRBlocks: 0
; VGPRBlocks: 0
; NumSGPRsForWavesPerEU: 4
; NumVGPRsForWavesPerEU: 1
; AccumOffset: 4
; Occupancy: 8
; WaveLimiterHint : 0
; COMPUTE_PGM_RSRC2:SCRATCH_EN: 0
; COMPUTE_PGM_RSRC2:USER_SGPR: 6
; COMPUTE_PGM_RSRC2:TRAP_HANDLER: 0
; COMPUTE_PGM_RSRC2:TGID_X_EN: 1
; COMPUTE_PGM_RSRC2:TGID_Y_EN: 0
; COMPUTE_PGM_RSRC2:TGID_Z_EN: 0
; COMPUTE_PGM_RSRC2:TIDIG_COMP_CNT: 0
; COMPUTE_PGM_RSRC3_GFX90A:ACCUM_OFFSET: 0
; COMPUTE_PGM_RSRC3_GFX90A:TG_SPLIT: 0
	.section	.text._ZN7rocprim17ROCPRIM_400000_NS6detail17trampoline_kernelINS0_14default_configENS1_25partition_config_selectorILNS1_17partition_subalgoE8ElNS0_10empty_typeEbEEZZNS1_14partition_implILS5_8ELb0ES3_jPlPS6_PKS6_NS0_5tupleIJS9_S6_EEENSD_IJSA_SA_EEENS0_18inequality_wrapperIZN2at6native12_GLOBAL__N_124unique_dim_cuda_templateIsEESt5tupleIJNSH_6TensorESM_SM_EERKSM_lbbbEUlllE0_EEPmJS6_EEE10hipError_tPvRmT3_T4_T5_T6_T7_T9_mT8_P12ihipStream_tbDpT10_ENKUlT_T0_E_clISt17integral_constantIbLb0EES1B_IbLb1EEEEDaS17_S18_EUlS17_E_NS1_11comp_targetILNS1_3genE10ELNS1_11target_archE1200ELNS1_3gpuE4ELNS1_3repE0EEENS1_30default_config_static_selectorELNS0_4arch9wavefront6targetE1EEEvT1_,"axG",@progbits,_ZN7rocprim17ROCPRIM_400000_NS6detail17trampoline_kernelINS0_14default_configENS1_25partition_config_selectorILNS1_17partition_subalgoE8ElNS0_10empty_typeEbEEZZNS1_14partition_implILS5_8ELb0ES3_jPlPS6_PKS6_NS0_5tupleIJS9_S6_EEENSD_IJSA_SA_EEENS0_18inequality_wrapperIZN2at6native12_GLOBAL__N_124unique_dim_cuda_templateIsEESt5tupleIJNSH_6TensorESM_SM_EERKSM_lbbbEUlllE0_EEPmJS6_EEE10hipError_tPvRmT3_T4_T5_T6_T7_T9_mT8_P12ihipStream_tbDpT10_ENKUlT_T0_E_clISt17integral_constantIbLb0EES1B_IbLb1EEEEDaS17_S18_EUlS17_E_NS1_11comp_targetILNS1_3genE10ELNS1_11target_archE1200ELNS1_3gpuE4ELNS1_3repE0EEENS1_30default_config_static_selectorELNS0_4arch9wavefront6targetE1EEEvT1_,comdat
	.globl	_ZN7rocprim17ROCPRIM_400000_NS6detail17trampoline_kernelINS0_14default_configENS1_25partition_config_selectorILNS1_17partition_subalgoE8ElNS0_10empty_typeEbEEZZNS1_14partition_implILS5_8ELb0ES3_jPlPS6_PKS6_NS0_5tupleIJS9_S6_EEENSD_IJSA_SA_EEENS0_18inequality_wrapperIZN2at6native12_GLOBAL__N_124unique_dim_cuda_templateIsEESt5tupleIJNSH_6TensorESM_SM_EERKSM_lbbbEUlllE0_EEPmJS6_EEE10hipError_tPvRmT3_T4_T5_T6_T7_T9_mT8_P12ihipStream_tbDpT10_ENKUlT_T0_E_clISt17integral_constantIbLb0EES1B_IbLb1EEEEDaS17_S18_EUlS17_E_NS1_11comp_targetILNS1_3genE10ELNS1_11target_archE1200ELNS1_3gpuE4ELNS1_3repE0EEENS1_30default_config_static_selectorELNS0_4arch9wavefront6targetE1EEEvT1_ ; -- Begin function _ZN7rocprim17ROCPRIM_400000_NS6detail17trampoline_kernelINS0_14default_configENS1_25partition_config_selectorILNS1_17partition_subalgoE8ElNS0_10empty_typeEbEEZZNS1_14partition_implILS5_8ELb0ES3_jPlPS6_PKS6_NS0_5tupleIJS9_S6_EEENSD_IJSA_SA_EEENS0_18inequality_wrapperIZN2at6native12_GLOBAL__N_124unique_dim_cuda_templateIsEESt5tupleIJNSH_6TensorESM_SM_EERKSM_lbbbEUlllE0_EEPmJS6_EEE10hipError_tPvRmT3_T4_T5_T6_T7_T9_mT8_P12ihipStream_tbDpT10_ENKUlT_T0_E_clISt17integral_constantIbLb0EES1B_IbLb1EEEEDaS17_S18_EUlS17_E_NS1_11comp_targetILNS1_3genE10ELNS1_11target_archE1200ELNS1_3gpuE4ELNS1_3repE0EEENS1_30default_config_static_selectorELNS0_4arch9wavefront6targetE1EEEvT1_
	.p2align	8
	.type	_ZN7rocprim17ROCPRIM_400000_NS6detail17trampoline_kernelINS0_14default_configENS1_25partition_config_selectorILNS1_17partition_subalgoE8ElNS0_10empty_typeEbEEZZNS1_14partition_implILS5_8ELb0ES3_jPlPS6_PKS6_NS0_5tupleIJS9_S6_EEENSD_IJSA_SA_EEENS0_18inequality_wrapperIZN2at6native12_GLOBAL__N_124unique_dim_cuda_templateIsEESt5tupleIJNSH_6TensorESM_SM_EERKSM_lbbbEUlllE0_EEPmJS6_EEE10hipError_tPvRmT3_T4_T5_T6_T7_T9_mT8_P12ihipStream_tbDpT10_ENKUlT_T0_E_clISt17integral_constantIbLb0EES1B_IbLb1EEEEDaS17_S18_EUlS17_E_NS1_11comp_targetILNS1_3genE10ELNS1_11target_archE1200ELNS1_3gpuE4ELNS1_3repE0EEENS1_30default_config_static_selectorELNS0_4arch9wavefront6targetE1EEEvT1_,@function
_ZN7rocprim17ROCPRIM_400000_NS6detail17trampoline_kernelINS0_14default_configENS1_25partition_config_selectorILNS1_17partition_subalgoE8ElNS0_10empty_typeEbEEZZNS1_14partition_implILS5_8ELb0ES3_jPlPS6_PKS6_NS0_5tupleIJS9_S6_EEENSD_IJSA_SA_EEENS0_18inequality_wrapperIZN2at6native12_GLOBAL__N_124unique_dim_cuda_templateIsEESt5tupleIJNSH_6TensorESM_SM_EERKSM_lbbbEUlllE0_EEPmJS6_EEE10hipError_tPvRmT3_T4_T5_T6_T7_T9_mT8_P12ihipStream_tbDpT10_ENKUlT_T0_E_clISt17integral_constantIbLb0EES1B_IbLb1EEEEDaS17_S18_EUlS17_E_NS1_11comp_targetILNS1_3genE10ELNS1_11target_archE1200ELNS1_3gpuE4ELNS1_3repE0EEENS1_30default_config_static_selectorELNS0_4arch9wavefront6targetE1EEEvT1_: ; @_ZN7rocprim17ROCPRIM_400000_NS6detail17trampoline_kernelINS0_14default_configENS1_25partition_config_selectorILNS1_17partition_subalgoE8ElNS0_10empty_typeEbEEZZNS1_14partition_implILS5_8ELb0ES3_jPlPS6_PKS6_NS0_5tupleIJS9_S6_EEENSD_IJSA_SA_EEENS0_18inequality_wrapperIZN2at6native12_GLOBAL__N_124unique_dim_cuda_templateIsEESt5tupleIJNSH_6TensorESM_SM_EERKSM_lbbbEUlllE0_EEPmJS6_EEE10hipError_tPvRmT3_T4_T5_T6_T7_T9_mT8_P12ihipStream_tbDpT10_ENKUlT_T0_E_clISt17integral_constantIbLb0EES1B_IbLb1EEEEDaS17_S18_EUlS17_E_NS1_11comp_targetILNS1_3genE10ELNS1_11target_archE1200ELNS1_3gpuE4ELNS1_3repE0EEENS1_30default_config_static_selectorELNS0_4arch9wavefront6targetE1EEEvT1_
; %bb.0:
	.section	.rodata,"a",@progbits
	.p2align	6, 0x0
	.amdhsa_kernel _ZN7rocprim17ROCPRIM_400000_NS6detail17trampoline_kernelINS0_14default_configENS1_25partition_config_selectorILNS1_17partition_subalgoE8ElNS0_10empty_typeEbEEZZNS1_14partition_implILS5_8ELb0ES3_jPlPS6_PKS6_NS0_5tupleIJS9_S6_EEENSD_IJSA_SA_EEENS0_18inequality_wrapperIZN2at6native12_GLOBAL__N_124unique_dim_cuda_templateIsEESt5tupleIJNSH_6TensorESM_SM_EERKSM_lbbbEUlllE0_EEPmJS6_EEE10hipError_tPvRmT3_T4_T5_T6_T7_T9_mT8_P12ihipStream_tbDpT10_ENKUlT_T0_E_clISt17integral_constantIbLb0EES1B_IbLb1EEEEDaS17_S18_EUlS17_E_NS1_11comp_targetILNS1_3genE10ELNS1_11target_archE1200ELNS1_3gpuE4ELNS1_3repE0EEENS1_30default_config_static_selectorELNS0_4arch9wavefront6targetE1EEEvT1_
		.amdhsa_group_segment_fixed_size 0
		.amdhsa_private_segment_fixed_size 0
		.amdhsa_kernarg_size 136
		.amdhsa_user_sgpr_count 6
		.amdhsa_user_sgpr_private_segment_buffer 1
		.amdhsa_user_sgpr_dispatch_ptr 0
		.amdhsa_user_sgpr_queue_ptr 0
		.amdhsa_user_sgpr_kernarg_segment_ptr 1
		.amdhsa_user_sgpr_dispatch_id 0
		.amdhsa_user_sgpr_flat_scratch_init 0
		.amdhsa_user_sgpr_kernarg_preload_length 0
		.amdhsa_user_sgpr_kernarg_preload_offset 0
		.amdhsa_user_sgpr_private_segment_size 0
		.amdhsa_uses_dynamic_stack 0
		.amdhsa_system_sgpr_private_segment_wavefront_offset 0
		.amdhsa_system_sgpr_workgroup_id_x 1
		.amdhsa_system_sgpr_workgroup_id_y 0
		.amdhsa_system_sgpr_workgroup_id_z 0
		.amdhsa_system_sgpr_workgroup_info 0
		.amdhsa_system_vgpr_workitem_id 0
		.amdhsa_next_free_vgpr 1
		.amdhsa_next_free_sgpr 0
		.amdhsa_accum_offset 4
		.amdhsa_reserve_vcc 0
		.amdhsa_reserve_flat_scratch 0
		.amdhsa_float_round_mode_32 0
		.amdhsa_float_round_mode_16_64 0
		.amdhsa_float_denorm_mode_32 3
		.amdhsa_float_denorm_mode_16_64 3
		.amdhsa_dx10_clamp 1
		.amdhsa_ieee_mode 1
		.amdhsa_fp16_overflow 0
		.amdhsa_tg_split 0
		.amdhsa_exception_fp_ieee_invalid_op 0
		.amdhsa_exception_fp_denorm_src 0
		.amdhsa_exception_fp_ieee_div_zero 0
		.amdhsa_exception_fp_ieee_overflow 0
		.amdhsa_exception_fp_ieee_underflow 0
		.amdhsa_exception_fp_ieee_inexact 0
		.amdhsa_exception_int_div_zero 0
	.end_amdhsa_kernel
	.section	.text._ZN7rocprim17ROCPRIM_400000_NS6detail17trampoline_kernelINS0_14default_configENS1_25partition_config_selectorILNS1_17partition_subalgoE8ElNS0_10empty_typeEbEEZZNS1_14partition_implILS5_8ELb0ES3_jPlPS6_PKS6_NS0_5tupleIJS9_S6_EEENSD_IJSA_SA_EEENS0_18inequality_wrapperIZN2at6native12_GLOBAL__N_124unique_dim_cuda_templateIsEESt5tupleIJNSH_6TensorESM_SM_EERKSM_lbbbEUlllE0_EEPmJS6_EEE10hipError_tPvRmT3_T4_T5_T6_T7_T9_mT8_P12ihipStream_tbDpT10_ENKUlT_T0_E_clISt17integral_constantIbLb0EES1B_IbLb1EEEEDaS17_S18_EUlS17_E_NS1_11comp_targetILNS1_3genE10ELNS1_11target_archE1200ELNS1_3gpuE4ELNS1_3repE0EEENS1_30default_config_static_selectorELNS0_4arch9wavefront6targetE1EEEvT1_,"axG",@progbits,_ZN7rocprim17ROCPRIM_400000_NS6detail17trampoline_kernelINS0_14default_configENS1_25partition_config_selectorILNS1_17partition_subalgoE8ElNS0_10empty_typeEbEEZZNS1_14partition_implILS5_8ELb0ES3_jPlPS6_PKS6_NS0_5tupleIJS9_S6_EEENSD_IJSA_SA_EEENS0_18inequality_wrapperIZN2at6native12_GLOBAL__N_124unique_dim_cuda_templateIsEESt5tupleIJNSH_6TensorESM_SM_EERKSM_lbbbEUlllE0_EEPmJS6_EEE10hipError_tPvRmT3_T4_T5_T6_T7_T9_mT8_P12ihipStream_tbDpT10_ENKUlT_T0_E_clISt17integral_constantIbLb0EES1B_IbLb1EEEEDaS17_S18_EUlS17_E_NS1_11comp_targetILNS1_3genE10ELNS1_11target_archE1200ELNS1_3gpuE4ELNS1_3repE0EEENS1_30default_config_static_selectorELNS0_4arch9wavefront6targetE1EEEvT1_,comdat
.Lfunc_end714:
	.size	_ZN7rocprim17ROCPRIM_400000_NS6detail17trampoline_kernelINS0_14default_configENS1_25partition_config_selectorILNS1_17partition_subalgoE8ElNS0_10empty_typeEbEEZZNS1_14partition_implILS5_8ELb0ES3_jPlPS6_PKS6_NS0_5tupleIJS9_S6_EEENSD_IJSA_SA_EEENS0_18inequality_wrapperIZN2at6native12_GLOBAL__N_124unique_dim_cuda_templateIsEESt5tupleIJNSH_6TensorESM_SM_EERKSM_lbbbEUlllE0_EEPmJS6_EEE10hipError_tPvRmT3_T4_T5_T6_T7_T9_mT8_P12ihipStream_tbDpT10_ENKUlT_T0_E_clISt17integral_constantIbLb0EES1B_IbLb1EEEEDaS17_S18_EUlS17_E_NS1_11comp_targetILNS1_3genE10ELNS1_11target_archE1200ELNS1_3gpuE4ELNS1_3repE0EEENS1_30default_config_static_selectorELNS0_4arch9wavefront6targetE1EEEvT1_, .Lfunc_end714-_ZN7rocprim17ROCPRIM_400000_NS6detail17trampoline_kernelINS0_14default_configENS1_25partition_config_selectorILNS1_17partition_subalgoE8ElNS0_10empty_typeEbEEZZNS1_14partition_implILS5_8ELb0ES3_jPlPS6_PKS6_NS0_5tupleIJS9_S6_EEENSD_IJSA_SA_EEENS0_18inequality_wrapperIZN2at6native12_GLOBAL__N_124unique_dim_cuda_templateIsEESt5tupleIJNSH_6TensorESM_SM_EERKSM_lbbbEUlllE0_EEPmJS6_EEE10hipError_tPvRmT3_T4_T5_T6_T7_T9_mT8_P12ihipStream_tbDpT10_ENKUlT_T0_E_clISt17integral_constantIbLb0EES1B_IbLb1EEEEDaS17_S18_EUlS17_E_NS1_11comp_targetILNS1_3genE10ELNS1_11target_archE1200ELNS1_3gpuE4ELNS1_3repE0EEENS1_30default_config_static_selectorELNS0_4arch9wavefront6targetE1EEEvT1_
                                        ; -- End function
	.section	.AMDGPU.csdata,"",@progbits
; Kernel info:
; codeLenInByte = 0
; NumSgprs: 4
; NumVgprs: 0
; NumAgprs: 0
; TotalNumVgprs: 0
; ScratchSize: 0
; MemoryBound: 0
; FloatMode: 240
; IeeeMode: 1
; LDSByteSize: 0 bytes/workgroup (compile time only)
; SGPRBlocks: 0
; VGPRBlocks: 0
; NumSGPRsForWavesPerEU: 4
; NumVGPRsForWavesPerEU: 1
; AccumOffset: 4
; Occupancy: 8
; WaveLimiterHint : 0
; COMPUTE_PGM_RSRC2:SCRATCH_EN: 0
; COMPUTE_PGM_RSRC2:USER_SGPR: 6
; COMPUTE_PGM_RSRC2:TRAP_HANDLER: 0
; COMPUTE_PGM_RSRC2:TGID_X_EN: 1
; COMPUTE_PGM_RSRC2:TGID_Y_EN: 0
; COMPUTE_PGM_RSRC2:TGID_Z_EN: 0
; COMPUTE_PGM_RSRC2:TIDIG_COMP_CNT: 0
; COMPUTE_PGM_RSRC3_GFX90A:ACCUM_OFFSET: 0
; COMPUTE_PGM_RSRC3_GFX90A:TG_SPLIT: 0
	.section	.text._ZN7rocprim17ROCPRIM_400000_NS6detail17trampoline_kernelINS0_14default_configENS1_25partition_config_selectorILNS1_17partition_subalgoE8ElNS0_10empty_typeEbEEZZNS1_14partition_implILS5_8ELb0ES3_jPlPS6_PKS6_NS0_5tupleIJS9_S6_EEENSD_IJSA_SA_EEENS0_18inequality_wrapperIZN2at6native12_GLOBAL__N_124unique_dim_cuda_templateIsEESt5tupleIJNSH_6TensorESM_SM_EERKSM_lbbbEUlllE0_EEPmJS6_EEE10hipError_tPvRmT3_T4_T5_T6_T7_T9_mT8_P12ihipStream_tbDpT10_ENKUlT_T0_E_clISt17integral_constantIbLb0EES1B_IbLb1EEEEDaS17_S18_EUlS17_E_NS1_11comp_targetILNS1_3genE9ELNS1_11target_archE1100ELNS1_3gpuE3ELNS1_3repE0EEENS1_30default_config_static_selectorELNS0_4arch9wavefront6targetE1EEEvT1_,"axG",@progbits,_ZN7rocprim17ROCPRIM_400000_NS6detail17trampoline_kernelINS0_14default_configENS1_25partition_config_selectorILNS1_17partition_subalgoE8ElNS0_10empty_typeEbEEZZNS1_14partition_implILS5_8ELb0ES3_jPlPS6_PKS6_NS0_5tupleIJS9_S6_EEENSD_IJSA_SA_EEENS0_18inequality_wrapperIZN2at6native12_GLOBAL__N_124unique_dim_cuda_templateIsEESt5tupleIJNSH_6TensorESM_SM_EERKSM_lbbbEUlllE0_EEPmJS6_EEE10hipError_tPvRmT3_T4_T5_T6_T7_T9_mT8_P12ihipStream_tbDpT10_ENKUlT_T0_E_clISt17integral_constantIbLb0EES1B_IbLb1EEEEDaS17_S18_EUlS17_E_NS1_11comp_targetILNS1_3genE9ELNS1_11target_archE1100ELNS1_3gpuE3ELNS1_3repE0EEENS1_30default_config_static_selectorELNS0_4arch9wavefront6targetE1EEEvT1_,comdat
	.globl	_ZN7rocprim17ROCPRIM_400000_NS6detail17trampoline_kernelINS0_14default_configENS1_25partition_config_selectorILNS1_17partition_subalgoE8ElNS0_10empty_typeEbEEZZNS1_14partition_implILS5_8ELb0ES3_jPlPS6_PKS6_NS0_5tupleIJS9_S6_EEENSD_IJSA_SA_EEENS0_18inequality_wrapperIZN2at6native12_GLOBAL__N_124unique_dim_cuda_templateIsEESt5tupleIJNSH_6TensorESM_SM_EERKSM_lbbbEUlllE0_EEPmJS6_EEE10hipError_tPvRmT3_T4_T5_T6_T7_T9_mT8_P12ihipStream_tbDpT10_ENKUlT_T0_E_clISt17integral_constantIbLb0EES1B_IbLb1EEEEDaS17_S18_EUlS17_E_NS1_11comp_targetILNS1_3genE9ELNS1_11target_archE1100ELNS1_3gpuE3ELNS1_3repE0EEENS1_30default_config_static_selectorELNS0_4arch9wavefront6targetE1EEEvT1_ ; -- Begin function _ZN7rocprim17ROCPRIM_400000_NS6detail17trampoline_kernelINS0_14default_configENS1_25partition_config_selectorILNS1_17partition_subalgoE8ElNS0_10empty_typeEbEEZZNS1_14partition_implILS5_8ELb0ES3_jPlPS6_PKS6_NS0_5tupleIJS9_S6_EEENSD_IJSA_SA_EEENS0_18inequality_wrapperIZN2at6native12_GLOBAL__N_124unique_dim_cuda_templateIsEESt5tupleIJNSH_6TensorESM_SM_EERKSM_lbbbEUlllE0_EEPmJS6_EEE10hipError_tPvRmT3_T4_T5_T6_T7_T9_mT8_P12ihipStream_tbDpT10_ENKUlT_T0_E_clISt17integral_constantIbLb0EES1B_IbLb1EEEEDaS17_S18_EUlS17_E_NS1_11comp_targetILNS1_3genE9ELNS1_11target_archE1100ELNS1_3gpuE3ELNS1_3repE0EEENS1_30default_config_static_selectorELNS0_4arch9wavefront6targetE1EEEvT1_
	.p2align	8
	.type	_ZN7rocprim17ROCPRIM_400000_NS6detail17trampoline_kernelINS0_14default_configENS1_25partition_config_selectorILNS1_17partition_subalgoE8ElNS0_10empty_typeEbEEZZNS1_14partition_implILS5_8ELb0ES3_jPlPS6_PKS6_NS0_5tupleIJS9_S6_EEENSD_IJSA_SA_EEENS0_18inequality_wrapperIZN2at6native12_GLOBAL__N_124unique_dim_cuda_templateIsEESt5tupleIJNSH_6TensorESM_SM_EERKSM_lbbbEUlllE0_EEPmJS6_EEE10hipError_tPvRmT3_T4_T5_T6_T7_T9_mT8_P12ihipStream_tbDpT10_ENKUlT_T0_E_clISt17integral_constantIbLb0EES1B_IbLb1EEEEDaS17_S18_EUlS17_E_NS1_11comp_targetILNS1_3genE9ELNS1_11target_archE1100ELNS1_3gpuE3ELNS1_3repE0EEENS1_30default_config_static_selectorELNS0_4arch9wavefront6targetE1EEEvT1_,@function
_ZN7rocprim17ROCPRIM_400000_NS6detail17trampoline_kernelINS0_14default_configENS1_25partition_config_selectorILNS1_17partition_subalgoE8ElNS0_10empty_typeEbEEZZNS1_14partition_implILS5_8ELb0ES3_jPlPS6_PKS6_NS0_5tupleIJS9_S6_EEENSD_IJSA_SA_EEENS0_18inequality_wrapperIZN2at6native12_GLOBAL__N_124unique_dim_cuda_templateIsEESt5tupleIJNSH_6TensorESM_SM_EERKSM_lbbbEUlllE0_EEPmJS6_EEE10hipError_tPvRmT3_T4_T5_T6_T7_T9_mT8_P12ihipStream_tbDpT10_ENKUlT_T0_E_clISt17integral_constantIbLb0EES1B_IbLb1EEEEDaS17_S18_EUlS17_E_NS1_11comp_targetILNS1_3genE9ELNS1_11target_archE1100ELNS1_3gpuE3ELNS1_3repE0EEENS1_30default_config_static_selectorELNS0_4arch9wavefront6targetE1EEEvT1_: ; @_ZN7rocprim17ROCPRIM_400000_NS6detail17trampoline_kernelINS0_14default_configENS1_25partition_config_selectorILNS1_17partition_subalgoE8ElNS0_10empty_typeEbEEZZNS1_14partition_implILS5_8ELb0ES3_jPlPS6_PKS6_NS0_5tupleIJS9_S6_EEENSD_IJSA_SA_EEENS0_18inequality_wrapperIZN2at6native12_GLOBAL__N_124unique_dim_cuda_templateIsEESt5tupleIJNSH_6TensorESM_SM_EERKSM_lbbbEUlllE0_EEPmJS6_EEE10hipError_tPvRmT3_T4_T5_T6_T7_T9_mT8_P12ihipStream_tbDpT10_ENKUlT_T0_E_clISt17integral_constantIbLb0EES1B_IbLb1EEEEDaS17_S18_EUlS17_E_NS1_11comp_targetILNS1_3genE9ELNS1_11target_archE1100ELNS1_3gpuE3ELNS1_3repE0EEENS1_30default_config_static_selectorELNS0_4arch9wavefront6targetE1EEEvT1_
; %bb.0:
	.section	.rodata,"a",@progbits
	.p2align	6, 0x0
	.amdhsa_kernel _ZN7rocprim17ROCPRIM_400000_NS6detail17trampoline_kernelINS0_14default_configENS1_25partition_config_selectorILNS1_17partition_subalgoE8ElNS0_10empty_typeEbEEZZNS1_14partition_implILS5_8ELb0ES3_jPlPS6_PKS6_NS0_5tupleIJS9_S6_EEENSD_IJSA_SA_EEENS0_18inequality_wrapperIZN2at6native12_GLOBAL__N_124unique_dim_cuda_templateIsEESt5tupleIJNSH_6TensorESM_SM_EERKSM_lbbbEUlllE0_EEPmJS6_EEE10hipError_tPvRmT3_T4_T5_T6_T7_T9_mT8_P12ihipStream_tbDpT10_ENKUlT_T0_E_clISt17integral_constantIbLb0EES1B_IbLb1EEEEDaS17_S18_EUlS17_E_NS1_11comp_targetILNS1_3genE9ELNS1_11target_archE1100ELNS1_3gpuE3ELNS1_3repE0EEENS1_30default_config_static_selectorELNS0_4arch9wavefront6targetE1EEEvT1_
		.amdhsa_group_segment_fixed_size 0
		.amdhsa_private_segment_fixed_size 0
		.amdhsa_kernarg_size 136
		.amdhsa_user_sgpr_count 6
		.amdhsa_user_sgpr_private_segment_buffer 1
		.amdhsa_user_sgpr_dispatch_ptr 0
		.amdhsa_user_sgpr_queue_ptr 0
		.amdhsa_user_sgpr_kernarg_segment_ptr 1
		.amdhsa_user_sgpr_dispatch_id 0
		.amdhsa_user_sgpr_flat_scratch_init 0
		.amdhsa_user_sgpr_kernarg_preload_length 0
		.amdhsa_user_sgpr_kernarg_preload_offset 0
		.amdhsa_user_sgpr_private_segment_size 0
		.amdhsa_uses_dynamic_stack 0
		.amdhsa_system_sgpr_private_segment_wavefront_offset 0
		.amdhsa_system_sgpr_workgroup_id_x 1
		.amdhsa_system_sgpr_workgroup_id_y 0
		.amdhsa_system_sgpr_workgroup_id_z 0
		.amdhsa_system_sgpr_workgroup_info 0
		.amdhsa_system_vgpr_workitem_id 0
		.amdhsa_next_free_vgpr 1
		.amdhsa_next_free_sgpr 0
		.amdhsa_accum_offset 4
		.amdhsa_reserve_vcc 0
		.amdhsa_reserve_flat_scratch 0
		.amdhsa_float_round_mode_32 0
		.amdhsa_float_round_mode_16_64 0
		.amdhsa_float_denorm_mode_32 3
		.amdhsa_float_denorm_mode_16_64 3
		.amdhsa_dx10_clamp 1
		.amdhsa_ieee_mode 1
		.amdhsa_fp16_overflow 0
		.amdhsa_tg_split 0
		.amdhsa_exception_fp_ieee_invalid_op 0
		.amdhsa_exception_fp_denorm_src 0
		.amdhsa_exception_fp_ieee_div_zero 0
		.amdhsa_exception_fp_ieee_overflow 0
		.amdhsa_exception_fp_ieee_underflow 0
		.amdhsa_exception_fp_ieee_inexact 0
		.amdhsa_exception_int_div_zero 0
	.end_amdhsa_kernel
	.section	.text._ZN7rocprim17ROCPRIM_400000_NS6detail17trampoline_kernelINS0_14default_configENS1_25partition_config_selectorILNS1_17partition_subalgoE8ElNS0_10empty_typeEbEEZZNS1_14partition_implILS5_8ELb0ES3_jPlPS6_PKS6_NS0_5tupleIJS9_S6_EEENSD_IJSA_SA_EEENS0_18inequality_wrapperIZN2at6native12_GLOBAL__N_124unique_dim_cuda_templateIsEESt5tupleIJNSH_6TensorESM_SM_EERKSM_lbbbEUlllE0_EEPmJS6_EEE10hipError_tPvRmT3_T4_T5_T6_T7_T9_mT8_P12ihipStream_tbDpT10_ENKUlT_T0_E_clISt17integral_constantIbLb0EES1B_IbLb1EEEEDaS17_S18_EUlS17_E_NS1_11comp_targetILNS1_3genE9ELNS1_11target_archE1100ELNS1_3gpuE3ELNS1_3repE0EEENS1_30default_config_static_selectorELNS0_4arch9wavefront6targetE1EEEvT1_,"axG",@progbits,_ZN7rocprim17ROCPRIM_400000_NS6detail17trampoline_kernelINS0_14default_configENS1_25partition_config_selectorILNS1_17partition_subalgoE8ElNS0_10empty_typeEbEEZZNS1_14partition_implILS5_8ELb0ES3_jPlPS6_PKS6_NS0_5tupleIJS9_S6_EEENSD_IJSA_SA_EEENS0_18inequality_wrapperIZN2at6native12_GLOBAL__N_124unique_dim_cuda_templateIsEESt5tupleIJNSH_6TensorESM_SM_EERKSM_lbbbEUlllE0_EEPmJS6_EEE10hipError_tPvRmT3_T4_T5_T6_T7_T9_mT8_P12ihipStream_tbDpT10_ENKUlT_T0_E_clISt17integral_constantIbLb0EES1B_IbLb1EEEEDaS17_S18_EUlS17_E_NS1_11comp_targetILNS1_3genE9ELNS1_11target_archE1100ELNS1_3gpuE3ELNS1_3repE0EEENS1_30default_config_static_selectorELNS0_4arch9wavefront6targetE1EEEvT1_,comdat
.Lfunc_end715:
	.size	_ZN7rocprim17ROCPRIM_400000_NS6detail17trampoline_kernelINS0_14default_configENS1_25partition_config_selectorILNS1_17partition_subalgoE8ElNS0_10empty_typeEbEEZZNS1_14partition_implILS5_8ELb0ES3_jPlPS6_PKS6_NS0_5tupleIJS9_S6_EEENSD_IJSA_SA_EEENS0_18inequality_wrapperIZN2at6native12_GLOBAL__N_124unique_dim_cuda_templateIsEESt5tupleIJNSH_6TensorESM_SM_EERKSM_lbbbEUlllE0_EEPmJS6_EEE10hipError_tPvRmT3_T4_T5_T6_T7_T9_mT8_P12ihipStream_tbDpT10_ENKUlT_T0_E_clISt17integral_constantIbLb0EES1B_IbLb1EEEEDaS17_S18_EUlS17_E_NS1_11comp_targetILNS1_3genE9ELNS1_11target_archE1100ELNS1_3gpuE3ELNS1_3repE0EEENS1_30default_config_static_selectorELNS0_4arch9wavefront6targetE1EEEvT1_, .Lfunc_end715-_ZN7rocprim17ROCPRIM_400000_NS6detail17trampoline_kernelINS0_14default_configENS1_25partition_config_selectorILNS1_17partition_subalgoE8ElNS0_10empty_typeEbEEZZNS1_14partition_implILS5_8ELb0ES3_jPlPS6_PKS6_NS0_5tupleIJS9_S6_EEENSD_IJSA_SA_EEENS0_18inequality_wrapperIZN2at6native12_GLOBAL__N_124unique_dim_cuda_templateIsEESt5tupleIJNSH_6TensorESM_SM_EERKSM_lbbbEUlllE0_EEPmJS6_EEE10hipError_tPvRmT3_T4_T5_T6_T7_T9_mT8_P12ihipStream_tbDpT10_ENKUlT_T0_E_clISt17integral_constantIbLb0EES1B_IbLb1EEEEDaS17_S18_EUlS17_E_NS1_11comp_targetILNS1_3genE9ELNS1_11target_archE1100ELNS1_3gpuE3ELNS1_3repE0EEENS1_30default_config_static_selectorELNS0_4arch9wavefront6targetE1EEEvT1_
                                        ; -- End function
	.section	.AMDGPU.csdata,"",@progbits
; Kernel info:
; codeLenInByte = 0
; NumSgprs: 4
; NumVgprs: 0
; NumAgprs: 0
; TotalNumVgprs: 0
; ScratchSize: 0
; MemoryBound: 0
; FloatMode: 240
; IeeeMode: 1
; LDSByteSize: 0 bytes/workgroup (compile time only)
; SGPRBlocks: 0
; VGPRBlocks: 0
; NumSGPRsForWavesPerEU: 4
; NumVGPRsForWavesPerEU: 1
; AccumOffset: 4
; Occupancy: 8
; WaveLimiterHint : 0
; COMPUTE_PGM_RSRC2:SCRATCH_EN: 0
; COMPUTE_PGM_RSRC2:USER_SGPR: 6
; COMPUTE_PGM_RSRC2:TRAP_HANDLER: 0
; COMPUTE_PGM_RSRC2:TGID_X_EN: 1
; COMPUTE_PGM_RSRC2:TGID_Y_EN: 0
; COMPUTE_PGM_RSRC2:TGID_Z_EN: 0
; COMPUTE_PGM_RSRC2:TIDIG_COMP_CNT: 0
; COMPUTE_PGM_RSRC3_GFX90A:ACCUM_OFFSET: 0
; COMPUTE_PGM_RSRC3_GFX90A:TG_SPLIT: 0
	.section	.text._ZN7rocprim17ROCPRIM_400000_NS6detail17trampoline_kernelINS0_14default_configENS1_25partition_config_selectorILNS1_17partition_subalgoE8ElNS0_10empty_typeEbEEZZNS1_14partition_implILS5_8ELb0ES3_jPlPS6_PKS6_NS0_5tupleIJS9_S6_EEENSD_IJSA_SA_EEENS0_18inequality_wrapperIZN2at6native12_GLOBAL__N_124unique_dim_cuda_templateIsEESt5tupleIJNSH_6TensorESM_SM_EERKSM_lbbbEUlllE0_EEPmJS6_EEE10hipError_tPvRmT3_T4_T5_T6_T7_T9_mT8_P12ihipStream_tbDpT10_ENKUlT_T0_E_clISt17integral_constantIbLb0EES1B_IbLb1EEEEDaS17_S18_EUlS17_E_NS1_11comp_targetILNS1_3genE8ELNS1_11target_archE1030ELNS1_3gpuE2ELNS1_3repE0EEENS1_30default_config_static_selectorELNS0_4arch9wavefront6targetE1EEEvT1_,"axG",@progbits,_ZN7rocprim17ROCPRIM_400000_NS6detail17trampoline_kernelINS0_14default_configENS1_25partition_config_selectorILNS1_17partition_subalgoE8ElNS0_10empty_typeEbEEZZNS1_14partition_implILS5_8ELb0ES3_jPlPS6_PKS6_NS0_5tupleIJS9_S6_EEENSD_IJSA_SA_EEENS0_18inequality_wrapperIZN2at6native12_GLOBAL__N_124unique_dim_cuda_templateIsEESt5tupleIJNSH_6TensorESM_SM_EERKSM_lbbbEUlllE0_EEPmJS6_EEE10hipError_tPvRmT3_T4_T5_T6_T7_T9_mT8_P12ihipStream_tbDpT10_ENKUlT_T0_E_clISt17integral_constantIbLb0EES1B_IbLb1EEEEDaS17_S18_EUlS17_E_NS1_11comp_targetILNS1_3genE8ELNS1_11target_archE1030ELNS1_3gpuE2ELNS1_3repE0EEENS1_30default_config_static_selectorELNS0_4arch9wavefront6targetE1EEEvT1_,comdat
	.globl	_ZN7rocprim17ROCPRIM_400000_NS6detail17trampoline_kernelINS0_14default_configENS1_25partition_config_selectorILNS1_17partition_subalgoE8ElNS0_10empty_typeEbEEZZNS1_14partition_implILS5_8ELb0ES3_jPlPS6_PKS6_NS0_5tupleIJS9_S6_EEENSD_IJSA_SA_EEENS0_18inequality_wrapperIZN2at6native12_GLOBAL__N_124unique_dim_cuda_templateIsEESt5tupleIJNSH_6TensorESM_SM_EERKSM_lbbbEUlllE0_EEPmJS6_EEE10hipError_tPvRmT3_T4_T5_T6_T7_T9_mT8_P12ihipStream_tbDpT10_ENKUlT_T0_E_clISt17integral_constantIbLb0EES1B_IbLb1EEEEDaS17_S18_EUlS17_E_NS1_11comp_targetILNS1_3genE8ELNS1_11target_archE1030ELNS1_3gpuE2ELNS1_3repE0EEENS1_30default_config_static_selectorELNS0_4arch9wavefront6targetE1EEEvT1_ ; -- Begin function _ZN7rocprim17ROCPRIM_400000_NS6detail17trampoline_kernelINS0_14default_configENS1_25partition_config_selectorILNS1_17partition_subalgoE8ElNS0_10empty_typeEbEEZZNS1_14partition_implILS5_8ELb0ES3_jPlPS6_PKS6_NS0_5tupleIJS9_S6_EEENSD_IJSA_SA_EEENS0_18inequality_wrapperIZN2at6native12_GLOBAL__N_124unique_dim_cuda_templateIsEESt5tupleIJNSH_6TensorESM_SM_EERKSM_lbbbEUlllE0_EEPmJS6_EEE10hipError_tPvRmT3_T4_T5_T6_T7_T9_mT8_P12ihipStream_tbDpT10_ENKUlT_T0_E_clISt17integral_constantIbLb0EES1B_IbLb1EEEEDaS17_S18_EUlS17_E_NS1_11comp_targetILNS1_3genE8ELNS1_11target_archE1030ELNS1_3gpuE2ELNS1_3repE0EEENS1_30default_config_static_selectorELNS0_4arch9wavefront6targetE1EEEvT1_
	.p2align	8
	.type	_ZN7rocprim17ROCPRIM_400000_NS6detail17trampoline_kernelINS0_14default_configENS1_25partition_config_selectorILNS1_17partition_subalgoE8ElNS0_10empty_typeEbEEZZNS1_14partition_implILS5_8ELb0ES3_jPlPS6_PKS6_NS0_5tupleIJS9_S6_EEENSD_IJSA_SA_EEENS0_18inequality_wrapperIZN2at6native12_GLOBAL__N_124unique_dim_cuda_templateIsEESt5tupleIJNSH_6TensorESM_SM_EERKSM_lbbbEUlllE0_EEPmJS6_EEE10hipError_tPvRmT3_T4_T5_T6_T7_T9_mT8_P12ihipStream_tbDpT10_ENKUlT_T0_E_clISt17integral_constantIbLb0EES1B_IbLb1EEEEDaS17_S18_EUlS17_E_NS1_11comp_targetILNS1_3genE8ELNS1_11target_archE1030ELNS1_3gpuE2ELNS1_3repE0EEENS1_30default_config_static_selectorELNS0_4arch9wavefront6targetE1EEEvT1_,@function
_ZN7rocprim17ROCPRIM_400000_NS6detail17trampoline_kernelINS0_14default_configENS1_25partition_config_selectorILNS1_17partition_subalgoE8ElNS0_10empty_typeEbEEZZNS1_14partition_implILS5_8ELb0ES3_jPlPS6_PKS6_NS0_5tupleIJS9_S6_EEENSD_IJSA_SA_EEENS0_18inequality_wrapperIZN2at6native12_GLOBAL__N_124unique_dim_cuda_templateIsEESt5tupleIJNSH_6TensorESM_SM_EERKSM_lbbbEUlllE0_EEPmJS6_EEE10hipError_tPvRmT3_T4_T5_T6_T7_T9_mT8_P12ihipStream_tbDpT10_ENKUlT_T0_E_clISt17integral_constantIbLb0EES1B_IbLb1EEEEDaS17_S18_EUlS17_E_NS1_11comp_targetILNS1_3genE8ELNS1_11target_archE1030ELNS1_3gpuE2ELNS1_3repE0EEENS1_30default_config_static_selectorELNS0_4arch9wavefront6targetE1EEEvT1_: ; @_ZN7rocprim17ROCPRIM_400000_NS6detail17trampoline_kernelINS0_14default_configENS1_25partition_config_selectorILNS1_17partition_subalgoE8ElNS0_10empty_typeEbEEZZNS1_14partition_implILS5_8ELb0ES3_jPlPS6_PKS6_NS0_5tupleIJS9_S6_EEENSD_IJSA_SA_EEENS0_18inequality_wrapperIZN2at6native12_GLOBAL__N_124unique_dim_cuda_templateIsEESt5tupleIJNSH_6TensorESM_SM_EERKSM_lbbbEUlllE0_EEPmJS6_EEE10hipError_tPvRmT3_T4_T5_T6_T7_T9_mT8_P12ihipStream_tbDpT10_ENKUlT_T0_E_clISt17integral_constantIbLb0EES1B_IbLb1EEEEDaS17_S18_EUlS17_E_NS1_11comp_targetILNS1_3genE8ELNS1_11target_archE1030ELNS1_3gpuE2ELNS1_3repE0EEENS1_30default_config_static_selectorELNS0_4arch9wavefront6targetE1EEEvT1_
; %bb.0:
	.section	.rodata,"a",@progbits
	.p2align	6, 0x0
	.amdhsa_kernel _ZN7rocprim17ROCPRIM_400000_NS6detail17trampoline_kernelINS0_14default_configENS1_25partition_config_selectorILNS1_17partition_subalgoE8ElNS0_10empty_typeEbEEZZNS1_14partition_implILS5_8ELb0ES3_jPlPS6_PKS6_NS0_5tupleIJS9_S6_EEENSD_IJSA_SA_EEENS0_18inequality_wrapperIZN2at6native12_GLOBAL__N_124unique_dim_cuda_templateIsEESt5tupleIJNSH_6TensorESM_SM_EERKSM_lbbbEUlllE0_EEPmJS6_EEE10hipError_tPvRmT3_T4_T5_T6_T7_T9_mT8_P12ihipStream_tbDpT10_ENKUlT_T0_E_clISt17integral_constantIbLb0EES1B_IbLb1EEEEDaS17_S18_EUlS17_E_NS1_11comp_targetILNS1_3genE8ELNS1_11target_archE1030ELNS1_3gpuE2ELNS1_3repE0EEENS1_30default_config_static_selectorELNS0_4arch9wavefront6targetE1EEEvT1_
		.amdhsa_group_segment_fixed_size 0
		.amdhsa_private_segment_fixed_size 0
		.amdhsa_kernarg_size 136
		.amdhsa_user_sgpr_count 6
		.amdhsa_user_sgpr_private_segment_buffer 1
		.amdhsa_user_sgpr_dispatch_ptr 0
		.amdhsa_user_sgpr_queue_ptr 0
		.amdhsa_user_sgpr_kernarg_segment_ptr 1
		.amdhsa_user_sgpr_dispatch_id 0
		.amdhsa_user_sgpr_flat_scratch_init 0
		.amdhsa_user_sgpr_kernarg_preload_length 0
		.amdhsa_user_sgpr_kernarg_preload_offset 0
		.amdhsa_user_sgpr_private_segment_size 0
		.amdhsa_uses_dynamic_stack 0
		.amdhsa_system_sgpr_private_segment_wavefront_offset 0
		.amdhsa_system_sgpr_workgroup_id_x 1
		.amdhsa_system_sgpr_workgroup_id_y 0
		.amdhsa_system_sgpr_workgroup_id_z 0
		.amdhsa_system_sgpr_workgroup_info 0
		.amdhsa_system_vgpr_workitem_id 0
		.amdhsa_next_free_vgpr 1
		.amdhsa_next_free_sgpr 0
		.amdhsa_accum_offset 4
		.amdhsa_reserve_vcc 0
		.amdhsa_reserve_flat_scratch 0
		.amdhsa_float_round_mode_32 0
		.amdhsa_float_round_mode_16_64 0
		.amdhsa_float_denorm_mode_32 3
		.amdhsa_float_denorm_mode_16_64 3
		.amdhsa_dx10_clamp 1
		.amdhsa_ieee_mode 1
		.amdhsa_fp16_overflow 0
		.amdhsa_tg_split 0
		.amdhsa_exception_fp_ieee_invalid_op 0
		.amdhsa_exception_fp_denorm_src 0
		.amdhsa_exception_fp_ieee_div_zero 0
		.amdhsa_exception_fp_ieee_overflow 0
		.amdhsa_exception_fp_ieee_underflow 0
		.amdhsa_exception_fp_ieee_inexact 0
		.amdhsa_exception_int_div_zero 0
	.end_amdhsa_kernel
	.section	.text._ZN7rocprim17ROCPRIM_400000_NS6detail17trampoline_kernelINS0_14default_configENS1_25partition_config_selectorILNS1_17partition_subalgoE8ElNS0_10empty_typeEbEEZZNS1_14partition_implILS5_8ELb0ES3_jPlPS6_PKS6_NS0_5tupleIJS9_S6_EEENSD_IJSA_SA_EEENS0_18inequality_wrapperIZN2at6native12_GLOBAL__N_124unique_dim_cuda_templateIsEESt5tupleIJNSH_6TensorESM_SM_EERKSM_lbbbEUlllE0_EEPmJS6_EEE10hipError_tPvRmT3_T4_T5_T6_T7_T9_mT8_P12ihipStream_tbDpT10_ENKUlT_T0_E_clISt17integral_constantIbLb0EES1B_IbLb1EEEEDaS17_S18_EUlS17_E_NS1_11comp_targetILNS1_3genE8ELNS1_11target_archE1030ELNS1_3gpuE2ELNS1_3repE0EEENS1_30default_config_static_selectorELNS0_4arch9wavefront6targetE1EEEvT1_,"axG",@progbits,_ZN7rocprim17ROCPRIM_400000_NS6detail17trampoline_kernelINS0_14default_configENS1_25partition_config_selectorILNS1_17partition_subalgoE8ElNS0_10empty_typeEbEEZZNS1_14partition_implILS5_8ELb0ES3_jPlPS6_PKS6_NS0_5tupleIJS9_S6_EEENSD_IJSA_SA_EEENS0_18inequality_wrapperIZN2at6native12_GLOBAL__N_124unique_dim_cuda_templateIsEESt5tupleIJNSH_6TensorESM_SM_EERKSM_lbbbEUlllE0_EEPmJS6_EEE10hipError_tPvRmT3_T4_T5_T6_T7_T9_mT8_P12ihipStream_tbDpT10_ENKUlT_T0_E_clISt17integral_constantIbLb0EES1B_IbLb1EEEEDaS17_S18_EUlS17_E_NS1_11comp_targetILNS1_3genE8ELNS1_11target_archE1030ELNS1_3gpuE2ELNS1_3repE0EEENS1_30default_config_static_selectorELNS0_4arch9wavefront6targetE1EEEvT1_,comdat
.Lfunc_end716:
	.size	_ZN7rocprim17ROCPRIM_400000_NS6detail17trampoline_kernelINS0_14default_configENS1_25partition_config_selectorILNS1_17partition_subalgoE8ElNS0_10empty_typeEbEEZZNS1_14partition_implILS5_8ELb0ES3_jPlPS6_PKS6_NS0_5tupleIJS9_S6_EEENSD_IJSA_SA_EEENS0_18inequality_wrapperIZN2at6native12_GLOBAL__N_124unique_dim_cuda_templateIsEESt5tupleIJNSH_6TensorESM_SM_EERKSM_lbbbEUlllE0_EEPmJS6_EEE10hipError_tPvRmT3_T4_T5_T6_T7_T9_mT8_P12ihipStream_tbDpT10_ENKUlT_T0_E_clISt17integral_constantIbLb0EES1B_IbLb1EEEEDaS17_S18_EUlS17_E_NS1_11comp_targetILNS1_3genE8ELNS1_11target_archE1030ELNS1_3gpuE2ELNS1_3repE0EEENS1_30default_config_static_selectorELNS0_4arch9wavefront6targetE1EEEvT1_, .Lfunc_end716-_ZN7rocprim17ROCPRIM_400000_NS6detail17trampoline_kernelINS0_14default_configENS1_25partition_config_selectorILNS1_17partition_subalgoE8ElNS0_10empty_typeEbEEZZNS1_14partition_implILS5_8ELb0ES3_jPlPS6_PKS6_NS0_5tupleIJS9_S6_EEENSD_IJSA_SA_EEENS0_18inequality_wrapperIZN2at6native12_GLOBAL__N_124unique_dim_cuda_templateIsEESt5tupleIJNSH_6TensorESM_SM_EERKSM_lbbbEUlllE0_EEPmJS6_EEE10hipError_tPvRmT3_T4_T5_T6_T7_T9_mT8_P12ihipStream_tbDpT10_ENKUlT_T0_E_clISt17integral_constantIbLb0EES1B_IbLb1EEEEDaS17_S18_EUlS17_E_NS1_11comp_targetILNS1_3genE8ELNS1_11target_archE1030ELNS1_3gpuE2ELNS1_3repE0EEENS1_30default_config_static_selectorELNS0_4arch9wavefront6targetE1EEEvT1_
                                        ; -- End function
	.section	.AMDGPU.csdata,"",@progbits
; Kernel info:
; codeLenInByte = 0
; NumSgprs: 4
; NumVgprs: 0
; NumAgprs: 0
; TotalNumVgprs: 0
; ScratchSize: 0
; MemoryBound: 0
; FloatMode: 240
; IeeeMode: 1
; LDSByteSize: 0 bytes/workgroup (compile time only)
; SGPRBlocks: 0
; VGPRBlocks: 0
; NumSGPRsForWavesPerEU: 4
; NumVGPRsForWavesPerEU: 1
; AccumOffset: 4
; Occupancy: 8
; WaveLimiterHint : 0
; COMPUTE_PGM_RSRC2:SCRATCH_EN: 0
; COMPUTE_PGM_RSRC2:USER_SGPR: 6
; COMPUTE_PGM_RSRC2:TRAP_HANDLER: 0
; COMPUTE_PGM_RSRC2:TGID_X_EN: 1
; COMPUTE_PGM_RSRC2:TGID_Y_EN: 0
; COMPUTE_PGM_RSRC2:TGID_Z_EN: 0
; COMPUTE_PGM_RSRC2:TIDIG_COMP_CNT: 0
; COMPUTE_PGM_RSRC3_GFX90A:ACCUM_OFFSET: 0
; COMPUTE_PGM_RSRC3_GFX90A:TG_SPLIT: 0
	.section	.text._ZN7rocprim17ROCPRIM_400000_NS6detail17trampoline_kernelINS0_14default_configENS1_25partition_config_selectorILNS1_17partition_subalgoE9EllbEEZZNS1_14partition_implILS5_9ELb0ES3_jPlS8_PNS0_10empty_typeENS0_5tupleIJS8_S9_EEENSB_IJS8_SA_EEENS0_18inequality_wrapperIZN2at6native12_GLOBAL__N_124unique_dim_cuda_templateIsEESt5tupleIJNSF_6TensorESK_SK_EERKSK_lbbbEUlllE0_EEPmJS9_EEE10hipError_tPvRmT3_T4_T5_T6_T7_T9_mT8_P12ihipStream_tbDpT10_ENKUlT_T0_E_clISt17integral_constantIbLb0EES1A_EEDaS15_S16_EUlS15_E_NS1_11comp_targetILNS1_3genE0ELNS1_11target_archE4294967295ELNS1_3gpuE0ELNS1_3repE0EEENS1_30default_config_static_selectorELNS0_4arch9wavefront6targetE1EEEvT1_,"axG",@progbits,_ZN7rocprim17ROCPRIM_400000_NS6detail17trampoline_kernelINS0_14default_configENS1_25partition_config_selectorILNS1_17partition_subalgoE9EllbEEZZNS1_14partition_implILS5_9ELb0ES3_jPlS8_PNS0_10empty_typeENS0_5tupleIJS8_S9_EEENSB_IJS8_SA_EEENS0_18inequality_wrapperIZN2at6native12_GLOBAL__N_124unique_dim_cuda_templateIsEESt5tupleIJNSF_6TensorESK_SK_EERKSK_lbbbEUlllE0_EEPmJS9_EEE10hipError_tPvRmT3_T4_T5_T6_T7_T9_mT8_P12ihipStream_tbDpT10_ENKUlT_T0_E_clISt17integral_constantIbLb0EES1A_EEDaS15_S16_EUlS15_E_NS1_11comp_targetILNS1_3genE0ELNS1_11target_archE4294967295ELNS1_3gpuE0ELNS1_3repE0EEENS1_30default_config_static_selectorELNS0_4arch9wavefront6targetE1EEEvT1_,comdat
	.globl	_ZN7rocprim17ROCPRIM_400000_NS6detail17trampoline_kernelINS0_14default_configENS1_25partition_config_selectorILNS1_17partition_subalgoE9EllbEEZZNS1_14partition_implILS5_9ELb0ES3_jPlS8_PNS0_10empty_typeENS0_5tupleIJS8_S9_EEENSB_IJS8_SA_EEENS0_18inequality_wrapperIZN2at6native12_GLOBAL__N_124unique_dim_cuda_templateIsEESt5tupleIJNSF_6TensorESK_SK_EERKSK_lbbbEUlllE0_EEPmJS9_EEE10hipError_tPvRmT3_T4_T5_T6_T7_T9_mT8_P12ihipStream_tbDpT10_ENKUlT_T0_E_clISt17integral_constantIbLb0EES1A_EEDaS15_S16_EUlS15_E_NS1_11comp_targetILNS1_3genE0ELNS1_11target_archE4294967295ELNS1_3gpuE0ELNS1_3repE0EEENS1_30default_config_static_selectorELNS0_4arch9wavefront6targetE1EEEvT1_ ; -- Begin function _ZN7rocprim17ROCPRIM_400000_NS6detail17trampoline_kernelINS0_14default_configENS1_25partition_config_selectorILNS1_17partition_subalgoE9EllbEEZZNS1_14partition_implILS5_9ELb0ES3_jPlS8_PNS0_10empty_typeENS0_5tupleIJS8_S9_EEENSB_IJS8_SA_EEENS0_18inequality_wrapperIZN2at6native12_GLOBAL__N_124unique_dim_cuda_templateIsEESt5tupleIJNSF_6TensorESK_SK_EERKSK_lbbbEUlllE0_EEPmJS9_EEE10hipError_tPvRmT3_T4_T5_T6_T7_T9_mT8_P12ihipStream_tbDpT10_ENKUlT_T0_E_clISt17integral_constantIbLb0EES1A_EEDaS15_S16_EUlS15_E_NS1_11comp_targetILNS1_3genE0ELNS1_11target_archE4294967295ELNS1_3gpuE0ELNS1_3repE0EEENS1_30default_config_static_selectorELNS0_4arch9wavefront6targetE1EEEvT1_
	.p2align	8
	.type	_ZN7rocprim17ROCPRIM_400000_NS6detail17trampoline_kernelINS0_14default_configENS1_25partition_config_selectorILNS1_17partition_subalgoE9EllbEEZZNS1_14partition_implILS5_9ELb0ES3_jPlS8_PNS0_10empty_typeENS0_5tupleIJS8_S9_EEENSB_IJS8_SA_EEENS0_18inequality_wrapperIZN2at6native12_GLOBAL__N_124unique_dim_cuda_templateIsEESt5tupleIJNSF_6TensorESK_SK_EERKSK_lbbbEUlllE0_EEPmJS9_EEE10hipError_tPvRmT3_T4_T5_T6_T7_T9_mT8_P12ihipStream_tbDpT10_ENKUlT_T0_E_clISt17integral_constantIbLb0EES1A_EEDaS15_S16_EUlS15_E_NS1_11comp_targetILNS1_3genE0ELNS1_11target_archE4294967295ELNS1_3gpuE0ELNS1_3repE0EEENS1_30default_config_static_selectorELNS0_4arch9wavefront6targetE1EEEvT1_,@function
_ZN7rocprim17ROCPRIM_400000_NS6detail17trampoline_kernelINS0_14default_configENS1_25partition_config_selectorILNS1_17partition_subalgoE9EllbEEZZNS1_14partition_implILS5_9ELb0ES3_jPlS8_PNS0_10empty_typeENS0_5tupleIJS8_S9_EEENSB_IJS8_SA_EEENS0_18inequality_wrapperIZN2at6native12_GLOBAL__N_124unique_dim_cuda_templateIsEESt5tupleIJNSF_6TensorESK_SK_EERKSK_lbbbEUlllE0_EEPmJS9_EEE10hipError_tPvRmT3_T4_T5_T6_T7_T9_mT8_P12ihipStream_tbDpT10_ENKUlT_T0_E_clISt17integral_constantIbLb0EES1A_EEDaS15_S16_EUlS15_E_NS1_11comp_targetILNS1_3genE0ELNS1_11target_archE4294967295ELNS1_3gpuE0ELNS1_3repE0EEENS1_30default_config_static_selectorELNS0_4arch9wavefront6targetE1EEEvT1_: ; @_ZN7rocprim17ROCPRIM_400000_NS6detail17trampoline_kernelINS0_14default_configENS1_25partition_config_selectorILNS1_17partition_subalgoE9EllbEEZZNS1_14partition_implILS5_9ELb0ES3_jPlS8_PNS0_10empty_typeENS0_5tupleIJS8_S9_EEENSB_IJS8_SA_EEENS0_18inequality_wrapperIZN2at6native12_GLOBAL__N_124unique_dim_cuda_templateIsEESt5tupleIJNSF_6TensorESK_SK_EERKSK_lbbbEUlllE0_EEPmJS9_EEE10hipError_tPvRmT3_T4_T5_T6_T7_T9_mT8_P12ihipStream_tbDpT10_ENKUlT_T0_E_clISt17integral_constantIbLb0EES1A_EEDaS15_S16_EUlS15_E_NS1_11comp_targetILNS1_3genE0ELNS1_11target_archE4294967295ELNS1_3gpuE0ELNS1_3repE0EEENS1_30default_config_static_selectorELNS0_4arch9wavefront6targetE1EEEvT1_
; %bb.0:
	.section	.rodata,"a",@progbits
	.p2align	6, 0x0
	.amdhsa_kernel _ZN7rocprim17ROCPRIM_400000_NS6detail17trampoline_kernelINS0_14default_configENS1_25partition_config_selectorILNS1_17partition_subalgoE9EllbEEZZNS1_14partition_implILS5_9ELb0ES3_jPlS8_PNS0_10empty_typeENS0_5tupleIJS8_S9_EEENSB_IJS8_SA_EEENS0_18inequality_wrapperIZN2at6native12_GLOBAL__N_124unique_dim_cuda_templateIsEESt5tupleIJNSF_6TensorESK_SK_EERKSK_lbbbEUlllE0_EEPmJS9_EEE10hipError_tPvRmT3_T4_T5_T6_T7_T9_mT8_P12ihipStream_tbDpT10_ENKUlT_T0_E_clISt17integral_constantIbLb0EES1A_EEDaS15_S16_EUlS15_E_NS1_11comp_targetILNS1_3genE0ELNS1_11target_archE4294967295ELNS1_3gpuE0ELNS1_3repE0EEENS1_30default_config_static_selectorELNS0_4arch9wavefront6targetE1EEEvT1_
		.amdhsa_group_segment_fixed_size 0
		.amdhsa_private_segment_fixed_size 0
		.amdhsa_kernarg_size 120
		.amdhsa_user_sgpr_count 6
		.amdhsa_user_sgpr_private_segment_buffer 1
		.amdhsa_user_sgpr_dispatch_ptr 0
		.amdhsa_user_sgpr_queue_ptr 0
		.amdhsa_user_sgpr_kernarg_segment_ptr 1
		.amdhsa_user_sgpr_dispatch_id 0
		.amdhsa_user_sgpr_flat_scratch_init 0
		.amdhsa_user_sgpr_kernarg_preload_length 0
		.amdhsa_user_sgpr_kernarg_preload_offset 0
		.amdhsa_user_sgpr_private_segment_size 0
		.amdhsa_uses_dynamic_stack 0
		.amdhsa_system_sgpr_private_segment_wavefront_offset 0
		.amdhsa_system_sgpr_workgroup_id_x 1
		.amdhsa_system_sgpr_workgroup_id_y 0
		.amdhsa_system_sgpr_workgroup_id_z 0
		.amdhsa_system_sgpr_workgroup_info 0
		.amdhsa_system_vgpr_workitem_id 0
		.amdhsa_next_free_vgpr 1
		.amdhsa_next_free_sgpr 0
		.amdhsa_accum_offset 4
		.amdhsa_reserve_vcc 0
		.amdhsa_reserve_flat_scratch 0
		.amdhsa_float_round_mode_32 0
		.amdhsa_float_round_mode_16_64 0
		.amdhsa_float_denorm_mode_32 3
		.amdhsa_float_denorm_mode_16_64 3
		.amdhsa_dx10_clamp 1
		.amdhsa_ieee_mode 1
		.amdhsa_fp16_overflow 0
		.amdhsa_tg_split 0
		.amdhsa_exception_fp_ieee_invalid_op 0
		.amdhsa_exception_fp_denorm_src 0
		.amdhsa_exception_fp_ieee_div_zero 0
		.amdhsa_exception_fp_ieee_overflow 0
		.amdhsa_exception_fp_ieee_underflow 0
		.amdhsa_exception_fp_ieee_inexact 0
		.amdhsa_exception_int_div_zero 0
	.end_amdhsa_kernel
	.section	.text._ZN7rocprim17ROCPRIM_400000_NS6detail17trampoline_kernelINS0_14default_configENS1_25partition_config_selectorILNS1_17partition_subalgoE9EllbEEZZNS1_14partition_implILS5_9ELb0ES3_jPlS8_PNS0_10empty_typeENS0_5tupleIJS8_S9_EEENSB_IJS8_SA_EEENS0_18inequality_wrapperIZN2at6native12_GLOBAL__N_124unique_dim_cuda_templateIsEESt5tupleIJNSF_6TensorESK_SK_EERKSK_lbbbEUlllE0_EEPmJS9_EEE10hipError_tPvRmT3_T4_T5_T6_T7_T9_mT8_P12ihipStream_tbDpT10_ENKUlT_T0_E_clISt17integral_constantIbLb0EES1A_EEDaS15_S16_EUlS15_E_NS1_11comp_targetILNS1_3genE0ELNS1_11target_archE4294967295ELNS1_3gpuE0ELNS1_3repE0EEENS1_30default_config_static_selectorELNS0_4arch9wavefront6targetE1EEEvT1_,"axG",@progbits,_ZN7rocprim17ROCPRIM_400000_NS6detail17trampoline_kernelINS0_14default_configENS1_25partition_config_selectorILNS1_17partition_subalgoE9EllbEEZZNS1_14partition_implILS5_9ELb0ES3_jPlS8_PNS0_10empty_typeENS0_5tupleIJS8_S9_EEENSB_IJS8_SA_EEENS0_18inequality_wrapperIZN2at6native12_GLOBAL__N_124unique_dim_cuda_templateIsEESt5tupleIJNSF_6TensorESK_SK_EERKSK_lbbbEUlllE0_EEPmJS9_EEE10hipError_tPvRmT3_T4_T5_T6_T7_T9_mT8_P12ihipStream_tbDpT10_ENKUlT_T0_E_clISt17integral_constantIbLb0EES1A_EEDaS15_S16_EUlS15_E_NS1_11comp_targetILNS1_3genE0ELNS1_11target_archE4294967295ELNS1_3gpuE0ELNS1_3repE0EEENS1_30default_config_static_selectorELNS0_4arch9wavefront6targetE1EEEvT1_,comdat
.Lfunc_end717:
	.size	_ZN7rocprim17ROCPRIM_400000_NS6detail17trampoline_kernelINS0_14default_configENS1_25partition_config_selectorILNS1_17partition_subalgoE9EllbEEZZNS1_14partition_implILS5_9ELb0ES3_jPlS8_PNS0_10empty_typeENS0_5tupleIJS8_S9_EEENSB_IJS8_SA_EEENS0_18inequality_wrapperIZN2at6native12_GLOBAL__N_124unique_dim_cuda_templateIsEESt5tupleIJNSF_6TensorESK_SK_EERKSK_lbbbEUlllE0_EEPmJS9_EEE10hipError_tPvRmT3_T4_T5_T6_T7_T9_mT8_P12ihipStream_tbDpT10_ENKUlT_T0_E_clISt17integral_constantIbLb0EES1A_EEDaS15_S16_EUlS15_E_NS1_11comp_targetILNS1_3genE0ELNS1_11target_archE4294967295ELNS1_3gpuE0ELNS1_3repE0EEENS1_30default_config_static_selectorELNS0_4arch9wavefront6targetE1EEEvT1_, .Lfunc_end717-_ZN7rocprim17ROCPRIM_400000_NS6detail17trampoline_kernelINS0_14default_configENS1_25partition_config_selectorILNS1_17partition_subalgoE9EllbEEZZNS1_14partition_implILS5_9ELb0ES3_jPlS8_PNS0_10empty_typeENS0_5tupleIJS8_S9_EEENSB_IJS8_SA_EEENS0_18inequality_wrapperIZN2at6native12_GLOBAL__N_124unique_dim_cuda_templateIsEESt5tupleIJNSF_6TensorESK_SK_EERKSK_lbbbEUlllE0_EEPmJS9_EEE10hipError_tPvRmT3_T4_T5_T6_T7_T9_mT8_P12ihipStream_tbDpT10_ENKUlT_T0_E_clISt17integral_constantIbLb0EES1A_EEDaS15_S16_EUlS15_E_NS1_11comp_targetILNS1_3genE0ELNS1_11target_archE4294967295ELNS1_3gpuE0ELNS1_3repE0EEENS1_30default_config_static_selectorELNS0_4arch9wavefront6targetE1EEEvT1_
                                        ; -- End function
	.section	.AMDGPU.csdata,"",@progbits
; Kernel info:
; codeLenInByte = 0
; NumSgprs: 4
; NumVgprs: 0
; NumAgprs: 0
; TotalNumVgprs: 0
; ScratchSize: 0
; MemoryBound: 0
; FloatMode: 240
; IeeeMode: 1
; LDSByteSize: 0 bytes/workgroup (compile time only)
; SGPRBlocks: 0
; VGPRBlocks: 0
; NumSGPRsForWavesPerEU: 4
; NumVGPRsForWavesPerEU: 1
; AccumOffset: 4
; Occupancy: 8
; WaveLimiterHint : 0
; COMPUTE_PGM_RSRC2:SCRATCH_EN: 0
; COMPUTE_PGM_RSRC2:USER_SGPR: 6
; COMPUTE_PGM_RSRC2:TRAP_HANDLER: 0
; COMPUTE_PGM_RSRC2:TGID_X_EN: 1
; COMPUTE_PGM_RSRC2:TGID_Y_EN: 0
; COMPUTE_PGM_RSRC2:TGID_Z_EN: 0
; COMPUTE_PGM_RSRC2:TIDIG_COMP_CNT: 0
; COMPUTE_PGM_RSRC3_GFX90A:ACCUM_OFFSET: 0
; COMPUTE_PGM_RSRC3_GFX90A:TG_SPLIT: 0
	.section	.text._ZN7rocprim17ROCPRIM_400000_NS6detail17trampoline_kernelINS0_14default_configENS1_25partition_config_selectorILNS1_17partition_subalgoE9EllbEEZZNS1_14partition_implILS5_9ELb0ES3_jPlS8_PNS0_10empty_typeENS0_5tupleIJS8_S9_EEENSB_IJS8_SA_EEENS0_18inequality_wrapperIZN2at6native12_GLOBAL__N_124unique_dim_cuda_templateIsEESt5tupleIJNSF_6TensorESK_SK_EERKSK_lbbbEUlllE0_EEPmJS9_EEE10hipError_tPvRmT3_T4_T5_T6_T7_T9_mT8_P12ihipStream_tbDpT10_ENKUlT_T0_E_clISt17integral_constantIbLb0EES1A_EEDaS15_S16_EUlS15_E_NS1_11comp_targetILNS1_3genE5ELNS1_11target_archE942ELNS1_3gpuE9ELNS1_3repE0EEENS1_30default_config_static_selectorELNS0_4arch9wavefront6targetE1EEEvT1_,"axG",@progbits,_ZN7rocprim17ROCPRIM_400000_NS6detail17trampoline_kernelINS0_14default_configENS1_25partition_config_selectorILNS1_17partition_subalgoE9EllbEEZZNS1_14partition_implILS5_9ELb0ES3_jPlS8_PNS0_10empty_typeENS0_5tupleIJS8_S9_EEENSB_IJS8_SA_EEENS0_18inequality_wrapperIZN2at6native12_GLOBAL__N_124unique_dim_cuda_templateIsEESt5tupleIJNSF_6TensorESK_SK_EERKSK_lbbbEUlllE0_EEPmJS9_EEE10hipError_tPvRmT3_T4_T5_T6_T7_T9_mT8_P12ihipStream_tbDpT10_ENKUlT_T0_E_clISt17integral_constantIbLb0EES1A_EEDaS15_S16_EUlS15_E_NS1_11comp_targetILNS1_3genE5ELNS1_11target_archE942ELNS1_3gpuE9ELNS1_3repE0EEENS1_30default_config_static_selectorELNS0_4arch9wavefront6targetE1EEEvT1_,comdat
	.globl	_ZN7rocprim17ROCPRIM_400000_NS6detail17trampoline_kernelINS0_14default_configENS1_25partition_config_selectorILNS1_17partition_subalgoE9EllbEEZZNS1_14partition_implILS5_9ELb0ES3_jPlS8_PNS0_10empty_typeENS0_5tupleIJS8_S9_EEENSB_IJS8_SA_EEENS0_18inequality_wrapperIZN2at6native12_GLOBAL__N_124unique_dim_cuda_templateIsEESt5tupleIJNSF_6TensorESK_SK_EERKSK_lbbbEUlllE0_EEPmJS9_EEE10hipError_tPvRmT3_T4_T5_T6_T7_T9_mT8_P12ihipStream_tbDpT10_ENKUlT_T0_E_clISt17integral_constantIbLb0EES1A_EEDaS15_S16_EUlS15_E_NS1_11comp_targetILNS1_3genE5ELNS1_11target_archE942ELNS1_3gpuE9ELNS1_3repE0EEENS1_30default_config_static_selectorELNS0_4arch9wavefront6targetE1EEEvT1_ ; -- Begin function _ZN7rocprim17ROCPRIM_400000_NS6detail17trampoline_kernelINS0_14default_configENS1_25partition_config_selectorILNS1_17partition_subalgoE9EllbEEZZNS1_14partition_implILS5_9ELb0ES3_jPlS8_PNS0_10empty_typeENS0_5tupleIJS8_S9_EEENSB_IJS8_SA_EEENS0_18inequality_wrapperIZN2at6native12_GLOBAL__N_124unique_dim_cuda_templateIsEESt5tupleIJNSF_6TensorESK_SK_EERKSK_lbbbEUlllE0_EEPmJS9_EEE10hipError_tPvRmT3_T4_T5_T6_T7_T9_mT8_P12ihipStream_tbDpT10_ENKUlT_T0_E_clISt17integral_constantIbLb0EES1A_EEDaS15_S16_EUlS15_E_NS1_11comp_targetILNS1_3genE5ELNS1_11target_archE942ELNS1_3gpuE9ELNS1_3repE0EEENS1_30default_config_static_selectorELNS0_4arch9wavefront6targetE1EEEvT1_
	.p2align	8
	.type	_ZN7rocprim17ROCPRIM_400000_NS6detail17trampoline_kernelINS0_14default_configENS1_25partition_config_selectorILNS1_17partition_subalgoE9EllbEEZZNS1_14partition_implILS5_9ELb0ES3_jPlS8_PNS0_10empty_typeENS0_5tupleIJS8_S9_EEENSB_IJS8_SA_EEENS0_18inequality_wrapperIZN2at6native12_GLOBAL__N_124unique_dim_cuda_templateIsEESt5tupleIJNSF_6TensorESK_SK_EERKSK_lbbbEUlllE0_EEPmJS9_EEE10hipError_tPvRmT3_T4_T5_T6_T7_T9_mT8_P12ihipStream_tbDpT10_ENKUlT_T0_E_clISt17integral_constantIbLb0EES1A_EEDaS15_S16_EUlS15_E_NS1_11comp_targetILNS1_3genE5ELNS1_11target_archE942ELNS1_3gpuE9ELNS1_3repE0EEENS1_30default_config_static_selectorELNS0_4arch9wavefront6targetE1EEEvT1_,@function
_ZN7rocprim17ROCPRIM_400000_NS6detail17trampoline_kernelINS0_14default_configENS1_25partition_config_selectorILNS1_17partition_subalgoE9EllbEEZZNS1_14partition_implILS5_9ELb0ES3_jPlS8_PNS0_10empty_typeENS0_5tupleIJS8_S9_EEENSB_IJS8_SA_EEENS0_18inequality_wrapperIZN2at6native12_GLOBAL__N_124unique_dim_cuda_templateIsEESt5tupleIJNSF_6TensorESK_SK_EERKSK_lbbbEUlllE0_EEPmJS9_EEE10hipError_tPvRmT3_T4_T5_T6_T7_T9_mT8_P12ihipStream_tbDpT10_ENKUlT_T0_E_clISt17integral_constantIbLb0EES1A_EEDaS15_S16_EUlS15_E_NS1_11comp_targetILNS1_3genE5ELNS1_11target_archE942ELNS1_3gpuE9ELNS1_3repE0EEENS1_30default_config_static_selectorELNS0_4arch9wavefront6targetE1EEEvT1_: ; @_ZN7rocprim17ROCPRIM_400000_NS6detail17trampoline_kernelINS0_14default_configENS1_25partition_config_selectorILNS1_17partition_subalgoE9EllbEEZZNS1_14partition_implILS5_9ELb0ES3_jPlS8_PNS0_10empty_typeENS0_5tupleIJS8_S9_EEENSB_IJS8_SA_EEENS0_18inequality_wrapperIZN2at6native12_GLOBAL__N_124unique_dim_cuda_templateIsEESt5tupleIJNSF_6TensorESK_SK_EERKSK_lbbbEUlllE0_EEPmJS9_EEE10hipError_tPvRmT3_T4_T5_T6_T7_T9_mT8_P12ihipStream_tbDpT10_ENKUlT_T0_E_clISt17integral_constantIbLb0EES1A_EEDaS15_S16_EUlS15_E_NS1_11comp_targetILNS1_3genE5ELNS1_11target_archE942ELNS1_3gpuE9ELNS1_3repE0EEENS1_30default_config_static_selectorELNS0_4arch9wavefront6targetE1EEEvT1_
; %bb.0:
	.section	.rodata,"a",@progbits
	.p2align	6, 0x0
	.amdhsa_kernel _ZN7rocprim17ROCPRIM_400000_NS6detail17trampoline_kernelINS0_14default_configENS1_25partition_config_selectorILNS1_17partition_subalgoE9EllbEEZZNS1_14partition_implILS5_9ELb0ES3_jPlS8_PNS0_10empty_typeENS0_5tupleIJS8_S9_EEENSB_IJS8_SA_EEENS0_18inequality_wrapperIZN2at6native12_GLOBAL__N_124unique_dim_cuda_templateIsEESt5tupleIJNSF_6TensorESK_SK_EERKSK_lbbbEUlllE0_EEPmJS9_EEE10hipError_tPvRmT3_T4_T5_T6_T7_T9_mT8_P12ihipStream_tbDpT10_ENKUlT_T0_E_clISt17integral_constantIbLb0EES1A_EEDaS15_S16_EUlS15_E_NS1_11comp_targetILNS1_3genE5ELNS1_11target_archE942ELNS1_3gpuE9ELNS1_3repE0EEENS1_30default_config_static_selectorELNS0_4arch9wavefront6targetE1EEEvT1_
		.amdhsa_group_segment_fixed_size 0
		.amdhsa_private_segment_fixed_size 0
		.amdhsa_kernarg_size 120
		.amdhsa_user_sgpr_count 6
		.amdhsa_user_sgpr_private_segment_buffer 1
		.amdhsa_user_sgpr_dispatch_ptr 0
		.amdhsa_user_sgpr_queue_ptr 0
		.amdhsa_user_sgpr_kernarg_segment_ptr 1
		.amdhsa_user_sgpr_dispatch_id 0
		.amdhsa_user_sgpr_flat_scratch_init 0
		.amdhsa_user_sgpr_kernarg_preload_length 0
		.amdhsa_user_sgpr_kernarg_preload_offset 0
		.amdhsa_user_sgpr_private_segment_size 0
		.amdhsa_uses_dynamic_stack 0
		.amdhsa_system_sgpr_private_segment_wavefront_offset 0
		.amdhsa_system_sgpr_workgroup_id_x 1
		.amdhsa_system_sgpr_workgroup_id_y 0
		.amdhsa_system_sgpr_workgroup_id_z 0
		.amdhsa_system_sgpr_workgroup_info 0
		.amdhsa_system_vgpr_workitem_id 0
		.amdhsa_next_free_vgpr 1
		.amdhsa_next_free_sgpr 0
		.amdhsa_accum_offset 4
		.amdhsa_reserve_vcc 0
		.amdhsa_reserve_flat_scratch 0
		.amdhsa_float_round_mode_32 0
		.amdhsa_float_round_mode_16_64 0
		.amdhsa_float_denorm_mode_32 3
		.amdhsa_float_denorm_mode_16_64 3
		.amdhsa_dx10_clamp 1
		.amdhsa_ieee_mode 1
		.amdhsa_fp16_overflow 0
		.amdhsa_tg_split 0
		.amdhsa_exception_fp_ieee_invalid_op 0
		.amdhsa_exception_fp_denorm_src 0
		.amdhsa_exception_fp_ieee_div_zero 0
		.amdhsa_exception_fp_ieee_overflow 0
		.amdhsa_exception_fp_ieee_underflow 0
		.amdhsa_exception_fp_ieee_inexact 0
		.amdhsa_exception_int_div_zero 0
	.end_amdhsa_kernel
	.section	.text._ZN7rocprim17ROCPRIM_400000_NS6detail17trampoline_kernelINS0_14default_configENS1_25partition_config_selectorILNS1_17partition_subalgoE9EllbEEZZNS1_14partition_implILS5_9ELb0ES3_jPlS8_PNS0_10empty_typeENS0_5tupleIJS8_S9_EEENSB_IJS8_SA_EEENS0_18inequality_wrapperIZN2at6native12_GLOBAL__N_124unique_dim_cuda_templateIsEESt5tupleIJNSF_6TensorESK_SK_EERKSK_lbbbEUlllE0_EEPmJS9_EEE10hipError_tPvRmT3_T4_T5_T6_T7_T9_mT8_P12ihipStream_tbDpT10_ENKUlT_T0_E_clISt17integral_constantIbLb0EES1A_EEDaS15_S16_EUlS15_E_NS1_11comp_targetILNS1_3genE5ELNS1_11target_archE942ELNS1_3gpuE9ELNS1_3repE0EEENS1_30default_config_static_selectorELNS0_4arch9wavefront6targetE1EEEvT1_,"axG",@progbits,_ZN7rocprim17ROCPRIM_400000_NS6detail17trampoline_kernelINS0_14default_configENS1_25partition_config_selectorILNS1_17partition_subalgoE9EllbEEZZNS1_14partition_implILS5_9ELb0ES3_jPlS8_PNS0_10empty_typeENS0_5tupleIJS8_S9_EEENSB_IJS8_SA_EEENS0_18inequality_wrapperIZN2at6native12_GLOBAL__N_124unique_dim_cuda_templateIsEESt5tupleIJNSF_6TensorESK_SK_EERKSK_lbbbEUlllE0_EEPmJS9_EEE10hipError_tPvRmT3_T4_T5_T6_T7_T9_mT8_P12ihipStream_tbDpT10_ENKUlT_T0_E_clISt17integral_constantIbLb0EES1A_EEDaS15_S16_EUlS15_E_NS1_11comp_targetILNS1_3genE5ELNS1_11target_archE942ELNS1_3gpuE9ELNS1_3repE0EEENS1_30default_config_static_selectorELNS0_4arch9wavefront6targetE1EEEvT1_,comdat
.Lfunc_end718:
	.size	_ZN7rocprim17ROCPRIM_400000_NS6detail17trampoline_kernelINS0_14default_configENS1_25partition_config_selectorILNS1_17partition_subalgoE9EllbEEZZNS1_14partition_implILS5_9ELb0ES3_jPlS8_PNS0_10empty_typeENS0_5tupleIJS8_S9_EEENSB_IJS8_SA_EEENS0_18inequality_wrapperIZN2at6native12_GLOBAL__N_124unique_dim_cuda_templateIsEESt5tupleIJNSF_6TensorESK_SK_EERKSK_lbbbEUlllE0_EEPmJS9_EEE10hipError_tPvRmT3_T4_T5_T6_T7_T9_mT8_P12ihipStream_tbDpT10_ENKUlT_T0_E_clISt17integral_constantIbLb0EES1A_EEDaS15_S16_EUlS15_E_NS1_11comp_targetILNS1_3genE5ELNS1_11target_archE942ELNS1_3gpuE9ELNS1_3repE0EEENS1_30default_config_static_selectorELNS0_4arch9wavefront6targetE1EEEvT1_, .Lfunc_end718-_ZN7rocprim17ROCPRIM_400000_NS6detail17trampoline_kernelINS0_14default_configENS1_25partition_config_selectorILNS1_17partition_subalgoE9EllbEEZZNS1_14partition_implILS5_9ELb0ES3_jPlS8_PNS0_10empty_typeENS0_5tupleIJS8_S9_EEENSB_IJS8_SA_EEENS0_18inequality_wrapperIZN2at6native12_GLOBAL__N_124unique_dim_cuda_templateIsEESt5tupleIJNSF_6TensorESK_SK_EERKSK_lbbbEUlllE0_EEPmJS9_EEE10hipError_tPvRmT3_T4_T5_T6_T7_T9_mT8_P12ihipStream_tbDpT10_ENKUlT_T0_E_clISt17integral_constantIbLb0EES1A_EEDaS15_S16_EUlS15_E_NS1_11comp_targetILNS1_3genE5ELNS1_11target_archE942ELNS1_3gpuE9ELNS1_3repE0EEENS1_30default_config_static_selectorELNS0_4arch9wavefront6targetE1EEEvT1_
                                        ; -- End function
	.section	.AMDGPU.csdata,"",@progbits
; Kernel info:
; codeLenInByte = 0
; NumSgprs: 4
; NumVgprs: 0
; NumAgprs: 0
; TotalNumVgprs: 0
; ScratchSize: 0
; MemoryBound: 0
; FloatMode: 240
; IeeeMode: 1
; LDSByteSize: 0 bytes/workgroup (compile time only)
; SGPRBlocks: 0
; VGPRBlocks: 0
; NumSGPRsForWavesPerEU: 4
; NumVGPRsForWavesPerEU: 1
; AccumOffset: 4
; Occupancy: 8
; WaveLimiterHint : 0
; COMPUTE_PGM_RSRC2:SCRATCH_EN: 0
; COMPUTE_PGM_RSRC2:USER_SGPR: 6
; COMPUTE_PGM_RSRC2:TRAP_HANDLER: 0
; COMPUTE_PGM_RSRC2:TGID_X_EN: 1
; COMPUTE_PGM_RSRC2:TGID_Y_EN: 0
; COMPUTE_PGM_RSRC2:TGID_Z_EN: 0
; COMPUTE_PGM_RSRC2:TIDIG_COMP_CNT: 0
; COMPUTE_PGM_RSRC3_GFX90A:ACCUM_OFFSET: 0
; COMPUTE_PGM_RSRC3_GFX90A:TG_SPLIT: 0
	.section	.text._ZN7rocprim17ROCPRIM_400000_NS6detail17trampoline_kernelINS0_14default_configENS1_25partition_config_selectorILNS1_17partition_subalgoE9EllbEEZZNS1_14partition_implILS5_9ELb0ES3_jPlS8_PNS0_10empty_typeENS0_5tupleIJS8_S9_EEENSB_IJS8_SA_EEENS0_18inequality_wrapperIZN2at6native12_GLOBAL__N_124unique_dim_cuda_templateIsEESt5tupleIJNSF_6TensorESK_SK_EERKSK_lbbbEUlllE0_EEPmJS9_EEE10hipError_tPvRmT3_T4_T5_T6_T7_T9_mT8_P12ihipStream_tbDpT10_ENKUlT_T0_E_clISt17integral_constantIbLb0EES1A_EEDaS15_S16_EUlS15_E_NS1_11comp_targetILNS1_3genE4ELNS1_11target_archE910ELNS1_3gpuE8ELNS1_3repE0EEENS1_30default_config_static_selectorELNS0_4arch9wavefront6targetE1EEEvT1_,"axG",@progbits,_ZN7rocprim17ROCPRIM_400000_NS6detail17trampoline_kernelINS0_14default_configENS1_25partition_config_selectorILNS1_17partition_subalgoE9EllbEEZZNS1_14partition_implILS5_9ELb0ES3_jPlS8_PNS0_10empty_typeENS0_5tupleIJS8_S9_EEENSB_IJS8_SA_EEENS0_18inequality_wrapperIZN2at6native12_GLOBAL__N_124unique_dim_cuda_templateIsEESt5tupleIJNSF_6TensorESK_SK_EERKSK_lbbbEUlllE0_EEPmJS9_EEE10hipError_tPvRmT3_T4_T5_T6_T7_T9_mT8_P12ihipStream_tbDpT10_ENKUlT_T0_E_clISt17integral_constantIbLb0EES1A_EEDaS15_S16_EUlS15_E_NS1_11comp_targetILNS1_3genE4ELNS1_11target_archE910ELNS1_3gpuE8ELNS1_3repE0EEENS1_30default_config_static_selectorELNS0_4arch9wavefront6targetE1EEEvT1_,comdat
	.globl	_ZN7rocprim17ROCPRIM_400000_NS6detail17trampoline_kernelINS0_14default_configENS1_25partition_config_selectorILNS1_17partition_subalgoE9EllbEEZZNS1_14partition_implILS5_9ELb0ES3_jPlS8_PNS0_10empty_typeENS0_5tupleIJS8_S9_EEENSB_IJS8_SA_EEENS0_18inequality_wrapperIZN2at6native12_GLOBAL__N_124unique_dim_cuda_templateIsEESt5tupleIJNSF_6TensorESK_SK_EERKSK_lbbbEUlllE0_EEPmJS9_EEE10hipError_tPvRmT3_T4_T5_T6_T7_T9_mT8_P12ihipStream_tbDpT10_ENKUlT_T0_E_clISt17integral_constantIbLb0EES1A_EEDaS15_S16_EUlS15_E_NS1_11comp_targetILNS1_3genE4ELNS1_11target_archE910ELNS1_3gpuE8ELNS1_3repE0EEENS1_30default_config_static_selectorELNS0_4arch9wavefront6targetE1EEEvT1_ ; -- Begin function _ZN7rocprim17ROCPRIM_400000_NS6detail17trampoline_kernelINS0_14default_configENS1_25partition_config_selectorILNS1_17partition_subalgoE9EllbEEZZNS1_14partition_implILS5_9ELb0ES3_jPlS8_PNS0_10empty_typeENS0_5tupleIJS8_S9_EEENSB_IJS8_SA_EEENS0_18inequality_wrapperIZN2at6native12_GLOBAL__N_124unique_dim_cuda_templateIsEESt5tupleIJNSF_6TensorESK_SK_EERKSK_lbbbEUlllE0_EEPmJS9_EEE10hipError_tPvRmT3_T4_T5_T6_T7_T9_mT8_P12ihipStream_tbDpT10_ENKUlT_T0_E_clISt17integral_constantIbLb0EES1A_EEDaS15_S16_EUlS15_E_NS1_11comp_targetILNS1_3genE4ELNS1_11target_archE910ELNS1_3gpuE8ELNS1_3repE0EEENS1_30default_config_static_selectorELNS0_4arch9wavefront6targetE1EEEvT1_
	.p2align	8
	.type	_ZN7rocprim17ROCPRIM_400000_NS6detail17trampoline_kernelINS0_14default_configENS1_25partition_config_selectorILNS1_17partition_subalgoE9EllbEEZZNS1_14partition_implILS5_9ELb0ES3_jPlS8_PNS0_10empty_typeENS0_5tupleIJS8_S9_EEENSB_IJS8_SA_EEENS0_18inequality_wrapperIZN2at6native12_GLOBAL__N_124unique_dim_cuda_templateIsEESt5tupleIJNSF_6TensorESK_SK_EERKSK_lbbbEUlllE0_EEPmJS9_EEE10hipError_tPvRmT3_T4_T5_T6_T7_T9_mT8_P12ihipStream_tbDpT10_ENKUlT_T0_E_clISt17integral_constantIbLb0EES1A_EEDaS15_S16_EUlS15_E_NS1_11comp_targetILNS1_3genE4ELNS1_11target_archE910ELNS1_3gpuE8ELNS1_3repE0EEENS1_30default_config_static_selectorELNS0_4arch9wavefront6targetE1EEEvT1_,@function
_ZN7rocprim17ROCPRIM_400000_NS6detail17trampoline_kernelINS0_14default_configENS1_25partition_config_selectorILNS1_17partition_subalgoE9EllbEEZZNS1_14partition_implILS5_9ELb0ES3_jPlS8_PNS0_10empty_typeENS0_5tupleIJS8_S9_EEENSB_IJS8_SA_EEENS0_18inequality_wrapperIZN2at6native12_GLOBAL__N_124unique_dim_cuda_templateIsEESt5tupleIJNSF_6TensorESK_SK_EERKSK_lbbbEUlllE0_EEPmJS9_EEE10hipError_tPvRmT3_T4_T5_T6_T7_T9_mT8_P12ihipStream_tbDpT10_ENKUlT_T0_E_clISt17integral_constantIbLb0EES1A_EEDaS15_S16_EUlS15_E_NS1_11comp_targetILNS1_3genE4ELNS1_11target_archE910ELNS1_3gpuE8ELNS1_3repE0EEENS1_30default_config_static_selectorELNS0_4arch9wavefront6targetE1EEEvT1_: ; @_ZN7rocprim17ROCPRIM_400000_NS6detail17trampoline_kernelINS0_14default_configENS1_25partition_config_selectorILNS1_17partition_subalgoE9EllbEEZZNS1_14partition_implILS5_9ELb0ES3_jPlS8_PNS0_10empty_typeENS0_5tupleIJS8_S9_EEENSB_IJS8_SA_EEENS0_18inequality_wrapperIZN2at6native12_GLOBAL__N_124unique_dim_cuda_templateIsEESt5tupleIJNSF_6TensorESK_SK_EERKSK_lbbbEUlllE0_EEPmJS9_EEE10hipError_tPvRmT3_T4_T5_T6_T7_T9_mT8_P12ihipStream_tbDpT10_ENKUlT_T0_E_clISt17integral_constantIbLb0EES1A_EEDaS15_S16_EUlS15_E_NS1_11comp_targetILNS1_3genE4ELNS1_11target_archE910ELNS1_3gpuE8ELNS1_3repE0EEENS1_30default_config_static_selectorELNS0_4arch9wavefront6targetE1EEEvT1_
; %bb.0:
	s_load_dwordx8 s[20:27], s[4:5], 0x40
	s_load_dwordx4 s[0:3], s[4:5], 0x8
	s_load_dwordx2 s[12:13], s[4:5], 0x18
	s_load_dword s9, s[4:5], 0x70
	v_lshrrev_b32_e32 v18, 2, v0
	s_waitcnt lgkmcnt(0)
	v_mov_b32_e32 v2, s24
	s_lshl_b64 s[14:15], s[2:3], 3
	s_add_u32 s18, s0, s14
	s_addc_u32 s19, s1, s15
	s_add_i32 s10, s9, -1
	s_lshl_b32 s0, s10, 9
	s_add_i32 s0, s2, s0
	s_lshl_b32 s8, s6, 9
	s_sub_i32 s7, s24, s0
	s_lshl_b32 s0, s9, 9
	s_add_u32 s0, s2, s0
	s_addc_u32 s1, s3, 0
	v_mov_b32_e32 v3, s25
	s_cmp_eq_u32 s6, s10
	s_load_dwordx2 s[22:23], s[22:23], 0x0
	v_cmp_ge_u64_e32 vcc, s[0:1], v[2:3]
	s_cselect_b64 s[24:25], -1, 0
	s_mov_b32 s9, 0
	s_and_b64 s[10:11], s[24:25], vcc
	s_xor_b64 s[34:35], s[10:11], -1
	s_lshl_b64 s[16:17], s[8:9], 3
	s_add_u32 s8, s18, s16
	s_mov_b64 s[0:1], -1
	s_addc_u32 s9, s19, s17
	s_and_b64 vcc, exec, s[34:35]
	s_cbranch_vccz .LBB719_2
; %bb.1:
	v_lshlrev_b32_e32 v1, 3, v0
	global_load_dwordx2 v[2:3], v1, s[8:9]
	global_load_dwordx2 v[4:5], v1, s[8:9] offset:1024
	global_load_dwordx2 v[6:7], v1, s[8:9] offset:2048
	;; [unrolled: 1-line block ×3, first 2 shown]
	v_or_b32_e32 v11, 0x80, v0
	v_or_b32_e32 v12, 0x100, v0
	;; [unrolled: 1-line block ×3, first 2 shown]
	v_and_b32_e32 v10, 24, v18
	v_lshrrev_b32_e32 v11, 2, v11
	v_lshrrev_b32_e32 v12, 2, v12
	;; [unrolled: 1-line block ×3, first 2 shown]
	v_add_u32_e32 v10, v10, v1
	v_and_b32_e32 v11, 56, v11
	v_and_b32_e32 v12, 0x58, v12
	;; [unrolled: 1-line block ×3, first 2 shown]
	v_add_u32_e32 v11, v11, v1
	v_add_u32_e32 v12, v12, v1
	;; [unrolled: 1-line block ×3, first 2 shown]
	s_mov_b64 s[0:1], 0
	s_waitcnt vmcnt(3)
	ds_write_b64 v10, v[2:3]
	s_waitcnt vmcnt(2)
	ds_write_b64 v11, v[4:5] offset:1024
	s_waitcnt vmcnt(1)
	ds_write_b64 v12, v[6:7] offset:2048
	;; [unrolled: 2-line block ×3, first 2 shown]
	s_waitcnt lgkmcnt(0)
	s_barrier
.LBB719_2:
	s_load_dwordx4 s[28:31], s[4:5], 0x60
	s_andn2_b64 vcc, exec, s[0:1]
	v_cmp_gt_u32_e64 s[0:1], s7, v0
	s_cbranch_vccnz .LBB719_12
; %bb.3:
                                        ; implicit-def: $vgpr2_vgpr3_vgpr4_vgpr5_vgpr6_vgpr7_vgpr8_vgpr9
	s_and_saveexec_b64 s[18:19], s[0:1]
	s_cbranch_execz .LBB719_5
; %bb.4:
	v_lshlrev_b32_e32 v1, 3, v0
	global_load_dwordx2 v[2:3], v1, s[8:9]
.LBB719_5:
	s_or_b64 exec, exec, s[18:19]
	v_or_b32_e32 v1, 0x80, v0
	v_cmp_gt_u32_e32 vcc, s7, v1
	s_and_saveexec_b64 s[0:1], vcc
	s_cbranch_execz .LBB719_7
; %bb.6:
	v_lshlrev_b32_e32 v4, 3, v0
	global_load_dwordx2 v[4:5], v4, s[8:9] offset:1024
.LBB719_7:
	s_or_b64 exec, exec, s[0:1]
	v_or_b32_e32 v10, 0x100, v0
	v_cmp_gt_u32_e32 vcc, s7, v10
	s_and_saveexec_b64 s[0:1], vcc
	s_cbranch_execz .LBB719_9
; %bb.8:
	v_lshlrev_b32_e32 v6, 3, v0
	global_load_dwordx2 v[6:7], v6, s[8:9] offset:2048
.LBB719_9:
	;; [unrolled: 9-line block ×3, first 2 shown]
	s_or_b64 exec, exec, s[0:1]
	v_lshrrev_b32_e32 v1, 2, v1
	v_lshlrev_b32_e32 v13, 3, v0
	v_and_b32_e32 v1, 56, v1
	v_add_u32_e32 v1, v1, v13
	s_waitcnt vmcnt(0)
	ds_write_b64 v1, v[4:5] offset:1024
	v_lshrrev_b32_e32 v1, 2, v10
	v_and_b32_e32 v1, 0x78, v1
	v_add_u32_e32 v1, v1, v13
	ds_write_b64 v1, v[6:7] offset:2048
	v_lshrrev_b32_e32 v1, 2, v11
	v_and_b32_e32 v12, 24, v18
	v_and_b32_e32 v1, 0x78, v1
	v_add_u32_e32 v12, v12, v13
	v_add_u32_e32 v1, v1, v13
	ds_write_b64 v12, v[2:3]
	ds_write_b64 v1, v[8:9] offset:3072
	s_waitcnt lgkmcnt(0)
	s_barrier
.LBB719_12:
	v_lshlrev_b32_e32 v1, 2, v0
	v_lshrrev_b32_e32 v2, 3, v0
	v_add_lshl_u32 v19, v2, v1, 3
	s_waitcnt lgkmcnt(0)
	ds_read2_b64 v[14:17], v19 offset1:1
	ds_read2_b64 v[10:13], v19 offset0:2 offset1:3
	s_add_u32 s0, s12, s14
	s_addc_u32 s1, s13, s15
	s_add_u32 s0, s0, s16
	s_addc_u32 s1, s1, s17
	s_mov_b64 s[12:13], -1
	s_and_b64 vcc, exec, s[34:35]
	s_waitcnt lgkmcnt(0)
	s_barrier
	s_cbranch_vccz .LBB719_14
; %bb.13:
	v_lshlrev_b32_e32 v20, 3, v0
	global_load_dwordx2 v[2:3], v20, s[0:1]
	global_load_dwordx2 v[4:5], v20, s[0:1] offset:1024
	global_load_dwordx2 v[6:7], v20, s[0:1] offset:2048
	;; [unrolled: 1-line block ×3, first 2 shown]
	v_or_b32_e32 v22, 0x80, v0
	v_or_b32_e32 v23, 0x100, v0
	;; [unrolled: 1-line block ×3, first 2 shown]
	v_and_b32_e32 v21, 24, v18
	v_lshrrev_b32_e32 v22, 2, v22
	v_lshrrev_b32_e32 v23, 2, v23
	;; [unrolled: 1-line block ×3, first 2 shown]
	v_add_u32_e32 v21, v21, v20
	v_and_b32_e32 v22, 56, v22
	v_and_b32_e32 v23, 0x58, v23
	;; [unrolled: 1-line block ×3, first 2 shown]
	v_add_u32_e32 v22, v22, v20
	v_add_u32_e32 v23, v23, v20
	v_add_u32_e32 v20, v24, v20
	s_mov_b64 s[12:13], 0
	s_waitcnt vmcnt(3)
	ds_write_b64 v21, v[2:3]
	s_waitcnt vmcnt(2)
	ds_write_b64 v22, v[4:5] offset:1024
	s_waitcnt vmcnt(1)
	ds_write_b64 v23, v[6:7] offset:2048
	s_waitcnt vmcnt(0)
	ds_write_b64 v20, v[8:9] offset:3072
	s_waitcnt lgkmcnt(0)
	s_barrier
.LBB719_14:
	s_andn2_b64 vcc, exec, s[12:13]
	s_cbranch_vccnz .LBB719_24
; %bb.15:
	v_cmp_gt_u32_e32 vcc, s7, v0
                                        ; implicit-def: $vgpr2_vgpr3
	s_and_saveexec_b64 s[12:13], vcc
	s_cbranch_execz .LBB719_17
; %bb.16:
	v_lshlrev_b32_e32 v2, 3, v0
	global_load_dwordx2 v[2:3], v2, s[0:1]
.LBB719_17:
	s_or_b64 exec, exec, s[12:13]
	v_or_b32_e32 v20, 0x80, v0
	v_cmp_gt_u32_e32 vcc, s7, v20
                                        ; implicit-def: $vgpr4_vgpr5
	s_and_saveexec_b64 s[12:13], vcc
	s_cbranch_execz .LBB719_19
; %bb.18:
	v_lshlrev_b32_e32 v4, 3, v0
	global_load_dwordx2 v[4:5], v4, s[0:1] offset:1024
.LBB719_19:
	s_or_b64 exec, exec, s[12:13]
	v_or_b32_e32 v21, 0x100, v0
	v_cmp_gt_u32_e32 vcc, s7, v21
                                        ; implicit-def: $vgpr6_vgpr7
	s_and_saveexec_b64 s[12:13], vcc
	s_cbranch_execz .LBB719_21
; %bb.20:
	v_lshlrev_b32_e32 v6, 3, v0
	global_load_dwordx2 v[6:7], v6, s[0:1] offset:2048
.LBB719_21:
	s_or_b64 exec, exec, s[12:13]
	v_or_b32_e32 v22, 0x180, v0
	v_cmp_gt_u32_e32 vcc, s7, v22
                                        ; implicit-def: $vgpr8_vgpr9
	s_and_saveexec_b64 s[12:13], vcc
	s_cbranch_execz .LBB719_23
; %bb.22:
	v_lshlrev_b32_e32 v8, 3, v0
	global_load_dwordx2 v[8:9], v8, s[0:1] offset:3072
.LBB719_23:
	s_or_b64 exec, exec, s[12:13]
	v_and_b32_e32 v18, 24, v18
	v_lshlrev_b32_e32 v23, 3, v0
	v_add_u32_e32 v18, v18, v23
	s_waitcnt vmcnt(0)
	ds_write_b64 v18, v[2:3]
	v_lshrrev_b32_e32 v2, 2, v20
	v_and_b32_e32 v2, 56, v2
	v_add_u32_e32 v2, v2, v23
	ds_write_b64 v2, v[4:5] offset:1024
	v_lshrrev_b32_e32 v2, 2, v21
	v_and_b32_e32 v2, 0x78, v2
	v_add_u32_e32 v2, v2, v23
	ds_write_b64 v2, v[6:7] offset:2048
	v_lshrrev_b32_e32 v2, 2, v22
	v_and_b32_e32 v2, 0x78, v2
	v_add_u32_e32 v2, v2, v23
	ds_write_b64 v2, v[8:9] offset:3072
	s_waitcnt lgkmcnt(0)
	s_barrier
.LBB719_24:
	ds_read2_b64 v[6:9], v19 offset1:1
	ds_read2_b64 v[2:5], v19 offset0:2 offset1:3
	s_cmp_lg_u32 s6, 0
	s_cselect_b64 s[16:17], -1, 0
	s_cmp_lg_u64 s[2:3], 0
	s_cselect_b64 s[0:1], -1, 0
	s_or_b64 s[0:1], s[16:17], s[0:1]
	s_mov_b64 s[12:13], 0
	s_and_b64 vcc, exec, s[0:1]
	v_cmp_gt_i64_e64 s[0:1], s[26:27], 0
	s_waitcnt lgkmcnt(0)
	s_barrier
	s_cbranch_vccz .LBB719_33
; %bb.25:
	s_add_u32 s2, s8, -8
	s_addc_u32 s3, s9, -1
	s_load_dwordx2 s[12:13], s[2:3], 0x0
	v_cndmask_b32_e64 v18, 0, 1, s[0:1]
	v_lshlrev_b32_e32 v26, 3, v0
	s_mov_b64 s[14:15], 0
	s_and_b64 vcc, exec, s[34:35]
	v_cmp_ne_u32_e64 s[0:1], 1, v18
	ds_write_b64 v26, v[12:13]
	s_cbranch_vccz .LBB719_34
; %bb.26:
	v_mul_lo_u32 v20, v11, s26
	v_mul_lo_u32 v21, v10, s27
	v_mad_u64_u32 v[18:19], s[2:3], v10, s26, 0
	v_add3_u32 v19, v19, v21, v20
	s_and_b64 vcc, exec, s[0:1]
	v_lshlrev_b64 v[18:19], 1, v[18:19]
	s_cbranch_vccnz .LBB719_37
; %bb.27:
	v_mul_lo_u32 v22, v13, s26
	v_mul_lo_u32 v23, v12, s27
	v_mad_u64_u32 v[20:21], s[2:3], v12, s26, 0
	v_add3_u32 v21, v21, v23, v22
	v_mov_b32_e32 v23, s29
	v_add_co_u32_e32 v22, vcc, s28, v18
	v_addc_co_u32_e64 v23, s[2:3], v23, v19, vcc
	v_lshlrev_b64 v[20:21], 1, v[20:21]
	v_mov_b32_e32 v25, s29
	v_add_co_u32_e64 v24, s[2:3], s28, v20
	v_addc_co_u32_e64 v25, s[8:9], v25, v21, s[2:3]
	global_load_ushort v20, v[22:23], off
	global_load_ushort v27, v[24:25], off
	s_mov_b64 s[14:15], -1
	s_waitcnt vmcnt(0)
	v_cmp_eq_u16_e64 s[8:9], v20, v27
	s_and_saveexec_b64 s[18:19], s[8:9]
	s_cbranch_execz .LBB719_36
; %bb.28:
	v_mov_b32_e32 v20, s29
	v_addc_co_u32_e64 v21, s[2:3], v21, v20, s[2:3]
	v_add_co_u32_e64 v20, s[2:3], 2, v24
	v_mov_b32_e32 v23, s29
	v_addc_co_u32_e64 v21, s[2:3], 0, v21, s[2:3]
	v_addc_co_u32_e32 v23, vcc, v19, v23, vcc
	v_add_co_u32_e32 v22, vcc, 2, v22
	s_add_u32 s2, s26, -1
	v_addc_co_u32_e32 v23, vcc, 0, v23, vcc
	s_addc_u32 s3, s27, -1
	s_mov_b64 s[8:9], 0
	s_mov_b64 s[36:37], 0
                                        ; implicit-def: $sgpr14_sgpr15
	s_branch .LBB719_31
.LBB719_29:                             ;   in Loop: Header=BB719_31 Depth=1
	global_load_ushort v24, v[22:23], off
	global_load_ushort v25, v[20:21], off
	v_add_co_u32_e32 v20, vcc, 2, v20
	v_addc_co_u32_e32 v21, vcc, 0, v21, vcc
	v_add_co_u32_e32 v22, vcc, 2, v22
	v_addc_co_u32_e32 v23, vcc, 0, v23, vcc
	s_add_u32 s36, s36, 1
	s_addc_u32 s37, s37, 0
	s_andn2_b64 s[14:15], s[14:15], exec
	s_waitcnt vmcnt(0)
	v_cmp_ne_u16_e32 vcc, v24, v25
	s_and_b64 s[38:39], vcc, exec
	s_or_b64 s[14:15], s[14:15], s[38:39]
.LBB719_30:                             ;   in Loop: Header=BB719_31 Depth=1
	s_and_b64 s[38:39], exec, s[14:15]
	s_or_b64 s[8:9], s[38:39], s[8:9]
	v_pk_mov_b32 v[24:25], s[36:37], s[36:37] op_sel:[0,1]
	s_andn2_b64 exec, exec, s[8:9]
	s_cbranch_execz .LBB719_35
.LBB719_31:                             ; =>This Inner Loop Header: Depth=1
	s_or_b64 s[14:15], s[14:15], exec
	s_cmp_eq_u64 s[2:3], s[36:37]
	s_cbranch_scc0 .LBB719_29
; %bb.32:                               ;   in Loop: Header=BB719_31 Depth=1
                                        ; implicit-def: $vgpr20_vgpr21
                                        ; implicit-def: $vgpr22_vgpr23
	s_mov_b64 s[36:37], s[26:27]
	s_branch .LBB719_30
.LBB719_33:
                                        ; implicit-def: $sgpr18_sgpr19
                                        ; implicit-def: $vgpr28
	s_branch .LBB719_115
.LBB719_34:
                                        ; implicit-def: $sgpr18_sgpr19
                                        ; implicit-def: $vgpr28
	s_cbranch_execnz .LBB719_67
	s_branch .LBB719_114
.LBB719_35:
	s_or_b64 exec, exec, s[8:9]
	v_cmp_gt_i64_e32 vcc, s[26:27], v[24:25]
	s_orn2_b64 s[14:15], vcc, exec
.LBB719_36:
	s_or_b64 exec, exec, s[18:19]
.LBB719_37:
	v_mul_lo_u32 v22, v17, s26
	v_mul_lo_u32 v23, v16, s27
	v_mad_u64_u32 v[20:21], s[2:3], v16, s26, 0
	v_add3_u32 v21, v21, v23, v22
	s_mov_b64 s[18:19], 0
	s_and_b64 vcc, exec, s[0:1]
	v_lshlrev_b64 v[20:21], 1, v[20:21]
	s_mov_b64 s[36:37], 0
	s_cbranch_vccnz .LBB719_46
; %bb.38:
	v_mov_b32_e32 v23, s29
	v_add_co_u32_e32 v22, vcc, s28, v20
	v_addc_co_u32_e64 v23, s[2:3], v23, v21, vcc
	v_mov_b32_e32 v25, s29
	v_add_co_u32_e64 v24, s[2:3], s28, v18
	v_addc_co_u32_e64 v25, s[8:9], v25, v19, s[2:3]
	global_load_ushort v18, v[22:23], off
	global_load_ushort v27, v[24:25], off
	s_mov_b64 s[36:37], -1
	s_waitcnt vmcnt(0)
	v_cmp_eq_u16_e64 s[8:9], v18, v27
	s_and_saveexec_b64 s[38:39], s[8:9]
	s_cbranch_execz .LBB719_45
; %bb.39:
	v_mov_b32_e32 v18, s29
	v_addc_co_u32_e64 v19, s[2:3], v19, v18, s[2:3]
	v_add_co_u32_e64 v18, s[2:3], 2, v24
	v_mov_b32_e32 v23, s29
	v_addc_co_u32_e64 v19, s[2:3], 0, v19, s[2:3]
	v_addc_co_u32_e32 v23, vcc, v21, v23, vcc
	v_add_co_u32_e32 v22, vcc, 2, v22
	s_add_u32 s2, s26, -1
	v_addc_co_u32_e32 v23, vcc, 0, v23, vcc
	s_addc_u32 s3, s27, -1
	s_mov_b64 s[8:9], 0
	s_mov_b64 s[40:41], 0
                                        ; implicit-def: $sgpr36_sgpr37
	s_branch .LBB719_42
.LBB719_40:                             ;   in Loop: Header=BB719_42 Depth=1
	global_load_ushort v24, v[22:23], off
	global_load_ushort v25, v[18:19], off
	v_add_co_u32_e32 v18, vcc, 2, v18
	v_addc_co_u32_e32 v19, vcc, 0, v19, vcc
	v_add_co_u32_e32 v22, vcc, 2, v22
	v_addc_co_u32_e32 v23, vcc, 0, v23, vcc
	s_add_u32 s40, s40, 1
	s_addc_u32 s41, s41, 0
	s_andn2_b64 s[36:37], s[36:37], exec
	s_waitcnt vmcnt(0)
	v_cmp_ne_u16_e32 vcc, v24, v25
	s_and_b64 s[42:43], vcc, exec
	s_or_b64 s[36:37], s[36:37], s[42:43]
.LBB719_41:                             ;   in Loop: Header=BB719_42 Depth=1
	s_and_b64 s[42:43], exec, s[36:37]
	s_or_b64 s[8:9], s[42:43], s[8:9]
	v_pk_mov_b32 v[24:25], s[40:41], s[40:41] op_sel:[0,1]
	s_andn2_b64 exec, exec, s[8:9]
	s_cbranch_execz .LBB719_44
.LBB719_42:                             ; =>This Inner Loop Header: Depth=1
	s_or_b64 s[36:37], s[36:37], exec
	s_cmp_eq_u64 s[2:3], s[40:41]
	s_cbranch_scc0 .LBB719_40
; %bb.43:                               ;   in Loop: Header=BB719_42 Depth=1
                                        ; implicit-def: $vgpr18_vgpr19
                                        ; implicit-def: $vgpr22_vgpr23
	s_mov_b64 s[40:41], s[26:27]
	s_branch .LBB719_41
.LBB719_44:
	s_or_b64 exec, exec, s[8:9]
	v_cmp_gt_i64_e32 vcc, s[26:27], v[24:25]
	s_orn2_b64 s[36:37], vcc, exec
.LBB719_45:
	s_or_b64 exec, exec, s[38:39]
.LBB719_46:
	v_mul_lo_u32 v22, v15, s26
	v_mul_lo_u32 v23, v14, s27
	v_mad_u64_u32 v[18:19], s[2:3], v14, s26, 0
	v_add3_u32 v19, v19, v23, v22
	s_and_b64 vcc, exec, s[0:1]
	v_lshlrev_b64 v[18:19], 1, v[18:19]
	s_cbranch_vccnz .LBB719_55
; %bb.47:
	v_mov_b32_e32 v23, s29
	v_add_co_u32_e32 v22, vcc, s28, v18
	v_addc_co_u32_e64 v23, s[2:3], v23, v19, vcc
	v_mov_b32_e32 v25, s29
	v_add_co_u32_e64 v24, s[2:3], s28, v20
	v_addc_co_u32_e64 v25, s[8:9], v25, v21, s[2:3]
	global_load_ushort v20, v[22:23], off
	global_load_ushort v27, v[24:25], off
	s_mov_b64 s[18:19], -1
	s_waitcnt vmcnt(0)
	v_cmp_eq_u16_e64 s[8:9], v20, v27
	s_and_saveexec_b64 s[38:39], s[8:9]
	s_cbranch_execz .LBB719_54
; %bb.48:
	v_mov_b32_e32 v20, s29
	v_addc_co_u32_e64 v21, s[2:3], v21, v20, s[2:3]
	v_add_co_u32_e64 v20, s[2:3], 2, v24
	v_mov_b32_e32 v23, s29
	v_addc_co_u32_e64 v21, s[2:3], 0, v21, s[2:3]
	v_addc_co_u32_e32 v23, vcc, v19, v23, vcc
	v_add_co_u32_e32 v22, vcc, 2, v22
	s_add_u32 s2, s26, -1
	v_addc_co_u32_e32 v23, vcc, 0, v23, vcc
	s_addc_u32 s3, s27, -1
	s_mov_b64 s[8:9], 0
	s_mov_b64 s[40:41], 0
                                        ; implicit-def: $sgpr18_sgpr19
	s_branch .LBB719_51
.LBB719_49:                             ;   in Loop: Header=BB719_51 Depth=1
	global_load_ushort v24, v[22:23], off
	global_load_ushort v25, v[20:21], off
	v_add_co_u32_e32 v20, vcc, 2, v20
	v_addc_co_u32_e32 v21, vcc, 0, v21, vcc
	v_add_co_u32_e32 v22, vcc, 2, v22
	v_addc_co_u32_e32 v23, vcc, 0, v23, vcc
	s_add_u32 s40, s40, 1
	s_addc_u32 s41, s41, 0
	s_andn2_b64 s[18:19], s[18:19], exec
	s_waitcnt vmcnt(0)
	v_cmp_ne_u16_e32 vcc, v24, v25
	s_and_b64 s[42:43], vcc, exec
	s_or_b64 s[18:19], s[18:19], s[42:43]
.LBB719_50:                             ;   in Loop: Header=BB719_51 Depth=1
	s_and_b64 s[42:43], exec, s[18:19]
	s_or_b64 s[8:9], s[42:43], s[8:9]
	v_pk_mov_b32 v[24:25], s[40:41], s[40:41] op_sel:[0,1]
	s_andn2_b64 exec, exec, s[8:9]
	s_cbranch_execz .LBB719_53
.LBB719_51:                             ; =>This Inner Loop Header: Depth=1
	s_or_b64 s[18:19], s[18:19], exec
	s_cmp_eq_u64 s[2:3], s[40:41]
	s_cbranch_scc0 .LBB719_49
; %bb.52:                               ;   in Loop: Header=BB719_51 Depth=1
                                        ; implicit-def: $vgpr20_vgpr21
                                        ; implicit-def: $vgpr22_vgpr23
	s_mov_b64 s[40:41], s[26:27]
	s_branch .LBB719_50
.LBB719_53:
	s_or_b64 exec, exec, s[8:9]
	v_cmp_gt_i64_e32 vcc, s[26:27], v[24:25]
	s_orn2_b64 s[18:19], vcc, exec
.LBB719_54:
	s_or_b64 exec, exec, s[38:39]
.LBB719_55:
	v_cmp_ne_u32_e32 vcc, 0, v0
	s_waitcnt lgkmcnt(0)
	v_pk_mov_b32 v[20:21], s[12:13], s[12:13] op_sel:[0,1]
	s_barrier
	s_and_saveexec_b64 s[2:3], vcc
	s_cbranch_execz .LBB719_57
; %bb.56:
	v_add_u32_e32 v20, -8, v26
	ds_read_b64 v[20:21], v20
.LBB719_57:
	s_or_b64 exec, exec, s[2:3]
	v_cndmask_b32_e64 v23, 0, 1, s[14:15]
	v_cndmask_b32_e64 v22, 0, 1, s[36:37]
	;; [unrolled: 1-line block ×3, first 2 shown]
	v_lshlrev_b16_e32 v23, 8, v23
	v_lshlrev_b16_e32 v27, 8, v24
	v_or_b32_sdwa v28, v22, v23 dst_sel:WORD_1 dst_unused:UNUSED_PAD src0_sel:DWORD src1_sel:DWORD
	s_mov_b64 s[14:15], 0
	s_and_b64 vcc, exec, s[0:1]
	s_mov_b64 s[18:19], 0
	s_cbranch_vccnz .LBB719_66
; %bb.58:
	s_waitcnt lgkmcnt(0)
	v_mul_lo_u32 v22, v21, s26
	v_mul_lo_u32 v23, v20, s27
	v_mad_u64_u32 v[20:21], s[2:3], v20, s26, 0
	v_add3_u32 v21, v21, v23, v22
	v_lshlrev_b64 v[20:21], 1, v[20:21]
	v_mov_b32_e32 v23, s29
	v_add_co_u32_e32 v22, vcc, s28, v20
	v_addc_co_u32_e64 v23, s[2:3], v23, v21, vcc
	v_mov_b32_e32 v20, s29
	v_add_co_u32_e64 v24, s[2:3], s28, v18
	v_addc_co_u32_e64 v25, s[8:9], v20, v19, s[2:3]
	global_load_ushort v18, v[22:23], off
	global_load_ushort v20, v[24:25], off
	s_mov_b64 s[18:19], -1
	s_waitcnt vmcnt(0)
	v_cmp_eq_u16_e64 s[8:9], v18, v20
	s_and_saveexec_b64 s[36:37], s[8:9]
	s_cbranch_execz .LBB719_65
; %bb.59:
	v_mov_b32_e32 v18, s29
	v_addc_co_u32_e64 v19, s[2:3], v19, v18, s[2:3]
	v_add_co_u32_e64 v18, s[2:3], 2, v24
	v_mov_b32_e32 v20, s29
	v_addc_co_u32_e64 v19, s[2:3], 0, v19, s[2:3]
	v_addc_co_u32_e32 v21, vcc, v21, v20, vcc
	v_add_co_u32_e32 v20, vcc, 2, v22
	s_add_u32 s2, s26, -1
	v_addc_co_u32_e32 v21, vcc, 0, v21, vcc
	s_addc_u32 s3, s27, -1
	s_mov_b64 s[8:9], 0
	s_mov_b64 s[38:39], 0
                                        ; implicit-def: $sgpr18_sgpr19
	s_branch .LBB719_62
.LBB719_60:                             ;   in Loop: Header=BB719_62 Depth=1
	global_load_ushort v22, v[20:21], off
	global_load_ushort v23, v[18:19], off
	v_add_co_u32_e32 v18, vcc, 2, v18
	v_addc_co_u32_e32 v19, vcc, 0, v19, vcc
	v_add_co_u32_e32 v20, vcc, 2, v20
	v_addc_co_u32_e32 v21, vcc, 0, v21, vcc
	s_add_u32 s38, s38, 1
	s_addc_u32 s39, s39, 0
	s_andn2_b64 s[18:19], s[18:19], exec
	s_waitcnt vmcnt(0)
	v_cmp_ne_u16_e32 vcc, v22, v23
	s_and_b64 s[40:41], vcc, exec
	s_or_b64 s[18:19], s[18:19], s[40:41]
.LBB719_61:                             ;   in Loop: Header=BB719_62 Depth=1
	s_and_b64 s[40:41], exec, s[18:19]
	s_or_b64 s[8:9], s[40:41], s[8:9]
	v_pk_mov_b32 v[22:23], s[38:39], s[38:39] op_sel:[0,1]
	s_andn2_b64 exec, exec, s[8:9]
	s_cbranch_execz .LBB719_64
.LBB719_62:                             ; =>This Inner Loop Header: Depth=1
	s_or_b64 s[18:19], s[18:19], exec
	s_cmp_eq_u64 s[2:3], s[38:39]
	s_cbranch_scc0 .LBB719_60
; %bb.63:                               ;   in Loop: Header=BB719_62 Depth=1
                                        ; implicit-def: $vgpr18_vgpr19
                                        ; implicit-def: $vgpr20_vgpr21
	s_mov_b64 s[38:39], s[26:27]
	s_branch .LBB719_61
.LBB719_64:
	s_or_b64 exec, exec, s[8:9]
	v_cmp_gt_i64_e32 vcc, s[26:27], v[22:23]
	s_orn2_b64 s[18:19], vcc, exec
.LBB719_65:
	s_or_b64 exec, exec, s[36:37]
.LBB719_66:
	v_or_b32_e32 v28, v27, v28
	s_and_b64 vcc, exec, s[14:15]
	s_cbranch_vccz .LBB719_114
.LBB719_67:
	v_or_b32_e32 v18, 3, v1
	v_cmp_gt_u32_e32 vcc, s7, v18
	s_mov_b64 s[18:19], 0
	s_mov_b64 s[14:15], 0
	s_and_saveexec_b64 s[36:37], vcc
	s_cbranch_execz .LBB719_78
; %bb.68:
	s_and_b64 vcc, exec, s[0:1]
	s_mov_b64 s[38:39], 0
	s_cbranch_vccnz .LBB719_77
; %bb.69:
	s_waitcnt lgkmcnt(0)
	v_mul_lo_u32 v20, v11, s26
	v_mul_lo_u32 v21, v10, s27
	v_mad_u64_u32 v[18:19], s[2:3], v10, s26, 0
	v_add3_u32 v19, v19, v21, v20
	v_mul_lo_u32 v20, v13, s26
	v_mul_lo_u32 v21, v12, s27
	v_mad_u64_u32 v[24:25], s[2:3], v12, s26, 0
	v_add3_u32 v25, v25, v21, v20
	v_lshlrev_b64 v[20:21], 1, v[18:19]
	v_mov_b32_e32 v18, s29
	v_add_co_u32_e32 v22, vcc, s28, v20
	v_addc_co_u32_e64 v23, s[2:3], v18, v21, vcc
	v_lshlrev_b64 v[18:19], 1, v[24:25]
	v_mov_b32_e32 v20, s29
	v_add_co_u32_e64 v24, s[2:3], s28, v18
	v_addc_co_u32_e64 v25, s[8:9], v20, v19, s[2:3]
	global_load_ushort v18, v[22:23], off
	global_load_ushort v20, v[24:25], off
	s_mov_b64 s[38:39], -1
	s_waitcnt vmcnt(0)
	v_cmp_eq_u16_e64 s[8:9], v18, v20
	s_and_saveexec_b64 s[14:15], s[8:9]
	s_cbranch_execz .LBB719_76
; %bb.70:
	v_mov_b32_e32 v18, s29
	v_addc_co_u32_e64 v19, s[2:3], v19, v18, s[2:3]
	v_add_co_u32_e64 v18, s[2:3], 2, v24
	v_mov_b32_e32 v20, s29
	v_addc_co_u32_e64 v19, s[2:3], 0, v19, s[2:3]
	v_addc_co_u32_e32 v21, vcc, v21, v20, vcc
	v_add_co_u32_e32 v20, vcc, 2, v22
	s_add_u32 s2, s26, -1
	v_addc_co_u32_e32 v21, vcc, 0, v21, vcc
	s_addc_u32 s3, s27, -1
	s_mov_b64 s[8:9], 0
	s_mov_b64 s[40:41], 0
                                        ; implicit-def: $sgpr38_sgpr39
	s_branch .LBB719_73
.LBB719_71:                             ;   in Loop: Header=BB719_73 Depth=1
	global_load_ushort v22, v[20:21], off
	global_load_ushort v23, v[18:19], off
	v_add_co_u32_e32 v18, vcc, 2, v18
	v_addc_co_u32_e32 v19, vcc, 0, v19, vcc
	v_add_co_u32_e32 v20, vcc, 2, v20
	v_addc_co_u32_e32 v21, vcc, 0, v21, vcc
	s_add_u32 s40, s40, 1
	s_addc_u32 s41, s41, 0
	s_andn2_b64 s[38:39], s[38:39], exec
	s_waitcnt vmcnt(0)
	v_cmp_ne_u16_e32 vcc, v22, v23
	s_and_b64 s[42:43], vcc, exec
	s_or_b64 s[38:39], s[38:39], s[42:43]
.LBB719_72:                             ;   in Loop: Header=BB719_73 Depth=1
	s_and_b64 s[42:43], exec, s[38:39]
	s_or_b64 s[8:9], s[42:43], s[8:9]
	v_pk_mov_b32 v[22:23], s[40:41], s[40:41] op_sel:[0,1]
	s_andn2_b64 exec, exec, s[8:9]
	s_cbranch_execz .LBB719_75
.LBB719_73:                             ; =>This Inner Loop Header: Depth=1
	s_or_b64 s[38:39], s[38:39], exec
	s_cmp_eq_u64 s[2:3], s[40:41]
	s_cbranch_scc0 .LBB719_71
; %bb.74:                               ;   in Loop: Header=BB719_73 Depth=1
                                        ; implicit-def: $vgpr18_vgpr19
                                        ; implicit-def: $vgpr20_vgpr21
	s_mov_b64 s[40:41], s[26:27]
	s_branch .LBB719_72
.LBB719_75:
	s_or_b64 exec, exec, s[8:9]
	v_cmp_gt_i64_e32 vcc, s[26:27], v[22:23]
	s_orn2_b64 s[38:39], vcc, exec
.LBB719_76:
	s_or_b64 exec, exec, s[14:15]
.LBB719_77:
	s_and_b64 s[14:15], s[38:39], exec
.LBB719_78:
	s_or_b64 exec, exec, s[36:37]
	v_or_b32_e32 v18, 2, v1
	v_cmp_gt_u32_e32 vcc, s7, v18
	s_and_saveexec_b64 s[36:37], vcc
	s_cbranch_execz .LBB719_89
; %bb.79:
	s_and_b64 vcc, exec, s[0:1]
	s_mov_b64 s[38:39], 0
	s_cbranch_vccnz .LBB719_88
; %bb.80:
	s_waitcnt lgkmcnt(0)
	v_mul_lo_u32 v20, v17, s26
	v_mul_lo_u32 v21, v16, s27
	v_mad_u64_u32 v[18:19], s[2:3], v16, s26, 0
	v_add3_u32 v19, v19, v21, v20
	v_mul_lo_u32 v20, v11, s26
	v_mul_lo_u32 v21, v10, s27
	v_mad_u64_u32 v[24:25], s[2:3], v10, s26, 0
	v_add3_u32 v25, v25, v21, v20
	v_lshlrev_b64 v[20:21], 1, v[18:19]
	v_mov_b32_e32 v18, s29
	v_add_co_u32_e32 v22, vcc, s28, v20
	v_addc_co_u32_e64 v23, s[2:3], v18, v21, vcc
	v_lshlrev_b64 v[18:19], 1, v[24:25]
	v_mov_b32_e32 v20, s29
	v_add_co_u32_e64 v24, s[2:3], s28, v18
	v_addc_co_u32_e64 v25, s[8:9], v20, v19, s[2:3]
	global_load_ushort v18, v[22:23], off
	global_load_ushort v20, v[24:25], off
	s_mov_b64 s[38:39], -1
	s_waitcnt vmcnt(0)
	v_cmp_eq_u16_e64 s[8:9], v18, v20
	s_and_saveexec_b64 s[18:19], s[8:9]
	s_cbranch_execz .LBB719_87
; %bb.81:
	v_mov_b32_e32 v18, s29
	v_addc_co_u32_e64 v19, s[2:3], v19, v18, s[2:3]
	v_add_co_u32_e64 v18, s[2:3], 2, v24
	v_mov_b32_e32 v20, s29
	v_addc_co_u32_e64 v19, s[2:3], 0, v19, s[2:3]
	v_addc_co_u32_e32 v21, vcc, v21, v20, vcc
	v_add_co_u32_e32 v20, vcc, 2, v22
	s_add_u32 s2, s26, -1
	v_addc_co_u32_e32 v21, vcc, 0, v21, vcc
	s_addc_u32 s3, s27, -1
	s_mov_b64 s[8:9], 0
	s_mov_b64 s[40:41], 0
                                        ; implicit-def: $sgpr38_sgpr39
	s_branch .LBB719_84
.LBB719_82:                             ;   in Loop: Header=BB719_84 Depth=1
	global_load_ushort v22, v[20:21], off
	global_load_ushort v23, v[18:19], off
	v_add_co_u32_e32 v18, vcc, 2, v18
	v_addc_co_u32_e32 v19, vcc, 0, v19, vcc
	v_add_co_u32_e32 v20, vcc, 2, v20
	v_addc_co_u32_e32 v21, vcc, 0, v21, vcc
	s_add_u32 s40, s40, 1
	s_addc_u32 s41, s41, 0
	s_andn2_b64 s[38:39], s[38:39], exec
	s_waitcnt vmcnt(0)
	v_cmp_ne_u16_e32 vcc, v22, v23
	s_and_b64 s[42:43], vcc, exec
	s_or_b64 s[38:39], s[38:39], s[42:43]
.LBB719_83:                             ;   in Loop: Header=BB719_84 Depth=1
	s_and_b64 s[42:43], exec, s[38:39]
	s_or_b64 s[8:9], s[42:43], s[8:9]
	v_pk_mov_b32 v[22:23], s[40:41], s[40:41] op_sel:[0,1]
	s_andn2_b64 exec, exec, s[8:9]
	s_cbranch_execz .LBB719_86
.LBB719_84:                             ; =>This Inner Loop Header: Depth=1
	s_or_b64 s[38:39], s[38:39], exec
	s_cmp_eq_u64 s[2:3], s[40:41]
	s_cbranch_scc0 .LBB719_82
; %bb.85:                               ;   in Loop: Header=BB719_84 Depth=1
                                        ; implicit-def: $vgpr18_vgpr19
                                        ; implicit-def: $vgpr20_vgpr21
	s_mov_b64 s[40:41], s[26:27]
	s_branch .LBB719_83
.LBB719_86:
	s_or_b64 exec, exec, s[8:9]
	v_cmp_gt_i64_e32 vcc, s[26:27], v[22:23]
	s_orn2_b64 s[38:39], vcc, exec
.LBB719_87:
	s_or_b64 exec, exec, s[18:19]
.LBB719_88:
	s_and_b64 s[18:19], s[38:39], exec
.LBB719_89:
	s_or_b64 exec, exec, s[36:37]
	v_or_b32_e32 v18, 1, v1
	v_cmp_gt_u32_e32 vcc, s7, v18
	s_mov_b64 s[2:3], 0
	s_and_saveexec_b64 s[36:37], vcc
	s_cbranch_execz .LBB719_100
; %bb.90:
	s_and_b64 vcc, exec, s[0:1]
	s_mov_b64 s[40:41], 0
	s_cbranch_vccnz .LBB719_99
; %bb.91:
	s_waitcnt lgkmcnt(0)
	v_mul_lo_u32 v20, v15, s26
	v_mul_lo_u32 v21, v14, s27
	v_mad_u64_u32 v[18:19], s[2:3], v14, s26, 0
	v_add3_u32 v19, v19, v21, v20
	v_mul_lo_u32 v20, v17, s26
	v_mul_lo_u32 v21, v16, s27
	v_mad_u64_u32 v[24:25], s[2:3], v16, s26, 0
	v_add3_u32 v25, v25, v21, v20
	v_lshlrev_b64 v[20:21], 1, v[18:19]
	v_mov_b32_e32 v18, s29
	v_add_co_u32_e32 v22, vcc, s28, v20
	v_addc_co_u32_e64 v23, s[2:3], v18, v21, vcc
	v_lshlrev_b64 v[18:19], 1, v[24:25]
	v_mov_b32_e32 v20, s29
	v_add_co_u32_e64 v24, s[2:3], s28, v18
	v_addc_co_u32_e64 v25, s[8:9], v20, v19, s[2:3]
	global_load_ushort v18, v[22:23], off
	global_load_ushort v20, v[24:25], off
	s_mov_b64 s[40:41], -1
	s_waitcnt vmcnt(0)
	v_cmp_eq_u16_e64 s[8:9], v18, v20
	s_and_saveexec_b64 s[38:39], s[8:9]
	s_cbranch_execz .LBB719_98
; %bb.92:
	v_mov_b32_e32 v18, s29
	v_addc_co_u32_e64 v19, s[2:3], v19, v18, s[2:3]
	v_add_co_u32_e64 v18, s[2:3], 2, v24
	v_mov_b32_e32 v20, s29
	v_addc_co_u32_e64 v19, s[2:3], 0, v19, s[2:3]
	v_addc_co_u32_e32 v21, vcc, v21, v20, vcc
	v_add_co_u32_e32 v20, vcc, 2, v22
	s_add_u32 s2, s26, -1
	v_addc_co_u32_e32 v21, vcc, 0, v21, vcc
	s_addc_u32 s3, s27, -1
	s_mov_b64 s[8:9], 0
	s_mov_b64 s[42:43], 0
                                        ; implicit-def: $sgpr40_sgpr41
	s_branch .LBB719_95
.LBB719_93:                             ;   in Loop: Header=BB719_95 Depth=1
	global_load_ushort v22, v[20:21], off
	global_load_ushort v23, v[18:19], off
	v_add_co_u32_e32 v18, vcc, 2, v18
	v_addc_co_u32_e32 v19, vcc, 0, v19, vcc
	v_add_co_u32_e32 v20, vcc, 2, v20
	v_addc_co_u32_e32 v21, vcc, 0, v21, vcc
	s_add_u32 s42, s42, 1
	s_addc_u32 s43, s43, 0
	s_andn2_b64 s[40:41], s[40:41], exec
	s_waitcnt vmcnt(0)
	v_cmp_ne_u16_e32 vcc, v22, v23
	s_and_b64 s[44:45], vcc, exec
	s_or_b64 s[40:41], s[40:41], s[44:45]
.LBB719_94:                             ;   in Loop: Header=BB719_95 Depth=1
	s_and_b64 s[44:45], exec, s[40:41]
	s_or_b64 s[8:9], s[44:45], s[8:9]
	v_pk_mov_b32 v[22:23], s[42:43], s[42:43] op_sel:[0,1]
	s_andn2_b64 exec, exec, s[8:9]
	s_cbranch_execz .LBB719_97
.LBB719_95:                             ; =>This Inner Loop Header: Depth=1
	s_or_b64 s[40:41], s[40:41], exec
	s_cmp_eq_u64 s[2:3], s[42:43]
	s_cbranch_scc0 .LBB719_93
; %bb.96:                               ;   in Loop: Header=BB719_95 Depth=1
                                        ; implicit-def: $vgpr18_vgpr19
                                        ; implicit-def: $vgpr20_vgpr21
	s_mov_b64 s[42:43], s[26:27]
	s_branch .LBB719_94
.LBB719_97:
	s_or_b64 exec, exec, s[8:9]
	v_cmp_gt_i64_e32 vcc, s[26:27], v[22:23]
	s_orn2_b64 s[40:41], vcc, exec
.LBB719_98:
	s_or_b64 exec, exec, s[38:39]
.LBB719_99:
	s_and_b64 s[2:3], s[40:41], exec
.LBB719_100:
	s_or_b64 exec, exec, s[36:37]
	v_cmp_ne_u32_e32 vcc, 0, v0
	s_waitcnt lgkmcnt(0)
	v_pk_mov_b32 v[18:19], s[12:13], s[12:13] op_sel:[0,1]
	s_barrier
	s_and_saveexec_b64 s[8:9], vcc
	s_cbranch_execz .LBB719_102
; %bb.101:
	v_add_u32_e32 v18, -8, v26
	ds_read_b64 v[18:19], v18
.LBB719_102:
	s_or_b64 exec, exec, s[8:9]
	v_cndmask_b32_e64 v21, 0, 1, s[14:15]
	v_cndmask_b32_e64 v20, 0, 1, s[18:19]
	;; [unrolled: 1-line block ×3, first 2 shown]
	v_lshlrev_b16_e32 v21, 8, v21
	v_lshlrev_b16_e32 v26, 8, v22
	v_or_b32_sdwa v27, v20, v21 dst_sel:WORD_1 dst_unused:UNUSED_PAD src0_sel:DWORD src1_sel:DWORD
	v_cmp_gt_u32_e32 vcc, s7, v1
	s_mov_b64 s[18:19], 0
	s_and_saveexec_b64 s[8:9], vcc
	s_cbranch_execz .LBB719_113
; %bb.103:
	s_and_b64 vcc, exec, s[0:1]
	s_mov_b64 s[14:15], 0
	s_cbranch_vccnz .LBB719_112
; %bb.104:
	s_waitcnt lgkmcnt(0)
	v_mul_lo_u32 v20, v19, s26
	v_mul_lo_u32 v21, v18, s27
	v_mad_u64_u32 v[18:19], s[0:1], v18, s26, 0
	v_add3_u32 v19, v19, v21, v20
	v_mul_lo_u32 v20, v15, s26
	v_mul_lo_u32 v21, v14, s27
	v_mad_u64_u32 v[24:25], s[0:1], v14, s26, 0
	v_add3_u32 v25, v25, v21, v20
	v_lshlrev_b64 v[20:21], 1, v[18:19]
	v_mov_b32_e32 v18, s29
	v_add_co_u32_e32 v22, vcc, s28, v20
	v_addc_co_u32_e64 v23, s[0:1], v18, v21, vcc
	v_lshlrev_b64 v[18:19], 1, v[24:25]
	v_mov_b32_e32 v20, s29
	v_add_co_u32_e64 v24, s[0:1], s28, v18
	v_addc_co_u32_e64 v25, s[2:3], v20, v19, s[0:1]
	global_load_ushort v18, v[22:23], off
	global_load_ushort v20, v[24:25], off
	s_mov_b64 s[14:15], -1
	s_waitcnt vmcnt(0)
	v_cmp_eq_u16_e64 s[2:3], v18, v20
	s_and_saveexec_b64 s[12:13], s[2:3]
	s_cbranch_execz .LBB719_111
; %bb.105:
	v_mov_b32_e32 v18, s29
	v_addc_co_u32_e64 v19, s[0:1], v19, v18, s[0:1]
	v_add_co_u32_e64 v18, s[0:1], 2, v24
	v_mov_b32_e32 v20, s29
	v_addc_co_u32_e64 v19, s[0:1], 0, v19, s[0:1]
	v_addc_co_u32_e32 v21, vcc, v21, v20, vcc
	v_add_co_u32_e32 v20, vcc, 2, v22
	s_add_u32 s0, s26, -1
	v_addc_co_u32_e32 v21, vcc, 0, v21, vcc
	s_addc_u32 s1, s27, -1
	s_mov_b64 s[2:3], 0
                                        ; implicit-def: $sgpr14_sgpr15
	s_branch .LBB719_108
.LBB719_106:                            ;   in Loop: Header=BB719_108 Depth=1
	global_load_ushort v22, v[20:21], off
	global_load_ushort v23, v[18:19], off
	v_add_co_u32_e32 v18, vcc, 2, v18
	v_addc_co_u32_e32 v19, vcc, 0, v19, vcc
	v_add_co_u32_e32 v20, vcc, 2, v20
	v_addc_co_u32_e32 v21, vcc, 0, v21, vcc
	s_add_u32 s18, s18, 1
	s_addc_u32 s19, s19, 0
	s_andn2_b64 s[14:15], s[14:15], exec
	s_waitcnt vmcnt(0)
	v_cmp_ne_u16_e32 vcc, v22, v23
	s_and_b64 s[36:37], vcc, exec
	s_or_b64 s[14:15], s[14:15], s[36:37]
.LBB719_107:                            ;   in Loop: Header=BB719_108 Depth=1
	s_and_b64 s[36:37], exec, s[14:15]
	s_or_b64 s[2:3], s[36:37], s[2:3]
	v_pk_mov_b32 v[22:23], s[18:19], s[18:19] op_sel:[0,1]
	s_andn2_b64 exec, exec, s[2:3]
	s_cbranch_execz .LBB719_110
.LBB719_108:                            ; =>This Inner Loop Header: Depth=1
	s_or_b64 s[14:15], s[14:15], exec
	s_cmp_eq_u64 s[0:1], s[18:19]
	s_cbranch_scc0 .LBB719_106
; %bb.109:                              ;   in Loop: Header=BB719_108 Depth=1
                                        ; implicit-def: $vgpr18_vgpr19
                                        ; implicit-def: $vgpr20_vgpr21
	s_mov_b64 s[18:19], s[26:27]
	s_branch .LBB719_107
.LBB719_110:
	s_or_b64 exec, exec, s[2:3]
	v_cmp_gt_i64_e32 vcc, s[26:27], v[22:23]
	s_orn2_b64 s[14:15], vcc, exec
.LBB719_111:
	s_or_b64 exec, exec, s[12:13]
.LBB719_112:
	s_and_b64 s[18:19], s[14:15], exec
.LBB719_113:
	s_or_b64 exec, exec, s[8:9]
	v_or_b32_e32 v28, v26, v27
.LBB719_114:
	s_waitcnt lgkmcnt(0)
	s_mov_b64 s[12:13], -1
	s_cbranch_execnz .LBB719_203
.LBB719_115:
	v_lshlrev_b32_e32 v29, 3, v0
	s_mov_b64 s[18:19], 0
	v_cmp_gt_i64_e64 s[14:15], s[26:27], 0
	s_and_b64 vcc, exec, s[34:35]
	ds_write_b64 v29, v[12:13]
	s_cbranch_vccz .LBB719_123
; %bb.116:
	v_mul_lo_u32 v20, v11, s26
	v_mul_lo_u32 v21, v10, s27
	v_mad_u64_u32 v[18:19], s[0:1], v10, s26, 0
	v_add3_u32 v19, v19, v21, v20
	v_cndmask_b32_e64 v20, 0, 1, s[14:15]
	v_cmp_ne_u32_e64 s[0:1], 1, v20
	s_andn2_b64 vcc, exec, s[14:15]
	v_lshlrev_b64 v[18:19], 1, v[18:19]
	s_cbranch_vccnz .LBB719_126
; %bb.117:
	v_mul_lo_u32 v22, v13, s26
	v_mul_lo_u32 v23, v12, s27
	v_mad_u64_u32 v[20:21], s[2:3], v12, s26, 0
	v_add3_u32 v21, v21, v23, v22
	v_mov_b32_e32 v23, s29
	v_add_co_u32_e32 v22, vcc, s28, v18
	v_addc_co_u32_e64 v23, s[2:3], v23, v19, vcc
	v_lshlrev_b64 v[20:21], 1, v[20:21]
	v_mov_b32_e32 v25, s29
	v_add_co_u32_e64 v24, s[2:3], s28, v20
	v_addc_co_u32_e64 v25, s[8:9], v25, v21, s[2:3]
	global_load_ushort v20, v[22:23], off
	global_load_ushort v26, v[24:25], off
	s_mov_b64 s[18:19], -1
	s_waitcnt vmcnt(0)
	v_cmp_eq_u16_e64 s[8:9], v20, v26
	s_and_saveexec_b64 s[36:37], s[8:9]
	s_cbranch_execz .LBB719_125
; %bb.118:
	v_mov_b32_e32 v20, s29
	v_addc_co_u32_e64 v21, s[2:3], v21, v20, s[2:3]
	v_add_co_u32_e64 v20, s[2:3], 2, v24
	v_mov_b32_e32 v23, s29
	v_addc_co_u32_e64 v21, s[2:3], 0, v21, s[2:3]
	v_addc_co_u32_e32 v23, vcc, v19, v23, vcc
	v_add_co_u32_e32 v22, vcc, 2, v22
	s_add_u32 s2, s26, -1
	v_addc_co_u32_e32 v23, vcc, 0, v23, vcc
	s_addc_u32 s3, s27, -1
	s_mov_b64 s[8:9], 0
	s_mov_b64 s[38:39], 0
                                        ; implicit-def: $sgpr18_sgpr19
	s_branch .LBB719_121
.LBB719_119:                            ;   in Loop: Header=BB719_121 Depth=1
	global_load_ushort v24, v[22:23], off
	global_load_ushort v25, v[20:21], off
	v_add_co_u32_e32 v20, vcc, 2, v20
	v_addc_co_u32_e32 v21, vcc, 0, v21, vcc
	v_add_co_u32_e32 v22, vcc, 2, v22
	v_addc_co_u32_e32 v23, vcc, 0, v23, vcc
	s_add_u32 s38, s38, 1
	s_addc_u32 s39, s39, 0
	s_andn2_b64 s[18:19], s[18:19], exec
	s_waitcnt vmcnt(0)
	v_cmp_ne_u16_e32 vcc, v24, v25
	s_and_b64 s[40:41], vcc, exec
	s_or_b64 s[18:19], s[18:19], s[40:41]
.LBB719_120:                            ;   in Loop: Header=BB719_121 Depth=1
	s_and_b64 s[40:41], exec, s[18:19]
	s_or_b64 s[8:9], s[40:41], s[8:9]
	v_pk_mov_b32 v[24:25], s[38:39], s[38:39] op_sel:[0,1]
	s_andn2_b64 exec, exec, s[8:9]
	s_cbranch_execz .LBB719_124
.LBB719_121:                            ; =>This Inner Loop Header: Depth=1
	s_or_b64 s[18:19], s[18:19], exec
	s_cmp_eq_u64 s[2:3], s[38:39]
	s_cbranch_scc0 .LBB719_119
; %bb.122:                              ;   in Loop: Header=BB719_121 Depth=1
                                        ; implicit-def: $vgpr20_vgpr21
                                        ; implicit-def: $vgpr22_vgpr23
	s_mov_b64 s[38:39], s[26:27]
	s_branch .LBB719_120
.LBB719_123:
                                        ; implicit-def: $sgpr18_sgpr19
                                        ; implicit-def: $vgpr28
	s_cbranch_execnz .LBB719_156
	s_branch .LBB719_203
.LBB719_124:
	s_or_b64 exec, exec, s[8:9]
	v_cmp_gt_i64_e32 vcc, s[26:27], v[24:25]
	s_orn2_b64 s[18:19], vcc, exec
.LBB719_125:
	s_or_b64 exec, exec, s[36:37]
.LBB719_126:
	v_mul_lo_u32 v22, v17, s26
	v_mul_lo_u32 v23, v16, s27
	v_mad_u64_u32 v[20:21], s[2:3], v16, s26, 0
	v_add3_u32 v21, v21, v23, v22
	s_mov_b64 s[36:37], 0
	s_and_b64 vcc, exec, s[0:1]
	v_lshlrev_b64 v[20:21], 1, v[20:21]
	s_mov_b64 s[38:39], 0
	s_cbranch_vccnz .LBB719_135
; %bb.127:
	v_mov_b32_e32 v23, s29
	v_add_co_u32_e32 v22, vcc, s28, v20
	v_addc_co_u32_e64 v23, s[2:3], v23, v21, vcc
	v_mov_b32_e32 v25, s29
	v_add_co_u32_e64 v24, s[2:3], s28, v18
	v_addc_co_u32_e64 v25, s[8:9], v25, v19, s[2:3]
	global_load_ushort v18, v[22:23], off
	global_load_ushort v26, v[24:25], off
	s_mov_b64 s[38:39], -1
	s_waitcnt vmcnt(0)
	v_cmp_eq_u16_e64 s[8:9], v18, v26
	s_and_saveexec_b64 s[40:41], s[8:9]
	s_cbranch_execz .LBB719_134
; %bb.128:
	v_mov_b32_e32 v18, s29
	v_addc_co_u32_e64 v19, s[2:3], v19, v18, s[2:3]
	v_add_co_u32_e64 v18, s[2:3], 2, v24
	v_mov_b32_e32 v23, s29
	v_addc_co_u32_e64 v19, s[2:3], 0, v19, s[2:3]
	v_addc_co_u32_e32 v23, vcc, v21, v23, vcc
	v_add_co_u32_e32 v22, vcc, 2, v22
	s_add_u32 s2, s26, -1
	v_addc_co_u32_e32 v23, vcc, 0, v23, vcc
	s_addc_u32 s3, s27, -1
	s_mov_b64 s[8:9], 0
	s_mov_b64 s[42:43], 0
                                        ; implicit-def: $sgpr38_sgpr39
	s_branch .LBB719_131
.LBB719_129:                            ;   in Loop: Header=BB719_131 Depth=1
	global_load_ushort v24, v[22:23], off
	global_load_ushort v25, v[18:19], off
	v_add_co_u32_e32 v18, vcc, 2, v18
	v_addc_co_u32_e32 v19, vcc, 0, v19, vcc
	v_add_co_u32_e32 v22, vcc, 2, v22
	v_addc_co_u32_e32 v23, vcc, 0, v23, vcc
	s_add_u32 s42, s42, 1
	s_addc_u32 s43, s43, 0
	s_andn2_b64 s[38:39], s[38:39], exec
	s_waitcnt vmcnt(0)
	v_cmp_ne_u16_e32 vcc, v24, v25
	s_and_b64 s[44:45], vcc, exec
	s_or_b64 s[38:39], s[38:39], s[44:45]
.LBB719_130:                            ;   in Loop: Header=BB719_131 Depth=1
	s_and_b64 s[44:45], exec, s[38:39]
	s_or_b64 s[8:9], s[44:45], s[8:9]
	v_pk_mov_b32 v[24:25], s[42:43], s[42:43] op_sel:[0,1]
	s_andn2_b64 exec, exec, s[8:9]
	s_cbranch_execz .LBB719_133
.LBB719_131:                            ; =>This Inner Loop Header: Depth=1
	s_or_b64 s[38:39], s[38:39], exec
	s_cmp_eq_u64 s[2:3], s[42:43]
	s_cbranch_scc0 .LBB719_129
; %bb.132:                              ;   in Loop: Header=BB719_131 Depth=1
                                        ; implicit-def: $vgpr18_vgpr19
                                        ; implicit-def: $vgpr22_vgpr23
	s_mov_b64 s[42:43], s[26:27]
	s_branch .LBB719_130
.LBB719_133:
	s_or_b64 exec, exec, s[8:9]
	v_cmp_gt_i64_e32 vcc, s[26:27], v[24:25]
	s_orn2_b64 s[38:39], vcc, exec
.LBB719_134:
	s_or_b64 exec, exec, s[40:41]
.LBB719_135:
	v_mul_lo_u32 v22, v15, s26
	v_mul_lo_u32 v23, v14, s27
	v_mad_u64_u32 v[18:19], s[2:3], v14, s26, 0
	s_and_b64 vcc, exec, s[0:1]
	v_add3_u32 v19, v19, v23, v22
	s_cbranch_vccnz .LBB719_144
; %bb.136:
	v_lshlrev_b64 v[22:23], 1, v[18:19]
	v_mov_b32_e32 v25, s29
	v_add_co_u32_e32 v24, vcc, s28, v22
	v_addc_co_u32_e64 v25, s[2:3], v25, v23, vcc
	v_mov_b32_e32 v22, s29
	v_add_co_u32_e64 v26, s[2:3], s28, v20
	v_addc_co_u32_e64 v27, s[8:9], v22, v21, s[2:3]
	global_load_ushort v20, v[24:25], off
	global_load_ushort v22, v[26:27], off
	s_mov_b64 s[36:37], -1
	s_waitcnt vmcnt(0)
	v_cmp_eq_u16_e64 s[8:9], v20, v22
	s_and_saveexec_b64 s[40:41], s[8:9]
	s_cbranch_execz .LBB719_143
; %bb.137:
	v_mov_b32_e32 v20, s29
	v_addc_co_u32_e64 v21, s[2:3], v21, v20, s[2:3]
	v_add_co_u32_e64 v20, s[2:3], 2, v26
	v_mov_b32_e32 v22, s29
	v_addc_co_u32_e64 v21, s[2:3], 0, v21, s[2:3]
	v_addc_co_u32_e32 v23, vcc, v23, v22, vcc
	v_add_co_u32_e32 v22, vcc, 2, v24
	s_add_u32 s2, s26, -1
	v_addc_co_u32_e32 v23, vcc, 0, v23, vcc
	s_addc_u32 s3, s27, -1
	s_mov_b64 s[8:9], 0
	s_mov_b64 s[42:43], 0
                                        ; implicit-def: $sgpr36_sgpr37
	s_branch .LBB719_140
.LBB719_138:                            ;   in Loop: Header=BB719_140 Depth=1
	global_load_ushort v24, v[22:23], off
	global_load_ushort v25, v[20:21], off
	v_add_co_u32_e32 v20, vcc, 2, v20
	v_addc_co_u32_e32 v21, vcc, 0, v21, vcc
	v_add_co_u32_e32 v22, vcc, 2, v22
	v_addc_co_u32_e32 v23, vcc, 0, v23, vcc
	s_add_u32 s42, s42, 1
	s_addc_u32 s43, s43, 0
	s_andn2_b64 s[36:37], s[36:37], exec
	s_waitcnt vmcnt(0)
	v_cmp_ne_u16_e32 vcc, v24, v25
	s_and_b64 s[44:45], vcc, exec
	s_or_b64 s[36:37], s[36:37], s[44:45]
.LBB719_139:                            ;   in Loop: Header=BB719_140 Depth=1
	s_and_b64 s[44:45], exec, s[36:37]
	s_or_b64 s[8:9], s[44:45], s[8:9]
	v_pk_mov_b32 v[24:25], s[42:43], s[42:43] op_sel:[0,1]
	s_andn2_b64 exec, exec, s[8:9]
	s_cbranch_execz .LBB719_142
.LBB719_140:                            ; =>This Inner Loop Header: Depth=1
	s_or_b64 s[36:37], s[36:37], exec
	s_cmp_eq_u64 s[2:3], s[42:43]
	s_cbranch_scc0 .LBB719_138
; %bb.141:                              ;   in Loop: Header=BB719_140 Depth=1
                                        ; implicit-def: $vgpr20_vgpr21
                                        ; implicit-def: $vgpr22_vgpr23
	s_mov_b64 s[42:43], s[26:27]
	s_branch .LBB719_139
.LBB719_142:
	s_or_b64 exec, exec, s[8:9]
	v_cmp_gt_i64_e32 vcc, s[26:27], v[24:25]
	s_orn2_b64 s[36:37], vcc, exec
.LBB719_143:
	s_or_b64 exec, exec, s[40:41]
.LBB719_144:
	v_cndmask_b32_e64 v21, 0, 1, s[18:19]
	v_cndmask_b32_e64 v22, 0, 1, s[36:37]
	v_cndmask_b32_e64 v20, 0, 1, s[38:39]
	v_lshlrev_b16_e32 v22, 8, v22
	v_lshlrev_b16_e32 v21, 8, v21
	v_or_b32_e32 v22, 1, v22
	v_or_b32_sdwa v20, v20, v21 dst_sel:WORD_1 dst_unused:UNUSED_PAD src0_sel:DWORD src1_sel:DWORD
	v_or_b32_sdwa v28, v22, v20 dst_sel:DWORD dst_unused:UNUSED_PAD src0_sel:WORD_0 src1_sel:DWORD
	v_cmp_ne_u32_e32 vcc, 0, v0
	s_waitcnt lgkmcnt(0)
	s_barrier
	s_waitcnt lgkmcnt(0)
                                        ; implicit-def: $sgpr18_sgpr19
	s_and_saveexec_b64 s[2:3], vcc
	s_xor_b64 s[8:9], exec, s[2:3]
	s_cbranch_execz .LBB719_155
; %bb.145:
	s_and_b64 vcc, exec, s[0:1]
	s_mov_b64 s[36:37], 0
	s_cbranch_vccnz .LBB719_154
; %bb.146:
	v_add_u32_e32 v20, -8, v29
	ds_read_b64 v[20:21], v20
	v_mov_b32_e32 v23, s29
	v_lshlrev_b64 v[18:19], 1, v[18:19]
	s_mov_b64 s[36:37], -1
	s_waitcnt lgkmcnt(0)
	v_mul_lo_u32 v22, v21, s26
	v_mul_lo_u32 v24, v20, s27
	v_mad_u64_u32 v[20:21], s[0:1], v20, s26, 0
	v_add3_u32 v21, v21, v24, v22
	v_lshlrev_b64 v[20:21], 1, v[20:21]
	v_add_co_u32_e32 v22, vcc, s28, v20
	v_addc_co_u32_e64 v23, s[0:1], v23, v21, vcc
	v_mov_b32_e32 v20, s29
	v_add_co_u32_e64 v24, s[0:1], s28, v18
	v_addc_co_u32_e64 v25, s[2:3], v20, v19, s[0:1]
	global_load_ushort v18, v[22:23], off
	global_load_ushort v20, v[24:25], off
	s_waitcnt vmcnt(0)
	v_cmp_eq_u16_e64 s[2:3], v18, v20
	s_and_saveexec_b64 s[18:19], s[2:3]
	s_cbranch_execz .LBB719_153
; %bb.147:
	v_mov_b32_e32 v18, s29
	v_addc_co_u32_e64 v19, s[0:1], v19, v18, s[0:1]
	v_add_co_u32_e64 v18, s[0:1], 2, v24
	v_mov_b32_e32 v20, s29
	v_addc_co_u32_e64 v19, s[0:1], 0, v19, s[0:1]
	v_addc_co_u32_e32 v21, vcc, v21, v20, vcc
	v_add_co_u32_e32 v20, vcc, 2, v22
	s_add_u32 s0, s26, -1
	v_addc_co_u32_e32 v21, vcc, 0, v21, vcc
	s_addc_u32 s1, s27, -1
	s_mov_b64 s[2:3], 0
	s_mov_b64 s[38:39], 0
                                        ; implicit-def: $sgpr36_sgpr37
	s_branch .LBB719_150
.LBB719_148:                            ;   in Loop: Header=BB719_150 Depth=1
	global_load_ushort v22, v[20:21], off
	global_load_ushort v23, v[18:19], off
	v_add_co_u32_e32 v18, vcc, 2, v18
	v_addc_co_u32_e32 v19, vcc, 0, v19, vcc
	v_add_co_u32_e32 v20, vcc, 2, v20
	v_addc_co_u32_e32 v21, vcc, 0, v21, vcc
	s_add_u32 s38, s38, 1
	s_addc_u32 s39, s39, 0
	s_andn2_b64 s[36:37], s[36:37], exec
	s_waitcnt vmcnt(0)
	v_cmp_ne_u16_e32 vcc, v22, v23
	s_and_b64 s[40:41], vcc, exec
	s_or_b64 s[36:37], s[36:37], s[40:41]
.LBB719_149:                            ;   in Loop: Header=BB719_150 Depth=1
	s_and_b64 s[40:41], exec, s[36:37]
	s_or_b64 s[2:3], s[40:41], s[2:3]
	v_pk_mov_b32 v[22:23], s[38:39], s[38:39] op_sel:[0,1]
	s_andn2_b64 exec, exec, s[2:3]
	s_cbranch_execz .LBB719_152
.LBB719_150:                            ; =>This Inner Loop Header: Depth=1
	s_or_b64 s[36:37], s[36:37], exec
	s_cmp_eq_u64 s[0:1], s[38:39]
	s_cbranch_scc0 .LBB719_148
; %bb.151:                              ;   in Loop: Header=BB719_150 Depth=1
                                        ; implicit-def: $vgpr18_vgpr19
                                        ; implicit-def: $vgpr20_vgpr21
	s_mov_b64 s[38:39], s[26:27]
	s_branch .LBB719_149
.LBB719_152:
	s_or_b64 exec, exec, s[2:3]
	v_cmp_gt_i64_e32 vcc, s[26:27], v[22:23]
	s_orn2_b64 s[36:37], vcc, exec
.LBB719_153:
	s_or_b64 exec, exec, s[18:19]
.LBB719_154:
	s_and_b64 s[18:19], s[36:37], exec
	s_or_b64 s[12:13], s[12:13], exec
.LBB719_155:
	s_or_b64 exec, exec, s[8:9]
	s_branch .LBB719_203
.LBB719_156:
	v_or_b32_e32 v18, 3, v1
	v_cmp_gt_u32_e32 vcc, s7, v18
	s_mov_b64 s[18:19], 0
	s_mov_b64 s[8:9], 0
	s_and_saveexec_b64 s[36:37], vcc
	s_cbranch_execz .LBB719_167
; %bb.157:
	s_andn2_b64 vcc, exec, s[14:15]
	s_mov_b64 s[38:39], 0
	s_cbranch_vccnz .LBB719_166
; %bb.158:
	v_mul_lo_u32 v20, v11, s26
	v_mul_lo_u32 v21, v10, s27
	v_mad_u64_u32 v[18:19], s[0:1], v10, s26, 0
	v_add3_u32 v19, v19, v21, v20
	v_mul_lo_u32 v20, v13, s26
	v_mul_lo_u32 v21, v12, s27
	v_mad_u64_u32 v[24:25], s[0:1], v12, s26, 0
	v_add3_u32 v25, v25, v21, v20
	v_lshlrev_b64 v[20:21], 1, v[18:19]
	v_mov_b32_e32 v18, s29
	v_add_co_u32_e32 v22, vcc, s28, v20
	v_addc_co_u32_e64 v23, s[0:1], v18, v21, vcc
	v_lshlrev_b64 v[18:19], 1, v[24:25]
	v_mov_b32_e32 v20, s29
	v_add_co_u32_e64 v24, s[0:1], s28, v18
	v_addc_co_u32_e64 v25, s[2:3], v20, v19, s[0:1]
	global_load_ushort v18, v[22:23], off
	global_load_ushort v20, v[24:25], off
	s_mov_b64 s[38:39], -1
	s_waitcnt vmcnt(0)
	v_cmp_eq_u16_e64 s[2:3], v18, v20
	s_and_saveexec_b64 s[8:9], s[2:3]
	s_cbranch_execz .LBB719_165
; %bb.159:
	v_mov_b32_e32 v18, s29
	v_addc_co_u32_e64 v19, s[0:1], v19, v18, s[0:1]
	v_add_co_u32_e64 v18, s[0:1], 2, v24
	v_mov_b32_e32 v20, s29
	v_addc_co_u32_e64 v19, s[0:1], 0, v19, s[0:1]
	v_addc_co_u32_e32 v21, vcc, v21, v20, vcc
	v_add_co_u32_e32 v20, vcc, 2, v22
	s_add_u32 s0, s26, -1
	v_addc_co_u32_e32 v21, vcc, 0, v21, vcc
	s_addc_u32 s1, s27, -1
	s_mov_b64 s[2:3], 0
	s_mov_b64 s[40:41], 0
                                        ; implicit-def: $sgpr38_sgpr39
	s_branch .LBB719_162
.LBB719_160:                            ;   in Loop: Header=BB719_162 Depth=1
	global_load_ushort v22, v[20:21], off
	global_load_ushort v23, v[18:19], off
	v_add_co_u32_e32 v18, vcc, 2, v18
	v_addc_co_u32_e32 v19, vcc, 0, v19, vcc
	v_add_co_u32_e32 v20, vcc, 2, v20
	v_addc_co_u32_e32 v21, vcc, 0, v21, vcc
	s_add_u32 s40, s40, 1
	s_addc_u32 s41, s41, 0
	s_andn2_b64 s[38:39], s[38:39], exec
	s_waitcnt vmcnt(0)
	v_cmp_ne_u16_e32 vcc, v22, v23
	s_and_b64 s[42:43], vcc, exec
	s_or_b64 s[38:39], s[38:39], s[42:43]
.LBB719_161:                            ;   in Loop: Header=BB719_162 Depth=1
	s_and_b64 s[42:43], exec, s[38:39]
	s_or_b64 s[2:3], s[42:43], s[2:3]
	v_pk_mov_b32 v[22:23], s[40:41], s[40:41] op_sel:[0,1]
	s_andn2_b64 exec, exec, s[2:3]
	s_cbranch_execz .LBB719_164
.LBB719_162:                            ; =>This Inner Loop Header: Depth=1
	s_or_b64 s[38:39], s[38:39], exec
	s_cmp_eq_u64 s[0:1], s[40:41]
	s_cbranch_scc0 .LBB719_160
; %bb.163:                              ;   in Loop: Header=BB719_162 Depth=1
                                        ; implicit-def: $vgpr18_vgpr19
                                        ; implicit-def: $vgpr20_vgpr21
	s_mov_b64 s[40:41], s[26:27]
	s_branch .LBB719_161
.LBB719_164:
	s_or_b64 exec, exec, s[2:3]
	v_cmp_gt_i64_e32 vcc, s[26:27], v[22:23]
	s_orn2_b64 s[38:39], vcc, exec
.LBB719_165:
	s_or_b64 exec, exec, s[8:9]
.LBB719_166:
	s_and_b64 s[8:9], s[38:39], exec
.LBB719_167:
	s_or_b64 exec, exec, s[36:37]
	v_or_b32_e32 v18, 2, v1
	v_cmp_gt_u32_e32 vcc, s7, v18
	s_and_saveexec_b64 s[36:37], vcc
	s_cbranch_execz .LBB719_178
; %bb.168:
	s_andn2_b64 vcc, exec, s[14:15]
	s_mov_b64 s[38:39], 0
	s_cbranch_vccnz .LBB719_177
; %bb.169:
	v_mul_lo_u32 v20, v17, s26
	v_mul_lo_u32 v21, v16, s27
	v_mad_u64_u32 v[18:19], s[0:1], v16, s26, 0
	v_add3_u32 v19, v19, v21, v20
	v_mul_lo_u32 v20, v11, s26
	v_mul_lo_u32 v21, v10, s27
	v_mad_u64_u32 v[24:25], s[0:1], v10, s26, 0
	v_add3_u32 v25, v25, v21, v20
	v_lshlrev_b64 v[20:21], 1, v[18:19]
	v_mov_b32_e32 v18, s29
	v_add_co_u32_e32 v22, vcc, s28, v20
	v_addc_co_u32_e64 v23, s[0:1], v18, v21, vcc
	v_lshlrev_b64 v[18:19], 1, v[24:25]
	v_mov_b32_e32 v20, s29
	v_add_co_u32_e64 v24, s[0:1], s28, v18
	v_addc_co_u32_e64 v25, s[2:3], v20, v19, s[0:1]
	global_load_ushort v18, v[22:23], off
	global_load_ushort v20, v[24:25], off
	s_mov_b64 s[38:39], -1
	s_waitcnt vmcnt(0)
	v_cmp_eq_u16_e64 s[2:3], v18, v20
	s_and_saveexec_b64 s[18:19], s[2:3]
	s_cbranch_execz .LBB719_176
; %bb.170:
	v_mov_b32_e32 v18, s29
	v_addc_co_u32_e64 v19, s[0:1], v19, v18, s[0:1]
	v_add_co_u32_e64 v18, s[0:1], 2, v24
	v_mov_b32_e32 v20, s29
	v_addc_co_u32_e64 v19, s[0:1], 0, v19, s[0:1]
	v_addc_co_u32_e32 v21, vcc, v21, v20, vcc
	v_add_co_u32_e32 v20, vcc, 2, v22
	s_add_u32 s0, s26, -1
	v_addc_co_u32_e32 v21, vcc, 0, v21, vcc
	s_addc_u32 s1, s27, -1
	s_mov_b64 s[2:3], 0
	s_mov_b64 s[40:41], 0
                                        ; implicit-def: $sgpr38_sgpr39
	s_branch .LBB719_173
.LBB719_171:                            ;   in Loop: Header=BB719_173 Depth=1
	global_load_ushort v22, v[20:21], off
	global_load_ushort v23, v[18:19], off
	v_add_co_u32_e32 v18, vcc, 2, v18
	v_addc_co_u32_e32 v19, vcc, 0, v19, vcc
	v_add_co_u32_e32 v20, vcc, 2, v20
	v_addc_co_u32_e32 v21, vcc, 0, v21, vcc
	s_add_u32 s40, s40, 1
	s_addc_u32 s41, s41, 0
	s_andn2_b64 s[38:39], s[38:39], exec
	s_waitcnt vmcnt(0)
	v_cmp_ne_u16_e32 vcc, v22, v23
	s_and_b64 s[42:43], vcc, exec
	s_or_b64 s[38:39], s[38:39], s[42:43]
.LBB719_172:                            ;   in Loop: Header=BB719_173 Depth=1
	s_and_b64 s[42:43], exec, s[38:39]
	s_or_b64 s[2:3], s[42:43], s[2:3]
	v_pk_mov_b32 v[22:23], s[40:41], s[40:41] op_sel:[0,1]
	s_andn2_b64 exec, exec, s[2:3]
	s_cbranch_execz .LBB719_175
.LBB719_173:                            ; =>This Inner Loop Header: Depth=1
	s_or_b64 s[38:39], s[38:39], exec
	s_cmp_eq_u64 s[0:1], s[40:41]
	s_cbranch_scc0 .LBB719_171
; %bb.174:                              ;   in Loop: Header=BB719_173 Depth=1
                                        ; implicit-def: $vgpr18_vgpr19
                                        ; implicit-def: $vgpr20_vgpr21
	s_mov_b64 s[40:41], s[26:27]
	s_branch .LBB719_172
.LBB719_175:
	s_or_b64 exec, exec, s[2:3]
	v_cmp_gt_i64_e32 vcc, s[26:27], v[22:23]
	s_orn2_b64 s[38:39], vcc, exec
.LBB719_176:
	s_or_b64 exec, exec, s[18:19]
.LBB719_177:
	s_and_b64 s[18:19], s[38:39], exec
.LBB719_178:
	s_or_b64 exec, exec, s[36:37]
	v_or_b32_e32 v18, 1, v1
	v_cmp_gt_u32_e32 vcc, s7, v18
	s_mov_b64 s[0:1], 0
	s_and_saveexec_b64 s[36:37], vcc
	s_cbranch_execz .LBB719_189
; %bb.179:
	s_andn2_b64 vcc, exec, s[14:15]
	s_mov_b64 s[40:41], 0
	s_cbranch_vccnz .LBB719_188
; %bb.180:
	v_mul_lo_u32 v20, v15, s26
	v_mul_lo_u32 v21, v14, s27
	v_mad_u64_u32 v[18:19], s[0:1], v14, s26, 0
	v_add3_u32 v19, v19, v21, v20
	v_mul_lo_u32 v20, v17, s26
	v_mul_lo_u32 v21, v16, s27
	v_mad_u64_u32 v[24:25], s[0:1], v16, s26, 0
	v_add3_u32 v25, v25, v21, v20
	v_lshlrev_b64 v[20:21], 1, v[18:19]
	v_mov_b32_e32 v18, s29
	v_add_co_u32_e32 v22, vcc, s28, v20
	v_addc_co_u32_e64 v23, s[0:1], v18, v21, vcc
	v_lshlrev_b64 v[18:19], 1, v[24:25]
	v_mov_b32_e32 v20, s29
	v_add_co_u32_e64 v24, s[0:1], s28, v18
	v_addc_co_u32_e64 v25, s[2:3], v20, v19, s[0:1]
	global_load_ushort v18, v[22:23], off
	global_load_ushort v20, v[24:25], off
	s_mov_b64 s[40:41], -1
	s_waitcnt vmcnt(0)
	v_cmp_eq_u16_e64 s[2:3], v18, v20
	s_and_saveexec_b64 s[38:39], s[2:3]
	s_cbranch_execz .LBB719_187
; %bb.181:
	v_mov_b32_e32 v18, s29
	v_addc_co_u32_e64 v19, s[0:1], v19, v18, s[0:1]
	v_add_co_u32_e64 v18, s[0:1], 2, v24
	v_mov_b32_e32 v20, s29
	v_addc_co_u32_e64 v19, s[0:1], 0, v19, s[0:1]
	v_addc_co_u32_e32 v21, vcc, v21, v20, vcc
	v_add_co_u32_e32 v20, vcc, 2, v22
	s_add_u32 s0, s26, -1
	v_addc_co_u32_e32 v21, vcc, 0, v21, vcc
	s_addc_u32 s1, s27, -1
	s_mov_b64 s[2:3], 0
	s_mov_b64 s[42:43], 0
                                        ; implicit-def: $sgpr40_sgpr41
	s_branch .LBB719_184
.LBB719_182:                            ;   in Loop: Header=BB719_184 Depth=1
	global_load_ushort v22, v[20:21], off
	global_load_ushort v23, v[18:19], off
	v_add_co_u32_e32 v18, vcc, 2, v18
	v_addc_co_u32_e32 v19, vcc, 0, v19, vcc
	v_add_co_u32_e32 v20, vcc, 2, v20
	v_addc_co_u32_e32 v21, vcc, 0, v21, vcc
	s_add_u32 s42, s42, 1
	s_addc_u32 s43, s43, 0
	s_andn2_b64 s[40:41], s[40:41], exec
	s_waitcnt vmcnt(0)
	v_cmp_ne_u16_e32 vcc, v22, v23
	s_and_b64 s[44:45], vcc, exec
	s_or_b64 s[40:41], s[40:41], s[44:45]
.LBB719_183:                            ;   in Loop: Header=BB719_184 Depth=1
	s_and_b64 s[44:45], exec, s[40:41]
	s_or_b64 s[2:3], s[44:45], s[2:3]
	v_pk_mov_b32 v[22:23], s[42:43], s[42:43] op_sel:[0,1]
	s_andn2_b64 exec, exec, s[2:3]
	s_cbranch_execz .LBB719_186
.LBB719_184:                            ; =>This Inner Loop Header: Depth=1
	s_or_b64 s[40:41], s[40:41], exec
	s_cmp_eq_u64 s[0:1], s[42:43]
	s_cbranch_scc0 .LBB719_182
; %bb.185:                              ;   in Loop: Header=BB719_184 Depth=1
                                        ; implicit-def: $vgpr18_vgpr19
                                        ; implicit-def: $vgpr20_vgpr21
	s_mov_b64 s[42:43], s[26:27]
	s_branch .LBB719_183
.LBB719_186:
	s_or_b64 exec, exec, s[2:3]
	v_cmp_gt_i64_e32 vcc, s[26:27], v[22:23]
	s_orn2_b64 s[40:41], vcc, exec
.LBB719_187:
	s_or_b64 exec, exec, s[38:39]
.LBB719_188:
	s_and_b64 s[0:1], s[40:41], exec
.LBB719_189:
	s_or_b64 exec, exec, s[36:37]
	v_cndmask_b32_e64 v19, 0, 1, s[8:9]
	v_cndmask_b32_e64 v20, 0, 1, s[0:1]
	;; [unrolled: 1-line block ×3, first 2 shown]
	v_lshlrev_b16_e32 v20, 8, v20
	v_lshlrev_b16_e32 v19, 8, v19
	v_or_b32_e32 v20, 1, v20
	v_or_b32_sdwa v18, v18, v19 dst_sel:WORD_1 dst_unused:UNUSED_PAD src0_sel:DWORD src1_sel:DWORD
	v_or_b32_sdwa v28, v20, v18 dst_sel:DWORD dst_unused:UNUSED_PAD src0_sel:WORD_0 src1_sel:DWORD
	v_cmp_ne_u32_e32 vcc, 0, v0
	s_waitcnt lgkmcnt(0)
	s_barrier
	s_waitcnt lgkmcnt(0)
                                        ; implicit-def: $sgpr18_sgpr19
	s_and_saveexec_b64 s[8:9], vcc
	s_cbranch_execz .LBB719_202
; %bb.190:
	v_cmp_gt_u32_e32 vcc, s7, v1
	s_mov_b64 s[0:1], 0
	s_and_saveexec_b64 s[18:19], vcc
	s_cbranch_execz .LBB719_201
; %bb.191:
	s_andn2_b64 vcc, exec, s[14:15]
	s_mov_b64 s[36:37], 0
	s_cbranch_vccnz .LBB719_200
; %bb.192:
	v_add_u32_e32 v18, -8, v29
	ds_read_b64 v[18:19], v18
	v_mul_lo_u32 v20, v15, s26
	v_mad_u64_u32 v[24:25], s[0:1], v14, s26, 0
	s_mov_b64 s[36:37], -1
	s_waitcnt lgkmcnt(0)
	v_mul_lo_u32 v21, v19, s26
	v_mul_lo_u32 v22, v18, s27
	v_mad_u64_u32 v[18:19], s[0:1], v18, s26, 0
	v_add3_u32 v19, v19, v22, v21
	v_mul_lo_u32 v21, v14, s27
	v_add3_u32 v25, v25, v21, v20
	v_lshlrev_b64 v[20:21], 1, v[18:19]
	v_mov_b32_e32 v18, s29
	v_add_co_u32_e32 v22, vcc, s28, v20
	v_addc_co_u32_e64 v23, s[0:1], v18, v21, vcc
	v_lshlrev_b64 v[18:19], 1, v[24:25]
	v_mov_b32_e32 v20, s29
	v_add_co_u32_e64 v24, s[0:1], s28, v18
	v_addc_co_u32_e64 v25, s[2:3], v20, v19, s[0:1]
	global_load_ushort v18, v[22:23], off
	global_load_ushort v20, v[24:25], off
	s_waitcnt vmcnt(0)
	v_cmp_eq_u16_e64 s[2:3], v18, v20
	s_and_saveexec_b64 s[14:15], s[2:3]
	s_cbranch_execz .LBB719_199
; %bb.193:
	v_mov_b32_e32 v18, s29
	v_addc_co_u32_e64 v19, s[0:1], v19, v18, s[0:1]
	v_add_co_u32_e64 v18, s[0:1], 2, v24
	v_mov_b32_e32 v20, s29
	v_addc_co_u32_e64 v19, s[0:1], 0, v19, s[0:1]
	v_addc_co_u32_e32 v21, vcc, v21, v20, vcc
	v_add_co_u32_e32 v20, vcc, 2, v22
	s_add_u32 s0, s26, -1
	v_addc_co_u32_e32 v21, vcc, 0, v21, vcc
	s_addc_u32 s1, s27, -1
	s_mov_b64 s[2:3], 0
	s_mov_b64 s[36:37], 0
                                        ; implicit-def: $sgpr28_sgpr29
	s_branch .LBB719_196
.LBB719_194:                            ;   in Loop: Header=BB719_196 Depth=1
	global_load_ushort v22, v[20:21], off
	global_load_ushort v23, v[18:19], off
	v_add_co_u32_e32 v18, vcc, 2, v18
	v_addc_co_u32_e32 v19, vcc, 0, v19, vcc
	v_add_co_u32_e32 v20, vcc, 2, v20
	v_addc_co_u32_e32 v21, vcc, 0, v21, vcc
	s_add_u32 s36, s36, 1
	s_addc_u32 s37, s37, 0
	s_andn2_b64 s[28:29], s[28:29], exec
	s_waitcnt vmcnt(0)
	v_cmp_ne_u16_e32 vcc, v22, v23
	s_and_b64 s[38:39], vcc, exec
	s_or_b64 s[28:29], s[28:29], s[38:39]
.LBB719_195:                            ;   in Loop: Header=BB719_196 Depth=1
	s_and_b64 s[38:39], exec, s[28:29]
	s_or_b64 s[2:3], s[38:39], s[2:3]
	v_pk_mov_b32 v[22:23], s[36:37], s[36:37] op_sel:[0,1]
	s_andn2_b64 exec, exec, s[2:3]
	s_cbranch_execz .LBB719_198
.LBB719_196:                            ; =>This Inner Loop Header: Depth=1
	s_or_b64 s[28:29], s[28:29], exec
	s_cmp_eq_u64 s[0:1], s[36:37]
	s_cbranch_scc0 .LBB719_194
; %bb.197:                              ;   in Loop: Header=BB719_196 Depth=1
                                        ; implicit-def: $vgpr18_vgpr19
                                        ; implicit-def: $vgpr20_vgpr21
	s_mov_b64 s[36:37], s[26:27]
	s_branch .LBB719_195
.LBB719_198:
	s_or_b64 exec, exec, s[2:3]
	v_cmp_gt_i64_e32 vcc, s[26:27], v[22:23]
	s_orn2_b64 s[36:37], vcc, exec
.LBB719_199:
	s_or_b64 exec, exec, s[14:15]
.LBB719_200:
	s_and_b64 s[0:1], s[36:37], exec
.LBB719_201:
	s_or_b64 exec, exec, s[18:19]
	s_and_b64 s[18:19], s[0:1], exec
	s_or_b64 s[12:13], s[12:13], exec
.LBB719_202:
	s_or_b64 exec, exec, s[8:9]
.LBB719_203:
	s_and_saveexec_b64 s[0:1], s[12:13]
; %bb.204:
	v_and_b32_e32 v18, 0xffffff00, v28
	v_cndmask_b32_e64 v19, 0, 1, s[18:19]
	v_or_b32_e32 v18, v19, v18
	v_and_b32_e32 v18, 0xffff, v18
	s_mov_b32 s2, 0xffff0000
	v_and_or_b32 v28, v28, s2, v18
; %bb.205:
	s_or_b64 exec, exec, s[0:1]
	s_andn2_b64 vcc, exec, s[10:11]
	s_cbranch_vccnz .LBB719_207
; %bb.206:
	v_cmp_gt_u32_e32 vcc, s7, v1
	v_cndmask_b32_e32 v18, 0, v28, vcc
	v_or_b32_e32 v19, 1, v1
	v_and_b32_e32 v18, 0xff, v18
	v_cmp_gt_u32_e32 vcc, s7, v19
	v_cndmask_b32_e32 v18, v18, v28, vcc
	v_or_b32_e32 v19, 2, v1
	v_and_b32_e32 v18, 0xffff, v18
	;; [unrolled: 4-line block ×3, first 2 shown]
	v_cmp_gt_u32_e32 vcc, s7, v19
	v_cndmask_b32_e32 v28, v18, v28, vcc
.LBB719_207:
	v_bfe_u32 v30, v28, 16, 8
	v_lshrrev_b32_e32 v29, 24, v28
	v_add_u32_sdwa v18, v28, v28 dst_sel:DWORD dst_unused:UNUSED_PAD src0_sel:BYTE_1 src1_sel:BYTE_0
	v_add3_u32 v33, v18, v30, v29
	v_mbcnt_lo_u32_b32 v18, -1, 0
	v_mbcnt_hi_u32_b32 v31, -1, v18
	v_and_b32_e32 v18, 15, v31
	v_cmp_eq_u32_e64 s[14:15], 0, v18
	v_cmp_lt_u32_e64 s[12:13], 1, v18
	v_cmp_lt_u32_e64 s[10:11], 3, v18
	;; [unrolled: 1-line block ×3, first 2 shown]
	v_and_b32_e32 v18, 16, v31
	v_cmp_eq_u32_e64 s[18:19], 0, v18
	v_or_b32_e32 v18, 63, v0
	v_cmp_lt_u32_e64 s[0:1], 31, v31
	v_lshrrev_b32_e32 v32, 6, v0
	v_cmp_eq_u32_e64 s[2:3], v18, v0
	s_and_b64 vcc, exec, s[16:17]
	s_waitcnt lgkmcnt(0)
	s_barrier
	s_cbranch_vccz .LBB719_234
; %bb.208:
	v_mov_b32_dpp v18, v33 row_shr:1 row_mask:0xf bank_mask:0xf
	v_cndmask_b32_e64 v18, v18, 0, s[14:15]
	v_add_u32_e32 v18, v18, v33
	s_nop 1
	v_mov_b32_dpp v19, v18 row_shr:2 row_mask:0xf bank_mask:0xf
	v_cndmask_b32_e64 v19, 0, v19, s[12:13]
	v_add_u32_e32 v18, v18, v19
	s_nop 1
	;; [unrolled: 4-line block ×4, first 2 shown]
	v_mov_b32_dpp v19, v18 row_bcast:15 row_mask:0xf bank_mask:0xf
	v_cndmask_b32_e64 v19, v19, 0, s[18:19]
	v_add_u32_e32 v18, v18, v19
	s_nop 1
	v_mov_b32_dpp v19, v18 row_bcast:31 row_mask:0xf bank_mask:0xf
	v_cndmask_b32_e64 v19, 0, v19, s[0:1]
	v_add_u32_e32 v18, v18, v19
	s_and_saveexec_b64 s[16:17], s[2:3]
	s_cbranch_execz .LBB719_210
; %bb.209:
	v_lshlrev_b32_e32 v19, 2, v32
	ds_write_b32 v19, v18
.LBB719_210:
	s_or_b64 exec, exec, s[16:17]
	v_cmp_gt_u32_e32 vcc, 2, v0
	s_waitcnt lgkmcnt(0)
	s_barrier
	s_and_saveexec_b64 s[16:17], vcc
	s_cbranch_execz .LBB719_212
; %bb.211:
	ds_read_b32 v19, v1
	v_bfe_i32 v20, v31, 0, 1
	s_waitcnt lgkmcnt(0)
	v_mov_b32_dpp v21, v19 row_shr:1 row_mask:0xf bank_mask:0xf
	v_and_b32_e32 v20, v20, v21
	v_add_u32_e32 v19, v20, v19
	ds_write_b32 v1, v19
.LBB719_212:
	s_or_b64 exec, exec, s[16:17]
	v_cmp_gt_u32_e32 vcc, 64, v0
	v_cmp_lt_u32_e64 s[16:17], 63, v0
	s_waitcnt lgkmcnt(0)
	s_barrier
	s_waitcnt lgkmcnt(0)
                                        ; implicit-def: $vgpr34
	s_and_saveexec_b64 s[26:27], s[16:17]
	s_cbranch_execz .LBB719_214
; %bb.213:
	v_lshl_add_u32 v19, v32, 2, -4
	ds_read_b32 v34, v19
	s_waitcnt lgkmcnt(0)
	v_add_u32_e32 v18, v34, v18
.LBB719_214:
	s_or_b64 exec, exec, s[26:27]
	v_add_u32_e32 v19, -1, v31
	v_and_b32_e32 v20, 64, v31
	v_cmp_lt_i32_e64 s[16:17], v19, v20
	v_cndmask_b32_e64 v19, v19, v31, s[16:17]
	v_lshlrev_b32_e32 v19, 2, v19
	ds_bpermute_b32 v35, v19, v18
	v_cmp_eq_u32_e64 s[16:17], 0, v31
	s_and_saveexec_b64 s[26:27], vcc
	s_cbranch_execz .LBB719_233
; %bb.215:
	v_mov_b32_e32 v25, 0
	ds_read_b32 v18, v25 offset:4
	s_and_saveexec_b64 s[28:29], s[16:17]
	s_cbranch_execz .LBB719_217
; %bb.216:
	s_add_i32 s36, s6, 64
	s_mov_b32 s37, 0
	s_lshl_b64 s[36:37], s[36:37], 3
	s_add_u32 s36, s30, s36
	v_mov_b32_e32 v19, 1
	s_addc_u32 s37, s31, s37
	s_waitcnt lgkmcnt(0)
	global_store_dwordx2 v25, v[18:19], s[36:37]
.LBB719_217:
	s_or_b64 exec, exec, s[28:29]
	v_xad_u32 v20, v31, -1, s6
	v_add_u32_e32 v24, 64, v20
	v_lshlrev_b64 v[22:23], 3, v[24:25]
	v_mov_b32_e32 v19, s31
	v_add_co_u32_e32 v26, vcc, s30, v22
	v_addc_co_u32_e32 v27, vcc, v19, v23, vcc
	global_load_dwordx2 v[22:23], v[26:27], off glc
	s_waitcnt vmcnt(0)
	v_cmp_eq_u16_sdwa s[36:37], v23, v25 src0_sel:BYTE_0 src1_sel:DWORD
	s_and_saveexec_b64 s[28:29], s[36:37]
	s_cbranch_execz .LBB719_221
; %bb.218:
	s_mov_b64 s[36:37], 0
	v_mov_b32_e32 v19, 0
.LBB719_219:                            ; =>This Inner Loop Header: Depth=1
	global_load_dwordx2 v[22:23], v[26:27], off glc
	s_waitcnt vmcnt(0)
	v_cmp_ne_u16_sdwa s[38:39], v23, v19 src0_sel:BYTE_0 src1_sel:DWORD
	s_or_b64 s[36:37], s[38:39], s[36:37]
	s_andn2_b64 exec, exec, s[36:37]
	s_cbranch_execnz .LBB719_219
; %bb.220:
	s_or_b64 exec, exec, s[36:37]
.LBB719_221:
	s_or_b64 exec, exec, s[28:29]
	v_and_b32_e32 v36, 63, v31
	v_mov_b32_e32 v19, 2
	v_cmp_ne_u32_e32 vcc, 63, v36
	v_cmp_eq_u16_sdwa s[28:29], v23, v19 src0_sel:BYTE_0 src1_sel:DWORD
	v_lshlrev_b64 v[24:25], v31, -1
	v_addc_co_u32_e32 v27, vcc, 0, v31, vcc
	v_and_b32_e32 v21, s29, v25
	v_lshlrev_b32_e32 v37, 2, v27
	v_or_b32_e32 v21, 0x80000000, v21
	ds_bpermute_b32 v27, v37, v22
	v_and_b32_e32 v26, s28, v24
	v_ffbl_b32_e32 v21, v21
	v_add_u32_e32 v21, 32, v21
	v_ffbl_b32_e32 v26, v26
	v_min_u32_e32 v21, v26, v21
	v_cmp_lt_u32_e32 vcc, v36, v21
	s_waitcnt lgkmcnt(0)
	v_cndmask_b32_e32 v26, 0, v27, vcc
	v_cmp_gt_u32_e32 vcc, 62, v36
	v_add_u32_e32 v22, v26, v22
	v_cndmask_b32_e64 v26, 0, 1, vcc
	v_lshlrev_b32_e32 v26, 1, v26
	v_add_lshl_u32 v38, v26, v31, 2
	ds_bpermute_b32 v26, v38, v22
	v_add_u32_e32 v39, 2, v36
	v_cmp_le_u32_e32 vcc, v39, v21
	v_add_u32_e32 v41, 4, v36
	v_add_u32_e32 v43, 8, v36
	s_waitcnt lgkmcnt(0)
	v_cndmask_b32_e32 v26, 0, v26, vcc
	v_cmp_gt_u32_e32 vcc, 60, v36
	v_add_u32_e32 v22, v22, v26
	v_cndmask_b32_e64 v26, 0, 1, vcc
	v_lshlrev_b32_e32 v26, 2, v26
	v_add_lshl_u32 v40, v26, v31, 2
	ds_bpermute_b32 v26, v40, v22
	v_cmp_le_u32_e32 vcc, v41, v21
	v_add_u32_e32 v46, 16, v36
	v_add_u32_e32 v48, 32, v36
	s_waitcnt lgkmcnt(0)
	v_cndmask_b32_e32 v26, 0, v26, vcc
	v_cmp_gt_u32_e32 vcc, 56, v36
	v_add_u32_e32 v22, v22, v26
	v_cndmask_b32_e64 v26, 0, 1, vcc
	v_lshlrev_b32_e32 v26, 3, v26
	v_add_lshl_u32 v42, v26, v31, 2
	ds_bpermute_b32 v26, v42, v22
	v_cmp_le_u32_e32 vcc, v43, v21
	s_waitcnt lgkmcnt(0)
	v_cndmask_b32_e32 v26, 0, v26, vcc
	v_cmp_gt_u32_e32 vcc, 48, v36
	v_add_u32_e32 v22, v22, v26
	v_cndmask_b32_e64 v26, 0, 1, vcc
	v_lshlrev_b32_e32 v26, 4, v26
	v_add_lshl_u32 v45, v26, v31, 2
	ds_bpermute_b32 v26, v45, v22
	v_cmp_le_u32_e32 vcc, v46, v21
	s_waitcnt lgkmcnt(0)
	v_cndmask_b32_e32 v26, 0, v26, vcc
	v_cmp_gt_u32_e32 vcc, 32, v36
	v_add_u32_e32 v22, v22, v26
	v_cndmask_b32_e64 v26, 0, 1, vcc
	v_lshlrev_b32_e32 v26, 5, v26
	v_add_lshl_u32 v47, v26, v31, 2
	ds_bpermute_b32 v26, v47, v22
	v_cmp_le_u32_e32 vcc, v48, v21
	s_waitcnt lgkmcnt(0)
	v_cndmask_b32_e32 v21, 0, v26, vcc
	v_add_u32_e32 v22, v22, v21
	v_mov_b32_e32 v21, 0
	s_branch .LBB719_223
.LBB719_222:                            ;   in Loop: Header=BB719_223 Depth=1
	s_or_b64 exec, exec, s[28:29]
	v_cmp_eq_u16_sdwa s[28:29], v23, v19 src0_sel:BYTE_0 src1_sel:DWORD
	v_and_b32_e32 v26, s29, v25
	v_or_b32_e32 v26, 0x80000000, v26
	ds_bpermute_b32 v49, v37, v22
	v_and_b32_e32 v27, s28, v24
	v_ffbl_b32_e32 v26, v26
	v_add_u32_e32 v26, 32, v26
	v_ffbl_b32_e32 v27, v27
	v_min_u32_e32 v26, v27, v26
	v_cmp_lt_u32_e32 vcc, v36, v26
	s_waitcnt lgkmcnt(0)
	v_cndmask_b32_e32 v27, 0, v49, vcc
	v_add_u32_e32 v22, v27, v22
	ds_bpermute_b32 v27, v38, v22
	v_cmp_le_u32_e32 vcc, v39, v26
	v_subrev_u32_e32 v20, 64, v20
	s_waitcnt lgkmcnt(0)
	v_cndmask_b32_e32 v27, 0, v27, vcc
	v_add_u32_e32 v22, v22, v27
	ds_bpermute_b32 v27, v40, v22
	v_cmp_le_u32_e32 vcc, v41, v26
	s_waitcnt lgkmcnt(0)
	v_cndmask_b32_e32 v27, 0, v27, vcc
	v_add_u32_e32 v22, v22, v27
	ds_bpermute_b32 v27, v42, v22
	v_cmp_le_u32_e32 vcc, v43, v26
	;; [unrolled: 5-line block ×4, first 2 shown]
	s_waitcnt lgkmcnt(0)
	v_cndmask_b32_e32 v26, 0, v27, vcc
	v_add3_u32 v22, v26, v44, v22
.LBB719_223:                            ; =>This Loop Header: Depth=1
                                        ;     Child Loop BB719_226 Depth 2
	v_cmp_ne_u16_sdwa s[28:29], v23, v19 src0_sel:BYTE_0 src1_sel:DWORD
	v_cndmask_b32_e64 v23, 0, 1, s[28:29]
	;;#ASMSTART
	;;#ASMEND
	v_cmp_ne_u32_e32 vcc, 0, v23
	s_cmp_lg_u64 vcc, exec
	v_mov_b32_e32 v44, v22
	s_cbranch_scc1 .LBB719_228
; %bb.224:                              ;   in Loop: Header=BB719_223 Depth=1
	v_lshlrev_b64 v[22:23], 3, v[20:21]
	v_mov_b32_e32 v27, s31
	v_add_co_u32_e32 v26, vcc, s30, v22
	v_addc_co_u32_e32 v27, vcc, v27, v23, vcc
	global_load_dwordx2 v[22:23], v[26:27], off glc
	s_waitcnt vmcnt(0)
	v_cmp_eq_u16_sdwa s[36:37], v23, v21 src0_sel:BYTE_0 src1_sel:DWORD
	s_and_saveexec_b64 s[28:29], s[36:37]
	s_cbranch_execz .LBB719_222
; %bb.225:                              ;   in Loop: Header=BB719_223 Depth=1
	s_mov_b64 s[36:37], 0
.LBB719_226:                            ;   Parent Loop BB719_223 Depth=1
                                        ; =>  This Inner Loop Header: Depth=2
	global_load_dwordx2 v[22:23], v[26:27], off glc
	s_waitcnt vmcnt(0)
	v_cmp_ne_u16_sdwa s[38:39], v23, v21 src0_sel:BYTE_0 src1_sel:DWORD
	s_or_b64 s[36:37], s[38:39], s[36:37]
	s_andn2_b64 exec, exec, s[36:37]
	s_cbranch_execnz .LBB719_226
; %bb.227:                              ;   in Loop: Header=BB719_223 Depth=1
	s_or_b64 exec, exec, s[36:37]
	s_branch .LBB719_222
.LBB719_228:                            ;   in Loop: Header=BB719_223 Depth=1
                                        ; implicit-def: $vgpr22
                                        ; implicit-def: $vgpr23
	s_cbranch_execz .LBB719_223
; %bb.229:
	s_and_saveexec_b64 s[28:29], s[16:17]
	s_cbranch_execz .LBB719_231
; %bb.230:
	s_add_i32 s6, s6, 64
	s_mov_b32 s7, 0
	s_lshl_b64 s[6:7], s[6:7], 3
	s_add_u32 s6, s30, s6
	v_add_u32_e32 v20, v44, v18
	v_mov_b32_e32 v21, 2
	s_addc_u32 s7, s31, s7
	v_mov_b32_e32 v19, 0
	global_store_dwordx2 v19, v[20:21], s[6:7]
	s_movk_i32 s6, 0x1000
	v_add_u32_e64 v19, s6, 0
	ds_write2_b32 v19, v18, v44 offset0:32 offset1:34
.LBB719_231:
	s_or_b64 exec, exec, s[28:29]
	v_cmp_eq_u32_e32 vcc, 0, v0
	s_and_b64 exec, exec, vcc
	s_cbranch_execz .LBB719_233
; %bb.232:
	v_mov_b32_e32 v18, 0
	ds_write_b32 v18, v44 offset:4
.LBB719_233:
	s_or_b64 exec, exec, s[26:27]
	v_mov_b32_e32 v19, 0
	s_waitcnt lgkmcnt(0)
	s_barrier
	ds_read_b32 v19, v19 offset:4
	s_movk_i32 s6, 0x1000
	v_add_u32_e64 v20, s6, 0
	v_cndmask_b32_e64 v18, v35, v34, s[16:17]
	v_cmp_ne_u32_e32 vcc, 0, v0
	s_waitcnt lgkmcnt(0)
	s_barrier
	ds_read2_b32 v[26:27], v20 offset0:32 offset1:34
	v_cndmask_b32_e32 v18, 0, v18, vcc
	v_add_u32_e32 v24, v19, v18
	v_add_u32_sdwa v22, v24, v28 dst_sel:DWORD dst_unused:UNUSED_PAD src0_sel:DWORD src1_sel:BYTE_0
	v_add_u32_sdwa v20, v22, v28 dst_sel:DWORD dst_unused:UNUSED_PAD src0_sel:DWORD src1_sel:BYTE_1
	v_add_u32_e32 v18, v20, v30
	s_waitcnt lgkmcnt(0)
	v_readfirstlane_b32 s26, v26
	v_readfirstlane_b32 s16, v27
	s_branch .LBB719_244
.LBB719_234:
                                        ; implicit-def: $vgpr18
                                        ; implicit-def: $vgpr20
                                        ; implicit-def: $vgpr22
                                        ; implicit-def: $vgpr24
                                        ; implicit-def: $sgpr16
                                        ; implicit-def: $sgpr26
	s_cbranch_execz .LBB719_244
; %bb.235:
	s_nop 0
	v_mov_b32_dpp v18, v33 row_shr:1 row_mask:0xf bank_mask:0xf
	v_cndmask_b32_e64 v18, v18, 0, s[14:15]
	v_add_u32_e32 v18, v18, v33
	s_nop 1
	v_mov_b32_dpp v19, v18 row_shr:2 row_mask:0xf bank_mask:0xf
	v_cndmask_b32_e64 v19, 0, v19, s[12:13]
	v_add_u32_e32 v18, v18, v19
	s_nop 1
	v_mov_b32_dpp v19, v18 row_shr:4 row_mask:0xf bank_mask:0xf
	v_cndmask_b32_e64 v19, 0, v19, s[10:11]
	v_add_u32_e32 v18, v18, v19
	s_nop 1
	v_mov_b32_dpp v19, v18 row_shr:8 row_mask:0xf bank_mask:0xf
	v_cndmask_b32_e64 v19, 0, v19, s[8:9]
	v_add_u32_e32 v18, v18, v19
	s_nop 1
	v_mov_b32_dpp v19, v18 row_bcast:15 row_mask:0xf bank_mask:0xf
	v_cndmask_b32_e64 v19, v19, 0, s[18:19]
	v_add_u32_e32 v18, v18, v19
	s_nop 1
	v_mov_b32_dpp v19, v18 row_bcast:31 row_mask:0xf bank_mask:0xf
	v_cndmask_b32_e64 v19, 0, v19, s[0:1]
	v_add_u32_e32 v18, v18, v19
	s_and_saveexec_b64 s[0:1], s[2:3]
	s_cbranch_execz .LBB719_237
; %bb.236:
	v_lshlrev_b32_e32 v19, 2, v32
	ds_write_b32 v19, v18
.LBB719_237:
	s_or_b64 exec, exec, s[0:1]
	v_cmp_gt_u32_e32 vcc, 2, v0
	s_waitcnt lgkmcnt(0)
	s_barrier
	s_and_saveexec_b64 s[0:1], vcc
	s_cbranch_execz .LBB719_239
; %bb.238:
	ds_read_b32 v19, v1
	v_bfe_i32 v20, v31, 0, 1
	s_waitcnt lgkmcnt(0)
	v_mov_b32_dpp v21, v19 row_shr:1 row_mask:0xf bank_mask:0xf
	v_and_b32_e32 v20, v20, v21
	v_add_u32_e32 v19, v20, v19
	ds_write_b32 v1, v19
.LBB719_239:
	s_or_b64 exec, exec, s[0:1]
	v_cmp_lt_u32_e32 vcc, 63, v0
	v_mov_b32_e32 v19, 0
	v_mov_b32_e32 v1, 0
	s_waitcnt lgkmcnt(0)
	s_barrier
	s_and_saveexec_b64 s[0:1], vcc
	s_cbranch_execz .LBB719_241
; %bb.240:
	v_lshl_add_u32 v1, v32, 2, -4
	ds_read_b32 v1, v1
.LBB719_241:
	s_or_b64 exec, exec, s[0:1]
	v_add_u32_e32 v20, -1, v31
	v_and_b32_e32 v21, 64, v31
	v_cmp_lt_i32_e32 vcc, v20, v21
	v_cndmask_b32_e32 v20, v20, v31, vcc
	s_waitcnt lgkmcnt(0)
	v_add_u32_e32 v18, v1, v18
	v_lshlrev_b32_e32 v20, 2, v20
	ds_read_b32 v19, v19 offset:4
	ds_bpermute_b32 v18, v20, v18
	s_mov_b32 s16, 0
	v_cmp_eq_u32_e32 vcc, 0, v0
	s_waitcnt lgkmcnt(1)
	v_readfirstlane_b32 s26, v19
	s_and_saveexec_b64 s[0:1], vcc
	s_cbranch_execz .LBB719_243
; %bb.242:
	v_mov_b32_e32 v19, 0
	v_mov_b32_e32 v20, s26
	;; [unrolled: 1-line block ×3, first 2 shown]
	global_store_dwordx2 v19, v[20:21], s[30:31] offset:512
.LBB719_243:
	s_or_b64 exec, exec, s[0:1]
	v_cmp_eq_u32_e64 s[0:1], 0, v31
	s_waitcnt lgkmcnt(0)
	v_cndmask_b32_e64 v1, v18, v1, s[0:1]
	v_cndmask_b32_e64 v24, v1, 0, vcc
	v_add_u32_sdwa v22, v24, v28 dst_sel:DWORD dst_unused:UNUSED_PAD src0_sel:DWORD src1_sel:BYTE_0
	v_add_u32_sdwa v20, v22, v28 dst_sel:DWORD dst_unused:UNUSED_PAD src0_sel:DWORD src1_sel:BYTE_1
	v_add_u32_e32 v18, v20, v30
	s_barrier
.LBB719_244:
	s_load_dwordx4 s[4:7], s[4:5], 0x28
	s_cmpk_lt_u32 s26, 0x81
	s_cselect_b64 s[2:3], -1, 0
	v_lshrrev_b32_e32 v1, 8, v28
	s_mov_b64 s[0:1], -1
	s_and_b64 vcc, exec, s[2:3]
	s_cbranch_vccz .LBB719_258
; %bb.245:
	s_add_i32 s8, s16, s26
	v_cmp_gt_u32_e32 vcc, s8, v24
	s_or_b64 s[10:11], s[34:35], vcc
	s_and_saveexec_b64 s[0:1], s[10:11]
	s_cbranch_execz .LBB719_248
; %bb.246:
	v_and_b32_e32 v19, 1, v28
	v_cmp_eq_u32_e32 vcc, 1, v19
	s_and_b64 exec, exec, vcc
	s_cbranch_execz .LBB719_248
; %bb.247:
	s_lshl_b64 s[10:11], s[22:23], 3
	s_waitcnt lgkmcnt(0)
	s_add_u32 s9, s4, s10
	v_mov_b32_e32 v25, 0
	s_addc_u32 s10, s5, s11
	v_lshlrev_b64 v[26:27], 3, v[24:25]
	v_mov_b32_e32 v19, s10
	v_add_co_u32_e32 v26, vcc, s9, v26
	v_addc_co_u32_e32 v27, vcc, v19, v27, vcc
	global_store_dwordx2 v[26:27], v[14:15], off
.LBB719_248:
	s_or_b64 exec, exec, s[0:1]
	v_cmp_gt_u32_e32 vcc, s8, v22
	s_or_b64 s[10:11], s[34:35], vcc
	s_and_saveexec_b64 s[0:1], s[10:11]
	s_cbranch_execz .LBB719_251
; %bb.249:
	v_and_b32_e32 v19, 1, v1
	v_cmp_eq_u32_e32 vcc, 1, v19
	s_and_b64 exec, exec, vcc
	s_cbranch_execz .LBB719_251
; %bb.250:
	s_lshl_b64 s[10:11], s[22:23], 3
	s_waitcnt lgkmcnt(0)
	s_add_u32 s9, s4, s10
	v_mov_b32_e32 v23, 0
	s_addc_u32 s10, s5, s11
	v_lshlrev_b64 v[26:27], 3, v[22:23]
	v_mov_b32_e32 v19, s10
	v_add_co_u32_e32 v26, vcc, s9, v26
	v_addc_co_u32_e32 v27, vcc, v19, v27, vcc
	global_store_dwordx2 v[26:27], v[16:17], off
.LBB719_251:
	s_or_b64 exec, exec, s[0:1]
	v_cmp_gt_u32_e32 vcc, s8, v20
	s_or_b64 s[10:11], s[34:35], vcc
	s_and_saveexec_b64 s[0:1], s[10:11]
	s_cbranch_execz .LBB719_254
; %bb.252:
	v_mov_b32_e32 v19, 1
	v_and_b32_sdwa v19, v19, v28 dst_sel:DWORD dst_unused:UNUSED_PAD src0_sel:DWORD src1_sel:WORD_1
	v_cmp_eq_u32_e32 vcc, 1, v19
	s_and_b64 exec, exec, vcc
	s_cbranch_execz .LBB719_254
; %bb.253:
	s_lshl_b64 s[10:11], s[22:23], 3
	s_waitcnt lgkmcnt(0)
	s_add_u32 s9, s4, s10
	v_mov_b32_e32 v21, 0
	s_addc_u32 s10, s5, s11
	v_lshlrev_b64 v[26:27], 3, v[20:21]
	v_mov_b32_e32 v19, s10
	v_add_co_u32_e32 v26, vcc, s9, v26
	v_addc_co_u32_e32 v27, vcc, v19, v27, vcc
	global_store_dwordx2 v[26:27], v[10:11], off
.LBB719_254:
	s_or_b64 exec, exec, s[0:1]
	v_cmp_gt_u32_e32 vcc, s8, v18
	s_or_b64 s[8:9], s[34:35], vcc
	s_and_saveexec_b64 s[0:1], s[8:9]
	s_cbranch_execz .LBB719_257
; %bb.255:
	v_and_b32_e32 v19, 1, v29
	v_cmp_eq_u32_e32 vcc, 1, v19
	s_and_b64 exec, exec, vcc
	s_cbranch_execz .LBB719_257
; %bb.256:
	s_lshl_b64 s[8:9], s[22:23], 3
	s_waitcnt lgkmcnt(0)
	s_add_u32 s8, s4, s8
	v_mov_b32_e32 v19, 0
	s_addc_u32 s9, s5, s9
	v_lshlrev_b64 v[26:27], 3, v[18:19]
	v_mov_b32_e32 v19, s9
	v_add_co_u32_e32 v26, vcc, s8, v26
	v_addc_co_u32_e32 v27, vcc, v19, v27, vcc
	global_store_dwordx2 v[26:27], v[12:13], off
.LBB719_257:
	s_or_b64 exec, exec, s[0:1]
	s_mov_b64 s[0:1], 0
.LBB719_258:
	v_and_b32_e32 v26, 1, v28
	s_and_b64 vcc, exec, s[0:1]
	v_cmp_eq_u32_e64 s[0:1], 1, v26
	s_cbranch_vccz .LBB719_271
; %bb.259:
	s_and_saveexec_b64 s[8:9], s[0:1]
	s_cbranch_execz .LBB719_261
; %bb.260:
	v_subrev_u32_e32 v19, s16, v24
	v_lshlrev_b32_e32 v19, 3, v19
	ds_write_b64 v19, v[14:15]
.LBB719_261:
	s_or_b64 exec, exec, s[8:9]
	v_and_b32_e32 v14, 1, v1
	v_cmp_eq_u32_e32 vcc, 1, v14
	s_and_saveexec_b64 s[0:1], vcc
	s_cbranch_execz .LBB719_263
; %bb.262:
	v_subrev_u32_e32 v14, s16, v22
	v_lshlrev_b32_e32 v14, 3, v14
	ds_write_b64 v14, v[16:17]
.LBB719_263:
	s_or_b64 exec, exec, s[0:1]
	v_mov_b32_e32 v14, 1
	v_and_b32_sdwa v14, v14, v28 dst_sel:DWORD dst_unused:UNUSED_PAD src0_sel:DWORD src1_sel:WORD_1
	v_cmp_eq_u32_e32 vcc, 1, v14
	s_and_saveexec_b64 s[0:1], vcc
	s_cbranch_execz .LBB719_265
; %bb.264:
	v_subrev_u32_e32 v14, s16, v20
	v_lshlrev_b32_e32 v14, 3, v14
	ds_write_b64 v14, v[10:11]
.LBB719_265:
	s_or_b64 exec, exec, s[0:1]
	v_and_b32_e32 v10, 1, v29
	v_cmp_eq_u32_e32 vcc, 1, v10
	s_and_saveexec_b64 s[0:1], vcc
	s_cbranch_execz .LBB719_267
; %bb.266:
	v_subrev_u32_e32 v10, s16, v18
	v_lshlrev_b32_e32 v10, 3, v10
	ds_write_b64 v10, v[12:13]
.LBB719_267:
	s_or_b64 exec, exec, s[0:1]
	v_cmp_gt_u32_e32 vcc, s26, v0
	s_waitcnt lgkmcnt(0)
	s_barrier
	s_and_saveexec_b64 s[0:1], vcc
	s_cbranch_execz .LBB719_270
; %bb.268:
	s_mov_b32 s17, 0
	s_lshl_b64 s[8:9], s[16:17], 3
	s_add_u32 s8, s4, s8
	s_addc_u32 s9, s5, s9
	s_lshl_b64 s[4:5], s[22:23], 3
	s_add_u32 s8, s8, s4
	s_addc_u32 s9, s9, s5
	v_lshlrev_b32_e32 v12, 3, v0
	s_mov_b64 s[4:5], 0
	v_mov_b32_e32 v11, 0
	v_mov_b32_e32 v13, s9
	;; [unrolled: 1-line block ×3, first 2 shown]
.LBB719_269:                            ; =>This Inner Loop Header: Depth=1
	ds_read_b64 v[14:15], v12
	v_lshlrev_b64 v[16:17], 3, v[10:11]
	v_add_co_u32_e32 v16, vcc, s8, v16
	v_add_u32_e32 v10, 0x80, v10
	v_addc_co_u32_e32 v17, vcc, v13, v17, vcc
	v_cmp_le_u32_e32 vcc, s26, v10
	v_add_u32_e32 v12, 0x400, v12
	s_or_b64 s[4:5], vcc, s[4:5]
	s_waitcnt lgkmcnt(0)
	global_store_dwordx2 v[16:17], v[14:15], off
	s_andn2_b64 exec, exec, s[4:5]
	s_cbranch_execnz .LBB719_269
.LBB719_270:
	s_or_b64 exec, exec, s[0:1]
.LBB719_271:
	s_mov_b64 s[0:1], -1
	s_and_b64 vcc, exec, s[2:3]
	s_waitcnt lgkmcnt(0)
	s_barrier
	s_cbranch_vccnz .LBB719_275
; %bb.272:
	s_and_b64 vcc, exec, s[0:1]
	s_cbranch_vccnz .LBB719_288
.LBB719_273:
	v_cmp_eq_u32_e32 vcc, 0, v0
	s_and_b64 s[0:1], vcc, s[24:25]
	s_and_saveexec_b64 s[2:3], s[0:1]
	s_cbranch_execnz .LBB719_300
.LBB719_274:
	s_endpgm
.LBB719_275:
	s_add_i32 s2, s16, s26
	v_cmp_gt_u32_e32 vcc, s2, v24
	s_or_b64 s[4:5], s[34:35], vcc
	s_and_saveexec_b64 s[0:1], s[4:5]
	s_cbranch_execz .LBB719_278
; %bb.276:
	v_cmp_eq_u32_e32 vcc, 1, v26
	s_and_b64 exec, exec, vcc
	s_cbranch_execz .LBB719_278
; %bb.277:
	s_lshl_b64 s[4:5], s[22:23], 3
	s_add_u32 s3, s6, s4
	v_mov_b32_e32 v25, 0
	s_addc_u32 s4, s7, s5
	v_lshlrev_b64 v[10:11], 3, v[24:25]
	v_mov_b32_e32 v12, s4
	v_add_co_u32_e32 v10, vcc, s3, v10
	v_addc_co_u32_e32 v11, vcc, v12, v11, vcc
	global_store_dwordx2 v[10:11], v[6:7], off
.LBB719_278:
	s_or_b64 exec, exec, s[0:1]
	v_cmp_gt_u32_e32 vcc, s2, v22
	s_or_b64 s[4:5], s[34:35], vcc
	s_and_saveexec_b64 s[0:1], s[4:5]
	s_cbranch_execz .LBB719_281
; %bb.279:
	v_and_b32_e32 v10, 1, v1
	v_cmp_eq_u32_e32 vcc, 1, v10
	s_and_b64 exec, exec, vcc
	s_cbranch_execz .LBB719_281
; %bb.280:
	s_lshl_b64 s[4:5], s[22:23], 3
	s_add_u32 s3, s6, s4
	v_mov_b32_e32 v23, 0
	s_addc_u32 s4, s7, s5
	v_lshlrev_b64 v[10:11], 3, v[22:23]
	v_mov_b32_e32 v12, s4
	v_add_co_u32_e32 v10, vcc, s3, v10
	v_addc_co_u32_e32 v11, vcc, v12, v11, vcc
	global_store_dwordx2 v[10:11], v[8:9], off
.LBB719_281:
	s_or_b64 exec, exec, s[0:1]
	v_cmp_gt_u32_e32 vcc, s2, v20
	s_or_b64 s[4:5], s[34:35], vcc
	s_and_saveexec_b64 s[0:1], s[4:5]
	s_cbranch_execz .LBB719_284
; %bb.282:
	v_mov_b32_e32 v10, 1
	v_and_b32_sdwa v10, v10, v28 dst_sel:DWORD dst_unused:UNUSED_PAD src0_sel:DWORD src1_sel:WORD_1
	v_cmp_eq_u32_e32 vcc, 1, v10
	s_and_b64 exec, exec, vcc
	s_cbranch_execz .LBB719_284
; %bb.283:
	s_lshl_b64 s[4:5], s[22:23], 3
	s_add_u32 s3, s6, s4
	v_mov_b32_e32 v21, 0
	s_addc_u32 s4, s7, s5
	v_lshlrev_b64 v[10:11], 3, v[20:21]
	v_mov_b32_e32 v12, s4
	v_add_co_u32_e32 v10, vcc, s3, v10
	v_addc_co_u32_e32 v11, vcc, v12, v11, vcc
	global_store_dwordx2 v[10:11], v[2:3], off
.LBB719_284:
	s_or_b64 exec, exec, s[0:1]
	v_cmp_gt_u32_e32 vcc, s2, v18
	s_or_b64 s[2:3], s[34:35], vcc
	s_and_saveexec_b64 s[0:1], s[2:3]
	s_cbranch_execz .LBB719_287
; %bb.285:
	v_and_b32_e32 v10, 1, v29
	v_cmp_eq_u32_e32 vcc, 1, v10
	s_and_b64 exec, exec, vcc
	s_cbranch_execz .LBB719_287
; %bb.286:
	s_lshl_b64 s[2:3], s[22:23], 3
	s_add_u32 s2, s6, s2
	v_mov_b32_e32 v19, 0
	s_addc_u32 s3, s7, s3
	v_lshlrev_b64 v[10:11], 3, v[18:19]
	v_mov_b32_e32 v12, s3
	v_add_co_u32_e32 v10, vcc, s2, v10
	v_addc_co_u32_e32 v11, vcc, v12, v11, vcc
	global_store_dwordx2 v[10:11], v[4:5], off
.LBB719_287:
	s_or_b64 exec, exec, s[0:1]
	s_branch .LBB719_273
.LBB719_288:
	v_cmp_eq_u32_e32 vcc, 1, v26
	s_and_saveexec_b64 s[0:1], vcc
	s_cbranch_execz .LBB719_290
; %bb.289:
	v_subrev_u32_e32 v10, s16, v24
	v_lshlrev_b32_e32 v10, 3, v10
	ds_write_b64 v10, v[6:7]
.LBB719_290:
	s_or_b64 exec, exec, s[0:1]
	v_and_b32_e32 v1, 1, v1
	v_cmp_eq_u32_e32 vcc, 1, v1
	s_and_saveexec_b64 s[0:1], vcc
	s_cbranch_execz .LBB719_292
; %bb.291:
	v_subrev_u32_e32 v1, s16, v22
	v_lshlrev_b32_e32 v1, 3, v1
	ds_write_b64 v1, v[8:9]
.LBB719_292:
	s_or_b64 exec, exec, s[0:1]
	v_mov_b32_e32 v1, 1
	v_and_b32_sdwa v1, v1, v28 dst_sel:DWORD dst_unused:UNUSED_PAD src0_sel:DWORD src1_sel:WORD_1
	v_cmp_eq_u32_e32 vcc, 1, v1
	s_and_saveexec_b64 s[0:1], vcc
	s_cbranch_execz .LBB719_294
; %bb.293:
	v_subrev_u32_e32 v1, s16, v20
	v_lshlrev_b32_e32 v1, 3, v1
	ds_write_b64 v1, v[2:3]
.LBB719_294:
	s_or_b64 exec, exec, s[0:1]
	v_and_b32_e32 v1, 1, v29
	v_cmp_eq_u32_e32 vcc, 1, v1
	s_and_saveexec_b64 s[0:1], vcc
	s_cbranch_execz .LBB719_296
; %bb.295:
	v_subrev_u32_e32 v1, s16, v18
	v_lshlrev_b32_e32 v1, 3, v1
	ds_write_b64 v1, v[4:5]
.LBB719_296:
	s_or_b64 exec, exec, s[0:1]
	v_cmp_gt_u32_e32 vcc, s26, v0
	s_waitcnt lgkmcnt(0)
	s_barrier
	s_and_saveexec_b64 s[0:1], vcc
	s_cbranch_execz .LBB719_299
; %bb.297:
	s_mov_b32 s17, 0
	s_lshl_b64 s[2:3], s[16:17], 3
	s_add_u32 s4, s6, s2
	s_addc_u32 s5, s7, s3
	s_lshl_b64 s[2:3], s[22:23], 3
	s_add_u32 s4, s4, s2
	s_addc_u32 s5, s5, s3
	v_lshlrev_b32_e32 v1, 3, v0
	s_mov_b64 s[2:3], 0
	v_mov_b32_e32 v3, 0
	v_mov_b32_e32 v4, s5
	;; [unrolled: 1-line block ×3, first 2 shown]
.LBB719_298:                            ; =>This Inner Loop Header: Depth=1
	ds_read_b64 v[6:7], v1
	v_lshlrev_b64 v[8:9], 3, v[2:3]
	v_add_co_u32_e32 v8, vcc, s4, v8
	v_add_u32_e32 v2, 0x80, v2
	v_addc_co_u32_e32 v9, vcc, v4, v9, vcc
	v_cmp_le_u32_e32 vcc, s26, v2
	v_add_u32_e32 v1, 0x400, v1
	s_or_b64 s[2:3], vcc, s[2:3]
	s_waitcnt lgkmcnt(0)
	global_store_dwordx2 v[8:9], v[6:7], off
	s_andn2_b64 exec, exec, s[2:3]
	s_cbranch_execnz .LBB719_298
.LBB719_299:
	s_or_b64 exec, exec, s[0:1]
	v_cmp_eq_u32_e32 vcc, 0, v0
	s_and_b64 s[0:1], vcc, s[24:25]
	s_and_saveexec_b64 s[2:3], s[0:1]
	s_cbranch_execz .LBB719_274
.LBB719_300:
	s_add_u32 s0, s22, s26
	s_addc_u32 s1, s23, 0
	s_add_u32 s0, s0, s16
	s_addc_u32 s1, s1, 0
	v_mov_b32_e32 v2, 0
	v_pk_mov_b32 v[0:1], s[0:1], s[0:1] op_sel:[0,1]
	global_store_dwordx2 v2, v[0:1], s[20:21]
	s_endpgm
	.section	.rodata,"a",@progbits
	.p2align	6, 0x0
	.amdhsa_kernel _ZN7rocprim17ROCPRIM_400000_NS6detail17trampoline_kernelINS0_14default_configENS1_25partition_config_selectorILNS1_17partition_subalgoE9EllbEEZZNS1_14partition_implILS5_9ELb0ES3_jPlS8_PNS0_10empty_typeENS0_5tupleIJS8_S9_EEENSB_IJS8_SA_EEENS0_18inequality_wrapperIZN2at6native12_GLOBAL__N_124unique_dim_cuda_templateIsEESt5tupleIJNSF_6TensorESK_SK_EERKSK_lbbbEUlllE0_EEPmJS9_EEE10hipError_tPvRmT3_T4_T5_T6_T7_T9_mT8_P12ihipStream_tbDpT10_ENKUlT_T0_E_clISt17integral_constantIbLb0EES1A_EEDaS15_S16_EUlS15_E_NS1_11comp_targetILNS1_3genE4ELNS1_11target_archE910ELNS1_3gpuE8ELNS1_3repE0EEENS1_30default_config_static_selectorELNS0_4arch9wavefront6targetE1EEEvT1_
		.amdhsa_group_segment_fixed_size 4236
		.amdhsa_private_segment_fixed_size 0
		.amdhsa_kernarg_size 120
		.amdhsa_user_sgpr_count 6
		.amdhsa_user_sgpr_private_segment_buffer 1
		.amdhsa_user_sgpr_dispatch_ptr 0
		.amdhsa_user_sgpr_queue_ptr 0
		.amdhsa_user_sgpr_kernarg_segment_ptr 1
		.amdhsa_user_sgpr_dispatch_id 0
		.amdhsa_user_sgpr_flat_scratch_init 0
		.amdhsa_user_sgpr_kernarg_preload_length 0
		.amdhsa_user_sgpr_kernarg_preload_offset 0
		.amdhsa_user_sgpr_private_segment_size 0
		.amdhsa_uses_dynamic_stack 0
		.amdhsa_system_sgpr_private_segment_wavefront_offset 0
		.amdhsa_system_sgpr_workgroup_id_x 1
		.amdhsa_system_sgpr_workgroup_id_y 0
		.amdhsa_system_sgpr_workgroup_id_z 0
		.amdhsa_system_sgpr_workgroup_info 0
		.amdhsa_system_vgpr_workitem_id 0
		.amdhsa_next_free_vgpr 50
		.amdhsa_next_free_sgpr 46
		.amdhsa_accum_offset 52
		.amdhsa_reserve_vcc 1
		.amdhsa_reserve_flat_scratch 0
		.amdhsa_float_round_mode_32 0
		.amdhsa_float_round_mode_16_64 0
		.amdhsa_float_denorm_mode_32 3
		.amdhsa_float_denorm_mode_16_64 3
		.amdhsa_dx10_clamp 1
		.amdhsa_ieee_mode 1
		.amdhsa_fp16_overflow 0
		.amdhsa_tg_split 0
		.amdhsa_exception_fp_ieee_invalid_op 0
		.amdhsa_exception_fp_denorm_src 0
		.amdhsa_exception_fp_ieee_div_zero 0
		.amdhsa_exception_fp_ieee_overflow 0
		.amdhsa_exception_fp_ieee_underflow 0
		.amdhsa_exception_fp_ieee_inexact 0
		.amdhsa_exception_int_div_zero 0
	.end_amdhsa_kernel
	.section	.text._ZN7rocprim17ROCPRIM_400000_NS6detail17trampoline_kernelINS0_14default_configENS1_25partition_config_selectorILNS1_17partition_subalgoE9EllbEEZZNS1_14partition_implILS5_9ELb0ES3_jPlS8_PNS0_10empty_typeENS0_5tupleIJS8_S9_EEENSB_IJS8_SA_EEENS0_18inequality_wrapperIZN2at6native12_GLOBAL__N_124unique_dim_cuda_templateIsEESt5tupleIJNSF_6TensorESK_SK_EERKSK_lbbbEUlllE0_EEPmJS9_EEE10hipError_tPvRmT3_T4_T5_T6_T7_T9_mT8_P12ihipStream_tbDpT10_ENKUlT_T0_E_clISt17integral_constantIbLb0EES1A_EEDaS15_S16_EUlS15_E_NS1_11comp_targetILNS1_3genE4ELNS1_11target_archE910ELNS1_3gpuE8ELNS1_3repE0EEENS1_30default_config_static_selectorELNS0_4arch9wavefront6targetE1EEEvT1_,"axG",@progbits,_ZN7rocprim17ROCPRIM_400000_NS6detail17trampoline_kernelINS0_14default_configENS1_25partition_config_selectorILNS1_17partition_subalgoE9EllbEEZZNS1_14partition_implILS5_9ELb0ES3_jPlS8_PNS0_10empty_typeENS0_5tupleIJS8_S9_EEENSB_IJS8_SA_EEENS0_18inequality_wrapperIZN2at6native12_GLOBAL__N_124unique_dim_cuda_templateIsEESt5tupleIJNSF_6TensorESK_SK_EERKSK_lbbbEUlllE0_EEPmJS9_EEE10hipError_tPvRmT3_T4_T5_T6_T7_T9_mT8_P12ihipStream_tbDpT10_ENKUlT_T0_E_clISt17integral_constantIbLb0EES1A_EEDaS15_S16_EUlS15_E_NS1_11comp_targetILNS1_3genE4ELNS1_11target_archE910ELNS1_3gpuE8ELNS1_3repE0EEENS1_30default_config_static_selectorELNS0_4arch9wavefront6targetE1EEEvT1_,comdat
.Lfunc_end719:
	.size	_ZN7rocprim17ROCPRIM_400000_NS6detail17trampoline_kernelINS0_14default_configENS1_25partition_config_selectorILNS1_17partition_subalgoE9EllbEEZZNS1_14partition_implILS5_9ELb0ES3_jPlS8_PNS0_10empty_typeENS0_5tupleIJS8_S9_EEENSB_IJS8_SA_EEENS0_18inequality_wrapperIZN2at6native12_GLOBAL__N_124unique_dim_cuda_templateIsEESt5tupleIJNSF_6TensorESK_SK_EERKSK_lbbbEUlllE0_EEPmJS9_EEE10hipError_tPvRmT3_T4_T5_T6_T7_T9_mT8_P12ihipStream_tbDpT10_ENKUlT_T0_E_clISt17integral_constantIbLb0EES1A_EEDaS15_S16_EUlS15_E_NS1_11comp_targetILNS1_3genE4ELNS1_11target_archE910ELNS1_3gpuE8ELNS1_3repE0EEENS1_30default_config_static_selectorELNS0_4arch9wavefront6targetE1EEEvT1_, .Lfunc_end719-_ZN7rocprim17ROCPRIM_400000_NS6detail17trampoline_kernelINS0_14default_configENS1_25partition_config_selectorILNS1_17partition_subalgoE9EllbEEZZNS1_14partition_implILS5_9ELb0ES3_jPlS8_PNS0_10empty_typeENS0_5tupleIJS8_S9_EEENSB_IJS8_SA_EEENS0_18inequality_wrapperIZN2at6native12_GLOBAL__N_124unique_dim_cuda_templateIsEESt5tupleIJNSF_6TensorESK_SK_EERKSK_lbbbEUlllE0_EEPmJS9_EEE10hipError_tPvRmT3_T4_T5_T6_T7_T9_mT8_P12ihipStream_tbDpT10_ENKUlT_T0_E_clISt17integral_constantIbLb0EES1A_EEDaS15_S16_EUlS15_E_NS1_11comp_targetILNS1_3genE4ELNS1_11target_archE910ELNS1_3gpuE8ELNS1_3repE0EEENS1_30default_config_static_selectorELNS0_4arch9wavefront6targetE1EEEvT1_
                                        ; -- End function
	.section	.AMDGPU.csdata,"",@progbits
; Kernel info:
; codeLenInByte = 10796
; NumSgprs: 50
; NumVgprs: 50
; NumAgprs: 0
; TotalNumVgprs: 50
; ScratchSize: 0
; MemoryBound: 0
; FloatMode: 240
; IeeeMode: 1
; LDSByteSize: 4236 bytes/workgroup (compile time only)
; SGPRBlocks: 6
; VGPRBlocks: 6
; NumSGPRsForWavesPerEU: 50
; NumVGPRsForWavesPerEU: 50
; AccumOffset: 52
; Occupancy: 8
; WaveLimiterHint : 1
; COMPUTE_PGM_RSRC2:SCRATCH_EN: 0
; COMPUTE_PGM_RSRC2:USER_SGPR: 6
; COMPUTE_PGM_RSRC2:TRAP_HANDLER: 0
; COMPUTE_PGM_RSRC2:TGID_X_EN: 1
; COMPUTE_PGM_RSRC2:TGID_Y_EN: 0
; COMPUTE_PGM_RSRC2:TGID_Z_EN: 0
; COMPUTE_PGM_RSRC2:TIDIG_COMP_CNT: 0
; COMPUTE_PGM_RSRC3_GFX90A:ACCUM_OFFSET: 12
; COMPUTE_PGM_RSRC3_GFX90A:TG_SPLIT: 0
	.section	.text._ZN7rocprim17ROCPRIM_400000_NS6detail17trampoline_kernelINS0_14default_configENS1_25partition_config_selectorILNS1_17partition_subalgoE9EllbEEZZNS1_14partition_implILS5_9ELb0ES3_jPlS8_PNS0_10empty_typeENS0_5tupleIJS8_S9_EEENSB_IJS8_SA_EEENS0_18inequality_wrapperIZN2at6native12_GLOBAL__N_124unique_dim_cuda_templateIsEESt5tupleIJNSF_6TensorESK_SK_EERKSK_lbbbEUlllE0_EEPmJS9_EEE10hipError_tPvRmT3_T4_T5_T6_T7_T9_mT8_P12ihipStream_tbDpT10_ENKUlT_T0_E_clISt17integral_constantIbLb0EES1A_EEDaS15_S16_EUlS15_E_NS1_11comp_targetILNS1_3genE3ELNS1_11target_archE908ELNS1_3gpuE7ELNS1_3repE0EEENS1_30default_config_static_selectorELNS0_4arch9wavefront6targetE1EEEvT1_,"axG",@progbits,_ZN7rocprim17ROCPRIM_400000_NS6detail17trampoline_kernelINS0_14default_configENS1_25partition_config_selectorILNS1_17partition_subalgoE9EllbEEZZNS1_14partition_implILS5_9ELb0ES3_jPlS8_PNS0_10empty_typeENS0_5tupleIJS8_S9_EEENSB_IJS8_SA_EEENS0_18inequality_wrapperIZN2at6native12_GLOBAL__N_124unique_dim_cuda_templateIsEESt5tupleIJNSF_6TensorESK_SK_EERKSK_lbbbEUlllE0_EEPmJS9_EEE10hipError_tPvRmT3_T4_T5_T6_T7_T9_mT8_P12ihipStream_tbDpT10_ENKUlT_T0_E_clISt17integral_constantIbLb0EES1A_EEDaS15_S16_EUlS15_E_NS1_11comp_targetILNS1_3genE3ELNS1_11target_archE908ELNS1_3gpuE7ELNS1_3repE0EEENS1_30default_config_static_selectorELNS0_4arch9wavefront6targetE1EEEvT1_,comdat
	.globl	_ZN7rocprim17ROCPRIM_400000_NS6detail17trampoline_kernelINS0_14default_configENS1_25partition_config_selectorILNS1_17partition_subalgoE9EllbEEZZNS1_14partition_implILS5_9ELb0ES3_jPlS8_PNS0_10empty_typeENS0_5tupleIJS8_S9_EEENSB_IJS8_SA_EEENS0_18inequality_wrapperIZN2at6native12_GLOBAL__N_124unique_dim_cuda_templateIsEESt5tupleIJNSF_6TensorESK_SK_EERKSK_lbbbEUlllE0_EEPmJS9_EEE10hipError_tPvRmT3_T4_T5_T6_T7_T9_mT8_P12ihipStream_tbDpT10_ENKUlT_T0_E_clISt17integral_constantIbLb0EES1A_EEDaS15_S16_EUlS15_E_NS1_11comp_targetILNS1_3genE3ELNS1_11target_archE908ELNS1_3gpuE7ELNS1_3repE0EEENS1_30default_config_static_selectorELNS0_4arch9wavefront6targetE1EEEvT1_ ; -- Begin function _ZN7rocprim17ROCPRIM_400000_NS6detail17trampoline_kernelINS0_14default_configENS1_25partition_config_selectorILNS1_17partition_subalgoE9EllbEEZZNS1_14partition_implILS5_9ELb0ES3_jPlS8_PNS0_10empty_typeENS0_5tupleIJS8_S9_EEENSB_IJS8_SA_EEENS0_18inequality_wrapperIZN2at6native12_GLOBAL__N_124unique_dim_cuda_templateIsEESt5tupleIJNSF_6TensorESK_SK_EERKSK_lbbbEUlllE0_EEPmJS9_EEE10hipError_tPvRmT3_T4_T5_T6_T7_T9_mT8_P12ihipStream_tbDpT10_ENKUlT_T0_E_clISt17integral_constantIbLb0EES1A_EEDaS15_S16_EUlS15_E_NS1_11comp_targetILNS1_3genE3ELNS1_11target_archE908ELNS1_3gpuE7ELNS1_3repE0EEENS1_30default_config_static_selectorELNS0_4arch9wavefront6targetE1EEEvT1_
	.p2align	8
	.type	_ZN7rocprim17ROCPRIM_400000_NS6detail17trampoline_kernelINS0_14default_configENS1_25partition_config_selectorILNS1_17partition_subalgoE9EllbEEZZNS1_14partition_implILS5_9ELb0ES3_jPlS8_PNS0_10empty_typeENS0_5tupleIJS8_S9_EEENSB_IJS8_SA_EEENS0_18inequality_wrapperIZN2at6native12_GLOBAL__N_124unique_dim_cuda_templateIsEESt5tupleIJNSF_6TensorESK_SK_EERKSK_lbbbEUlllE0_EEPmJS9_EEE10hipError_tPvRmT3_T4_T5_T6_T7_T9_mT8_P12ihipStream_tbDpT10_ENKUlT_T0_E_clISt17integral_constantIbLb0EES1A_EEDaS15_S16_EUlS15_E_NS1_11comp_targetILNS1_3genE3ELNS1_11target_archE908ELNS1_3gpuE7ELNS1_3repE0EEENS1_30default_config_static_selectorELNS0_4arch9wavefront6targetE1EEEvT1_,@function
_ZN7rocprim17ROCPRIM_400000_NS6detail17trampoline_kernelINS0_14default_configENS1_25partition_config_selectorILNS1_17partition_subalgoE9EllbEEZZNS1_14partition_implILS5_9ELb0ES3_jPlS8_PNS0_10empty_typeENS0_5tupleIJS8_S9_EEENSB_IJS8_SA_EEENS0_18inequality_wrapperIZN2at6native12_GLOBAL__N_124unique_dim_cuda_templateIsEESt5tupleIJNSF_6TensorESK_SK_EERKSK_lbbbEUlllE0_EEPmJS9_EEE10hipError_tPvRmT3_T4_T5_T6_T7_T9_mT8_P12ihipStream_tbDpT10_ENKUlT_T0_E_clISt17integral_constantIbLb0EES1A_EEDaS15_S16_EUlS15_E_NS1_11comp_targetILNS1_3genE3ELNS1_11target_archE908ELNS1_3gpuE7ELNS1_3repE0EEENS1_30default_config_static_selectorELNS0_4arch9wavefront6targetE1EEEvT1_: ; @_ZN7rocprim17ROCPRIM_400000_NS6detail17trampoline_kernelINS0_14default_configENS1_25partition_config_selectorILNS1_17partition_subalgoE9EllbEEZZNS1_14partition_implILS5_9ELb0ES3_jPlS8_PNS0_10empty_typeENS0_5tupleIJS8_S9_EEENSB_IJS8_SA_EEENS0_18inequality_wrapperIZN2at6native12_GLOBAL__N_124unique_dim_cuda_templateIsEESt5tupleIJNSF_6TensorESK_SK_EERKSK_lbbbEUlllE0_EEPmJS9_EEE10hipError_tPvRmT3_T4_T5_T6_T7_T9_mT8_P12ihipStream_tbDpT10_ENKUlT_T0_E_clISt17integral_constantIbLb0EES1A_EEDaS15_S16_EUlS15_E_NS1_11comp_targetILNS1_3genE3ELNS1_11target_archE908ELNS1_3gpuE7ELNS1_3repE0EEENS1_30default_config_static_selectorELNS0_4arch9wavefront6targetE1EEEvT1_
; %bb.0:
	.section	.rodata,"a",@progbits
	.p2align	6, 0x0
	.amdhsa_kernel _ZN7rocprim17ROCPRIM_400000_NS6detail17trampoline_kernelINS0_14default_configENS1_25partition_config_selectorILNS1_17partition_subalgoE9EllbEEZZNS1_14partition_implILS5_9ELb0ES3_jPlS8_PNS0_10empty_typeENS0_5tupleIJS8_S9_EEENSB_IJS8_SA_EEENS0_18inequality_wrapperIZN2at6native12_GLOBAL__N_124unique_dim_cuda_templateIsEESt5tupleIJNSF_6TensorESK_SK_EERKSK_lbbbEUlllE0_EEPmJS9_EEE10hipError_tPvRmT3_T4_T5_T6_T7_T9_mT8_P12ihipStream_tbDpT10_ENKUlT_T0_E_clISt17integral_constantIbLb0EES1A_EEDaS15_S16_EUlS15_E_NS1_11comp_targetILNS1_3genE3ELNS1_11target_archE908ELNS1_3gpuE7ELNS1_3repE0EEENS1_30default_config_static_selectorELNS0_4arch9wavefront6targetE1EEEvT1_
		.amdhsa_group_segment_fixed_size 0
		.amdhsa_private_segment_fixed_size 0
		.amdhsa_kernarg_size 120
		.amdhsa_user_sgpr_count 6
		.amdhsa_user_sgpr_private_segment_buffer 1
		.amdhsa_user_sgpr_dispatch_ptr 0
		.amdhsa_user_sgpr_queue_ptr 0
		.amdhsa_user_sgpr_kernarg_segment_ptr 1
		.amdhsa_user_sgpr_dispatch_id 0
		.amdhsa_user_sgpr_flat_scratch_init 0
		.amdhsa_user_sgpr_kernarg_preload_length 0
		.amdhsa_user_sgpr_kernarg_preload_offset 0
		.amdhsa_user_sgpr_private_segment_size 0
		.amdhsa_uses_dynamic_stack 0
		.amdhsa_system_sgpr_private_segment_wavefront_offset 0
		.amdhsa_system_sgpr_workgroup_id_x 1
		.amdhsa_system_sgpr_workgroup_id_y 0
		.amdhsa_system_sgpr_workgroup_id_z 0
		.amdhsa_system_sgpr_workgroup_info 0
		.amdhsa_system_vgpr_workitem_id 0
		.amdhsa_next_free_vgpr 1
		.amdhsa_next_free_sgpr 0
		.amdhsa_accum_offset 4
		.amdhsa_reserve_vcc 0
		.amdhsa_reserve_flat_scratch 0
		.amdhsa_float_round_mode_32 0
		.amdhsa_float_round_mode_16_64 0
		.amdhsa_float_denorm_mode_32 3
		.amdhsa_float_denorm_mode_16_64 3
		.amdhsa_dx10_clamp 1
		.amdhsa_ieee_mode 1
		.amdhsa_fp16_overflow 0
		.amdhsa_tg_split 0
		.amdhsa_exception_fp_ieee_invalid_op 0
		.amdhsa_exception_fp_denorm_src 0
		.amdhsa_exception_fp_ieee_div_zero 0
		.amdhsa_exception_fp_ieee_overflow 0
		.amdhsa_exception_fp_ieee_underflow 0
		.amdhsa_exception_fp_ieee_inexact 0
		.amdhsa_exception_int_div_zero 0
	.end_amdhsa_kernel
	.section	.text._ZN7rocprim17ROCPRIM_400000_NS6detail17trampoline_kernelINS0_14default_configENS1_25partition_config_selectorILNS1_17partition_subalgoE9EllbEEZZNS1_14partition_implILS5_9ELb0ES3_jPlS8_PNS0_10empty_typeENS0_5tupleIJS8_S9_EEENSB_IJS8_SA_EEENS0_18inequality_wrapperIZN2at6native12_GLOBAL__N_124unique_dim_cuda_templateIsEESt5tupleIJNSF_6TensorESK_SK_EERKSK_lbbbEUlllE0_EEPmJS9_EEE10hipError_tPvRmT3_T4_T5_T6_T7_T9_mT8_P12ihipStream_tbDpT10_ENKUlT_T0_E_clISt17integral_constantIbLb0EES1A_EEDaS15_S16_EUlS15_E_NS1_11comp_targetILNS1_3genE3ELNS1_11target_archE908ELNS1_3gpuE7ELNS1_3repE0EEENS1_30default_config_static_selectorELNS0_4arch9wavefront6targetE1EEEvT1_,"axG",@progbits,_ZN7rocprim17ROCPRIM_400000_NS6detail17trampoline_kernelINS0_14default_configENS1_25partition_config_selectorILNS1_17partition_subalgoE9EllbEEZZNS1_14partition_implILS5_9ELb0ES3_jPlS8_PNS0_10empty_typeENS0_5tupleIJS8_S9_EEENSB_IJS8_SA_EEENS0_18inequality_wrapperIZN2at6native12_GLOBAL__N_124unique_dim_cuda_templateIsEESt5tupleIJNSF_6TensorESK_SK_EERKSK_lbbbEUlllE0_EEPmJS9_EEE10hipError_tPvRmT3_T4_T5_T6_T7_T9_mT8_P12ihipStream_tbDpT10_ENKUlT_T0_E_clISt17integral_constantIbLb0EES1A_EEDaS15_S16_EUlS15_E_NS1_11comp_targetILNS1_3genE3ELNS1_11target_archE908ELNS1_3gpuE7ELNS1_3repE0EEENS1_30default_config_static_selectorELNS0_4arch9wavefront6targetE1EEEvT1_,comdat
.Lfunc_end720:
	.size	_ZN7rocprim17ROCPRIM_400000_NS6detail17trampoline_kernelINS0_14default_configENS1_25partition_config_selectorILNS1_17partition_subalgoE9EllbEEZZNS1_14partition_implILS5_9ELb0ES3_jPlS8_PNS0_10empty_typeENS0_5tupleIJS8_S9_EEENSB_IJS8_SA_EEENS0_18inequality_wrapperIZN2at6native12_GLOBAL__N_124unique_dim_cuda_templateIsEESt5tupleIJNSF_6TensorESK_SK_EERKSK_lbbbEUlllE0_EEPmJS9_EEE10hipError_tPvRmT3_T4_T5_T6_T7_T9_mT8_P12ihipStream_tbDpT10_ENKUlT_T0_E_clISt17integral_constantIbLb0EES1A_EEDaS15_S16_EUlS15_E_NS1_11comp_targetILNS1_3genE3ELNS1_11target_archE908ELNS1_3gpuE7ELNS1_3repE0EEENS1_30default_config_static_selectorELNS0_4arch9wavefront6targetE1EEEvT1_, .Lfunc_end720-_ZN7rocprim17ROCPRIM_400000_NS6detail17trampoline_kernelINS0_14default_configENS1_25partition_config_selectorILNS1_17partition_subalgoE9EllbEEZZNS1_14partition_implILS5_9ELb0ES3_jPlS8_PNS0_10empty_typeENS0_5tupleIJS8_S9_EEENSB_IJS8_SA_EEENS0_18inequality_wrapperIZN2at6native12_GLOBAL__N_124unique_dim_cuda_templateIsEESt5tupleIJNSF_6TensorESK_SK_EERKSK_lbbbEUlllE0_EEPmJS9_EEE10hipError_tPvRmT3_T4_T5_T6_T7_T9_mT8_P12ihipStream_tbDpT10_ENKUlT_T0_E_clISt17integral_constantIbLb0EES1A_EEDaS15_S16_EUlS15_E_NS1_11comp_targetILNS1_3genE3ELNS1_11target_archE908ELNS1_3gpuE7ELNS1_3repE0EEENS1_30default_config_static_selectorELNS0_4arch9wavefront6targetE1EEEvT1_
                                        ; -- End function
	.section	.AMDGPU.csdata,"",@progbits
; Kernel info:
; codeLenInByte = 0
; NumSgprs: 4
; NumVgprs: 0
; NumAgprs: 0
; TotalNumVgprs: 0
; ScratchSize: 0
; MemoryBound: 0
; FloatMode: 240
; IeeeMode: 1
; LDSByteSize: 0 bytes/workgroup (compile time only)
; SGPRBlocks: 0
; VGPRBlocks: 0
; NumSGPRsForWavesPerEU: 4
; NumVGPRsForWavesPerEU: 1
; AccumOffset: 4
; Occupancy: 8
; WaveLimiterHint : 0
; COMPUTE_PGM_RSRC2:SCRATCH_EN: 0
; COMPUTE_PGM_RSRC2:USER_SGPR: 6
; COMPUTE_PGM_RSRC2:TRAP_HANDLER: 0
; COMPUTE_PGM_RSRC2:TGID_X_EN: 1
; COMPUTE_PGM_RSRC2:TGID_Y_EN: 0
; COMPUTE_PGM_RSRC2:TGID_Z_EN: 0
; COMPUTE_PGM_RSRC2:TIDIG_COMP_CNT: 0
; COMPUTE_PGM_RSRC3_GFX90A:ACCUM_OFFSET: 0
; COMPUTE_PGM_RSRC3_GFX90A:TG_SPLIT: 0
	.section	.text._ZN7rocprim17ROCPRIM_400000_NS6detail17trampoline_kernelINS0_14default_configENS1_25partition_config_selectorILNS1_17partition_subalgoE9EllbEEZZNS1_14partition_implILS5_9ELb0ES3_jPlS8_PNS0_10empty_typeENS0_5tupleIJS8_S9_EEENSB_IJS8_SA_EEENS0_18inequality_wrapperIZN2at6native12_GLOBAL__N_124unique_dim_cuda_templateIsEESt5tupleIJNSF_6TensorESK_SK_EERKSK_lbbbEUlllE0_EEPmJS9_EEE10hipError_tPvRmT3_T4_T5_T6_T7_T9_mT8_P12ihipStream_tbDpT10_ENKUlT_T0_E_clISt17integral_constantIbLb0EES1A_EEDaS15_S16_EUlS15_E_NS1_11comp_targetILNS1_3genE2ELNS1_11target_archE906ELNS1_3gpuE6ELNS1_3repE0EEENS1_30default_config_static_selectorELNS0_4arch9wavefront6targetE1EEEvT1_,"axG",@progbits,_ZN7rocprim17ROCPRIM_400000_NS6detail17trampoline_kernelINS0_14default_configENS1_25partition_config_selectorILNS1_17partition_subalgoE9EllbEEZZNS1_14partition_implILS5_9ELb0ES3_jPlS8_PNS0_10empty_typeENS0_5tupleIJS8_S9_EEENSB_IJS8_SA_EEENS0_18inequality_wrapperIZN2at6native12_GLOBAL__N_124unique_dim_cuda_templateIsEESt5tupleIJNSF_6TensorESK_SK_EERKSK_lbbbEUlllE0_EEPmJS9_EEE10hipError_tPvRmT3_T4_T5_T6_T7_T9_mT8_P12ihipStream_tbDpT10_ENKUlT_T0_E_clISt17integral_constantIbLb0EES1A_EEDaS15_S16_EUlS15_E_NS1_11comp_targetILNS1_3genE2ELNS1_11target_archE906ELNS1_3gpuE6ELNS1_3repE0EEENS1_30default_config_static_selectorELNS0_4arch9wavefront6targetE1EEEvT1_,comdat
	.globl	_ZN7rocprim17ROCPRIM_400000_NS6detail17trampoline_kernelINS0_14default_configENS1_25partition_config_selectorILNS1_17partition_subalgoE9EllbEEZZNS1_14partition_implILS5_9ELb0ES3_jPlS8_PNS0_10empty_typeENS0_5tupleIJS8_S9_EEENSB_IJS8_SA_EEENS0_18inequality_wrapperIZN2at6native12_GLOBAL__N_124unique_dim_cuda_templateIsEESt5tupleIJNSF_6TensorESK_SK_EERKSK_lbbbEUlllE0_EEPmJS9_EEE10hipError_tPvRmT3_T4_T5_T6_T7_T9_mT8_P12ihipStream_tbDpT10_ENKUlT_T0_E_clISt17integral_constantIbLb0EES1A_EEDaS15_S16_EUlS15_E_NS1_11comp_targetILNS1_3genE2ELNS1_11target_archE906ELNS1_3gpuE6ELNS1_3repE0EEENS1_30default_config_static_selectorELNS0_4arch9wavefront6targetE1EEEvT1_ ; -- Begin function _ZN7rocprim17ROCPRIM_400000_NS6detail17trampoline_kernelINS0_14default_configENS1_25partition_config_selectorILNS1_17partition_subalgoE9EllbEEZZNS1_14partition_implILS5_9ELb0ES3_jPlS8_PNS0_10empty_typeENS0_5tupleIJS8_S9_EEENSB_IJS8_SA_EEENS0_18inequality_wrapperIZN2at6native12_GLOBAL__N_124unique_dim_cuda_templateIsEESt5tupleIJNSF_6TensorESK_SK_EERKSK_lbbbEUlllE0_EEPmJS9_EEE10hipError_tPvRmT3_T4_T5_T6_T7_T9_mT8_P12ihipStream_tbDpT10_ENKUlT_T0_E_clISt17integral_constantIbLb0EES1A_EEDaS15_S16_EUlS15_E_NS1_11comp_targetILNS1_3genE2ELNS1_11target_archE906ELNS1_3gpuE6ELNS1_3repE0EEENS1_30default_config_static_selectorELNS0_4arch9wavefront6targetE1EEEvT1_
	.p2align	8
	.type	_ZN7rocprim17ROCPRIM_400000_NS6detail17trampoline_kernelINS0_14default_configENS1_25partition_config_selectorILNS1_17partition_subalgoE9EllbEEZZNS1_14partition_implILS5_9ELb0ES3_jPlS8_PNS0_10empty_typeENS0_5tupleIJS8_S9_EEENSB_IJS8_SA_EEENS0_18inequality_wrapperIZN2at6native12_GLOBAL__N_124unique_dim_cuda_templateIsEESt5tupleIJNSF_6TensorESK_SK_EERKSK_lbbbEUlllE0_EEPmJS9_EEE10hipError_tPvRmT3_T4_T5_T6_T7_T9_mT8_P12ihipStream_tbDpT10_ENKUlT_T0_E_clISt17integral_constantIbLb0EES1A_EEDaS15_S16_EUlS15_E_NS1_11comp_targetILNS1_3genE2ELNS1_11target_archE906ELNS1_3gpuE6ELNS1_3repE0EEENS1_30default_config_static_selectorELNS0_4arch9wavefront6targetE1EEEvT1_,@function
_ZN7rocprim17ROCPRIM_400000_NS6detail17trampoline_kernelINS0_14default_configENS1_25partition_config_selectorILNS1_17partition_subalgoE9EllbEEZZNS1_14partition_implILS5_9ELb0ES3_jPlS8_PNS0_10empty_typeENS0_5tupleIJS8_S9_EEENSB_IJS8_SA_EEENS0_18inequality_wrapperIZN2at6native12_GLOBAL__N_124unique_dim_cuda_templateIsEESt5tupleIJNSF_6TensorESK_SK_EERKSK_lbbbEUlllE0_EEPmJS9_EEE10hipError_tPvRmT3_T4_T5_T6_T7_T9_mT8_P12ihipStream_tbDpT10_ENKUlT_T0_E_clISt17integral_constantIbLb0EES1A_EEDaS15_S16_EUlS15_E_NS1_11comp_targetILNS1_3genE2ELNS1_11target_archE906ELNS1_3gpuE6ELNS1_3repE0EEENS1_30default_config_static_selectorELNS0_4arch9wavefront6targetE1EEEvT1_: ; @_ZN7rocprim17ROCPRIM_400000_NS6detail17trampoline_kernelINS0_14default_configENS1_25partition_config_selectorILNS1_17partition_subalgoE9EllbEEZZNS1_14partition_implILS5_9ELb0ES3_jPlS8_PNS0_10empty_typeENS0_5tupleIJS8_S9_EEENSB_IJS8_SA_EEENS0_18inequality_wrapperIZN2at6native12_GLOBAL__N_124unique_dim_cuda_templateIsEESt5tupleIJNSF_6TensorESK_SK_EERKSK_lbbbEUlllE0_EEPmJS9_EEE10hipError_tPvRmT3_T4_T5_T6_T7_T9_mT8_P12ihipStream_tbDpT10_ENKUlT_T0_E_clISt17integral_constantIbLb0EES1A_EEDaS15_S16_EUlS15_E_NS1_11comp_targetILNS1_3genE2ELNS1_11target_archE906ELNS1_3gpuE6ELNS1_3repE0EEENS1_30default_config_static_selectorELNS0_4arch9wavefront6targetE1EEEvT1_
; %bb.0:
	.section	.rodata,"a",@progbits
	.p2align	6, 0x0
	.amdhsa_kernel _ZN7rocprim17ROCPRIM_400000_NS6detail17trampoline_kernelINS0_14default_configENS1_25partition_config_selectorILNS1_17partition_subalgoE9EllbEEZZNS1_14partition_implILS5_9ELb0ES3_jPlS8_PNS0_10empty_typeENS0_5tupleIJS8_S9_EEENSB_IJS8_SA_EEENS0_18inequality_wrapperIZN2at6native12_GLOBAL__N_124unique_dim_cuda_templateIsEESt5tupleIJNSF_6TensorESK_SK_EERKSK_lbbbEUlllE0_EEPmJS9_EEE10hipError_tPvRmT3_T4_T5_T6_T7_T9_mT8_P12ihipStream_tbDpT10_ENKUlT_T0_E_clISt17integral_constantIbLb0EES1A_EEDaS15_S16_EUlS15_E_NS1_11comp_targetILNS1_3genE2ELNS1_11target_archE906ELNS1_3gpuE6ELNS1_3repE0EEENS1_30default_config_static_selectorELNS0_4arch9wavefront6targetE1EEEvT1_
		.amdhsa_group_segment_fixed_size 0
		.amdhsa_private_segment_fixed_size 0
		.amdhsa_kernarg_size 120
		.amdhsa_user_sgpr_count 6
		.amdhsa_user_sgpr_private_segment_buffer 1
		.amdhsa_user_sgpr_dispatch_ptr 0
		.amdhsa_user_sgpr_queue_ptr 0
		.amdhsa_user_sgpr_kernarg_segment_ptr 1
		.amdhsa_user_sgpr_dispatch_id 0
		.amdhsa_user_sgpr_flat_scratch_init 0
		.amdhsa_user_sgpr_kernarg_preload_length 0
		.amdhsa_user_sgpr_kernarg_preload_offset 0
		.amdhsa_user_sgpr_private_segment_size 0
		.amdhsa_uses_dynamic_stack 0
		.amdhsa_system_sgpr_private_segment_wavefront_offset 0
		.amdhsa_system_sgpr_workgroup_id_x 1
		.amdhsa_system_sgpr_workgroup_id_y 0
		.amdhsa_system_sgpr_workgroup_id_z 0
		.amdhsa_system_sgpr_workgroup_info 0
		.amdhsa_system_vgpr_workitem_id 0
		.amdhsa_next_free_vgpr 1
		.amdhsa_next_free_sgpr 0
		.amdhsa_accum_offset 4
		.amdhsa_reserve_vcc 0
		.amdhsa_reserve_flat_scratch 0
		.amdhsa_float_round_mode_32 0
		.amdhsa_float_round_mode_16_64 0
		.amdhsa_float_denorm_mode_32 3
		.amdhsa_float_denorm_mode_16_64 3
		.amdhsa_dx10_clamp 1
		.amdhsa_ieee_mode 1
		.amdhsa_fp16_overflow 0
		.amdhsa_tg_split 0
		.amdhsa_exception_fp_ieee_invalid_op 0
		.amdhsa_exception_fp_denorm_src 0
		.amdhsa_exception_fp_ieee_div_zero 0
		.amdhsa_exception_fp_ieee_overflow 0
		.amdhsa_exception_fp_ieee_underflow 0
		.amdhsa_exception_fp_ieee_inexact 0
		.amdhsa_exception_int_div_zero 0
	.end_amdhsa_kernel
	.section	.text._ZN7rocprim17ROCPRIM_400000_NS6detail17trampoline_kernelINS0_14default_configENS1_25partition_config_selectorILNS1_17partition_subalgoE9EllbEEZZNS1_14partition_implILS5_9ELb0ES3_jPlS8_PNS0_10empty_typeENS0_5tupleIJS8_S9_EEENSB_IJS8_SA_EEENS0_18inequality_wrapperIZN2at6native12_GLOBAL__N_124unique_dim_cuda_templateIsEESt5tupleIJNSF_6TensorESK_SK_EERKSK_lbbbEUlllE0_EEPmJS9_EEE10hipError_tPvRmT3_T4_T5_T6_T7_T9_mT8_P12ihipStream_tbDpT10_ENKUlT_T0_E_clISt17integral_constantIbLb0EES1A_EEDaS15_S16_EUlS15_E_NS1_11comp_targetILNS1_3genE2ELNS1_11target_archE906ELNS1_3gpuE6ELNS1_3repE0EEENS1_30default_config_static_selectorELNS0_4arch9wavefront6targetE1EEEvT1_,"axG",@progbits,_ZN7rocprim17ROCPRIM_400000_NS6detail17trampoline_kernelINS0_14default_configENS1_25partition_config_selectorILNS1_17partition_subalgoE9EllbEEZZNS1_14partition_implILS5_9ELb0ES3_jPlS8_PNS0_10empty_typeENS0_5tupleIJS8_S9_EEENSB_IJS8_SA_EEENS0_18inequality_wrapperIZN2at6native12_GLOBAL__N_124unique_dim_cuda_templateIsEESt5tupleIJNSF_6TensorESK_SK_EERKSK_lbbbEUlllE0_EEPmJS9_EEE10hipError_tPvRmT3_T4_T5_T6_T7_T9_mT8_P12ihipStream_tbDpT10_ENKUlT_T0_E_clISt17integral_constantIbLb0EES1A_EEDaS15_S16_EUlS15_E_NS1_11comp_targetILNS1_3genE2ELNS1_11target_archE906ELNS1_3gpuE6ELNS1_3repE0EEENS1_30default_config_static_selectorELNS0_4arch9wavefront6targetE1EEEvT1_,comdat
.Lfunc_end721:
	.size	_ZN7rocprim17ROCPRIM_400000_NS6detail17trampoline_kernelINS0_14default_configENS1_25partition_config_selectorILNS1_17partition_subalgoE9EllbEEZZNS1_14partition_implILS5_9ELb0ES3_jPlS8_PNS0_10empty_typeENS0_5tupleIJS8_S9_EEENSB_IJS8_SA_EEENS0_18inequality_wrapperIZN2at6native12_GLOBAL__N_124unique_dim_cuda_templateIsEESt5tupleIJNSF_6TensorESK_SK_EERKSK_lbbbEUlllE0_EEPmJS9_EEE10hipError_tPvRmT3_T4_T5_T6_T7_T9_mT8_P12ihipStream_tbDpT10_ENKUlT_T0_E_clISt17integral_constantIbLb0EES1A_EEDaS15_S16_EUlS15_E_NS1_11comp_targetILNS1_3genE2ELNS1_11target_archE906ELNS1_3gpuE6ELNS1_3repE0EEENS1_30default_config_static_selectorELNS0_4arch9wavefront6targetE1EEEvT1_, .Lfunc_end721-_ZN7rocprim17ROCPRIM_400000_NS6detail17trampoline_kernelINS0_14default_configENS1_25partition_config_selectorILNS1_17partition_subalgoE9EllbEEZZNS1_14partition_implILS5_9ELb0ES3_jPlS8_PNS0_10empty_typeENS0_5tupleIJS8_S9_EEENSB_IJS8_SA_EEENS0_18inequality_wrapperIZN2at6native12_GLOBAL__N_124unique_dim_cuda_templateIsEESt5tupleIJNSF_6TensorESK_SK_EERKSK_lbbbEUlllE0_EEPmJS9_EEE10hipError_tPvRmT3_T4_T5_T6_T7_T9_mT8_P12ihipStream_tbDpT10_ENKUlT_T0_E_clISt17integral_constantIbLb0EES1A_EEDaS15_S16_EUlS15_E_NS1_11comp_targetILNS1_3genE2ELNS1_11target_archE906ELNS1_3gpuE6ELNS1_3repE0EEENS1_30default_config_static_selectorELNS0_4arch9wavefront6targetE1EEEvT1_
                                        ; -- End function
	.section	.AMDGPU.csdata,"",@progbits
; Kernel info:
; codeLenInByte = 0
; NumSgprs: 4
; NumVgprs: 0
; NumAgprs: 0
; TotalNumVgprs: 0
; ScratchSize: 0
; MemoryBound: 0
; FloatMode: 240
; IeeeMode: 1
; LDSByteSize: 0 bytes/workgroup (compile time only)
; SGPRBlocks: 0
; VGPRBlocks: 0
; NumSGPRsForWavesPerEU: 4
; NumVGPRsForWavesPerEU: 1
; AccumOffset: 4
; Occupancy: 8
; WaveLimiterHint : 0
; COMPUTE_PGM_RSRC2:SCRATCH_EN: 0
; COMPUTE_PGM_RSRC2:USER_SGPR: 6
; COMPUTE_PGM_RSRC2:TRAP_HANDLER: 0
; COMPUTE_PGM_RSRC2:TGID_X_EN: 1
; COMPUTE_PGM_RSRC2:TGID_Y_EN: 0
; COMPUTE_PGM_RSRC2:TGID_Z_EN: 0
; COMPUTE_PGM_RSRC2:TIDIG_COMP_CNT: 0
; COMPUTE_PGM_RSRC3_GFX90A:ACCUM_OFFSET: 0
; COMPUTE_PGM_RSRC3_GFX90A:TG_SPLIT: 0
	.section	.text._ZN7rocprim17ROCPRIM_400000_NS6detail17trampoline_kernelINS0_14default_configENS1_25partition_config_selectorILNS1_17partition_subalgoE9EllbEEZZNS1_14partition_implILS5_9ELb0ES3_jPlS8_PNS0_10empty_typeENS0_5tupleIJS8_S9_EEENSB_IJS8_SA_EEENS0_18inequality_wrapperIZN2at6native12_GLOBAL__N_124unique_dim_cuda_templateIsEESt5tupleIJNSF_6TensorESK_SK_EERKSK_lbbbEUlllE0_EEPmJS9_EEE10hipError_tPvRmT3_T4_T5_T6_T7_T9_mT8_P12ihipStream_tbDpT10_ENKUlT_T0_E_clISt17integral_constantIbLb0EES1A_EEDaS15_S16_EUlS15_E_NS1_11comp_targetILNS1_3genE10ELNS1_11target_archE1200ELNS1_3gpuE4ELNS1_3repE0EEENS1_30default_config_static_selectorELNS0_4arch9wavefront6targetE1EEEvT1_,"axG",@progbits,_ZN7rocprim17ROCPRIM_400000_NS6detail17trampoline_kernelINS0_14default_configENS1_25partition_config_selectorILNS1_17partition_subalgoE9EllbEEZZNS1_14partition_implILS5_9ELb0ES3_jPlS8_PNS0_10empty_typeENS0_5tupleIJS8_S9_EEENSB_IJS8_SA_EEENS0_18inequality_wrapperIZN2at6native12_GLOBAL__N_124unique_dim_cuda_templateIsEESt5tupleIJNSF_6TensorESK_SK_EERKSK_lbbbEUlllE0_EEPmJS9_EEE10hipError_tPvRmT3_T4_T5_T6_T7_T9_mT8_P12ihipStream_tbDpT10_ENKUlT_T0_E_clISt17integral_constantIbLb0EES1A_EEDaS15_S16_EUlS15_E_NS1_11comp_targetILNS1_3genE10ELNS1_11target_archE1200ELNS1_3gpuE4ELNS1_3repE0EEENS1_30default_config_static_selectorELNS0_4arch9wavefront6targetE1EEEvT1_,comdat
	.globl	_ZN7rocprim17ROCPRIM_400000_NS6detail17trampoline_kernelINS0_14default_configENS1_25partition_config_selectorILNS1_17partition_subalgoE9EllbEEZZNS1_14partition_implILS5_9ELb0ES3_jPlS8_PNS0_10empty_typeENS0_5tupleIJS8_S9_EEENSB_IJS8_SA_EEENS0_18inequality_wrapperIZN2at6native12_GLOBAL__N_124unique_dim_cuda_templateIsEESt5tupleIJNSF_6TensorESK_SK_EERKSK_lbbbEUlllE0_EEPmJS9_EEE10hipError_tPvRmT3_T4_T5_T6_T7_T9_mT8_P12ihipStream_tbDpT10_ENKUlT_T0_E_clISt17integral_constantIbLb0EES1A_EEDaS15_S16_EUlS15_E_NS1_11comp_targetILNS1_3genE10ELNS1_11target_archE1200ELNS1_3gpuE4ELNS1_3repE0EEENS1_30default_config_static_selectorELNS0_4arch9wavefront6targetE1EEEvT1_ ; -- Begin function _ZN7rocprim17ROCPRIM_400000_NS6detail17trampoline_kernelINS0_14default_configENS1_25partition_config_selectorILNS1_17partition_subalgoE9EllbEEZZNS1_14partition_implILS5_9ELb0ES3_jPlS8_PNS0_10empty_typeENS0_5tupleIJS8_S9_EEENSB_IJS8_SA_EEENS0_18inequality_wrapperIZN2at6native12_GLOBAL__N_124unique_dim_cuda_templateIsEESt5tupleIJNSF_6TensorESK_SK_EERKSK_lbbbEUlllE0_EEPmJS9_EEE10hipError_tPvRmT3_T4_T5_T6_T7_T9_mT8_P12ihipStream_tbDpT10_ENKUlT_T0_E_clISt17integral_constantIbLb0EES1A_EEDaS15_S16_EUlS15_E_NS1_11comp_targetILNS1_3genE10ELNS1_11target_archE1200ELNS1_3gpuE4ELNS1_3repE0EEENS1_30default_config_static_selectorELNS0_4arch9wavefront6targetE1EEEvT1_
	.p2align	8
	.type	_ZN7rocprim17ROCPRIM_400000_NS6detail17trampoline_kernelINS0_14default_configENS1_25partition_config_selectorILNS1_17partition_subalgoE9EllbEEZZNS1_14partition_implILS5_9ELb0ES3_jPlS8_PNS0_10empty_typeENS0_5tupleIJS8_S9_EEENSB_IJS8_SA_EEENS0_18inequality_wrapperIZN2at6native12_GLOBAL__N_124unique_dim_cuda_templateIsEESt5tupleIJNSF_6TensorESK_SK_EERKSK_lbbbEUlllE0_EEPmJS9_EEE10hipError_tPvRmT3_T4_T5_T6_T7_T9_mT8_P12ihipStream_tbDpT10_ENKUlT_T0_E_clISt17integral_constantIbLb0EES1A_EEDaS15_S16_EUlS15_E_NS1_11comp_targetILNS1_3genE10ELNS1_11target_archE1200ELNS1_3gpuE4ELNS1_3repE0EEENS1_30default_config_static_selectorELNS0_4arch9wavefront6targetE1EEEvT1_,@function
_ZN7rocprim17ROCPRIM_400000_NS6detail17trampoline_kernelINS0_14default_configENS1_25partition_config_selectorILNS1_17partition_subalgoE9EllbEEZZNS1_14partition_implILS5_9ELb0ES3_jPlS8_PNS0_10empty_typeENS0_5tupleIJS8_S9_EEENSB_IJS8_SA_EEENS0_18inequality_wrapperIZN2at6native12_GLOBAL__N_124unique_dim_cuda_templateIsEESt5tupleIJNSF_6TensorESK_SK_EERKSK_lbbbEUlllE0_EEPmJS9_EEE10hipError_tPvRmT3_T4_T5_T6_T7_T9_mT8_P12ihipStream_tbDpT10_ENKUlT_T0_E_clISt17integral_constantIbLb0EES1A_EEDaS15_S16_EUlS15_E_NS1_11comp_targetILNS1_3genE10ELNS1_11target_archE1200ELNS1_3gpuE4ELNS1_3repE0EEENS1_30default_config_static_selectorELNS0_4arch9wavefront6targetE1EEEvT1_: ; @_ZN7rocprim17ROCPRIM_400000_NS6detail17trampoline_kernelINS0_14default_configENS1_25partition_config_selectorILNS1_17partition_subalgoE9EllbEEZZNS1_14partition_implILS5_9ELb0ES3_jPlS8_PNS0_10empty_typeENS0_5tupleIJS8_S9_EEENSB_IJS8_SA_EEENS0_18inequality_wrapperIZN2at6native12_GLOBAL__N_124unique_dim_cuda_templateIsEESt5tupleIJNSF_6TensorESK_SK_EERKSK_lbbbEUlllE0_EEPmJS9_EEE10hipError_tPvRmT3_T4_T5_T6_T7_T9_mT8_P12ihipStream_tbDpT10_ENKUlT_T0_E_clISt17integral_constantIbLb0EES1A_EEDaS15_S16_EUlS15_E_NS1_11comp_targetILNS1_3genE10ELNS1_11target_archE1200ELNS1_3gpuE4ELNS1_3repE0EEENS1_30default_config_static_selectorELNS0_4arch9wavefront6targetE1EEEvT1_
; %bb.0:
	.section	.rodata,"a",@progbits
	.p2align	6, 0x0
	.amdhsa_kernel _ZN7rocprim17ROCPRIM_400000_NS6detail17trampoline_kernelINS0_14default_configENS1_25partition_config_selectorILNS1_17partition_subalgoE9EllbEEZZNS1_14partition_implILS5_9ELb0ES3_jPlS8_PNS0_10empty_typeENS0_5tupleIJS8_S9_EEENSB_IJS8_SA_EEENS0_18inequality_wrapperIZN2at6native12_GLOBAL__N_124unique_dim_cuda_templateIsEESt5tupleIJNSF_6TensorESK_SK_EERKSK_lbbbEUlllE0_EEPmJS9_EEE10hipError_tPvRmT3_T4_T5_T6_T7_T9_mT8_P12ihipStream_tbDpT10_ENKUlT_T0_E_clISt17integral_constantIbLb0EES1A_EEDaS15_S16_EUlS15_E_NS1_11comp_targetILNS1_3genE10ELNS1_11target_archE1200ELNS1_3gpuE4ELNS1_3repE0EEENS1_30default_config_static_selectorELNS0_4arch9wavefront6targetE1EEEvT1_
		.amdhsa_group_segment_fixed_size 0
		.amdhsa_private_segment_fixed_size 0
		.amdhsa_kernarg_size 120
		.amdhsa_user_sgpr_count 6
		.amdhsa_user_sgpr_private_segment_buffer 1
		.amdhsa_user_sgpr_dispatch_ptr 0
		.amdhsa_user_sgpr_queue_ptr 0
		.amdhsa_user_sgpr_kernarg_segment_ptr 1
		.amdhsa_user_sgpr_dispatch_id 0
		.amdhsa_user_sgpr_flat_scratch_init 0
		.amdhsa_user_sgpr_kernarg_preload_length 0
		.amdhsa_user_sgpr_kernarg_preload_offset 0
		.amdhsa_user_sgpr_private_segment_size 0
		.amdhsa_uses_dynamic_stack 0
		.amdhsa_system_sgpr_private_segment_wavefront_offset 0
		.amdhsa_system_sgpr_workgroup_id_x 1
		.amdhsa_system_sgpr_workgroup_id_y 0
		.amdhsa_system_sgpr_workgroup_id_z 0
		.amdhsa_system_sgpr_workgroup_info 0
		.amdhsa_system_vgpr_workitem_id 0
		.amdhsa_next_free_vgpr 1
		.amdhsa_next_free_sgpr 0
		.amdhsa_accum_offset 4
		.amdhsa_reserve_vcc 0
		.amdhsa_reserve_flat_scratch 0
		.amdhsa_float_round_mode_32 0
		.amdhsa_float_round_mode_16_64 0
		.amdhsa_float_denorm_mode_32 3
		.amdhsa_float_denorm_mode_16_64 3
		.amdhsa_dx10_clamp 1
		.amdhsa_ieee_mode 1
		.amdhsa_fp16_overflow 0
		.amdhsa_tg_split 0
		.amdhsa_exception_fp_ieee_invalid_op 0
		.amdhsa_exception_fp_denorm_src 0
		.amdhsa_exception_fp_ieee_div_zero 0
		.amdhsa_exception_fp_ieee_overflow 0
		.amdhsa_exception_fp_ieee_underflow 0
		.amdhsa_exception_fp_ieee_inexact 0
		.amdhsa_exception_int_div_zero 0
	.end_amdhsa_kernel
	.section	.text._ZN7rocprim17ROCPRIM_400000_NS6detail17trampoline_kernelINS0_14default_configENS1_25partition_config_selectorILNS1_17partition_subalgoE9EllbEEZZNS1_14partition_implILS5_9ELb0ES3_jPlS8_PNS0_10empty_typeENS0_5tupleIJS8_S9_EEENSB_IJS8_SA_EEENS0_18inequality_wrapperIZN2at6native12_GLOBAL__N_124unique_dim_cuda_templateIsEESt5tupleIJNSF_6TensorESK_SK_EERKSK_lbbbEUlllE0_EEPmJS9_EEE10hipError_tPvRmT3_T4_T5_T6_T7_T9_mT8_P12ihipStream_tbDpT10_ENKUlT_T0_E_clISt17integral_constantIbLb0EES1A_EEDaS15_S16_EUlS15_E_NS1_11comp_targetILNS1_3genE10ELNS1_11target_archE1200ELNS1_3gpuE4ELNS1_3repE0EEENS1_30default_config_static_selectorELNS0_4arch9wavefront6targetE1EEEvT1_,"axG",@progbits,_ZN7rocprim17ROCPRIM_400000_NS6detail17trampoline_kernelINS0_14default_configENS1_25partition_config_selectorILNS1_17partition_subalgoE9EllbEEZZNS1_14partition_implILS5_9ELb0ES3_jPlS8_PNS0_10empty_typeENS0_5tupleIJS8_S9_EEENSB_IJS8_SA_EEENS0_18inequality_wrapperIZN2at6native12_GLOBAL__N_124unique_dim_cuda_templateIsEESt5tupleIJNSF_6TensorESK_SK_EERKSK_lbbbEUlllE0_EEPmJS9_EEE10hipError_tPvRmT3_T4_T5_T6_T7_T9_mT8_P12ihipStream_tbDpT10_ENKUlT_T0_E_clISt17integral_constantIbLb0EES1A_EEDaS15_S16_EUlS15_E_NS1_11comp_targetILNS1_3genE10ELNS1_11target_archE1200ELNS1_3gpuE4ELNS1_3repE0EEENS1_30default_config_static_selectorELNS0_4arch9wavefront6targetE1EEEvT1_,comdat
.Lfunc_end722:
	.size	_ZN7rocprim17ROCPRIM_400000_NS6detail17trampoline_kernelINS0_14default_configENS1_25partition_config_selectorILNS1_17partition_subalgoE9EllbEEZZNS1_14partition_implILS5_9ELb0ES3_jPlS8_PNS0_10empty_typeENS0_5tupleIJS8_S9_EEENSB_IJS8_SA_EEENS0_18inequality_wrapperIZN2at6native12_GLOBAL__N_124unique_dim_cuda_templateIsEESt5tupleIJNSF_6TensorESK_SK_EERKSK_lbbbEUlllE0_EEPmJS9_EEE10hipError_tPvRmT3_T4_T5_T6_T7_T9_mT8_P12ihipStream_tbDpT10_ENKUlT_T0_E_clISt17integral_constantIbLb0EES1A_EEDaS15_S16_EUlS15_E_NS1_11comp_targetILNS1_3genE10ELNS1_11target_archE1200ELNS1_3gpuE4ELNS1_3repE0EEENS1_30default_config_static_selectorELNS0_4arch9wavefront6targetE1EEEvT1_, .Lfunc_end722-_ZN7rocprim17ROCPRIM_400000_NS6detail17trampoline_kernelINS0_14default_configENS1_25partition_config_selectorILNS1_17partition_subalgoE9EllbEEZZNS1_14partition_implILS5_9ELb0ES3_jPlS8_PNS0_10empty_typeENS0_5tupleIJS8_S9_EEENSB_IJS8_SA_EEENS0_18inequality_wrapperIZN2at6native12_GLOBAL__N_124unique_dim_cuda_templateIsEESt5tupleIJNSF_6TensorESK_SK_EERKSK_lbbbEUlllE0_EEPmJS9_EEE10hipError_tPvRmT3_T4_T5_T6_T7_T9_mT8_P12ihipStream_tbDpT10_ENKUlT_T0_E_clISt17integral_constantIbLb0EES1A_EEDaS15_S16_EUlS15_E_NS1_11comp_targetILNS1_3genE10ELNS1_11target_archE1200ELNS1_3gpuE4ELNS1_3repE0EEENS1_30default_config_static_selectorELNS0_4arch9wavefront6targetE1EEEvT1_
                                        ; -- End function
	.section	.AMDGPU.csdata,"",@progbits
; Kernel info:
; codeLenInByte = 0
; NumSgprs: 4
; NumVgprs: 0
; NumAgprs: 0
; TotalNumVgprs: 0
; ScratchSize: 0
; MemoryBound: 0
; FloatMode: 240
; IeeeMode: 1
; LDSByteSize: 0 bytes/workgroup (compile time only)
; SGPRBlocks: 0
; VGPRBlocks: 0
; NumSGPRsForWavesPerEU: 4
; NumVGPRsForWavesPerEU: 1
; AccumOffset: 4
; Occupancy: 8
; WaveLimiterHint : 0
; COMPUTE_PGM_RSRC2:SCRATCH_EN: 0
; COMPUTE_PGM_RSRC2:USER_SGPR: 6
; COMPUTE_PGM_RSRC2:TRAP_HANDLER: 0
; COMPUTE_PGM_RSRC2:TGID_X_EN: 1
; COMPUTE_PGM_RSRC2:TGID_Y_EN: 0
; COMPUTE_PGM_RSRC2:TGID_Z_EN: 0
; COMPUTE_PGM_RSRC2:TIDIG_COMP_CNT: 0
; COMPUTE_PGM_RSRC3_GFX90A:ACCUM_OFFSET: 0
; COMPUTE_PGM_RSRC3_GFX90A:TG_SPLIT: 0
	.section	.text._ZN7rocprim17ROCPRIM_400000_NS6detail17trampoline_kernelINS0_14default_configENS1_25partition_config_selectorILNS1_17partition_subalgoE9EllbEEZZNS1_14partition_implILS5_9ELb0ES3_jPlS8_PNS0_10empty_typeENS0_5tupleIJS8_S9_EEENSB_IJS8_SA_EEENS0_18inequality_wrapperIZN2at6native12_GLOBAL__N_124unique_dim_cuda_templateIsEESt5tupleIJNSF_6TensorESK_SK_EERKSK_lbbbEUlllE0_EEPmJS9_EEE10hipError_tPvRmT3_T4_T5_T6_T7_T9_mT8_P12ihipStream_tbDpT10_ENKUlT_T0_E_clISt17integral_constantIbLb0EES1A_EEDaS15_S16_EUlS15_E_NS1_11comp_targetILNS1_3genE9ELNS1_11target_archE1100ELNS1_3gpuE3ELNS1_3repE0EEENS1_30default_config_static_selectorELNS0_4arch9wavefront6targetE1EEEvT1_,"axG",@progbits,_ZN7rocprim17ROCPRIM_400000_NS6detail17trampoline_kernelINS0_14default_configENS1_25partition_config_selectorILNS1_17partition_subalgoE9EllbEEZZNS1_14partition_implILS5_9ELb0ES3_jPlS8_PNS0_10empty_typeENS0_5tupleIJS8_S9_EEENSB_IJS8_SA_EEENS0_18inequality_wrapperIZN2at6native12_GLOBAL__N_124unique_dim_cuda_templateIsEESt5tupleIJNSF_6TensorESK_SK_EERKSK_lbbbEUlllE0_EEPmJS9_EEE10hipError_tPvRmT3_T4_T5_T6_T7_T9_mT8_P12ihipStream_tbDpT10_ENKUlT_T0_E_clISt17integral_constantIbLb0EES1A_EEDaS15_S16_EUlS15_E_NS1_11comp_targetILNS1_3genE9ELNS1_11target_archE1100ELNS1_3gpuE3ELNS1_3repE0EEENS1_30default_config_static_selectorELNS0_4arch9wavefront6targetE1EEEvT1_,comdat
	.globl	_ZN7rocprim17ROCPRIM_400000_NS6detail17trampoline_kernelINS0_14default_configENS1_25partition_config_selectorILNS1_17partition_subalgoE9EllbEEZZNS1_14partition_implILS5_9ELb0ES3_jPlS8_PNS0_10empty_typeENS0_5tupleIJS8_S9_EEENSB_IJS8_SA_EEENS0_18inequality_wrapperIZN2at6native12_GLOBAL__N_124unique_dim_cuda_templateIsEESt5tupleIJNSF_6TensorESK_SK_EERKSK_lbbbEUlllE0_EEPmJS9_EEE10hipError_tPvRmT3_T4_T5_T6_T7_T9_mT8_P12ihipStream_tbDpT10_ENKUlT_T0_E_clISt17integral_constantIbLb0EES1A_EEDaS15_S16_EUlS15_E_NS1_11comp_targetILNS1_3genE9ELNS1_11target_archE1100ELNS1_3gpuE3ELNS1_3repE0EEENS1_30default_config_static_selectorELNS0_4arch9wavefront6targetE1EEEvT1_ ; -- Begin function _ZN7rocprim17ROCPRIM_400000_NS6detail17trampoline_kernelINS0_14default_configENS1_25partition_config_selectorILNS1_17partition_subalgoE9EllbEEZZNS1_14partition_implILS5_9ELb0ES3_jPlS8_PNS0_10empty_typeENS0_5tupleIJS8_S9_EEENSB_IJS8_SA_EEENS0_18inequality_wrapperIZN2at6native12_GLOBAL__N_124unique_dim_cuda_templateIsEESt5tupleIJNSF_6TensorESK_SK_EERKSK_lbbbEUlllE0_EEPmJS9_EEE10hipError_tPvRmT3_T4_T5_T6_T7_T9_mT8_P12ihipStream_tbDpT10_ENKUlT_T0_E_clISt17integral_constantIbLb0EES1A_EEDaS15_S16_EUlS15_E_NS1_11comp_targetILNS1_3genE9ELNS1_11target_archE1100ELNS1_3gpuE3ELNS1_3repE0EEENS1_30default_config_static_selectorELNS0_4arch9wavefront6targetE1EEEvT1_
	.p2align	8
	.type	_ZN7rocprim17ROCPRIM_400000_NS6detail17trampoline_kernelINS0_14default_configENS1_25partition_config_selectorILNS1_17partition_subalgoE9EllbEEZZNS1_14partition_implILS5_9ELb0ES3_jPlS8_PNS0_10empty_typeENS0_5tupleIJS8_S9_EEENSB_IJS8_SA_EEENS0_18inequality_wrapperIZN2at6native12_GLOBAL__N_124unique_dim_cuda_templateIsEESt5tupleIJNSF_6TensorESK_SK_EERKSK_lbbbEUlllE0_EEPmJS9_EEE10hipError_tPvRmT3_T4_T5_T6_T7_T9_mT8_P12ihipStream_tbDpT10_ENKUlT_T0_E_clISt17integral_constantIbLb0EES1A_EEDaS15_S16_EUlS15_E_NS1_11comp_targetILNS1_3genE9ELNS1_11target_archE1100ELNS1_3gpuE3ELNS1_3repE0EEENS1_30default_config_static_selectorELNS0_4arch9wavefront6targetE1EEEvT1_,@function
_ZN7rocprim17ROCPRIM_400000_NS6detail17trampoline_kernelINS0_14default_configENS1_25partition_config_selectorILNS1_17partition_subalgoE9EllbEEZZNS1_14partition_implILS5_9ELb0ES3_jPlS8_PNS0_10empty_typeENS0_5tupleIJS8_S9_EEENSB_IJS8_SA_EEENS0_18inequality_wrapperIZN2at6native12_GLOBAL__N_124unique_dim_cuda_templateIsEESt5tupleIJNSF_6TensorESK_SK_EERKSK_lbbbEUlllE0_EEPmJS9_EEE10hipError_tPvRmT3_T4_T5_T6_T7_T9_mT8_P12ihipStream_tbDpT10_ENKUlT_T0_E_clISt17integral_constantIbLb0EES1A_EEDaS15_S16_EUlS15_E_NS1_11comp_targetILNS1_3genE9ELNS1_11target_archE1100ELNS1_3gpuE3ELNS1_3repE0EEENS1_30default_config_static_selectorELNS0_4arch9wavefront6targetE1EEEvT1_: ; @_ZN7rocprim17ROCPRIM_400000_NS6detail17trampoline_kernelINS0_14default_configENS1_25partition_config_selectorILNS1_17partition_subalgoE9EllbEEZZNS1_14partition_implILS5_9ELb0ES3_jPlS8_PNS0_10empty_typeENS0_5tupleIJS8_S9_EEENSB_IJS8_SA_EEENS0_18inequality_wrapperIZN2at6native12_GLOBAL__N_124unique_dim_cuda_templateIsEESt5tupleIJNSF_6TensorESK_SK_EERKSK_lbbbEUlllE0_EEPmJS9_EEE10hipError_tPvRmT3_T4_T5_T6_T7_T9_mT8_P12ihipStream_tbDpT10_ENKUlT_T0_E_clISt17integral_constantIbLb0EES1A_EEDaS15_S16_EUlS15_E_NS1_11comp_targetILNS1_3genE9ELNS1_11target_archE1100ELNS1_3gpuE3ELNS1_3repE0EEENS1_30default_config_static_selectorELNS0_4arch9wavefront6targetE1EEEvT1_
; %bb.0:
	.section	.rodata,"a",@progbits
	.p2align	6, 0x0
	.amdhsa_kernel _ZN7rocprim17ROCPRIM_400000_NS6detail17trampoline_kernelINS0_14default_configENS1_25partition_config_selectorILNS1_17partition_subalgoE9EllbEEZZNS1_14partition_implILS5_9ELb0ES3_jPlS8_PNS0_10empty_typeENS0_5tupleIJS8_S9_EEENSB_IJS8_SA_EEENS0_18inequality_wrapperIZN2at6native12_GLOBAL__N_124unique_dim_cuda_templateIsEESt5tupleIJNSF_6TensorESK_SK_EERKSK_lbbbEUlllE0_EEPmJS9_EEE10hipError_tPvRmT3_T4_T5_T6_T7_T9_mT8_P12ihipStream_tbDpT10_ENKUlT_T0_E_clISt17integral_constantIbLb0EES1A_EEDaS15_S16_EUlS15_E_NS1_11comp_targetILNS1_3genE9ELNS1_11target_archE1100ELNS1_3gpuE3ELNS1_3repE0EEENS1_30default_config_static_selectorELNS0_4arch9wavefront6targetE1EEEvT1_
		.amdhsa_group_segment_fixed_size 0
		.amdhsa_private_segment_fixed_size 0
		.amdhsa_kernarg_size 120
		.amdhsa_user_sgpr_count 6
		.amdhsa_user_sgpr_private_segment_buffer 1
		.amdhsa_user_sgpr_dispatch_ptr 0
		.amdhsa_user_sgpr_queue_ptr 0
		.amdhsa_user_sgpr_kernarg_segment_ptr 1
		.amdhsa_user_sgpr_dispatch_id 0
		.amdhsa_user_sgpr_flat_scratch_init 0
		.amdhsa_user_sgpr_kernarg_preload_length 0
		.amdhsa_user_sgpr_kernarg_preload_offset 0
		.amdhsa_user_sgpr_private_segment_size 0
		.amdhsa_uses_dynamic_stack 0
		.amdhsa_system_sgpr_private_segment_wavefront_offset 0
		.amdhsa_system_sgpr_workgroup_id_x 1
		.amdhsa_system_sgpr_workgroup_id_y 0
		.amdhsa_system_sgpr_workgroup_id_z 0
		.amdhsa_system_sgpr_workgroup_info 0
		.amdhsa_system_vgpr_workitem_id 0
		.amdhsa_next_free_vgpr 1
		.amdhsa_next_free_sgpr 0
		.amdhsa_accum_offset 4
		.amdhsa_reserve_vcc 0
		.amdhsa_reserve_flat_scratch 0
		.amdhsa_float_round_mode_32 0
		.amdhsa_float_round_mode_16_64 0
		.amdhsa_float_denorm_mode_32 3
		.amdhsa_float_denorm_mode_16_64 3
		.amdhsa_dx10_clamp 1
		.amdhsa_ieee_mode 1
		.amdhsa_fp16_overflow 0
		.amdhsa_tg_split 0
		.amdhsa_exception_fp_ieee_invalid_op 0
		.amdhsa_exception_fp_denorm_src 0
		.amdhsa_exception_fp_ieee_div_zero 0
		.amdhsa_exception_fp_ieee_overflow 0
		.amdhsa_exception_fp_ieee_underflow 0
		.amdhsa_exception_fp_ieee_inexact 0
		.amdhsa_exception_int_div_zero 0
	.end_amdhsa_kernel
	.section	.text._ZN7rocprim17ROCPRIM_400000_NS6detail17trampoline_kernelINS0_14default_configENS1_25partition_config_selectorILNS1_17partition_subalgoE9EllbEEZZNS1_14partition_implILS5_9ELb0ES3_jPlS8_PNS0_10empty_typeENS0_5tupleIJS8_S9_EEENSB_IJS8_SA_EEENS0_18inequality_wrapperIZN2at6native12_GLOBAL__N_124unique_dim_cuda_templateIsEESt5tupleIJNSF_6TensorESK_SK_EERKSK_lbbbEUlllE0_EEPmJS9_EEE10hipError_tPvRmT3_T4_T5_T6_T7_T9_mT8_P12ihipStream_tbDpT10_ENKUlT_T0_E_clISt17integral_constantIbLb0EES1A_EEDaS15_S16_EUlS15_E_NS1_11comp_targetILNS1_3genE9ELNS1_11target_archE1100ELNS1_3gpuE3ELNS1_3repE0EEENS1_30default_config_static_selectorELNS0_4arch9wavefront6targetE1EEEvT1_,"axG",@progbits,_ZN7rocprim17ROCPRIM_400000_NS6detail17trampoline_kernelINS0_14default_configENS1_25partition_config_selectorILNS1_17partition_subalgoE9EllbEEZZNS1_14partition_implILS5_9ELb0ES3_jPlS8_PNS0_10empty_typeENS0_5tupleIJS8_S9_EEENSB_IJS8_SA_EEENS0_18inequality_wrapperIZN2at6native12_GLOBAL__N_124unique_dim_cuda_templateIsEESt5tupleIJNSF_6TensorESK_SK_EERKSK_lbbbEUlllE0_EEPmJS9_EEE10hipError_tPvRmT3_T4_T5_T6_T7_T9_mT8_P12ihipStream_tbDpT10_ENKUlT_T0_E_clISt17integral_constantIbLb0EES1A_EEDaS15_S16_EUlS15_E_NS1_11comp_targetILNS1_3genE9ELNS1_11target_archE1100ELNS1_3gpuE3ELNS1_3repE0EEENS1_30default_config_static_selectorELNS0_4arch9wavefront6targetE1EEEvT1_,comdat
.Lfunc_end723:
	.size	_ZN7rocprim17ROCPRIM_400000_NS6detail17trampoline_kernelINS0_14default_configENS1_25partition_config_selectorILNS1_17partition_subalgoE9EllbEEZZNS1_14partition_implILS5_9ELb0ES3_jPlS8_PNS0_10empty_typeENS0_5tupleIJS8_S9_EEENSB_IJS8_SA_EEENS0_18inequality_wrapperIZN2at6native12_GLOBAL__N_124unique_dim_cuda_templateIsEESt5tupleIJNSF_6TensorESK_SK_EERKSK_lbbbEUlllE0_EEPmJS9_EEE10hipError_tPvRmT3_T4_T5_T6_T7_T9_mT8_P12ihipStream_tbDpT10_ENKUlT_T0_E_clISt17integral_constantIbLb0EES1A_EEDaS15_S16_EUlS15_E_NS1_11comp_targetILNS1_3genE9ELNS1_11target_archE1100ELNS1_3gpuE3ELNS1_3repE0EEENS1_30default_config_static_selectorELNS0_4arch9wavefront6targetE1EEEvT1_, .Lfunc_end723-_ZN7rocprim17ROCPRIM_400000_NS6detail17trampoline_kernelINS0_14default_configENS1_25partition_config_selectorILNS1_17partition_subalgoE9EllbEEZZNS1_14partition_implILS5_9ELb0ES3_jPlS8_PNS0_10empty_typeENS0_5tupleIJS8_S9_EEENSB_IJS8_SA_EEENS0_18inequality_wrapperIZN2at6native12_GLOBAL__N_124unique_dim_cuda_templateIsEESt5tupleIJNSF_6TensorESK_SK_EERKSK_lbbbEUlllE0_EEPmJS9_EEE10hipError_tPvRmT3_T4_T5_T6_T7_T9_mT8_P12ihipStream_tbDpT10_ENKUlT_T0_E_clISt17integral_constantIbLb0EES1A_EEDaS15_S16_EUlS15_E_NS1_11comp_targetILNS1_3genE9ELNS1_11target_archE1100ELNS1_3gpuE3ELNS1_3repE0EEENS1_30default_config_static_selectorELNS0_4arch9wavefront6targetE1EEEvT1_
                                        ; -- End function
	.section	.AMDGPU.csdata,"",@progbits
; Kernel info:
; codeLenInByte = 0
; NumSgprs: 4
; NumVgprs: 0
; NumAgprs: 0
; TotalNumVgprs: 0
; ScratchSize: 0
; MemoryBound: 0
; FloatMode: 240
; IeeeMode: 1
; LDSByteSize: 0 bytes/workgroup (compile time only)
; SGPRBlocks: 0
; VGPRBlocks: 0
; NumSGPRsForWavesPerEU: 4
; NumVGPRsForWavesPerEU: 1
; AccumOffset: 4
; Occupancy: 8
; WaveLimiterHint : 0
; COMPUTE_PGM_RSRC2:SCRATCH_EN: 0
; COMPUTE_PGM_RSRC2:USER_SGPR: 6
; COMPUTE_PGM_RSRC2:TRAP_HANDLER: 0
; COMPUTE_PGM_RSRC2:TGID_X_EN: 1
; COMPUTE_PGM_RSRC2:TGID_Y_EN: 0
; COMPUTE_PGM_RSRC2:TGID_Z_EN: 0
; COMPUTE_PGM_RSRC2:TIDIG_COMP_CNT: 0
; COMPUTE_PGM_RSRC3_GFX90A:ACCUM_OFFSET: 0
; COMPUTE_PGM_RSRC3_GFX90A:TG_SPLIT: 0
	.section	.text._ZN7rocprim17ROCPRIM_400000_NS6detail17trampoline_kernelINS0_14default_configENS1_25partition_config_selectorILNS1_17partition_subalgoE9EllbEEZZNS1_14partition_implILS5_9ELb0ES3_jPlS8_PNS0_10empty_typeENS0_5tupleIJS8_S9_EEENSB_IJS8_SA_EEENS0_18inequality_wrapperIZN2at6native12_GLOBAL__N_124unique_dim_cuda_templateIsEESt5tupleIJNSF_6TensorESK_SK_EERKSK_lbbbEUlllE0_EEPmJS9_EEE10hipError_tPvRmT3_T4_T5_T6_T7_T9_mT8_P12ihipStream_tbDpT10_ENKUlT_T0_E_clISt17integral_constantIbLb0EES1A_EEDaS15_S16_EUlS15_E_NS1_11comp_targetILNS1_3genE8ELNS1_11target_archE1030ELNS1_3gpuE2ELNS1_3repE0EEENS1_30default_config_static_selectorELNS0_4arch9wavefront6targetE1EEEvT1_,"axG",@progbits,_ZN7rocprim17ROCPRIM_400000_NS6detail17trampoline_kernelINS0_14default_configENS1_25partition_config_selectorILNS1_17partition_subalgoE9EllbEEZZNS1_14partition_implILS5_9ELb0ES3_jPlS8_PNS0_10empty_typeENS0_5tupleIJS8_S9_EEENSB_IJS8_SA_EEENS0_18inequality_wrapperIZN2at6native12_GLOBAL__N_124unique_dim_cuda_templateIsEESt5tupleIJNSF_6TensorESK_SK_EERKSK_lbbbEUlllE0_EEPmJS9_EEE10hipError_tPvRmT3_T4_T5_T6_T7_T9_mT8_P12ihipStream_tbDpT10_ENKUlT_T0_E_clISt17integral_constantIbLb0EES1A_EEDaS15_S16_EUlS15_E_NS1_11comp_targetILNS1_3genE8ELNS1_11target_archE1030ELNS1_3gpuE2ELNS1_3repE0EEENS1_30default_config_static_selectorELNS0_4arch9wavefront6targetE1EEEvT1_,comdat
	.globl	_ZN7rocprim17ROCPRIM_400000_NS6detail17trampoline_kernelINS0_14default_configENS1_25partition_config_selectorILNS1_17partition_subalgoE9EllbEEZZNS1_14partition_implILS5_9ELb0ES3_jPlS8_PNS0_10empty_typeENS0_5tupleIJS8_S9_EEENSB_IJS8_SA_EEENS0_18inequality_wrapperIZN2at6native12_GLOBAL__N_124unique_dim_cuda_templateIsEESt5tupleIJNSF_6TensorESK_SK_EERKSK_lbbbEUlllE0_EEPmJS9_EEE10hipError_tPvRmT3_T4_T5_T6_T7_T9_mT8_P12ihipStream_tbDpT10_ENKUlT_T0_E_clISt17integral_constantIbLb0EES1A_EEDaS15_S16_EUlS15_E_NS1_11comp_targetILNS1_3genE8ELNS1_11target_archE1030ELNS1_3gpuE2ELNS1_3repE0EEENS1_30default_config_static_selectorELNS0_4arch9wavefront6targetE1EEEvT1_ ; -- Begin function _ZN7rocprim17ROCPRIM_400000_NS6detail17trampoline_kernelINS0_14default_configENS1_25partition_config_selectorILNS1_17partition_subalgoE9EllbEEZZNS1_14partition_implILS5_9ELb0ES3_jPlS8_PNS0_10empty_typeENS0_5tupleIJS8_S9_EEENSB_IJS8_SA_EEENS0_18inequality_wrapperIZN2at6native12_GLOBAL__N_124unique_dim_cuda_templateIsEESt5tupleIJNSF_6TensorESK_SK_EERKSK_lbbbEUlllE0_EEPmJS9_EEE10hipError_tPvRmT3_T4_T5_T6_T7_T9_mT8_P12ihipStream_tbDpT10_ENKUlT_T0_E_clISt17integral_constantIbLb0EES1A_EEDaS15_S16_EUlS15_E_NS1_11comp_targetILNS1_3genE8ELNS1_11target_archE1030ELNS1_3gpuE2ELNS1_3repE0EEENS1_30default_config_static_selectorELNS0_4arch9wavefront6targetE1EEEvT1_
	.p2align	8
	.type	_ZN7rocprim17ROCPRIM_400000_NS6detail17trampoline_kernelINS0_14default_configENS1_25partition_config_selectorILNS1_17partition_subalgoE9EllbEEZZNS1_14partition_implILS5_9ELb0ES3_jPlS8_PNS0_10empty_typeENS0_5tupleIJS8_S9_EEENSB_IJS8_SA_EEENS0_18inequality_wrapperIZN2at6native12_GLOBAL__N_124unique_dim_cuda_templateIsEESt5tupleIJNSF_6TensorESK_SK_EERKSK_lbbbEUlllE0_EEPmJS9_EEE10hipError_tPvRmT3_T4_T5_T6_T7_T9_mT8_P12ihipStream_tbDpT10_ENKUlT_T0_E_clISt17integral_constantIbLb0EES1A_EEDaS15_S16_EUlS15_E_NS1_11comp_targetILNS1_3genE8ELNS1_11target_archE1030ELNS1_3gpuE2ELNS1_3repE0EEENS1_30default_config_static_selectorELNS0_4arch9wavefront6targetE1EEEvT1_,@function
_ZN7rocprim17ROCPRIM_400000_NS6detail17trampoline_kernelINS0_14default_configENS1_25partition_config_selectorILNS1_17partition_subalgoE9EllbEEZZNS1_14partition_implILS5_9ELb0ES3_jPlS8_PNS0_10empty_typeENS0_5tupleIJS8_S9_EEENSB_IJS8_SA_EEENS0_18inequality_wrapperIZN2at6native12_GLOBAL__N_124unique_dim_cuda_templateIsEESt5tupleIJNSF_6TensorESK_SK_EERKSK_lbbbEUlllE0_EEPmJS9_EEE10hipError_tPvRmT3_T4_T5_T6_T7_T9_mT8_P12ihipStream_tbDpT10_ENKUlT_T0_E_clISt17integral_constantIbLb0EES1A_EEDaS15_S16_EUlS15_E_NS1_11comp_targetILNS1_3genE8ELNS1_11target_archE1030ELNS1_3gpuE2ELNS1_3repE0EEENS1_30default_config_static_selectorELNS0_4arch9wavefront6targetE1EEEvT1_: ; @_ZN7rocprim17ROCPRIM_400000_NS6detail17trampoline_kernelINS0_14default_configENS1_25partition_config_selectorILNS1_17partition_subalgoE9EllbEEZZNS1_14partition_implILS5_9ELb0ES3_jPlS8_PNS0_10empty_typeENS0_5tupleIJS8_S9_EEENSB_IJS8_SA_EEENS0_18inequality_wrapperIZN2at6native12_GLOBAL__N_124unique_dim_cuda_templateIsEESt5tupleIJNSF_6TensorESK_SK_EERKSK_lbbbEUlllE0_EEPmJS9_EEE10hipError_tPvRmT3_T4_T5_T6_T7_T9_mT8_P12ihipStream_tbDpT10_ENKUlT_T0_E_clISt17integral_constantIbLb0EES1A_EEDaS15_S16_EUlS15_E_NS1_11comp_targetILNS1_3genE8ELNS1_11target_archE1030ELNS1_3gpuE2ELNS1_3repE0EEENS1_30default_config_static_selectorELNS0_4arch9wavefront6targetE1EEEvT1_
; %bb.0:
	.section	.rodata,"a",@progbits
	.p2align	6, 0x0
	.amdhsa_kernel _ZN7rocprim17ROCPRIM_400000_NS6detail17trampoline_kernelINS0_14default_configENS1_25partition_config_selectorILNS1_17partition_subalgoE9EllbEEZZNS1_14partition_implILS5_9ELb0ES3_jPlS8_PNS0_10empty_typeENS0_5tupleIJS8_S9_EEENSB_IJS8_SA_EEENS0_18inequality_wrapperIZN2at6native12_GLOBAL__N_124unique_dim_cuda_templateIsEESt5tupleIJNSF_6TensorESK_SK_EERKSK_lbbbEUlllE0_EEPmJS9_EEE10hipError_tPvRmT3_T4_T5_T6_T7_T9_mT8_P12ihipStream_tbDpT10_ENKUlT_T0_E_clISt17integral_constantIbLb0EES1A_EEDaS15_S16_EUlS15_E_NS1_11comp_targetILNS1_3genE8ELNS1_11target_archE1030ELNS1_3gpuE2ELNS1_3repE0EEENS1_30default_config_static_selectorELNS0_4arch9wavefront6targetE1EEEvT1_
		.amdhsa_group_segment_fixed_size 0
		.amdhsa_private_segment_fixed_size 0
		.amdhsa_kernarg_size 120
		.amdhsa_user_sgpr_count 6
		.amdhsa_user_sgpr_private_segment_buffer 1
		.amdhsa_user_sgpr_dispatch_ptr 0
		.amdhsa_user_sgpr_queue_ptr 0
		.amdhsa_user_sgpr_kernarg_segment_ptr 1
		.amdhsa_user_sgpr_dispatch_id 0
		.amdhsa_user_sgpr_flat_scratch_init 0
		.amdhsa_user_sgpr_kernarg_preload_length 0
		.amdhsa_user_sgpr_kernarg_preload_offset 0
		.amdhsa_user_sgpr_private_segment_size 0
		.amdhsa_uses_dynamic_stack 0
		.amdhsa_system_sgpr_private_segment_wavefront_offset 0
		.amdhsa_system_sgpr_workgroup_id_x 1
		.amdhsa_system_sgpr_workgroup_id_y 0
		.amdhsa_system_sgpr_workgroup_id_z 0
		.amdhsa_system_sgpr_workgroup_info 0
		.amdhsa_system_vgpr_workitem_id 0
		.amdhsa_next_free_vgpr 1
		.amdhsa_next_free_sgpr 0
		.amdhsa_accum_offset 4
		.amdhsa_reserve_vcc 0
		.amdhsa_reserve_flat_scratch 0
		.amdhsa_float_round_mode_32 0
		.amdhsa_float_round_mode_16_64 0
		.amdhsa_float_denorm_mode_32 3
		.amdhsa_float_denorm_mode_16_64 3
		.amdhsa_dx10_clamp 1
		.amdhsa_ieee_mode 1
		.amdhsa_fp16_overflow 0
		.amdhsa_tg_split 0
		.amdhsa_exception_fp_ieee_invalid_op 0
		.amdhsa_exception_fp_denorm_src 0
		.amdhsa_exception_fp_ieee_div_zero 0
		.amdhsa_exception_fp_ieee_overflow 0
		.amdhsa_exception_fp_ieee_underflow 0
		.amdhsa_exception_fp_ieee_inexact 0
		.amdhsa_exception_int_div_zero 0
	.end_amdhsa_kernel
	.section	.text._ZN7rocprim17ROCPRIM_400000_NS6detail17trampoline_kernelINS0_14default_configENS1_25partition_config_selectorILNS1_17partition_subalgoE9EllbEEZZNS1_14partition_implILS5_9ELb0ES3_jPlS8_PNS0_10empty_typeENS0_5tupleIJS8_S9_EEENSB_IJS8_SA_EEENS0_18inequality_wrapperIZN2at6native12_GLOBAL__N_124unique_dim_cuda_templateIsEESt5tupleIJNSF_6TensorESK_SK_EERKSK_lbbbEUlllE0_EEPmJS9_EEE10hipError_tPvRmT3_T4_T5_T6_T7_T9_mT8_P12ihipStream_tbDpT10_ENKUlT_T0_E_clISt17integral_constantIbLb0EES1A_EEDaS15_S16_EUlS15_E_NS1_11comp_targetILNS1_3genE8ELNS1_11target_archE1030ELNS1_3gpuE2ELNS1_3repE0EEENS1_30default_config_static_selectorELNS0_4arch9wavefront6targetE1EEEvT1_,"axG",@progbits,_ZN7rocprim17ROCPRIM_400000_NS6detail17trampoline_kernelINS0_14default_configENS1_25partition_config_selectorILNS1_17partition_subalgoE9EllbEEZZNS1_14partition_implILS5_9ELb0ES3_jPlS8_PNS0_10empty_typeENS0_5tupleIJS8_S9_EEENSB_IJS8_SA_EEENS0_18inequality_wrapperIZN2at6native12_GLOBAL__N_124unique_dim_cuda_templateIsEESt5tupleIJNSF_6TensorESK_SK_EERKSK_lbbbEUlllE0_EEPmJS9_EEE10hipError_tPvRmT3_T4_T5_T6_T7_T9_mT8_P12ihipStream_tbDpT10_ENKUlT_T0_E_clISt17integral_constantIbLb0EES1A_EEDaS15_S16_EUlS15_E_NS1_11comp_targetILNS1_3genE8ELNS1_11target_archE1030ELNS1_3gpuE2ELNS1_3repE0EEENS1_30default_config_static_selectorELNS0_4arch9wavefront6targetE1EEEvT1_,comdat
.Lfunc_end724:
	.size	_ZN7rocprim17ROCPRIM_400000_NS6detail17trampoline_kernelINS0_14default_configENS1_25partition_config_selectorILNS1_17partition_subalgoE9EllbEEZZNS1_14partition_implILS5_9ELb0ES3_jPlS8_PNS0_10empty_typeENS0_5tupleIJS8_S9_EEENSB_IJS8_SA_EEENS0_18inequality_wrapperIZN2at6native12_GLOBAL__N_124unique_dim_cuda_templateIsEESt5tupleIJNSF_6TensorESK_SK_EERKSK_lbbbEUlllE0_EEPmJS9_EEE10hipError_tPvRmT3_T4_T5_T6_T7_T9_mT8_P12ihipStream_tbDpT10_ENKUlT_T0_E_clISt17integral_constantIbLb0EES1A_EEDaS15_S16_EUlS15_E_NS1_11comp_targetILNS1_3genE8ELNS1_11target_archE1030ELNS1_3gpuE2ELNS1_3repE0EEENS1_30default_config_static_selectorELNS0_4arch9wavefront6targetE1EEEvT1_, .Lfunc_end724-_ZN7rocprim17ROCPRIM_400000_NS6detail17trampoline_kernelINS0_14default_configENS1_25partition_config_selectorILNS1_17partition_subalgoE9EllbEEZZNS1_14partition_implILS5_9ELb0ES3_jPlS8_PNS0_10empty_typeENS0_5tupleIJS8_S9_EEENSB_IJS8_SA_EEENS0_18inequality_wrapperIZN2at6native12_GLOBAL__N_124unique_dim_cuda_templateIsEESt5tupleIJNSF_6TensorESK_SK_EERKSK_lbbbEUlllE0_EEPmJS9_EEE10hipError_tPvRmT3_T4_T5_T6_T7_T9_mT8_P12ihipStream_tbDpT10_ENKUlT_T0_E_clISt17integral_constantIbLb0EES1A_EEDaS15_S16_EUlS15_E_NS1_11comp_targetILNS1_3genE8ELNS1_11target_archE1030ELNS1_3gpuE2ELNS1_3repE0EEENS1_30default_config_static_selectorELNS0_4arch9wavefront6targetE1EEEvT1_
                                        ; -- End function
	.section	.AMDGPU.csdata,"",@progbits
; Kernel info:
; codeLenInByte = 0
; NumSgprs: 4
; NumVgprs: 0
; NumAgprs: 0
; TotalNumVgprs: 0
; ScratchSize: 0
; MemoryBound: 0
; FloatMode: 240
; IeeeMode: 1
; LDSByteSize: 0 bytes/workgroup (compile time only)
; SGPRBlocks: 0
; VGPRBlocks: 0
; NumSGPRsForWavesPerEU: 4
; NumVGPRsForWavesPerEU: 1
; AccumOffset: 4
; Occupancy: 8
; WaveLimiterHint : 0
; COMPUTE_PGM_RSRC2:SCRATCH_EN: 0
; COMPUTE_PGM_RSRC2:USER_SGPR: 6
; COMPUTE_PGM_RSRC2:TRAP_HANDLER: 0
; COMPUTE_PGM_RSRC2:TGID_X_EN: 1
; COMPUTE_PGM_RSRC2:TGID_Y_EN: 0
; COMPUTE_PGM_RSRC2:TGID_Z_EN: 0
; COMPUTE_PGM_RSRC2:TIDIG_COMP_CNT: 0
; COMPUTE_PGM_RSRC3_GFX90A:ACCUM_OFFSET: 0
; COMPUTE_PGM_RSRC3_GFX90A:TG_SPLIT: 0
	.section	.text._ZN7rocprim17ROCPRIM_400000_NS6detail17trampoline_kernelINS0_14default_configENS1_25partition_config_selectorILNS1_17partition_subalgoE9EllbEEZZNS1_14partition_implILS5_9ELb0ES3_jPlS8_PNS0_10empty_typeENS0_5tupleIJS8_S9_EEENSB_IJS8_SA_EEENS0_18inequality_wrapperIZN2at6native12_GLOBAL__N_124unique_dim_cuda_templateIsEESt5tupleIJNSF_6TensorESK_SK_EERKSK_lbbbEUlllE0_EEPmJS9_EEE10hipError_tPvRmT3_T4_T5_T6_T7_T9_mT8_P12ihipStream_tbDpT10_ENKUlT_T0_E_clISt17integral_constantIbLb1EES1A_EEDaS15_S16_EUlS15_E_NS1_11comp_targetILNS1_3genE0ELNS1_11target_archE4294967295ELNS1_3gpuE0ELNS1_3repE0EEENS1_30default_config_static_selectorELNS0_4arch9wavefront6targetE1EEEvT1_,"axG",@progbits,_ZN7rocprim17ROCPRIM_400000_NS6detail17trampoline_kernelINS0_14default_configENS1_25partition_config_selectorILNS1_17partition_subalgoE9EllbEEZZNS1_14partition_implILS5_9ELb0ES3_jPlS8_PNS0_10empty_typeENS0_5tupleIJS8_S9_EEENSB_IJS8_SA_EEENS0_18inequality_wrapperIZN2at6native12_GLOBAL__N_124unique_dim_cuda_templateIsEESt5tupleIJNSF_6TensorESK_SK_EERKSK_lbbbEUlllE0_EEPmJS9_EEE10hipError_tPvRmT3_T4_T5_T6_T7_T9_mT8_P12ihipStream_tbDpT10_ENKUlT_T0_E_clISt17integral_constantIbLb1EES1A_EEDaS15_S16_EUlS15_E_NS1_11comp_targetILNS1_3genE0ELNS1_11target_archE4294967295ELNS1_3gpuE0ELNS1_3repE0EEENS1_30default_config_static_selectorELNS0_4arch9wavefront6targetE1EEEvT1_,comdat
	.globl	_ZN7rocprim17ROCPRIM_400000_NS6detail17trampoline_kernelINS0_14default_configENS1_25partition_config_selectorILNS1_17partition_subalgoE9EllbEEZZNS1_14partition_implILS5_9ELb0ES3_jPlS8_PNS0_10empty_typeENS0_5tupleIJS8_S9_EEENSB_IJS8_SA_EEENS0_18inequality_wrapperIZN2at6native12_GLOBAL__N_124unique_dim_cuda_templateIsEESt5tupleIJNSF_6TensorESK_SK_EERKSK_lbbbEUlllE0_EEPmJS9_EEE10hipError_tPvRmT3_T4_T5_T6_T7_T9_mT8_P12ihipStream_tbDpT10_ENKUlT_T0_E_clISt17integral_constantIbLb1EES1A_EEDaS15_S16_EUlS15_E_NS1_11comp_targetILNS1_3genE0ELNS1_11target_archE4294967295ELNS1_3gpuE0ELNS1_3repE0EEENS1_30default_config_static_selectorELNS0_4arch9wavefront6targetE1EEEvT1_ ; -- Begin function _ZN7rocprim17ROCPRIM_400000_NS6detail17trampoline_kernelINS0_14default_configENS1_25partition_config_selectorILNS1_17partition_subalgoE9EllbEEZZNS1_14partition_implILS5_9ELb0ES3_jPlS8_PNS0_10empty_typeENS0_5tupleIJS8_S9_EEENSB_IJS8_SA_EEENS0_18inequality_wrapperIZN2at6native12_GLOBAL__N_124unique_dim_cuda_templateIsEESt5tupleIJNSF_6TensorESK_SK_EERKSK_lbbbEUlllE0_EEPmJS9_EEE10hipError_tPvRmT3_T4_T5_T6_T7_T9_mT8_P12ihipStream_tbDpT10_ENKUlT_T0_E_clISt17integral_constantIbLb1EES1A_EEDaS15_S16_EUlS15_E_NS1_11comp_targetILNS1_3genE0ELNS1_11target_archE4294967295ELNS1_3gpuE0ELNS1_3repE0EEENS1_30default_config_static_selectorELNS0_4arch9wavefront6targetE1EEEvT1_
	.p2align	8
	.type	_ZN7rocprim17ROCPRIM_400000_NS6detail17trampoline_kernelINS0_14default_configENS1_25partition_config_selectorILNS1_17partition_subalgoE9EllbEEZZNS1_14partition_implILS5_9ELb0ES3_jPlS8_PNS0_10empty_typeENS0_5tupleIJS8_S9_EEENSB_IJS8_SA_EEENS0_18inequality_wrapperIZN2at6native12_GLOBAL__N_124unique_dim_cuda_templateIsEESt5tupleIJNSF_6TensorESK_SK_EERKSK_lbbbEUlllE0_EEPmJS9_EEE10hipError_tPvRmT3_T4_T5_T6_T7_T9_mT8_P12ihipStream_tbDpT10_ENKUlT_T0_E_clISt17integral_constantIbLb1EES1A_EEDaS15_S16_EUlS15_E_NS1_11comp_targetILNS1_3genE0ELNS1_11target_archE4294967295ELNS1_3gpuE0ELNS1_3repE0EEENS1_30default_config_static_selectorELNS0_4arch9wavefront6targetE1EEEvT1_,@function
_ZN7rocprim17ROCPRIM_400000_NS6detail17trampoline_kernelINS0_14default_configENS1_25partition_config_selectorILNS1_17partition_subalgoE9EllbEEZZNS1_14partition_implILS5_9ELb0ES3_jPlS8_PNS0_10empty_typeENS0_5tupleIJS8_S9_EEENSB_IJS8_SA_EEENS0_18inequality_wrapperIZN2at6native12_GLOBAL__N_124unique_dim_cuda_templateIsEESt5tupleIJNSF_6TensorESK_SK_EERKSK_lbbbEUlllE0_EEPmJS9_EEE10hipError_tPvRmT3_T4_T5_T6_T7_T9_mT8_P12ihipStream_tbDpT10_ENKUlT_T0_E_clISt17integral_constantIbLb1EES1A_EEDaS15_S16_EUlS15_E_NS1_11comp_targetILNS1_3genE0ELNS1_11target_archE4294967295ELNS1_3gpuE0ELNS1_3repE0EEENS1_30default_config_static_selectorELNS0_4arch9wavefront6targetE1EEEvT1_: ; @_ZN7rocprim17ROCPRIM_400000_NS6detail17trampoline_kernelINS0_14default_configENS1_25partition_config_selectorILNS1_17partition_subalgoE9EllbEEZZNS1_14partition_implILS5_9ELb0ES3_jPlS8_PNS0_10empty_typeENS0_5tupleIJS8_S9_EEENSB_IJS8_SA_EEENS0_18inequality_wrapperIZN2at6native12_GLOBAL__N_124unique_dim_cuda_templateIsEESt5tupleIJNSF_6TensorESK_SK_EERKSK_lbbbEUlllE0_EEPmJS9_EEE10hipError_tPvRmT3_T4_T5_T6_T7_T9_mT8_P12ihipStream_tbDpT10_ENKUlT_T0_E_clISt17integral_constantIbLb1EES1A_EEDaS15_S16_EUlS15_E_NS1_11comp_targetILNS1_3genE0ELNS1_11target_archE4294967295ELNS1_3gpuE0ELNS1_3repE0EEENS1_30default_config_static_selectorELNS0_4arch9wavefront6targetE1EEEvT1_
; %bb.0:
	.section	.rodata,"a",@progbits
	.p2align	6, 0x0
	.amdhsa_kernel _ZN7rocprim17ROCPRIM_400000_NS6detail17trampoline_kernelINS0_14default_configENS1_25partition_config_selectorILNS1_17partition_subalgoE9EllbEEZZNS1_14partition_implILS5_9ELb0ES3_jPlS8_PNS0_10empty_typeENS0_5tupleIJS8_S9_EEENSB_IJS8_SA_EEENS0_18inequality_wrapperIZN2at6native12_GLOBAL__N_124unique_dim_cuda_templateIsEESt5tupleIJNSF_6TensorESK_SK_EERKSK_lbbbEUlllE0_EEPmJS9_EEE10hipError_tPvRmT3_T4_T5_T6_T7_T9_mT8_P12ihipStream_tbDpT10_ENKUlT_T0_E_clISt17integral_constantIbLb1EES1A_EEDaS15_S16_EUlS15_E_NS1_11comp_targetILNS1_3genE0ELNS1_11target_archE4294967295ELNS1_3gpuE0ELNS1_3repE0EEENS1_30default_config_static_selectorELNS0_4arch9wavefront6targetE1EEEvT1_
		.amdhsa_group_segment_fixed_size 0
		.amdhsa_private_segment_fixed_size 0
		.amdhsa_kernarg_size 136
		.amdhsa_user_sgpr_count 6
		.amdhsa_user_sgpr_private_segment_buffer 1
		.amdhsa_user_sgpr_dispatch_ptr 0
		.amdhsa_user_sgpr_queue_ptr 0
		.amdhsa_user_sgpr_kernarg_segment_ptr 1
		.amdhsa_user_sgpr_dispatch_id 0
		.amdhsa_user_sgpr_flat_scratch_init 0
		.amdhsa_user_sgpr_kernarg_preload_length 0
		.amdhsa_user_sgpr_kernarg_preload_offset 0
		.amdhsa_user_sgpr_private_segment_size 0
		.amdhsa_uses_dynamic_stack 0
		.amdhsa_system_sgpr_private_segment_wavefront_offset 0
		.amdhsa_system_sgpr_workgroup_id_x 1
		.amdhsa_system_sgpr_workgroup_id_y 0
		.amdhsa_system_sgpr_workgroup_id_z 0
		.amdhsa_system_sgpr_workgroup_info 0
		.amdhsa_system_vgpr_workitem_id 0
		.amdhsa_next_free_vgpr 1
		.amdhsa_next_free_sgpr 0
		.amdhsa_accum_offset 4
		.amdhsa_reserve_vcc 0
		.amdhsa_reserve_flat_scratch 0
		.amdhsa_float_round_mode_32 0
		.amdhsa_float_round_mode_16_64 0
		.amdhsa_float_denorm_mode_32 3
		.amdhsa_float_denorm_mode_16_64 3
		.amdhsa_dx10_clamp 1
		.amdhsa_ieee_mode 1
		.amdhsa_fp16_overflow 0
		.amdhsa_tg_split 0
		.amdhsa_exception_fp_ieee_invalid_op 0
		.amdhsa_exception_fp_denorm_src 0
		.amdhsa_exception_fp_ieee_div_zero 0
		.amdhsa_exception_fp_ieee_overflow 0
		.amdhsa_exception_fp_ieee_underflow 0
		.amdhsa_exception_fp_ieee_inexact 0
		.amdhsa_exception_int_div_zero 0
	.end_amdhsa_kernel
	.section	.text._ZN7rocprim17ROCPRIM_400000_NS6detail17trampoline_kernelINS0_14default_configENS1_25partition_config_selectorILNS1_17partition_subalgoE9EllbEEZZNS1_14partition_implILS5_9ELb0ES3_jPlS8_PNS0_10empty_typeENS0_5tupleIJS8_S9_EEENSB_IJS8_SA_EEENS0_18inequality_wrapperIZN2at6native12_GLOBAL__N_124unique_dim_cuda_templateIsEESt5tupleIJNSF_6TensorESK_SK_EERKSK_lbbbEUlllE0_EEPmJS9_EEE10hipError_tPvRmT3_T4_T5_T6_T7_T9_mT8_P12ihipStream_tbDpT10_ENKUlT_T0_E_clISt17integral_constantIbLb1EES1A_EEDaS15_S16_EUlS15_E_NS1_11comp_targetILNS1_3genE0ELNS1_11target_archE4294967295ELNS1_3gpuE0ELNS1_3repE0EEENS1_30default_config_static_selectorELNS0_4arch9wavefront6targetE1EEEvT1_,"axG",@progbits,_ZN7rocprim17ROCPRIM_400000_NS6detail17trampoline_kernelINS0_14default_configENS1_25partition_config_selectorILNS1_17partition_subalgoE9EllbEEZZNS1_14partition_implILS5_9ELb0ES3_jPlS8_PNS0_10empty_typeENS0_5tupleIJS8_S9_EEENSB_IJS8_SA_EEENS0_18inequality_wrapperIZN2at6native12_GLOBAL__N_124unique_dim_cuda_templateIsEESt5tupleIJNSF_6TensorESK_SK_EERKSK_lbbbEUlllE0_EEPmJS9_EEE10hipError_tPvRmT3_T4_T5_T6_T7_T9_mT8_P12ihipStream_tbDpT10_ENKUlT_T0_E_clISt17integral_constantIbLb1EES1A_EEDaS15_S16_EUlS15_E_NS1_11comp_targetILNS1_3genE0ELNS1_11target_archE4294967295ELNS1_3gpuE0ELNS1_3repE0EEENS1_30default_config_static_selectorELNS0_4arch9wavefront6targetE1EEEvT1_,comdat
.Lfunc_end725:
	.size	_ZN7rocprim17ROCPRIM_400000_NS6detail17trampoline_kernelINS0_14default_configENS1_25partition_config_selectorILNS1_17partition_subalgoE9EllbEEZZNS1_14partition_implILS5_9ELb0ES3_jPlS8_PNS0_10empty_typeENS0_5tupleIJS8_S9_EEENSB_IJS8_SA_EEENS0_18inequality_wrapperIZN2at6native12_GLOBAL__N_124unique_dim_cuda_templateIsEESt5tupleIJNSF_6TensorESK_SK_EERKSK_lbbbEUlllE0_EEPmJS9_EEE10hipError_tPvRmT3_T4_T5_T6_T7_T9_mT8_P12ihipStream_tbDpT10_ENKUlT_T0_E_clISt17integral_constantIbLb1EES1A_EEDaS15_S16_EUlS15_E_NS1_11comp_targetILNS1_3genE0ELNS1_11target_archE4294967295ELNS1_3gpuE0ELNS1_3repE0EEENS1_30default_config_static_selectorELNS0_4arch9wavefront6targetE1EEEvT1_, .Lfunc_end725-_ZN7rocprim17ROCPRIM_400000_NS6detail17trampoline_kernelINS0_14default_configENS1_25partition_config_selectorILNS1_17partition_subalgoE9EllbEEZZNS1_14partition_implILS5_9ELb0ES3_jPlS8_PNS0_10empty_typeENS0_5tupleIJS8_S9_EEENSB_IJS8_SA_EEENS0_18inequality_wrapperIZN2at6native12_GLOBAL__N_124unique_dim_cuda_templateIsEESt5tupleIJNSF_6TensorESK_SK_EERKSK_lbbbEUlllE0_EEPmJS9_EEE10hipError_tPvRmT3_T4_T5_T6_T7_T9_mT8_P12ihipStream_tbDpT10_ENKUlT_T0_E_clISt17integral_constantIbLb1EES1A_EEDaS15_S16_EUlS15_E_NS1_11comp_targetILNS1_3genE0ELNS1_11target_archE4294967295ELNS1_3gpuE0ELNS1_3repE0EEENS1_30default_config_static_selectorELNS0_4arch9wavefront6targetE1EEEvT1_
                                        ; -- End function
	.section	.AMDGPU.csdata,"",@progbits
; Kernel info:
; codeLenInByte = 0
; NumSgprs: 4
; NumVgprs: 0
; NumAgprs: 0
; TotalNumVgprs: 0
; ScratchSize: 0
; MemoryBound: 0
; FloatMode: 240
; IeeeMode: 1
; LDSByteSize: 0 bytes/workgroup (compile time only)
; SGPRBlocks: 0
; VGPRBlocks: 0
; NumSGPRsForWavesPerEU: 4
; NumVGPRsForWavesPerEU: 1
; AccumOffset: 4
; Occupancy: 8
; WaveLimiterHint : 0
; COMPUTE_PGM_RSRC2:SCRATCH_EN: 0
; COMPUTE_PGM_RSRC2:USER_SGPR: 6
; COMPUTE_PGM_RSRC2:TRAP_HANDLER: 0
; COMPUTE_PGM_RSRC2:TGID_X_EN: 1
; COMPUTE_PGM_RSRC2:TGID_Y_EN: 0
; COMPUTE_PGM_RSRC2:TGID_Z_EN: 0
; COMPUTE_PGM_RSRC2:TIDIG_COMP_CNT: 0
; COMPUTE_PGM_RSRC3_GFX90A:ACCUM_OFFSET: 0
; COMPUTE_PGM_RSRC3_GFX90A:TG_SPLIT: 0
	.section	.text._ZN7rocprim17ROCPRIM_400000_NS6detail17trampoline_kernelINS0_14default_configENS1_25partition_config_selectorILNS1_17partition_subalgoE9EllbEEZZNS1_14partition_implILS5_9ELb0ES3_jPlS8_PNS0_10empty_typeENS0_5tupleIJS8_S9_EEENSB_IJS8_SA_EEENS0_18inequality_wrapperIZN2at6native12_GLOBAL__N_124unique_dim_cuda_templateIsEESt5tupleIJNSF_6TensorESK_SK_EERKSK_lbbbEUlllE0_EEPmJS9_EEE10hipError_tPvRmT3_T4_T5_T6_T7_T9_mT8_P12ihipStream_tbDpT10_ENKUlT_T0_E_clISt17integral_constantIbLb1EES1A_EEDaS15_S16_EUlS15_E_NS1_11comp_targetILNS1_3genE5ELNS1_11target_archE942ELNS1_3gpuE9ELNS1_3repE0EEENS1_30default_config_static_selectorELNS0_4arch9wavefront6targetE1EEEvT1_,"axG",@progbits,_ZN7rocprim17ROCPRIM_400000_NS6detail17trampoline_kernelINS0_14default_configENS1_25partition_config_selectorILNS1_17partition_subalgoE9EllbEEZZNS1_14partition_implILS5_9ELb0ES3_jPlS8_PNS0_10empty_typeENS0_5tupleIJS8_S9_EEENSB_IJS8_SA_EEENS0_18inequality_wrapperIZN2at6native12_GLOBAL__N_124unique_dim_cuda_templateIsEESt5tupleIJNSF_6TensorESK_SK_EERKSK_lbbbEUlllE0_EEPmJS9_EEE10hipError_tPvRmT3_T4_T5_T6_T7_T9_mT8_P12ihipStream_tbDpT10_ENKUlT_T0_E_clISt17integral_constantIbLb1EES1A_EEDaS15_S16_EUlS15_E_NS1_11comp_targetILNS1_3genE5ELNS1_11target_archE942ELNS1_3gpuE9ELNS1_3repE0EEENS1_30default_config_static_selectorELNS0_4arch9wavefront6targetE1EEEvT1_,comdat
	.globl	_ZN7rocprim17ROCPRIM_400000_NS6detail17trampoline_kernelINS0_14default_configENS1_25partition_config_selectorILNS1_17partition_subalgoE9EllbEEZZNS1_14partition_implILS5_9ELb0ES3_jPlS8_PNS0_10empty_typeENS0_5tupleIJS8_S9_EEENSB_IJS8_SA_EEENS0_18inequality_wrapperIZN2at6native12_GLOBAL__N_124unique_dim_cuda_templateIsEESt5tupleIJNSF_6TensorESK_SK_EERKSK_lbbbEUlllE0_EEPmJS9_EEE10hipError_tPvRmT3_T4_T5_T6_T7_T9_mT8_P12ihipStream_tbDpT10_ENKUlT_T0_E_clISt17integral_constantIbLb1EES1A_EEDaS15_S16_EUlS15_E_NS1_11comp_targetILNS1_3genE5ELNS1_11target_archE942ELNS1_3gpuE9ELNS1_3repE0EEENS1_30default_config_static_selectorELNS0_4arch9wavefront6targetE1EEEvT1_ ; -- Begin function _ZN7rocprim17ROCPRIM_400000_NS6detail17trampoline_kernelINS0_14default_configENS1_25partition_config_selectorILNS1_17partition_subalgoE9EllbEEZZNS1_14partition_implILS5_9ELb0ES3_jPlS8_PNS0_10empty_typeENS0_5tupleIJS8_S9_EEENSB_IJS8_SA_EEENS0_18inequality_wrapperIZN2at6native12_GLOBAL__N_124unique_dim_cuda_templateIsEESt5tupleIJNSF_6TensorESK_SK_EERKSK_lbbbEUlllE0_EEPmJS9_EEE10hipError_tPvRmT3_T4_T5_T6_T7_T9_mT8_P12ihipStream_tbDpT10_ENKUlT_T0_E_clISt17integral_constantIbLb1EES1A_EEDaS15_S16_EUlS15_E_NS1_11comp_targetILNS1_3genE5ELNS1_11target_archE942ELNS1_3gpuE9ELNS1_3repE0EEENS1_30default_config_static_selectorELNS0_4arch9wavefront6targetE1EEEvT1_
	.p2align	8
	.type	_ZN7rocprim17ROCPRIM_400000_NS6detail17trampoline_kernelINS0_14default_configENS1_25partition_config_selectorILNS1_17partition_subalgoE9EllbEEZZNS1_14partition_implILS5_9ELb0ES3_jPlS8_PNS0_10empty_typeENS0_5tupleIJS8_S9_EEENSB_IJS8_SA_EEENS0_18inequality_wrapperIZN2at6native12_GLOBAL__N_124unique_dim_cuda_templateIsEESt5tupleIJNSF_6TensorESK_SK_EERKSK_lbbbEUlllE0_EEPmJS9_EEE10hipError_tPvRmT3_T4_T5_T6_T7_T9_mT8_P12ihipStream_tbDpT10_ENKUlT_T0_E_clISt17integral_constantIbLb1EES1A_EEDaS15_S16_EUlS15_E_NS1_11comp_targetILNS1_3genE5ELNS1_11target_archE942ELNS1_3gpuE9ELNS1_3repE0EEENS1_30default_config_static_selectorELNS0_4arch9wavefront6targetE1EEEvT1_,@function
_ZN7rocprim17ROCPRIM_400000_NS6detail17trampoline_kernelINS0_14default_configENS1_25partition_config_selectorILNS1_17partition_subalgoE9EllbEEZZNS1_14partition_implILS5_9ELb0ES3_jPlS8_PNS0_10empty_typeENS0_5tupleIJS8_S9_EEENSB_IJS8_SA_EEENS0_18inequality_wrapperIZN2at6native12_GLOBAL__N_124unique_dim_cuda_templateIsEESt5tupleIJNSF_6TensorESK_SK_EERKSK_lbbbEUlllE0_EEPmJS9_EEE10hipError_tPvRmT3_T4_T5_T6_T7_T9_mT8_P12ihipStream_tbDpT10_ENKUlT_T0_E_clISt17integral_constantIbLb1EES1A_EEDaS15_S16_EUlS15_E_NS1_11comp_targetILNS1_3genE5ELNS1_11target_archE942ELNS1_3gpuE9ELNS1_3repE0EEENS1_30default_config_static_selectorELNS0_4arch9wavefront6targetE1EEEvT1_: ; @_ZN7rocprim17ROCPRIM_400000_NS6detail17trampoline_kernelINS0_14default_configENS1_25partition_config_selectorILNS1_17partition_subalgoE9EllbEEZZNS1_14partition_implILS5_9ELb0ES3_jPlS8_PNS0_10empty_typeENS0_5tupleIJS8_S9_EEENSB_IJS8_SA_EEENS0_18inequality_wrapperIZN2at6native12_GLOBAL__N_124unique_dim_cuda_templateIsEESt5tupleIJNSF_6TensorESK_SK_EERKSK_lbbbEUlllE0_EEPmJS9_EEE10hipError_tPvRmT3_T4_T5_T6_T7_T9_mT8_P12ihipStream_tbDpT10_ENKUlT_T0_E_clISt17integral_constantIbLb1EES1A_EEDaS15_S16_EUlS15_E_NS1_11comp_targetILNS1_3genE5ELNS1_11target_archE942ELNS1_3gpuE9ELNS1_3repE0EEENS1_30default_config_static_selectorELNS0_4arch9wavefront6targetE1EEEvT1_
; %bb.0:
	.section	.rodata,"a",@progbits
	.p2align	6, 0x0
	.amdhsa_kernel _ZN7rocprim17ROCPRIM_400000_NS6detail17trampoline_kernelINS0_14default_configENS1_25partition_config_selectorILNS1_17partition_subalgoE9EllbEEZZNS1_14partition_implILS5_9ELb0ES3_jPlS8_PNS0_10empty_typeENS0_5tupleIJS8_S9_EEENSB_IJS8_SA_EEENS0_18inequality_wrapperIZN2at6native12_GLOBAL__N_124unique_dim_cuda_templateIsEESt5tupleIJNSF_6TensorESK_SK_EERKSK_lbbbEUlllE0_EEPmJS9_EEE10hipError_tPvRmT3_T4_T5_T6_T7_T9_mT8_P12ihipStream_tbDpT10_ENKUlT_T0_E_clISt17integral_constantIbLb1EES1A_EEDaS15_S16_EUlS15_E_NS1_11comp_targetILNS1_3genE5ELNS1_11target_archE942ELNS1_3gpuE9ELNS1_3repE0EEENS1_30default_config_static_selectorELNS0_4arch9wavefront6targetE1EEEvT1_
		.amdhsa_group_segment_fixed_size 0
		.amdhsa_private_segment_fixed_size 0
		.amdhsa_kernarg_size 136
		.amdhsa_user_sgpr_count 6
		.amdhsa_user_sgpr_private_segment_buffer 1
		.amdhsa_user_sgpr_dispatch_ptr 0
		.amdhsa_user_sgpr_queue_ptr 0
		.amdhsa_user_sgpr_kernarg_segment_ptr 1
		.amdhsa_user_sgpr_dispatch_id 0
		.amdhsa_user_sgpr_flat_scratch_init 0
		.amdhsa_user_sgpr_kernarg_preload_length 0
		.amdhsa_user_sgpr_kernarg_preload_offset 0
		.amdhsa_user_sgpr_private_segment_size 0
		.amdhsa_uses_dynamic_stack 0
		.amdhsa_system_sgpr_private_segment_wavefront_offset 0
		.amdhsa_system_sgpr_workgroup_id_x 1
		.amdhsa_system_sgpr_workgroup_id_y 0
		.amdhsa_system_sgpr_workgroup_id_z 0
		.amdhsa_system_sgpr_workgroup_info 0
		.amdhsa_system_vgpr_workitem_id 0
		.amdhsa_next_free_vgpr 1
		.amdhsa_next_free_sgpr 0
		.amdhsa_accum_offset 4
		.amdhsa_reserve_vcc 0
		.amdhsa_reserve_flat_scratch 0
		.amdhsa_float_round_mode_32 0
		.amdhsa_float_round_mode_16_64 0
		.amdhsa_float_denorm_mode_32 3
		.amdhsa_float_denorm_mode_16_64 3
		.amdhsa_dx10_clamp 1
		.amdhsa_ieee_mode 1
		.amdhsa_fp16_overflow 0
		.amdhsa_tg_split 0
		.amdhsa_exception_fp_ieee_invalid_op 0
		.amdhsa_exception_fp_denorm_src 0
		.amdhsa_exception_fp_ieee_div_zero 0
		.amdhsa_exception_fp_ieee_overflow 0
		.amdhsa_exception_fp_ieee_underflow 0
		.amdhsa_exception_fp_ieee_inexact 0
		.amdhsa_exception_int_div_zero 0
	.end_amdhsa_kernel
	.section	.text._ZN7rocprim17ROCPRIM_400000_NS6detail17trampoline_kernelINS0_14default_configENS1_25partition_config_selectorILNS1_17partition_subalgoE9EllbEEZZNS1_14partition_implILS5_9ELb0ES3_jPlS8_PNS0_10empty_typeENS0_5tupleIJS8_S9_EEENSB_IJS8_SA_EEENS0_18inequality_wrapperIZN2at6native12_GLOBAL__N_124unique_dim_cuda_templateIsEESt5tupleIJNSF_6TensorESK_SK_EERKSK_lbbbEUlllE0_EEPmJS9_EEE10hipError_tPvRmT3_T4_T5_T6_T7_T9_mT8_P12ihipStream_tbDpT10_ENKUlT_T0_E_clISt17integral_constantIbLb1EES1A_EEDaS15_S16_EUlS15_E_NS1_11comp_targetILNS1_3genE5ELNS1_11target_archE942ELNS1_3gpuE9ELNS1_3repE0EEENS1_30default_config_static_selectorELNS0_4arch9wavefront6targetE1EEEvT1_,"axG",@progbits,_ZN7rocprim17ROCPRIM_400000_NS6detail17trampoline_kernelINS0_14default_configENS1_25partition_config_selectorILNS1_17partition_subalgoE9EllbEEZZNS1_14partition_implILS5_9ELb0ES3_jPlS8_PNS0_10empty_typeENS0_5tupleIJS8_S9_EEENSB_IJS8_SA_EEENS0_18inequality_wrapperIZN2at6native12_GLOBAL__N_124unique_dim_cuda_templateIsEESt5tupleIJNSF_6TensorESK_SK_EERKSK_lbbbEUlllE0_EEPmJS9_EEE10hipError_tPvRmT3_T4_T5_T6_T7_T9_mT8_P12ihipStream_tbDpT10_ENKUlT_T0_E_clISt17integral_constantIbLb1EES1A_EEDaS15_S16_EUlS15_E_NS1_11comp_targetILNS1_3genE5ELNS1_11target_archE942ELNS1_3gpuE9ELNS1_3repE0EEENS1_30default_config_static_selectorELNS0_4arch9wavefront6targetE1EEEvT1_,comdat
.Lfunc_end726:
	.size	_ZN7rocprim17ROCPRIM_400000_NS6detail17trampoline_kernelINS0_14default_configENS1_25partition_config_selectorILNS1_17partition_subalgoE9EllbEEZZNS1_14partition_implILS5_9ELb0ES3_jPlS8_PNS0_10empty_typeENS0_5tupleIJS8_S9_EEENSB_IJS8_SA_EEENS0_18inequality_wrapperIZN2at6native12_GLOBAL__N_124unique_dim_cuda_templateIsEESt5tupleIJNSF_6TensorESK_SK_EERKSK_lbbbEUlllE0_EEPmJS9_EEE10hipError_tPvRmT3_T4_T5_T6_T7_T9_mT8_P12ihipStream_tbDpT10_ENKUlT_T0_E_clISt17integral_constantIbLb1EES1A_EEDaS15_S16_EUlS15_E_NS1_11comp_targetILNS1_3genE5ELNS1_11target_archE942ELNS1_3gpuE9ELNS1_3repE0EEENS1_30default_config_static_selectorELNS0_4arch9wavefront6targetE1EEEvT1_, .Lfunc_end726-_ZN7rocprim17ROCPRIM_400000_NS6detail17trampoline_kernelINS0_14default_configENS1_25partition_config_selectorILNS1_17partition_subalgoE9EllbEEZZNS1_14partition_implILS5_9ELb0ES3_jPlS8_PNS0_10empty_typeENS0_5tupleIJS8_S9_EEENSB_IJS8_SA_EEENS0_18inequality_wrapperIZN2at6native12_GLOBAL__N_124unique_dim_cuda_templateIsEESt5tupleIJNSF_6TensorESK_SK_EERKSK_lbbbEUlllE0_EEPmJS9_EEE10hipError_tPvRmT3_T4_T5_T6_T7_T9_mT8_P12ihipStream_tbDpT10_ENKUlT_T0_E_clISt17integral_constantIbLb1EES1A_EEDaS15_S16_EUlS15_E_NS1_11comp_targetILNS1_3genE5ELNS1_11target_archE942ELNS1_3gpuE9ELNS1_3repE0EEENS1_30default_config_static_selectorELNS0_4arch9wavefront6targetE1EEEvT1_
                                        ; -- End function
	.section	.AMDGPU.csdata,"",@progbits
; Kernel info:
; codeLenInByte = 0
; NumSgprs: 4
; NumVgprs: 0
; NumAgprs: 0
; TotalNumVgprs: 0
; ScratchSize: 0
; MemoryBound: 0
; FloatMode: 240
; IeeeMode: 1
; LDSByteSize: 0 bytes/workgroup (compile time only)
; SGPRBlocks: 0
; VGPRBlocks: 0
; NumSGPRsForWavesPerEU: 4
; NumVGPRsForWavesPerEU: 1
; AccumOffset: 4
; Occupancy: 8
; WaveLimiterHint : 0
; COMPUTE_PGM_RSRC2:SCRATCH_EN: 0
; COMPUTE_PGM_RSRC2:USER_SGPR: 6
; COMPUTE_PGM_RSRC2:TRAP_HANDLER: 0
; COMPUTE_PGM_RSRC2:TGID_X_EN: 1
; COMPUTE_PGM_RSRC2:TGID_Y_EN: 0
; COMPUTE_PGM_RSRC2:TGID_Z_EN: 0
; COMPUTE_PGM_RSRC2:TIDIG_COMP_CNT: 0
; COMPUTE_PGM_RSRC3_GFX90A:ACCUM_OFFSET: 0
; COMPUTE_PGM_RSRC3_GFX90A:TG_SPLIT: 0
	.section	.text._ZN7rocprim17ROCPRIM_400000_NS6detail17trampoline_kernelINS0_14default_configENS1_25partition_config_selectorILNS1_17partition_subalgoE9EllbEEZZNS1_14partition_implILS5_9ELb0ES3_jPlS8_PNS0_10empty_typeENS0_5tupleIJS8_S9_EEENSB_IJS8_SA_EEENS0_18inequality_wrapperIZN2at6native12_GLOBAL__N_124unique_dim_cuda_templateIsEESt5tupleIJNSF_6TensorESK_SK_EERKSK_lbbbEUlllE0_EEPmJS9_EEE10hipError_tPvRmT3_T4_T5_T6_T7_T9_mT8_P12ihipStream_tbDpT10_ENKUlT_T0_E_clISt17integral_constantIbLb1EES1A_EEDaS15_S16_EUlS15_E_NS1_11comp_targetILNS1_3genE4ELNS1_11target_archE910ELNS1_3gpuE8ELNS1_3repE0EEENS1_30default_config_static_selectorELNS0_4arch9wavefront6targetE1EEEvT1_,"axG",@progbits,_ZN7rocprim17ROCPRIM_400000_NS6detail17trampoline_kernelINS0_14default_configENS1_25partition_config_selectorILNS1_17partition_subalgoE9EllbEEZZNS1_14partition_implILS5_9ELb0ES3_jPlS8_PNS0_10empty_typeENS0_5tupleIJS8_S9_EEENSB_IJS8_SA_EEENS0_18inequality_wrapperIZN2at6native12_GLOBAL__N_124unique_dim_cuda_templateIsEESt5tupleIJNSF_6TensorESK_SK_EERKSK_lbbbEUlllE0_EEPmJS9_EEE10hipError_tPvRmT3_T4_T5_T6_T7_T9_mT8_P12ihipStream_tbDpT10_ENKUlT_T0_E_clISt17integral_constantIbLb1EES1A_EEDaS15_S16_EUlS15_E_NS1_11comp_targetILNS1_3genE4ELNS1_11target_archE910ELNS1_3gpuE8ELNS1_3repE0EEENS1_30default_config_static_selectorELNS0_4arch9wavefront6targetE1EEEvT1_,comdat
	.globl	_ZN7rocprim17ROCPRIM_400000_NS6detail17trampoline_kernelINS0_14default_configENS1_25partition_config_selectorILNS1_17partition_subalgoE9EllbEEZZNS1_14partition_implILS5_9ELb0ES3_jPlS8_PNS0_10empty_typeENS0_5tupleIJS8_S9_EEENSB_IJS8_SA_EEENS0_18inequality_wrapperIZN2at6native12_GLOBAL__N_124unique_dim_cuda_templateIsEESt5tupleIJNSF_6TensorESK_SK_EERKSK_lbbbEUlllE0_EEPmJS9_EEE10hipError_tPvRmT3_T4_T5_T6_T7_T9_mT8_P12ihipStream_tbDpT10_ENKUlT_T0_E_clISt17integral_constantIbLb1EES1A_EEDaS15_S16_EUlS15_E_NS1_11comp_targetILNS1_3genE4ELNS1_11target_archE910ELNS1_3gpuE8ELNS1_3repE0EEENS1_30default_config_static_selectorELNS0_4arch9wavefront6targetE1EEEvT1_ ; -- Begin function _ZN7rocprim17ROCPRIM_400000_NS6detail17trampoline_kernelINS0_14default_configENS1_25partition_config_selectorILNS1_17partition_subalgoE9EllbEEZZNS1_14partition_implILS5_9ELb0ES3_jPlS8_PNS0_10empty_typeENS0_5tupleIJS8_S9_EEENSB_IJS8_SA_EEENS0_18inequality_wrapperIZN2at6native12_GLOBAL__N_124unique_dim_cuda_templateIsEESt5tupleIJNSF_6TensorESK_SK_EERKSK_lbbbEUlllE0_EEPmJS9_EEE10hipError_tPvRmT3_T4_T5_T6_T7_T9_mT8_P12ihipStream_tbDpT10_ENKUlT_T0_E_clISt17integral_constantIbLb1EES1A_EEDaS15_S16_EUlS15_E_NS1_11comp_targetILNS1_3genE4ELNS1_11target_archE910ELNS1_3gpuE8ELNS1_3repE0EEENS1_30default_config_static_selectorELNS0_4arch9wavefront6targetE1EEEvT1_
	.p2align	8
	.type	_ZN7rocprim17ROCPRIM_400000_NS6detail17trampoline_kernelINS0_14default_configENS1_25partition_config_selectorILNS1_17partition_subalgoE9EllbEEZZNS1_14partition_implILS5_9ELb0ES3_jPlS8_PNS0_10empty_typeENS0_5tupleIJS8_S9_EEENSB_IJS8_SA_EEENS0_18inequality_wrapperIZN2at6native12_GLOBAL__N_124unique_dim_cuda_templateIsEESt5tupleIJNSF_6TensorESK_SK_EERKSK_lbbbEUlllE0_EEPmJS9_EEE10hipError_tPvRmT3_T4_T5_T6_T7_T9_mT8_P12ihipStream_tbDpT10_ENKUlT_T0_E_clISt17integral_constantIbLb1EES1A_EEDaS15_S16_EUlS15_E_NS1_11comp_targetILNS1_3genE4ELNS1_11target_archE910ELNS1_3gpuE8ELNS1_3repE0EEENS1_30default_config_static_selectorELNS0_4arch9wavefront6targetE1EEEvT1_,@function
_ZN7rocprim17ROCPRIM_400000_NS6detail17trampoline_kernelINS0_14default_configENS1_25partition_config_selectorILNS1_17partition_subalgoE9EllbEEZZNS1_14partition_implILS5_9ELb0ES3_jPlS8_PNS0_10empty_typeENS0_5tupleIJS8_S9_EEENSB_IJS8_SA_EEENS0_18inequality_wrapperIZN2at6native12_GLOBAL__N_124unique_dim_cuda_templateIsEESt5tupleIJNSF_6TensorESK_SK_EERKSK_lbbbEUlllE0_EEPmJS9_EEE10hipError_tPvRmT3_T4_T5_T6_T7_T9_mT8_P12ihipStream_tbDpT10_ENKUlT_T0_E_clISt17integral_constantIbLb1EES1A_EEDaS15_S16_EUlS15_E_NS1_11comp_targetILNS1_3genE4ELNS1_11target_archE910ELNS1_3gpuE8ELNS1_3repE0EEENS1_30default_config_static_selectorELNS0_4arch9wavefront6targetE1EEEvT1_: ; @_ZN7rocprim17ROCPRIM_400000_NS6detail17trampoline_kernelINS0_14default_configENS1_25partition_config_selectorILNS1_17partition_subalgoE9EllbEEZZNS1_14partition_implILS5_9ELb0ES3_jPlS8_PNS0_10empty_typeENS0_5tupleIJS8_S9_EEENSB_IJS8_SA_EEENS0_18inequality_wrapperIZN2at6native12_GLOBAL__N_124unique_dim_cuda_templateIsEESt5tupleIJNSF_6TensorESK_SK_EERKSK_lbbbEUlllE0_EEPmJS9_EEE10hipError_tPvRmT3_T4_T5_T6_T7_T9_mT8_P12ihipStream_tbDpT10_ENKUlT_T0_E_clISt17integral_constantIbLb1EES1A_EEDaS15_S16_EUlS15_E_NS1_11comp_targetILNS1_3genE4ELNS1_11target_archE910ELNS1_3gpuE8ELNS1_3repE0EEENS1_30default_config_static_selectorELNS0_4arch9wavefront6targetE1EEEvT1_
; %bb.0:
	s_load_dwordx4 s[8:11], s[4:5], 0x8
	s_load_dwordx2 s[14:15], s[4:5], 0x18
	s_load_dwordx8 s[20:27], s[4:5], 0x40
	s_load_dwordx4 s[16:19], s[4:5], 0x60
	v_cmp_ne_u32_e64 s[2:3], 0, v0
	v_cmp_eq_u32_e64 s[0:1], 0, v0
	s_and_saveexec_b64 s[6:7], s[0:1]
	s_cbranch_execz .LBB727_4
; %bb.1:
	s_mov_b64 s[28:29], exec
	v_mbcnt_lo_u32_b32 v1, s28, 0
	v_mbcnt_hi_u32_b32 v1, s29, v1
	v_cmp_eq_u32_e32 vcc, 0, v1
                                        ; implicit-def: $vgpr2
	s_and_saveexec_b64 s[12:13], vcc
	s_cbranch_execz .LBB727_3
; %bb.2:
	s_load_dwordx2 s[30:31], s[4:5], 0x78
	s_bcnt1_i32_b64 s28, s[28:29]
	v_mov_b32_e32 v2, 0
	v_mov_b32_e32 v3, s28
	s_waitcnt lgkmcnt(0)
	global_atomic_add v2, v2, v3, s[30:31] glc
.LBB727_3:
	s_or_b64 exec, exec, s[12:13]
	s_waitcnt vmcnt(0)
	v_readfirstlane_b32 s12, v2
	v_add_u32_e32 v1, s12, v1
	v_mov_b32_e32 v2, 0
	ds_write_b32 v2, v1
.LBB727_4:
	s_or_b64 exec, exec, s[6:7]
	v_mov_b32_e32 v1, 0
	s_load_dwordx4 s[28:31], s[4:5], 0x28
	s_load_dword s6, s[4:5], 0x70
	s_waitcnt lgkmcnt(0)
	s_barrier
	ds_read_b32 v6, v1
	s_waitcnt lgkmcnt(0)
	s_barrier
	global_load_dwordx2 v[2:3], v1, s[22:23]
	s_lshl_b64 s[36:37], s[10:11], 3
	s_add_u32 s22, s8, s36
	s_addc_u32 s23, s9, s37
	s_add_i32 s12, s6, -1
	s_lshl_b32 s8, s6, 9
	s_lshl_b32 s6, s12, 9
	s_add_i32 s6, s10, s6
	v_readfirstlane_b32 s33, v6
	s_sub_i32 s48, s24, s6
	s_lshl_b32 s6, s33, 9
	s_add_u32 s8, s10, s8
	s_addc_u32 s9, s11, 0
	v_mov_b32_e32 v4, s24
	v_mov_b32_e32 v5, s25
	s_cmp_eq_u32 s33, s12
	v_cmp_ge_u64_e32 vcc, s[8:9], v[4:5]
	s_cselect_b64 s[24:25], -1, 0
	s_mov_b32 s7, 0
	s_and_b64 s[12:13], vcc, s[24:25]
	s_lshl_b64 s[8:9], s[6:7], 3
	s_xor_b64 s[34:35], s[12:13], -1
	s_add_u32 s6, s22, s8
	s_mov_b64 s[4:5], -1
	v_lshrrev_b32_e32 v18, 2, v0
	s_addc_u32 s7, s23, s9
	s_and_b64 vcc, exec, s[34:35]
	s_waitcnt vmcnt(0)
	v_readfirstlane_b32 s22, v2
	v_readfirstlane_b32 s23, v3
	s_cbranch_vccz .LBB727_6
; %bb.5:
	v_lshlrev_b32_e32 v1, 3, v0
	global_load_dwordx2 v[2:3], v1, s[6:7]
	global_load_dwordx2 v[4:5], v1, s[6:7] offset:1024
	global_load_dwordx2 v[6:7], v1, s[6:7] offset:2048
	;; [unrolled: 1-line block ×3, first 2 shown]
	v_or_b32_e32 v11, 0x80, v0
	v_or_b32_e32 v12, 0x100, v0
	;; [unrolled: 1-line block ×3, first 2 shown]
	v_and_b32_e32 v10, 24, v18
	v_lshrrev_b32_e32 v11, 2, v11
	v_lshrrev_b32_e32 v12, 2, v12
	v_lshrrev_b32_e32 v13, 2, v13
	v_add_u32_e32 v10, v10, v1
	v_and_b32_e32 v11, 56, v11
	v_and_b32_e32 v12, 0x58, v12
	;; [unrolled: 1-line block ×3, first 2 shown]
	v_add_u32_e32 v11, v11, v1
	v_add_u32_e32 v12, v12, v1
	;; [unrolled: 1-line block ×3, first 2 shown]
	s_mov_b64 s[4:5], 0
	s_waitcnt vmcnt(3)
	ds_write_b64 v10, v[2:3]
	s_waitcnt vmcnt(2)
	ds_write_b64 v11, v[4:5] offset:1024
	s_waitcnt vmcnt(1)
	ds_write_b64 v12, v[6:7] offset:2048
	;; [unrolled: 2-line block ×3, first 2 shown]
	s_waitcnt lgkmcnt(0)
	s_barrier
.LBB727_6:
	s_andn2_b64 vcc, exec, s[4:5]
	v_cmp_gt_u32_e64 s[4:5], s48, v0
	s_cbranch_vccnz .LBB727_16
; %bb.7:
                                        ; implicit-def: $vgpr2_vgpr3_vgpr4_vgpr5_vgpr6_vgpr7_vgpr8_vgpr9
	s_and_saveexec_b64 s[38:39], s[4:5]
	s_cbranch_execz .LBB727_9
; %bb.8:
	v_lshlrev_b32_e32 v1, 3, v0
	global_load_dwordx2 v[2:3], v1, s[6:7]
.LBB727_9:
	s_or_b64 exec, exec, s[38:39]
	v_or_b32_e32 v1, 0x80, v0
	v_cmp_gt_u32_e32 vcc, s48, v1
	s_and_saveexec_b64 s[4:5], vcc
	s_cbranch_execz .LBB727_11
; %bb.10:
	v_lshlrev_b32_e32 v4, 3, v0
	global_load_dwordx2 v[4:5], v4, s[6:7] offset:1024
.LBB727_11:
	s_or_b64 exec, exec, s[4:5]
	v_or_b32_e32 v10, 0x100, v0
	v_cmp_gt_u32_e32 vcc, s48, v10
	s_and_saveexec_b64 s[4:5], vcc
	s_cbranch_execz .LBB727_13
; %bb.12:
	v_lshlrev_b32_e32 v6, 3, v0
	global_load_dwordx2 v[6:7], v6, s[6:7] offset:2048
.LBB727_13:
	;; [unrolled: 9-line block ×3, first 2 shown]
	s_or_b64 exec, exec, s[4:5]
	v_lshrrev_b32_e32 v1, 2, v1
	v_lshlrev_b32_e32 v13, 3, v0
	v_and_b32_e32 v1, 56, v1
	v_add_u32_e32 v1, v1, v13
	s_waitcnt vmcnt(0)
	ds_write_b64 v1, v[4:5] offset:1024
	v_lshrrev_b32_e32 v1, 2, v10
	v_and_b32_e32 v1, 0x78, v1
	v_add_u32_e32 v1, v1, v13
	ds_write_b64 v1, v[6:7] offset:2048
	v_lshrrev_b32_e32 v1, 2, v11
	v_and_b32_e32 v12, 24, v18
	v_and_b32_e32 v1, 0x78, v1
	v_add_u32_e32 v12, v12, v13
	v_add_u32_e32 v1, v1, v13
	ds_write_b64 v12, v[2:3]
	ds_write_b64 v1, v[8:9] offset:3072
	s_waitcnt lgkmcnt(0)
	s_barrier
.LBB727_16:
	v_lshlrev_b32_e32 v1, 2, v0
	v_lshrrev_b32_e32 v2, 3, v0
	v_add_lshl_u32 v19, v2, v1, 3
	ds_read2_b64 v[14:17], v19 offset1:1
	ds_read2_b64 v[10:13], v19 offset0:2 offset1:3
	s_add_u32 s4, s14, s36
	s_addc_u32 s5, s15, s37
	s_add_u32 s4, s4, s8
	s_addc_u32 s5, s5, s9
	s_mov_b64 s[8:9], -1
	s_and_b64 vcc, exec, s[34:35]
	s_waitcnt lgkmcnt(0)
	s_barrier
	s_cbranch_vccz .LBB727_18
; %bb.17:
	v_lshlrev_b32_e32 v20, 3, v0
	global_load_dwordx2 v[2:3], v20, s[4:5]
	global_load_dwordx2 v[4:5], v20, s[4:5] offset:1024
	global_load_dwordx2 v[6:7], v20, s[4:5] offset:2048
	;; [unrolled: 1-line block ×3, first 2 shown]
	v_or_b32_e32 v22, 0x80, v0
	v_or_b32_e32 v23, 0x100, v0
	;; [unrolled: 1-line block ×3, first 2 shown]
	v_and_b32_e32 v21, 24, v18
	v_lshrrev_b32_e32 v22, 2, v22
	v_lshrrev_b32_e32 v23, 2, v23
	;; [unrolled: 1-line block ×3, first 2 shown]
	v_add_u32_e32 v21, v21, v20
	v_and_b32_e32 v22, 56, v22
	v_and_b32_e32 v23, 0x58, v23
	;; [unrolled: 1-line block ×3, first 2 shown]
	v_add_u32_e32 v22, v22, v20
	v_add_u32_e32 v23, v23, v20
	;; [unrolled: 1-line block ×3, first 2 shown]
	s_mov_b64 s[8:9], 0
	s_waitcnt vmcnt(3)
	ds_write_b64 v21, v[2:3]
	s_waitcnt vmcnt(2)
	ds_write_b64 v22, v[4:5] offset:1024
	s_waitcnt vmcnt(1)
	ds_write_b64 v23, v[6:7] offset:2048
	;; [unrolled: 2-line block ×3, first 2 shown]
	s_waitcnt lgkmcnt(0)
	s_barrier
.LBB727_18:
	s_andn2_b64 vcc, exec, s[8:9]
	s_cbranch_vccnz .LBB727_28
; %bb.19:
	v_cmp_gt_u32_e32 vcc, s48, v0
                                        ; implicit-def: $vgpr2_vgpr3
	s_and_saveexec_b64 s[8:9], vcc
	s_cbranch_execz .LBB727_21
; %bb.20:
	v_lshlrev_b32_e32 v2, 3, v0
	global_load_dwordx2 v[2:3], v2, s[4:5]
.LBB727_21:
	s_or_b64 exec, exec, s[8:9]
	v_or_b32_e32 v20, 0x80, v0
	v_cmp_gt_u32_e32 vcc, s48, v20
                                        ; implicit-def: $vgpr4_vgpr5
	s_and_saveexec_b64 s[8:9], vcc
	s_cbranch_execz .LBB727_23
; %bb.22:
	v_lshlrev_b32_e32 v4, 3, v0
	global_load_dwordx2 v[4:5], v4, s[4:5] offset:1024
.LBB727_23:
	s_or_b64 exec, exec, s[8:9]
	v_or_b32_e32 v21, 0x100, v0
	v_cmp_gt_u32_e32 vcc, s48, v21
                                        ; implicit-def: $vgpr6_vgpr7
	s_and_saveexec_b64 s[8:9], vcc
	s_cbranch_execz .LBB727_25
; %bb.24:
	v_lshlrev_b32_e32 v6, 3, v0
	global_load_dwordx2 v[6:7], v6, s[4:5] offset:2048
.LBB727_25:
	s_or_b64 exec, exec, s[8:9]
	v_or_b32_e32 v22, 0x180, v0
	v_cmp_gt_u32_e32 vcc, s48, v22
                                        ; implicit-def: $vgpr8_vgpr9
	s_and_saveexec_b64 s[8:9], vcc
	s_cbranch_execz .LBB727_27
; %bb.26:
	v_lshlrev_b32_e32 v8, 3, v0
	global_load_dwordx2 v[8:9], v8, s[4:5] offset:3072
.LBB727_27:
	s_or_b64 exec, exec, s[8:9]
	v_and_b32_e32 v18, 24, v18
	v_lshlrev_b32_e32 v23, 3, v0
	v_add_u32_e32 v18, v18, v23
	s_waitcnt vmcnt(0)
	ds_write_b64 v18, v[2:3]
	v_lshrrev_b32_e32 v2, 2, v20
	v_and_b32_e32 v2, 56, v2
	v_add_u32_e32 v2, v2, v23
	ds_write_b64 v2, v[4:5] offset:1024
	v_lshrrev_b32_e32 v2, 2, v21
	v_and_b32_e32 v2, 0x78, v2
	v_add_u32_e32 v2, v2, v23
	ds_write_b64 v2, v[6:7] offset:2048
	;; [unrolled: 4-line block ×3, first 2 shown]
	s_waitcnt lgkmcnt(0)
	s_barrier
.LBB727_28:
	ds_read2_b64 v[6:9], v19 offset1:1
	ds_read2_b64 v[2:5], v19 offset0:2 offset1:3
	s_cmp_lg_u32 s33, 0
	s_cselect_b64 s[36:37], -1, 0
	s_cmp_lg_u64 s[10:11], 0
	s_cselect_b64 s[4:5], -1, 0
	s_or_b64 s[4:5], s[4:5], s[36:37]
	s_mov_b64 s[14:15], 0
	s_and_b64 vcc, exec, s[4:5]
	v_cmp_gt_i64_e64 s[4:5], s[26:27], 0
	s_waitcnt lgkmcnt(0)
	s_barrier
	s_cbranch_vccz .LBB727_37
; %bb.29:
	v_mov_b32_e32 v18, 0
	global_load_dwordx2 v[18:19], v18, s[6:7] offset:-8
	v_cndmask_b32_e64 v20, 0, 1, s[4:5]
	v_lshlrev_b32_e32 v29, 3, v0
	s_mov_b64 s[10:11], 0
	s_and_b64 vcc, exec, s[34:35]
	v_cmp_ne_u32_e64 s[4:5], 1, v20
	ds_write_b64 v29, v[12:13]
	s_cbranch_vccz .LBB727_38
; %bb.30:
	v_mul_lo_u32 v22, v11, s26
	v_mul_lo_u32 v23, v10, s27
	v_mad_u64_u32 v[20:21], s[6:7], v10, s26, 0
	v_add3_u32 v21, v21, v23, v22
	s_and_b64 vcc, exec, s[4:5]
	v_lshlrev_b64 v[20:21], 1, v[20:21]
	s_cbranch_vccnz .LBB727_41
; %bb.31:
	v_mul_lo_u32 v24, v13, s26
	v_mul_lo_u32 v25, v12, s27
	v_mad_u64_u32 v[22:23], s[6:7], v12, s26, 0
	v_add3_u32 v23, v23, v25, v24
	v_mov_b32_e32 v25, s17
	v_add_co_u32_e32 v24, vcc, s16, v20
	v_addc_co_u32_e64 v25, s[6:7], v25, v21, vcc
	v_lshlrev_b64 v[22:23], 1, v[22:23]
	v_mov_b32_e32 v27, s17
	v_add_co_u32_e64 v26, s[6:7], s16, v22
	v_addc_co_u32_e64 v27, s[8:9], v27, v23, s[6:7]
	global_load_ushort v22, v[24:25], off
	global_load_ushort v28, v[26:27], off
	s_mov_b64 s[10:11], -1
	s_waitcnt vmcnt(0)
	v_cmp_eq_u16_e64 s[8:9], v22, v28
	s_and_saveexec_b64 s[14:15], s[8:9]
	s_cbranch_execz .LBB727_40
; %bb.32:
	v_mov_b32_e32 v22, s17
	v_addc_co_u32_e64 v23, s[6:7], v23, v22, s[6:7]
	v_add_co_u32_e64 v22, s[6:7], 2, v26
	v_mov_b32_e32 v25, s17
	v_addc_co_u32_e64 v23, s[6:7], 0, v23, s[6:7]
	v_addc_co_u32_e32 v25, vcc, v21, v25, vcc
	v_add_co_u32_e32 v24, vcc, 2, v24
	s_add_u32 s6, s26, -1
	v_addc_co_u32_e32 v25, vcc, 0, v25, vcc
	s_addc_u32 s7, s27, -1
	s_mov_b64 s[8:9], 0
	s_mov_b64 s[38:39], 0
                                        ; implicit-def: $sgpr10_sgpr11
	s_branch .LBB727_35
.LBB727_33:                             ;   in Loop: Header=BB727_35 Depth=1
	global_load_ushort v26, v[24:25], off
	global_load_ushort v27, v[22:23], off
	v_add_co_u32_e32 v22, vcc, 2, v22
	v_addc_co_u32_e32 v23, vcc, 0, v23, vcc
	v_add_co_u32_e32 v24, vcc, 2, v24
	v_addc_co_u32_e32 v25, vcc, 0, v25, vcc
	s_add_u32 s38, s38, 1
	s_addc_u32 s39, s39, 0
	s_andn2_b64 s[10:11], s[10:11], exec
	s_waitcnt vmcnt(0)
	v_cmp_ne_u16_e32 vcc, v26, v27
	s_and_b64 s[40:41], vcc, exec
	s_or_b64 s[10:11], s[10:11], s[40:41]
.LBB727_34:                             ;   in Loop: Header=BB727_35 Depth=1
	s_and_b64 s[40:41], exec, s[10:11]
	s_or_b64 s[8:9], s[40:41], s[8:9]
	v_pk_mov_b32 v[26:27], s[38:39], s[38:39] op_sel:[0,1]
	s_andn2_b64 exec, exec, s[8:9]
	s_cbranch_execz .LBB727_39
.LBB727_35:                             ; =>This Inner Loop Header: Depth=1
	s_or_b64 s[10:11], s[10:11], exec
	s_cmp_eq_u64 s[6:7], s[38:39]
	s_cbranch_scc0 .LBB727_33
; %bb.36:                               ;   in Loop: Header=BB727_35 Depth=1
                                        ; implicit-def: $vgpr22_vgpr23
                                        ; implicit-def: $vgpr24_vgpr25
	s_mov_b64 s[38:39], s[26:27]
	s_branch .LBB727_34
.LBB727_37:
                                        ; implicit-def: $sgpr38_sgpr39
                                        ; implicit-def: $vgpr28
	s_branch .LBB727_119
.LBB727_38:
                                        ; implicit-def: $sgpr38_sgpr39
                                        ; implicit-def: $vgpr28
	s_cbranch_execnz .LBB727_71
	s_branch .LBB727_118
.LBB727_39:
	s_or_b64 exec, exec, s[8:9]
	v_cmp_gt_i64_e32 vcc, s[26:27], v[26:27]
	s_orn2_b64 s[10:11], vcc, exec
.LBB727_40:
	s_or_b64 exec, exec, s[14:15]
.LBB727_41:
	v_mul_lo_u32 v24, v17, s26
	v_mul_lo_u32 v25, v16, s27
	v_mad_u64_u32 v[22:23], s[6:7], v16, s26, 0
	v_add3_u32 v23, v23, v25, v24
	s_mov_b64 s[14:15], 0
	s_and_b64 vcc, exec, s[4:5]
	v_lshlrev_b64 v[22:23], 1, v[22:23]
	s_mov_b64 s[38:39], 0
	s_cbranch_vccnz .LBB727_50
; %bb.42:
	v_mov_b32_e32 v25, s17
	v_add_co_u32_e32 v24, vcc, s16, v22
	v_addc_co_u32_e64 v25, s[6:7], v25, v23, vcc
	v_mov_b32_e32 v27, s17
	v_add_co_u32_e64 v26, s[6:7], s16, v20
	v_addc_co_u32_e64 v27, s[8:9], v27, v21, s[6:7]
	global_load_ushort v20, v[24:25], off
	global_load_ushort v28, v[26:27], off
	s_mov_b64 s[38:39], -1
	s_waitcnt vmcnt(0)
	v_cmp_eq_u16_e64 s[8:9], v20, v28
	s_and_saveexec_b64 s[40:41], s[8:9]
	s_cbranch_execz .LBB727_49
; %bb.43:
	v_mov_b32_e32 v20, s17
	v_addc_co_u32_e64 v21, s[6:7], v21, v20, s[6:7]
	v_add_co_u32_e64 v20, s[6:7], 2, v26
	v_mov_b32_e32 v25, s17
	v_addc_co_u32_e64 v21, s[6:7], 0, v21, s[6:7]
	v_addc_co_u32_e32 v25, vcc, v23, v25, vcc
	v_add_co_u32_e32 v24, vcc, 2, v24
	s_add_u32 s6, s26, -1
	v_addc_co_u32_e32 v25, vcc, 0, v25, vcc
	s_addc_u32 s7, s27, -1
	s_mov_b64 s[8:9], 0
	s_mov_b64 s[42:43], 0
                                        ; implicit-def: $sgpr38_sgpr39
	s_branch .LBB727_46
.LBB727_44:                             ;   in Loop: Header=BB727_46 Depth=1
	global_load_ushort v26, v[24:25], off
	global_load_ushort v27, v[20:21], off
	v_add_co_u32_e32 v20, vcc, 2, v20
	v_addc_co_u32_e32 v21, vcc, 0, v21, vcc
	v_add_co_u32_e32 v24, vcc, 2, v24
	v_addc_co_u32_e32 v25, vcc, 0, v25, vcc
	s_add_u32 s42, s42, 1
	s_addc_u32 s43, s43, 0
	s_andn2_b64 s[38:39], s[38:39], exec
	s_waitcnt vmcnt(0)
	v_cmp_ne_u16_e32 vcc, v26, v27
	s_and_b64 s[44:45], vcc, exec
	s_or_b64 s[38:39], s[38:39], s[44:45]
.LBB727_45:                             ;   in Loop: Header=BB727_46 Depth=1
	s_and_b64 s[44:45], exec, s[38:39]
	s_or_b64 s[8:9], s[44:45], s[8:9]
	v_pk_mov_b32 v[26:27], s[42:43], s[42:43] op_sel:[0,1]
	s_andn2_b64 exec, exec, s[8:9]
	s_cbranch_execz .LBB727_48
.LBB727_46:                             ; =>This Inner Loop Header: Depth=1
	s_or_b64 s[38:39], s[38:39], exec
	s_cmp_eq_u64 s[6:7], s[42:43]
	s_cbranch_scc0 .LBB727_44
; %bb.47:                               ;   in Loop: Header=BB727_46 Depth=1
                                        ; implicit-def: $vgpr20_vgpr21
                                        ; implicit-def: $vgpr24_vgpr25
	s_mov_b64 s[42:43], s[26:27]
	s_branch .LBB727_45
.LBB727_48:
	s_or_b64 exec, exec, s[8:9]
	v_cmp_gt_i64_e32 vcc, s[26:27], v[26:27]
	s_orn2_b64 s[38:39], vcc, exec
.LBB727_49:
	s_or_b64 exec, exec, s[40:41]
.LBB727_50:
	v_mul_lo_u32 v24, v15, s26
	v_mul_lo_u32 v25, v14, s27
	v_mad_u64_u32 v[20:21], s[6:7], v14, s26, 0
	v_add3_u32 v21, v21, v25, v24
	s_and_b64 vcc, exec, s[4:5]
	v_lshlrev_b64 v[20:21], 1, v[20:21]
	s_cbranch_vccnz .LBB727_59
; %bb.51:
	v_mov_b32_e32 v25, s17
	v_add_co_u32_e32 v24, vcc, s16, v20
	v_addc_co_u32_e64 v25, s[6:7], v25, v21, vcc
	v_mov_b32_e32 v27, s17
	v_add_co_u32_e64 v26, s[6:7], s16, v22
	v_addc_co_u32_e64 v27, s[8:9], v27, v23, s[6:7]
	global_load_ushort v22, v[24:25], off
	global_load_ushort v28, v[26:27], off
	s_mov_b64 s[14:15], -1
	s_waitcnt vmcnt(0)
	v_cmp_eq_u16_e64 s[8:9], v22, v28
	s_and_saveexec_b64 s[40:41], s[8:9]
	s_cbranch_execz .LBB727_58
; %bb.52:
	v_mov_b32_e32 v22, s17
	v_addc_co_u32_e64 v23, s[6:7], v23, v22, s[6:7]
	v_add_co_u32_e64 v22, s[6:7], 2, v26
	v_mov_b32_e32 v25, s17
	v_addc_co_u32_e64 v23, s[6:7], 0, v23, s[6:7]
	v_addc_co_u32_e32 v25, vcc, v21, v25, vcc
	v_add_co_u32_e32 v24, vcc, 2, v24
	s_add_u32 s6, s26, -1
	v_addc_co_u32_e32 v25, vcc, 0, v25, vcc
	s_addc_u32 s7, s27, -1
	s_mov_b64 s[8:9], 0
	s_mov_b64 s[42:43], 0
                                        ; implicit-def: $sgpr14_sgpr15
	s_branch .LBB727_55
.LBB727_53:                             ;   in Loop: Header=BB727_55 Depth=1
	global_load_ushort v26, v[24:25], off
	global_load_ushort v27, v[22:23], off
	v_add_co_u32_e32 v22, vcc, 2, v22
	v_addc_co_u32_e32 v23, vcc, 0, v23, vcc
	v_add_co_u32_e32 v24, vcc, 2, v24
	v_addc_co_u32_e32 v25, vcc, 0, v25, vcc
	s_add_u32 s42, s42, 1
	s_addc_u32 s43, s43, 0
	s_andn2_b64 s[14:15], s[14:15], exec
	s_waitcnt vmcnt(0)
	v_cmp_ne_u16_e32 vcc, v26, v27
	s_and_b64 s[44:45], vcc, exec
	s_or_b64 s[14:15], s[14:15], s[44:45]
.LBB727_54:                             ;   in Loop: Header=BB727_55 Depth=1
	s_and_b64 s[44:45], exec, s[14:15]
	s_or_b64 s[8:9], s[44:45], s[8:9]
	v_pk_mov_b32 v[26:27], s[42:43], s[42:43] op_sel:[0,1]
	s_andn2_b64 exec, exec, s[8:9]
	s_cbranch_execz .LBB727_57
.LBB727_55:                             ; =>This Inner Loop Header: Depth=1
	s_or_b64 s[14:15], s[14:15], exec
	s_cmp_eq_u64 s[6:7], s[42:43]
	s_cbranch_scc0 .LBB727_53
; %bb.56:                               ;   in Loop: Header=BB727_55 Depth=1
                                        ; implicit-def: $vgpr22_vgpr23
                                        ; implicit-def: $vgpr24_vgpr25
	s_mov_b64 s[42:43], s[26:27]
	s_branch .LBB727_54
.LBB727_57:
	s_or_b64 exec, exec, s[8:9]
	v_cmp_gt_i64_e32 vcc, s[26:27], v[26:27]
	s_orn2_b64 s[14:15], vcc, exec
.LBB727_58:
	s_or_b64 exec, exec, s[40:41]
.LBB727_59:
	s_waitcnt vmcnt(0)
	v_pk_mov_b32 v[22:23], v[18:19], v[18:19] op_sel:[0,1]
	s_waitcnt lgkmcnt(0)
	s_barrier
	s_and_saveexec_b64 s[6:7], s[2:3]
	s_cbranch_execz .LBB727_61
; %bb.60:
	v_add_u32_e32 v22, -8, v29
	ds_read_b64 v[22:23], v22
.LBB727_61:
	s_or_b64 exec, exec, s[6:7]
	v_cndmask_b32_e64 v25, 0, 1, s[10:11]
	v_cndmask_b32_e64 v24, 0, 1, s[38:39]
	;; [unrolled: 1-line block ×3, first 2 shown]
	v_lshlrev_b16_e32 v25, 8, v25
	v_lshlrev_b16_e32 v28, 8, v26
	v_or_b32_sdwa v30, v24, v25 dst_sel:WORD_1 dst_unused:UNUSED_PAD src0_sel:DWORD src1_sel:DWORD
	s_mov_b64 s[10:11], 0
	s_and_b64 vcc, exec, s[4:5]
	s_mov_b64 s[38:39], 0
	s_cbranch_vccnz .LBB727_70
; %bb.62:
	s_waitcnt lgkmcnt(0)
	v_mul_lo_u32 v24, v23, s26
	v_mul_lo_u32 v25, v22, s27
	v_mad_u64_u32 v[22:23], s[6:7], v22, s26, 0
	v_add3_u32 v23, v23, v25, v24
	v_lshlrev_b64 v[22:23], 1, v[22:23]
	v_mov_b32_e32 v25, s17
	v_add_co_u32_e32 v24, vcc, s16, v22
	v_addc_co_u32_e64 v25, s[6:7], v25, v23, vcc
	v_mov_b32_e32 v22, s17
	v_add_co_u32_e64 v26, s[6:7], s16, v20
	v_addc_co_u32_e64 v27, s[8:9], v22, v21, s[6:7]
	global_load_ushort v20, v[24:25], off
	global_load_ushort v22, v[26:27], off
	s_mov_b64 s[38:39], -1
	s_waitcnt vmcnt(0)
	v_cmp_eq_u16_e64 s[8:9], v20, v22
	s_and_saveexec_b64 s[14:15], s[8:9]
	s_cbranch_execz .LBB727_69
; %bb.63:
	v_mov_b32_e32 v20, s17
	v_addc_co_u32_e64 v21, s[6:7], v21, v20, s[6:7]
	v_add_co_u32_e64 v20, s[6:7], 2, v26
	v_mov_b32_e32 v22, s17
	v_addc_co_u32_e64 v21, s[6:7], 0, v21, s[6:7]
	v_addc_co_u32_e32 v23, vcc, v23, v22, vcc
	v_add_co_u32_e32 v22, vcc, 2, v24
	s_add_u32 s6, s26, -1
	v_addc_co_u32_e32 v23, vcc, 0, v23, vcc
	s_addc_u32 s7, s27, -1
	s_mov_b64 s[8:9], 0
	s_mov_b64 s[40:41], 0
                                        ; implicit-def: $sgpr38_sgpr39
	s_branch .LBB727_66
.LBB727_64:                             ;   in Loop: Header=BB727_66 Depth=1
	global_load_ushort v24, v[22:23], off
	global_load_ushort v25, v[20:21], off
	v_add_co_u32_e32 v20, vcc, 2, v20
	v_addc_co_u32_e32 v21, vcc, 0, v21, vcc
	v_add_co_u32_e32 v22, vcc, 2, v22
	v_addc_co_u32_e32 v23, vcc, 0, v23, vcc
	s_add_u32 s40, s40, 1
	s_addc_u32 s41, s41, 0
	s_andn2_b64 s[38:39], s[38:39], exec
	s_waitcnt vmcnt(0)
	v_cmp_ne_u16_e32 vcc, v24, v25
	s_and_b64 s[42:43], vcc, exec
	s_or_b64 s[38:39], s[38:39], s[42:43]
.LBB727_65:                             ;   in Loop: Header=BB727_66 Depth=1
	s_and_b64 s[42:43], exec, s[38:39]
	s_or_b64 s[8:9], s[42:43], s[8:9]
	v_pk_mov_b32 v[24:25], s[40:41], s[40:41] op_sel:[0,1]
	s_andn2_b64 exec, exec, s[8:9]
	s_cbranch_execz .LBB727_68
.LBB727_66:                             ; =>This Inner Loop Header: Depth=1
	s_or_b64 s[38:39], s[38:39], exec
	s_cmp_eq_u64 s[6:7], s[40:41]
	s_cbranch_scc0 .LBB727_64
; %bb.67:                               ;   in Loop: Header=BB727_66 Depth=1
                                        ; implicit-def: $vgpr20_vgpr21
                                        ; implicit-def: $vgpr22_vgpr23
	s_mov_b64 s[40:41], s[26:27]
	s_branch .LBB727_65
.LBB727_68:
	s_or_b64 exec, exec, s[8:9]
	v_cmp_gt_i64_e32 vcc, s[26:27], v[24:25]
	s_orn2_b64 s[38:39], vcc, exec
.LBB727_69:
	s_or_b64 exec, exec, s[14:15]
.LBB727_70:
	v_or_b32_e32 v28, v28, v30
	s_and_b64 vcc, exec, s[10:11]
	s_cbranch_vccz .LBB727_118
.LBB727_71:
	v_or_b32_e32 v20, 3, v1
	v_cmp_gt_u32_e32 vcc, s48, v20
	s_mov_b64 s[14:15], 0
	s_mov_b64 s[10:11], 0
	s_and_saveexec_b64 s[38:39], vcc
	s_cbranch_execz .LBB727_82
; %bb.72:
	s_and_b64 vcc, exec, s[4:5]
	s_mov_b64 s[40:41], 0
	s_cbranch_vccnz .LBB727_81
; %bb.73:
	s_waitcnt lgkmcnt(0)
	v_mul_lo_u32 v22, v11, s26
	v_mul_lo_u32 v23, v10, s27
	v_mad_u64_u32 v[20:21], s[6:7], v10, s26, 0
	v_add3_u32 v21, v21, v23, v22
	v_mul_lo_u32 v22, v13, s26
	v_mul_lo_u32 v23, v12, s27
	v_mad_u64_u32 v[26:27], s[6:7], v12, s26, 0
	v_add3_u32 v27, v27, v23, v22
	v_lshlrev_b64 v[22:23], 1, v[20:21]
	v_mov_b32_e32 v20, s17
	v_add_co_u32_e32 v24, vcc, s16, v22
	v_addc_co_u32_e64 v25, s[6:7], v20, v23, vcc
	v_lshlrev_b64 v[20:21], 1, v[26:27]
	v_mov_b32_e32 v22, s17
	v_add_co_u32_e64 v26, s[6:7], s16, v20
	v_addc_co_u32_e64 v27, s[8:9], v22, v21, s[6:7]
	global_load_ushort v20, v[24:25], off
	global_load_ushort v22, v[26:27], off
	s_mov_b64 s[40:41], -1
	s_waitcnt vmcnt(0)
	v_cmp_eq_u16_e64 s[8:9], v20, v22
	s_and_saveexec_b64 s[10:11], s[8:9]
	s_cbranch_execz .LBB727_80
; %bb.74:
	v_mov_b32_e32 v20, s17
	v_addc_co_u32_e64 v21, s[6:7], v21, v20, s[6:7]
	v_add_co_u32_e64 v20, s[6:7], 2, v26
	v_mov_b32_e32 v22, s17
	v_addc_co_u32_e64 v21, s[6:7], 0, v21, s[6:7]
	v_addc_co_u32_e32 v23, vcc, v23, v22, vcc
	v_add_co_u32_e32 v22, vcc, 2, v24
	s_add_u32 s6, s26, -1
	v_addc_co_u32_e32 v23, vcc, 0, v23, vcc
	s_addc_u32 s7, s27, -1
	s_mov_b64 s[8:9], 0
	s_mov_b64 s[42:43], 0
                                        ; implicit-def: $sgpr40_sgpr41
	s_branch .LBB727_77
.LBB727_75:                             ;   in Loop: Header=BB727_77 Depth=1
	global_load_ushort v24, v[22:23], off
	global_load_ushort v25, v[20:21], off
	v_add_co_u32_e32 v20, vcc, 2, v20
	v_addc_co_u32_e32 v21, vcc, 0, v21, vcc
	v_add_co_u32_e32 v22, vcc, 2, v22
	v_addc_co_u32_e32 v23, vcc, 0, v23, vcc
	s_add_u32 s42, s42, 1
	s_addc_u32 s43, s43, 0
	s_andn2_b64 s[40:41], s[40:41], exec
	s_waitcnt vmcnt(0)
	v_cmp_ne_u16_e32 vcc, v24, v25
	s_and_b64 s[44:45], vcc, exec
	s_or_b64 s[40:41], s[40:41], s[44:45]
.LBB727_76:                             ;   in Loop: Header=BB727_77 Depth=1
	s_and_b64 s[44:45], exec, s[40:41]
	s_or_b64 s[8:9], s[44:45], s[8:9]
	v_pk_mov_b32 v[24:25], s[42:43], s[42:43] op_sel:[0,1]
	s_andn2_b64 exec, exec, s[8:9]
	s_cbranch_execz .LBB727_79
.LBB727_77:                             ; =>This Inner Loop Header: Depth=1
	s_or_b64 s[40:41], s[40:41], exec
	s_cmp_eq_u64 s[6:7], s[42:43]
	s_cbranch_scc0 .LBB727_75
; %bb.78:                               ;   in Loop: Header=BB727_77 Depth=1
                                        ; implicit-def: $vgpr20_vgpr21
                                        ; implicit-def: $vgpr22_vgpr23
	s_mov_b64 s[42:43], s[26:27]
	s_branch .LBB727_76
.LBB727_79:
	s_or_b64 exec, exec, s[8:9]
	v_cmp_gt_i64_e32 vcc, s[26:27], v[24:25]
	s_orn2_b64 s[40:41], vcc, exec
.LBB727_80:
	s_or_b64 exec, exec, s[10:11]
.LBB727_81:
	s_and_b64 s[10:11], s[40:41], exec
.LBB727_82:
	s_or_b64 exec, exec, s[38:39]
	v_or_b32_e32 v20, 2, v1
	v_cmp_gt_u32_e32 vcc, s48, v20
	s_and_saveexec_b64 s[38:39], vcc
	s_cbranch_execz .LBB727_93
; %bb.83:
	s_and_b64 vcc, exec, s[4:5]
	s_mov_b64 s[40:41], 0
	s_cbranch_vccnz .LBB727_92
; %bb.84:
	s_waitcnt lgkmcnt(0)
	v_mul_lo_u32 v22, v17, s26
	v_mul_lo_u32 v23, v16, s27
	v_mad_u64_u32 v[20:21], s[6:7], v16, s26, 0
	v_add3_u32 v21, v21, v23, v22
	v_mul_lo_u32 v22, v11, s26
	v_mul_lo_u32 v23, v10, s27
	v_mad_u64_u32 v[26:27], s[6:7], v10, s26, 0
	v_add3_u32 v27, v27, v23, v22
	v_lshlrev_b64 v[22:23], 1, v[20:21]
	v_mov_b32_e32 v20, s17
	v_add_co_u32_e32 v24, vcc, s16, v22
	v_addc_co_u32_e64 v25, s[6:7], v20, v23, vcc
	v_lshlrev_b64 v[20:21], 1, v[26:27]
	v_mov_b32_e32 v22, s17
	v_add_co_u32_e64 v26, s[6:7], s16, v20
	v_addc_co_u32_e64 v27, s[8:9], v22, v21, s[6:7]
	global_load_ushort v20, v[24:25], off
	global_load_ushort v22, v[26:27], off
	s_mov_b64 s[40:41], -1
	s_waitcnt vmcnt(0)
	v_cmp_eq_u16_e64 s[8:9], v20, v22
	s_and_saveexec_b64 s[14:15], s[8:9]
	s_cbranch_execz .LBB727_91
; %bb.85:
	v_mov_b32_e32 v20, s17
	v_addc_co_u32_e64 v21, s[6:7], v21, v20, s[6:7]
	v_add_co_u32_e64 v20, s[6:7], 2, v26
	v_mov_b32_e32 v22, s17
	v_addc_co_u32_e64 v21, s[6:7], 0, v21, s[6:7]
	v_addc_co_u32_e32 v23, vcc, v23, v22, vcc
	v_add_co_u32_e32 v22, vcc, 2, v24
	s_add_u32 s6, s26, -1
	v_addc_co_u32_e32 v23, vcc, 0, v23, vcc
	s_addc_u32 s7, s27, -1
	s_mov_b64 s[8:9], 0
	s_mov_b64 s[42:43], 0
                                        ; implicit-def: $sgpr40_sgpr41
	s_branch .LBB727_88
.LBB727_86:                             ;   in Loop: Header=BB727_88 Depth=1
	global_load_ushort v24, v[22:23], off
	global_load_ushort v25, v[20:21], off
	v_add_co_u32_e32 v20, vcc, 2, v20
	v_addc_co_u32_e32 v21, vcc, 0, v21, vcc
	v_add_co_u32_e32 v22, vcc, 2, v22
	v_addc_co_u32_e32 v23, vcc, 0, v23, vcc
	s_add_u32 s42, s42, 1
	s_addc_u32 s43, s43, 0
	s_andn2_b64 s[40:41], s[40:41], exec
	s_waitcnt vmcnt(0)
	v_cmp_ne_u16_e32 vcc, v24, v25
	s_and_b64 s[44:45], vcc, exec
	s_or_b64 s[40:41], s[40:41], s[44:45]
.LBB727_87:                             ;   in Loop: Header=BB727_88 Depth=1
	s_and_b64 s[44:45], exec, s[40:41]
	s_or_b64 s[8:9], s[44:45], s[8:9]
	v_pk_mov_b32 v[24:25], s[42:43], s[42:43] op_sel:[0,1]
	s_andn2_b64 exec, exec, s[8:9]
	s_cbranch_execz .LBB727_90
.LBB727_88:                             ; =>This Inner Loop Header: Depth=1
	s_or_b64 s[40:41], s[40:41], exec
	s_cmp_eq_u64 s[6:7], s[42:43]
	s_cbranch_scc0 .LBB727_86
; %bb.89:                               ;   in Loop: Header=BB727_88 Depth=1
                                        ; implicit-def: $vgpr20_vgpr21
                                        ; implicit-def: $vgpr22_vgpr23
	s_mov_b64 s[42:43], s[26:27]
	s_branch .LBB727_87
.LBB727_90:
	s_or_b64 exec, exec, s[8:9]
	v_cmp_gt_i64_e32 vcc, s[26:27], v[24:25]
	s_orn2_b64 s[40:41], vcc, exec
.LBB727_91:
	s_or_b64 exec, exec, s[14:15]
.LBB727_92:
	s_and_b64 s[14:15], s[40:41], exec
.LBB727_93:
	s_or_b64 exec, exec, s[38:39]
	v_or_b32_e32 v20, 1, v1
	v_cmp_gt_u32_e32 vcc, s48, v20
	s_mov_b64 s[6:7], 0
	s_and_saveexec_b64 s[38:39], vcc
	s_cbranch_execz .LBB727_104
; %bb.94:
	s_and_b64 vcc, exec, s[4:5]
	s_mov_b64 s[42:43], 0
	s_cbranch_vccnz .LBB727_103
; %bb.95:
	s_waitcnt lgkmcnt(0)
	v_mul_lo_u32 v22, v15, s26
	v_mul_lo_u32 v23, v14, s27
	v_mad_u64_u32 v[20:21], s[6:7], v14, s26, 0
	v_add3_u32 v21, v21, v23, v22
	v_mul_lo_u32 v22, v17, s26
	v_mul_lo_u32 v23, v16, s27
	v_mad_u64_u32 v[26:27], s[6:7], v16, s26, 0
	v_add3_u32 v27, v27, v23, v22
	v_lshlrev_b64 v[22:23], 1, v[20:21]
	v_mov_b32_e32 v20, s17
	v_add_co_u32_e32 v24, vcc, s16, v22
	v_addc_co_u32_e64 v25, s[6:7], v20, v23, vcc
	v_lshlrev_b64 v[20:21], 1, v[26:27]
	v_mov_b32_e32 v22, s17
	v_add_co_u32_e64 v26, s[6:7], s16, v20
	v_addc_co_u32_e64 v27, s[8:9], v22, v21, s[6:7]
	global_load_ushort v20, v[24:25], off
	global_load_ushort v22, v[26:27], off
	s_mov_b64 s[42:43], -1
	s_waitcnt vmcnt(0)
	v_cmp_eq_u16_e64 s[8:9], v20, v22
	s_and_saveexec_b64 s[40:41], s[8:9]
	s_cbranch_execz .LBB727_102
; %bb.96:
	v_mov_b32_e32 v20, s17
	v_addc_co_u32_e64 v21, s[6:7], v21, v20, s[6:7]
	v_add_co_u32_e64 v20, s[6:7], 2, v26
	v_mov_b32_e32 v22, s17
	v_addc_co_u32_e64 v21, s[6:7], 0, v21, s[6:7]
	v_addc_co_u32_e32 v23, vcc, v23, v22, vcc
	v_add_co_u32_e32 v22, vcc, 2, v24
	s_add_u32 s6, s26, -1
	v_addc_co_u32_e32 v23, vcc, 0, v23, vcc
	s_addc_u32 s7, s27, -1
	s_mov_b64 s[8:9], 0
	s_mov_b64 s[44:45], 0
                                        ; implicit-def: $sgpr42_sgpr43
	s_branch .LBB727_99
.LBB727_97:                             ;   in Loop: Header=BB727_99 Depth=1
	global_load_ushort v24, v[22:23], off
	global_load_ushort v25, v[20:21], off
	v_add_co_u32_e32 v20, vcc, 2, v20
	v_addc_co_u32_e32 v21, vcc, 0, v21, vcc
	v_add_co_u32_e32 v22, vcc, 2, v22
	v_addc_co_u32_e32 v23, vcc, 0, v23, vcc
	s_add_u32 s44, s44, 1
	s_addc_u32 s45, s45, 0
	s_andn2_b64 s[42:43], s[42:43], exec
	s_waitcnt vmcnt(0)
	v_cmp_ne_u16_e32 vcc, v24, v25
	s_and_b64 s[46:47], vcc, exec
	s_or_b64 s[42:43], s[42:43], s[46:47]
.LBB727_98:                             ;   in Loop: Header=BB727_99 Depth=1
	s_and_b64 s[46:47], exec, s[42:43]
	s_or_b64 s[8:9], s[46:47], s[8:9]
	v_pk_mov_b32 v[24:25], s[44:45], s[44:45] op_sel:[0,1]
	s_andn2_b64 exec, exec, s[8:9]
	s_cbranch_execz .LBB727_101
.LBB727_99:                             ; =>This Inner Loop Header: Depth=1
	s_or_b64 s[42:43], s[42:43], exec
	s_cmp_eq_u64 s[6:7], s[44:45]
	s_cbranch_scc0 .LBB727_97
; %bb.100:                              ;   in Loop: Header=BB727_99 Depth=1
                                        ; implicit-def: $vgpr20_vgpr21
                                        ; implicit-def: $vgpr22_vgpr23
	s_mov_b64 s[44:45], s[26:27]
	s_branch .LBB727_98
.LBB727_101:
	s_or_b64 exec, exec, s[8:9]
	v_cmp_gt_i64_e32 vcc, s[26:27], v[24:25]
	s_orn2_b64 s[42:43], vcc, exec
.LBB727_102:
	s_or_b64 exec, exec, s[40:41]
.LBB727_103:
	s_and_b64 s[6:7], s[42:43], exec
.LBB727_104:
	s_or_b64 exec, exec, s[38:39]
	s_waitcnt lgkmcnt(0)
	s_barrier
	s_and_saveexec_b64 s[8:9], s[2:3]
	s_cbranch_execz .LBB727_106
; %bb.105:
	s_waitcnt vmcnt(0)
	v_add_u32_e32 v18, -8, v29
	ds_read_b64 v[18:19], v18
.LBB727_106:
	s_or_b64 exec, exec, s[8:9]
	v_cndmask_b32_e64 v21, 0, 1, s[10:11]
	v_cndmask_b32_e64 v20, 0, 1, s[14:15]
	v_cndmask_b32_e64 v22, 0, 1, s[6:7]
	v_lshlrev_b16_e32 v21, 8, v21
	v_lshlrev_b16_e32 v26, 8, v22
	v_or_b32_sdwa v27, v20, v21 dst_sel:WORD_1 dst_unused:UNUSED_PAD src0_sel:DWORD src1_sel:DWORD
	v_cmp_gt_u32_e32 vcc, s48, v1
	s_mov_b64 s[38:39], 0
	s_and_saveexec_b64 s[8:9], vcc
	s_cbranch_execz .LBB727_117
; %bb.107:
	s_and_b64 vcc, exec, s[4:5]
	s_mov_b64 s[14:15], 0
	s_cbranch_vccnz .LBB727_116
; %bb.108:
	s_waitcnt vmcnt(0) lgkmcnt(0)
	v_mul_lo_u32 v20, v19, s26
	v_mul_lo_u32 v21, v18, s27
	v_mad_u64_u32 v[18:19], s[4:5], v18, s26, 0
	v_add3_u32 v19, v19, v21, v20
	v_mul_lo_u32 v20, v15, s26
	v_mul_lo_u32 v21, v14, s27
	v_mad_u64_u32 v[24:25], s[4:5], v14, s26, 0
	v_add3_u32 v25, v25, v21, v20
	v_lshlrev_b64 v[20:21], 1, v[18:19]
	v_mov_b32_e32 v18, s17
	v_add_co_u32_e32 v22, vcc, s16, v20
	v_addc_co_u32_e64 v23, s[4:5], v18, v21, vcc
	v_lshlrev_b64 v[18:19], 1, v[24:25]
	v_mov_b32_e32 v20, s17
	v_add_co_u32_e64 v24, s[4:5], s16, v18
	v_addc_co_u32_e64 v25, s[6:7], v20, v19, s[4:5]
	global_load_ushort v18, v[22:23], off
	global_load_ushort v20, v[24:25], off
	s_mov_b64 s[14:15], -1
	s_waitcnt vmcnt(0)
	v_cmp_eq_u16_e64 s[6:7], v18, v20
	s_and_saveexec_b64 s[10:11], s[6:7]
	s_cbranch_execz .LBB727_115
; %bb.109:
	v_mov_b32_e32 v18, s17
	v_addc_co_u32_e64 v19, s[4:5], v19, v18, s[4:5]
	v_add_co_u32_e64 v18, s[4:5], 2, v24
	v_mov_b32_e32 v20, s17
	v_addc_co_u32_e64 v19, s[4:5], 0, v19, s[4:5]
	v_addc_co_u32_e32 v21, vcc, v21, v20, vcc
	v_add_co_u32_e32 v20, vcc, 2, v22
	s_add_u32 s4, s26, -1
	v_addc_co_u32_e32 v21, vcc, 0, v21, vcc
	s_addc_u32 s5, s27, -1
	s_mov_b64 s[6:7], 0
                                        ; implicit-def: $sgpr14_sgpr15
	s_branch .LBB727_112
.LBB727_110:                            ;   in Loop: Header=BB727_112 Depth=1
	global_load_ushort v22, v[20:21], off
	global_load_ushort v23, v[18:19], off
	v_add_co_u32_e32 v18, vcc, 2, v18
	v_addc_co_u32_e32 v19, vcc, 0, v19, vcc
	v_add_co_u32_e32 v20, vcc, 2, v20
	v_addc_co_u32_e32 v21, vcc, 0, v21, vcc
	s_add_u32 s38, s38, 1
	s_addc_u32 s39, s39, 0
	s_andn2_b64 s[14:15], s[14:15], exec
	s_waitcnt vmcnt(0)
	v_cmp_ne_u16_e32 vcc, v22, v23
	s_and_b64 s[40:41], vcc, exec
	s_or_b64 s[14:15], s[14:15], s[40:41]
.LBB727_111:                            ;   in Loop: Header=BB727_112 Depth=1
	s_and_b64 s[40:41], exec, s[14:15]
	s_or_b64 s[6:7], s[40:41], s[6:7]
	v_pk_mov_b32 v[22:23], s[38:39], s[38:39] op_sel:[0,1]
	s_andn2_b64 exec, exec, s[6:7]
	s_cbranch_execz .LBB727_114
.LBB727_112:                            ; =>This Inner Loop Header: Depth=1
	s_or_b64 s[14:15], s[14:15], exec
	s_cmp_eq_u64 s[4:5], s[38:39]
	s_cbranch_scc0 .LBB727_110
; %bb.113:                              ;   in Loop: Header=BB727_112 Depth=1
                                        ; implicit-def: $vgpr18_vgpr19
                                        ; implicit-def: $vgpr20_vgpr21
	s_mov_b64 s[38:39], s[26:27]
	s_branch .LBB727_111
.LBB727_114:
	s_or_b64 exec, exec, s[6:7]
	v_cmp_gt_i64_e32 vcc, s[26:27], v[22:23]
	s_orn2_b64 s[14:15], vcc, exec
.LBB727_115:
	s_or_b64 exec, exec, s[10:11]
.LBB727_116:
	s_and_b64 s[38:39], s[14:15], exec
.LBB727_117:
	s_or_b64 exec, exec, s[8:9]
	v_or_b32_e32 v28, v26, v27
.LBB727_118:
	s_mov_b64 s[14:15], -1
	s_cbranch_execnz .LBB727_207
.LBB727_119:
	v_lshlrev_b32_e32 v29, 3, v0
	s_mov_b64 s[38:39], 0
	v_cmp_gt_i64_e64 s[10:11], s[26:27], 0
	s_and_b64 vcc, exec, s[34:35]
	ds_write_b64 v29, v[12:13]
	s_cbranch_vccz .LBB727_127
; %bb.120:
	v_mul_lo_u32 v20, v11, s26
	v_mul_lo_u32 v21, v10, s27
	s_waitcnt vmcnt(0) lgkmcnt(1)
	v_mad_u64_u32 v[18:19], s[4:5], v10, s26, 0
	v_add3_u32 v19, v19, v21, v20
	v_cndmask_b32_e64 v20, 0, 1, s[10:11]
	v_cmp_ne_u32_e64 s[4:5], 1, v20
	s_andn2_b64 vcc, exec, s[10:11]
	v_lshlrev_b64 v[18:19], 1, v[18:19]
	s_cbranch_vccnz .LBB727_130
; %bb.121:
	v_mul_lo_u32 v22, v13, s26
	v_mul_lo_u32 v23, v12, s27
	v_mad_u64_u32 v[20:21], s[6:7], v12, s26, 0
	v_add3_u32 v21, v21, v23, v22
	v_mov_b32_e32 v23, s17
	v_add_co_u32_e32 v22, vcc, s16, v18
	v_addc_co_u32_e64 v23, s[6:7], v23, v19, vcc
	v_lshlrev_b64 v[20:21], 1, v[20:21]
	v_mov_b32_e32 v25, s17
	v_add_co_u32_e64 v24, s[6:7], s16, v20
	v_addc_co_u32_e64 v25, s[8:9], v25, v21, s[6:7]
	global_load_ushort v20, v[22:23], off
	global_load_ushort v26, v[24:25], off
	s_mov_b64 s[38:39], -1
	s_waitcnt vmcnt(0)
	v_cmp_eq_u16_e64 s[8:9], v20, v26
	s_and_saveexec_b64 s[40:41], s[8:9]
	s_cbranch_execz .LBB727_129
; %bb.122:
	v_mov_b32_e32 v20, s17
	v_addc_co_u32_e64 v21, s[6:7], v21, v20, s[6:7]
	v_add_co_u32_e64 v20, s[6:7], 2, v24
	v_mov_b32_e32 v23, s17
	v_addc_co_u32_e64 v21, s[6:7], 0, v21, s[6:7]
	v_addc_co_u32_e32 v23, vcc, v19, v23, vcc
	v_add_co_u32_e32 v22, vcc, 2, v22
	s_add_u32 s6, s26, -1
	v_addc_co_u32_e32 v23, vcc, 0, v23, vcc
	s_addc_u32 s7, s27, -1
	s_mov_b64 s[8:9], 0
	s_mov_b64 s[42:43], 0
                                        ; implicit-def: $sgpr38_sgpr39
	s_branch .LBB727_125
.LBB727_123:                            ;   in Loop: Header=BB727_125 Depth=1
	global_load_ushort v24, v[22:23], off
	global_load_ushort v25, v[20:21], off
	v_add_co_u32_e32 v20, vcc, 2, v20
	v_addc_co_u32_e32 v21, vcc, 0, v21, vcc
	v_add_co_u32_e32 v22, vcc, 2, v22
	v_addc_co_u32_e32 v23, vcc, 0, v23, vcc
	s_add_u32 s42, s42, 1
	s_addc_u32 s43, s43, 0
	s_andn2_b64 s[38:39], s[38:39], exec
	s_waitcnt vmcnt(0)
	v_cmp_ne_u16_e32 vcc, v24, v25
	s_and_b64 s[44:45], vcc, exec
	s_or_b64 s[38:39], s[38:39], s[44:45]
.LBB727_124:                            ;   in Loop: Header=BB727_125 Depth=1
	s_and_b64 s[44:45], exec, s[38:39]
	s_or_b64 s[8:9], s[44:45], s[8:9]
	v_pk_mov_b32 v[24:25], s[42:43], s[42:43] op_sel:[0,1]
	s_andn2_b64 exec, exec, s[8:9]
	s_cbranch_execz .LBB727_128
.LBB727_125:                            ; =>This Inner Loop Header: Depth=1
	s_or_b64 s[38:39], s[38:39], exec
	s_cmp_eq_u64 s[6:7], s[42:43]
	s_cbranch_scc0 .LBB727_123
; %bb.126:                              ;   in Loop: Header=BB727_125 Depth=1
                                        ; implicit-def: $vgpr20_vgpr21
                                        ; implicit-def: $vgpr22_vgpr23
	s_mov_b64 s[42:43], s[26:27]
	s_branch .LBB727_124
.LBB727_127:
                                        ; implicit-def: $sgpr38_sgpr39
                                        ; implicit-def: $vgpr28
	s_cbranch_execnz .LBB727_160
	s_branch .LBB727_207
.LBB727_128:
	s_or_b64 exec, exec, s[8:9]
	v_cmp_gt_i64_e32 vcc, s[26:27], v[24:25]
	s_orn2_b64 s[38:39], vcc, exec
.LBB727_129:
	s_or_b64 exec, exec, s[40:41]
.LBB727_130:
	v_mul_lo_u32 v22, v17, s26
	v_mul_lo_u32 v23, v16, s27
	v_mad_u64_u32 v[20:21], s[6:7], v16, s26, 0
	v_add3_u32 v21, v21, v23, v22
	s_mov_b64 s[40:41], 0
	s_and_b64 vcc, exec, s[4:5]
	v_lshlrev_b64 v[20:21], 1, v[20:21]
	s_mov_b64 s[42:43], 0
	s_cbranch_vccnz .LBB727_139
; %bb.131:
	v_mov_b32_e32 v23, s17
	v_add_co_u32_e32 v22, vcc, s16, v20
	v_addc_co_u32_e64 v23, s[6:7], v23, v21, vcc
	v_mov_b32_e32 v25, s17
	v_add_co_u32_e64 v24, s[6:7], s16, v18
	v_addc_co_u32_e64 v25, s[8:9], v25, v19, s[6:7]
	global_load_ushort v18, v[22:23], off
	global_load_ushort v26, v[24:25], off
	s_mov_b64 s[42:43], -1
	s_waitcnt vmcnt(0)
	v_cmp_eq_u16_e64 s[8:9], v18, v26
	s_and_saveexec_b64 s[44:45], s[8:9]
	s_cbranch_execz .LBB727_138
; %bb.132:
	v_mov_b32_e32 v18, s17
	v_addc_co_u32_e64 v19, s[6:7], v19, v18, s[6:7]
	v_add_co_u32_e64 v18, s[6:7], 2, v24
	v_mov_b32_e32 v23, s17
	v_addc_co_u32_e64 v19, s[6:7], 0, v19, s[6:7]
	v_addc_co_u32_e32 v23, vcc, v21, v23, vcc
	v_add_co_u32_e32 v22, vcc, 2, v22
	s_add_u32 s6, s26, -1
	v_addc_co_u32_e32 v23, vcc, 0, v23, vcc
	s_addc_u32 s7, s27, -1
	s_mov_b64 s[8:9], 0
	s_mov_b64 s[46:47], 0
                                        ; implicit-def: $sgpr42_sgpr43
	s_branch .LBB727_135
.LBB727_133:                            ;   in Loop: Header=BB727_135 Depth=1
	global_load_ushort v24, v[22:23], off
	global_load_ushort v25, v[18:19], off
	v_add_co_u32_e32 v18, vcc, 2, v18
	v_addc_co_u32_e32 v19, vcc, 0, v19, vcc
	v_add_co_u32_e32 v22, vcc, 2, v22
	v_addc_co_u32_e32 v23, vcc, 0, v23, vcc
	s_add_u32 s46, s46, 1
	s_addc_u32 s47, s47, 0
	s_andn2_b64 s[42:43], s[42:43], exec
	s_waitcnt vmcnt(0)
	v_cmp_ne_u16_e32 vcc, v24, v25
	s_and_b64 s[50:51], vcc, exec
	s_or_b64 s[42:43], s[42:43], s[50:51]
.LBB727_134:                            ;   in Loop: Header=BB727_135 Depth=1
	s_and_b64 s[50:51], exec, s[42:43]
	s_or_b64 s[8:9], s[50:51], s[8:9]
	v_pk_mov_b32 v[24:25], s[46:47], s[46:47] op_sel:[0,1]
	s_andn2_b64 exec, exec, s[8:9]
	s_cbranch_execz .LBB727_137
.LBB727_135:                            ; =>This Inner Loop Header: Depth=1
	s_or_b64 s[42:43], s[42:43], exec
	s_cmp_eq_u64 s[6:7], s[46:47]
	s_cbranch_scc0 .LBB727_133
; %bb.136:                              ;   in Loop: Header=BB727_135 Depth=1
                                        ; implicit-def: $vgpr18_vgpr19
                                        ; implicit-def: $vgpr22_vgpr23
	s_mov_b64 s[46:47], s[26:27]
	s_branch .LBB727_134
.LBB727_137:
	s_or_b64 exec, exec, s[8:9]
	v_cmp_gt_i64_e32 vcc, s[26:27], v[24:25]
	s_orn2_b64 s[42:43], vcc, exec
.LBB727_138:
	s_or_b64 exec, exec, s[44:45]
.LBB727_139:
	v_mul_lo_u32 v22, v15, s26
	v_mul_lo_u32 v23, v14, s27
	v_mad_u64_u32 v[18:19], s[6:7], v14, s26, 0
	s_and_b64 vcc, exec, s[4:5]
	v_add3_u32 v19, v19, v23, v22
	s_cbranch_vccnz .LBB727_148
; %bb.140:
	v_lshlrev_b64 v[22:23], 1, v[18:19]
	v_mov_b32_e32 v25, s17
	v_add_co_u32_e32 v24, vcc, s16, v22
	v_addc_co_u32_e64 v25, s[6:7], v25, v23, vcc
	v_mov_b32_e32 v22, s17
	v_add_co_u32_e64 v26, s[6:7], s16, v20
	v_addc_co_u32_e64 v27, s[8:9], v22, v21, s[6:7]
	global_load_ushort v20, v[24:25], off
	global_load_ushort v22, v[26:27], off
	s_mov_b64 s[40:41], -1
	s_waitcnt vmcnt(0)
	v_cmp_eq_u16_e64 s[8:9], v20, v22
	s_and_saveexec_b64 s[44:45], s[8:9]
	s_cbranch_execz .LBB727_147
; %bb.141:
	v_mov_b32_e32 v20, s17
	v_addc_co_u32_e64 v21, s[6:7], v21, v20, s[6:7]
	v_add_co_u32_e64 v20, s[6:7], 2, v26
	v_mov_b32_e32 v22, s17
	v_addc_co_u32_e64 v21, s[6:7], 0, v21, s[6:7]
	v_addc_co_u32_e32 v23, vcc, v23, v22, vcc
	v_add_co_u32_e32 v22, vcc, 2, v24
	s_add_u32 s6, s26, -1
	v_addc_co_u32_e32 v23, vcc, 0, v23, vcc
	s_addc_u32 s7, s27, -1
	s_mov_b64 s[8:9], 0
	s_mov_b64 s[46:47], 0
                                        ; implicit-def: $sgpr40_sgpr41
	s_branch .LBB727_144
.LBB727_142:                            ;   in Loop: Header=BB727_144 Depth=1
	global_load_ushort v24, v[22:23], off
	global_load_ushort v25, v[20:21], off
	v_add_co_u32_e32 v20, vcc, 2, v20
	v_addc_co_u32_e32 v21, vcc, 0, v21, vcc
	v_add_co_u32_e32 v22, vcc, 2, v22
	v_addc_co_u32_e32 v23, vcc, 0, v23, vcc
	s_add_u32 s46, s46, 1
	s_addc_u32 s47, s47, 0
	s_andn2_b64 s[40:41], s[40:41], exec
	s_waitcnt vmcnt(0)
	v_cmp_ne_u16_e32 vcc, v24, v25
	s_and_b64 s[50:51], vcc, exec
	s_or_b64 s[40:41], s[40:41], s[50:51]
.LBB727_143:                            ;   in Loop: Header=BB727_144 Depth=1
	s_and_b64 s[50:51], exec, s[40:41]
	s_or_b64 s[8:9], s[50:51], s[8:9]
	v_pk_mov_b32 v[24:25], s[46:47], s[46:47] op_sel:[0,1]
	s_andn2_b64 exec, exec, s[8:9]
	s_cbranch_execz .LBB727_146
.LBB727_144:                            ; =>This Inner Loop Header: Depth=1
	s_or_b64 s[40:41], s[40:41], exec
	s_cmp_eq_u64 s[6:7], s[46:47]
	s_cbranch_scc0 .LBB727_142
; %bb.145:                              ;   in Loop: Header=BB727_144 Depth=1
                                        ; implicit-def: $vgpr20_vgpr21
                                        ; implicit-def: $vgpr22_vgpr23
	s_mov_b64 s[46:47], s[26:27]
	s_branch .LBB727_143
.LBB727_146:
	s_or_b64 exec, exec, s[8:9]
	v_cmp_gt_i64_e32 vcc, s[26:27], v[24:25]
	s_orn2_b64 s[40:41], vcc, exec
.LBB727_147:
	s_or_b64 exec, exec, s[44:45]
.LBB727_148:
	v_cndmask_b32_e64 v21, 0, 1, s[38:39]
	v_cndmask_b32_e64 v22, 0, 1, s[40:41]
	;; [unrolled: 1-line block ×3, first 2 shown]
	v_lshlrev_b16_e32 v22, 8, v22
	v_lshlrev_b16_e32 v21, 8, v21
	v_or_b32_e32 v22, 1, v22
	v_or_b32_sdwa v20, v20, v21 dst_sel:WORD_1 dst_unused:UNUSED_PAD src0_sel:DWORD src1_sel:DWORD
	v_or_b32_sdwa v28, v22, v20 dst_sel:DWORD dst_unused:UNUSED_PAD src0_sel:WORD_0 src1_sel:DWORD
	s_waitcnt lgkmcnt(0)
	s_barrier
	s_waitcnt lgkmcnt(0)
                                        ; implicit-def: $sgpr38_sgpr39
	s_and_saveexec_b64 s[6:7], s[2:3]
	s_xor_b64 s[8:9], exec, s[6:7]
	s_cbranch_execz .LBB727_159
; %bb.149:
	s_and_b64 vcc, exec, s[4:5]
	s_mov_b64 s[40:41], 0
	s_cbranch_vccnz .LBB727_158
; %bb.150:
	v_add_u32_e32 v20, -8, v29
	ds_read_b64 v[20:21], v20
	v_mov_b32_e32 v23, s17
	v_lshlrev_b64 v[18:19], 1, v[18:19]
	s_mov_b64 s[40:41], -1
	s_waitcnt lgkmcnt(0)
	v_mul_lo_u32 v22, v21, s26
	v_mul_lo_u32 v24, v20, s27
	v_mad_u64_u32 v[20:21], s[4:5], v20, s26, 0
	v_add3_u32 v21, v21, v24, v22
	v_lshlrev_b64 v[20:21], 1, v[20:21]
	v_add_co_u32_e32 v22, vcc, s16, v20
	v_addc_co_u32_e64 v23, s[4:5], v23, v21, vcc
	v_mov_b32_e32 v20, s17
	v_add_co_u32_e64 v24, s[4:5], s16, v18
	v_addc_co_u32_e64 v25, s[6:7], v20, v19, s[4:5]
	global_load_ushort v18, v[22:23], off
	global_load_ushort v20, v[24:25], off
	s_waitcnt vmcnt(0)
	v_cmp_eq_u16_e64 s[6:7], v18, v20
	s_and_saveexec_b64 s[38:39], s[6:7]
	s_cbranch_execz .LBB727_157
; %bb.151:
	v_mov_b32_e32 v18, s17
	v_addc_co_u32_e64 v19, s[4:5], v19, v18, s[4:5]
	v_add_co_u32_e64 v18, s[4:5], 2, v24
	v_mov_b32_e32 v20, s17
	v_addc_co_u32_e64 v19, s[4:5], 0, v19, s[4:5]
	v_addc_co_u32_e32 v21, vcc, v21, v20, vcc
	v_add_co_u32_e32 v20, vcc, 2, v22
	s_add_u32 s4, s26, -1
	v_addc_co_u32_e32 v21, vcc, 0, v21, vcc
	s_addc_u32 s5, s27, -1
	s_mov_b64 s[6:7], 0
	s_mov_b64 s[42:43], 0
                                        ; implicit-def: $sgpr40_sgpr41
	s_branch .LBB727_154
.LBB727_152:                            ;   in Loop: Header=BB727_154 Depth=1
	global_load_ushort v22, v[20:21], off
	global_load_ushort v23, v[18:19], off
	v_add_co_u32_e32 v18, vcc, 2, v18
	v_addc_co_u32_e32 v19, vcc, 0, v19, vcc
	v_add_co_u32_e32 v20, vcc, 2, v20
	v_addc_co_u32_e32 v21, vcc, 0, v21, vcc
	s_add_u32 s42, s42, 1
	s_addc_u32 s43, s43, 0
	s_andn2_b64 s[40:41], s[40:41], exec
	s_waitcnt vmcnt(0)
	v_cmp_ne_u16_e32 vcc, v22, v23
	s_and_b64 s[44:45], vcc, exec
	s_or_b64 s[40:41], s[40:41], s[44:45]
.LBB727_153:                            ;   in Loop: Header=BB727_154 Depth=1
	s_and_b64 s[44:45], exec, s[40:41]
	s_or_b64 s[6:7], s[44:45], s[6:7]
	v_pk_mov_b32 v[22:23], s[42:43], s[42:43] op_sel:[0,1]
	s_andn2_b64 exec, exec, s[6:7]
	s_cbranch_execz .LBB727_156
.LBB727_154:                            ; =>This Inner Loop Header: Depth=1
	s_or_b64 s[40:41], s[40:41], exec
	s_cmp_eq_u64 s[4:5], s[42:43]
	s_cbranch_scc0 .LBB727_152
; %bb.155:                              ;   in Loop: Header=BB727_154 Depth=1
                                        ; implicit-def: $vgpr18_vgpr19
                                        ; implicit-def: $vgpr20_vgpr21
	s_mov_b64 s[42:43], s[26:27]
	s_branch .LBB727_153
.LBB727_156:
	s_or_b64 exec, exec, s[6:7]
	v_cmp_gt_i64_e32 vcc, s[26:27], v[22:23]
	s_orn2_b64 s[40:41], vcc, exec
.LBB727_157:
	s_or_b64 exec, exec, s[38:39]
.LBB727_158:
	s_and_b64 s[38:39], s[40:41], exec
	s_or_b64 s[14:15], s[14:15], exec
.LBB727_159:
	s_or_b64 exec, exec, s[8:9]
	s_branch .LBB727_207
.LBB727_160:
	s_waitcnt vmcnt(0) lgkmcnt(1)
	v_or_b32_e32 v18, 3, v1
	v_cmp_gt_u32_e32 vcc, s48, v18
	s_mov_b64 s[38:39], 0
	s_mov_b64 s[8:9], 0
	s_and_saveexec_b64 s[40:41], vcc
	s_cbranch_execz .LBB727_171
; %bb.161:
	s_andn2_b64 vcc, exec, s[10:11]
	s_mov_b64 s[42:43], 0
	s_cbranch_vccnz .LBB727_170
; %bb.162:
	v_mul_lo_u32 v20, v11, s26
	v_mul_lo_u32 v21, v10, s27
	v_mad_u64_u32 v[18:19], s[4:5], v10, s26, 0
	v_add3_u32 v19, v19, v21, v20
	v_mul_lo_u32 v20, v13, s26
	v_mul_lo_u32 v21, v12, s27
	v_mad_u64_u32 v[24:25], s[4:5], v12, s26, 0
	v_add3_u32 v25, v25, v21, v20
	v_lshlrev_b64 v[20:21], 1, v[18:19]
	v_mov_b32_e32 v18, s17
	v_add_co_u32_e32 v22, vcc, s16, v20
	v_addc_co_u32_e64 v23, s[4:5], v18, v21, vcc
	v_lshlrev_b64 v[18:19], 1, v[24:25]
	v_mov_b32_e32 v20, s17
	v_add_co_u32_e64 v24, s[4:5], s16, v18
	v_addc_co_u32_e64 v25, s[6:7], v20, v19, s[4:5]
	global_load_ushort v18, v[22:23], off
	global_load_ushort v20, v[24:25], off
	s_mov_b64 s[42:43], -1
	s_waitcnt vmcnt(0)
	v_cmp_eq_u16_e64 s[6:7], v18, v20
	s_and_saveexec_b64 s[8:9], s[6:7]
	s_cbranch_execz .LBB727_169
; %bb.163:
	v_mov_b32_e32 v18, s17
	v_addc_co_u32_e64 v19, s[4:5], v19, v18, s[4:5]
	v_add_co_u32_e64 v18, s[4:5], 2, v24
	v_mov_b32_e32 v20, s17
	v_addc_co_u32_e64 v19, s[4:5], 0, v19, s[4:5]
	v_addc_co_u32_e32 v21, vcc, v21, v20, vcc
	v_add_co_u32_e32 v20, vcc, 2, v22
	s_add_u32 s4, s26, -1
	v_addc_co_u32_e32 v21, vcc, 0, v21, vcc
	s_addc_u32 s5, s27, -1
	s_mov_b64 s[6:7], 0
	s_mov_b64 s[44:45], 0
                                        ; implicit-def: $sgpr42_sgpr43
	s_branch .LBB727_166
.LBB727_164:                            ;   in Loop: Header=BB727_166 Depth=1
	global_load_ushort v22, v[20:21], off
	global_load_ushort v23, v[18:19], off
	v_add_co_u32_e32 v18, vcc, 2, v18
	v_addc_co_u32_e32 v19, vcc, 0, v19, vcc
	v_add_co_u32_e32 v20, vcc, 2, v20
	v_addc_co_u32_e32 v21, vcc, 0, v21, vcc
	s_add_u32 s44, s44, 1
	s_addc_u32 s45, s45, 0
	s_andn2_b64 s[42:43], s[42:43], exec
	s_waitcnt vmcnt(0)
	v_cmp_ne_u16_e32 vcc, v22, v23
	s_and_b64 s[46:47], vcc, exec
	s_or_b64 s[42:43], s[42:43], s[46:47]
.LBB727_165:                            ;   in Loop: Header=BB727_166 Depth=1
	s_and_b64 s[46:47], exec, s[42:43]
	s_or_b64 s[6:7], s[46:47], s[6:7]
	v_pk_mov_b32 v[22:23], s[44:45], s[44:45] op_sel:[0,1]
	s_andn2_b64 exec, exec, s[6:7]
	s_cbranch_execz .LBB727_168
.LBB727_166:                            ; =>This Inner Loop Header: Depth=1
	s_or_b64 s[42:43], s[42:43], exec
	s_cmp_eq_u64 s[4:5], s[44:45]
	s_cbranch_scc0 .LBB727_164
; %bb.167:                              ;   in Loop: Header=BB727_166 Depth=1
                                        ; implicit-def: $vgpr18_vgpr19
                                        ; implicit-def: $vgpr20_vgpr21
	s_mov_b64 s[44:45], s[26:27]
	s_branch .LBB727_165
.LBB727_168:
	s_or_b64 exec, exec, s[6:7]
	v_cmp_gt_i64_e32 vcc, s[26:27], v[22:23]
	s_orn2_b64 s[42:43], vcc, exec
.LBB727_169:
	s_or_b64 exec, exec, s[8:9]
.LBB727_170:
	s_and_b64 s[8:9], s[42:43], exec
.LBB727_171:
	s_or_b64 exec, exec, s[40:41]
	v_or_b32_e32 v18, 2, v1
	v_cmp_gt_u32_e32 vcc, s48, v18
	s_and_saveexec_b64 s[40:41], vcc
	s_cbranch_execz .LBB727_182
; %bb.172:
	s_andn2_b64 vcc, exec, s[10:11]
	s_mov_b64 s[42:43], 0
	s_cbranch_vccnz .LBB727_181
; %bb.173:
	v_mul_lo_u32 v20, v17, s26
	v_mul_lo_u32 v21, v16, s27
	v_mad_u64_u32 v[18:19], s[4:5], v16, s26, 0
	v_add3_u32 v19, v19, v21, v20
	v_mul_lo_u32 v20, v11, s26
	v_mul_lo_u32 v21, v10, s27
	v_mad_u64_u32 v[24:25], s[4:5], v10, s26, 0
	v_add3_u32 v25, v25, v21, v20
	v_lshlrev_b64 v[20:21], 1, v[18:19]
	v_mov_b32_e32 v18, s17
	v_add_co_u32_e32 v22, vcc, s16, v20
	v_addc_co_u32_e64 v23, s[4:5], v18, v21, vcc
	v_lshlrev_b64 v[18:19], 1, v[24:25]
	v_mov_b32_e32 v20, s17
	v_add_co_u32_e64 v24, s[4:5], s16, v18
	v_addc_co_u32_e64 v25, s[6:7], v20, v19, s[4:5]
	global_load_ushort v18, v[22:23], off
	global_load_ushort v20, v[24:25], off
	s_mov_b64 s[42:43], -1
	s_waitcnt vmcnt(0)
	v_cmp_eq_u16_e64 s[6:7], v18, v20
	s_and_saveexec_b64 s[38:39], s[6:7]
	s_cbranch_execz .LBB727_180
; %bb.174:
	v_mov_b32_e32 v18, s17
	v_addc_co_u32_e64 v19, s[4:5], v19, v18, s[4:5]
	v_add_co_u32_e64 v18, s[4:5], 2, v24
	v_mov_b32_e32 v20, s17
	v_addc_co_u32_e64 v19, s[4:5], 0, v19, s[4:5]
	v_addc_co_u32_e32 v21, vcc, v21, v20, vcc
	v_add_co_u32_e32 v20, vcc, 2, v22
	s_add_u32 s4, s26, -1
	v_addc_co_u32_e32 v21, vcc, 0, v21, vcc
	s_addc_u32 s5, s27, -1
	s_mov_b64 s[6:7], 0
	s_mov_b64 s[44:45], 0
                                        ; implicit-def: $sgpr42_sgpr43
	s_branch .LBB727_177
.LBB727_175:                            ;   in Loop: Header=BB727_177 Depth=1
	global_load_ushort v22, v[20:21], off
	global_load_ushort v23, v[18:19], off
	v_add_co_u32_e32 v18, vcc, 2, v18
	v_addc_co_u32_e32 v19, vcc, 0, v19, vcc
	v_add_co_u32_e32 v20, vcc, 2, v20
	v_addc_co_u32_e32 v21, vcc, 0, v21, vcc
	s_add_u32 s44, s44, 1
	s_addc_u32 s45, s45, 0
	s_andn2_b64 s[42:43], s[42:43], exec
	s_waitcnt vmcnt(0)
	v_cmp_ne_u16_e32 vcc, v22, v23
	s_and_b64 s[46:47], vcc, exec
	s_or_b64 s[42:43], s[42:43], s[46:47]
.LBB727_176:                            ;   in Loop: Header=BB727_177 Depth=1
	s_and_b64 s[46:47], exec, s[42:43]
	s_or_b64 s[6:7], s[46:47], s[6:7]
	v_pk_mov_b32 v[22:23], s[44:45], s[44:45] op_sel:[0,1]
	s_andn2_b64 exec, exec, s[6:7]
	s_cbranch_execz .LBB727_179
.LBB727_177:                            ; =>This Inner Loop Header: Depth=1
	s_or_b64 s[42:43], s[42:43], exec
	s_cmp_eq_u64 s[4:5], s[44:45]
	s_cbranch_scc0 .LBB727_175
; %bb.178:                              ;   in Loop: Header=BB727_177 Depth=1
                                        ; implicit-def: $vgpr18_vgpr19
                                        ; implicit-def: $vgpr20_vgpr21
	s_mov_b64 s[44:45], s[26:27]
	s_branch .LBB727_176
.LBB727_179:
	s_or_b64 exec, exec, s[6:7]
	v_cmp_gt_i64_e32 vcc, s[26:27], v[22:23]
	s_orn2_b64 s[42:43], vcc, exec
.LBB727_180:
	s_or_b64 exec, exec, s[38:39]
.LBB727_181:
	s_and_b64 s[38:39], s[42:43], exec
.LBB727_182:
	s_or_b64 exec, exec, s[40:41]
	v_or_b32_e32 v18, 1, v1
	v_cmp_gt_u32_e32 vcc, s48, v18
	s_mov_b64 s[4:5], 0
	s_and_saveexec_b64 s[40:41], vcc
	s_cbranch_execz .LBB727_193
; %bb.183:
	s_andn2_b64 vcc, exec, s[10:11]
	s_mov_b64 s[44:45], 0
	s_cbranch_vccnz .LBB727_192
; %bb.184:
	v_mul_lo_u32 v20, v15, s26
	v_mul_lo_u32 v21, v14, s27
	v_mad_u64_u32 v[18:19], s[4:5], v14, s26, 0
	v_add3_u32 v19, v19, v21, v20
	v_mul_lo_u32 v20, v17, s26
	v_mul_lo_u32 v21, v16, s27
	v_mad_u64_u32 v[24:25], s[4:5], v16, s26, 0
	v_add3_u32 v25, v25, v21, v20
	v_lshlrev_b64 v[20:21], 1, v[18:19]
	v_mov_b32_e32 v18, s17
	v_add_co_u32_e32 v22, vcc, s16, v20
	v_addc_co_u32_e64 v23, s[4:5], v18, v21, vcc
	v_lshlrev_b64 v[18:19], 1, v[24:25]
	v_mov_b32_e32 v20, s17
	v_add_co_u32_e64 v24, s[4:5], s16, v18
	v_addc_co_u32_e64 v25, s[6:7], v20, v19, s[4:5]
	global_load_ushort v18, v[22:23], off
	global_load_ushort v20, v[24:25], off
	s_mov_b64 s[44:45], -1
	s_waitcnt vmcnt(0)
	v_cmp_eq_u16_e64 s[6:7], v18, v20
	s_and_saveexec_b64 s[42:43], s[6:7]
	s_cbranch_execz .LBB727_191
; %bb.185:
	v_mov_b32_e32 v18, s17
	v_addc_co_u32_e64 v19, s[4:5], v19, v18, s[4:5]
	v_add_co_u32_e64 v18, s[4:5], 2, v24
	v_mov_b32_e32 v20, s17
	v_addc_co_u32_e64 v19, s[4:5], 0, v19, s[4:5]
	v_addc_co_u32_e32 v21, vcc, v21, v20, vcc
	v_add_co_u32_e32 v20, vcc, 2, v22
	s_add_u32 s4, s26, -1
	v_addc_co_u32_e32 v21, vcc, 0, v21, vcc
	s_addc_u32 s5, s27, -1
	s_mov_b64 s[6:7], 0
	s_mov_b64 s[46:47], 0
                                        ; implicit-def: $sgpr44_sgpr45
	s_branch .LBB727_188
.LBB727_186:                            ;   in Loop: Header=BB727_188 Depth=1
	global_load_ushort v22, v[20:21], off
	global_load_ushort v23, v[18:19], off
	v_add_co_u32_e32 v18, vcc, 2, v18
	v_addc_co_u32_e32 v19, vcc, 0, v19, vcc
	v_add_co_u32_e32 v20, vcc, 2, v20
	v_addc_co_u32_e32 v21, vcc, 0, v21, vcc
	s_add_u32 s46, s46, 1
	s_addc_u32 s47, s47, 0
	s_andn2_b64 s[44:45], s[44:45], exec
	s_waitcnt vmcnt(0)
	v_cmp_ne_u16_e32 vcc, v22, v23
	s_and_b64 s[50:51], vcc, exec
	s_or_b64 s[44:45], s[44:45], s[50:51]
.LBB727_187:                            ;   in Loop: Header=BB727_188 Depth=1
	s_and_b64 s[50:51], exec, s[44:45]
	s_or_b64 s[6:7], s[50:51], s[6:7]
	v_pk_mov_b32 v[22:23], s[46:47], s[46:47] op_sel:[0,1]
	s_andn2_b64 exec, exec, s[6:7]
	s_cbranch_execz .LBB727_190
.LBB727_188:                            ; =>This Inner Loop Header: Depth=1
	s_or_b64 s[44:45], s[44:45], exec
	s_cmp_eq_u64 s[4:5], s[46:47]
	s_cbranch_scc0 .LBB727_186
; %bb.189:                              ;   in Loop: Header=BB727_188 Depth=1
                                        ; implicit-def: $vgpr18_vgpr19
                                        ; implicit-def: $vgpr20_vgpr21
	s_mov_b64 s[46:47], s[26:27]
	s_branch .LBB727_187
.LBB727_190:
	s_or_b64 exec, exec, s[6:7]
	v_cmp_gt_i64_e32 vcc, s[26:27], v[22:23]
	s_orn2_b64 s[44:45], vcc, exec
.LBB727_191:
	s_or_b64 exec, exec, s[42:43]
.LBB727_192:
	s_and_b64 s[4:5], s[44:45], exec
.LBB727_193:
	s_or_b64 exec, exec, s[40:41]
	v_cndmask_b32_e64 v19, 0, 1, s[8:9]
	v_cndmask_b32_e64 v20, 0, 1, s[4:5]
	;; [unrolled: 1-line block ×3, first 2 shown]
	v_lshlrev_b16_e32 v20, 8, v20
	v_lshlrev_b16_e32 v19, 8, v19
	v_or_b32_e32 v20, 1, v20
	v_or_b32_sdwa v18, v18, v19 dst_sel:WORD_1 dst_unused:UNUSED_PAD src0_sel:DWORD src1_sel:DWORD
	v_or_b32_sdwa v28, v20, v18 dst_sel:DWORD dst_unused:UNUSED_PAD src0_sel:WORD_0 src1_sel:DWORD
	s_waitcnt lgkmcnt(0)
	s_barrier
	s_waitcnt lgkmcnt(0)
                                        ; implicit-def: $sgpr38_sgpr39
	s_and_saveexec_b64 s[6:7], s[2:3]
	s_cbranch_execz .LBB727_206
; %bb.194:
	v_cmp_gt_u32_e32 vcc, s48, v1
	s_mov_b64 s[2:3], 0
	s_and_saveexec_b64 s[8:9], vcc
	s_cbranch_execz .LBB727_205
; %bb.195:
	s_andn2_b64 vcc, exec, s[10:11]
	s_mov_b64 s[38:39], 0
	s_cbranch_vccnz .LBB727_204
; %bb.196:
	v_add_u32_e32 v18, -8, v29
	ds_read_b64 v[18:19], v18
	v_mul_lo_u32 v20, v15, s26
	v_mad_u64_u32 v[24:25], s[2:3], v14, s26, 0
	s_mov_b64 s[38:39], -1
	s_waitcnt lgkmcnt(0)
	v_mul_lo_u32 v21, v19, s26
	v_mul_lo_u32 v22, v18, s27
	v_mad_u64_u32 v[18:19], s[2:3], v18, s26, 0
	v_add3_u32 v19, v19, v22, v21
	v_mul_lo_u32 v21, v14, s27
	v_add3_u32 v25, v25, v21, v20
	v_lshlrev_b64 v[20:21], 1, v[18:19]
	v_mov_b32_e32 v18, s17
	v_add_co_u32_e32 v22, vcc, s16, v20
	v_addc_co_u32_e64 v23, s[2:3], v18, v21, vcc
	v_lshlrev_b64 v[18:19], 1, v[24:25]
	v_mov_b32_e32 v20, s17
	v_add_co_u32_e64 v24, s[2:3], s16, v18
	v_addc_co_u32_e64 v25, s[4:5], v20, v19, s[2:3]
	global_load_ushort v18, v[22:23], off
	global_load_ushort v20, v[24:25], off
	s_waitcnt vmcnt(0)
	v_cmp_eq_u16_e64 s[4:5], v18, v20
	s_and_saveexec_b64 s[10:11], s[4:5]
	s_cbranch_execz .LBB727_203
; %bb.197:
	v_mov_b32_e32 v18, s17
	v_addc_co_u32_e64 v19, s[2:3], v19, v18, s[2:3]
	v_add_co_u32_e64 v18, s[2:3], 2, v24
	v_mov_b32_e32 v20, s17
	v_addc_co_u32_e64 v19, s[2:3], 0, v19, s[2:3]
	v_addc_co_u32_e32 v21, vcc, v21, v20, vcc
	v_add_co_u32_e32 v20, vcc, 2, v22
	s_add_u32 s2, s26, -1
	v_addc_co_u32_e32 v21, vcc, 0, v21, vcc
	s_addc_u32 s3, s27, -1
	s_mov_b64 s[4:5], 0
	s_mov_b64 s[38:39], 0
                                        ; implicit-def: $sgpr16_sgpr17
	s_branch .LBB727_200
.LBB727_198:                            ;   in Loop: Header=BB727_200 Depth=1
	global_load_ushort v22, v[20:21], off
	global_load_ushort v23, v[18:19], off
	v_add_co_u32_e32 v18, vcc, 2, v18
	v_addc_co_u32_e32 v19, vcc, 0, v19, vcc
	v_add_co_u32_e32 v20, vcc, 2, v20
	v_addc_co_u32_e32 v21, vcc, 0, v21, vcc
	s_add_u32 s38, s38, 1
	s_addc_u32 s39, s39, 0
	s_andn2_b64 s[16:17], s[16:17], exec
	s_waitcnt vmcnt(0)
	v_cmp_ne_u16_e32 vcc, v22, v23
	s_and_b64 s[40:41], vcc, exec
	s_or_b64 s[16:17], s[16:17], s[40:41]
.LBB727_199:                            ;   in Loop: Header=BB727_200 Depth=1
	s_and_b64 s[40:41], exec, s[16:17]
	s_or_b64 s[4:5], s[40:41], s[4:5]
	v_pk_mov_b32 v[22:23], s[38:39], s[38:39] op_sel:[0,1]
	s_andn2_b64 exec, exec, s[4:5]
	s_cbranch_execz .LBB727_202
.LBB727_200:                            ; =>This Inner Loop Header: Depth=1
	s_or_b64 s[16:17], s[16:17], exec
	s_cmp_eq_u64 s[2:3], s[38:39]
	s_cbranch_scc0 .LBB727_198
; %bb.201:                              ;   in Loop: Header=BB727_200 Depth=1
                                        ; implicit-def: $vgpr18_vgpr19
                                        ; implicit-def: $vgpr20_vgpr21
	s_mov_b64 s[38:39], s[26:27]
	s_branch .LBB727_199
.LBB727_202:
	s_or_b64 exec, exec, s[4:5]
	v_cmp_gt_i64_e32 vcc, s[26:27], v[22:23]
	s_orn2_b64 s[38:39], vcc, exec
.LBB727_203:
	s_or_b64 exec, exec, s[10:11]
.LBB727_204:
	s_and_b64 s[2:3], s[38:39], exec
.LBB727_205:
	s_or_b64 exec, exec, s[8:9]
	s_and_b64 s[38:39], s[2:3], exec
	s_or_b64 s[14:15], s[14:15], exec
.LBB727_206:
	s_or_b64 exec, exec, s[6:7]
.LBB727_207:
	s_and_saveexec_b64 s[2:3], s[14:15]
	s_cbranch_execz .LBB727_209
; %bb.208:
	s_waitcnt vmcnt(0) lgkmcnt(0)
	v_and_b32_e32 v18, 0xffffff00, v28
	v_cndmask_b32_e64 v19, 0, 1, s[38:39]
	v_or_b32_e32 v18, v19, v18
	v_and_b32_e32 v18, 0xffff, v18
	s_mov_b32 s4, 0xffff0000
	v_and_or_b32 v28, v28, s4, v18
.LBB727_209:
	s_or_b64 exec, exec, s[2:3]
	s_andn2_b64 vcc, exec, s[12:13]
	s_cbranch_vccnz .LBB727_211
; %bb.210:
	v_cmp_gt_u32_e32 vcc, s48, v1
	s_waitcnt vmcnt(0) lgkmcnt(0)
	v_cndmask_b32_e32 v18, 0, v28, vcc
	v_or_b32_e32 v19, 1, v1
	v_and_b32_e32 v18, 0xff, v18
	v_cmp_gt_u32_e32 vcc, s48, v19
	v_cndmask_b32_e32 v18, v18, v28, vcc
	v_or_b32_e32 v19, 2, v1
	v_and_b32_e32 v18, 0xffff, v18
	v_cmp_gt_u32_e32 vcc, s48, v19
	;; [unrolled: 4-line block ×3, first 2 shown]
	v_cndmask_b32_e32 v28, v18, v28, vcc
.LBB727_211:
	v_bfe_u32 v30, v28, 16, 8
	v_lshrrev_b32_e32 v29, 24, v28
	s_waitcnt vmcnt(0) lgkmcnt(0)
	v_add_u32_sdwa v18, v28, v28 dst_sel:DWORD dst_unused:UNUSED_PAD src0_sel:BYTE_1 src1_sel:BYTE_0
	v_add3_u32 v33, v18, v30, v29
	v_mbcnt_lo_u32_b32 v18, -1, 0
	v_mbcnt_hi_u32_b32 v31, -1, v18
	v_and_b32_e32 v18, 15, v31
	v_cmp_eq_u32_e64 s[14:15], 0, v18
	v_cmp_lt_u32_e64 s[12:13], 1, v18
	v_cmp_lt_u32_e64 s[10:11], 3, v18
	;; [unrolled: 1-line block ×3, first 2 shown]
	v_and_b32_e32 v18, 16, v31
	v_cmp_eq_u32_e64 s[6:7], 0, v18
	v_or_b32_e32 v18, 63, v0
	v_cmp_lt_u32_e64 s[2:3], 31, v31
	v_lshrrev_b32_e32 v32, 6, v0
	v_cmp_eq_u32_e64 s[4:5], v18, v0
	s_and_b64 vcc, exec, s[36:37]
	s_barrier
	s_cbranch_vccz .LBB727_242
; %bb.212:
	v_mov_b32_dpp v18, v33 row_shr:1 row_mask:0xf bank_mask:0xf
	v_cndmask_b32_e64 v18, v18, 0, s[14:15]
	v_add_u32_e32 v18, v18, v33
	s_nop 1
	v_mov_b32_dpp v19, v18 row_shr:2 row_mask:0xf bank_mask:0xf
	v_cndmask_b32_e64 v19, 0, v19, s[12:13]
	v_add_u32_e32 v18, v18, v19
	s_nop 1
	;; [unrolled: 4-line block ×4, first 2 shown]
	v_mov_b32_dpp v19, v18 row_bcast:15 row_mask:0xf bank_mask:0xf
	v_cndmask_b32_e64 v19, v19, 0, s[6:7]
	v_add_u32_e32 v18, v18, v19
	s_nop 1
	v_mov_b32_dpp v19, v18 row_bcast:31 row_mask:0xf bank_mask:0xf
	v_cndmask_b32_e64 v19, 0, v19, s[2:3]
	v_add_u32_e32 v18, v18, v19
	s_and_saveexec_b64 s[16:17], s[4:5]
	s_cbranch_execz .LBB727_214
; %bb.213:
	v_lshlrev_b32_e32 v19, 2, v32
	ds_write_b32 v19, v18
.LBB727_214:
	s_or_b64 exec, exec, s[16:17]
	v_cmp_gt_u32_e32 vcc, 2, v0
	s_waitcnt lgkmcnt(0)
	s_barrier
	s_and_saveexec_b64 s[16:17], vcc
	s_cbranch_execz .LBB727_216
; %bb.215:
	ds_read_b32 v19, v1
	v_bfe_i32 v20, v31, 0, 1
	s_waitcnt lgkmcnt(0)
	v_mov_b32_dpp v21, v19 row_shr:1 row_mask:0xf bank_mask:0xf
	v_and_b32_e32 v20, v20, v21
	v_add_u32_e32 v19, v20, v19
	ds_write_b32 v1, v19
.LBB727_216:
	s_or_b64 exec, exec, s[16:17]
	v_cmp_gt_u32_e32 vcc, 64, v0
	v_cmp_lt_u32_e64 s[16:17], 63, v0
	s_waitcnt lgkmcnt(0)
	s_barrier
	s_waitcnt lgkmcnt(0)
                                        ; implicit-def: $vgpr34
	s_and_saveexec_b64 s[26:27], s[16:17]
	s_cbranch_execz .LBB727_218
; %bb.217:
	v_lshl_add_u32 v19, v32, 2, -4
	ds_read_b32 v34, v19
	s_waitcnt lgkmcnt(0)
	v_add_u32_e32 v18, v34, v18
.LBB727_218:
	s_or_b64 exec, exec, s[26:27]
	v_add_u32_e32 v19, -1, v31
	v_and_b32_e32 v20, 64, v31
	v_cmp_lt_i32_e64 s[16:17], v19, v20
	v_cndmask_b32_e64 v19, v19, v31, s[16:17]
	v_lshlrev_b32_e32 v19, 2, v19
	ds_bpermute_b32 v35, v19, v18
	v_cmp_eq_u32_e64 s[16:17], 0, v31
	s_and_saveexec_b64 s[26:27], vcc
	s_cbranch_execz .LBB727_241
; %bb.219:
	v_mov_b32_e32 v27, 0
	ds_read_b32 v18, v27 offset:4
	s_and_saveexec_b64 s[36:37], s[16:17]
	s_cbranch_execz .LBB727_221
; %bb.220:
	s_add_i32 s38, s33, 64
	s_mov_b32 s39, 0
	s_lshl_b64 s[38:39], s[38:39], 3
	s_add_u32 s38, s18, s38
	v_mov_b32_e32 v19, 1
	s_addc_u32 s39, s19, s39
	s_waitcnt lgkmcnt(0)
	global_store_dwordx2 v27, v[18:19], s[38:39]
.LBB727_221:
	s_or_b64 exec, exec, s[36:37]
	v_xad_u32 v20, v31, -1, s33
	v_add_u32_e32 v26, 64, v20
	v_lshlrev_b64 v[22:23], 3, v[26:27]
	v_mov_b32_e32 v19, s19
	v_add_co_u32_e32 v22, vcc, s18, v22
	v_addc_co_u32_e32 v23, vcc, v19, v23, vcc
	global_load_dwordx2 v[24:25], v[22:23], off glc
	s_waitcnt vmcnt(0)
	v_cmp_eq_u16_sdwa s[38:39], v25, v27 src0_sel:BYTE_0 src1_sel:DWORD
	s_and_saveexec_b64 s[36:37], s[38:39]
	s_cbranch_execz .LBB727_227
; %bb.222:
	s_mov_b32 s40, 1
	s_mov_b64 s[38:39], 0
	v_mov_b32_e32 v19, 0
.LBB727_223:                            ; =>This Loop Header: Depth=1
                                        ;     Child Loop BB727_224 Depth 2
	s_max_u32 s41, s40, 1
.LBB727_224:                            ;   Parent Loop BB727_223 Depth=1
                                        ; =>  This Inner Loop Header: Depth=2
	s_add_i32 s41, s41, -1
	s_cmp_eq_u32 s41, 0
	s_sleep 1
	s_cbranch_scc0 .LBB727_224
; %bb.225:                              ;   in Loop: Header=BB727_223 Depth=1
	global_load_dwordx2 v[24:25], v[22:23], off glc
	s_cmp_lt_u32 s40, 32
	s_cselect_b64 s[42:43], -1, 0
	s_cmp_lg_u64 s[42:43], 0
	s_addc_u32 s40, s40, 0
	s_waitcnt vmcnt(0)
	v_cmp_ne_u16_sdwa s[42:43], v25, v19 src0_sel:BYTE_0 src1_sel:DWORD
	s_or_b64 s[38:39], s[42:43], s[38:39]
	s_andn2_b64 exec, exec, s[38:39]
	s_cbranch_execnz .LBB727_223
; %bb.226:
	s_or_b64 exec, exec, s[38:39]
.LBB727_227:
	s_or_b64 exec, exec, s[36:37]
	v_and_b32_e32 v36, 63, v31
	v_mov_b32_e32 v19, 2
	v_cmp_ne_u32_e32 vcc, 63, v36
	v_cmp_eq_u16_sdwa s[36:37], v25, v19 src0_sel:BYTE_0 src1_sel:DWORD
	v_lshlrev_b64 v[22:23], v31, -1
	v_addc_co_u32_e32 v27, vcc, 0, v31, vcc
	v_and_b32_e32 v21, s37, v23
	v_lshlrev_b32_e32 v37, 2, v27
	v_or_b32_e32 v21, 0x80000000, v21
	ds_bpermute_b32 v27, v37, v24
	v_and_b32_e32 v26, s36, v22
	v_ffbl_b32_e32 v21, v21
	v_add_u32_e32 v21, 32, v21
	v_ffbl_b32_e32 v26, v26
	v_min_u32_e32 v21, v26, v21
	v_cmp_lt_u32_e32 vcc, v36, v21
	s_waitcnt lgkmcnt(0)
	v_cndmask_b32_e32 v26, 0, v27, vcc
	v_cmp_gt_u32_e32 vcc, 62, v36
	v_add_u32_e32 v24, v26, v24
	v_cndmask_b32_e64 v26, 0, 1, vcc
	v_lshlrev_b32_e32 v26, 1, v26
	v_add_lshl_u32 v38, v26, v31, 2
	ds_bpermute_b32 v26, v38, v24
	v_add_u32_e32 v39, 2, v36
	v_cmp_le_u32_e32 vcc, v39, v21
	v_add_u32_e32 v41, 4, v36
	v_add_u32_e32 v43, 8, v36
	s_waitcnt lgkmcnt(0)
	v_cndmask_b32_e32 v26, 0, v26, vcc
	v_cmp_gt_u32_e32 vcc, 60, v36
	v_add_u32_e32 v24, v24, v26
	v_cndmask_b32_e64 v26, 0, 1, vcc
	v_lshlrev_b32_e32 v26, 2, v26
	v_add_lshl_u32 v40, v26, v31, 2
	ds_bpermute_b32 v26, v40, v24
	v_cmp_le_u32_e32 vcc, v41, v21
	v_add_u32_e32 v46, 16, v36
	v_add_u32_e32 v48, 32, v36
	s_waitcnt lgkmcnt(0)
	v_cndmask_b32_e32 v26, 0, v26, vcc
	v_cmp_gt_u32_e32 vcc, 56, v36
	v_add_u32_e32 v24, v24, v26
	v_cndmask_b32_e64 v26, 0, 1, vcc
	v_lshlrev_b32_e32 v26, 3, v26
	v_add_lshl_u32 v42, v26, v31, 2
	ds_bpermute_b32 v26, v42, v24
	v_cmp_le_u32_e32 vcc, v43, v21
	s_waitcnt lgkmcnt(0)
	v_cndmask_b32_e32 v26, 0, v26, vcc
	v_cmp_gt_u32_e32 vcc, 48, v36
	v_add_u32_e32 v24, v24, v26
	v_cndmask_b32_e64 v26, 0, 1, vcc
	v_lshlrev_b32_e32 v26, 4, v26
	v_add_lshl_u32 v45, v26, v31, 2
	ds_bpermute_b32 v26, v45, v24
	v_cmp_le_u32_e32 vcc, v46, v21
	;; [unrolled: 9-line block ×3, first 2 shown]
	s_waitcnt lgkmcnt(0)
	v_cndmask_b32_e32 v21, 0, v26, vcc
	v_add_u32_e32 v24, v24, v21
	v_mov_b32_e32 v21, 0
	s_branch .LBB727_229
.LBB727_228:                            ;   in Loop: Header=BB727_229 Depth=1
	s_or_b64 exec, exec, s[36:37]
	v_cmp_eq_u16_sdwa s[36:37], v25, v19 src0_sel:BYTE_0 src1_sel:DWORD
	v_and_b32_e32 v26, s37, v23
	v_or_b32_e32 v26, 0x80000000, v26
	ds_bpermute_b32 v49, v37, v24
	v_and_b32_e32 v27, s36, v22
	v_ffbl_b32_e32 v26, v26
	v_add_u32_e32 v26, 32, v26
	v_ffbl_b32_e32 v27, v27
	v_min_u32_e32 v26, v27, v26
	v_cmp_lt_u32_e32 vcc, v36, v26
	s_waitcnt lgkmcnt(0)
	v_cndmask_b32_e32 v27, 0, v49, vcc
	v_add_u32_e32 v24, v27, v24
	ds_bpermute_b32 v27, v38, v24
	v_cmp_le_u32_e32 vcc, v39, v26
	v_subrev_u32_e32 v20, 64, v20
	s_waitcnt lgkmcnt(0)
	v_cndmask_b32_e32 v27, 0, v27, vcc
	v_add_u32_e32 v24, v24, v27
	ds_bpermute_b32 v27, v40, v24
	v_cmp_le_u32_e32 vcc, v41, v26
	s_waitcnt lgkmcnt(0)
	v_cndmask_b32_e32 v27, 0, v27, vcc
	v_add_u32_e32 v24, v24, v27
	ds_bpermute_b32 v27, v42, v24
	v_cmp_le_u32_e32 vcc, v43, v26
	;; [unrolled: 5-line block ×4, first 2 shown]
	s_waitcnt lgkmcnt(0)
	v_cndmask_b32_e32 v26, 0, v27, vcc
	v_add3_u32 v24, v26, v44, v24
.LBB727_229:                            ; =>This Loop Header: Depth=1
                                        ;     Child Loop BB727_232 Depth 2
                                        ;       Child Loop BB727_233 Depth 3
	v_cmp_ne_u16_sdwa s[36:37], v25, v19 src0_sel:BYTE_0 src1_sel:DWORD
	v_cndmask_b32_e64 v25, 0, 1, s[36:37]
	;;#ASMSTART
	;;#ASMEND
	v_cmp_ne_u32_e32 vcc, 0, v25
	s_cmp_lg_u64 vcc, exec
	v_mov_b32_e32 v44, v24
	s_cbranch_scc1 .LBB727_236
; %bb.230:                              ;   in Loop: Header=BB727_229 Depth=1
	v_lshlrev_b64 v[24:25], 3, v[20:21]
	v_mov_b32_e32 v27, s19
	v_add_co_u32_e32 v26, vcc, s18, v24
	v_addc_co_u32_e32 v27, vcc, v27, v25, vcc
	global_load_dwordx2 v[24:25], v[26:27], off glc
	s_waitcnt vmcnt(0)
	v_cmp_eq_u16_sdwa s[38:39], v25, v21 src0_sel:BYTE_0 src1_sel:DWORD
	s_and_saveexec_b64 s[36:37], s[38:39]
	s_cbranch_execz .LBB727_228
; %bb.231:                              ;   in Loop: Header=BB727_229 Depth=1
	s_mov_b32 s40, 1
	s_mov_b64 s[38:39], 0
.LBB727_232:                            ;   Parent Loop BB727_229 Depth=1
                                        ; =>  This Loop Header: Depth=2
                                        ;       Child Loop BB727_233 Depth 3
	s_max_u32 s41, s40, 1
.LBB727_233:                            ;   Parent Loop BB727_229 Depth=1
                                        ;     Parent Loop BB727_232 Depth=2
                                        ; =>    This Inner Loop Header: Depth=3
	s_add_i32 s41, s41, -1
	s_cmp_eq_u32 s41, 0
	s_sleep 1
	s_cbranch_scc0 .LBB727_233
; %bb.234:                              ;   in Loop: Header=BB727_232 Depth=2
	global_load_dwordx2 v[24:25], v[26:27], off glc
	s_cmp_lt_u32 s40, 32
	s_cselect_b64 s[42:43], -1, 0
	s_cmp_lg_u64 s[42:43], 0
	s_addc_u32 s40, s40, 0
	s_waitcnt vmcnt(0)
	v_cmp_ne_u16_sdwa s[42:43], v25, v21 src0_sel:BYTE_0 src1_sel:DWORD
	s_or_b64 s[38:39], s[42:43], s[38:39]
	s_andn2_b64 exec, exec, s[38:39]
	s_cbranch_execnz .LBB727_232
; %bb.235:                              ;   in Loop: Header=BB727_229 Depth=1
	s_or_b64 exec, exec, s[38:39]
	s_branch .LBB727_228
.LBB727_236:                            ;   in Loop: Header=BB727_229 Depth=1
                                        ; implicit-def: $vgpr24
                                        ; implicit-def: $vgpr25
	s_cbranch_execz .LBB727_229
; %bb.237:
	s_and_saveexec_b64 s[36:37], s[16:17]
	s_cbranch_execz .LBB727_239
; %bb.238:
	s_add_i32 s38, s33, 64
	s_mov_b32 s39, 0
	s_lshl_b64 s[38:39], s[38:39], 3
	s_add_u32 s38, s18, s38
	v_add_u32_e32 v20, v44, v18
	v_mov_b32_e32 v21, 2
	s_addc_u32 s39, s19, s39
	v_mov_b32_e32 v19, 0
	s_movk_i32 s33, 0x1000
	global_store_dwordx2 v19, v[20:21], s[38:39]
	v_add_u32_e64 v19, s33, 0
	ds_write2_b32 v19, v18, v44 offset0:32 offset1:34
.LBB727_239:
	s_or_b64 exec, exec, s[36:37]
	s_and_b64 exec, exec, s[0:1]
	s_cbranch_execz .LBB727_241
; %bb.240:
	v_mov_b32_e32 v18, 0
	ds_write_b32 v18, v44 offset:4
.LBB727_241:
	s_or_b64 exec, exec, s[26:27]
	v_mov_b32_e32 v19, 0
	s_waitcnt lgkmcnt(0)
	s_barrier
	ds_read_b32 v19, v19 offset:4
	v_cndmask_b32_e64 v18, v35, v34, s[16:17]
	s_movk_i32 s16, 0x1000
	v_add_u32_e64 v20, s16, 0
	s_waitcnt lgkmcnt(0)
	s_barrier
	ds_read2_b32 v[26:27], v20 offset0:32 offset1:34
	v_cndmask_b32_e64 v18, v18, 0, s[0:1]
	v_add_u32_e32 v24, v19, v18
	v_add_u32_sdwa v22, v24, v28 dst_sel:DWORD dst_unused:UNUSED_PAD src0_sel:DWORD src1_sel:BYTE_0
	v_add_u32_sdwa v20, v22, v28 dst_sel:DWORD dst_unused:UNUSED_PAD src0_sel:DWORD src1_sel:BYTE_1
	v_add_u32_e32 v18, v20, v30
	s_waitcnt lgkmcnt(0)
	v_readfirstlane_b32 s33, v26
	v_readfirstlane_b32 s16, v27
	s_branch .LBB727_252
.LBB727_242:
                                        ; implicit-def: $vgpr18
                                        ; implicit-def: $vgpr20
                                        ; implicit-def: $vgpr22
                                        ; implicit-def: $vgpr24
                                        ; implicit-def: $sgpr16
                                        ; implicit-def: $sgpr33
	s_cbranch_execz .LBB727_252
; %bb.243:
	s_nop 0
	v_mov_b32_dpp v18, v33 row_shr:1 row_mask:0xf bank_mask:0xf
	v_cndmask_b32_e64 v18, v18, 0, s[14:15]
	v_add_u32_e32 v18, v18, v33
	s_nop 1
	v_mov_b32_dpp v19, v18 row_shr:2 row_mask:0xf bank_mask:0xf
	v_cndmask_b32_e64 v19, 0, v19, s[12:13]
	v_add_u32_e32 v18, v18, v19
	;; [unrolled: 4-line block ×4, first 2 shown]
	s_nop 1
	v_mov_b32_dpp v19, v18 row_bcast:15 row_mask:0xf bank_mask:0xf
	v_cndmask_b32_e64 v19, v19, 0, s[6:7]
	v_add_u32_e32 v18, v18, v19
	s_nop 1
	v_mov_b32_dpp v19, v18 row_bcast:31 row_mask:0xf bank_mask:0xf
	v_cndmask_b32_e64 v19, 0, v19, s[2:3]
	v_add_u32_e32 v18, v18, v19
	s_and_saveexec_b64 s[2:3], s[4:5]
	s_cbranch_execz .LBB727_245
; %bb.244:
	v_lshlrev_b32_e32 v19, 2, v32
	ds_write_b32 v19, v18
.LBB727_245:
	s_or_b64 exec, exec, s[2:3]
	v_cmp_gt_u32_e32 vcc, 2, v0
	s_waitcnt lgkmcnt(0)
	s_barrier
	s_and_saveexec_b64 s[2:3], vcc
	s_cbranch_execz .LBB727_247
; %bb.246:
	ds_read_b32 v19, v1
	v_bfe_i32 v20, v31, 0, 1
	s_waitcnt lgkmcnt(0)
	v_mov_b32_dpp v21, v19 row_shr:1 row_mask:0xf bank_mask:0xf
	v_and_b32_e32 v20, v20, v21
	v_add_u32_e32 v19, v20, v19
	ds_write_b32 v1, v19
.LBB727_247:
	s_or_b64 exec, exec, s[2:3]
	v_cmp_lt_u32_e32 vcc, 63, v0
	v_mov_b32_e32 v19, 0
	v_mov_b32_e32 v1, 0
	s_waitcnt lgkmcnt(0)
	s_barrier
	s_and_saveexec_b64 s[2:3], vcc
	s_cbranch_execz .LBB727_249
; %bb.248:
	v_lshl_add_u32 v1, v32, 2, -4
	ds_read_b32 v1, v1
.LBB727_249:
	s_or_b64 exec, exec, s[2:3]
	v_add_u32_e32 v20, -1, v31
	v_and_b32_e32 v21, 64, v31
	v_cmp_lt_i32_e32 vcc, v20, v21
	v_cndmask_b32_e32 v20, v20, v31, vcc
	s_waitcnt lgkmcnt(0)
	v_add_u32_e32 v18, v1, v18
	v_lshlrev_b32_e32 v20, 2, v20
	ds_read_b32 v19, v19 offset:4
	ds_bpermute_b32 v18, v20, v18
	s_waitcnt lgkmcnt(1)
	v_readfirstlane_b32 s33, v19
	s_and_saveexec_b64 s[2:3], s[0:1]
	s_cbranch_execz .LBB727_251
; %bb.250:
	v_mov_b32_e32 v19, 0
	v_mov_b32_e32 v20, s33
	;; [unrolled: 1-line block ×3, first 2 shown]
	global_store_dwordx2 v19, v[20:21], s[18:19] offset:512
.LBB727_251:
	s_or_b64 exec, exec, s[2:3]
	v_cmp_eq_u32_e32 vcc, 0, v31
	s_waitcnt lgkmcnt(0)
	v_cndmask_b32_e32 v1, v18, v1, vcc
	v_cndmask_b32_e64 v24, v1, 0, s[0:1]
	v_add_u32_sdwa v22, v24, v28 dst_sel:DWORD dst_unused:UNUSED_PAD src0_sel:DWORD src1_sel:BYTE_0
	v_add_u32_sdwa v20, v22, v28 dst_sel:DWORD dst_unused:UNUSED_PAD src0_sel:DWORD src1_sel:BYTE_1
	s_mov_b32 s16, 0
	v_add_u32_e32 v18, v20, v30
	s_barrier
.LBB727_252:
	s_cmpk_lt_u32 s33, 0x81
	s_cselect_b64 s[4:5], -1, 0
	v_lshrrev_b32_e32 v1, 8, v28
	s_mov_b64 s[2:3], -1
	s_and_b64 vcc, exec, s[4:5]
	s_cbranch_vccz .LBB727_266
; %bb.253:
	s_add_i32 s6, s16, s33
	v_cmp_gt_u32_e32 vcc, s6, v24
	s_or_b64 s[8:9], s[34:35], vcc
	s_and_saveexec_b64 s[2:3], s[8:9]
	s_cbranch_execz .LBB727_256
; %bb.254:
	v_and_b32_e32 v19, 1, v28
	v_cmp_eq_u32_e32 vcc, 1, v19
	s_and_b64 exec, exec, vcc
	s_cbranch_execz .LBB727_256
; %bb.255:
	s_lshl_b64 s[8:9], s[22:23], 3
	s_add_u32 s7, s28, s8
	v_mov_b32_e32 v25, 0
	s_addc_u32 s8, s29, s9
	v_lshlrev_b64 v[26:27], 3, v[24:25]
	v_mov_b32_e32 v19, s8
	v_add_co_u32_e32 v26, vcc, s7, v26
	v_addc_co_u32_e32 v27, vcc, v19, v27, vcc
	global_store_dwordx2 v[26:27], v[14:15], off
.LBB727_256:
	s_or_b64 exec, exec, s[2:3]
	v_cmp_gt_u32_e32 vcc, s6, v22
	s_or_b64 s[8:9], s[34:35], vcc
	s_and_saveexec_b64 s[2:3], s[8:9]
	s_cbranch_execz .LBB727_259
; %bb.257:
	v_and_b32_e32 v19, 1, v1
	v_cmp_eq_u32_e32 vcc, 1, v19
	s_and_b64 exec, exec, vcc
	s_cbranch_execz .LBB727_259
; %bb.258:
	s_lshl_b64 s[8:9], s[22:23], 3
	s_add_u32 s7, s28, s8
	v_mov_b32_e32 v23, 0
	s_addc_u32 s8, s29, s9
	v_lshlrev_b64 v[26:27], 3, v[22:23]
	v_mov_b32_e32 v19, s8
	v_add_co_u32_e32 v26, vcc, s7, v26
	v_addc_co_u32_e32 v27, vcc, v19, v27, vcc
	global_store_dwordx2 v[26:27], v[16:17], off
.LBB727_259:
	s_or_b64 exec, exec, s[2:3]
	v_cmp_gt_u32_e32 vcc, s6, v20
	s_or_b64 s[8:9], s[34:35], vcc
	s_and_saveexec_b64 s[2:3], s[8:9]
	s_cbranch_execz .LBB727_262
; %bb.260:
	v_mov_b32_e32 v19, 1
	v_and_b32_sdwa v19, v19, v28 dst_sel:DWORD dst_unused:UNUSED_PAD src0_sel:DWORD src1_sel:WORD_1
	v_cmp_eq_u32_e32 vcc, 1, v19
	s_and_b64 exec, exec, vcc
	s_cbranch_execz .LBB727_262
; %bb.261:
	s_lshl_b64 s[8:9], s[22:23], 3
	s_add_u32 s7, s28, s8
	v_mov_b32_e32 v21, 0
	s_addc_u32 s8, s29, s9
	v_lshlrev_b64 v[26:27], 3, v[20:21]
	v_mov_b32_e32 v19, s8
	v_add_co_u32_e32 v26, vcc, s7, v26
	v_addc_co_u32_e32 v27, vcc, v19, v27, vcc
	global_store_dwordx2 v[26:27], v[10:11], off
.LBB727_262:
	s_or_b64 exec, exec, s[2:3]
	v_cmp_gt_u32_e32 vcc, s6, v18
	s_or_b64 s[6:7], s[34:35], vcc
	s_and_saveexec_b64 s[2:3], s[6:7]
	s_cbranch_execz .LBB727_265
; %bb.263:
	v_and_b32_e32 v19, 1, v29
	v_cmp_eq_u32_e32 vcc, 1, v19
	s_and_b64 exec, exec, vcc
	s_cbranch_execz .LBB727_265
; %bb.264:
	s_lshl_b64 s[6:7], s[22:23], 3
	s_add_u32 s6, s28, s6
	v_mov_b32_e32 v19, 0
	s_addc_u32 s7, s29, s7
	v_lshlrev_b64 v[26:27], 3, v[18:19]
	v_mov_b32_e32 v19, s7
	v_add_co_u32_e32 v26, vcc, s6, v26
	v_addc_co_u32_e32 v27, vcc, v19, v27, vcc
	global_store_dwordx2 v[26:27], v[12:13], off
.LBB727_265:
	s_or_b64 exec, exec, s[2:3]
	s_mov_b64 s[2:3], 0
.LBB727_266:
	v_and_b32_e32 v26, 1, v28
	s_and_b64 vcc, exec, s[2:3]
	v_cmp_eq_u32_e64 s[2:3], 1, v26
	s_cbranch_vccz .LBB727_279
; %bb.267:
	s_and_saveexec_b64 s[6:7], s[2:3]
	s_cbranch_execz .LBB727_269
; %bb.268:
	v_subrev_u32_e32 v19, s16, v24
	v_lshlrev_b32_e32 v19, 3, v19
	ds_write_b64 v19, v[14:15]
.LBB727_269:
	s_or_b64 exec, exec, s[6:7]
	v_and_b32_e32 v14, 1, v1
	v_cmp_eq_u32_e32 vcc, 1, v14
	s_and_saveexec_b64 s[2:3], vcc
	s_cbranch_execz .LBB727_271
; %bb.270:
	v_subrev_u32_e32 v14, s16, v22
	v_lshlrev_b32_e32 v14, 3, v14
	ds_write_b64 v14, v[16:17]
.LBB727_271:
	s_or_b64 exec, exec, s[2:3]
	v_mov_b32_e32 v14, 1
	v_and_b32_sdwa v14, v14, v28 dst_sel:DWORD dst_unused:UNUSED_PAD src0_sel:DWORD src1_sel:WORD_1
	v_cmp_eq_u32_e32 vcc, 1, v14
	s_and_saveexec_b64 s[2:3], vcc
	s_cbranch_execz .LBB727_273
; %bb.272:
	v_subrev_u32_e32 v14, s16, v20
	v_lshlrev_b32_e32 v14, 3, v14
	ds_write_b64 v14, v[10:11]
.LBB727_273:
	s_or_b64 exec, exec, s[2:3]
	v_and_b32_e32 v10, 1, v29
	v_cmp_eq_u32_e32 vcc, 1, v10
	s_and_saveexec_b64 s[2:3], vcc
	s_cbranch_execz .LBB727_275
; %bb.274:
	v_subrev_u32_e32 v10, s16, v18
	v_lshlrev_b32_e32 v10, 3, v10
	ds_write_b64 v10, v[12:13]
.LBB727_275:
	s_or_b64 exec, exec, s[2:3]
	v_cmp_gt_u32_e32 vcc, s33, v0
	s_waitcnt lgkmcnt(0)
	s_barrier
	s_and_saveexec_b64 s[2:3], vcc
	s_cbranch_execz .LBB727_278
; %bb.276:
	s_mov_b32 s17, 0
	s_lshl_b64 s[6:7], s[16:17], 3
	s_add_u32 s8, s28, s6
	s_addc_u32 s9, s29, s7
	s_lshl_b64 s[6:7], s[22:23], 3
	s_add_u32 s8, s8, s6
	s_addc_u32 s9, s9, s7
	v_lshlrev_b32_e32 v12, 3, v0
	s_mov_b64 s[6:7], 0
	v_mov_b32_e32 v11, 0
	v_mov_b32_e32 v13, s9
	;; [unrolled: 1-line block ×3, first 2 shown]
.LBB727_277:                            ; =>This Inner Loop Header: Depth=1
	ds_read_b64 v[14:15], v12
	v_lshlrev_b64 v[16:17], 3, v[10:11]
	v_add_co_u32_e32 v16, vcc, s8, v16
	v_add_u32_e32 v10, 0x80, v10
	v_addc_co_u32_e32 v17, vcc, v13, v17, vcc
	v_cmp_le_u32_e32 vcc, s33, v10
	v_add_u32_e32 v12, 0x400, v12
	s_or_b64 s[6:7], vcc, s[6:7]
	s_waitcnt lgkmcnt(0)
	global_store_dwordx2 v[16:17], v[14:15], off
	s_andn2_b64 exec, exec, s[6:7]
	s_cbranch_execnz .LBB727_277
.LBB727_278:
	s_or_b64 exec, exec, s[2:3]
.LBB727_279:
	s_mov_b64 s[2:3], -1
	s_and_b64 vcc, exec, s[4:5]
	s_barrier
	s_cbranch_vccnz .LBB727_283
; %bb.280:
	s_and_b64 vcc, exec, s[2:3]
	s_cbranch_vccnz .LBB727_296
.LBB727_281:
	s_and_b64 s[0:1], s[0:1], s[24:25]
	s_and_saveexec_b64 s[2:3], s[0:1]
	s_cbranch_execnz .LBB727_308
.LBB727_282:
	s_endpgm
.LBB727_283:
	s_add_i32 s4, s16, s33
	v_cmp_gt_u32_e32 vcc, s4, v24
	s_or_b64 s[6:7], s[34:35], vcc
	s_and_saveexec_b64 s[2:3], s[6:7]
	s_cbranch_execz .LBB727_286
; %bb.284:
	v_cmp_eq_u32_e32 vcc, 1, v26
	s_and_b64 exec, exec, vcc
	s_cbranch_execz .LBB727_286
; %bb.285:
	s_lshl_b64 s[6:7], s[22:23], 3
	s_add_u32 s5, s30, s6
	v_mov_b32_e32 v25, 0
	s_addc_u32 s6, s31, s7
	v_lshlrev_b64 v[10:11], 3, v[24:25]
	v_mov_b32_e32 v12, s6
	v_add_co_u32_e32 v10, vcc, s5, v10
	v_addc_co_u32_e32 v11, vcc, v12, v11, vcc
	global_store_dwordx2 v[10:11], v[6:7], off
.LBB727_286:
	s_or_b64 exec, exec, s[2:3]
	v_cmp_gt_u32_e32 vcc, s4, v22
	s_or_b64 s[6:7], s[34:35], vcc
	s_and_saveexec_b64 s[2:3], s[6:7]
	s_cbranch_execz .LBB727_289
; %bb.287:
	v_and_b32_e32 v10, 1, v1
	v_cmp_eq_u32_e32 vcc, 1, v10
	s_and_b64 exec, exec, vcc
	s_cbranch_execz .LBB727_289
; %bb.288:
	s_lshl_b64 s[6:7], s[22:23], 3
	s_add_u32 s5, s30, s6
	v_mov_b32_e32 v23, 0
	s_addc_u32 s6, s31, s7
	v_lshlrev_b64 v[10:11], 3, v[22:23]
	v_mov_b32_e32 v12, s6
	v_add_co_u32_e32 v10, vcc, s5, v10
	v_addc_co_u32_e32 v11, vcc, v12, v11, vcc
	global_store_dwordx2 v[10:11], v[8:9], off
.LBB727_289:
	s_or_b64 exec, exec, s[2:3]
	v_cmp_gt_u32_e32 vcc, s4, v20
	s_or_b64 s[6:7], s[34:35], vcc
	s_and_saveexec_b64 s[2:3], s[6:7]
	s_cbranch_execz .LBB727_292
; %bb.290:
	v_mov_b32_e32 v10, 1
	v_and_b32_sdwa v10, v10, v28 dst_sel:DWORD dst_unused:UNUSED_PAD src0_sel:DWORD src1_sel:WORD_1
	v_cmp_eq_u32_e32 vcc, 1, v10
	s_and_b64 exec, exec, vcc
	s_cbranch_execz .LBB727_292
; %bb.291:
	s_lshl_b64 s[6:7], s[22:23], 3
	s_add_u32 s5, s30, s6
	v_mov_b32_e32 v21, 0
	s_addc_u32 s6, s31, s7
	v_lshlrev_b64 v[10:11], 3, v[20:21]
	v_mov_b32_e32 v12, s6
	v_add_co_u32_e32 v10, vcc, s5, v10
	v_addc_co_u32_e32 v11, vcc, v12, v11, vcc
	global_store_dwordx2 v[10:11], v[2:3], off
.LBB727_292:
	s_or_b64 exec, exec, s[2:3]
	v_cmp_gt_u32_e32 vcc, s4, v18
	s_or_b64 s[4:5], s[34:35], vcc
	s_and_saveexec_b64 s[2:3], s[4:5]
	s_cbranch_execz .LBB727_295
; %bb.293:
	v_and_b32_e32 v10, 1, v29
	v_cmp_eq_u32_e32 vcc, 1, v10
	s_and_b64 exec, exec, vcc
	s_cbranch_execz .LBB727_295
; %bb.294:
	s_lshl_b64 s[4:5], s[22:23], 3
	s_add_u32 s4, s30, s4
	v_mov_b32_e32 v19, 0
	s_addc_u32 s5, s31, s5
	v_lshlrev_b64 v[10:11], 3, v[18:19]
	v_mov_b32_e32 v12, s5
	v_add_co_u32_e32 v10, vcc, s4, v10
	v_addc_co_u32_e32 v11, vcc, v12, v11, vcc
	global_store_dwordx2 v[10:11], v[4:5], off
.LBB727_295:
	s_or_b64 exec, exec, s[2:3]
	s_branch .LBB727_281
.LBB727_296:
	v_cmp_eq_u32_e32 vcc, 1, v26
	s_and_saveexec_b64 s[2:3], vcc
	s_cbranch_execz .LBB727_298
; %bb.297:
	v_subrev_u32_e32 v10, s16, v24
	v_lshlrev_b32_e32 v10, 3, v10
	ds_write_b64 v10, v[6:7]
.LBB727_298:
	s_or_b64 exec, exec, s[2:3]
	v_and_b32_e32 v1, 1, v1
	v_cmp_eq_u32_e32 vcc, 1, v1
	s_and_saveexec_b64 s[2:3], vcc
	s_cbranch_execz .LBB727_300
; %bb.299:
	v_subrev_u32_e32 v1, s16, v22
	v_lshlrev_b32_e32 v1, 3, v1
	ds_write_b64 v1, v[8:9]
.LBB727_300:
	s_or_b64 exec, exec, s[2:3]
	v_mov_b32_e32 v1, 1
	v_and_b32_sdwa v1, v1, v28 dst_sel:DWORD dst_unused:UNUSED_PAD src0_sel:DWORD src1_sel:WORD_1
	v_cmp_eq_u32_e32 vcc, 1, v1
	s_and_saveexec_b64 s[2:3], vcc
	s_cbranch_execz .LBB727_302
; %bb.301:
	v_subrev_u32_e32 v1, s16, v20
	v_lshlrev_b32_e32 v1, 3, v1
	ds_write_b64 v1, v[2:3]
.LBB727_302:
	s_or_b64 exec, exec, s[2:3]
	v_and_b32_e32 v1, 1, v29
	v_cmp_eq_u32_e32 vcc, 1, v1
	s_and_saveexec_b64 s[2:3], vcc
	s_cbranch_execz .LBB727_304
; %bb.303:
	v_subrev_u32_e32 v1, s16, v18
	v_lshlrev_b32_e32 v1, 3, v1
	ds_write_b64 v1, v[4:5]
.LBB727_304:
	s_or_b64 exec, exec, s[2:3]
	v_cmp_gt_u32_e32 vcc, s33, v0
	s_waitcnt lgkmcnt(0)
	s_barrier
	s_and_saveexec_b64 s[2:3], vcc
	s_cbranch_execz .LBB727_307
; %bb.305:
	s_mov_b32 s17, 0
	s_lshl_b64 s[4:5], s[16:17], 3
	s_add_u32 s6, s30, s4
	s_addc_u32 s7, s31, s5
	s_lshl_b64 s[4:5], s[22:23], 3
	s_add_u32 s6, s6, s4
	s_addc_u32 s7, s7, s5
	v_lshlrev_b32_e32 v2, 3, v0
	s_mov_b64 s[4:5], 0
	v_mov_b32_e32 v1, 0
	v_mov_b32_e32 v3, s7
.LBB727_306:                            ; =>This Inner Loop Header: Depth=1
	ds_read_b64 v[4:5], v2
	v_lshlrev_b64 v[6:7], 3, v[0:1]
	v_add_co_u32_e32 v6, vcc, s6, v6
	v_add_u32_e32 v0, 0x80, v0
	v_addc_co_u32_e32 v7, vcc, v3, v7, vcc
	v_cmp_le_u32_e32 vcc, s33, v0
	v_add_u32_e32 v2, 0x400, v2
	s_or_b64 s[4:5], vcc, s[4:5]
	s_waitcnt lgkmcnt(0)
	global_store_dwordx2 v[6:7], v[4:5], off
	s_andn2_b64 exec, exec, s[4:5]
	s_cbranch_execnz .LBB727_306
.LBB727_307:
	s_or_b64 exec, exec, s[2:3]
	s_and_b64 s[0:1], s[0:1], s[24:25]
	s_and_saveexec_b64 s[2:3], s[0:1]
	s_cbranch_execz .LBB727_282
.LBB727_308:
	s_add_u32 s0, s22, s33
	s_addc_u32 s1, s23, 0
	s_add_u32 s0, s0, s16
	s_addc_u32 s1, s1, 0
	v_mov_b32_e32 v2, 0
	v_pk_mov_b32 v[0:1], s[0:1], s[0:1] op_sel:[0,1]
	global_store_dwordx2 v2, v[0:1], s[20:21]
	s_endpgm
	.section	.rodata,"a",@progbits
	.p2align	6, 0x0
	.amdhsa_kernel _ZN7rocprim17ROCPRIM_400000_NS6detail17trampoline_kernelINS0_14default_configENS1_25partition_config_selectorILNS1_17partition_subalgoE9EllbEEZZNS1_14partition_implILS5_9ELb0ES3_jPlS8_PNS0_10empty_typeENS0_5tupleIJS8_S9_EEENSB_IJS8_SA_EEENS0_18inequality_wrapperIZN2at6native12_GLOBAL__N_124unique_dim_cuda_templateIsEESt5tupleIJNSF_6TensorESK_SK_EERKSK_lbbbEUlllE0_EEPmJS9_EEE10hipError_tPvRmT3_T4_T5_T6_T7_T9_mT8_P12ihipStream_tbDpT10_ENKUlT_T0_E_clISt17integral_constantIbLb1EES1A_EEDaS15_S16_EUlS15_E_NS1_11comp_targetILNS1_3genE4ELNS1_11target_archE910ELNS1_3gpuE8ELNS1_3repE0EEENS1_30default_config_static_selectorELNS0_4arch9wavefront6targetE1EEEvT1_
		.amdhsa_group_segment_fixed_size 4236
		.amdhsa_private_segment_fixed_size 0
		.amdhsa_kernarg_size 136
		.amdhsa_user_sgpr_count 6
		.amdhsa_user_sgpr_private_segment_buffer 1
		.amdhsa_user_sgpr_dispatch_ptr 0
		.amdhsa_user_sgpr_queue_ptr 0
		.amdhsa_user_sgpr_kernarg_segment_ptr 1
		.amdhsa_user_sgpr_dispatch_id 0
		.amdhsa_user_sgpr_flat_scratch_init 0
		.amdhsa_user_sgpr_kernarg_preload_length 0
		.amdhsa_user_sgpr_kernarg_preload_offset 0
		.amdhsa_user_sgpr_private_segment_size 0
		.amdhsa_uses_dynamic_stack 0
		.amdhsa_system_sgpr_private_segment_wavefront_offset 0
		.amdhsa_system_sgpr_workgroup_id_x 1
		.amdhsa_system_sgpr_workgroup_id_y 0
		.amdhsa_system_sgpr_workgroup_id_z 0
		.amdhsa_system_sgpr_workgroup_info 0
		.amdhsa_system_vgpr_workitem_id 0
		.amdhsa_next_free_vgpr 50
		.amdhsa_next_free_sgpr 52
		.amdhsa_accum_offset 52
		.amdhsa_reserve_vcc 1
		.amdhsa_reserve_flat_scratch 0
		.amdhsa_float_round_mode_32 0
		.amdhsa_float_round_mode_16_64 0
		.amdhsa_float_denorm_mode_32 3
		.amdhsa_float_denorm_mode_16_64 3
		.amdhsa_dx10_clamp 1
		.amdhsa_ieee_mode 1
		.amdhsa_fp16_overflow 0
		.amdhsa_tg_split 0
		.amdhsa_exception_fp_ieee_invalid_op 0
		.amdhsa_exception_fp_denorm_src 0
		.amdhsa_exception_fp_ieee_div_zero 0
		.amdhsa_exception_fp_ieee_overflow 0
		.amdhsa_exception_fp_ieee_underflow 0
		.amdhsa_exception_fp_ieee_inexact 0
		.amdhsa_exception_int_div_zero 0
	.end_amdhsa_kernel
	.section	.text._ZN7rocprim17ROCPRIM_400000_NS6detail17trampoline_kernelINS0_14default_configENS1_25partition_config_selectorILNS1_17partition_subalgoE9EllbEEZZNS1_14partition_implILS5_9ELb0ES3_jPlS8_PNS0_10empty_typeENS0_5tupleIJS8_S9_EEENSB_IJS8_SA_EEENS0_18inequality_wrapperIZN2at6native12_GLOBAL__N_124unique_dim_cuda_templateIsEESt5tupleIJNSF_6TensorESK_SK_EERKSK_lbbbEUlllE0_EEPmJS9_EEE10hipError_tPvRmT3_T4_T5_T6_T7_T9_mT8_P12ihipStream_tbDpT10_ENKUlT_T0_E_clISt17integral_constantIbLb1EES1A_EEDaS15_S16_EUlS15_E_NS1_11comp_targetILNS1_3genE4ELNS1_11target_archE910ELNS1_3gpuE8ELNS1_3repE0EEENS1_30default_config_static_selectorELNS0_4arch9wavefront6targetE1EEEvT1_,"axG",@progbits,_ZN7rocprim17ROCPRIM_400000_NS6detail17trampoline_kernelINS0_14default_configENS1_25partition_config_selectorILNS1_17partition_subalgoE9EllbEEZZNS1_14partition_implILS5_9ELb0ES3_jPlS8_PNS0_10empty_typeENS0_5tupleIJS8_S9_EEENSB_IJS8_SA_EEENS0_18inequality_wrapperIZN2at6native12_GLOBAL__N_124unique_dim_cuda_templateIsEESt5tupleIJNSF_6TensorESK_SK_EERKSK_lbbbEUlllE0_EEPmJS9_EEE10hipError_tPvRmT3_T4_T5_T6_T7_T9_mT8_P12ihipStream_tbDpT10_ENKUlT_T0_E_clISt17integral_constantIbLb1EES1A_EEDaS15_S16_EUlS15_E_NS1_11comp_targetILNS1_3genE4ELNS1_11target_archE910ELNS1_3gpuE8ELNS1_3repE0EEENS1_30default_config_static_selectorELNS0_4arch9wavefront6targetE1EEEvT1_,comdat
.Lfunc_end727:
	.size	_ZN7rocprim17ROCPRIM_400000_NS6detail17trampoline_kernelINS0_14default_configENS1_25partition_config_selectorILNS1_17partition_subalgoE9EllbEEZZNS1_14partition_implILS5_9ELb0ES3_jPlS8_PNS0_10empty_typeENS0_5tupleIJS8_S9_EEENSB_IJS8_SA_EEENS0_18inequality_wrapperIZN2at6native12_GLOBAL__N_124unique_dim_cuda_templateIsEESt5tupleIJNSF_6TensorESK_SK_EERKSK_lbbbEUlllE0_EEPmJS9_EEE10hipError_tPvRmT3_T4_T5_T6_T7_T9_mT8_P12ihipStream_tbDpT10_ENKUlT_T0_E_clISt17integral_constantIbLb1EES1A_EEDaS15_S16_EUlS15_E_NS1_11comp_targetILNS1_3genE4ELNS1_11target_archE910ELNS1_3gpuE8ELNS1_3repE0EEENS1_30default_config_static_selectorELNS0_4arch9wavefront6targetE1EEEvT1_, .Lfunc_end727-_ZN7rocprim17ROCPRIM_400000_NS6detail17trampoline_kernelINS0_14default_configENS1_25partition_config_selectorILNS1_17partition_subalgoE9EllbEEZZNS1_14partition_implILS5_9ELb0ES3_jPlS8_PNS0_10empty_typeENS0_5tupleIJS8_S9_EEENSB_IJS8_SA_EEENS0_18inequality_wrapperIZN2at6native12_GLOBAL__N_124unique_dim_cuda_templateIsEESt5tupleIJNSF_6TensorESK_SK_EERKSK_lbbbEUlllE0_EEPmJS9_EEE10hipError_tPvRmT3_T4_T5_T6_T7_T9_mT8_P12ihipStream_tbDpT10_ENKUlT_T0_E_clISt17integral_constantIbLb1EES1A_EEDaS15_S16_EUlS15_E_NS1_11comp_targetILNS1_3genE4ELNS1_11target_archE910ELNS1_3gpuE8ELNS1_3repE0EEENS1_30default_config_static_selectorELNS0_4arch9wavefront6targetE1EEEvT1_
                                        ; -- End function
	.section	.AMDGPU.csdata,"",@progbits
; Kernel info:
; codeLenInByte = 10980
; NumSgprs: 56
; NumVgprs: 50
; NumAgprs: 0
; TotalNumVgprs: 50
; ScratchSize: 0
; MemoryBound: 0
; FloatMode: 240
; IeeeMode: 1
; LDSByteSize: 4236 bytes/workgroup (compile time only)
; SGPRBlocks: 6
; VGPRBlocks: 6
; NumSGPRsForWavesPerEU: 56
; NumVGPRsForWavesPerEU: 50
; AccumOffset: 52
; Occupancy: 8
; WaveLimiterHint : 1
; COMPUTE_PGM_RSRC2:SCRATCH_EN: 0
; COMPUTE_PGM_RSRC2:USER_SGPR: 6
; COMPUTE_PGM_RSRC2:TRAP_HANDLER: 0
; COMPUTE_PGM_RSRC2:TGID_X_EN: 1
; COMPUTE_PGM_RSRC2:TGID_Y_EN: 0
; COMPUTE_PGM_RSRC2:TGID_Z_EN: 0
; COMPUTE_PGM_RSRC2:TIDIG_COMP_CNT: 0
; COMPUTE_PGM_RSRC3_GFX90A:ACCUM_OFFSET: 12
; COMPUTE_PGM_RSRC3_GFX90A:TG_SPLIT: 0
	.section	.text._ZN7rocprim17ROCPRIM_400000_NS6detail17trampoline_kernelINS0_14default_configENS1_25partition_config_selectorILNS1_17partition_subalgoE9EllbEEZZNS1_14partition_implILS5_9ELb0ES3_jPlS8_PNS0_10empty_typeENS0_5tupleIJS8_S9_EEENSB_IJS8_SA_EEENS0_18inequality_wrapperIZN2at6native12_GLOBAL__N_124unique_dim_cuda_templateIsEESt5tupleIJNSF_6TensorESK_SK_EERKSK_lbbbEUlllE0_EEPmJS9_EEE10hipError_tPvRmT3_T4_T5_T6_T7_T9_mT8_P12ihipStream_tbDpT10_ENKUlT_T0_E_clISt17integral_constantIbLb1EES1A_EEDaS15_S16_EUlS15_E_NS1_11comp_targetILNS1_3genE3ELNS1_11target_archE908ELNS1_3gpuE7ELNS1_3repE0EEENS1_30default_config_static_selectorELNS0_4arch9wavefront6targetE1EEEvT1_,"axG",@progbits,_ZN7rocprim17ROCPRIM_400000_NS6detail17trampoline_kernelINS0_14default_configENS1_25partition_config_selectorILNS1_17partition_subalgoE9EllbEEZZNS1_14partition_implILS5_9ELb0ES3_jPlS8_PNS0_10empty_typeENS0_5tupleIJS8_S9_EEENSB_IJS8_SA_EEENS0_18inequality_wrapperIZN2at6native12_GLOBAL__N_124unique_dim_cuda_templateIsEESt5tupleIJNSF_6TensorESK_SK_EERKSK_lbbbEUlllE0_EEPmJS9_EEE10hipError_tPvRmT3_T4_T5_T6_T7_T9_mT8_P12ihipStream_tbDpT10_ENKUlT_T0_E_clISt17integral_constantIbLb1EES1A_EEDaS15_S16_EUlS15_E_NS1_11comp_targetILNS1_3genE3ELNS1_11target_archE908ELNS1_3gpuE7ELNS1_3repE0EEENS1_30default_config_static_selectorELNS0_4arch9wavefront6targetE1EEEvT1_,comdat
	.globl	_ZN7rocprim17ROCPRIM_400000_NS6detail17trampoline_kernelINS0_14default_configENS1_25partition_config_selectorILNS1_17partition_subalgoE9EllbEEZZNS1_14partition_implILS5_9ELb0ES3_jPlS8_PNS0_10empty_typeENS0_5tupleIJS8_S9_EEENSB_IJS8_SA_EEENS0_18inequality_wrapperIZN2at6native12_GLOBAL__N_124unique_dim_cuda_templateIsEESt5tupleIJNSF_6TensorESK_SK_EERKSK_lbbbEUlllE0_EEPmJS9_EEE10hipError_tPvRmT3_T4_T5_T6_T7_T9_mT8_P12ihipStream_tbDpT10_ENKUlT_T0_E_clISt17integral_constantIbLb1EES1A_EEDaS15_S16_EUlS15_E_NS1_11comp_targetILNS1_3genE3ELNS1_11target_archE908ELNS1_3gpuE7ELNS1_3repE0EEENS1_30default_config_static_selectorELNS0_4arch9wavefront6targetE1EEEvT1_ ; -- Begin function _ZN7rocprim17ROCPRIM_400000_NS6detail17trampoline_kernelINS0_14default_configENS1_25partition_config_selectorILNS1_17partition_subalgoE9EllbEEZZNS1_14partition_implILS5_9ELb0ES3_jPlS8_PNS0_10empty_typeENS0_5tupleIJS8_S9_EEENSB_IJS8_SA_EEENS0_18inequality_wrapperIZN2at6native12_GLOBAL__N_124unique_dim_cuda_templateIsEESt5tupleIJNSF_6TensorESK_SK_EERKSK_lbbbEUlllE0_EEPmJS9_EEE10hipError_tPvRmT3_T4_T5_T6_T7_T9_mT8_P12ihipStream_tbDpT10_ENKUlT_T0_E_clISt17integral_constantIbLb1EES1A_EEDaS15_S16_EUlS15_E_NS1_11comp_targetILNS1_3genE3ELNS1_11target_archE908ELNS1_3gpuE7ELNS1_3repE0EEENS1_30default_config_static_selectorELNS0_4arch9wavefront6targetE1EEEvT1_
	.p2align	8
	.type	_ZN7rocprim17ROCPRIM_400000_NS6detail17trampoline_kernelINS0_14default_configENS1_25partition_config_selectorILNS1_17partition_subalgoE9EllbEEZZNS1_14partition_implILS5_9ELb0ES3_jPlS8_PNS0_10empty_typeENS0_5tupleIJS8_S9_EEENSB_IJS8_SA_EEENS0_18inequality_wrapperIZN2at6native12_GLOBAL__N_124unique_dim_cuda_templateIsEESt5tupleIJNSF_6TensorESK_SK_EERKSK_lbbbEUlllE0_EEPmJS9_EEE10hipError_tPvRmT3_T4_T5_T6_T7_T9_mT8_P12ihipStream_tbDpT10_ENKUlT_T0_E_clISt17integral_constantIbLb1EES1A_EEDaS15_S16_EUlS15_E_NS1_11comp_targetILNS1_3genE3ELNS1_11target_archE908ELNS1_3gpuE7ELNS1_3repE0EEENS1_30default_config_static_selectorELNS0_4arch9wavefront6targetE1EEEvT1_,@function
_ZN7rocprim17ROCPRIM_400000_NS6detail17trampoline_kernelINS0_14default_configENS1_25partition_config_selectorILNS1_17partition_subalgoE9EllbEEZZNS1_14partition_implILS5_9ELb0ES3_jPlS8_PNS0_10empty_typeENS0_5tupleIJS8_S9_EEENSB_IJS8_SA_EEENS0_18inequality_wrapperIZN2at6native12_GLOBAL__N_124unique_dim_cuda_templateIsEESt5tupleIJNSF_6TensorESK_SK_EERKSK_lbbbEUlllE0_EEPmJS9_EEE10hipError_tPvRmT3_T4_T5_T6_T7_T9_mT8_P12ihipStream_tbDpT10_ENKUlT_T0_E_clISt17integral_constantIbLb1EES1A_EEDaS15_S16_EUlS15_E_NS1_11comp_targetILNS1_3genE3ELNS1_11target_archE908ELNS1_3gpuE7ELNS1_3repE0EEENS1_30default_config_static_selectorELNS0_4arch9wavefront6targetE1EEEvT1_: ; @_ZN7rocprim17ROCPRIM_400000_NS6detail17trampoline_kernelINS0_14default_configENS1_25partition_config_selectorILNS1_17partition_subalgoE9EllbEEZZNS1_14partition_implILS5_9ELb0ES3_jPlS8_PNS0_10empty_typeENS0_5tupleIJS8_S9_EEENSB_IJS8_SA_EEENS0_18inequality_wrapperIZN2at6native12_GLOBAL__N_124unique_dim_cuda_templateIsEESt5tupleIJNSF_6TensorESK_SK_EERKSK_lbbbEUlllE0_EEPmJS9_EEE10hipError_tPvRmT3_T4_T5_T6_T7_T9_mT8_P12ihipStream_tbDpT10_ENKUlT_T0_E_clISt17integral_constantIbLb1EES1A_EEDaS15_S16_EUlS15_E_NS1_11comp_targetILNS1_3genE3ELNS1_11target_archE908ELNS1_3gpuE7ELNS1_3repE0EEENS1_30default_config_static_selectorELNS0_4arch9wavefront6targetE1EEEvT1_
; %bb.0:
	.section	.rodata,"a",@progbits
	.p2align	6, 0x0
	.amdhsa_kernel _ZN7rocprim17ROCPRIM_400000_NS6detail17trampoline_kernelINS0_14default_configENS1_25partition_config_selectorILNS1_17partition_subalgoE9EllbEEZZNS1_14partition_implILS5_9ELb0ES3_jPlS8_PNS0_10empty_typeENS0_5tupleIJS8_S9_EEENSB_IJS8_SA_EEENS0_18inequality_wrapperIZN2at6native12_GLOBAL__N_124unique_dim_cuda_templateIsEESt5tupleIJNSF_6TensorESK_SK_EERKSK_lbbbEUlllE0_EEPmJS9_EEE10hipError_tPvRmT3_T4_T5_T6_T7_T9_mT8_P12ihipStream_tbDpT10_ENKUlT_T0_E_clISt17integral_constantIbLb1EES1A_EEDaS15_S16_EUlS15_E_NS1_11comp_targetILNS1_3genE3ELNS1_11target_archE908ELNS1_3gpuE7ELNS1_3repE0EEENS1_30default_config_static_selectorELNS0_4arch9wavefront6targetE1EEEvT1_
		.amdhsa_group_segment_fixed_size 0
		.amdhsa_private_segment_fixed_size 0
		.amdhsa_kernarg_size 136
		.amdhsa_user_sgpr_count 6
		.amdhsa_user_sgpr_private_segment_buffer 1
		.amdhsa_user_sgpr_dispatch_ptr 0
		.amdhsa_user_sgpr_queue_ptr 0
		.amdhsa_user_sgpr_kernarg_segment_ptr 1
		.amdhsa_user_sgpr_dispatch_id 0
		.amdhsa_user_sgpr_flat_scratch_init 0
		.amdhsa_user_sgpr_kernarg_preload_length 0
		.amdhsa_user_sgpr_kernarg_preload_offset 0
		.amdhsa_user_sgpr_private_segment_size 0
		.amdhsa_uses_dynamic_stack 0
		.amdhsa_system_sgpr_private_segment_wavefront_offset 0
		.amdhsa_system_sgpr_workgroup_id_x 1
		.amdhsa_system_sgpr_workgroup_id_y 0
		.amdhsa_system_sgpr_workgroup_id_z 0
		.amdhsa_system_sgpr_workgroup_info 0
		.amdhsa_system_vgpr_workitem_id 0
		.amdhsa_next_free_vgpr 1
		.amdhsa_next_free_sgpr 0
		.amdhsa_accum_offset 4
		.amdhsa_reserve_vcc 0
		.amdhsa_reserve_flat_scratch 0
		.amdhsa_float_round_mode_32 0
		.amdhsa_float_round_mode_16_64 0
		.amdhsa_float_denorm_mode_32 3
		.amdhsa_float_denorm_mode_16_64 3
		.amdhsa_dx10_clamp 1
		.amdhsa_ieee_mode 1
		.amdhsa_fp16_overflow 0
		.amdhsa_tg_split 0
		.amdhsa_exception_fp_ieee_invalid_op 0
		.amdhsa_exception_fp_denorm_src 0
		.amdhsa_exception_fp_ieee_div_zero 0
		.amdhsa_exception_fp_ieee_overflow 0
		.amdhsa_exception_fp_ieee_underflow 0
		.amdhsa_exception_fp_ieee_inexact 0
		.amdhsa_exception_int_div_zero 0
	.end_amdhsa_kernel
	.section	.text._ZN7rocprim17ROCPRIM_400000_NS6detail17trampoline_kernelINS0_14default_configENS1_25partition_config_selectorILNS1_17partition_subalgoE9EllbEEZZNS1_14partition_implILS5_9ELb0ES3_jPlS8_PNS0_10empty_typeENS0_5tupleIJS8_S9_EEENSB_IJS8_SA_EEENS0_18inequality_wrapperIZN2at6native12_GLOBAL__N_124unique_dim_cuda_templateIsEESt5tupleIJNSF_6TensorESK_SK_EERKSK_lbbbEUlllE0_EEPmJS9_EEE10hipError_tPvRmT3_T4_T5_T6_T7_T9_mT8_P12ihipStream_tbDpT10_ENKUlT_T0_E_clISt17integral_constantIbLb1EES1A_EEDaS15_S16_EUlS15_E_NS1_11comp_targetILNS1_3genE3ELNS1_11target_archE908ELNS1_3gpuE7ELNS1_3repE0EEENS1_30default_config_static_selectorELNS0_4arch9wavefront6targetE1EEEvT1_,"axG",@progbits,_ZN7rocprim17ROCPRIM_400000_NS6detail17trampoline_kernelINS0_14default_configENS1_25partition_config_selectorILNS1_17partition_subalgoE9EllbEEZZNS1_14partition_implILS5_9ELb0ES3_jPlS8_PNS0_10empty_typeENS0_5tupleIJS8_S9_EEENSB_IJS8_SA_EEENS0_18inequality_wrapperIZN2at6native12_GLOBAL__N_124unique_dim_cuda_templateIsEESt5tupleIJNSF_6TensorESK_SK_EERKSK_lbbbEUlllE0_EEPmJS9_EEE10hipError_tPvRmT3_T4_T5_T6_T7_T9_mT8_P12ihipStream_tbDpT10_ENKUlT_T0_E_clISt17integral_constantIbLb1EES1A_EEDaS15_S16_EUlS15_E_NS1_11comp_targetILNS1_3genE3ELNS1_11target_archE908ELNS1_3gpuE7ELNS1_3repE0EEENS1_30default_config_static_selectorELNS0_4arch9wavefront6targetE1EEEvT1_,comdat
.Lfunc_end728:
	.size	_ZN7rocprim17ROCPRIM_400000_NS6detail17trampoline_kernelINS0_14default_configENS1_25partition_config_selectorILNS1_17partition_subalgoE9EllbEEZZNS1_14partition_implILS5_9ELb0ES3_jPlS8_PNS0_10empty_typeENS0_5tupleIJS8_S9_EEENSB_IJS8_SA_EEENS0_18inequality_wrapperIZN2at6native12_GLOBAL__N_124unique_dim_cuda_templateIsEESt5tupleIJNSF_6TensorESK_SK_EERKSK_lbbbEUlllE0_EEPmJS9_EEE10hipError_tPvRmT3_T4_T5_T6_T7_T9_mT8_P12ihipStream_tbDpT10_ENKUlT_T0_E_clISt17integral_constantIbLb1EES1A_EEDaS15_S16_EUlS15_E_NS1_11comp_targetILNS1_3genE3ELNS1_11target_archE908ELNS1_3gpuE7ELNS1_3repE0EEENS1_30default_config_static_selectorELNS0_4arch9wavefront6targetE1EEEvT1_, .Lfunc_end728-_ZN7rocprim17ROCPRIM_400000_NS6detail17trampoline_kernelINS0_14default_configENS1_25partition_config_selectorILNS1_17partition_subalgoE9EllbEEZZNS1_14partition_implILS5_9ELb0ES3_jPlS8_PNS0_10empty_typeENS0_5tupleIJS8_S9_EEENSB_IJS8_SA_EEENS0_18inequality_wrapperIZN2at6native12_GLOBAL__N_124unique_dim_cuda_templateIsEESt5tupleIJNSF_6TensorESK_SK_EERKSK_lbbbEUlllE0_EEPmJS9_EEE10hipError_tPvRmT3_T4_T5_T6_T7_T9_mT8_P12ihipStream_tbDpT10_ENKUlT_T0_E_clISt17integral_constantIbLb1EES1A_EEDaS15_S16_EUlS15_E_NS1_11comp_targetILNS1_3genE3ELNS1_11target_archE908ELNS1_3gpuE7ELNS1_3repE0EEENS1_30default_config_static_selectorELNS0_4arch9wavefront6targetE1EEEvT1_
                                        ; -- End function
	.section	.AMDGPU.csdata,"",@progbits
; Kernel info:
; codeLenInByte = 0
; NumSgprs: 4
; NumVgprs: 0
; NumAgprs: 0
; TotalNumVgprs: 0
; ScratchSize: 0
; MemoryBound: 0
; FloatMode: 240
; IeeeMode: 1
; LDSByteSize: 0 bytes/workgroup (compile time only)
; SGPRBlocks: 0
; VGPRBlocks: 0
; NumSGPRsForWavesPerEU: 4
; NumVGPRsForWavesPerEU: 1
; AccumOffset: 4
; Occupancy: 8
; WaveLimiterHint : 0
; COMPUTE_PGM_RSRC2:SCRATCH_EN: 0
; COMPUTE_PGM_RSRC2:USER_SGPR: 6
; COMPUTE_PGM_RSRC2:TRAP_HANDLER: 0
; COMPUTE_PGM_RSRC2:TGID_X_EN: 1
; COMPUTE_PGM_RSRC2:TGID_Y_EN: 0
; COMPUTE_PGM_RSRC2:TGID_Z_EN: 0
; COMPUTE_PGM_RSRC2:TIDIG_COMP_CNT: 0
; COMPUTE_PGM_RSRC3_GFX90A:ACCUM_OFFSET: 0
; COMPUTE_PGM_RSRC3_GFX90A:TG_SPLIT: 0
	.section	.text._ZN7rocprim17ROCPRIM_400000_NS6detail17trampoline_kernelINS0_14default_configENS1_25partition_config_selectorILNS1_17partition_subalgoE9EllbEEZZNS1_14partition_implILS5_9ELb0ES3_jPlS8_PNS0_10empty_typeENS0_5tupleIJS8_S9_EEENSB_IJS8_SA_EEENS0_18inequality_wrapperIZN2at6native12_GLOBAL__N_124unique_dim_cuda_templateIsEESt5tupleIJNSF_6TensorESK_SK_EERKSK_lbbbEUlllE0_EEPmJS9_EEE10hipError_tPvRmT3_T4_T5_T6_T7_T9_mT8_P12ihipStream_tbDpT10_ENKUlT_T0_E_clISt17integral_constantIbLb1EES1A_EEDaS15_S16_EUlS15_E_NS1_11comp_targetILNS1_3genE2ELNS1_11target_archE906ELNS1_3gpuE6ELNS1_3repE0EEENS1_30default_config_static_selectorELNS0_4arch9wavefront6targetE1EEEvT1_,"axG",@progbits,_ZN7rocprim17ROCPRIM_400000_NS6detail17trampoline_kernelINS0_14default_configENS1_25partition_config_selectorILNS1_17partition_subalgoE9EllbEEZZNS1_14partition_implILS5_9ELb0ES3_jPlS8_PNS0_10empty_typeENS0_5tupleIJS8_S9_EEENSB_IJS8_SA_EEENS0_18inequality_wrapperIZN2at6native12_GLOBAL__N_124unique_dim_cuda_templateIsEESt5tupleIJNSF_6TensorESK_SK_EERKSK_lbbbEUlllE0_EEPmJS9_EEE10hipError_tPvRmT3_T4_T5_T6_T7_T9_mT8_P12ihipStream_tbDpT10_ENKUlT_T0_E_clISt17integral_constantIbLb1EES1A_EEDaS15_S16_EUlS15_E_NS1_11comp_targetILNS1_3genE2ELNS1_11target_archE906ELNS1_3gpuE6ELNS1_3repE0EEENS1_30default_config_static_selectorELNS0_4arch9wavefront6targetE1EEEvT1_,comdat
	.globl	_ZN7rocprim17ROCPRIM_400000_NS6detail17trampoline_kernelINS0_14default_configENS1_25partition_config_selectorILNS1_17partition_subalgoE9EllbEEZZNS1_14partition_implILS5_9ELb0ES3_jPlS8_PNS0_10empty_typeENS0_5tupleIJS8_S9_EEENSB_IJS8_SA_EEENS0_18inequality_wrapperIZN2at6native12_GLOBAL__N_124unique_dim_cuda_templateIsEESt5tupleIJNSF_6TensorESK_SK_EERKSK_lbbbEUlllE0_EEPmJS9_EEE10hipError_tPvRmT3_T4_T5_T6_T7_T9_mT8_P12ihipStream_tbDpT10_ENKUlT_T0_E_clISt17integral_constantIbLb1EES1A_EEDaS15_S16_EUlS15_E_NS1_11comp_targetILNS1_3genE2ELNS1_11target_archE906ELNS1_3gpuE6ELNS1_3repE0EEENS1_30default_config_static_selectorELNS0_4arch9wavefront6targetE1EEEvT1_ ; -- Begin function _ZN7rocprim17ROCPRIM_400000_NS6detail17trampoline_kernelINS0_14default_configENS1_25partition_config_selectorILNS1_17partition_subalgoE9EllbEEZZNS1_14partition_implILS5_9ELb0ES3_jPlS8_PNS0_10empty_typeENS0_5tupleIJS8_S9_EEENSB_IJS8_SA_EEENS0_18inequality_wrapperIZN2at6native12_GLOBAL__N_124unique_dim_cuda_templateIsEESt5tupleIJNSF_6TensorESK_SK_EERKSK_lbbbEUlllE0_EEPmJS9_EEE10hipError_tPvRmT3_T4_T5_T6_T7_T9_mT8_P12ihipStream_tbDpT10_ENKUlT_T0_E_clISt17integral_constantIbLb1EES1A_EEDaS15_S16_EUlS15_E_NS1_11comp_targetILNS1_3genE2ELNS1_11target_archE906ELNS1_3gpuE6ELNS1_3repE0EEENS1_30default_config_static_selectorELNS0_4arch9wavefront6targetE1EEEvT1_
	.p2align	8
	.type	_ZN7rocprim17ROCPRIM_400000_NS6detail17trampoline_kernelINS0_14default_configENS1_25partition_config_selectorILNS1_17partition_subalgoE9EllbEEZZNS1_14partition_implILS5_9ELb0ES3_jPlS8_PNS0_10empty_typeENS0_5tupleIJS8_S9_EEENSB_IJS8_SA_EEENS0_18inequality_wrapperIZN2at6native12_GLOBAL__N_124unique_dim_cuda_templateIsEESt5tupleIJNSF_6TensorESK_SK_EERKSK_lbbbEUlllE0_EEPmJS9_EEE10hipError_tPvRmT3_T4_T5_T6_T7_T9_mT8_P12ihipStream_tbDpT10_ENKUlT_T0_E_clISt17integral_constantIbLb1EES1A_EEDaS15_S16_EUlS15_E_NS1_11comp_targetILNS1_3genE2ELNS1_11target_archE906ELNS1_3gpuE6ELNS1_3repE0EEENS1_30default_config_static_selectorELNS0_4arch9wavefront6targetE1EEEvT1_,@function
_ZN7rocprim17ROCPRIM_400000_NS6detail17trampoline_kernelINS0_14default_configENS1_25partition_config_selectorILNS1_17partition_subalgoE9EllbEEZZNS1_14partition_implILS5_9ELb0ES3_jPlS8_PNS0_10empty_typeENS0_5tupleIJS8_S9_EEENSB_IJS8_SA_EEENS0_18inequality_wrapperIZN2at6native12_GLOBAL__N_124unique_dim_cuda_templateIsEESt5tupleIJNSF_6TensorESK_SK_EERKSK_lbbbEUlllE0_EEPmJS9_EEE10hipError_tPvRmT3_T4_T5_T6_T7_T9_mT8_P12ihipStream_tbDpT10_ENKUlT_T0_E_clISt17integral_constantIbLb1EES1A_EEDaS15_S16_EUlS15_E_NS1_11comp_targetILNS1_3genE2ELNS1_11target_archE906ELNS1_3gpuE6ELNS1_3repE0EEENS1_30default_config_static_selectorELNS0_4arch9wavefront6targetE1EEEvT1_: ; @_ZN7rocprim17ROCPRIM_400000_NS6detail17trampoline_kernelINS0_14default_configENS1_25partition_config_selectorILNS1_17partition_subalgoE9EllbEEZZNS1_14partition_implILS5_9ELb0ES3_jPlS8_PNS0_10empty_typeENS0_5tupleIJS8_S9_EEENSB_IJS8_SA_EEENS0_18inequality_wrapperIZN2at6native12_GLOBAL__N_124unique_dim_cuda_templateIsEESt5tupleIJNSF_6TensorESK_SK_EERKSK_lbbbEUlllE0_EEPmJS9_EEE10hipError_tPvRmT3_T4_T5_T6_T7_T9_mT8_P12ihipStream_tbDpT10_ENKUlT_T0_E_clISt17integral_constantIbLb1EES1A_EEDaS15_S16_EUlS15_E_NS1_11comp_targetILNS1_3genE2ELNS1_11target_archE906ELNS1_3gpuE6ELNS1_3repE0EEENS1_30default_config_static_selectorELNS0_4arch9wavefront6targetE1EEEvT1_
; %bb.0:
	.section	.rodata,"a",@progbits
	.p2align	6, 0x0
	.amdhsa_kernel _ZN7rocprim17ROCPRIM_400000_NS6detail17trampoline_kernelINS0_14default_configENS1_25partition_config_selectorILNS1_17partition_subalgoE9EllbEEZZNS1_14partition_implILS5_9ELb0ES3_jPlS8_PNS0_10empty_typeENS0_5tupleIJS8_S9_EEENSB_IJS8_SA_EEENS0_18inequality_wrapperIZN2at6native12_GLOBAL__N_124unique_dim_cuda_templateIsEESt5tupleIJNSF_6TensorESK_SK_EERKSK_lbbbEUlllE0_EEPmJS9_EEE10hipError_tPvRmT3_T4_T5_T6_T7_T9_mT8_P12ihipStream_tbDpT10_ENKUlT_T0_E_clISt17integral_constantIbLb1EES1A_EEDaS15_S16_EUlS15_E_NS1_11comp_targetILNS1_3genE2ELNS1_11target_archE906ELNS1_3gpuE6ELNS1_3repE0EEENS1_30default_config_static_selectorELNS0_4arch9wavefront6targetE1EEEvT1_
		.amdhsa_group_segment_fixed_size 0
		.amdhsa_private_segment_fixed_size 0
		.amdhsa_kernarg_size 136
		.amdhsa_user_sgpr_count 6
		.amdhsa_user_sgpr_private_segment_buffer 1
		.amdhsa_user_sgpr_dispatch_ptr 0
		.amdhsa_user_sgpr_queue_ptr 0
		.amdhsa_user_sgpr_kernarg_segment_ptr 1
		.amdhsa_user_sgpr_dispatch_id 0
		.amdhsa_user_sgpr_flat_scratch_init 0
		.amdhsa_user_sgpr_kernarg_preload_length 0
		.amdhsa_user_sgpr_kernarg_preload_offset 0
		.amdhsa_user_sgpr_private_segment_size 0
		.amdhsa_uses_dynamic_stack 0
		.amdhsa_system_sgpr_private_segment_wavefront_offset 0
		.amdhsa_system_sgpr_workgroup_id_x 1
		.amdhsa_system_sgpr_workgroup_id_y 0
		.amdhsa_system_sgpr_workgroup_id_z 0
		.amdhsa_system_sgpr_workgroup_info 0
		.amdhsa_system_vgpr_workitem_id 0
		.amdhsa_next_free_vgpr 1
		.amdhsa_next_free_sgpr 0
		.amdhsa_accum_offset 4
		.amdhsa_reserve_vcc 0
		.amdhsa_reserve_flat_scratch 0
		.amdhsa_float_round_mode_32 0
		.amdhsa_float_round_mode_16_64 0
		.amdhsa_float_denorm_mode_32 3
		.amdhsa_float_denorm_mode_16_64 3
		.amdhsa_dx10_clamp 1
		.amdhsa_ieee_mode 1
		.amdhsa_fp16_overflow 0
		.amdhsa_tg_split 0
		.amdhsa_exception_fp_ieee_invalid_op 0
		.amdhsa_exception_fp_denorm_src 0
		.amdhsa_exception_fp_ieee_div_zero 0
		.amdhsa_exception_fp_ieee_overflow 0
		.amdhsa_exception_fp_ieee_underflow 0
		.amdhsa_exception_fp_ieee_inexact 0
		.amdhsa_exception_int_div_zero 0
	.end_amdhsa_kernel
	.section	.text._ZN7rocprim17ROCPRIM_400000_NS6detail17trampoline_kernelINS0_14default_configENS1_25partition_config_selectorILNS1_17partition_subalgoE9EllbEEZZNS1_14partition_implILS5_9ELb0ES3_jPlS8_PNS0_10empty_typeENS0_5tupleIJS8_S9_EEENSB_IJS8_SA_EEENS0_18inequality_wrapperIZN2at6native12_GLOBAL__N_124unique_dim_cuda_templateIsEESt5tupleIJNSF_6TensorESK_SK_EERKSK_lbbbEUlllE0_EEPmJS9_EEE10hipError_tPvRmT3_T4_T5_T6_T7_T9_mT8_P12ihipStream_tbDpT10_ENKUlT_T0_E_clISt17integral_constantIbLb1EES1A_EEDaS15_S16_EUlS15_E_NS1_11comp_targetILNS1_3genE2ELNS1_11target_archE906ELNS1_3gpuE6ELNS1_3repE0EEENS1_30default_config_static_selectorELNS0_4arch9wavefront6targetE1EEEvT1_,"axG",@progbits,_ZN7rocprim17ROCPRIM_400000_NS6detail17trampoline_kernelINS0_14default_configENS1_25partition_config_selectorILNS1_17partition_subalgoE9EllbEEZZNS1_14partition_implILS5_9ELb0ES3_jPlS8_PNS0_10empty_typeENS0_5tupleIJS8_S9_EEENSB_IJS8_SA_EEENS0_18inequality_wrapperIZN2at6native12_GLOBAL__N_124unique_dim_cuda_templateIsEESt5tupleIJNSF_6TensorESK_SK_EERKSK_lbbbEUlllE0_EEPmJS9_EEE10hipError_tPvRmT3_T4_T5_T6_T7_T9_mT8_P12ihipStream_tbDpT10_ENKUlT_T0_E_clISt17integral_constantIbLb1EES1A_EEDaS15_S16_EUlS15_E_NS1_11comp_targetILNS1_3genE2ELNS1_11target_archE906ELNS1_3gpuE6ELNS1_3repE0EEENS1_30default_config_static_selectorELNS0_4arch9wavefront6targetE1EEEvT1_,comdat
.Lfunc_end729:
	.size	_ZN7rocprim17ROCPRIM_400000_NS6detail17trampoline_kernelINS0_14default_configENS1_25partition_config_selectorILNS1_17partition_subalgoE9EllbEEZZNS1_14partition_implILS5_9ELb0ES3_jPlS8_PNS0_10empty_typeENS0_5tupleIJS8_S9_EEENSB_IJS8_SA_EEENS0_18inequality_wrapperIZN2at6native12_GLOBAL__N_124unique_dim_cuda_templateIsEESt5tupleIJNSF_6TensorESK_SK_EERKSK_lbbbEUlllE0_EEPmJS9_EEE10hipError_tPvRmT3_T4_T5_T6_T7_T9_mT8_P12ihipStream_tbDpT10_ENKUlT_T0_E_clISt17integral_constantIbLb1EES1A_EEDaS15_S16_EUlS15_E_NS1_11comp_targetILNS1_3genE2ELNS1_11target_archE906ELNS1_3gpuE6ELNS1_3repE0EEENS1_30default_config_static_selectorELNS0_4arch9wavefront6targetE1EEEvT1_, .Lfunc_end729-_ZN7rocprim17ROCPRIM_400000_NS6detail17trampoline_kernelINS0_14default_configENS1_25partition_config_selectorILNS1_17partition_subalgoE9EllbEEZZNS1_14partition_implILS5_9ELb0ES3_jPlS8_PNS0_10empty_typeENS0_5tupleIJS8_S9_EEENSB_IJS8_SA_EEENS0_18inequality_wrapperIZN2at6native12_GLOBAL__N_124unique_dim_cuda_templateIsEESt5tupleIJNSF_6TensorESK_SK_EERKSK_lbbbEUlllE0_EEPmJS9_EEE10hipError_tPvRmT3_T4_T5_T6_T7_T9_mT8_P12ihipStream_tbDpT10_ENKUlT_T0_E_clISt17integral_constantIbLb1EES1A_EEDaS15_S16_EUlS15_E_NS1_11comp_targetILNS1_3genE2ELNS1_11target_archE906ELNS1_3gpuE6ELNS1_3repE0EEENS1_30default_config_static_selectorELNS0_4arch9wavefront6targetE1EEEvT1_
                                        ; -- End function
	.section	.AMDGPU.csdata,"",@progbits
; Kernel info:
; codeLenInByte = 0
; NumSgprs: 4
; NumVgprs: 0
; NumAgprs: 0
; TotalNumVgprs: 0
; ScratchSize: 0
; MemoryBound: 0
; FloatMode: 240
; IeeeMode: 1
; LDSByteSize: 0 bytes/workgroup (compile time only)
; SGPRBlocks: 0
; VGPRBlocks: 0
; NumSGPRsForWavesPerEU: 4
; NumVGPRsForWavesPerEU: 1
; AccumOffset: 4
; Occupancy: 8
; WaveLimiterHint : 0
; COMPUTE_PGM_RSRC2:SCRATCH_EN: 0
; COMPUTE_PGM_RSRC2:USER_SGPR: 6
; COMPUTE_PGM_RSRC2:TRAP_HANDLER: 0
; COMPUTE_PGM_RSRC2:TGID_X_EN: 1
; COMPUTE_PGM_RSRC2:TGID_Y_EN: 0
; COMPUTE_PGM_RSRC2:TGID_Z_EN: 0
; COMPUTE_PGM_RSRC2:TIDIG_COMP_CNT: 0
; COMPUTE_PGM_RSRC3_GFX90A:ACCUM_OFFSET: 0
; COMPUTE_PGM_RSRC3_GFX90A:TG_SPLIT: 0
	.section	.text._ZN7rocprim17ROCPRIM_400000_NS6detail17trampoline_kernelINS0_14default_configENS1_25partition_config_selectorILNS1_17partition_subalgoE9EllbEEZZNS1_14partition_implILS5_9ELb0ES3_jPlS8_PNS0_10empty_typeENS0_5tupleIJS8_S9_EEENSB_IJS8_SA_EEENS0_18inequality_wrapperIZN2at6native12_GLOBAL__N_124unique_dim_cuda_templateIsEESt5tupleIJNSF_6TensorESK_SK_EERKSK_lbbbEUlllE0_EEPmJS9_EEE10hipError_tPvRmT3_T4_T5_T6_T7_T9_mT8_P12ihipStream_tbDpT10_ENKUlT_T0_E_clISt17integral_constantIbLb1EES1A_EEDaS15_S16_EUlS15_E_NS1_11comp_targetILNS1_3genE10ELNS1_11target_archE1200ELNS1_3gpuE4ELNS1_3repE0EEENS1_30default_config_static_selectorELNS0_4arch9wavefront6targetE1EEEvT1_,"axG",@progbits,_ZN7rocprim17ROCPRIM_400000_NS6detail17trampoline_kernelINS0_14default_configENS1_25partition_config_selectorILNS1_17partition_subalgoE9EllbEEZZNS1_14partition_implILS5_9ELb0ES3_jPlS8_PNS0_10empty_typeENS0_5tupleIJS8_S9_EEENSB_IJS8_SA_EEENS0_18inequality_wrapperIZN2at6native12_GLOBAL__N_124unique_dim_cuda_templateIsEESt5tupleIJNSF_6TensorESK_SK_EERKSK_lbbbEUlllE0_EEPmJS9_EEE10hipError_tPvRmT3_T4_T5_T6_T7_T9_mT8_P12ihipStream_tbDpT10_ENKUlT_T0_E_clISt17integral_constantIbLb1EES1A_EEDaS15_S16_EUlS15_E_NS1_11comp_targetILNS1_3genE10ELNS1_11target_archE1200ELNS1_3gpuE4ELNS1_3repE0EEENS1_30default_config_static_selectorELNS0_4arch9wavefront6targetE1EEEvT1_,comdat
	.globl	_ZN7rocprim17ROCPRIM_400000_NS6detail17trampoline_kernelINS0_14default_configENS1_25partition_config_selectorILNS1_17partition_subalgoE9EllbEEZZNS1_14partition_implILS5_9ELb0ES3_jPlS8_PNS0_10empty_typeENS0_5tupleIJS8_S9_EEENSB_IJS8_SA_EEENS0_18inequality_wrapperIZN2at6native12_GLOBAL__N_124unique_dim_cuda_templateIsEESt5tupleIJNSF_6TensorESK_SK_EERKSK_lbbbEUlllE0_EEPmJS9_EEE10hipError_tPvRmT3_T4_T5_T6_T7_T9_mT8_P12ihipStream_tbDpT10_ENKUlT_T0_E_clISt17integral_constantIbLb1EES1A_EEDaS15_S16_EUlS15_E_NS1_11comp_targetILNS1_3genE10ELNS1_11target_archE1200ELNS1_3gpuE4ELNS1_3repE0EEENS1_30default_config_static_selectorELNS0_4arch9wavefront6targetE1EEEvT1_ ; -- Begin function _ZN7rocprim17ROCPRIM_400000_NS6detail17trampoline_kernelINS0_14default_configENS1_25partition_config_selectorILNS1_17partition_subalgoE9EllbEEZZNS1_14partition_implILS5_9ELb0ES3_jPlS8_PNS0_10empty_typeENS0_5tupleIJS8_S9_EEENSB_IJS8_SA_EEENS0_18inequality_wrapperIZN2at6native12_GLOBAL__N_124unique_dim_cuda_templateIsEESt5tupleIJNSF_6TensorESK_SK_EERKSK_lbbbEUlllE0_EEPmJS9_EEE10hipError_tPvRmT3_T4_T5_T6_T7_T9_mT8_P12ihipStream_tbDpT10_ENKUlT_T0_E_clISt17integral_constantIbLb1EES1A_EEDaS15_S16_EUlS15_E_NS1_11comp_targetILNS1_3genE10ELNS1_11target_archE1200ELNS1_3gpuE4ELNS1_3repE0EEENS1_30default_config_static_selectorELNS0_4arch9wavefront6targetE1EEEvT1_
	.p2align	8
	.type	_ZN7rocprim17ROCPRIM_400000_NS6detail17trampoline_kernelINS0_14default_configENS1_25partition_config_selectorILNS1_17partition_subalgoE9EllbEEZZNS1_14partition_implILS5_9ELb0ES3_jPlS8_PNS0_10empty_typeENS0_5tupleIJS8_S9_EEENSB_IJS8_SA_EEENS0_18inequality_wrapperIZN2at6native12_GLOBAL__N_124unique_dim_cuda_templateIsEESt5tupleIJNSF_6TensorESK_SK_EERKSK_lbbbEUlllE0_EEPmJS9_EEE10hipError_tPvRmT3_T4_T5_T6_T7_T9_mT8_P12ihipStream_tbDpT10_ENKUlT_T0_E_clISt17integral_constantIbLb1EES1A_EEDaS15_S16_EUlS15_E_NS1_11comp_targetILNS1_3genE10ELNS1_11target_archE1200ELNS1_3gpuE4ELNS1_3repE0EEENS1_30default_config_static_selectorELNS0_4arch9wavefront6targetE1EEEvT1_,@function
_ZN7rocprim17ROCPRIM_400000_NS6detail17trampoline_kernelINS0_14default_configENS1_25partition_config_selectorILNS1_17partition_subalgoE9EllbEEZZNS1_14partition_implILS5_9ELb0ES3_jPlS8_PNS0_10empty_typeENS0_5tupleIJS8_S9_EEENSB_IJS8_SA_EEENS0_18inequality_wrapperIZN2at6native12_GLOBAL__N_124unique_dim_cuda_templateIsEESt5tupleIJNSF_6TensorESK_SK_EERKSK_lbbbEUlllE0_EEPmJS9_EEE10hipError_tPvRmT3_T4_T5_T6_T7_T9_mT8_P12ihipStream_tbDpT10_ENKUlT_T0_E_clISt17integral_constantIbLb1EES1A_EEDaS15_S16_EUlS15_E_NS1_11comp_targetILNS1_3genE10ELNS1_11target_archE1200ELNS1_3gpuE4ELNS1_3repE0EEENS1_30default_config_static_selectorELNS0_4arch9wavefront6targetE1EEEvT1_: ; @_ZN7rocprim17ROCPRIM_400000_NS6detail17trampoline_kernelINS0_14default_configENS1_25partition_config_selectorILNS1_17partition_subalgoE9EllbEEZZNS1_14partition_implILS5_9ELb0ES3_jPlS8_PNS0_10empty_typeENS0_5tupleIJS8_S9_EEENSB_IJS8_SA_EEENS0_18inequality_wrapperIZN2at6native12_GLOBAL__N_124unique_dim_cuda_templateIsEESt5tupleIJNSF_6TensorESK_SK_EERKSK_lbbbEUlllE0_EEPmJS9_EEE10hipError_tPvRmT3_T4_T5_T6_T7_T9_mT8_P12ihipStream_tbDpT10_ENKUlT_T0_E_clISt17integral_constantIbLb1EES1A_EEDaS15_S16_EUlS15_E_NS1_11comp_targetILNS1_3genE10ELNS1_11target_archE1200ELNS1_3gpuE4ELNS1_3repE0EEENS1_30default_config_static_selectorELNS0_4arch9wavefront6targetE1EEEvT1_
; %bb.0:
	.section	.rodata,"a",@progbits
	.p2align	6, 0x0
	.amdhsa_kernel _ZN7rocprim17ROCPRIM_400000_NS6detail17trampoline_kernelINS0_14default_configENS1_25partition_config_selectorILNS1_17partition_subalgoE9EllbEEZZNS1_14partition_implILS5_9ELb0ES3_jPlS8_PNS0_10empty_typeENS0_5tupleIJS8_S9_EEENSB_IJS8_SA_EEENS0_18inequality_wrapperIZN2at6native12_GLOBAL__N_124unique_dim_cuda_templateIsEESt5tupleIJNSF_6TensorESK_SK_EERKSK_lbbbEUlllE0_EEPmJS9_EEE10hipError_tPvRmT3_T4_T5_T6_T7_T9_mT8_P12ihipStream_tbDpT10_ENKUlT_T0_E_clISt17integral_constantIbLb1EES1A_EEDaS15_S16_EUlS15_E_NS1_11comp_targetILNS1_3genE10ELNS1_11target_archE1200ELNS1_3gpuE4ELNS1_3repE0EEENS1_30default_config_static_selectorELNS0_4arch9wavefront6targetE1EEEvT1_
		.amdhsa_group_segment_fixed_size 0
		.amdhsa_private_segment_fixed_size 0
		.amdhsa_kernarg_size 136
		.amdhsa_user_sgpr_count 6
		.amdhsa_user_sgpr_private_segment_buffer 1
		.amdhsa_user_sgpr_dispatch_ptr 0
		.amdhsa_user_sgpr_queue_ptr 0
		.amdhsa_user_sgpr_kernarg_segment_ptr 1
		.amdhsa_user_sgpr_dispatch_id 0
		.amdhsa_user_sgpr_flat_scratch_init 0
		.amdhsa_user_sgpr_kernarg_preload_length 0
		.amdhsa_user_sgpr_kernarg_preload_offset 0
		.amdhsa_user_sgpr_private_segment_size 0
		.amdhsa_uses_dynamic_stack 0
		.amdhsa_system_sgpr_private_segment_wavefront_offset 0
		.amdhsa_system_sgpr_workgroup_id_x 1
		.amdhsa_system_sgpr_workgroup_id_y 0
		.amdhsa_system_sgpr_workgroup_id_z 0
		.amdhsa_system_sgpr_workgroup_info 0
		.amdhsa_system_vgpr_workitem_id 0
		.amdhsa_next_free_vgpr 1
		.amdhsa_next_free_sgpr 0
		.amdhsa_accum_offset 4
		.amdhsa_reserve_vcc 0
		.amdhsa_reserve_flat_scratch 0
		.amdhsa_float_round_mode_32 0
		.amdhsa_float_round_mode_16_64 0
		.amdhsa_float_denorm_mode_32 3
		.amdhsa_float_denorm_mode_16_64 3
		.amdhsa_dx10_clamp 1
		.amdhsa_ieee_mode 1
		.amdhsa_fp16_overflow 0
		.amdhsa_tg_split 0
		.amdhsa_exception_fp_ieee_invalid_op 0
		.amdhsa_exception_fp_denorm_src 0
		.amdhsa_exception_fp_ieee_div_zero 0
		.amdhsa_exception_fp_ieee_overflow 0
		.amdhsa_exception_fp_ieee_underflow 0
		.amdhsa_exception_fp_ieee_inexact 0
		.amdhsa_exception_int_div_zero 0
	.end_amdhsa_kernel
	.section	.text._ZN7rocprim17ROCPRIM_400000_NS6detail17trampoline_kernelINS0_14default_configENS1_25partition_config_selectorILNS1_17partition_subalgoE9EllbEEZZNS1_14partition_implILS5_9ELb0ES3_jPlS8_PNS0_10empty_typeENS0_5tupleIJS8_S9_EEENSB_IJS8_SA_EEENS0_18inequality_wrapperIZN2at6native12_GLOBAL__N_124unique_dim_cuda_templateIsEESt5tupleIJNSF_6TensorESK_SK_EERKSK_lbbbEUlllE0_EEPmJS9_EEE10hipError_tPvRmT3_T4_T5_T6_T7_T9_mT8_P12ihipStream_tbDpT10_ENKUlT_T0_E_clISt17integral_constantIbLb1EES1A_EEDaS15_S16_EUlS15_E_NS1_11comp_targetILNS1_3genE10ELNS1_11target_archE1200ELNS1_3gpuE4ELNS1_3repE0EEENS1_30default_config_static_selectorELNS0_4arch9wavefront6targetE1EEEvT1_,"axG",@progbits,_ZN7rocprim17ROCPRIM_400000_NS6detail17trampoline_kernelINS0_14default_configENS1_25partition_config_selectorILNS1_17partition_subalgoE9EllbEEZZNS1_14partition_implILS5_9ELb0ES3_jPlS8_PNS0_10empty_typeENS0_5tupleIJS8_S9_EEENSB_IJS8_SA_EEENS0_18inequality_wrapperIZN2at6native12_GLOBAL__N_124unique_dim_cuda_templateIsEESt5tupleIJNSF_6TensorESK_SK_EERKSK_lbbbEUlllE0_EEPmJS9_EEE10hipError_tPvRmT3_T4_T5_T6_T7_T9_mT8_P12ihipStream_tbDpT10_ENKUlT_T0_E_clISt17integral_constantIbLb1EES1A_EEDaS15_S16_EUlS15_E_NS1_11comp_targetILNS1_3genE10ELNS1_11target_archE1200ELNS1_3gpuE4ELNS1_3repE0EEENS1_30default_config_static_selectorELNS0_4arch9wavefront6targetE1EEEvT1_,comdat
.Lfunc_end730:
	.size	_ZN7rocprim17ROCPRIM_400000_NS6detail17trampoline_kernelINS0_14default_configENS1_25partition_config_selectorILNS1_17partition_subalgoE9EllbEEZZNS1_14partition_implILS5_9ELb0ES3_jPlS8_PNS0_10empty_typeENS0_5tupleIJS8_S9_EEENSB_IJS8_SA_EEENS0_18inequality_wrapperIZN2at6native12_GLOBAL__N_124unique_dim_cuda_templateIsEESt5tupleIJNSF_6TensorESK_SK_EERKSK_lbbbEUlllE0_EEPmJS9_EEE10hipError_tPvRmT3_T4_T5_T6_T7_T9_mT8_P12ihipStream_tbDpT10_ENKUlT_T0_E_clISt17integral_constantIbLb1EES1A_EEDaS15_S16_EUlS15_E_NS1_11comp_targetILNS1_3genE10ELNS1_11target_archE1200ELNS1_3gpuE4ELNS1_3repE0EEENS1_30default_config_static_selectorELNS0_4arch9wavefront6targetE1EEEvT1_, .Lfunc_end730-_ZN7rocprim17ROCPRIM_400000_NS6detail17trampoline_kernelINS0_14default_configENS1_25partition_config_selectorILNS1_17partition_subalgoE9EllbEEZZNS1_14partition_implILS5_9ELb0ES3_jPlS8_PNS0_10empty_typeENS0_5tupleIJS8_S9_EEENSB_IJS8_SA_EEENS0_18inequality_wrapperIZN2at6native12_GLOBAL__N_124unique_dim_cuda_templateIsEESt5tupleIJNSF_6TensorESK_SK_EERKSK_lbbbEUlllE0_EEPmJS9_EEE10hipError_tPvRmT3_T4_T5_T6_T7_T9_mT8_P12ihipStream_tbDpT10_ENKUlT_T0_E_clISt17integral_constantIbLb1EES1A_EEDaS15_S16_EUlS15_E_NS1_11comp_targetILNS1_3genE10ELNS1_11target_archE1200ELNS1_3gpuE4ELNS1_3repE0EEENS1_30default_config_static_selectorELNS0_4arch9wavefront6targetE1EEEvT1_
                                        ; -- End function
	.section	.AMDGPU.csdata,"",@progbits
; Kernel info:
; codeLenInByte = 0
; NumSgprs: 4
; NumVgprs: 0
; NumAgprs: 0
; TotalNumVgprs: 0
; ScratchSize: 0
; MemoryBound: 0
; FloatMode: 240
; IeeeMode: 1
; LDSByteSize: 0 bytes/workgroup (compile time only)
; SGPRBlocks: 0
; VGPRBlocks: 0
; NumSGPRsForWavesPerEU: 4
; NumVGPRsForWavesPerEU: 1
; AccumOffset: 4
; Occupancy: 8
; WaveLimiterHint : 0
; COMPUTE_PGM_RSRC2:SCRATCH_EN: 0
; COMPUTE_PGM_RSRC2:USER_SGPR: 6
; COMPUTE_PGM_RSRC2:TRAP_HANDLER: 0
; COMPUTE_PGM_RSRC2:TGID_X_EN: 1
; COMPUTE_PGM_RSRC2:TGID_Y_EN: 0
; COMPUTE_PGM_RSRC2:TGID_Z_EN: 0
; COMPUTE_PGM_RSRC2:TIDIG_COMP_CNT: 0
; COMPUTE_PGM_RSRC3_GFX90A:ACCUM_OFFSET: 0
; COMPUTE_PGM_RSRC3_GFX90A:TG_SPLIT: 0
	.section	.text._ZN7rocprim17ROCPRIM_400000_NS6detail17trampoline_kernelINS0_14default_configENS1_25partition_config_selectorILNS1_17partition_subalgoE9EllbEEZZNS1_14partition_implILS5_9ELb0ES3_jPlS8_PNS0_10empty_typeENS0_5tupleIJS8_S9_EEENSB_IJS8_SA_EEENS0_18inequality_wrapperIZN2at6native12_GLOBAL__N_124unique_dim_cuda_templateIsEESt5tupleIJNSF_6TensorESK_SK_EERKSK_lbbbEUlllE0_EEPmJS9_EEE10hipError_tPvRmT3_T4_T5_T6_T7_T9_mT8_P12ihipStream_tbDpT10_ENKUlT_T0_E_clISt17integral_constantIbLb1EES1A_EEDaS15_S16_EUlS15_E_NS1_11comp_targetILNS1_3genE9ELNS1_11target_archE1100ELNS1_3gpuE3ELNS1_3repE0EEENS1_30default_config_static_selectorELNS0_4arch9wavefront6targetE1EEEvT1_,"axG",@progbits,_ZN7rocprim17ROCPRIM_400000_NS6detail17trampoline_kernelINS0_14default_configENS1_25partition_config_selectorILNS1_17partition_subalgoE9EllbEEZZNS1_14partition_implILS5_9ELb0ES3_jPlS8_PNS0_10empty_typeENS0_5tupleIJS8_S9_EEENSB_IJS8_SA_EEENS0_18inequality_wrapperIZN2at6native12_GLOBAL__N_124unique_dim_cuda_templateIsEESt5tupleIJNSF_6TensorESK_SK_EERKSK_lbbbEUlllE0_EEPmJS9_EEE10hipError_tPvRmT3_T4_T5_T6_T7_T9_mT8_P12ihipStream_tbDpT10_ENKUlT_T0_E_clISt17integral_constantIbLb1EES1A_EEDaS15_S16_EUlS15_E_NS1_11comp_targetILNS1_3genE9ELNS1_11target_archE1100ELNS1_3gpuE3ELNS1_3repE0EEENS1_30default_config_static_selectorELNS0_4arch9wavefront6targetE1EEEvT1_,comdat
	.globl	_ZN7rocprim17ROCPRIM_400000_NS6detail17trampoline_kernelINS0_14default_configENS1_25partition_config_selectorILNS1_17partition_subalgoE9EllbEEZZNS1_14partition_implILS5_9ELb0ES3_jPlS8_PNS0_10empty_typeENS0_5tupleIJS8_S9_EEENSB_IJS8_SA_EEENS0_18inequality_wrapperIZN2at6native12_GLOBAL__N_124unique_dim_cuda_templateIsEESt5tupleIJNSF_6TensorESK_SK_EERKSK_lbbbEUlllE0_EEPmJS9_EEE10hipError_tPvRmT3_T4_T5_T6_T7_T9_mT8_P12ihipStream_tbDpT10_ENKUlT_T0_E_clISt17integral_constantIbLb1EES1A_EEDaS15_S16_EUlS15_E_NS1_11comp_targetILNS1_3genE9ELNS1_11target_archE1100ELNS1_3gpuE3ELNS1_3repE0EEENS1_30default_config_static_selectorELNS0_4arch9wavefront6targetE1EEEvT1_ ; -- Begin function _ZN7rocprim17ROCPRIM_400000_NS6detail17trampoline_kernelINS0_14default_configENS1_25partition_config_selectorILNS1_17partition_subalgoE9EllbEEZZNS1_14partition_implILS5_9ELb0ES3_jPlS8_PNS0_10empty_typeENS0_5tupleIJS8_S9_EEENSB_IJS8_SA_EEENS0_18inequality_wrapperIZN2at6native12_GLOBAL__N_124unique_dim_cuda_templateIsEESt5tupleIJNSF_6TensorESK_SK_EERKSK_lbbbEUlllE0_EEPmJS9_EEE10hipError_tPvRmT3_T4_T5_T6_T7_T9_mT8_P12ihipStream_tbDpT10_ENKUlT_T0_E_clISt17integral_constantIbLb1EES1A_EEDaS15_S16_EUlS15_E_NS1_11comp_targetILNS1_3genE9ELNS1_11target_archE1100ELNS1_3gpuE3ELNS1_3repE0EEENS1_30default_config_static_selectorELNS0_4arch9wavefront6targetE1EEEvT1_
	.p2align	8
	.type	_ZN7rocprim17ROCPRIM_400000_NS6detail17trampoline_kernelINS0_14default_configENS1_25partition_config_selectorILNS1_17partition_subalgoE9EllbEEZZNS1_14partition_implILS5_9ELb0ES3_jPlS8_PNS0_10empty_typeENS0_5tupleIJS8_S9_EEENSB_IJS8_SA_EEENS0_18inequality_wrapperIZN2at6native12_GLOBAL__N_124unique_dim_cuda_templateIsEESt5tupleIJNSF_6TensorESK_SK_EERKSK_lbbbEUlllE0_EEPmJS9_EEE10hipError_tPvRmT3_T4_T5_T6_T7_T9_mT8_P12ihipStream_tbDpT10_ENKUlT_T0_E_clISt17integral_constantIbLb1EES1A_EEDaS15_S16_EUlS15_E_NS1_11comp_targetILNS1_3genE9ELNS1_11target_archE1100ELNS1_3gpuE3ELNS1_3repE0EEENS1_30default_config_static_selectorELNS0_4arch9wavefront6targetE1EEEvT1_,@function
_ZN7rocprim17ROCPRIM_400000_NS6detail17trampoline_kernelINS0_14default_configENS1_25partition_config_selectorILNS1_17partition_subalgoE9EllbEEZZNS1_14partition_implILS5_9ELb0ES3_jPlS8_PNS0_10empty_typeENS0_5tupleIJS8_S9_EEENSB_IJS8_SA_EEENS0_18inequality_wrapperIZN2at6native12_GLOBAL__N_124unique_dim_cuda_templateIsEESt5tupleIJNSF_6TensorESK_SK_EERKSK_lbbbEUlllE0_EEPmJS9_EEE10hipError_tPvRmT3_T4_T5_T6_T7_T9_mT8_P12ihipStream_tbDpT10_ENKUlT_T0_E_clISt17integral_constantIbLb1EES1A_EEDaS15_S16_EUlS15_E_NS1_11comp_targetILNS1_3genE9ELNS1_11target_archE1100ELNS1_3gpuE3ELNS1_3repE0EEENS1_30default_config_static_selectorELNS0_4arch9wavefront6targetE1EEEvT1_: ; @_ZN7rocprim17ROCPRIM_400000_NS6detail17trampoline_kernelINS0_14default_configENS1_25partition_config_selectorILNS1_17partition_subalgoE9EllbEEZZNS1_14partition_implILS5_9ELb0ES3_jPlS8_PNS0_10empty_typeENS0_5tupleIJS8_S9_EEENSB_IJS8_SA_EEENS0_18inequality_wrapperIZN2at6native12_GLOBAL__N_124unique_dim_cuda_templateIsEESt5tupleIJNSF_6TensorESK_SK_EERKSK_lbbbEUlllE0_EEPmJS9_EEE10hipError_tPvRmT3_T4_T5_T6_T7_T9_mT8_P12ihipStream_tbDpT10_ENKUlT_T0_E_clISt17integral_constantIbLb1EES1A_EEDaS15_S16_EUlS15_E_NS1_11comp_targetILNS1_3genE9ELNS1_11target_archE1100ELNS1_3gpuE3ELNS1_3repE0EEENS1_30default_config_static_selectorELNS0_4arch9wavefront6targetE1EEEvT1_
; %bb.0:
	.section	.rodata,"a",@progbits
	.p2align	6, 0x0
	.amdhsa_kernel _ZN7rocprim17ROCPRIM_400000_NS6detail17trampoline_kernelINS0_14default_configENS1_25partition_config_selectorILNS1_17partition_subalgoE9EllbEEZZNS1_14partition_implILS5_9ELb0ES3_jPlS8_PNS0_10empty_typeENS0_5tupleIJS8_S9_EEENSB_IJS8_SA_EEENS0_18inequality_wrapperIZN2at6native12_GLOBAL__N_124unique_dim_cuda_templateIsEESt5tupleIJNSF_6TensorESK_SK_EERKSK_lbbbEUlllE0_EEPmJS9_EEE10hipError_tPvRmT3_T4_T5_T6_T7_T9_mT8_P12ihipStream_tbDpT10_ENKUlT_T0_E_clISt17integral_constantIbLb1EES1A_EEDaS15_S16_EUlS15_E_NS1_11comp_targetILNS1_3genE9ELNS1_11target_archE1100ELNS1_3gpuE3ELNS1_3repE0EEENS1_30default_config_static_selectorELNS0_4arch9wavefront6targetE1EEEvT1_
		.amdhsa_group_segment_fixed_size 0
		.amdhsa_private_segment_fixed_size 0
		.amdhsa_kernarg_size 136
		.amdhsa_user_sgpr_count 6
		.amdhsa_user_sgpr_private_segment_buffer 1
		.amdhsa_user_sgpr_dispatch_ptr 0
		.amdhsa_user_sgpr_queue_ptr 0
		.amdhsa_user_sgpr_kernarg_segment_ptr 1
		.amdhsa_user_sgpr_dispatch_id 0
		.amdhsa_user_sgpr_flat_scratch_init 0
		.amdhsa_user_sgpr_kernarg_preload_length 0
		.amdhsa_user_sgpr_kernarg_preload_offset 0
		.amdhsa_user_sgpr_private_segment_size 0
		.amdhsa_uses_dynamic_stack 0
		.amdhsa_system_sgpr_private_segment_wavefront_offset 0
		.amdhsa_system_sgpr_workgroup_id_x 1
		.amdhsa_system_sgpr_workgroup_id_y 0
		.amdhsa_system_sgpr_workgroup_id_z 0
		.amdhsa_system_sgpr_workgroup_info 0
		.amdhsa_system_vgpr_workitem_id 0
		.amdhsa_next_free_vgpr 1
		.amdhsa_next_free_sgpr 0
		.amdhsa_accum_offset 4
		.amdhsa_reserve_vcc 0
		.amdhsa_reserve_flat_scratch 0
		.amdhsa_float_round_mode_32 0
		.amdhsa_float_round_mode_16_64 0
		.amdhsa_float_denorm_mode_32 3
		.amdhsa_float_denorm_mode_16_64 3
		.amdhsa_dx10_clamp 1
		.amdhsa_ieee_mode 1
		.amdhsa_fp16_overflow 0
		.amdhsa_tg_split 0
		.amdhsa_exception_fp_ieee_invalid_op 0
		.amdhsa_exception_fp_denorm_src 0
		.amdhsa_exception_fp_ieee_div_zero 0
		.amdhsa_exception_fp_ieee_overflow 0
		.amdhsa_exception_fp_ieee_underflow 0
		.amdhsa_exception_fp_ieee_inexact 0
		.amdhsa_exception_int_div_zero 0
	.end_amdhsa_kernel
	.section	.text._ZN7rocprim17ROCPRIM_400000_NS6detail17trampoline_kernelINS0_14default_configENS1_25partition_config_selectorILNS1_17partition_subalgoE9EllbEEZZNS1_14partition_implILS5_9ELb0ES3_jPlS8_PNS0_10empty_typeENS0_5tupleIJS8_S9_EEENSB_IJS8_SA_EEENS0_18inequality_wrapperIZN2at6native12_GLOBAL__N_124unique_dim_cuda_templateIsEESt5tupleIJNSF_6TensorESK_SK_EERKSK_lbbbEUlllE0_EEPmJS9_EEE10hipError_tPvRmT3_T4_T5_T6_T7_T9_mT8_P12ihipStream_tbDpT10_ENKUlT_T0_E_clISt17integral_constantIbLb1EES1A_EEDaS15_S16_EUlS15_E_NS1_11comp_targetILNS1_3genE9ELNS1_11target_archE1100ELNS1_3gpuE3ELNS1_3repE0EEENS1_30default_config_static_selectorELNS0_4arch9wavefront6targetE1EEEvT1_,"axG",@progbits,_ZN7rocprim17ROCPRIM_400000_NS6detail17trampoline_kernelINS0_14default_configENS1_25partition_config_selectorILNS1_17partition_subalgoE9EllbEEZZNS1_14partition_implILS5_9ELb0ES3_jPlS8_PNS0_10empty_typeENS0_5tupleIJS8_S9_EEENSB_IJS8_SA_EEENS0_18inequality_wrapperIZN2at6native12_GLOBAL__N_124unique_dim_cuda_templateIsEESt5tupleIJNSF_6TensorESK_SK_EERKSK_lbbbEUlllE0_EEPmJS9_EEE10hipError_tPvRmT3_T4_T5_T6_T7_T9_mT8_P12ihipStream_tbDpT10_ENKUlT_T0_E_clISt17integral_constantIbLb1EES1A_EEDaS15_S16_EUlS15_E_NS1_11comp_targetILNS1_3genE9ELNS1_11target_archE1100ELNS1_3gpuE3ELNS1_3repE0EEENS1_30default_config_static_selectorELNS0_4arch9wavefront6targetE1EEEvT1_,comdat
.Lfunc_end731:
	.size	_ZN7rocprim17ROCPRIM_400000_NS6detail17trampoline_kernelINS0_14default_configENS1_25partition_config_selectorILNS1_17partition_subalgoE9EllbEEZZNS1_14partition_implILS5_9ELb0ES3_jPlS8_PNS0_10empty_typeENS0_5tupleIJS8_S9_EEENSB_IJS8_SA_EEENS0_18inequality_wrapperIZN2at6native12_GLOBAL__N_124unique_dim_cuda_templateIsEESt5tupleIJNSF_6TensorESK_SK_EERKSK_lbbbEUlllE0_EEPmJS9_EEE10hipError_tPvRmT3_T4_T5_T6_T7_T9_mT8_P12ihipStream_tbDpT10_ENKUlT_T0_E_clISt17integral_constantIbLb1EES1A_EEDaS15_S16_EUlS15_E_NS1_11comp_targetILNS1_3genE9ELNS1_11target_archE1100ELNS1_3gpuE3ELNS1_3repE0EEENS1_30default_config_static_selectorELNS0_4arch9wavefront6targetE1EEEvT1_, .Lfunc_end731-_ZN7rocprim17ROCPRIM_400000_NS6detail17trampoline_kernelINS0_14default_configENS1_25partition_config_selectorILNS1_17partition_subalgoE9EllbEEZZNS1_14partition_implILS5_9ELb0ES3_jPlS8_PNS0_10empty_typeENS0_5tupleIJS8_S9_EEENSB_IJS8_SA_EEENS0_18inequality_wrapperIZN2at6native12_GLOBAL__N_124unique_dim_cuda_templateIsEESt5tupleIJNSF_6TensorESK_SK_EERKSK_lbbbEUlllE0_EEPmJS9_EEE10hipError_tPvRmT3_T4_T5_T6_T7_T9_mT8_P12ihipStream_tbDpT10_ENKUlT_T0_E_clISt17integral_constantIbLb1EES1A_EEDaS15_S16_EUlS15_E_NS1_11comp_targetILNS1_3genE9ELNS1_11target_archE1100ELNS1_3gpuE3ELNS1_3repE0EEENS1_30default_config_static_selectorELNS0_4arch9wavefront6targetE1EEEvT1_
                                        ; -- End function
	.section	.AMDGPU.csdata,"",@progbits
; Kernel info:
; codeLenInByte = 0
; NumSgprs: 4
; NumVgprs: 0
; NumAgprs: 0
; TotalNumVgprs: 0
; ScratchSize: 0
; MemoryBound: 0
; FloatMode: 240
; IeeeMode: 1
; LDSByteSize: 0 bytes/workgroup (compile time only)
; SGPRBlocks: 0
; VGPRBlocks: 0
; NumSGPRsForWavesPerEU: 4
; NumVGPRsForWavesPerEU: 1
; AccumOffset: 4
; Occupancy: 8
; WaveLimiterHint : 0
; COMPUTE_PGM_RSRC2:SCRATCH_EN: 0
; COMPUTE_PGM_RSRC2:USER_SGPR: 6
; COMPUTE_PGM_RSRC2:TRAP_HANDLER: 0
; COMPUTE_PGM_RSRC2:TGID_X_EN: 1
; COMPUTE_PGM_RSRC2:TGID_Y_EN: 0
; COMPUTE_PGM_RSRC2:TGID_Z_EN: 0
; COMPUTE_PGM_RSRC2:TIDIG_COMP_CNT: 0
; COMPUTE_PGM_RSRC3_GFX90A:ACCUM_OFFSET: 0
; COMPUTE_PGM_RSRC3_GFX90A:TG_SPLIT: 0
	.section	.text._ZN7rocprim17ROCPRIM_400000_NS6detail17trampoline_kernelINS0_14default_configENS1_25partition_config_selectorILNS1_17partition_subalgoE9EllbEEZZNS1_14partition_implILS5_9ELb0ES3_jPlS8_PNS0_10empty_typeENS0_5tupleIJS8_S9_EEENSB_IJS8_SA_EEENS0_18inequality_wrapperIZN2at6native12_GLOBAL__N_124unique_dim_cuda_templateIsEESt5tupleIJNSF_6TensorESK_SK_EERKSK_lbbbEUlllE0_EEPmJS9_EEE10hipError_tPvRmT3_T4_T5_T6_T7_T9_mT8_P12ihipStream_tbDpT10_ENKUlT_T0_E_clISt17integral_constantIbLb1EES1A_EEDaS15_S16_EUlS15_E_NS1_11comp_targetILNS1_3genE8ELNS1_11target_archE1030ELNS1_3gpuE2ELNS1_3repE0EEENS1_30default_config_static_selectorELNS0_4arch9wavefront6targetE1EEEvT1_,"axG",@progbits,_ZN7rocprim17ROCPRIM_400000_NS6detail17trampoline_kernelINS0_14default_configENS1_25partition_config_selectorILNS1_17partition_subalgoE9EllbEEZZNS1_14partition_implILS5_9ELb0ES3_jPlS8_PNS0_10empty_typeENS0_5tupleIJS8_S9_EEENSB_IJS8_SA_EEENS0_18inequality_wrapperIZN2at6native12_GLOBAL__N_124unique_dim_cuda_templateIsEESt5tupleIJNSF_6TensorESK_SK_EERKSK_lbbbEUlllE0_EEPmJS9_EEE10hipError_tPvRmT3_T4_T5_T6_T7_T9_mT8_P12ihipStream_tbDpT10_ENKUlT_T0_E_clISt17integral_constantIbLb1EES1A_EEDaS15_S16_EUlS15_E_NS1_11comp_targetILNS1_3genE8ELNS1_11target_archE1030ELNS1_3gpuE2ELNS1_3repE0EEENS1_30default_config_static_selectorELNS0_4arch9wavefront6targetE1EEEvT1_,comdat
	.globl	_ZN7rocprim17ROCPRIM_400000_NS6detail17trampoline_kernelINS0_14default_configENS1_25partition_config_selectorILNS1_17partition_subalgoE9EllbEEZZNS1_14partition_implILS5_9ELb0ES3_jPlS8_PNS0_10empty_typeENS0_5tupleIJS8_S9_EEENSB_IJS8_SA_EEENS0_18inequality_wrapperIZN2at6native12_GLOBAL__N_124unique_dim_cuda_templateIsEESt5tupleIJNSF_6TensorESK_SK_EERKSK_lbbbEUlllE0_EEPmJS9_EEE10hipError_tPvRmT3_T4_T5_T6_T7_T9_mT8_P12ihipStream_tbDpT10_ENKUlT_T0_E_clISt17integral_constantIbLb1EES1A_EEDaS15_S16_EUlS15_E_NS1_11comp_targetILNS1_3genE8ELNS1_11target_archE1030ELNS1_3gpuE2ELNS1_3repE0EEENS1_30default_config_static_selectorELNS0_4arch9wavefront6targetE1EEEvT1_ ; -- Begin function _ZN7rocprim17ROCPRIM_400000_NS6detail17trampoline_kernelINS0_14default_configENS1_25partition_config_selectorILNS1_17partition_subalgoE9EllbEEZZNS1_14partition_implILS5_9ELb0ES3_jPlS8_PNS0_10empty_typeENS0_5tupleIJS8_S9_EEENSB_IJS8_SA_EEENS0_18inequality_wrapperIZN2at6native12_GLOBAL__N_124unique_dim_cuda_templateIsEESt5tupleIJNSF_6TensorESK_SK_EERKSK_lbbbEUlllE0_EEPmJS9_EEE10hipError_tPvRmT3_T4_T5_T6_T7_T9_mT8_P12ihipStream_tbDpT10_ENKUlT_T0_E_clISt17integral_constantIbLb1EES1A_EEDaS15_S16_EUlS15_E_NS1_11comp_targetILNS1_3genE8ELNS1_11target_archE1030ELNS1_3gpuE2ELNS1_3repE0EEENS1_30default_config_static_selectorELNS0_4arch9wavefront6targetE1EEEvT1_
	.p2align	8
	.type	_ZN7rocprim17ROCPRIM_400000_NS6detail17trampoline_kernelINS0_14default_configENS1_25partition_config_selectorILNS1_17partition_subalgoE9EllbEEZZNS1_14partition_implILS5_9ELb0ES3_jPlS8_PNS0_10empty_typeENS0_5tupleIJS8_S9_EEENSB_IJS8_SA_EEENS0_18inequality_wrapperIZN2at6native12_GLOBAL__N_124unique_dim_cuda_templateIsEESt5tupleIJNSF_6TensorESK_SK_EERKSK_lbbbEUlllE0_EEPmJS9_EEE10hipError_tPvRmT3_T4_T5_T6_T7_T9_mT8_P12ihipStream_tbDpT10_ENKUlT_T0_E_clISt17integral_constantIbLb1EES1A_EEDaS15_S16_EUlS15_E_NS1_11comp_targetILNS1_3genE8ELNS1_11target_archE1030ELNS1_3gpuE2ELNS1_3repE0EEENS1_30default_config_static_selectorELNS0_4arch9wavefront6targetE1EEEvT1_,@function
_ZN7rocprim17ROCPRIM_400000_NS6detail17trampoline_kernelINS0_14default_configENS1_25partition_config_selectorILNS1_17partition_subalgoE9EllbEEZZNS1_14partition_implILS5_9ELb0ES3_jPlS8_PNS0_10empty_typeENS0_5tupleIJS8_S9_EEENSB_IJS8_SA_EEENS0_18inequality_wrapperIZN2at6native12_GLOBAL__N_124unique_dim_cuda_templateIsEESt5tupleIJNSF_6TensorESK_SK_EERKSK_lbbbEUlllE0_EEPmJS9_EEE10hipError_tPvRmT3_T4_T5_T6_T7_T9_mT8_P12ihipStream_tbDpT10_ENKUlT_T0_E_clISt17integral_constantIbLb1EES1A_EEDaS15_S16_EUlS15_E_NS1_11comp_targetILNS1_3genE8ELNS1_11target_archE1030ELNS1_3gpuE2ELNS1_3repE0EEENS1_30default_config_static_selectorELNS0_4arch9wavefront6targetE1EEEvT1_: ; @_ZN7rocprim17ROCPRIM_400000_NS6detail17trampoline_kernelINS0_14default_configENS1_25partition_config_selectorILNS1_17partition_subalgoE9EllbEEZZNS1_14partition_implILS5_9ELb0ES3_jPlS8_PNS0_10empty_typeENS0_5tupleIJS8_S9_EEENSB_IJS8_SA_EEENS0_18inequality_wrapperIZN2at6native12_GLOBAL__N_124unique_dim_cuda_templateIsEESt5tupleIJNSF_6TensorESK_SK_EERKSK_lbbbEUlllE0_EEPmJS9_EEE10hipError_tPvRmT3_T4_T5_T6_T7_T9_mT8_P12ihipStream_tbDpT10_ENKUlT_T0_E_clISt17integral_constantIbLb1EES1A_EEDaS15_S16_EUlS15_E_NS1_11comp_targetILNS1_3genE8ELNS1_11target_archE1030ELNS1_3gpuE2ELNS1_3repE0EEENS1_30default_config_static_selectorELNS0_4arch9wavefront6targetE1EEEvT1_
; %bb.0:
	.section	.rodata,"a",@progbits
	.p2align	6, 0x0
	.amdhsa_kernel _ZN7rocprim17ROCPRIM_400000_NS6detail17trampoline_kernelINS0_14default_configENS1_25partition_config_selectorILNS1_17partition_subalgoE9EllbEEZZNS1_14partition_implILS5_9ELb0ES3_jPlS8_PNS0_10empty_typeENS0_5tupleIJS8_S9_EEENSB_IJS8_SA_EEENS0_18inequality_wrapperIZN2at6native12_GLOBAL__N_124unique_dim_cuda_templateIsEESt5tupleIJNSF_6TensorESK_SK_EERKSK_lbbbEUlllE0_EEPmJS9_EEE10hipError_tPvRmT3_T4_T5_T6_T7_T9_mT8_P12ihipStream_tbDpT10_ENKUlT_T0_E_clISt17integral_constantIbLb1EES1A_EEDaS15_S16_EUlS15_E_NS1_11comp_targetILNS1_3genE8ELNS1_11target_archE1030ELNS1_3gpuE2ELNS1_3repE0EEENS1_30default_config_static_selectorELNS0_4arch9wavefront6targetE1EEEvT1_
		.amdhsa_group_segment_fixed_size 0
		.amdhsa_private_segment_fixed_size 0
		.amdhsa_kernarg_size 136
		.amdhsa_user_sgpr_count 6
		.amdhsa_user_sgpr_private_segment_buffer 1
		.amdhsa_user_sgpr_dispatch_ptr 0
		.amdhsa_user_sgpr_queue_ptr 0
		.amdhsa_user_sgpr_kernarg_segment_ptr 1
		.amdhsa_user_sgpr_dispatch_id 0
		.amdhsa_user_sgpr_flat_scratch_init 0
		.amdhsa_user_sgpr_kernarg_preload_length 0
		.amdhsa_user_sgpr_kernarg_preload_offset 0
		.amdhsa_user_sgpr_private_segment_size 0
		.amdhsa_uses_dynamic_stack 0
		.amdhsa_system_sgpr_private_segment_wavefront_offset 0
		.amdhsa_system_sgpr_workgroup_id_x 1
		.amdhsa_system_sgpr_workgroup_id_y 0
		.amdhsa_system_sgpr_workgroup_id_z 0
		.amdhsa_system_sgpr_workgroup_info 0
		.amdhsa_system_vgpr_workitem_id 0
		.amdhsa_next_free_vgpr 1
		.amdhsa_next_free_sgpr 0
		.amdhsa_accum_offset 4
		.amdhsa_reserve_vcc 0
		.amdhsa_reserve_flat_scratch 0
		.amdhsa_float_round_mode_32 0
		.amdhsa_float_round_mode_16_64 0
		.amdhsa_float_denorm_mode_32 3
		.amdhsa_float_denorm_mode_16_64 3
		.amdhsa_dx10_clamp 1
		.amdhsa_ieee_mode 1
		.amdhsa_fp16_overflow 0
		.amdhsa_tg_split 0
		.amdhsa_exception_fp_ieee_invalid_op 0
		.amdhsa_exception_fp_denorm_src 0
		.amdhsa_exception_fp_ieee_div_zero 0
		.amdhsa_exception_fp_ieee_overflow 0
		.amdhsa_exception_fp_ieee_underflow 0
		.amdhsa_exception_fp_ieee_inexact 0
		.amdhsa_exception_int_div_zero 0
	.end_amdhsa_kernel
	.section	.text._ZN7rocprim17ROCPRIM_400000_NS6detail17trampoline_kernelINS0_14default_configENS1_25partition_config_selectorILNS1_17partition_subalgoE9EllbEEZZNS1_14partition_implILS5_9ELb0ES3_jPlS8_PNS0_10empty_typeENS0_5tupleIJS8_S9_EEENSB_IJS8_SA_EEENS0_18inequality_wrapperIZN2at6native12_GLOBAL__N_124unique_dim_cuda_templateIsEESt5tupleIJNSF_6TensorESK_SK_EERKSK_lbbbEUlllE0_EEPmJS9_EEE10hipError_tPvRmT3_T4_T5_T6_T7_T9_mT8_P12ihipStream_tbDpT10_ENKUlT_T0_E_clISt17integral_constantIbLb1EES1A_EEDaS15_S16_EUlS15_E_NS1_11comp_targetILNS1_3genE8ELNS1_11target_archE1030ELNS1_3gpuE2ELNS1_3repE0EEENS1_30default_config_static_selectorELNS0_4arch9wavefront6targetE1EEEvT1_,"axG",@progbits,_ZN7rocprim17ROCPRIM_400000_NS6detail17trampoline_kernelINS0_14default_configENS1_25partition_config_selectorILNS1_17partition_subalgoE9EllbEEZZNS1_14partition_implILS5_9ELb0ES3_jPlS8_PNS0_10empty_typeENS0_5tupleIJS8_S9_EEENSB_IJS8_SA_EEENS0_18inequality_wrapperIZN2at6native12_GLOBAL__N_124unique_dim_cuda_templateIsEESt5tupleIJNSF_6TensorESK_SK_EERKSK_lbbbEUlllE0_EEPmJS9_EEE10hipError_tPvRmT3_T4_T5_T6_T7_T9_mT8_P12ihipStream_tbDpT10_ENKUlT_T0_E_clISt17integral_constantIbLb1EES1A_EEDaS15_S16_EUlS15_E_NS1_11comp_targetILNS1_3genE8ELNS1_11target_archE1030ELNS1_3gpuE2ELNS1_3repE0EEENS1_30default_config_static_selectorELNS0_4arch9wavefront6targetE1EEEvT1_,comdat
.Lfunc_end732:
	.size	_ZN7rocprim17ROCPRIM_400000_NS6detail17trampoline_kernelINS0_14default_configENS1_25partition_config_selectorILNS1_17partition_subalgoE9EllbEEZZNS1_14partition_implILS5_9ELb0ES3_jPlS8_PNS0_10empty_typeENS0_5tupleIJS8_S9_EEENSB_IJS8_SA_EEENS0_18inequality_wrapperIZN2at6native12_GLOBAL__N_124unique_dim_cuda_templateIsEESt5tupleIJNSF_6TensorESK_SK_EERKSK_lbbbEUlllE0_EEPmJS9_EEE10hipError_tPvRmT3_T4_T5_T6_T7_T9_mT8_P12ihipStream_tbDpT10_ENKUlT_T0_E_clISt17integral_constantIbLb1EES1A_EEDaS15_S16_EUlS15_E_NS1_11comp_targetILNS1_3genE8ELNS1_11target_archE1030ELNS1_3gpuE2ELNS1_3repE0EEENS1_30default_config_static_selectorELNS0_4arch9wavefront6targetE1EEEvT1_, .Lfunc_end732-_ZN7rocprim17ROCPRIM_400000_NS6detail17trampoline_kernelINS0_14default_configENS1_25partition_config_selectorILNS1_17partition_subalgoE9EllbEEZZNS1_14partition_implILS5_9ELb0ES3_jPlS8_PNS0_10empty_typeENS0_5tupleIJS8_S9_EEENSB_IJS8_SA_EEENS0_18inequality_wrapperIZN2at6native12_GLOBAL__N_124unique_dim_cuda_templateIsEESt5tupleIJNSF_6TensorESK_SK_EERKSK_lbbbEUlllE0_EEPmJS9_EEE10hipError_tPvRmT3_T4_T5_T6_T7_T9_mT8_P12ihipStream_tbDpT10_ENKUlT_T0_E_clISt17integral_constantIbLb1EES1A_EEDaS15_S16_EUlS15_E_NS1_11comp_targetILNS1_3genE8ELNS1_11target_archE1030ELNS1_3gpuE2ELNS1_3repE0EEENS1_30default_config_static_selectorELNS0_4arch9wavefront6targetE1EEEvT1_
                                        ; -- End function
	.section	.AMDGPU.csdata,"",@progbits
; Kernel info:
; codeLenInByte = 0
; NumSgprs: 4
; NumVgprs: 0
; NumAgprs: 0
; TotalNumVgprs: 0
; ScratchSize: 0
; MemoryBound: 0
; FloatMode: 240
; IeeeMode: 1
; LDSByteSize: 0 bytes/workgroup (compile time only)
; SGPRBlocks: 0
; VGPRBlocks: 0
; NumSGPRsForWavesPerEU: 4
; NumVGPRsForWavesPerEU: 1
; AccumOffset: 4
; Occupancy: 8
; WaveLimiterHint : 0
; COMPUTE_PGM_RSRC2:SCRATCH_EN: 0
; COMPUTE_PGM_RSRC2:USER_SGPR: 6
; COMPUTE_PGM_RSRC2:TRAP_HANDLER: 0
; COMPUTE_PGM_RSRC2:TGID_X_EN: 1
; COMPUTE_PGM_RSRC2:TGID_Y_EN: 0
; COMPUTE_PGM_RSRC2:TGID_Z_EN: 0
; COMPUTE_PGM_RSRC2:TIDIG_COMP_CNT: 0
; COMPUTE_PGM_RSRC3_GFX90A:ACCUM_OFFSET: 0
; COMPUTE_PGM_RSRC3_GFX90A:TG_SPLIT: 0
	.section	.text._ZN7rocprim17ROCPRIM_400000_NS6detail17trampoline_kernelINS0_14default_configENS1_25partition_config_selectorILNS1_17partition_subalgoE9EllbEEZZNS1_14partition_implILS5_9ELb0ES3_jPlS8_PNS0_10empty_typeENS0_5tupleIJS8_S9_EEENSB_IJS8_SA_EEENS0_18inequality_wrapperIZN2at6native12_GLOBAL__N_124unique_dim_cuda_templateIsEESt5tupleIJNSF_6TensorESK_SK_EERKSK_lbbbEUlllE0_EEPmJS9_EEE10hipError_tPvRmT3_T4_T5_T6_T7_T9_mT8_P12ihipStream_tbDpT10_ENKUlT_T0_E_clISt17integral_constantIbLb1EES19_IbLb0EEEEDaS15_S16_EUlS15_E_NS1_11comp_targetILNS1_3genE0ELNS1_11target_archE4294967295ELNS1_3gpuE0ELNS1_3repE0EEENS1_30default_config_static_selectorELNS0_4arch9wavefront6targetE1EEEvT1_,"axG",@progbits,_ZN7rocprim17ROCPRIM_400000_NS6detail17trampoline_kernelINS0_14default_configENS1_25partition_config_selectorILNS1_17partition_subalgoE9EllbEEZZNS1_14partition_implILS5_9ELb0ES3_jPlS8_PNS0_10empty_typeENS0_5tupleIJS8_S9_EEENSB_IJS8_SA_EEENS0_18inequality_wrapperIZN2at6native12_GLOBAL__N_124unique_dim_cuda_templateIsEESt5tupleIJNSF_6TensorESK_SK_EERKSK_lbbbEUlllE0_EEPmJS9_EEE10hipError_tPvRmT3_T4_T5_T6_T7_T9_mT8_P12ihipStream_tbDpT10_ENKUlT_T0_E_clISt17integral_constantIbLb1EES19_IbLb0EEEEDaS15_S16_EUlS15_E_NS1_11comp_targetILNS1_3genE0ELNS1_11target_archE4294967295ELNS1_3gpuE0ELNS1_3repE0EEENS1_30default_config_static_selectorELNS0_4arch9wavefront6targetE1EEEvT1_,comdat
	.globl	_ZN7rocprim17ROCPRIM_400000_NS6detail17trampoline_kernelINS0_14default_configENS1_25partition_config_selectorILNS1_17partition_subalgoE9EllbEEZZNS1_14partition_implILS5_9ELb0ES3_jPlS8_PNS0_10empty_typeENS0_5tupleIJS8_S9_EEENSB_IJS8_SA_EEENS0_18inequality_wrapperIZN2at6native12_GLOBAL__N_124unique_dim_cuda_templateIsEESt5tupleIJNSF_6TensorESK_SK_EERKSK_lbbbEUlllE0_EEPmJS9_EEE10hipError_tPvRmT3_T4_T5_T6_T7_T9_mT8_P12ihipStream_tbDpT10_ENKUlT_T0_E_clISt17integral_constantIbLb1EES19_IbLb0EEEEDaS15_S16_EUlS15_E_NS1_11comp_targetILNS1_3genE0ELNS1_11target_archE4294967295ELNS1_3gpuE0ELNS1_3repE0EEENS1_30default_config_static_selectorELNS0_4arch9wavefront6targetE1EEEvT1_ ; -- Begin function _ZN7rocprim17ROCPRIM_400000_NS6detail17trampoline_kernelINS0_14default_configENS1_25partition_config_selectorILNS1_17partition_subalgoE9EllbEEZZNS1_14partition_implILS5_9ELb0ES3_jPlS8_PNS0_10empty_typeENS0_5tupleIJS8_S9_EEENSB_IJS8_SA_EEENS0_18inequality_wrapperIZN2at6native12_GLOBAL__N_124unique_dim_cuda_templateIsEESt5tupleIJNSF_6TensorESK_SK_EERKSK_lbbbEUlllE0_EEPmJS9_EEE10hipError_tPvRmT3_T4_T5_T6_T7_T9_mT8_P12ihipStream_tbDpT10_ENKUlT_T0_E_clISt17integral_constantIbLb1EES19_IbLb0EEEEDaS15_S16_EUlS15_E_NS1_11comp_targetILNS1_3genE0ELNS1_11target_archE4294967295ELNS1_3gpuE0ELNS1_3repE0EEENS1_30default_config_static_selectorELNS0_4arch9wavefront6targetE1EEEvT1_
	.p2align	8
	.type	_ZN7rocprim17ROCPRIM_400000_NS6detail17trampoline_kernelINS0_14default_configENS1_25partition_config_selectorILNS1_17partition_subalgoE9EllbEEZZNS1_14partition_implILS5_9ELb0ES3_jPlS8_PNS0_10empty_typeENS0_5tupleIJS8_S9_EEENSB_IJS8_SA_EEENS0_18inequality_wrapperIZN2at6native12_GLOBAL__N_124unique_dim_cuda_templateIsEESt5tupleIJNSF_6TensorESK_SK_EERKSK_lbbbEUlllE0_EEPmJS9_EEE10hipError_tPvRmT3_T4_T5_T6_T7_T9_mT8_P12ihipStream_tbDpT10_ENKUlT_T0_E_clISt17integral_constantIbLb1EES19_IbLb0EEEEDaS15_S16_EUlS15_E_NS1_11comp_targetILNS1_3genE0ELNS1_11target_archE4294967295ELNS1_3gpuE0ELNS1_3repE0EEENS1_30default_config_static_selectorELNS0_4arch9wavefront6targetE1EEEvT1_,@function
_ZN7rocprim17ROCPRIM_400000_NS6detail17trampoline_kernelINS0_14default_configENS1_25partition_config_selectorILNS1_17partition_subalgoE9EllbEEZZNS1_14partition_implILS5_9ELb0ES3_jPlS8_PNS0_10empty_typeENS0_5tupleIJS8_S9_EEENSB_IJS8_SA_EEENS0_18inequality_wrapperIZN2at6native12_GLOBAL__N_124unique_dim_cuda_templateIsEESt5tupleIJNSF_6TensorESK_SK_EERKSK_lbbbEUlllE0_EEPmJS9_EEE10hipError_tPvRmT3_T4_T5_T6_T7_T9_mT8_P12ihipStream_tbDpT10_ENKUlT_T0_E_clISt17integral_constantIbLb1EES19_IbLb0EEEEDaS15_S16_EUlS15_E_NS1_11comp_targetILNS1_3genE0ELNS1_11target_archE4294967295ELNS1_3gpuE0ELNS1_3repE0EEENS1_30default_config_static_selectorELNS0_4arch9wavefront6targetE1EEEvT1_: ; @_ZN7rocprim17ROCPRIM_400000_NS6detail17trampoline_kernelINS0_14default_configENS1_25partition_config_selectorILNS1_17partition_subalgoE9EllbEEZZNS1_14partition_implILS5_9ELb0ES3_jPlS8_PNS0_10empty_typeENS0_5tupleIJS8_S9_EEENSB_IJS8_SA_EEENS0_18inequality_wrapperIZN2at6native12_GLOBAL__N_124unique_dim_cuda_templateIsEESt5tupleIJNSF_6TensorESK_SK_EERKSK_lbbbEUlllE0_EEPmJS9_EEE10hipError_tPvRmT3_T4_T5_T6_T7_T9_mT8_P12ihipStream_tbDpT10_ENKUlT_T0_E_clISt17integral_constantIbLb1EES19_IbLb0EEEEDaS15_S16_EUlS15_E_NS1_11comp_targetILNS1_3genE0ELNS1_11target_archE4294967295ELNS1_3gpuE0ELNS1_3repE0EEENS1_30default_config_static_selectorELNS0_4arch9wavefront6targetE1EEEvT1_
; %bb.0:
	.section	.rodata,"a",@progbits
	.p2align	6, 0x0
	.amdhsa_kernel _ZN7rocprim17ROCPRIM_400000_NS6detail17trampoline_kernelINS0_14default_configENS1_25partition_config_selectorILNS1_17partition_subalgoE9EllbEEZZNS1_14partition_implILS5_9ELb0ES3_jPlS8_PNS0_10empty_typeENS0_5tupleIJS8_S9_EEENSB_IJS8_SA_EEENS0_18inequality_wrapperIZN2at6native12_GLOBAL__N_124unique_dim_cuda_templateIsEESt5tupleIJNSF_6TensorESK_SK_EERKSK_lbbbEUlllE0_EEPmJS9_EEE10hipError_tPvRmT3_T4_T5_T6_T7_T9_mT8_P12ihipStream_tbDpT10_ENKUlT_T0_E_clISt17integral_constantIbLb1EES19_IbLb0EEEEDaS15_S16_EUlS15_E_NS1_11comp_targetILNS1_3genE0ELNS1_11target_archE4294967295ELNS1_3gpuE0ELNS1_3repE0EEENS1_30default_config_static_selectorELNS0_4arch9wavefront6targetE1EEEvT1_
		.amdhsa_group_segment_fixed_size 0
		.amdhsa_private_segment_fixed_size 0
		.amdhsa_kernarg_size 120
		.amdhsa_user_sgpr_count 6
		.amdhsa_user_sgpr_private_segment_buffer 1
		.amdhsa_user_sgpr_dispatch_ptr 0
		.amdhsa_user_sgpr_queue_ptr 0
		.amdhsa_user_sgpr_kernarg_segment_ptr 1
		.amdhsa_user_sgpr_dispatch_id 0
		.amdhsa_user_sgpr_flat_scratch_init 0
		.amdhsa_user_sgpr_kernarg_preload_length 0
		.amdhsa_user_sgpr_kernarg_preload_offset 0
		.amdhsa_user_sgpr_private_segment_size 0
		.amdhsa_uses_dynamic_stack 0
		.amdhsa_system_sgpr_private_segment_wavefront_offset 0
		.amdhsa_system_sgpr_workgroup_id_x 1
		.amdhsa_system_sgpr_workgroup_id_y 0
		.amdhsa_system_sgpr_workgroup_id_z 0
		.amdhsa_system_sgpr_workgroup_info 0
		.amdhsa_system_vgpr_workitem_id 0
		.amdhsa_next_free_vgpr 1
		.amdhsa_next_free_sgpr 0
		.amdhsa_accum_offset 4
		.amdhsa_reserve_vcc 0
		.amdhsa_reserve_flat_scratch 0
		.amdhsa_float_round_mode_32 0
		.amdhsa_float_round_mode_16_64 0
		.amdhsa_float_denorm_mode_32 3
		.amdhsa_float_denorm_mode_16_64 3
		.amdhsa_dx10_clamp 1
		.amdhsa_ieee_mode 1
		.amdhsa_fp16_overflow 0
		.amdhsa_tg_split 0
		.amdhsa_exception_fp_ieee_invalid_op 0
		.amdhsa_exception_fp_denorm_src 0
		.amdhsa_exception_fp_ieee_div_zero 0
		.amdhsa_exception_fp_ieee_overflow 0
		.amdhsa_exception_fp_ieee_underflow 0
		.amdhsa_exception_fp_ieee_inexact 0
		.amdhsa_exception_int_div_zero 0
	.end_amdhsa_kernel
	.section	.text._ZN7rocprim17ROCPRIM_400000_NS6detail17trampoline_kernelINS0_14default_configENS1_25partition_config_selectorILNS1_17partition_subalgoE9EllbEEZZNS1_14partition_implILS5_9ELb0ES3_jPlS8_PNS0_10empty_typeENS0_5tupleIJS8_S9_EEENSB_IJS8_SA_EEENS0_18inequality_wrapperIZN2at6native12_GLOBAL__N_124unique_dim_cuda_templateIsEESt5tupleIJNSF_6TensorESK_SK_EERKSK_lbbbEUlllE0_EEPmJS9_EEE10hipError_tPvRmT3_T4_T5_T6_T7_T9_mT8_P12ihipStream_tbDpT10_ENKUlT_T0_E_clISt17integral_constantIbLb1EES19_IbLb0EEEEDaS15_S16_EUlS15_E_NS1_11comp_targetILNS1_3genE0ELNS1_11target_archE4294967295ELNS1_3gpuE0ELNS1_3repE0EEENS1_30default_config_static_selectorELNS0_4arch9wavefront6targetE1EEEvT1_,"axG",@progbits,_ZN7rocprim17ROCPRIM_400000_NS6detail17trampoline_kernelINS0_14default_configENS1_25partition_config_selectorILNS1_17partition_subalgoE9EllbEEZZNS1_14partition_implILS5_9ELb0ES3_jPlS8_PNS0_10empty_typeENS0_5tupleIJS8_S9_EEENSB_IJS8_SA_EEENS0_18inequality_wrapperIZN2at6native12_GLOBAL__N_124unique_dim_cuda_templateIsEESt5tupleIJNSF_6TensorESK_SK_EERKSK_lbbbEUlllE0_EEPmJS9_EEE10hipError_tPvRmT3_T4_T5_T6_T7_T9_mT8_P12ihipStream_tbDpT10_ENKUlT_T0_E_clISt17integral_constantIbLb1EES19_IbLb0EEEEDaS15_S16_EUlS15_E_NS1_11comp_targetILNS1_3genE0ELNS1_11target_archE4294967295ELNS1_3gpuE0ELNS1_3repE0EEENS1_30default_config_static_selectorELNS0_4arch9wavefront6targetE1EEEvT1_,comdat
.Lfunc_end733:
	.size	_ZN7rocprim17ROCPRIM_400000_NS6detail17trampoline_kernelINS0_14default_configENS1_25partition_config_selectorILNS1_17partition_subalgoE9EllbEEZZNS1_14partition_implILS5_9ELb0ES3_jPlS8_PNS0_10empty_typeENS0_5tupleIJS8_S9_EEENSB_IJS8_SA_EEENS0_18inequality_wrapperIZN2at6native12_GLOBAL__N_124unique_dim_cuda_templateIsEESt5tupleIJNSF_6TensorESK_SK_EERKSK_lbbbEUlllE0_EEPmJS9_EEE10hipError_tPvRmT3_T4_T5_T6_T7_T9_mT8_P12ihipStream_tbDpT10_ENKUlT_T0_E_clISt17integral_constantIbLb1EES19_IbLb0EEEEDaS15_S16_EUlS15_E_NS1_11comp_targetILNS1_3genE0ELNS1_11target_archE4294967295ELNS1_3gpuE0ELNS1_3repE0EEENS1_30default_config_static_selectorELNS0_4arch9wavefront6targetE1EEEvT1_, .Lfunc_end733-_ZN7rocprim17ROCPRIM_400000_NS6detail17trampoline_kernelINS0_14default_configENS1_25partition_config_selectorILNS1_17partition_subalgoE9EllbEEZZNS1_14partition_implILS5_9ELb0ES3_jPlS8_PNS0_10empty_typeENS0_5tupleIJS8_S9_EEENSB_IJS8_SA_EEENS0_18inequality_wrapperIZN2at6native12_GLOBAL__N_124unique_dim_cuda_templateIsEESt5tupleIJNSF_6TensorESK_SK_EERKSK_lbbbEUlllE0_EEPmJS9_EEE10hipError_tPvRmT3_T4_T5_T6_T7_T9_mT8_P12ihipStream_tbDpT10_ENKUlT_T0_E_clISt17integral_constantIbLb1EES19_IbLb0EEEEDaS15_S16_EUlS15_E_NS1_11comp_targetILNS1_3genE0ELNS1_11target_archE4294967295ELNS1_3gpuE0ELNS1_3repE0EEENS1_30default_config_static_selectorELNS0_4arch9wavefront6targetE1EEEvT1_
                                        ; -- End function
	.section	.AMDGPU.csdata,"",@progbits
; Kernel info:
; codeLenInByte = 0
; NumSgprs: 4
; NumVgprs: 0
; NumAgprs: 0
; TotalNumVgprs: 0
; ScratchSize: 0
; MemoryBound: 0
; FloatMode: 240
; IeeeMode: 1
; LDSByteSize: 0 bytes/workgroup (compile time only)
; SGPRBlocks: 0
; VGPRBlocks: 0
; NumSGPRsForWavesPerEU: 4
; NumVGPRsForWavesPerEU: 1
; AccumOffset: 4
; Occupancy: 8
; WaveLimiterHint : 0
; COMPUTE_PGM_RSRC2:SCRATCH_EN: 0
; COMPUTE_PGM_RSRC2:USER_SGPR: 6
; COMPUTE_PGM_RSRC2:TRAP_HANDLER: 0
; COMPUTE_PGM_RSRC2:TGID_X_EN: 1
; COMPUTE_PGM_RSRC2:TGID_Y_EN: 0
; COMPUTE_PGM_RSRC2:TGID_Z_EN: 0
; COMPUTE_PGM_RSRC2:TIDIG_COMP_CNT: 0
; COMPUTE_PGM_RSRC3_GFX90A:ACCUM_OFFSET: 0
; COMPUTE_PGM_RSRC3_GFX90A:TG_SPLIT: 0
	.section	.text._ZN7rocprim17ROCPRIM_400000_NS6detail17trampoline_kernelINS0_14default_configENS1_25partition_config_selectorILNS1_17partition_subalgoE9EllbEEZZNS1_14partition_implILS5_9ELb0ES3_jPlS8_PNS0_10empty_typeENS0_5tupleIJS8_S9_EEENSB_IJS8_SA_EEENS0_18inequality_wrapperIZN2at6native12_GLOBAL__N_124unique_dim_cuda_templateIsEESt5tupleIJNSF_6TensorESK_SK_EERKSK_lbbbEUlllE0_EEPmJS9_EEE10hipError_tPvRmT3_T4_T5_T6_T7_T9_mT8_P12ihipStream_tbDpT10_ENKUlT_T0_E_clISt17integral_constantIbLb1EES19_IbLb0EEEEDaS15_S16_EUlS15_E_NS1_11comp_targetILNS1_3genE5ELNS1_11target_archE942ELNS1_3gpuE9ELNS1_3repE0EEENS1_30default_config_static_selectorELNS0_4arch9wavefront6targetE1EEEvT1_,"axG",@progbits,_ZN7rocprim17ROCPRIM_400000_NS6detail17trampoline_kernelINS0_14default_configENS1_25partition_config_selectorILNS1_17partition_subalgoE9EllbEEZZNS1_14partition_implILS5_9ELb0ES3_jPlS8_PNS0_10empty_typeENS0_5tupleIJS8_S9_EEENSB_IJS8_SA_EEENS0_18inequality_wrapperIZN2at6native12_GLOBAL__N_124unique_dim_cuda_templateIsEESt5tupleIJNSF_6TensorESK_SK_EERKSK_lbbbEUlllE0_EEPmJS9_EEE10hipError_tPvRmT3_T4_T5_T6_T7_T9_mT8_P12ihipStream_tbDpT10_ENKUlT_T0_E_clISt17integral_constantIbLb1EES19_IbLb0EEEEDaS15_S16_EUlS15_E_NS1_11comp_targetILNS1_3genE5ELNS1_11target_archE942ELNS1_3gpuE9ELNS1_3repE0EEENS1_30default_config_static_selectorELNS0_4arch9wavefront6targetE1EEEvT1_,comdat
	.globl	_ZN7rocprim17ROCPRIM_400000_NS6detail17trampoline_kernelINS0_14default_configENS1_25partition_config_selectorILNS1_17partition_subalgoE9EllbEEZZNS1_14partition_implILS5_9ELb0ES3_jPlS8_PNS0_10empty_typeENS0_5tupleIJS8_S9_EEENSB_IJS8_SA_EEENS0_18inequality_wrapperIZN2at6native12_GLOBAL__N_124unique_dim_cuda_templateIsEESt5tupleIJNSF_6TensorESK_SK_EERKSK_lbbbEUlllE0_EEPmJS9_EEE10hipError_tPvRmT3_T4_T5_T6_T7_T9_mT8_P12ihipStream_tbDpT10_ENKUlT_T0_E_clISt17integral_constantIbLb1EES19_IbLb0EEEEDaS15_S16_EUlS15_E_NS1_11comp_targetILNS1_3genE5ELNS1_11target_archE942ELNS1_3gpuE9ELNS1_3repE0EEENS1_30default_config_static_selectorELNS0_4arch9wavefront6targetE1EEEvT1_ ; -- Begin function _ZN7rocprim17ROCPRIM_400000_NS6detail17trampoline_kernelINS0_14default_configENS1_25partition_config_selectorILNS1_17partition_subalgoE9EllbEEZZNS1_14partition_implILS5_9ELb0ES3_jPlS8_PNS0_10empty_typeENS0_5tupleIJS8_S9_EEENSB_IJS8_SA_EEENS0_18inequality_wrapperIZN2at6native12_GLOBAL__N_124unique_dim_cuda_templateIsEESt5tupleIJNSF_6TensorESK_SK_EERKSK_lbbbEUlllE0_EEPmJS9_EEE10hipError_tPvRmT3_T4_T5_T6_T7_T9_mT8_P12ihipStream_tbDpT10_ENKUlT_T0_E_clISt17integral_constantIbLb1EES19_IbLb0EEEEDaS15_S16_EUlS15_E_NS1_11comp_targetILNS1_3genE5ELNS1_11target_archE942ELNS1_3gpuE9ELNS1_3repE0EEENS1_30default_config_static_selectorELNS0_4arch9wavefront6targetE1EEEvT1_
	.p2align	8
	.type	_ZN7rocprim17ROCPRIM_400000_NS6detail17trampoline_kernelINS0_14default_configENS1_25partition_config_selectorILNS1_17partition_subalgoE9EllbEEZZNS1_14partition_implILS5_9ELb0ES3_jPlS8_PNS0_10empty_typeENS0_5tupleIJS8_S9_EEENSB_IJS8_SA_EEENS0_18inequality_wrapperIZN2at6native12_GLOBAL__N_124unique_dim_cuda_templateIsEESt5tupleIJNSF_6TensorESK_SK_EERKSK_lbbbEUlllE0_EEPmJS9_EEE10hipError_tPvRmT3_T4_T5_T6_T7_T9_mT8_P12ihipStream_tbDpT10_ENKUlT_T0_E_clISt17integral_constantIbLb1EES19_IbLb0EEEEDaS15_S16_EUlS15_E_NS1_11comp_targetILNS1_3genE5ELNS1_11target_archE942ELNS1_3gpuE9ELNS1_3repE0EEENS1_30default_config_static_selectorELNS0_4arch9wavefront6targetE1EEEvT1_,@function
_ZN7rocprim17ROCPRIM_400000_NS6detail17trampoline_kernelINS0_14default_configENS1_25partition_config_selectorILNS1_17partition_subalgoE9EllbEEZZNS1_14partition_implILS5_9ELb0ES3_jPlS8_PNS0_10empty_typeENS0_5tupleIJS8_S9_EEENSB_IJS8_SA_EEENS0_18inequality_wrapperIZN2at6native12_GLOBAL__N_124unique_dim_cuda_templateIsEESt5tupleIJNSF_6TensorESK_SK_EERKSK_lbbbEUlllE0_EEPmJS9_EEE10hipError_tPvRmT3_T4_T5_T6_T7_T9_mT8_P12ihipStream_tbDpT10_ENKUlT_T0_E_clISt17integral_constantIbLb1EES19_IbLb0EEEEDaS15_S16_EUlS15_E_NS1_11comp_targetILNS1_3genE5ELNS1_11target_archE942ELNS1_3gpuE9ELNS1_3repE0EEENS1_30default_config_static_selectorELNS0_4arch9wavefront6targetE1EEEvT1_: ; @_ZN7rocprim17ROCPRIM_400000_NS6detail17trampoline_kernelINS0_14default_configENS1_25partition_config_selectorILNS1_17partition_subalgoE9EllbEEZZNS1_14partition_implILS5_9ELb0ES3_jPlS8_PNS0_10empty_typeENS0_5tupleIJS8_S9_EEENSB_IJS8_SA_EEENS0_18inequality_wrapperIZN2at6native12_GLOBAL__N_124unique_dim_cuda_templateIsEESt5tupleIJNSF_6TensorESK_SK_EERKSK_lbbbEUlllE0_EEPmJS9_EEE10hipError_tPvRmT3_T4_T5_T6_T7_T9_mT8_P12ihipStream_tbDpT10_ENKUlT_T0_E_clISt17integral_constantIbLb1EES19_IbLb0EEEEDaS15_S16_EUlS15_E_NS1_11comp_targetILNS1_3genE5ELNS1_11target_archE942ELNS1_3gpuE9ELNS1_3repE0EEENS1_30default_config_static_selectorELNS0_4arch9wavefront6targetE1EEEvT1_
; %bb.0:
	.section	.rodata,"a",@progbits
	.p2align	6, 0x0
	.amdhsa_kernel _ZN7rocprim17ROCPRIM_400000_NS6detail17trampoline_kernelINS0_14default_configENS1_25partition_config_selectorILNS1_17partition_subalgoE9EllbEEZZNS1_14partition_implILS5_9ELb0ES3_jPlS8_PNS0_10empty_typeENS0_5tupleIJS8_S9_EEENSB_IJS8_SA_EEENS0_18inequality_wrapperIZN2at6native12_GLOBAL__N_124unique_dim_cuda_templateIsEESt5tupleIJNSF_6TensorESK_SK_EERKSK_lbbbEUlllE0_EEPmJS9_EEE10hipError_tPvRmT3_T4_T5_T6_T7_T9_mT8_P12ihipStream_tbDpT10_ENKUlT_T0_E_clISt17integral_constantIbLb1EES19_IbLb0EEEEDaS15_S16_EUlS15_E_NS1_11comp_targetILNS1_3genE5ELNS1_11target_archE942ELNS1_3gpuE9ELNS1_3repE0EEENS1_30default_config_static_selectorELNS0_4arch9wavefront6targetE1EEEvT1_
		.amdhsa_group_segment_fixed_size 0
		.amdhsa_private_segment_fixed_size 0
		.amdhsa_kernarg_size 120
		.amdhsa_user_sgpr_count 6
		.amdhsa_user_sgpr_private_segment_buffer 1
		.amdhsa_user_sgpr_dispatch_ptr 0
		.amdhsa_user_sgpr_queue_ptr 0
		.amdhsa_user_sgpr_kernarg_segment_ptr 1
		.amdhsa_user_sgpr_dispatch_id 0
		.amdhsa_user_sgpr_flat_scratch_init 0
		.amdhsa_user_sgpr_kernarg_preload_length 0
		.amdhsa_user_sgpr_kernarg_preload_offset 0
		.amdhsa_user_sgpr_private_segment_size 0
		.amdhsa_uses_dynamic_stack 0
		.amdhsa_system_sgpr_private_segment_wavefront_offset 0
		.amdhsa_system_sgpr_workgroup_id_x 1
		.amdhsa_system_sgpr_workgroup_id_y 0
		.amdhsa_system_sgpr_workgroup_id_z 0
		.amdhsa_system_sgpr_workgroup_info 0
		.amdhsa_system_vgpr_workitem_id 0
		.amdhsa_next_free_vgpr 1
		.amdhsa_next_free_sgpr 0
		.amdhsa_accum_offset 4
		.amdhsa_reserve_vcc 0
		.amdhsa_reserve_flat_scratch 0
		.amdhsa_float_round_mode_32 0
		.amdhsa_float_round_mode_16_64 0
		.amdhsa_float_denorm_mode_32 3
		.amdhsa_float_denorm_mode_16_64 3
		.amdhsa_dx10_clamp 1
		.amdhsa_ieee_mode 1
		.amdhsa_fp16_overflow 0
		.amdhsa_tg_split 0
		.amdhsa_exception_fp_ieee_invalid_op 0
		.amdhsa_exception_fp_denorm_src 0
		.amdhsa_exception_fp_ieee_div_zero 0
		.amdhsa_exception_fp_ieee_overflow 0
		.amdhsa_exception_fp_ieee_underflow 0
		.amdhsa_exception_fp_ieee_inexact 0
		.amdhsa_exception_int_div_zero 0
	.end_amdhsa_kernel
	.section	.text._ZN7rocprim17ROCPRIM_400000_NS6detail17trampoline_kernelINS0_14default_configENS1_25partition_config_selectorILNS1_17partition_subalgoE9EllbEEZZNS1_14partition_implILS5_9ELb0ES3_jPlS8_PNS0_10empty_typeENS0_5tupleIJS8_S9_EEENSB_IJS8_SA_EEENS0_18inequality_wrapperIZN2at6native12_GLOBAL__N_124unique_dim_cuda_templateIsEESt5tupleIJNSF_6TensorESK_SK_EERKSK_lbbbEUlllE0_EEPmJS9_EEE10hipError_tPvRmT3_T4_T5_T6_T7_T9_mT8_P12ihipStream_tbDpT10_ENKUlT_T0_E_clISt17integral_constantIbLb1EES19_IbLb0EEEEDaS15_S16_EUlS15_E_NS1_11comp_targetILNS1_3genE5ELNS1_11target_archE942ELNS1_3gpuE9ELNS1_3repE0EEENS1_30default_config_static_selectorELNS0_4arch9wavefront6targetE1EEEvT1_,"axG",@progbits,_ZN7rocprim17ROCPRIM_400000_NS6detail17trampoline_kernelINS0_14default_configENS1_25partition_config_selectorILNS1_17partition_subalgoE9EllbEEZZNS1_14partition_implILS5_9ELb0ES3_jPlS8_PNS0_10empty_typeENS0_5tupleIJS8_S9_EEENSB_IJS8_SA_EEENS0_18inequality_wrapperIZN2at6native12_GLOBAL__N_124unique_dim_cuda_templateIsEESt5tupleIJNSF_6TensorESK_SK_EERKSK_lbbbEUlllE0_EEPmJS9_EEE10hipError_tPvRmT3_T4_T5_T6_T7_T9_mT8_P12ihipStream_tbDpT10_ENKUlT_T0_E_clISt17integral_constantIbLb1EES19_IbLb0EEEEDaS15_S16_EUlS15_E_NS1_11comp_targetILNS1_3genE5ELNS1_11target_archE942ELNS1_3gpuE9ELNS1_3repE0EEENS1_30default_config_static_selectorELNS0_4arch9wavefront6targetE1EEEvT1_,comdat
.Lfunc_end734:
	.size	_ZN7rocprim17ROCPRIM_400000_NS6detail17trampoline_kernelINS0_14default_configENS1_25partition_config_selectorILNS1_17partition_subalgoE9EllbEEZZNS1_14partition_implILS5_9ELb0ES3_jPlS8_PNS0_10empty_typeENS0_5tupleIJS8_S9_EEENSB_IJS8_SA_EEENS0_18inequality_wrapperIZN2at6native12_GLOBAL__N_124unique_dim_cuda_templateIsEESt5tupleIJNSF_6TensorESK_SK_EERKSK_lbbbEUlllE0_EEPmJS9_EEE10hipError_tPvRmT3_T4_T5_T6_T7_T9_mT8_P12ihipStream_tbDpT10_ENKUlT_T0_E_clISt17integral_constantIbLb1EES19_IbLb0EEEEDaS15_S16_EUlS15_E_NS1_11comp_targetILNS1_3genE5ELNS1_11target_archE942ELNS1_3gpuE9ELNS1_3repE0EEENS1_30default_config_static_selectorELNS0_4arch9wavefront6targetE1EEEvT1_, .Lfunc_end734-_ZN7rocprim17ROCPRIM_400000_NS6detail17trampoline_kernelINS0_14default_configENS1_25partition_config_selectorILNS1_17partition_subalgoE9EllbEEZZNS1_14partition_implILS5_9ELb0ES3_jPlS8_PNS0_10empty_typeENS0_5tupleIJS8_S9_EEENSB_IJS8_SA_EEENS0_18inequality_wrapperIZN2at6native12_GLOBAL__N_124unique_dim_cuda_templateIsEESt5tupleIJNSF_6TensorESK_SK_EERKSK_lbbbEUlllE0_EEPmJS9_EEE10hipError_tPvRmT3_T4_T5_T6_T7_T9_mT8_P12ihipStream_tbDpT10_ENKUlT_T0_E_clISt17integral_constantIbLb1EES19_IbLb0EEEEDaS15_S16_EUlS15_E_NS1_11comp_targetILNS1_3genE5ELNS1_11target_archE942ELNS1_3gpuE9ELNS1_3repE0EEENS1_30default_config_static_selectorELNS0_4arch9wavefront6targetE1EEEvT1_
                                        ; -- End function
	.section	.AMDGPU.csdata,"",@progbits
; Kernel info:
; codeLenInByte = 0
; NumSgprs: 4
; NumVgprs: 0
; NumAgprs: 0
; TotalNumVgprs: 0
; ScratchSize: 0
; MemoryBound: 0
; FloatMode: 240
; IeeeMode: 1
; LDSByteSize: 0 bytes/workgroup (compile time only)
; SGPRBlocks: 0
; VGPRBlocks: 0
; NumSGPRsForWavesPerEU: 4
; NumVGPRsForWavesPerEU: 1
; AccumOffset: 4
; Occupancy: 8
; WaveLimiterHint : 0
; COMPUTE_PGM_RSRC2:SCRATCH_EN: 0
; COMPUTE_PGM_RSRC2:USER_SGPR: 6
; COMPUTE_PGM_RSRC2:TRAP_HANDLER: 0
; COMPUTE_PGM_RSRC2:TGID_X_EN: 1
; COMPUTE_PGM_RSRC2:TGID_Y_EN: 0
; COMPUTE_PGM_RSRC2:TGID_Z_EN: 0
; COMPUTE_PGM_RSRC2:TIDIG_COMP_CNT: 0
; COMPUTE_PGM_RSRC3_GFX90A:ACCUM_OFFSET: 0
; COMPUTE_PGM_RSRC3_GFX90A:TG_SPLIT: 0
	.section	.text._ZN7rocprim17ROCPRIM_400000_NS6detail17trampoline_kernelINS0_14default_configENS1_25partition_config_selectorILNS1_17partition_subalgoE9EllbEEZZNS1_14partition_implILS5_9ELb0ES3_jPlS8_PNS0_10empty_typeENS0_5tupleIJS8_S9_EEENSB_IJS8_SA_EEENS0_18inequality_wrapperIZN2at6native12_GLOBAL__N_124unique_dim_cuda_templateIsEESt5tupleIJNSF_6TensorESK_SK_EERKSK_lbbbEUlllE0_EEPmJS9_EEE10hipError_tPvRmT3_T4_T5_T6_T7_T9_mT8_P12ihipStream_tbDpT10_ENKUlT_T0_E_clISt17integral_constantIbLb1EES19_IbLb0EEEEDaS15_S16_EUlS15_E_NS1_11comp_targetILNS1_3genE4ELNS1_11target_archE910ELNS1_3gpuE8ELNS1_3repE0EEENS1_30default_config_static_selectorELNS0_4arch9wavefront6targetE1EEEvT1_,"axG",@progbits,_ZN7rocprim17ROCPRIM_400000_NS6detail17trampoline_kernelINS0_14default_configENS1_25partition_config_selectorILNS1_17partition_subalgoE9EllbEEZZNS1_14partition_implILS5_9ELb0ES3_jPlS8_PNS0_10empty_typeENS0_5tupleIJS8_S9_EEENSB_IJS8_SA_EEENS0_18inequality_wrapperIZN2at6native12_GLOBAL__N_124unique_dim_cuda_templateIsEESt5tupleIJNSF_6TensorESK_SK_EERKSK_lbbbEUlllE0_EEPmJS9_EEE10hipError_tPvRmT3_T4_T5_T6_T7_T9_mT8_P12ihipStream_tbDpT10_ENKUlT_T0_E_clISt17integral_constantIbLb1EES19_IbLb0EEEEDaS15_S16_EUlS15_E_NS1_11comp_targetILNS1_3genE4ELNS1_11target_archE910ELNS1_3gpuE8ELNS1_3repE0EEENS1_30default_config_static_selectorELNS0_4arch9wavefront6targetE1EEEvT1_,comdat
	.globl	_ZN7rocprim17ROCPRIM_400000_NS6detail17trampoline_kernelINS0_14default_configENS1_25partition_config_selectorILNS1_17partition_subalgoE9EllbEEZZNS1_14partition_implILS5_9ELb0ES3_jPlS8_PNS0_10empty_typeENS0_5tupleIJS8_S9_EEENSB_IJS8_SA_EEENS0_18inequality_wrapperIZN2at6native12_GLOBAL__N_124unique_dim_cuda_templateIsEESt5tupleIJNSF_6TensorESK_SK_EERKSK_lbbbEUlllE0_EEPmJS9_EEE10hipError_tPvRmT3_T4_T5_T6_T7_T9_mT8_P12ihipStream_tbDpT10_ENKUlT_T0_E_clISt17integral_constantIbLb1EES19_IbLb0EEEEDaS15_S16_EUlS15_E_NS1_11comp_targetILNS1_3genE4ELNS1_11target_archE910ELNS1_3gpuE8ELNS1_3repE0EEENS1_30default_config_static_selectorELNS0_4arch9wavefront6targetE1EEEvT1_ ; -- Begin function _ZN7rocprim17ROCPRIM_400000_NS6detail17trampoline_kernelINS0_14default_configENS1_25partition_config_selectorILNS1_17partition_subalgoE9EllbEEZZNS1_14partition_implILS5_9ELb0ES3_jPlS8_PNS0_10empty_typeENS0_5tupleIJS8_S9_EEENSB_IJS8_SA_EEENS0_18inequality_wrapperIZN2at6native12_GLOBAL__N_124unique_dim_cuda_templateIsEESt5tupleIJNSF_6TensorESK_SK_EERKSK_lbbbEUlllE0_EEPmJS9_EEE10hipError_tPvRmT3_T4_T5_T6_T7_T9_mT8_P12ihipStream_tbDpT10_ENKUlT_T0_E_clISt17integral_constantIbLb1EES19_IbLb0EEEEDaS15_S16_EUlS15_E_NS1_11comp_targetILNS1_3genE4ELNS1_11target_archE910ELNS1_3gpuE8ELNS1_3repE0EEENS1_30default_config_static_selectorELNS0_4arch9wavefront6targetE1EEEvT1_
	.p2align	8
	.type	_ZN7rocprim17ROCPRIM_400000_NS6detail17trampoline_kernelINS0_14default_configENS1_25partition_config_selectorILNS1_17partition_subalgoE9EllbEEZZNS1_14partition_implILS5_9ELb0ES3_jPlS8_PNS0_10empty_typeENS0_5tupleIJS8_S9_EEENSB_IJS8_SA_EEENS0_18inequality_wrapperIZN2at6native12_GLOBAL__N_124unique_dim_cuda_templateIsEESt5tupleIJNSF_6TensorESK_SK_EERKSK_lbbbEUlllE0_EEPmJS9_EEE10hipError_tPvRmT3_T4_T5_T6_T7_T9_mT8_P12ihipStream_tbDpT10_ENKUlT_T0_E_clISt17integral_constantIbLb1EES19_IbLb0EEEEDaS15_S16_EUlS15_E_NS1_11comp_targetILNS1_3genE4ELNS1_11target_archE910ELNS1_3gpuE8ELNS1_3repE0EEENS1_30default_config_static_selectorELNS0_4arch9wavefront6targetE1EEEvT1_,@function
_ZN7rocprim17ROCPRIM_400000_NS6detail17trampoline_kernelINS0_14default_configENS1_25partition_config_selectorILNS1_17partition_subalgoE9EllbEEZZNS1_14partition_implILS5_9ELb0ES3_jPlS8_PNS0_10empty_typeENS0_5tupleIJS8_S9_EEENSB_IJS8_SA_EEENS0_18inequality_wrapperIZN2at6native12_GLOBAL__N_124unique_dim_cuda_templateIsEESt5tupleIJNSF_6TensorESK_SK_EERKSK_lbbbEUlllE0_EEPmJS9_EEE10hipError_tPvRmT3_T4_T5_T6_T7_T9_mT8_P12ihipStream_tbDpT10_ENKUlT_T0_E_clISt17integral_constantIbLb1EES19_IbLb0EEEEDaS15_S16_EUlS15_E_NS1_11comp_targetILNS1_3genE4ELNS1_11target_archE910ELNS1_3gpuE8ELNS1_3repE0EEENS1_30default_config_static_selectorELNS0_4arch9wavefront6targetE1EEEvT1_: ; @_ZN7rocprim17ROCPRIM_400000_NS6detail17trampoline_kernelINS0_14default_configENS1_25partition_config_selectorILNS1_17partition_subalgoE9EllbEEZZNS1_14partition_implILS5_9ELb0ES3_jPlS8_PNS0_10empty_typeENS0_5tupleIJS8_S9_EEENSB_IJS8_SA_EEENS0_18inequality_wrapperIZN2at6native12_GLOBAL__N_124unique_dim_cuda_templateIsEESt5tupleIJNSF_6TensorESK_SK_EERKSK_lbbbEUlllE0_EEPmJS9_EEE10hipError_tPvRmT3_T4_T5_T6_T7_T9_mT8_P12ihipStream_tbDpT10_ENKUlT_T0_E_clISt17integral_constantIbLb1EES19_IbLb0EEEEDaS15_S16_EUlS15_E_NS1_11comp_targetILNS1_3genE4ELNS1_11target_archE910ELNS1_3gpuE8ELNS1_3repE0EEENS1_30default_config_static_selectorELNS0_4arch9wavefront6targetE1EEEvT1_
; %bb.0:
	s_load_dwordx8 s[20:27], s[4:5], 0x40
	s_load_dwordx4 s[0:3], s[4:5], 0x8
	s_load_dwordx2 s[12:13], s[4:5], 0x18
	s_load_dword s9, s[4:5], 0x70
	v_lshrrev_b32_e32 v18, 2, v0
	s_waitcnt lgkmcnt(0)
	v_mov_b32_e32 v2, s24
	s_lshl_b64 s[14:15], s[2:3], 3
	s_add_u32 s18, s0, s14
	s_addc_u32 s19, s1, s15
	s_add_i32 s10, s9, -1
	s_lshl_b32 s0, s10, 9
	s_add_i32 s0, s2, s0
	s_lshl_b32 s8, s6, 9
	s_sub_i32 s7, s24, s0
	s_lshl_b32 s0, s9, 9
	s_add_u32 s0, s2, s0
	s_addc_u32 s1, s3, 0
	v_mov_b32_e32 v3, s25
	s_cmp_eq_u32 s6, s10
	s_load_dwordx2 s[22:23], s[22:23], 0x0
	v_cmp_ge_u64_e32 vcc, s[0:1], v[2:3]
	s_cselect_b64 s[24:25], -1, 0
	s_mov_b32 s9, 0
	s_and_b64 s[10:11], s[24:25], vcc
	s_xor_b64 s[34:35], s[10:11], -1
	s_lshl_b64 s[16:17], s[8:9], 3
	s_add_u32 s8, s18, s16
	s_mov_b64 s[0:1], -1
	s_addc_u32 s9, s19, s17
	s_and_b64 vcc, exec, s[34:35]
	s_cbranch_vccz .LBB735_2
; %bb.1:
	v_lshlrev_b32_e32 v1, 3, v0
	global_load_dwordx2 v[2:3], v1, s[8:9]
	global_load_dwordx2 v[4:5], v1, s[8:9] offset:1024
	global_load_dwordx2 v[6:7], v1, s[8:9] offset:2048
	;; [unrolled: 1-line block ×3, first 2 shown]
	v_or_b32_e32 v11, 0x80, v0
	v_or_b32_e32 v12, 0x100, v0
	v_or_b32_e32 v13, 0x180, v0
	v_and_b32_e32 v10, 24, v18
	v_lshrrev_b32_e32 v11, 2, v11
	v_lshrrev_b32_e32 v12, 2, v12
	;; [unrolled: 1-line block ×3, first 2 shown]
	v_add_u32_e32 v10, v10, v1
	v_and_b32_e32 v11, 56, v11
	v_and_b32_e32 v12, 0x58, v12
	;; [unrolled: 1-line block ×3, first 2 shown]
	v_add_u32_e32 v11, v11, v1
	v_add_u32_e32 v12, v12, v1
	v_add_u32_e32 v1, v13, v1
	s_mov_b64 s[0:1], 0
	s_waitcnt vmcnt(3)
	ds_write_b64 v10, v[2:3]
	s_waitcnt vmcnt(2)
	ds_write_b64 v11, v[4:5] offset:1024
	s_waitcnt vmcnt(1)
	ds_write_b64 v12, v[6:7] offset:2048
	;; [unrolled: 2-line block ×3, first 2 shown]
	s_waitcnt lgkmcnt(0)
	s_barrier
.LBB735_2:
	s_load_dwordx4 s[28:31], s[4:5], 0x60
	s_andn2_b64 vcc, exec, s[0:1]
	v_cmp_gt_u32_e64 s[0:1], s7, v0
	s_cbranch_vccnz .LBB735_12
; %bb.3:
                                        ; implicit-def: $vgpr2_vgpr3_vgpr4_vgpr5_vgpr6_vgpr7_vgpr8_vgpr9
	s_and_saveexec_b64 s[18:19], s[0:1]
	s_cbranch_execz .LBB735_5
; %bb.4:
	v_lshlrev_b32_e32 v1, 3, v0
	global_load_dwordx2 v[2:3], v1, s[8:9]
.LBB735_5:
	s_or_b64 exec, exec, s[18:19]
	v_or_b32_e32 v1, 0x80, v0
	v_cmp_gt_u32_e32 vcc, s7, v1
	s_and_saveexec_b64 s[0:1], vcc
	s_cbranch_execz .LBB735_7
; %bb.6:
	v_lshlrev_b32_e32 v4, 3, v0
	global_load_dwordx2 v[4:5], v4, s[8:9] offset:1024
.LBB735_7:
	s_or_b64 exec, exec, s[0:1]
	v_or_b32_e32 v10, 0x100, v0
	v_cmp_gt_u32_e32 vcc, s7, v10
	s_and_saveexec_b64 s[0:1], vcc
	s_cbranch_execz .LBB735_9
; %bb.8:
	v_lshlrev_b32_e32 v6, 3, v0
	global_load_dwordx2 v[6:7], v6, s[8:9] offset:2048
.LBB735_9:
	;; [unrolled: 9-line block ×3, first 2 shown]
	s_or_b64 exec, exec, s[0:1]
	v_lshrrev_b32_e32 v1, 2, v1
	v_lshlrev_b32_e32 v13, 3, v0
	v_and_b32_e32 v1, 56, v1
	v_add_u32_e32 v1, v1, v13
	s_waitcnt vmcnt(0)
	ds_write_b64 v1, v[4:5] offset:1024
	v_lshrrev_b32_e32 v1, 2, v10
	v_and_b32_e32 v1, 0x78, v1
	v_add_u32_e32 v1, v1, v13
	ds_write_b64 v1, v[6:7] offset:2048
	v_lshrrev_b32_e32 v1, 2, v11
	v_and_b32_e32 v12, 24, v18
	v_and_b32_e32 v1, 0x78, v1
	v_add_u32_e32 v12, v12, v13
	v_add_u32_e32 v1, v1, v13
	ds_write_b64 v12, v[2:3]
	ds_write_b64 v1, v[8:9] offset:3072
	s_waitcnt lgkmcnt(0)
	s_barrier
.LBB735_12:
	v_lshlrev_b32_e32 v1, 2, v0
	v_lshrrev_b32_e32 v2, 3, v0
	v_add_lshl_u32 v19, v2, v1, 3
	s_waitcnt lgkmcnt(0)
	ds_read2_b64 v[14:17], v19 offset1:1
	ds_read2_b64 v[10:13], v19 offset0:2 offset1:3
	s_add_u32 s0, s12, s14
	s_addc_u32 s1, s13, s15
	s_add_u32 s0, s0, s16
	s_addc_u32 s1, s1, s17
	s_mov_b64 s[12:13], -1
	s_and_b64 vcc, exec, s[34:35]
	s_waitcnt lgkmcnt(0)
	s_barrier
	s_cbranch_vccz .LBB735_14
; %bb.13:
	v_lshlrev_b32_e32 v20, 3, v0
	global_load_dwordx2 v[2:3], v20, s[0:1]
	global_load_dwordx2 v[4:5], v20, s[0:1] offset:1024
	global_load_dwordx2 v[6:7], v20, s[0:1] offset:2048
	global_load_dwordx2 v[8:9], v20, s[0:1] offset:3072
	v_or_b32_e32 v22, 0x80, v0
	v_or_b32_e32 v23, 0x100, v0
	;; [unrolled: 1-line block ×3, first 2 shown]
	v_and_b32_e32 v21, 24, v18
	v_lshrrev_b32_e32 v22, 2, v22
	v_lshrrev_b32_e32 v23, 2, v23
	;; [unrolled: 1-line block ×3, first 2 shown]
	v_add_u32_e32 v21, v21, v20
	v_and_b32_e32 v22, 56, v22
	v_and_b32_e32 v23, 0x58, v23
	;; [unrolled: 1-line block ×3, first 2 shown]
	v_add_u32_e32 v22, v22, v20
	v_add_u32_e32 v23, v23, v20
	;; [unrolled: 1-line block ×3, first 2 shown]
	s_mov_b64 s[12:13], 0
	s_waitcnt vmcnt(3)
	ds_write_b64 v21, v[2:3]
	s_waitcnt vmcnt(2)
	ds_write_b64 v22, v[4:5] offset:1024
	s_waitcnt vmcnt(1)
	ds_write_b64 v23, v[6:7] offset:2048
	;; [unrolled: 2-line block ×3, first 2 shown]
	s_waitcnt lgkmcnt(0)
	s_barrier
.LBB735_14:
	s_andn2_b64 vcc, exec, s[12:13]
	s_cbranch_vccnz .LBB735_24
; %bb.15:
	v_cmp_gt_u32_e32 vcc, s7, v0
                                        ; implicit-def: $vgpr2_vgpr3
	s_and_saveexec_b64 s[12:13], vcc
	s_cbranch_execz .LBB735_17
; %bb.16:
	v_lshlrev_b32_e32 v2, 3, v0
	global_load_dwordx2 v[2:3], v2, s[0:1]
.LBB735_17:
	s_or_b64 exec, exec, s[12:13]
	v_or_b32_e32 v20, 0x80, v0
	v_cmp_gt_u32_e32 vcc, s7, v20
                                        ; implicit-def: $vgpr4_vgpr5
	s_and_saveexec_b64 s[12:13], vcc
	s_cbranch_execz .LBB735_19
; %bb.18:
	v_lshlrev_b32_e32 v4, 3, v0
	global_load_dwordx2 v[4:5], v4, s[0:1] offset:1024
.LBB735_19:
	s_or_b64 exec, exec, s[12:13]
	v_or_b32_e32 v21, 0x100, v0
	v_cmp_gt_u32_e32 vcc, s7, v21
                                        ; implicit-def: $vgpr6_vgpr7
	s_and_saveexec_b64 s[12:13], vcc
	s_cbranch_execz .LBB735_21
; %bb.20:
	v_lshlrev_b32_e32 v6, 3, v0
	global_load_dwordx2 v[6:7], v6, s[0:1] offset:2048
.LBB735_21:
	s_or_b64 exec, exec, s[12:13]
	v_or_b32_e32 v22, 0x180, v0
	v_cmp_gt_u32_e32 vcc, s7, v22
                                        ; implicit-def: $vgpr8_vgpr9
	s_and_saveexec_b64 s[12:13], vcc
	s_cbranch_execz .LBB735_23
; %bb.22:
	v_lshlrev_b32_e32 v8, 3, v0
	global_load_dwordx2 v[8:9], v8, s[0:1] offset:3072
.LBB735_23:
	s_or_b64 exec, exec, s[12:13]
	v_and_b32_e32 v18, 24, v18
	v_lshlrev_b32_e32 v23, 3, v0
	v_add_u32_e32 v18, v18, v23
	s_waitcnt vmcnt(0)
	ds_write_b64 v18, v[2:3]
	v_lshrrev_b32_e32 v2, 2, v20
	v_and_b32_e32 v2, 56, v2
	v_add_u32_e32 v2, v2, v23
	ds_write_b64 v2, v[4:5] offset:1024
	v_lshrrev_b32_e32 v2, 2, v21
	v_and_b32_e32 v2, 0x78, v2
	v_add_u32_e32 v2, v2, v23
	ds_write_b64 v2, v[6:7] offset:2048
	;; [unrolled: 4-line block ×3, first 2 shown]
	s_waitcnt lgkmcnt(0)
	s_barrier
.LBB735_24:
	ds_read2_b64 v[6:9], v19 offset1:1
	ds_read2_b64 v[2:5], v19 offset0:2 offset1:3
	s_cmp_lg_u32 s6, 0
	s_cselect_b64 s[16:17], -1, 0
	s_cmp_lg_u64 s[2:3], 0
	s_cselect_b64 s[0:1], -1, 0
	s_or_b64 s[0:1], s[16:17], s[0:1]
	s_mov_b64 s[12:13], 0
	s_and_b64 vcc, exec, s[0:1]
	v_cmp_gt_i64_e64 s[0:1], s[26:27], 0
	s_waitcnt lgkmcnt(0)
	s_barrier
	s_cbranch_vccz .LBB735_33
; %bb.25:
	s_add_u32 s2, s8, -8
	s_addc_u32 s3, s9, -1
	s_load_dwordx2 s[12:13], s[2:3], 0x0
	v_cndmask_b32_e64 v18, 0, 1, s[0:1]
	v_lshlrev_b32_e32 v26, 3, v0
	s_mov_b64 s[14:15], 0
	s_and_b64 vcc, exec, s[34:35]
	v_cmp_ne_u32_e64 s[0:1], 1, v18
	ds_write_b64 v26, v[12:13]
	s_cbranch_vccz .LBB735_34
; %bb.26:
	v_mul_lo_u32 v20, v11, s26
	v_mul_lo_u32 v21, v10, s27
	v_mad_u64_u32 v[18:19], s[2:3], v10, s26, 0
	v_add3_u32 v19, v19, v21, v20
	s_and_b64 vcc, exec, s[0:1]
	v_lshlrev_b64 v[18:19], 1, v[18:19]
	s_cbranch_vccnz .LBB735_37
; %bb.27:
	v_mul_lo_u32 v22, v13, s26
	v_mul_lo_u32 v23, v12, s27
	v_mad_u64_u32 v[20:21], s[2:3], v12, s26, 0
	v_add3_u32 v21, v21, v23, v22
	v_mov_b32_e32 v23, s29
	v_add_co_u32_e32 v22, vcc, s28, v18
	v_addc_co_u32_e64 v23, s[2:3], v23, v19, vcc
	v_lshlrev_b64 v[20:21], 1, v[20:21]
	v_mov_b32_e32 v25, s29
	v_add_co_u32_e64 v24, s[2:3], s28, v20
	v_addc_co_u32_e64 v25, s[8:9], v25, v21, s[2:3]
	global_load_ushort v20, v[22:23], off
	global_load_ushort v27, v[24:25], off
	s_mov_b64 s[14:15], -1
	s_waitcnt vmcnt(0)
	v_cmp_eq_u16_e64 s[8:9], v20, v27
	s_and_saveexec_b64 s[18:19], s[8:9]
	s_cbranch_execz .LBB735_36
; %bb.28:
	v_mov_b32_e32 v20, s29
	v_addc_co_u32_e64 v21, s[2:3], v21, v20, s[2:3]
	v_add_co_u32_e64 v20, s[2:3], 2, v24
	v_mov_b32_e32 v23, s29
	v_addc_co_u32_e64 v21, s[2:3], 0, v21, s[2:3]
	v_addc_co_u32_e32 v23, vcc, v19, v23, vcc
	v_add_co_u32_e32 v22, vcc, 2, v22
	s_add_u32 s2, s26, -1
	v_addc_co_u32_e32 v23, vcc, 0, v23, vcc
	s_addc_u32 s3, s27, -1
	s_mov_b64 s[8:9], 0
	s_mov_b64 s[36:37], 0
                                        ; implicit-def: $sgpr14_sgpr15
	s_branch .LBB735_31
.LBB735_29:                             ;   in Loop: Header=BB735_31 Depth=1
	global_load_ushort v24, v[22:23], off
	global_load_ushort v25, v[20:21], off
	v_add_co_u32_e32 v20, vcc, 2, v20
	v_addc_co_u32_e32 v21, vcc, 0, v21, vcc
	v_add_co_u32_e32 v22, vcc, 2, v22
	v_addc_co_u32_e32 v23, vcc, 0, v23, vcc
	s_add_u32 s36, s36, 1
	s_addc_u32 s37, s37, 0
	s_andn2_b64 s[14:15], s[14:15], exec
	s_waitcnt vmcnt(0)
	v_cmp_ne_u16_e32 vcc, v24, v25
	s_and_b64 s[38:39], vcc, exec
	s_or_b64 s[14:15], s[14:15], s[38:39]
.LBB735_30:                             ;   in Loop: Header=BB735_31 Depth=1
	s_and_b64 s[38:39], exec, s[14:15]
	s_or_b64 s[8:9], s[38:39], s[8:9]
	v_pk_mov_b32 v[24:25], s[36:37], s[36:37] op_sel:[0,1]
	s_andn2_b64 exec, exec, s[8:9]
	s_cbranch_execz .LBB735_35
.LBB735_31:                             ; =>This Inner Loop Header: Depth=1
	s_or_b64 s[14:15], s[14:15], exec
	s_cmp_eq_u64 s[2:3], s[36:37]
	s_cbranch_scc0 .LBB735_29
; %bb.32:                               ;   in Loop: Header=BB735_31 Depth=1
                                        ; implicit-def: $vgpr20_vgpr21
                                        ; implicit-def: $vgpr22_vgpr23
	s_mov_b64 s[36:37], s[26:27]
	s_branch .LBB735_30
.LBB735_33:
                                        ; implicit-def: $sgpr18_sgpr19
                                        ; implicit-def: $vgpr28
	s_branch .LBB735_115
.LBB735_34:
                                        ; implicit-def: $sgpr18_sgpr19
                                        ; implicit-def: $vgpr28
	s_cbranch_execnz .LBB735_67
	s_branch .LBB735_114
.LBB735_35:
	s_or_b64 exec, exec, s[8:9]
	v_cmp_gt_i64_e32 vcc, s[26:27], v[24:25]
	s_orn2_b64 s[14:15], vcc, exec
.LBB735_36:
	s_or_b64 exec, exec, s[18:19]
.LBB735_37:
	v_mul_lo_u32 v22, v17, s26
	v_mul_lo_u32 v23, v16, s27
	v_mad_u64_u32 v[20:21], s[2:3], v16, s26, 0
	v_add3_u32 v21, v21, v23, v22
	s_mov_b64 s[18:19], 0
	s_and_b64 vcc, exec, s[0:1]
	v_lshlrev_b64 v[20:21], 1, v[20:21]
	s_mov_b64 s[36:37], 0
	s_cbranch_vccnz .LBB735_46
; %bb.38:
	v_mov_b32_e32 v23, s29
	v_add_co_u32_e32 v22, vcc, s28, v20
	v_addc_co_u32_e64 v23, s[2:3], v23, v21, vcc
	v_mov_b32_e32 v25, s29
	v_add_co_u32_e64 v24, s[2:3], s28, v18
	v_addc_co_u32_e64 v25, s[8:9], v25, v19, s[2:3]
	global_load_ushort v18, v[22:23], off
	global_load_ushort v27, v[24:25], off
	s_mov_b64 s[36:37], -1
	s_waitcnt vmcnt(0)
	v_cmp_eq_u16_e64 s[8:9], v18, v27
	s_and_saveexec_b64 s[38:39], s[8:9]
	s_cbranch_execz .LBB735_45
; %bb.39:
	v_mov_b32_e32 v18, s29
	v_addc_co_u32_e64 v19, s[2:3], v19, v18, s[2:3]
	v_add_co_u32_e64 v18, s[2:3], 2, v24
	v_mov_b32_e32 v23, s29
	v_addc_co_u32_e64 v19, s[2:3], 0, v19, s[2:3]
	v_addc_co_u32_e32 v23, vcc, v21, v23, vcc
	v_add_co_u32_e32 v22, vcc, 2, v22
	s_add_u32 s2, s26, -1
	v_addc_co_u32_e32 v23, vcc, 0, v23, vcc
	s_addc_u32 s3, s27, -1
	s_mov_b64 s[8:9], 0
	s_mov_b64 s[40:41], 0
                                        ; implicit-def: $sgpr36_sgpr37
	s_branch .LBB735_42
.LBB735_40:                             ;   in Loop: Header=BB735_42 Depth=1
	global_load_ushort v24, v[22:23], off
	global_load_ushort v25, v[18:19], off
	v_add_co_u32_e32 v18, vcc, 2, v18
	v_addc_co_u32_e32 v19, vcc, 0, v19, vcc
	v_add_co_u32_e32 v22, vcc, 2, v22
	v_addc_co_u32_e32 v23, vcc, 0, v23, vcc
	s_add_u32 s40, s40, 1
	s_addc_u32 s41, s41, 0
	s_andn2_b64 s[36:37], s[36:37], exec
	s_waitcnt vmcnt(0)
	v_cmp_ne_u16_e32 vcc, v24, v25
	s_and_b64 s[42:43], vcc, exec
	s_or_b64 s[36:37], s[36:37], s[42:43]
.LBB735_41:                             ;   in Loop: Header=BB735_42 Depth=1
	s_and_b64 s[42:43], exec, s[36:37]
	s_or_b64 s[8:9], s[42:43], s[8:9]
	v_pk_mov_b32 v[24:25], s[40:41], s[40:41] op_sel:[0,1]
	s_andn2_b64 exec, exec, s[8:9]
	s_cbranch_execz .LBB735_44
.LBB735_42:                             ; =>This Inner Loop Header: Depth=1
	s_or_b64 s[36:37], s[36:37], exec
	s_cmp_eq_u64 s[2:3], s[40:41]
	s_cbranch_scc0 .LBB735_40
; %bb.43:                               ;   in Loop: Header=BB735_42 Depth=1
                                        ; implicit-def: $vgpr18_vgpr19
                                        ; implicit-def: $vgpr22_vgpr23
	s_mov_b64 s[40:41], s[26:27]
	s_branch .LBB735_41
.LBB735_44:
	s_or_b64 exec, exec, s[8:9]
	v_cmp_gt_i64_e32 vcc, s[26:27], v[24:25]
	s_orn2_b64 s[36:37], vcc, exec
.LBB735_45:
	s_or_b64 exec, exec, s[38:39]
.LBB735_46:
	v_mul_lo_u32 v22, v15, s26
	v_mul_lo_u32 v23, v14, s27
	v_mad_u64_u32 v[18:19], s[2:3], v14, s26, 0
	v_add3_u32 v19, v19, v23, v22
	s_and_b64 vcc, exec, s[0:1]
	v_lshlrev_b64 v[18:19], 1, v[18:19]
	s_cbranch_vccnz .LBB735_55
; %bb.47:
	v_mov_b32_e32 v23, s29
	v_add_co_u32_e32 v22, vcc, s28, v18
	v_addc_co_u32_e64 v23, s[2:3], v23, v19, vcc
	v_mov_b32_e32 v25, s29
	v_add_co_u32_e64 v24, s[2:3], s28, v20
	v_addc_co_u32_e64 v25, s[8:9], v25, v21, s[2:3]
	global_load_ushort v20, v[22:23], off
	global_load_ushort v27, v[24:25], off
	s_mov_b64 s[18:19], -1
	s_waitcnt vmcnt(0)
	v_cmp_eq_u16_e64 s[8:9], v20, v27
	s_and_saveexec_b64 s[38:39], s[8:9]
	s_cbranch_execz .LBB735_54
; %bb.48:
	v_mov_b32_e32 v20, s29
	v_addc_co_u32_e64 v21, s[2:3], v21, v20, s[2:3]
	v_add_co_u32_e64 v20, s[2:3], 2, v24
	v_mov_b32_e32 v23, s29
	v_addc_co_u32_e64 v21, s[2:3], 0, v21, s[2:3]
	v_addc_co_u32_e32 v23, vcc, v19, v23, vcc
	v_add_co_u32_e32 v22, vcc, 2, v22
	s_add_u32 s2, s26, -1
	v_addc_co_u32_e32 v23, vcc, 0, v23, vcc
	s_addc_u32 s3, s27, -1
	s_mov_b64 s[8:9], 0
	s_mov_b64 s[40:41], 0
                                        ; implicit-def: $sgpr18_sgpr19
	s_branch .LBB735_51
.LBB735_49:                             ;   in Loop: Header=BB735_51 Depth=1
	global_load_ushort v24, v[22:23], off
	global_load_ushort v25, v[20:21], off
	v_add_co_u32_e32 v20, vcc, 2, v20
	v_addc_co_u32_e32 v21, vcc, 0, v21, vcc
	v_add_co_u32_e32 v22, vcc, 2, v22
	v_addc_co_u32_e32 v23, vcc, 0, v23, vcc
	s_add_u32 s40, s40, 1
	s_addc_u32 s41, s41, 0
	s_andn2_b64 s[18:19], s[18:19], exec
	s_waitcnt vmcnt(0)
	v_cmp_ne_u16_e32 vcc, v24, v25
	s_and_b64 s[42:43], vcc, exec
	s_or_b64 s[18:19], s[18:19], s[42:43]
.LBB735_50:                             ;   in Loop: Header=BB735_51 Depth=1
	s_and_b64 s[42:43], exec, s[18:19]
	s_or_b64 s[8:9], s[42:43], s[8:9]
	v_pk_mov_b32 v[24:25], s[40:41], s[40:41] op_sel:[0,1]
	s_andn2_b64 exec, exec, s[8:9]
	s_cbranch_execz .LBB735_53
.LBB735_51:                             ; =>This Inner Loop Header: Depth=1
	s_or_b64 s[18:19], s[18:19], exec
	s_cmp_eq_u64 s[2:3], s[40:41]
	s_cbranch_scc0 .LBB735_49
; %bb.52:                               ;   in Loop: Header=BB735_51 Depth=1
                                        ; implicit-def: $vgpr20_vgpr21
                                        ; implicit-def: $vgpr22_vgpr23
	s_mov_b64 s[40:41], s[26:27]
	s_branch .LBB735_50
.LBB735_53:
	s_or_b64 exec, exec, s[8:9]
	v_cmp_gt_i64_e32 vcc, s[26:27], v[24:25]
	s_orn2_b64 s[18:19], vcc, exec
.LBB735_54:
	s_or_b64 exec, exec, s[38:39]
.LBB735_55:
	v_cmp_ne_u32_e32 vcc, 0, v0
	s_waitcnt lgkmcnt(0)
	v_pk_mov_b32 v[20:21], s[12:13], s[12:13] op_sel:[0,1]
	s_barrier
	s_and_saveexec_b64 s[2:3], vcc
	s_cbranch_execz .LBB735_57
; %bb.56:
	v_add_u32_e32 v20, -8, v26
	ds_read_b64 v[20:21], v20
.LBB735_57:
	s_or_b64 exec, exec, s[2:3]
	v_cndmask_b32_e64 v23, 0, 1, s[14:15]
	v_cndmask_b32_e64 v22, 0, 1, s[36:37]
	;; [unrolled: 1-line block ×3, first 2 shown]
	v_lshlrev_b16_e32 v23, 8, v23
	v_lshlrev_b16_e32 v27, 8, v24
	v_or_b32_sdwa v28, v22, v23 dst_sel:WORD_1 dst_unused:UNUSED_PAD src0_sel:DWORD src1_sel:DWORD
	s_mov_b64 s[14:15], 0
	s_and_b64 vcc, exec, s[0:1]
	s_mov_b64 s[18:19], 0
	s_cbranch_vccnz .LBB735_66
; %bb.58:
	s_waitcnt lgkmcnt(0)
	v_mul_lo_u32 v22, v21, s26
	v_mul_lo_u32 v23, v20, s27
	v_mad_u64_u32 v[20:21], s[2:3], v20, s26, 0
	v_add3_u32 v21, v21, v23, v22
	v_lshlrev_b64 v[20:21], 1, v[20:21]
	v_mov_b32_e32 v23, s29
	v_add_co_u32_e32 v22, vcc, s28, v20
	v_addc_co_u32_e64 v23, s[2:3], v23, v21, vcc
	v_mov_b32_e32 v20, s29
	v_add_co_u32_e64 v24, s[2:3], s28, v18
	v_addc_co_u32_e64 v25, s[8:9], v20, v19, s[2:3]
	global_load_ushort v18, v[22:23], off
	global_load_ushort v20, v[24:25], off
	s_mov_b64 s[18:19], -1
	s_waitcnt vmcnt(0)
	v_cmp_eq_u16_e64 s[8:9], v18, v20
	s_and_saveexec_b64 s[36:37], s[8:9]
	s_cbranch_execz .LBB735_65
; %bb.59:
	v_mov_b32_e32 v18, s29
	v_addc_co_u32_e64 v19, s[2:3], v19, v18, s[2:3]
	v_add_co_u32_e64 v18, s[2:3], 2, v24
	v_mov_b32_e32 v20, s29
	v_addc_co_u32_e64 v19, s[2:3], 0, v19, s[2:3]
	v_addc_co_u32_e32 v21, vcc, v21, v20, vcc
	v_add_co_u32_e32 v20, vcc, 2, v22
	s_add_u32 s2, s26, -1
	v_addc_co_u32_e32 v21, vcc, 0, v21, vcc
	s_addc_u32 s3, s27, -1
	s_mov_b64 s[8:9], 0
	s_mov_b64 s[38:39], 0
                                        ; implicit-def: $sgpr18_sgpr19
	s_branch .LBB735_62
.LBB735_60:                             ;   in Loop: Header=BB735_62 Depth=1
	global_load_ushort v22, v[20:21], off
	global_load_ushort v23, v[18:19], off
	v_add_co_u32_e32 v18, vcc, 2, v18
	v_addc_co_u32_e32 v19, vcc, 0, v19, vcc
	v_add_co_u32_e32 v20, vcc, 2, v20
	v_addc_co_u32_e32 v21, vcc, 0, v21, vcc
	s_add_u32 s38, s38, 1
	s_addc_u32 s39, s39, 0
	s_andn2_b64 s[18:19], s[18:19], exec
	s_waitcnt vmcnt(0)
	v_cmp_ne_u16_e32 vcc, v22, v23
	s_and_b64 s[40:41], vcc, exec
	s_or_b64 s[18:19], s[18:19], s[40:41]
.LBB735_61:                             ;   in Loop: Header=BB735_62 Depth=1
	s_and_b64 s[40:41], exec, s[18:19]
	s_or_b64 s[8:9], s[40:41], s[8:9]
	v_pk_mov_b32 v[22:23], s[38:39], s[38:39] op_sel:[0,1]
	s_andn2_b64 exec, exec, s[8:9]
	s_cbranch_execz .LBB735_64
.LBB735_62:                             ; =>This Inner Loop Header: Depth=1
	s_or_b64 s[18:19], s[18:19], exec
	s_cmp_eq_u64 s[2:3], s[38:39]
	s_cbranch_scc0 .LBB735_60
; %bb.63:                               ;   in Loop: Header=BB735_62 Depth=1
                                        ; implicit-def: $vgpr18_vgpr19
                                        ; implicit-def: $vgpr20_vgpr21
	s_mov_b64 s[38:39], s[26:27]
	s_branch .LBB735_61
.LBB735_64:
	s_or_b64 exec, exec, s[8:9]
	v_cmp_gt_i64_e32 vcc, s[26:27], v[22:23]
	s_orn2_b64 s[18:19], vcc, exec
.LBB735_65:
	s_or_b64 exec, exec, s[36:37]
.LBB735_66:
	v_or_b32_e32 v28, v27, v28
	s_and_b64 vcc, exec, s[14:15]
	s_cbranch_vccz .LBB735_114
.LBB735_67:
	v_or_b32_e32 v18, 3, v1
	v_cmp_gt_u32_e32 vcc, s7, v18
	s_mov_b64 s[18:19], 0
	s_mov_b64 s[14:15], 0
	s_and_saveexec_b64 s[36:37], vcc
	s_cbranch_execz .LBB735_78
; %bb.68:
	s_and_b64 vcc, exec, s[0:1]
	s_mov_b64 s[38:39], 0
	s_cbranch_vccnz .LBB735_77
; %bb.69:
	s_waitcnt lgkmcnt(0)
	v_mul_lo_u32 v20, v11, s26
	v_mul_lo_u32 v21, v10, s27
	v_mad_u64_u32 v[18:19], s[2:3], v10, s26, 0
	v_add3_u32 v19, v19, v21, v20
	v_mul_lo_u32 v20, v13, s26
	v_mul_lo_u32 v21, v12, s27
	v_mad_u64_u32 v[24:25], s[2:3], v12, s26, 0
	v_add3_u32 v25, v25, v21, v20
	v_lshlrev_b64 v[20:21], 1, v[18:19]
	v_mov_b32_e32 v18, s29
	v_add_co_u32_e32 v22, vcc, s28, v20
	v_addc_co_u32_e64 v23, s[2:3], v18, v21, vcc
	v_lshlrev_b64 v[18:19], 1, v[24:25]
	v_mov_b32_e32 v20, s29
	v_add_co_u32_e64 v24, s[2:3], s28, v18
	v_addc_co_u32_e64 v25, s[8:9], v20, v19, s[2:3]
	global_load_ushort v18, v[22:23], off
	global_load_ushort v20, v[24:25], off
	s_mov_b64 s[38:39], -1
	s_waitcnt vmcnt(0)
	v_cmp_eq_u16_e64 s[8:9], v18, v20
	s_and_saveexec_b64 s[14:15], s[8:9]
	s_cbranch_execz .LBB735_76
; %bb.70:
	v_mov_b32_e32 v18, s29
	v_addc_co_u32_e64 v19, s[2:3], v19, v18, s[2:3]
	v_add_co_u32_e64 v18, s[2:3], 2, v24
	v_mov_b32_e32 v20, s29
	v_addc_co_u32_e64 v19, s[2:3], 0, v19, s[2:3]
	v_addc_co_u32_e32 v21, vcc, v21, v20, vcc
	v_add_co_u32_e32 v20, vcc, 2, v22
	s_add_u32 s2, s26, -1
	v_addc_co_u32_e32 v21, vcc, 0, v21, vcc
	s_addc_u32 s3, s27, -1
	s_mov_b64 s[8:9], 0
	s_mov_b64 s[40:41], 0
                                        ; implicit-def: $sgpr38_sgpr39
	s_branch .LBB735_73
.LBB735_71:                             ;   in Loop: Header=BB735_73 Depth=1
	global_load_ushort v22, v[20:21], off
	global_load_ushort v23, v[18:19], off
	v_add_co_u32_e32 v18, vcc, 2, v18
	v_addc_co_u32_e32 v19, vcc, 0, v19, vcc
	v_add_co_u32_e32 v20, vcc, 2, v20
	v_addc_co_u32_e32 v21, vcc, 0, v21, vcc
	s_add_u32 s40, s40, 1
	s_addc_u32 s41, s41, 0
	s_andn2_b64 s[38:39], s[38:39], exec
	s_waitcnt vmcnt(0)
	v_cmp_ne_u16_e32 vcc, v22, v23
	s_and_b64 s[42:43], vcc, exec
	s_or_b64 s[38:39], s[38:39], s[42:43]
.LBB735_72:                             ;   in Loop: Header=BB735_73 Depth=1
	s_and_b64 s[42:43], exec, s[38:39]
	s_or_b64 s[8:9], s[42:43], s[8:9]
	v_pk_mov_b32 v[22:23], s[40:41], s[40:41] op_sel:[0,1]
	s_andn2_b64 exec, exec, s[8:9]
	s_cbranch_execz .LBB735_75
.LBB735_73:                             ; =>This Inner Loop Header: Depth=1
	s_or_b64 s[38:39], s[38:39], exec
	s_cmp_eq_u64 s[2:3], s[40:41]
	s_cbranch_scc0 .LBB735_71
; %bb.74:                               ;   in Loop: Header=BB735_73 Depth=1
                                        ; implicit-def: $vgpr18_vgpr19
                                        ; implicit-def: $vgpr20_vgpr21
	s_mov_b64 s[40:41], s[26:27]
	s_branch .LBB735_72
.LBB735_75:
	s_or_b64 exec, exec, s[8:9]
	v_cmp_gt_i64_e32 vcc, s[26:27], v[22:23]
	s_orn2_b64 s[38:39], vcc, exec
.LBB735_76:
	s_or_b64 exec, exec, s[14:15]
.LBB735_77:
	s_and_b64 s[14:15], s[38:39], exec
.LBB735_78:
	s_or_b64 exec, exec, s[36:37]
	v_or_b32_e32 v18, 2, v1
	v_cmp_gt_u32_e32 vcc, s7, v18
	s_and_saveexec_b64 s[36:37], vcc
	s_cbranch_execz .LBB735_89
; %bb.79:
	s_and_b64 vcc, exec, s[0:1]
	s_mov_b64 s[38:39], 0
	s_cbranch_vccnz .LBB735_88
; %bb.80:
	s_waitcnt lgkmcnt(0)
	v_mul_lo_u32 v20, v17, s26
	v_mul_lo_u32 v21, v16, s27
	v_mad_u64_u32 v[18:19], s[2:3], v16, s26, 0
	v_add3_u32 v19, v19, v21, v20
	v_mul_lo_u32 v20, v11, s26
	v_mul_lo_u32 v21, v10, s27
	v_mad_u64_u32 v[24:25], s[2:3], v10, s26, 0
	v_add3_u32 v25, v25, v21, v20
	v_lshlrev_b64 v[20:21], 1, v[18:19]
	v_mov_b32_e32 v18, s29
	v_add_co_u32_e32 v22, vcc, s28, v20
	v_addc_co_u32_e64 v23, s[2:3], v18, v21, vcc
	v_lshlrev_b64 v[18:19], 1, v[24:25]
	v_mov_b32_e32 v20, s29
	v_add_co_u32_e64 v24, s[2:3], s28, v18
	v_addc_co_u32_e64 v25, s[8:9], v20, v19, s[2:3]
	global_load_ushort v18, v[22:23], off
	global_load_ushort v20, v[24:25], off
	s_mov_b64 s[38:39], -1
	s_waitcnt vmcnt(0)
	v_cmp_eq_u16_e64 s[8:9], v18, v20
	s_and_saveexec_b64 s[18:19], s[8:9]
	s_cbranch_execz .LBB735_87
; %bb.81:
	v_mov_b32_e32 v18, s29
	v_addc_co_u32_e64 v19, s[2:3], v19, v18, s[2:3]
	v_add_co_u32_e64 v18, s[2:3], 2, v24
	v_mov_b32_e32 v20, s29
	v_addc_co_u32_e64 v19, s[2:3], 0, v19, s[2:3]
	v_addc_co_u32_e32 v21, vcc, v21, v20, vcc
	v_add_co_u32_e32 v20, vcc, 2, v22
	s_add_u32 s2, s26, -1
	v_addc_co_u32_e32 v21, vcc, 0, v21, vcc
	s_addc_u32 s3, s27, -1
	s_mov_b64 s[8:9], 0
	s_mov_b64 s[40:41], 0
                                        ; implicit-def: $sgpr38_sgpr39
	s_branch .LBB735_84
.LBB735_82:                             ;   in Loop: Header=BB735_84 Depth=1
	global_load_ushort v22, v[20:21], off
	global_load_ushort v23, v[18:19], off
	v_add_co_u32_e32 v18, vcc, 2, v18
	v_addc_co_u32_e32 v19, vcc, 0, v19, vcc
	v_add_co_u32_e32 v20, vcc, 2, v20
	v_addc_co_u32_e32 v21, vcc, 0, v21, vcc
	s_add_u32 s40, s40, 1
	s_addc_u32 s41, s41, 0
	s_andn2_b64 s[38:39], s[38:39], exec
	s_waitcnt vmcnt(0)
	v_cmp_ne_u16_e32 vcc, v22, v23
	s_and_b64 s[42:43], vcc, exec
	s_or_b64 s[38:39], s[38:39], s[42:43]
.LBB735_83:                             ;   in Loop: Header=BB735_84 Depth=1
	s_and_b64 s[42:43], exec, s[38:39]
	s_or_b64 s[8:9], s[42:43], s[8:9]
	v_pk_mov_b32 v[22:23], s[40:41], s[40:41] op_sel:[0,1]
	s_andn2_b64 exec, exec, s[8:9]
	s_cbranch_execz .LBB735_86
.LBB735_84:                             ; =>This Inner Loop Header: Depth=1
	s_or_b64 s[38:39], s[38:39], exec
	s_cmp_eq_u64 s[2:3], s[40:41]
	s_cbranch_scc0 .LBB735_82
; %bb.85:                               ;   in Loop: Header=BB735_84 Depth=1
                                        ; implicit-def: $vgpr18_vgpr19
                                        ; implicit-def: $vgpr20_vgpr21
	s_mov_b64 s[40:41], s[26:27]
	s_branch .LBB735_83
.LBB735_86:
	s_or_b64 exec, exec, s[8:9]
	v_cmp_gt_i64_e32 vcc, s[26:27], v[22:23]
	s_orn2_b64 s[38:39], vcc, exec
.LBB735_87:
	s_or_b64 exec, exec, s[18:19]
.LBB735_88:
	s_and_b64 s[18:19], s[38:39], exec
.LBB735_89:
	s_or_b64 exec, exec, s[36:37]
	v_or_b32_e32 v18, 1, v1
	v_cmp_gt_u32_e32 vcc, s7, v18
	s_mov_b64 s[2:3], 0
	s_and_saveexec_b64 s[36:37], vcc
	s_cbranch_execz .LBB735_100
; %bb.90:
	s_and_b64 vcc, exec, s[0:1]
	s_mov_b64 s[40:41], 0
	s_cbranch_vccnz .LBB735_99
; %bb.91:
	s_waitcnt lgkmcnt(0)
	v_mul_lo_u32 v20, v15, s26
	v_mul_lo_u32 v21, v14, s27
	v_mad_u64_u32 v[18:19], s[2:3], v14, s26, 0
	v_add3_u32 v19, v19, v21, v20
	v_mul_lo_u32 v20, v17, s26
	v_mul_lo_u32 v21, v16, s27
	v_mad_u64_u32 v[24:25], s[2:3], v16, s26, 0
	v_add3_u32 v25, v25, v21, v20
	v_lshlrev_b64 v[20:21], 1, v[18:19]
	v_mov_b32_e32 v18, s29
	v_add_co_u32_e32 v22, vcc, s28, v20
	v_addc_co_u32_e64 v23, s[2:3], v18, v21, vcc
	v_lshlrev_b64 v[18:19], 1, v[24:25]
	v_mov_b32_e32 v20, s29
	v_add_co_u32_e64 v24, s[2:3], s28, v18
	v_addc_co_u32_e64 v25, s[8:9], v20, v19, s[2:3]
	global_load_ushort v18, v[22:23], off
	global_load_ushort v20, v[24:25], off
	s_mov_b64 s[40:41], -1
	s_waitcnt vmcnt(0)
	v_cmp_eq_u16_e64 s[8:9], v18, v20
	s_and_saveexec_b64 s[38:39], s[8:9]
	s_cbranch_execz .LBB735_98
; %bb.92:
	v_mov_b32_e32 v18, s29
	v_addc_co_u32_e64 v19, s[2:3], v19, v18, s[2:3]
	v_add_co_u32_e64 v18, s[2:3], 2, v24
	v_mov_b32_e32 v20, s29
	v_addc_co_u32_e64 v19, s[2:3], 0, v19, s[2:3]
	v_addc_co_u32_e32 v21, vcc, v21, v20, vcc
	v_add_co_u32_e32 v20, vcc, 2, v22
	s_add_u32 s2, s26, -1
	v_addc_co_u32_e32 v21, vcc, 0, v21, vcc
	s_addc_u32 s3, s27, -1
	s_mov_b64 s[8:9], 0
	s_mov_b64 s[42:43], 0
                                        ; implicit-def: $sgpr40_sgpr41
	s_branch .LBB735_95
.LBB735_93:                             ;   in Loop: Header=BB735_95 Depth=1
	global_load_ushort v22, v[20:21], off
	global_load_ushort v23, v[18:19], off
	v_add_co_u32_e32 v18, vcc, 2, v18
	v_addc_co_u32_e32 v19, vcc, 0, v19, vcc
	v_add_co_u32_e32 v20, vcc, 2, v20
	v_addc_co_u32_e32 v21, vcc, 0, v21, vcc
	s_add_u32 s42, s42, 1
	s_addc_u32 s43, s43, 0
	s_andn2_b64 s[40:41], s[40:41], exec
	s_waitcnt vmcnt(0)
	v_cmp_ne_u16_e32 vcc, v22, v23
	s_and_b64 s[44:45], vcc, exec
	s_or_b64 s[40:41], s[40:41], s[44:45]
.LBB735_94:                             ;   in Loop: Header=BB735_95 Depth=1
	s_and_b64 s[44:45], exec, s[40:41]
	s_or_b64 s[8:9], s[44:45], s[8:9]
	v_pk_mov_b32 v[22:23], s[42:43], s[42:43] op_sel:[0,1]
	s_andn2_b64 exec, exec, s[8:9]
	s_cbranch_execz .LBB735_97
.LBB735_95:                             ; =>This Inner Loop Header: Depth=1
	s_or_b64 s[40:41], s[40:41], exec
	s_cmp_eq_u64 s[2:3], s[42:43]
	s_cbranch_scc0 .LBB735_93
; %bb.96:                               ;   in Loop: Header=BB735_95 Depth=1
                                        ; implicit-def: $vgpr18_vgpr19
                                        ; implicit-def: $vgpr20_vgpr21
	s_mov_b64 s[42:43], s[26:27]
	s_branch .LBB735_94
.LBB735_97:
	s_or_b64 exec, exec, s[8:9]
	v_cmp_gt_i64_e32 vcc, s[26:27], v[22:23]
	s_orn2_b64 s[40:41], vcc, exec
.LBB735_98:
	s_or_b64 exec, exec, s[38:39]
.LBB735_99:
	s_and_b64 s[2:3], s[40:41], exec
.LBB735_100:
	s_or_b64 exec, exec, s[36:37]
	v_cmp_ne_u32_e32 vcc, 0, v0
	s_waitcnt lgkmcnt(0)
	v_pk_mov_b32 v[18:19], s[12:13], s[12:13] op_sel:[0,1]
	s_barrier
	s_and_saveexec_b64 s[8:9], vcc
	s_cbranch_execz .LBB735_102
; %bb.101:
	v_add_u32_e32 v18, -8, v26
	ds_read_b64 v[18:19], v18
.LBB735_102:
	s_or_b64 exec, exec, s[8:9]
	v_cndmask_b32_e64 v21, 0, 1, s[14:15]
	v_cndmask_b32_e64 v20, 0, 1, s[18:19]
	;; [unrolled: 1-line block ×3, first 2 shown]
	v_lshlrev_b16_e32 v21, 8, v21
	v_lshlrev_b16_e32 v26, 8, v22
	v_or_b32_sdwa v27, v20, v21 dst_sel:WORD_1 dst_unused:UNUSED_PAD src0_sel:DWORD src1_sel:DWORD
	v_cmp_gt_u32_e32 vcc, s7, v1
	s_mov_b64 s[18:19], 0
	s_and_saveexec_b64 s[8:9], vcc
	s_cbranch_execz .LBB735_113
; %bb.103:
	s_and_b64 vcc, exec, s[0:1]
	s_mov_b64 s[14:15], 0
	s_cbranch_vccnz .LBB735_112
; %bb.104:
	s_waitcnt lgkmcnt(0)
	v_mul_lo_u32 v20, v19, s26
	v_mul_lo_u32 v21, v18, s27
	v_mad_u64_u32 v[18:19], s[0:1], v18, s26, 0
	v_add3_u32 v19, v19, v21, v20
	v_mul_lo_u32 v20, v15, s26
	v_mul_lo_u32 v21, v14, s27
	v_mad_u64_u32 v[24:25], s[0:1], v14, s26, 0
	v_add3_u32 v25, v25, v21, v20
	v_lshlrev_b64 v[20:21], 1, v[18:19]
	v_mov_b32_e32 v18, s29
	v_add_co_u32_e32 v22, vcc, s28, v20
	v_addc_co_u32_e64 v23, s[0:1], v18, v21, vcc
	v_lshlrev_b64 v[18:19], 1, v[24:25]
	v_mov_b32_e32 v20, s29
	v_add_co_u32_e64 v24, s[0:1], s28, v18
	v_addc_co_u32_e64 v25, s[2:3], v20, v19, s[0:1]
	global_load_ushort v18, v[22:23], off
	global_load_ushort v20, v[24:25], off
	s_mov_b64 s[14:15], -1
	s_waitcnt vmcnt(0)
	v_cmp_eq_u16_e64 s[2:3], v18, v20
	s_and_saveexec_b64 s[12:13], s[2:3]
	s_cbranch_execz .LBB735_111
; %bb.105:
	v_mov_b32_e32 v18, s29
	v_addc_co_u32_e64 v19, s[0:1], v19, v18, s[0:1]
	v_add_co_u32_e64 v18, s[0:1], 2, v24
	v_mov_b32_e32 v20, s29
	v_addc_co_u32_e64 v19, s[0:1], 0, v19, s[0:1]
	v_addc_co_u32_e32 v21, vcc, v21, v20, vcc
	v_add_co_u32_e32 v20, vcc, 2, v22
	s_add_u32 s0, s26, -1
	v_addc_co_u32_e32 v21, vcc, 0, v21, vcc
	s_addc_u32 s1, s27, -1
	s_mov_b64 s[2:3], 0
                                        ; implicit-def: $sgpr14_sgpr15
	s_branch .LBB735_108
.LBB735_106:                            ;   in Loop: Header=BB735_108 Depth=1
	global_load_ushort v22, v[20:21], off
	global_load_ushort v23, v[18:19], off
	v_add_co_u32_e32 v18, vcc, 2, v18
	v_addc_co_u32_e32 v19, vcc, 0, v19, vcc
	v_add_co_u32_e32 v20, vcc, 2, v20
	v_addc_co_u32_e32 v21, vcc, 0, v21, vcc
	s_add_u32 s18, s18, 1
	s_addc_u32 s19, s19, 0
	s_andn2_b64 s[14:15], s[14:15], exec
	s_waitcnt vmcnt(0)
	v_cmp_ne_u16_e32 vcc, v22, v23
	s_and_b64 s[36:37], vcc, exec
	s_or_b64 s[14:15], s[14:15], s[36:37]
.LBB735_107:                            ;   in Loop: Header=BB735_108 Depth=1
	s_and_b64 s[36:37], exec, s[14:15]
	s_or_b64 s[2:3], s[36:37], s[2:3]
	v_pk_mov_b32 v[22:23], s[18:19], s[18:19] op_sel:[0,1]
	s_andn2_b64 exec, exec, s[2:3]
	s_cbranch_execz .LBB735_110
.LBB735_108:                            ; =>This Inner Loop Header: Depth=1
	s_or_b64 s[14:15], s[14:15], exec
	s_cmp_eq_u64 s[0:1], s[18:19]
	s_cbranch_scc0 .LBB735_106
; %bb.109:                              ;   in Loop: Header=BB735_108 Depth=1
                                        ; implicit-def: $vgpr18_vgpr19
                                        ; implicit-def: $vgpr20_vgpr21
	s_mov_b64 s[18:19], s[26:27]
	s_branch .LBB735_107
.LBB735_110:
	s_or_b64 exec, exec, s[2:3]
	v_cmp_gt_i64_e32 vcc, s[26:27], v[22:23]
	s_orn2_b64 s[14:15], vcc, exec
.LBB735_111:
	s_or_b64 exec, exec, s[12:13]
.LBB735_112:
	s_and_b64 s[18:19], s[14:15], exec
.LBB735_113:
	s_or_b64 exec, exec, s[8:9]
	v_or_b32_e32 v28, v26, v27
.LBB735_114:
	s_waitcnt lgkmcnt(0)
	s_mov_b64 s[12:13], -1
	s_cbranch_execnz .LBB735_203
.LBB735_115:
	v_lshlrev_b32_e32 v29, 3, v0
	s_mov_b64 s[18:19], 0
	v_cmp_gt_i64_e64 s[14:15], s[26:27], 0
	s_and_b64 vcc, exec, s[34:35]
	ds_write_b64 v29, v[12:13]
	s_cbranch_vccz .LBB735_123
; %bb.116:
	v_mul_lo_u32 v20, v11, s26
	v_mul_lo_u32 v21, v10, s27
	v_mad_u64_u32 v[18:19], s[0:1], v10, s26, 0
	v_add3_u32 v19, v19, v21, v20
	v_cndmask_b32_e64 v20, 0, 1, s[14:15]
	v_cmp_ne_u32_e64 s[0:1], 1, v20
	s_andn2_b64 vcc, exec, s[14:15]
	v_lshlrev_b64 v[18:19], 1, v[18:19]
	s_cbranch_vccnz .LBB735_126
; %bb.117:
	v_mul_lo_u32 v22, v13, s26
	v_mul_lo_u32 v23, v12, s27
	v_mad_u64_u32 v[20:21], s[2:3], v12, s26, 0
	v_add3_u32 v21, v21, v23, v22
	v_mov_b32_e32 v23, s29
	v_add_co_u32_e32 v22, vcc, s28, v18
	v_addc_co_u32_e64 v23, s[2:3], v23, v19, vcc
	v_lshlrev_b64 v[20:21], 1, v[20:21]
	v_mov_b32_e32 v25, s29
	v_add_co_u32_e64 v24, s[2:3], s28, v20
	v_addc_co_u32_e64 v25, s[8:9], v25, v21, s[2:3]
	global_load_ushort v20, v[22:23], off
	global_load_ushort v26, v[24:25], off
	s_mov_b64 s[18:19], -1
	s_waitcnt vmcnt(0)
	v_cmp_eq_u16_e64 s[8:9], v20, v26
	s_and_saveexec_b64 s[36:37], s[8:9]
	s_cbranch_execz .LBB735_125
; %bb.118:
	v_mov_b32_e32 v20, s29
	v_addc_co_u32_e64 v21, s[2:3], v21, v20, s[2:3]
	v_add_co_u32_e64 v20, s[2:3], 2, v24
	v_mov_b32_e32 v23, s29
	v_addc_co_u32_e64 v21, s[2:3], 0, v21, s[2:3]
	v_addc_co_u32_e32 v23, vcc, v19, v23, vcc
	v_add_co_u32_e32 v22, vcc, 2, v22
	s_add_u32 s2, s26, -1
	v_addc_co_u32_e32 v23, vcc, 0, v23, vcc
	s_addc_u32 s3, s27, -1
	s_mov_b64 s[8:9], 0
	s_mov_b64 s[38:39], 0
                                        ; implicit-def: $sgpr18_sgpr19
	s_branch .LBB735_121
.LBB735_119:                            ;   in Loop: Header=BB735_121 Depth=1
	global_load_ushort v24, v[22:23], off
	global_load_ushort v25, v[20:21], off
	v_add_co_u32_e32 v20, vcc, 2, v20
	v_addc_co_u32_e32 v21, vcc, 0, v21, vcc
	v_add_co_u32_e32 v22, vcc, 2, v22
	v_addc_co_u32_e32 v23, vcc, 0, v23, vcc
	s_add_u32 s38, s38, 1
	s_addc_u32 s39, s39, 0
	s_andn2_b64 s[18:19], s[18:19], exec
	s_waitcnt vmcnt(0)
	v_cmp_ne_u16_e32 vcc, v24, v25
	s_and_b64 s[40:41], vcc, exec
	s_or_b64 s[18:19], s[18:19], s[40:41]
.LBB735_120:                            ;   in Loop: Header=BB735_121 Depth=1
	s_and_b64 s[40:41], exec, s[18:19]
	s_or_b64 s[8:9], s[40:41], s[8:9]
	v_pk_mov_b32 v[24:25], s[38:39], s[38:39] op_sel:[0,1]
	s_andn2_b64 exec, exec, s[8:9]
	s_cbranch_execz .LBB735_124
.LBB735_121:                            ; =>This Inner Loop Header: Depth=1
	s_or_b64 s[18:19], s[18:19], exec
	s_cmp_eq_u64 s[2:3], s[38:39]
	s_cbranch_scc0 .LBB735_119
; %bb.122:                              ;   in Loop: Header=BB735_121 Depth=1
                                        ; implicit-def: $vgpr20_vgpr21
                                        ; implicit-def: $vgpr22_vgpr23
	s_mov_b64 s[38:39], s[26:27]
	s_branch .LBB735_120
.LBB735_123:
                                        ; implicit-def: $sgpr18_sgpr19
                                        ; implicit-def: $vgpr28
	s_cbranch_execnz .LBB735_156
	s_branch .LBB735_203
.LBB735_124:
	s_or_b64 exec, exec, s[8:9]
	v_cmp_gt_i64_e32 vcc, s[26:27], v[24:25]
	s_orn2_b64 s[18:19], vcc, exec
.LBB735_125:
	s_or_b64 exec, exec, s[36:37]
.LBB735_126:
	v_mul_lo_u32 v22, v17, s26
	v_mul_lo_u32 v23, v16, s27
	v_mad_u64_u32 v[20:21], s[2:3], v16, s26, 0
	v_add3_u32 v21, v21, v23, v22
	s_mov_b64 s[36:37], 0
	s_and_b64 vcc, exec, s[0:1]
	v_lshlrev_b64 v[20:21], 1, v[20:21]
	s_mov_b64 s[38:39], 0
	s_cbranch_vccnz .LBB735_135
; %bb.127:
	v_mov_b32_e32 v23, s29
	v_add_co_u32_e32 v22, vcc, s28, v20
	v_addc_co_u32_e64 v23, s[2:3], v23, v21, vcc
	v_mov_b32_e32 v25, s29
	v_add_co_u32_e64 v24, s[2:3], s28, v18
	v_addc_co_u32_e64 v25, s[8:9], v25, v19, s[2:3]
	global_load_ushort v18, v[22:23], off
	global_load_ushort v26, v[24:25], off
	s_mov_b64 s[38:39], -1
	s_waitcnt vmcnt(0)
	v_cmp_eq_u16_e64 s[8:9], v18, v26
	s_and_saveexec_b64 s[40:41], s[8:9]
	s_cbranch_execz .LBB735_134
; %bb.128:
	v_mov_b32_e32 v18, s29
	v_addc_co_u32_e64 v19, s[2:3], v19, v18, s[2:3]
	v_add_co_u32_e64 v18, s[2:3], 2, v24
	v_mov_b32_e32 v23, s29
	v_addc_co_u32_e64 v19, s[2:3], 0, v19, s[2:3]
	v_addc_co_u32_e32 v23, vcc, v21, v23, vcc
	v_add_co_u32_e32 v22, vcc, 2, v22
	s_add_u32 s2, s26, -1
	v_addc_co_u32_e32 v23, vcc, 0, v23, vcc
	s_addc_u32 s3, s27, -1
	s_mov_b64 s[8:9], 0
	s_mov_b64 s[42:43], 0
                                        ; implicit-def: $sgpr38_sgpr39
	s_branch .LBB735_131
.LBB735_129:                            ;   in Loop: Header=BB735_131 Depth=1
	global_load_ushort v24, v[22:23], off
	global_load_ushort v25, v[18:19], off
	v_add_co_u32_e32 v18, vcc, 2, v18
	v_addc_co_u32_e32 v19, vcc, 0, v19, vcc
	v_add_co_u32_e32 v22, vcc, 2, v22
	v_addc_co_u32_e32 v23, vcc, 0, v23, vcc
	s_add_u32 s42, s42, 1
	s_addc_u32 s43, s43, 0
	s_andn2_b64 s[38:39], s[38:39], exec
	s_waitcnt vmcnt(0)
	v_cmp_ne_u16_e32 vcc, v24, v25
	s_and_b64 s[44:45], vcc, exec
	s_or_b64 s[38:39], s[38:39], s[44:45]
.LBB735_130:                            ;   in Loop: Header=BB735_131 Depth=1
	s_and_b64 s[44:45], exec, s[38:39]
	s_or_b64 s[8:9], s[44:45], s[8:9]
	v_pk_mov_b32 v[24:25], s[42:43], s[42:43] op_sel:[0,1]
	s_andn2_b64 exec, exec, s[8:9]
	s_cbranch_execz .LBB735_133
.LBB735_131:                            ; =>This Inner Loop Header: Depth=1
	s_or_b64 s[38:39], s[38:39], exec
	s_cmp_eq_u64 s[2:3], s[42:43]
	s_cbranch_scc0 .LBB735_129
; %bb.132:                              ;   in Loop: Header=BB735_131 Depth=1
                                        ; implicit-def: $vgpr18_vgpr19
                                        ; implicit-def: $vgpr22_vgpr23
	s_mov_b64 s[42:43], s[26:27]
	s_branch .LBB735_130
.LBB735_133:
	s_or_b64 exec, exec, s[8:9]
	v_cmp_gt_i64_e32 vcc, s[26:27], v[24:25]
	s_orn2_b64 s[38:39], vcc, exec
.LBB735_134:
	s_or_b64 exec, exec, s[40:41]
.LBB735_135:
	v_mul_lo_u32 v22, v15, s26
	v_mul_lo_u32 v23, v14, s27
	v_mad_u64_u32 v[18:19], s[2:3], v14, s26, 0
	s_and_b64 vcc, exec, s[0:1]
	v_add3_u32 v19, v19, v23, v22
	s_cbranch_vccnz .LBB735_144
; %bb.136:
	v_lshlrev_b64 v[22:23], 1, v[18:19]
	v_mov_b32_e32 v25, s29
	v_add_co_u32_e32 v24, vcc, s28, v22
	v_addc_co_u32_e64 v25, s[2:3], v25, v23, vcc
	v_mov_b32_e32 v22, s29
	v_add_co_u32_e64 v26, s[2:3], s28, v20
	v_addc_co_u32_e64 v27, s[8:9], v22, v21, s[2:3]
	global_load_ushort v20, v[24:25], off
	global_load_ushort v22, v[26:27], off
	s_mov_b64 s[36:37], -1
	s_waitcnt vmcnt(0)
	v_cmp_eq_u16_e64 s[8:9], v20, v22
	s_and_saveexec_b64 s[40:41], s[8:9]
	s_cbranch_execz .LBB735_143
; %bb.137:
	v_mov_b32_e32 v20, s29
	v_addc_co_u32_e64 v21, s[2:3], v21, v20, s[2:3]
	v_add_co_u32_e64 v20, s[2:3], 2, v26
	v_mov_b32_e32 v22, s29
	v_addc_co_u32_e64 v21, s[2:3], 0, v21, s[2:3]
	v_addc_co_u32_e32 v23, vcc, v23, v22, vcc
	v_add_co_u32_e32 v22, vcc, 2, v24
	s_add_u32 s2, s26, -1
	v_addc_co_u32_e32 v23, vcc, 0, v23, vcc
	s_addc_u32 s3, s27, -1
	s_mov_b64 s[8:9], 0
	s_mov_b64 s[42:43], 0
                                        ; implicit-def: $sgpr36_sgpr37
	s_branch .LBB735_140
.LBB735_138:                            ;   in Loop: Header=BB735_140 Depth=1
	global_load_ushort v24, v[22:23], off
	global_load_ushort v25, v[20:21], off
	v_add_co_u32_e32 v20, vcc, 2, v20
	v_addc_co_u32_e32 v21, vcc, 0, v21, vcc
	v_add_co_u32_e32 v22, vcc, 2, v22
	v_addc_co_u32_e32 v23, vcc, 0, v23, vcc
	s_add_u32 s42, s42, 1
	s_addc_u32 s43, s43, 0
	s_andn2_b64 s[36:37], s[36:37], exec
	s_waitcnt vmcnt(0)
	v_cmp_ne_u16_e32 vcc, v24, v25
	s_and_b64 s[44:45], vcc, exec
	s_or_b64 s[36:37], s[36:37], s[44:45]
.LBB735_139:                            ;   in Loop: Header=BB735_140 Depth=1
	s_and_b64 s[44:45], exec, s[36:37]
	s_or_b64 s[8:9], s[44:45], s[8:9]
	v_pk_mov_b32 v[24:25], s[42:43], s[42:43] op_sel:[0,1]
	s_andn2_b64 exec, exec, s[8:9]
	s_cbranch_execz .LBB735_142
.LBB735_140:                            ; =>This Inner Loop Header: Depth=1
	s_or_b64 s[36:37], s[36:37], exec
	s_cmp_eq_u64 s[2:3], s[42:43]
	s_cbranch_scc0 .LBB735_138
; %bb.141:                              ;   in Loop: Header=BB735_140 Depth=1
                                        ; implicit-def: $vgpr20_vgpr21
                                        ; implicit-def: $vgpr22_vgpr23
	s_mov_b64 s[42:43], s[26:27]
	s_branch .LBB735_139
.LBB735_142:
	s_or_b64 exec, exec, s[8:9]
	v_cmp_gt_i64_e32 vcc, s[26:27], v[24:25]
	s_orn2_b64 s[36:37], vcc, exec
.LBB735_143:
	s_or_b64 exec, exec, s[40:41]
.LBB735_144:
	v_cndmask_b32_e64 v21, 0, 1, s[18:19]
	v_cndmask_b32_e64 v22, 0, 1, s[36:37]
	;; [unrolled: 1-line block ×3, first 2 shown]
	v_lshlrev_b16_e32 v22, 8, v22
	v_lshlrev_b16_e32 v21, 8, v21
	v_or_b32_e32 v22, 1, v22
	v_or_b32_sdwa v20, v20, v21 dst_sel:WORD_1 dst_unused:UNUSED_PAD src0_sel:DWORD src1_sel:DWORD
	v_or_b32_sdwa v28, v22, v20 dst_sel:DWORD dst_unused:UNUSED_PAD src0_sel:WORD_0 src1_sel:DWORD
	v_cmp_ne_u32_e32 vcc, 0, v0
	s_waitcnt lgkmcnt(0)
	s_barrier
	s_waitcnt lgkmcnt(0)
                                        ; implicit-def: $sgpr18_sgpr19
	s_and_saveexec_b64 s[2:3], vcc
	s_xor_b64 s[8:9], exec, s[2:3]
	s_cbranch_execz .LBB735_155
; %bb.145:
	s_and_b64 vcc, exec, s[0:1]
	s_mov_b64 s[36:37], 0
	s_cbranch_vccnz .LBB735_154
; %bb.146:
	v_add_u32_e32 v20, -8, v29
	ds_read_b64 v[20:21], v20
	v_mov_b32_e32 v23, s29
	v_lshlrev_b64 v[18:19], 1, v[18:19]
	s_mov_b64 s[36:37], -1
	s_waitcnt lgkmcnt(0)
	v_mul_lo_u32 v22, v21, s26
	v_mul_lo_u32 v24, v20, s27
	v_mad_u64_u32 v[20:21], s[0:1], v20, s26, 0
	v_add3_u32 v21, v21, v24, v22
	v_lshlrev_b64 v[20:21], 1, v[20:21]
	v_add_co_u32_e32 v22, vcc, s28, v20
	v_addc_co_u32_e64 v23, s[0:1], v23, v21, vcc
	v_mov_b32_e32 v20, s29
	v_add_co_u32_e64 v24, s[0:1], s28, v18
	v_addc_co_u32_e64 v25, s[2:3], v20, v19, s[0:1]
	global_load_ushort v18, v[22:23], off
	global_load_ushort v20, v[24:25], off
	s_waitcnt vmcnt(0)
	v_cmp_eq_u16_e64 s[2:3], v18, v20
	s_and_saveexec_b64 s[18:19], s[2:3]
	s_cbranch_execz .LBB735_153
; %bb.147:
	v_mov_b32_e32 v18, s29
	v_addc_co_u32_e64 v19, s[0:1], v19, v18, s[0:1]
	v_add_co_u32_e64 v18, s[0:1], 2, v24
	v_mov_b32_e32 v20, s29
	v_addc_co_u32_e64 v19, s[0:1], 0, v19, s[0:1]
	v_addc_co_u32_e32 v21, vcc, v21, v20, vcc
	v_add_co_u32_e32 v20, vcc, 2, v22
	s_add_u32 s0, s26, -1
	v_addc_co_u32_e32 v21, vcc, 0, v21, vcc
	s_addc_u32 s1, s27, -1
	s_mov_b64 s[2:3], 0
	s_mov_b64 s[38:39], 0
                                        ; implicit-def: $sgpr36_sgpr37
	s_branch .LBB735_150
.LBB735_148:                            ;   in Loop: Header=BB735_150 Depth=1
	global_load_ushort v22, v[20:21], off
	global_load_ushort v23, v[18:19], off
	v_add_co_u32_e32 v18, vcc, 2, v18
	v_addc_co_u32_e32 v19, vcc, 0, v19, vcc
	v_add_co_u32_e32 v20, vcc, 2, v20
	v_addc_co_u32_e32 v21, vcc, 0, v21, vcc
	s_add_u32 s38, s38, 1
	s_addc_u32 s39, s39, 0
	s_andn2_b64 s[36:37], s[36:37], exec
	s_waitcnt vmcnt(0)
	v_cmp_ne_u16_e32 vcc, v22, v23
	s_and_b64 s[40:41], vcc, exec
	s_or_b64 s[36:37], s[36:37], s[40:41]
.LBB735_149:                            ;   in Loop: Header=BB735_150 Depth=1
	s_and_b64 s[40:41], exec, s[36:37]
	s_or_b64 s[2:3], s[40:41], s[2:3]
	v_pk_mov_b32 v[22:23], s[38:39], s[38:39] op_sel:[0,1]
	s_andn2_b64 exec, exec, s[2:3]
	s_cbranch_execz .LBB735_152
.LBB735_150:                            ; =>This Inner Loop Header: Depth=1
	s_or_b64 s[36:37], s[36:37], exec
	s_cmp_eq_u64 s[0:1], s[38:39]
	s_cbranch_scc0 .LBB735_148
; %bb.151:                              ;   in Loop: Header=BB735_150 Depth=1
                                        ; implicit-def: $vgpr18_vgpr19
                                        ; implicit-def: $vgpr20_vgpr21
	s_mov_b64 s[38:39], s[26:27]
	s_branch .LBB735_149
.LBB735_152:
	s_or_b64 exec, exec, s[2:3]
	v_cmp_gt_i64_e32 vcc, s[26:27], v[22:23]
	s_orn2_b64 s[36:37], vcc, exec
.LBB735_153:
	s_or_b64 exec, exec, s[18:19]
.LBB735_154:
	s_and_b64 s[18:19], s[36:37], exec
	s_or_b64 s[12:13], s[12:13], exec
.LBB735_155:
	s_or_b64 exec, exec, s[8:9]
	s_branch .LBB735_203
.LBB735_156:
	v_or_b32_e32 v18, 3, v1
	v_cmp_gt_u32_e32 vcc, s7, v18
	s_mov_b64 s[18:19], 0
	s_mov_b64 s[8:9], 0
	s_and_saveexec_b64 s[36:37], vcc
	s_cbranch_execz .LBB735_167
; %bb.157:
	s_andn2_b64 vcc, exec, s[14:15]
	s_mov_b64 s[38:39], 0
	s_cbranch_vccnz .LBB735_166
; %bb.158:
	v_mul_lo_u32 v20, v11, s26
	v_mul_lo_u32 v21, v10, s27
	v_mad_u64_u32 v[18:19], s[0:1], v10, s26, 0
	v_add3_u32 v19, v19, v21, v20
	v_mul_lo_u32 v20, v13, s26
	v_mul_lo_u32 v21, v12, s27
	v_mad_u64_u32 v[24:25], s[0:1], v12, s26, 0
	v_add3_u32 v25, v25, v21, v20
	v_lshlrev_b64 v[20:21], 1, v[18:19]
	v_mov_b32_e32 v18, s29
	v_add_co_u32_e32 v22, vcc, s28, v20
	v_addc_co_u32_e64 v23, s[0:1], v18, v21, vcc
	v_lshlrev_b64 v[18:19], 1, v[24:25]
	v_mov_b32_e32 v20, s29
	v_add_co_u32_e64 v24, s[0:1], s28, v18
	v_addc_co_u32_e64 v25, s[2:3], v20, v19, s[0:1]
	global_load_ushort v18, v[22:23], off
	global_load_ushort v20, v[24:25], off
	s_mov_b64 s[38:39], -1
	s_waitcnt vmcnt(0)
	v_cmp_eq_u16_e64 s[2:3], v18, v20
	s_and_saveexec_b64 s[8:9], s[2:3]
	s_cbranch_execz .LBB735_165
; %bb.159:
	v_mov_b32_e32 v18, s29
	v_addc_co_u32_e64 v19, s[0:1], v19, v18, s[0:1]
	v_add_co_u32_e64 v18, s[0:1], 2, v24
	v_mov_b32_e32 v20, s29
	v_addc_co_u32_e64 v19, s[0:1], 0, v19, s[0:1]
	v_addc_co_u32_e32 v21, vcc, v21, v20, vcc
	v_add_co_u32_e32 v20, vcc, 2, v22
	s_add_u32 s0, s26, -1
	v_addc_co_u32_e32 v21, vcc, 0, v21, vcc
	s_addc_u32 s1, s27, -1
	s_mov_b64 s[2:3], 0
	s_mov_b64 s[40:41], 0
                                        ; implicit-def: $sgpr38_sgpr39
	s_branch .LBB735_162
.LBB735_160:                            ;   in Loop: Header=BB735_162 Depth=1
	global_load_ushort v22, v[20:21], off
	global_load_ushort v23, v[18:19], off
	v_add_co_u32_e32 v18, vcc, 2, v18
	v_addc_co_u32_e32 v19, vcc, 0, v19, vcc
	v_add_co_u32_e32 v20, vcc, 2, v20
	v_addc_co_u32_e32 v21, vcc, 0, v21, vcc
	s_add_u32 s40, s40, 1
	s_addc_u32 s41, s41, 0
	s_andn2_b64 s[38:39], s[38:39], exec
	s_waitcnt vmcnt(0)
	v_cmp_ne_u16_e32 vcc, v22, v23
	s_and_b64 s[42:43], vcc, exec
	s_or_b64 s[38:39], s[38:39], s[42:43]
.LBB735_161:                            ;   in Loop: Header=BB735_162 Depth=1
	s_and_b64 s[42:43], exec, s[38:39]
	s_or_b64 s[2:3], s[42:43], s[2:3]
	v_pk_mov_b32 v[22:23], s[40:41], s[40:41] op_sel:[0,1]
	s_andn2_b64 exec, exec, s[2:3]
	s_cbranch_execz .LBB735_164
.LBB735_162:                            ; =>This Inner Loop Header: Depth=1
	s_or_b64 s[38:39], s[38:39], exec
	s_cmp_eq_u64 s[0:1], s[40:41]
	s_cbranch_scc0 .LBB735_160
; %bb.163:                              ;   in Loop: Header=BB735_162 Depth=1
                                        ; implicit-def: $vgpr18_vgpr19
                                        ; implicit-def: $vgpr20_vgpr21
	s_mov_b64 s[40:41], s[26:27]
	s_branch .LBB735_161
.LBB735_164:
	s_or_b64 exec, exec, s[2:3]
	v_cmp_gt_i64_e32 vcc, s[26:27], v[22:23]
	s_orn2_b64 s[38:39], vcc, exec
.LBB735_165:
	s_or_b64 exec, exec, s[8:9]
.LBB735_166:
	s_and_b64 s[8:9], s[38:39], exec
.LBB735_167:
	s_or_b64 exec, exec, s[36:37]
	v_or_b32_e32 v18, 2, v1
	v_cmp_gt_u32_e32 vcc, s7, v18
	s_and_saveexec_b64 s[36:37], vcc
	s_cbranch_execz .LBB735_178
; %bb.168:
	s_andn2_b64 vcc, exec, s[14:15]
	s_mov_b64 s[38:39], 0
	s_cbranch_vccnz .LBB735_177
; %bb.169:
	v_mul_lo_u32 v20, v17, s26
	v_mul_lo_u32 v21, v16, s27
	v_mad_u64_u32 v[18:19], s[0:1], v16, s26, 0
	v_add3_u32 v19, v19, v21, v20
	v_mul_lo_u32 v20, v11, s26
	v_mul_lo_u32 v21, v10, s27
	v_mad_u64_u32 v[24:25], s[0:1], v10, s26, 0
	v_add3_u32 v25, v25, v21, v20
	v_lshlrev_b64 v[20:21], 1, v[18:19]
	v_mov_b32_e32 v18, s29
	v_add_co_u32_e32 v22, vcc, s28, v20
	v_addc_co_u32_e64 v23, s[0:1], v18, v21, vcc
	v_lshlrev_b64 v[18:19], 1, v[24:25]
	v_mov_b32_e32 v20, s29
	v_add_co_u32_e64 v24, s[0:1], s28, v18
	v_addc_co_u32_e64 v25, s[2:3], v20, v19, s[0:1]
	global_load_ushort v18, v[22:23], off
	global_load_ushort v20, v[24:25], off
	s_mov_b64 s[38:39], -1
	s_waitcnt vmcnt(0)
	v_cmp_eq_u16_e64 s[2:3], v18, v20
	s_and_saveexec_b64 s[18:19], s[2:3]
	s_cbranch_execz .LBB735_176
; %bb.170:
	v_mov_b32_e32 v18, s29
	v_addc_co_u32_e64 v19, s[0:1], v19, v18, s[0:1]
	v_add_co_u32_e64 v18, s[0:1], 2, v24
	v_mov_b32_e32 v20, s29
	v_addc_co_u32_e64 v19, s[0:1], 0, v19, s[0:1]
	v_addc_co_u32_e32 v21, vcc, v21, v20, vcc
	v_add_co_u32_e32 v20, vcc, 2, v22
	s_add_u32 s0, s26, -1
	v_addc_co_u32_e32 v21, vcc, 0, v21, vcc
	s_addc_u32 s1, s27, -1
	s_mov_b64 s[2:3], 0
	s_mov_b64 s[40:41], 0
                                        ; implicit-def: $sgpr38_sgpr39
	s_branch .LBB735_173
.LBB735_171:                            ;   in Loop: Header=BB735_173 Depth=1
	global_load_ushort v22, v[20:21], off
	global_load_ushort v23, v[18:19], off
	v_add_co_u32_e32 v18, vcc, 2, v18
	v_addc_co_u32_e32 v19, vcc, 0, v19, vcc
	v_add_co_u32_e32 v20, vcc, 2, v20
	v_addc_co_u32_e32 v21, vcc, 0, v21, vcc
	s_add_u32 s40, s40, 1
	s_addc_u32 s41, s41, 0
	s_andn2_b64 s[38:39], s[38:39], exec
	s_waitcnt vmcnt(0)
	v_cmp_ne_u16_e32 vcc, v22, v23
	s_and_b64 s[42:43], vcc, exec
	s_or_b64 s[38:39], s[38:39], s[42:43]
.LBB735_172:                            ;   in Loop: Header=BB735_173 Depth=1
	s_and_b64 s[42:43], exec, s[38:39]
	s_or_b64 s[2:3], s[42:43], s[2:3]
	v_pk_mov_b32 v[22:23], s[40:41], s[40:41] op_sel:[0,1]
	s_andn2_b64 exec, exec, s[2:3]
	s_cbranch_execz .LBB735_175
.LBB735_173:                            ; =>This Inner Loop Header: Depth=1
	s_or_b64 s[38:39], s[38:39], exec
	s_cmp_eq_u64 s[0:1], s[40:41]
	s_cbranch_scc0 .LBB735_171
; %bb.174:                              ;   in Loop: Header=BB735_173 Depth=1
                                        ; implicit-def: $vgpr18_vgpr19
                                        ; implicit-def: $vgpr20_vgpr21
	s_mov_b64 s[40:41], s[26:27]
	s_branch .LBB735_172
.LBB735_175:
	s_or_b64 exec, exec, s[2:3]
	v_cmp_gt_i64_e32 vcc, s[26:27], v[22:23]
	s_orn2_b64 s[38:39], vcc, exec
.LBB735_176:
	s_or_b64 exec, exec, s[18:19]
.LBB735_177:
	s_and_b64 s[18:19], s[38:39], exec
.LBB735_178:
	s_or_b64 exec, exec, s[36:37]
	v_or_b32_e32 v18, 1, v1
	v_cmp_gt_u32_e32 vcc, s7, v18
	s_mov_b64 s[0:1], 0
	s_and_saveexec_b64 s[36:37], vcc
	s_cbranch_execz .LBB735_189
; %bb.179:
	s_andn2_b64 vcc, exec, s[14:15]
	s_mov_b64 s[40:41], 0
	s_cbranch_vccnz .LBB735_188
; %bb.180:
	v_mul_lo_u32 v20, v15, s26
	v_mul_lo_u32 v21, v14, s27
	v_mad_u64_u32 v[18:19], s[0:1], v14, s26, 0
	v_add3_u32 v19, v19, v21, v20
	v_mul_lo_u32 v20, v17, s26
	v_mul_lo_u32 v21, v16, s27
	v_mad_u64_u32 v[24:25], s[0:1], v16, s26, 0
	v_add3_u32 v25, v25, v21, v20
	v_lshlrev_b64 v[20:21], 1, v[18:19]
	v_mov_b32_e32 v18, s29
	v_add_co_u32_e32 v22, vcc, s28, v20
	v_addc_co_u32_e64 v23, s[0:1], v18, v21, vcc
	v_lshlrev_b64 v[18:19], 1, v[24:25]
	v_mov_b32_e32 v20, s29
	v_add_co_u32_e64 v24, s[0:1], s28, v18
	v_addc_co_u32_e64 v25, s[2:3], v20, v19, s[0:1]
	global_load_ushort v18, v[22:23], off
	global_load_ushort v20, v[24:25], off
	s_mov_b64 s[40:41], -1
	s_waitcnt vmcnt(0)
	v_cmp_eq_u16_e64 s[2:3], v18, v20
	s_and_saveexec_b64 s[38:39], s[2:3]
	s_cbranch_execz .LBB735_187
; %bb.181:
	v_mov_b32_e32 v18, s29
	v_addc_co_u32_e64 v19, s[0:1], v19, v18, s[0:1]
	v_add_co_u32_e64 v18, s[0:1], 2, v24
	v_mov_b32_e32 v20, s29
	v_addc_co_u32_e64 v19, s[0:1], 0, v19, s[0:1]
	v_addc_co_u32_e32 v21, vcc, v21, v20, vcc
	v_add_co_u32_e32 v20, vcc, 2, v22
	s_add_u32 s0, s26, -1
	v_addc_co_u32_e32 v21, vcc, 0, v21, vcc
	s_addc_u32 s1, s27, -1
	s_mov_b64 s[2:3], 0
	s_mov_b64 s[42:43], 0
                                        ; implicit-def: $sgpr40_sgpr41
	s_branch .LBB735_184
.LBB735_182:                            ;   in Loop: Header=BB735_184 Depth=1
	global_load_ushort v22, v[20:21], off
	global_load_ushort v23, v[18:19], off
	v_add_co_u32_e32 v18, vcc, 2, v18
	v_addc_co_u32_e32 v19, vcc, 0, v19, vcc
	v_add_co_u32_e32 v20, vcc, 2, v20
	v_addc_co_u32_e32 v21, vcc, 0, v21, vcc
	s_add_u32 s42, s42, 1
	s_addc_u32 s43, s43, 0
	s_andn2_b64 s[40:41], s[40:41], exec
	s_waitcnt vmcnt(0)
	v_cmp_ne_u16_e32 vcc, v22, v23
	s_and_b64 s[44:45], vcc, exec
	s_or_b64 s[40:41], s[40:41], s[44:45]
.LBB735_183:                            ;   in Loop: Header=BB735_184 Depth=1
	s_and_b64 s[44:45], exec, s[40:41]
	s_or_b64 s[2:3], s[44:45], s[2:3]
	v_pk_mov_b32 v[22:23], s[42:43], s[42:43] op_sel:[0,1]
	s_andn2_b64 exec, exec, s[2:3]
	s_cbranch_execz .LBB735_186
.LBB735_184:                            ; =>This Inner Loop Header: Depth=1
	s_or_b64 s[40:41], s[40:41], exec
	s_cmp_eq_u64 s[0:1], s[42:43]
	s_cbranch_scc0 .LBB735_182
; %bb.185:                              ;   in Loop: Header=BB735_184 Depth=1
                                        ; implicit-def: $vgpr18_vgpr19
                                        ; implicit-def: $vgpr20_vgpr21
	s_mov_b64 s[42:43], s[26:27]
	s_branch .LBB735_183
.LBB735_186:
	s_or_b64 exec, exec, s[2:3]
	v_cmp_gt_i64_e32 vcc, s[26:27], v[22:23]
	s_orn2_b64 s[40:41], vcc, exec
.LBB735_187:
	s_or_b64 exec, exec, s[38:39]
.LBB735_188:
	s_and_b64 s[0:1], s[40:41], exec
.LBB735_189:
	s_or_b64 exec, exec, s[36:37]
	v_cndmask_b32_e64 v19, 0, 1, s[8:9]
	v_cndmask_b32_e64 v20, 0, 1, s[0:1]
	;; [unrolled: 1-line block ×3, first 2 shown]
	v_lshlrev_b16_e32 v20, 8, v20
	v_lshlrev_b16_e32 v19, 8, v19
	v_or_b32_e32 v20, 1, v20
	v_or_b32_sdwa v18, v18, v19 dst_sel:WORD_1 dst_unused:UNUSED_PAD src0_sel:DWORD src1_sel:DWORD
	v_or_b32_sdwa v28, v20, v18 dst_sel:DWORD dst_unused:UNUSED_PAD src0_sel:WORD_0 src1_sel:DWORD
	v_cmp_ne_u32_e32 vcc, 0, v0
	s_waitcnt lgkmcnt(0)
	s_barrier
	s_waitcnt lgkmcnt(0)
                                        ; implicit-def: $sgpr18_sgpr19
	s_and_saveexec_b64 s[8:9], vcc
	s_cbranch_execz .LBB735_202
; %bb.190:
	v_cmp_gt_u32_e32 vcc, s7, v1
	s_mov_b64 s[0:1], 0
	s_and_saveexec_b64 s[18:19], vcc
	s_cbranch_execz .LBB735_201
; %bb.191:
	s_andn2_b64 vcc, exec, s[14:15]
	s_mov_b64 s[36:37], 0
	s_cbranch_vccnz .LBB735_200
; %bb.192:
	v_add_u32_e32 v18, -8, v29
	ds_read_b64 v[18:19], v18
	v_mul_lo_u32 v20, v15, s26
	v_mad_u64_u32 v[24:25], s[0:1], v14, s26, 0
	s_mov_b64 s[36:37], -1
	s_waitcnt lgkmcnt(0)
	v_mul_lo_u32 v21, v19, s26
	v_mul_lo_u32 v22, v18, s27
	v_mad_u64_u32 v[18:19], s[0:1], v18, s26, 0
	v_add3_u32 v19, v19, v22, v21
	v_mul_lo_u32 v21, v14, s27
	v_add3_u32 v25, v25, v21, v20
	v_lshlrev_b64 v[20:21], 1, v[18:19]
	v_mov_b32_e32 v18, s29
	v_add_co_u32_e32 v22, vcc, s28, v20
	v_addc_co_u32_e64 v23, s[0:1], v18, v21, vcc
	v_lshlrev_b64 v[18:19], 1, v[24:25]
	v_mov_b32_e32 v20, s29
	v_add_co_u32_e64 v24, s[0:1], s28, v18
	v_addc_co_u32_e64 v25, s[2:3], v20, v19, s[0:1]
	global_load_ushort v18, v[22:23], off
	global_load_ushort v20, v[24:25], off
	s_waitcnt vmcnt(0)
	v_cmp_eq_u16_e64 s[2:3], v18, v20
	s_and_saveexec_b64 s[14:15], s[2:3]
	s_cbranch_execz .LBB735_199
; %bb.193:
	v_mov_b32_e32 v18, s29
	v_addc_co_u32_e64 v19, s[0:1], v19, v18, s[0:1]
	v_add_co_u32_e64 v18, s[0:1], 2, v24
	v_mov_b32_e32 v20, s29
	v_addc_co_u32_e64 v19, s[0:1], 0, v19, s[0:1]
	v_addc_co_u32_e32 v21, vcc, v21, v20, vcc
	v_add_co_u32_e32 v20, vcc, 2, v22
	s_add_u32 s0, s26, -1
	v_addc_co_u32_e32 v21, vcc, 0, v21, vcc
	s_addc_u32 s1, s27, -1
	s_mov_b64 s[2:3], 0
	s_mov_b64 s[36:37], 0
                                        ; implicit-def: $sgpr28_sgpr29
	s_branch .LBB735_196
.LBB735_194:                            ;   in Loop: Header=BB735_196 Depth=1
	global_load_ushort v22, v[20:21], off
	global_load_ushort v23, v[18:19], off
	v_add_co_u32_e32 v18, vcc, 2, v18
	v_addc_co_u32_e32 v19, vcc, 0, v19, vcc
	v_add_co_u32_e32 v20, vcc, 2, v20
	v_addc_co_u32_e32 v21, vcc, 0, v21, vcc
	s_add_u32 s36, s36, 1
	s_addc_u32 s37, s37, 0
	s_andn2_b64 s[28:29], s[28:29], exec
	s_waitcnt vmcnt(0)
	v_cmp_ne_u16_e32 vcc, v22, v23
	s_and_b64 s[38:39], vcc, exec
	s_or_b64 s[28:29], s[28:29], s[38:39]
.LBB735_195:                            ;   in Loop: Header=BB735_196 Depth=1
	s_and_b64 s[38:39], exec, s[28:29]
	s_or_b64 s[2:3], s[38:39], s[2:3]
	v_pk_mov_b32 v[22:23], s[36:37], s[36:37] op_sel:[0,1]
	s_andn2_b64 exec, exec, s[2:3]
	s_cbranch_execz .LBB735_198
.LBB735_196:                            ; =>This Inner Loop Header: Depth=1
	s_or_b64 s[28:29], s[28:29], exec
	s_cmp_eq_u64 s[0:1], s[36:37]
	s_cbranch_scc0 .LBB735_194
; %bb.197:                              ;   in Loop: Header=BB735_196 Depth=1
                                        ; implicit-def: $vgpr18_vgpr19
                                        ; implicit-def: $vgpr20_vgpr21
	s_mov_b64 s[36:37], s[26:27]
	s_branch .LBB735_195
.LBB735_198:
	s_or_b64 exec, exec, s[2:3]
	v_cmp_gt_i64_e32 vcc, s[26:27], v[22:23]
	s_orn2_b64 s[36:37], vcc, exec
.LBB735_199:
	s_or_b64 exec, exec, s[14:15]
.LBB735_200:
	s_and_b64 s[0:1], s[36:37], exec
.LBB735_201:
	s_or_b64 exec, exec, s[18:19]
	s_and_b64 s[18:19], s[0:1], exec
	s_or_b64 s[12:13], s[12:13], exec
.LBB735_202:
	s_or_b64 exec, exec, s[8:9]
.LBB735_203:
	s_and_saveexec_b64 s[0:1], s[12:13]
; %bb.204:
	v_and_b32_e32 v18, 0xffffff00, v28
	v_cndmask_b32_e64 v19, 0, 1, s[18:19]
	v_or_b32_e32 v18, v19, v18
	v_and_b32_e32 v18, 0xffff, v18
	s_mov_b32 s2, 0xffff0000
	v_and_or_b32 v28, v28, s2, v18
; %bb.205:
	s_or_b64 exec, exec, s[0:1]
	s_andn2_b64 vcc, exec, s[10:11]
	s_cbranch_vccnz .LBB735_207
; %bb.206:
	v_cmp_gt_u32_e32 vcc, s7, v1
	v_cndmask_b32_e32 v18, 0, v28, vcc
	v_or_b32_e32 v19, 1, v1
	v_and_b32_e32 v18, 0xff, v18
	v_cmp_gt_u32_e32 vcc, s7, v19
	v_cndmask_b32_e32 v18, v18, v28, vcc
	v_or_b32_e32 v19, 2, v1
	v_and_b32_e32 v18, 0xffff, v18
	;; [unrolled: 4-line block ×3, first 2 shown]
	v_cmp_gt_u32_e32 vcc, s7, v19
	v_cndmask_b32_e32 v28, v18, v28, vcc
.LBB735_207:
	v_bfe_u32 v30, v28, 16, 8
	v_lshrrev_b32_e32 v29, 24, v28
	v_add_u32_sdwa v18, v28, v28 dst_sel:DWORD dst_unused:UNUSED_PAD src0_sel:BYTE_1 src1_sel:BYTE_0
	v_add3_u32 v33, v18, v30, v29
	v_mbcnt_lo_u32_b32 v18, -1, 0
	v_mbcnt_hi_u32_b32 v31, -1, v18
	v_and_b32_e32 v18, 15, v31
	v_cmp_eq_u32_e64 s[14:15], 0, v18
	v_cmp_lt_u32_e64 s[12:13], 1, v18
	v_cmp_lt_u32_e64 s[10:11], 3, v18
	;; [unrolled: 1-line block ×3, first 2 shown]
	v_and_b32_e32 v18, 16, v31
	v_cmp_eq_u32_e64 s[18:19], 0, v18
	v_or_b32_e32 v18, 63, v0
	v_cmp_lt_u32_e64 s[0:1], 31, v31
	v_lshrrev_b32_e32 v32, 6, v0
	v_cmp_eq_u32_e64 s[2:3], v18, v0
	s_and_b64 vcc, exec, s[16:17]
	s_waitcnt lgkmcnt(0)
	s_barrier
	s_cbranch_vccz .LBB735_238
; %bb.208:
	v_mov_b32_dpp v18, v33 row_shr:1 row_mask:0xf bank_mask:0xf
	v_cndmask_b32_e64 v18, v18, 0, s[14:15]
	v_add_u32_e32 v18, v18, v33
	s_nop 1
	v_mov_b32_dpp v19, v18 row_shr:2 row_mask:0xf bank_mask:0xf
	v_cndmask_b32_e64 v19, 0, v19, s[12:13]
	v_add_u32_e32 v18, v18, v19
	s_nop 1
	;; [unrolled: 4-line block ×4, first 2 shown]
	v_mov_b32_dpp v19, v18 row_bcast:15 row_mask:0xf bank_mask:0xf
	v_cndmask_b32_e64 v19, v19, 0, s[18:19]
	v_add_u32_e32 v18, v18, v19
	s_nop 1
	v_mov_b32_dpp v19, v18 row_bcast:31 row_mask:0xf bank_mask:0xf
	v_cndmask_b32_e64 v19, 0, v19, s[0:1]
	v_add_u32_e32 v18, v18, v19
	s_and_saveexec_b64 s[16:17], s[2:3]
	s_cbranch_execz .LBB735_210
; %bb.209:
	v_lshlrev_b32_e32 v19, 2, v32
	ds_write_b32 v19, v18
.LBB735_210:
	s_or_b64 exec, exec, s[16:17]
	v_cmp_gt_u32_e32 vcc, 2, v0
	s_waitcnt lgkmcnt(0)
	s_barrier
	s_and_saveexec_b64 s[16:17], vcc
	s_cbranch_execz .LBB735_212
; %bb.211:
	ds_read_b32 v19, v1
	v_bfe_i32 v20, v31, 0, 1
	s_waitcnt lgkmcnt(0)
	v_mov_b32_dpp v21, v19 row_shr:1 row_mask:0xf bank_mask:0xf
	v_and_b32_e32 v20, v20, v21
	v_add_u32_e32 v19, v20, v19
	ds_write_b32 v1, v19
.LBB735_212:
	s_or_b64 exec, exec, s[16:17]
	v_cmp_gt_u32_e32 vcc, 64, v0
	v_cmp_lt_u32_e64 s[16:17], 63, v0
	s_waitcnt lgkmcnt(0)
	s_barrier
	s_waitcnt lgkmcnt(0)
                                        ; implicit-def: $vgpr34
	s_and_saveexec_b64 s[26:27], s[16:17]
	s_cbranch_execz .LBB735_214
; %bb.213:
	v_lshl_add_u32 v19, v32, 2, -4
	ds_read_b32 v34, v19
	s_waitcnt lgkmcnt(0)
	v_add_u32_e32 v18, v34, v18
.LBB735_214:
	s_or_b64 exec, exec, s[26:27]
	v_add_u32_e32 v19, -1, v31
	v_and_b32_e32 v20, 64, v31
	v_cmp_lt_i32_e64 s[16:17], v19, v20
	v_cndmask_b32_e64 v19, v19, v31, s[16:17]
	v_lshlrev_b32_e32 v19, 2, v19
	ds_bpermute_b32 v35, v19, v18
	v_cmp_eq_u32_e64 s[16:17], 0, v31
	s_and_saveexec_b64 s[26:27], vcc
	s_cbranch_execz .LBB735_237
; %bb.215:
	v_mov_b32_e32 v27, 0
	ds_read_b32 v18, v27 offset:4
	s_and_saveexec_b64 s[28:29], s[16:17]
	s_cbranch_execz .LBB735_217
; %bb.216:
	s_add_i32 s36, s6, 64
	s_mov_b32 s37, 0
	s_lshl_b64 s[36:37], s[36:37], 3
	s_add_u32 s36, s30, s36
	v_mov_b32_e32 v19, 1
	s_addc_u32 s37, s31, s37
	s_waitcnt lgkmcnt(0)
	global_store_dwordx2 v27, v[18:19], s[36:37]
.LBB735_217:
	s_or_b64 exec, exec, s[28:29]
	v_xad_u32 v20, v31, -1, s6
	v_add_u32_e32 v26, 64, v20
	v_lshlrev_b64 v[22:23], 3, v[26:27]
	v_mov_b32_e32 v19, s31
	v_add_co_u32_e32 v22, vcc, s30, v22
	v_addc_co_u32_e32 v23, vcc, v19, v23, vcc
	global_load_dwordx2 v[24:25], v[22:23], off glc
	s_waitcnt vmcnt(0)
	v_cmp_eq_u16_sdwa s[36:37], v25, v27 src0_sel:BYTE_0 src1_sel:DWORD
	s_and_saveexec_b64 s[28:29], s[36:37]
	s_cbranch_execz .LBB735_223
; %bb.218:
	s_mov_b32 s7, 1
	s_mov_b64 s[36:37], 0
	v_mov_b32_e32 v19, 0
.LBB735_219:                            ; =>This Loop Header: Depth=1
                                        ;     Child Loop BB735_220 Depth 2
	s_max_u32 s33, s7, 1
.LBB735_220:                            ;   Parent Loop BB735_219 Depth=1
                                        ; =>  This Inner Loop Header: Depth=2
	s_add_i32 s33, s33, -1
	s_cmp_eq_u32 s33, 0
	s_sleep 1
	s_cbranch_scc0 .LBB735_220
; %bb.221:                              ;   in Loop: Header=BB735_219 Depth=1
	global_load_dwordx2 v[24:25], v[22:23], off glc
	s_cmp_lt_u32 s7, 32
	s_cselect_b64 s[38:39], -1, 0
	s_cmp_lg_u64 s[38:39], 0
	s_addc_u32 s7, s7, 0
	s_waitcnt vmcnt(0)
	v_cmp_ne_u16_sdwa s[38:39], v25, v19 src0_sel:BYTE_0 src1_sel:DWORD
	s_or_b64 s[36:37], s[38:39], s[36:37]
	s_andn2_b64 exec, exec, s[36:37]
	s_cbranch_execnz .LBB735_219
; %bb.222:
	s_or_b64 exec, exec, s[36:37]
.LBB735_223:
	s_or_b64 exec, exec, s[28:29]
	v_and_b32_e32 v36, 63, v31
	v_mov_b32_e32 v19, 2
	v_cmp_ne_u32_e32 vcc, 63, v36
	v_cmp_eq_u16_sdwa s[28:29], v25, v19 src0_sel:BYTE_0 src1_sel:DWORD
	v_lshlrev_b64 v[22:23], v31, -1
	v_addc_co_u32_e32 v27, vcc, 0, v31, vcc
	v_and_b32_e32 v21, s29, v23
	v_lshlrev_b32_e32 v37, 2, v27
	v_or_b32_e32 v21, 0x80000000, v21
	ds_bpermute_b32 v27, v37, v24
	v_and_b32_e32 v26, s28, v22
	v_ffbl_b32_e32 v21, v21
	v_add_u32_e32 v21, 32, v21
	v_ffbl_b32_e32 v26, v26
	v_min_u32_e32 v21, v26, v21
	v_cmp_lt_u32_e32 vcc, v36, v21
	s_waitcnt lgkmcnt(0)
	v_cndmask_b32_e32 v26, 0, v27, vcc
	v_cmp_gt_u32_e32 vcc, 62, v36
	v_add_u32_e32 v24, v26, v24
	v_cndmask_b32_e64 v26, 0, 1, vcc
	v_lshlrev_b32_e32 v26, 1, v26
	v_add_lshl_u32 v38, v26, v31, 2
	ds_bpermute_b32 v26, v38, v24
	v_add_u32_e32 v39, 2, v36
	v_cmp_le_u32_e32 vcc, v39, v21
	v_add_u32_e32 v41, 4, v36
	v_add_u32_e32 v43, 8, v36
	s_waitcnt lgkmcnt(0)
	v_cndmask_b32_e32 v26, 0, v26, vcc
	v_cmp_gt_u32_e32 vcc, 60, v36
	v_add_u32_e32 v24, v24, v26
	v_cndmask_b32_e64 v26, 0, 1, vcc
	v_lshlrev_b32_e32 v26, 2, v26
	v_add_lshl_u32 v40, v26, v31, 2
	ds_bpermute_b32 v26, v40, v24
	v_cmp_le_u32_e32 vcc, v41, v21
	v_add_u32_e32 v46, 16, v36
	v_add_u32_e32 v48, 32, v36
	s_waitcnt lgkmcnt(0)
	v_cndmask_b32_e32 v26, 0, v26, vcc
	v_cmp_gt_u32_e32 vcc, 56, v36
	v_add_u32_e32 v24, v24, v26
	v_cndmask_b32_e64 v26, 0, 1, vcc
	v_lshlrev_b32_e32 v26, 3, v26
	v_add_lshl_u32 v42, v26, v31, 2
	ds_bpermute_b32 v26, v42, v24
	v_cmp_le_u32_e32 vcc, v43, v21
	s_waitcnt lgkmcnt(0)
	v_cndmask_b32_e32 v26, 0, v26, vcc
	v_cmp_gt_u32_e32 vcc, 48, v36
	v_add_u32_e32 v24, v24, v26
	v_cndmask_b32_e64 v26, 0, 1, vcc
	v_lshlrev_b32_e32 v26, 4, v26
	v_add_lshl_u32 v45, v26, v31, 2
	ds_bpermute_b32 v26, v45, v24
	v_cmp_le_u32_e32 vcc, v46, v21
	;; [unrolled: 9-line block ×3, first 2 shown]
	s_waitcnt lgkmcnt(0)
	v_cndmask_b32_e32 v21, 0, v26, vcc
	v_add_u32_e32 v24, v24, v21
	v_mov_b32_e32 v21, 0
	s_branch .LBB735_225
.LBB735_224:                            ;   in Loop: Header=BB735_225 Depth=1
	s_or_b64 exec, exec, s[28:29]
	v_cmp_eq_u16_sdwa s[28:29], v25, v19 src0_sel:BYTE_0 src1_sel:DWORD
	v_and_b32_e32 v26, s29, v23
	v_or_b32_e32 v26, 0x80000000, v26
	ds_bpermute_b32 v49, v37, v24
	v_and_b32_e32 v27, s28, v22
	v_ffbl_b32_e32 v26, v26
	v_add_u32_e32 v26, 32, v26
	v_ffbl_b32_e32 v27, v27
	v_min_u32_e32 v26, v27, v26
	v_cmp_lt_u32_e32 vcc, v36, v26
	s_waitcnt lgkmcnt(0)
	v_cndmask_b32_e32 v27, 0, v49, vcc
	v_add_u32_e32 v24, v27, v24
	ds_bpermute_b32 v27, v38, v24
	v_cmp_le_u32_e32 vcc, v39, v26
	v_subrev_u32_e32 v20, 64, v20
	s_waitcnt lgkmcnt(0)
	v_cndmask_b32_e32 v27, 0, v27, vcc
	v_add_u32_e32 v24, v24, v27
	ds_bpermute_b32 v27, v40, v24
	v_cmp_le_u32_e32 vcc, v41, v26
	s_waitcnt lgkmcnt(0)
	v_cndmask_b32_e32 v27, 0, v27, vcc
	v_add_u32_e32 v24, v24, v27
	ds_bpermute_b32 v27, v42, v24
	v_cmp_le_u32_e32 vcc, v43, v26
	;; [unrolled: 5-line block ×4, first 2 shown]
	s_waitcnt lgkmcnt(0)
	v_cndmask_b32_e32 v26, 0, v27, vcc
	v_add3_u32 v24, v26, v44, v24
.LBB735_225:                            ; =>This Loop Header: Depth=1
                                        ;     Child Loop BB735_228 Depth 2
                                        ;       Child Loop BB735_229 Depth 3
	v_cmp_ne_u16_sdwa s[28:29], v25, v19 src0_sel:BYTE_0 src1_sel:DWORD
	v_cndmask_b32_e64 v25, 0, 1, s[28:29]
	;;#ASMSTART
	;;#ASMEND
	v_cmp_ne_u32_e32 vcc, 0, v25
	s_cmp_lg_u64 vcc, exec
	v_mov_b32_e32 v44, v24
	s_cbranch_scc1 .LBB735_232
; %bb.226:                              ;   in Loop: Header=BB735_225 Depth=1
	v_lshlrev_b64 v[24:25], 3, v[20:21]
	v_mov_b32_e32 v27, s31
	v_add_co_u32_e32 v26, vcc, s30, v24
	v_addc_co_u32_e32 v27, vcc, v27, v25, vcc
	global_load_dwordx2 v[24:25], v[26:27], off glc
	s_waitcnt vmcnt(0)
	v_cmp_eq_u16_sdwa s[36:37], v25, v21 src0_sel:BYTE_0 src1_sel:DWORD
	s_and_saveexec_b64 s[28:29], s[36:37]
	s_cbranch_execz .LBB735_224
; %bb.227:                              ;   in Loop: Header=BB735_225 Depth=1
	s_mov_b32 s7, 1
	s_mov_b64 s[36:37], 0
.LBB735_228:                            ;   Parent Loop BB735_225 Depth=1
                                        ; =>  This Loop Header: Depth=2
                                        ;       Child Loop BB735_229 Depth 3
	s_max_u32 s33, s7, 1
.LBB735_229:                            ;   Parent Loop BB735_225 Depth=1
                                        ;     Parent Loop BB735_228 Depth=2
                                        ; =>    This Inner Loop Header: Depth=3
	s_add_i32 s33, s33, -1
	s_cmp_eq_u32 s33, 0
	s_sleep 1
	s_cbranch_scc0 .LBB735_229
; %bb.230:                              ;   in Loop: Header=BB735_228 Depth=2
	global_load_dwordx2 v[24:25], v[26:27], off glc
	s_cmp_lt_u32 s7, 32
	s_cselect_b64 s[38:39], -1, 0
	s_cmp_lg_u64 s[38:39], 0
	s_addc_u32 s7, s7, 0
	s_waitcnt vmcnt(0)
	v_cmp_ne_u16_sdwa s[38:39], v25, v21 src0_sel:BYTE_0 src1_sel:DWORD
	s_or_b64 s[36:37], s[38:39], s[36:37]
	s_andn2_b64 exec, exec, s[36:37]
	s_cbranch_execnz .LBB735_228
; %bb.231:                              ;   in Loop: Header=BB735_225 Depth=1
	s_or_b64 exec, exec, s[36:37]
	s_branch .LBB735_224
.LBB735_232:                            ;   in Loop: Header=BB735_225 Depth=1
                                        ; implicit-def: $vgpr24
                                        ; implicit-def: $vgpr25
	s_cbranch_execz .LBB735_225
; %bb.233:
	s_and_saveexec_b64 s[28:29], s[16:17]
	s_cbranch_execz .LBB735_235
; %bb.234:
	s_add_i32 s6, s6, 64
	s_mov_b32 s7, 0
	s_lshl_b64 s[6:7], s[6:7], 3
	s_add_u32 s6, s30, s6
	v_add_u32_e32 v20, v44, v18
	v_mov_b32_e32 v21, 2
	s_addc_u32 s7, s31, s7
	v_mov_b32_e32 v19, 0
	global_store_dwordx2 v19, v[20:21], s[6:7]
	s_movk_i32 s6, 0x1000
	v_add_u32_e64 v19, s6, 0
	ds_write2_b32 v19, v18, v44 offset0:32 offset1:34
.LBB735_235:
	s_or_b64 exec, exec, s[28:29]
	v_cmp_eq_u32_e32 vcc, 0, v0
	s_and_b64 exec, exec, vcc
	s_cbranch_execz .LBB735_237
; %bb.236:
	v_mov_b32_e32 v18, 0
	ds_write_b32 v18, v44 offset:4
.LBB735_237:
	s_or_b64 exec, exec, s[26:27]
	v_mov_b32_e32 v19, 0
	s_waitcnt lgkmcnt(0)
	s_barrier
	ds_read_b32 v19, v19 offset:4
	s_movk_i32 s6, 0x1000
	v_add_u32_e64 v20, s6, 0
	v_cndmask_b32_e64 v18, v35, v34, s[16:17]
	v_cmp_ne_u32_e32 vcc, 0, v0
	s_waitcnt lgkmcnt(0)
	s_barrier
	ds_read2_b32 v[26:27], v20 offset0:32 offset1:34
	v_cndmask_b32_e32 v18, 0, v18, vcc
	v_add_u32_e32 v24, v19, v18
	v_add_u32_sdwa v22, v24, v28 dst_sel:DWORD dst_unused:UNUSED_PAD src0_sel:DWORD src1_sel:BYTE_0
	v_add_u32_sdwa v20, v22, v28 dst_sel:DWORD dst_unused:UNUSED_PAD src0_sel:DWORD src1_sel:BYTE_1
	v_add_u32_e32 v18, v20, v30
	s_waitcnt lgkmcnt(0)
	v_readfirstlane_b32 s26, v26
	v_readfirstlane_b32 s16, v27
	s_branch .LBB735_248
.LBB735_238:
                                        ; implicit-def: $vgpr18
                                        ; implicit-def: $vgpr20
                                        ; implicit-def: $vgpr22
                                        ; implicit-def: $vgpr24
                                        ; implicit-def: $sgpr16
                                        ; implicit-def: $sgpr26
	s_cbranch_execz .LBB735_248
; %bb.239:
	s_nop 0
	v_mov_b32_dpp v18, v33 row_shr:1 row_mask:0xf bank_mask:0xf
	v_cndmask_b32_e64 v18, v18, 0, s[14:15]
	v_add_u32_e32 v18, v18, v33
	s_nop 1
	v_mov_b32_dpp v19, v18 row_shr:2 row_mask:0xf bank_mask:0xf
	v_cndmask_b32_e64 v19, 0, v19, s[12:13]
	v_add_u32_e32 v18, v18, v19
	;; [unrolled: 4-line block ×4, first 2 shown]
	s_nop 1
	v_mov_b32_dpp v19, v18 row_bcast:15 row_mask:0xf bank_mask:0xf
	v_cndmask_b32_e64 v19, v19, 0, s[18:19]
	v_add_u32_e32 v18, v18, v19
	s_nop 1
	v_mov_b32_dpp v19, v18 row_bcast:31 row_mask:0xf bank_mask:0xf
	v_cndmask_b32_e64 v19, 0, v19, s[0:1]
	v_add_u32_e32 v18, v18, v19
	s_and_saveexec_b64 s[0:1], s[2:3]
	s_cbranch_execz .LBB735_241
; %bb.240:
	v_lshlrev_b32_e32 v19, 2, v32
	ds_write_b32 v19, v18
.LBB735_241:
	s_or_b64 exec, exec, s[0:1]
	v_cmp_gt_u32_e32 vcc, 2, v0
	s_waitcnt lgkmcnt(0)
	s_barrier
	s_and_saveexec_b64 s[0:1], vcc
	s_cbranch_execz .LBB735_243
; %bb.242:
	ds_read_b32 v19, v1
	v_bfe_i32 v20, v31, 0, 1
	s_waitcnt lgkmcnt(0)
	v_mov_b32_dpp v21, v19 row_shr:1 row_mask:0xf bank_mask:0xf
	v_and_b32_e32 v20, v20, v21
	v_add_u32_e32 v19, v20, v19
	ds_write_b32 v1, v19
.LBB735_243:
	s_or_b64 exec, exec, s[0:1]
	v_cmp_lt_u32_e32 vcc, 63, v0
	v_mov_b32_e32 v19, 0
	v_mov_b32_e32 v1, 0
	s_waitcnt lgkmcnt(0)
	s_barrier
	s_and_saveexec_b64 s[0:1], vcc
	s_cbranch_execz .LBB735_245
; %bb.244:
	v_lshl_add_u32 v1, v32, 2, -4
	ds_read_b32 v1, v1
.LBB735_245:
	s_or_b64 exec, exec, s[0:1]
	v_add_u32_e32 v20, -1, v31
	v_and_b32_e32 v21, 64, v31
	v_cmp_lt_i32_e32 vcc, v20, v21
	v_cndmask_b32_e32 v20, v20, v31, vcc
	s_waitcnt lgkmcnt(0)
	v_add_u32_e32 v18, v1, v18
	v_lshlrev_b32_e32 v20, 2, v20
	ds_read_b32 v19, v19 offset:4
	ds_bpermute_b32 v18, v20, v18
	s_mov_b32 s16, 0
	v_cmp_eq_u32_e32 vcc, 0, v0
	s_waitcnt lgkmcnt(1)
	v_readfirstlane_b32 s26, v19
	s_and_saveexec_b64 s[0:1], vcc
	s_cbranch_execz .LBB735_247
; %bb.246:
	v_mov_b32_e32 v19, 0
	v_mov_b32_e32 v20, s26
	;; [unrolled: 1-line block ×3, first 2 shown]
	global_store_dwordx2 v19, v[20:21], s[30:31] offset:512
.LBB735_247:
	s_or_b64 exec, exec, s[0:1]
	v_cmp_eq_u32_e64 s[0:1], 0, v31
	s_waitcnt lgkmcnt(0)
	v_cndmask_b32_e64 v1, v18, v1, s[0:1]
	v_cndmask_b32_e64 v24, v1, 0, vcc
	v_add_u32_sdwa v22, v24, v28 dst_sel:DWORD dst_unused:UNUSED_PAD src0_sel:DWORD src1_sel:BYTE_0
	v_add_u32_sdwa v20, v22, v28 dst_sel:DWORD dst_unused:UNUSED_PAD src0_sel:DWORD src1_sel:BYTE_1
	v_add_u32_e32 v18, v20, v30
	s_barrier
.LBB735_248:
	s_load_dwordx4 s[4:7], s[4:5], 0x28
	s_cmpk_lt_u32 s26, 0x81
	s_cselect_b64 s[2:3], -1, 0
	v_lshrrev_b32_e32 v1, 8, v28
	s_mov_b64 s[0:1], -1
	s_and_b64 vcc, exec, s[2:3]
	s_cbranch_vccz .LBB735_262
; %bb.249:
	s_add_i32 s8, s16, s26
	v_cmp_gt_u32_e32 vcc, s8, v24
	s_or_b64 s[10:11], s[34:35], vcc
	s_and_saveexec_b64 s[0:1], s[10:11]
	s_cbranch_execz .LBB735_252
; %bb.250:
	v_and_b32_e32 v19, 1, v28
	v_cmp_eq_u32_e32 vcc, 1, v19
	s_and_b64 exec, exec, vcc
	s_cbranch_execz .LBB735_252
; %bb.251:
	s_lshl_b64 s[10:11], s[22:23], 3
	s_waitcnt lgkmcnt(0)
	s_add_u32 s9, s4, s10
	v_mov_b32_e32 v25, 0
	s_addc_u32 s10, s5, s11
	v_lshlrev_b64 v[26:27], 3, v[24:25]
	v_mov_b32_e32 v19, s10
	v_add_co_u32_e32 v26, vcc, s9, v26
	v_addc_co_u32_e32 v27, vcc, v19, v27, vcc
	global_store_dwordx2 v[26:27], v[14:15], off
.LBB735_252:
	s_or_b64 exec, exec, s[0:1]
	v_cmp_gt_u32_e32 vcc, s8, v22
	s_or_b64 s[10:11], s[34:35], vcc
	s_and_saveexec_b64 s[0:1], s[10:11]
	s_cbranch_execz .LBB735_255
; %bb.253:
	v_and_b32_e32 v19, 1, v1
	v_cmp_eq_u32_e32 vcc, 1, v19
	s_and_b64 exec, exec, vcc
	s_cbranch_execz .LBB735_255
; %bb.254:
	s_lshl_b64 s[10:11], s[22:23], 3
	s_waitcnt lgkmcnt(0)
	s_add_u32 s9, s4, s10
	v_mov_b32_e32 v23, 0
	s_addc_u32 s10, s5, s11
	v_lshlrev_b64 v[26:27], 3, v[22:23]
	v_mov_b32_e32 v19, s10
	v_add_co_u32_e32 v26, vcc, s9, v26
	v_addc_co_u32_e32 v27, vcc, v19, v27, vcc
	global_store_dwordx2 v[26:27], v[16:17], off
.LBB735_255:
	s_or_b64 exec, exec, s[0:1]
	v_cmp_gt_u32_e32 vcc, s8, v20
	s_or_b64 s[10:11], s[34:35], vcc
	s_and_saveexec_b64 s[0:1], s[10:11]
	s_cbranch_execz .LBB735_258
; %bb.256:
	v_mov_b32_e32 v19, 1
	v_and_b32_sdwa v19, v19, v28 dst_sel:DWORD dst_unused:UNUSED_PAD src0_sel:DWORD src1_sel:WORD_1
	v_cmp_eq_u32_e32 vcc, 1, v19
	s_and_b64 exec, exec, vcc
	s_cbranch_execz .LBB735_258
; %bb.257:
	s_lshl_b64 s[10:11], s[22:23], 3
	s_waitcnt lgkmcnt(0)
	s_add_u32 s9, s4, s10
	v_mov_b32_e32 v21, 0
	s_addc_u32 s10, s5, s11
	v_lshlrev_b64 v[26:27], 3, v[20:21]
	v_mov_b32_e32 v19, s10
	v_add_co_u32_e32 v26, vcc, s9, v26
	v_addc_co_u32_e32 v27, vcc, v19, v27, vcc
	global_store_dwordx2 v[26:27], v[10:11], off
.LBB735_258:
	s_or_b64 exec, exec, s[0:1]
	v_cmp_gt_u32_e32 vcc, s8, v18
	s_or_b64 s[8:9], s[34:35], vcc
	s_and_saveexec_b64 s[0:1], s[8:9]
	s_cbranch_execz .LBB735_261
; %bb.259:
	v_and_b32_e32 v19, 1, v29
	v_cmp_eq_u32_e32 vcc, 1, v19
	s_and_b64 exec, exec, vcc
	s_cbranch_execz .LBB735_261
; %bb.260:
	s_lshl_b64 s[8:9], s[22:23], 3
	s_waitcnt lgkmcnt(0)
	s_add_u32 s8, s4, s8
	v_mov_b32_e32 v19, 0
	s_addc_u32 s9, s5, s9
	v_lshlrev_b64 v[26:27], 3, v[18:19]
	v_mov_b32_e32 v19, s9
	v_add_co_u32_e32 v26, vcc, s8, v26
	v_addc_co_u32_e32 v27, vcc, v19, v27, vcc
	global_store_dwordx2 v[26:27], v[12:13], off
.LBB735_261:
	s_or_b64 exec, exec, s[0:1]
	s_mov_b64 s[0:1], 0
.LBB735_262:
	v_and_b32_e32 v26, 1, v28
	s_and_b64 vcc, exec, s[0:1]
	v_cmp_eq_u32_e64 s[0:1], 1, v26
	s_cbranch_vccz .LBB735_275
; %bb.263:
	s_and_saveexec_b64 s[8:9], s[0:1]
	s_cbranch_execz .LBB735_265
; %bb.264:
	v_subrev_u32_e32 v19, s16, v24
	v_lshlrev_b32_e32 v19, 3, v19
	ds_write_b64 v19, v[14:15]
.LBB735_265:
	s_or_b64 exec, exec, s[8:9]
	v_and_b32_e32 v14, 1, v1
	v_cmp_eq_u32_e32 vcc, 1, v14
	s_and_saveexec_b64 s[0:1], vcc
	s_cbranch_execz .LBB735_267
; %bb.266:
	v_subrev_u32_e32 v14, s16, v22
	v_lshlrev_b32_e32 v14, 3, v14
	ds_write_b64 v14, v[16:17]
.LBB735_267:
	s_or_b64 exec, exec, s[0:1]
	v_mov_b32_e32 v14, 1
	v_and_b32_sdwa v14, v14, v28 dst_sel:DWORD dst_unused:UNUSED_PAD src0_sel:DWORD src1_sel:WORD_1
	v_cmp_eq_u32_e32 vcc, 1, v14
	s_and_saveexec_b64 s[0:1], vcc
	s_cbranch_execz .LBB735_269
; %bb.268:
	v_subrev_u32_e32 v14, s16, v20
	v_lshlrev_b32_e32 v14, 3, v14
	ds_write_b64 v14, v[10:11]
.LBB735_269:
	s_or_b64 exec, exec, s[0:1]
	v_and_b32_e32 v10, 1, v29
	v_cmp_eq_u32_e32 vcc, 1, v10
	s_and_saveexec_b64 s[0:1], vcc
	s_cbranch_execz .LBB735_271
; %bb.270:
	v_subrev_u32_e32 v10, s16, v18
	v_lshlrev_b32_e32 v10, 3, v10
	ds_write_b64 v10, v[12:13]
.LBB735_271:
	s_or_b64 exec, exec, s[0:1]
	v_cmp_gt_u32_e32 vcc, s26, v0
	s_waitcnt lgkmcnt(0)
	s_barrier
	s_and_saveexec_b64 s[0:1], vcc
	s_cbranch_execz .LBB735_274
; %bb.272:
	s_mov_b32 s17, 0
	s_lshl_b64 s[8:9], s[16:17], 3
	s_add_u32 s8, s4, s8
	s_addc_u32 s9, s5, s9
	s_lshl_b64 s[4:5], s[22:23], 3
	s_add_u32 s8, s8, s4
	s_addc_u32 s9, s9, s5
	v_lshlrev_b32_e32 v12, 3, v0
	s_mov_b64 s[4:5], 0
	v_mov_b32_e32 v11, 0
	v_mov_b32_e32 v13, s9
	;; [unrolled: 1-line block ×3, first 2 shown]
.LBB735_273:                            ; =>This Inner Loop Header: Depth=1
	ds_read_b64 v[14:15], v12
	v_lshlrev_b64 v[16:17], 3, v[10:11]
	v_add_co_u32_e32 v16, vcc, s8, v16
	v_add_u32_e32 v10, 0x80, v10
	v_addc_co_u32_e32 v17, vcc, v13, v17, vcc
	v_cmp_le_u32_e32 vcc, s26, v10
	v_add_u32_e32 v12, 0x400, v12
	s_or_b64 s[4:5], vcc, s[4:5]
	s_waitcnt lgkmcnt(0)
	global_store_dwordx2 v[16:17], v[14:15], off
	s_andn2_b64 exec, exec, s[4:5]
	s_cbranch_execnz .LBB735_273
.LBB735_274:
	s_or_b64 exec, exec, s[0:1]
.LBB735_275:
	s_mov_b64 s[0:1], -1
	s_and_b64 vcc, exec, s[2:3]
	s_waitcnt lgkmcnt(0)
	s_barrier
	s_cbranch_vccnz .LBB735_279
; %bb.276:
	s_and_b64 vcc, exec, s[0:1]
	s_cbranch_vccnz .LBB735_292
.LBB735_277:
	v_cmp_eq_u32_e32 vcc, 0, v0
	s_and_b64 s[0:1], vcc, s[24:25]
	s_and_saveexec_b64 s[2:3], s[0:1]
	s_cbranch_execnz .LBB735_304
.LBB735_278:
	s_endpgm
.LBB735_279:
	s_add_i32 s2, s16, s26
	v_cmp_gt_u32_e32 vcc, s2, v24
	s_or_b64 s[4:5], s[34:35], vcc
	s_and_saveexec_b64 s[0:1], s[4:5]
	s_cbranch_execz .LBB735_282
; %bb.280:
	v_cmp_eq_u32_e32 vcc, 1, v26
	s_and_b64 exec, exec, vcc
	s_cbranch_execz .LBB735_282
; %bb.281:
	s_lshl_b64 s[4:5], s[22:23], 3
	s_add_u32 s3, s6, s4
	v_mov_b32_e32 v25, 0
	s_addc_u32 s4, s7, s5
	v_lshlrev_b64 v[10:11], 3, v[24:25]
	v_mov_b32_e32 v12, s4
	v_add_co_u32_e32 v10, vcc, s3, v10
	v_addc_co_u32_e32 v11, vcc, v12, v11, vcc
	global_store_dwordx2 v[10:11], v[6:7], off
.LBB735_282:
	s_or_b64 exec, exec, s[0:1]
	v_cmp_gt_u32_e32 vcc, s2, v22
	s_or_b64 s[4:5], s[34:35], vcc
	s_and_saveexec_b64 s[0:1], s[4:5]
	s_cbranch_execz .LBB735_285
; %bb.283:
	v_and_b32_e32 v10, 1, v1
	v_cmp_eq_u32_e32 vcc, 1, v10
	s_and_b64 exec, exec, vcc
	s_cbranch_execz .LBB735_285
; %bb.284:
	s_lshl_b64 s[4:5], s[22:23], 3
	s_add_u32 s3, s6, s4
	v_mov_b32_e32 v23, 0
	s_addc_u32 s4, s7, s5
	v_lshlrev_b64 v[10:11], 3, v[22:23]
	v_mov_b32_e32 v12, s4
	v_add_co_u32_e32 v10, vcc, s3, v10
	v_addc_co_u32_e32 v11, vcc, v12, v11, vcc
	global_store_dwordx2 v[10:11], v[8:9], off
.LBB735_285:
	s_or_b64 exec, exec, s[0:1]
	v_cmp_gt_u32_e32 vcc, s2, v20
	s_or_b64 s[4:5], s[34:35], vcc
	s_and_saveexec_b64 s[0:1], s[4:5]
	s_cbranch_execz .LBB735_288
; %bb.286:
	v_mov_b32_e32 v10, 1
	v_and_b32_sdwa v10, v10, v28 dst_sel:DWORD dst_unused:UNUSED_PAD src0_sel:DWORD src1_sel:WORD_1
	v_cmp_eq_u32_e32 vcc, 1, v10
	s_and_b64 exec, exec, vcc
	s_cbranch_execz .LBB735_288
; %bb.287:
	s_lshl_b64 s[4:5], s[22:23], 3
	s_add_u32 s3, s6, s4
	v_mov_b32_e32 v21, 0
	s_addc_u32 s4, s7, s5
	v_lshlrev_b64 v[10:11], 3, v[20:21]
	v_mov_b32_e32 v12, s4
	v_add_co_u32_e32 v10, vcc, s3, v10
	v_addc_co_u32_e32 v11, vcc, v12, v11, vcc
	global_store_dwordx2 v[10:11], v[2:3], off
.LBB735_288:
	s_or_b64 exec, exec, s[0:1]
	v_cmp_gt_u32_e32 vcc, s2, v18
	s_or_b64 s[2:3], s[34:35], vcc
	s_and_saveexec_b64 s[0:1], s[2:3]
	s_cbranch_execz .LBB735_291
; %bb.289:
	v_and_b32_e32 v10, 1, v29
	v_cmp_eq_u32_e32 vcc, 1, v10
	s_and_b64 exec, exec, vcc
	s_cbranch_execz .LBB735_291
; %bb.290:
	s_lshl_b64 s[2:3], s[22:23], 3
	s_add_u32 s2, s6, s2
	v_mov_b32_e32 v19, 0
	s_addc_u32 s3, s7, s3
	v_lshlrev_b64 v[10:11], 3, v[18:19]
	v_mov_b32_e32 v12, s3
	v_add_co_u32_e32 v10, vcc, s2, v10
	v_addc_co_u32_e32 v11, vcc, v12, v11, vcc
	global_store_dwordx2 v[10:11], v[4:5], off
.LBB735_291:
	s_or_b64 exec, exec, s[0:1]
	s_branch .LBB735_277
.LBB735_292:
	v_cmp_eq_u32_e32 vcc, 1, v26
	s_and_saveexec_b64 s[0:1], vcc
	s_cbranch_execz .LBB735_294
; %bb.293:
	v_subrev_u32_e32 v10, s16, v24
	v_lshlrev_b32_e32 v10, 3, v10
	ds_write_b64 v10, v[6:7]
.LBB735_294:
	s_or_b64 exec, exec, s[0:1]
	v_and_b32_e32 v1, 1, v1
	v_cmp_eq_u32_e32 vcc, 1, v1
	s_and_saveexec_b64 s[0:1], vcc
	s_cbranch_execz .LBB735_296
; %bb.295:
	v_subrev_u32_e32 v1, s16, v22
	v_lshlrev_b32_e32 v1, 3, v1
	ds_write_b64 v1, v[8:9]
.LBB735_296:
	s_or_b64 exec, exec, s[0:1]
	v_mov_b32_e32 v1, 1
	v_and_b32_sdwa v1, v1, v28 dst_sel:DWORD dst_unused:UNUSED_PAD src0_sel:DWORD src1_sel:WORD_1
	v_cmp_eq_u32_e32 vcc, 1, v1
	s_and_saveexec_b64 s[0:1], vcc
	s_cbranch_execz .LBB735_298
; %bb.297:
	v_subrev_u32_e32 v1, s16, v20
	v_lshlrev_b32_e32 v1, 3, v1
	ds_write_b64 v1, v[2:3]
.LBB735_298:
	s_or_b64 exec, exec, s[0:1]
	v_and_b32_e32 v1, 1, v29
	v_cmp_eq_u32_e32 vcc, 1, v1
	s_and_saveexec_b64 s[0:1], vcc
	s_cbranch_execz .LBB735_300
; %bb.299:
	v_subrev_u32_e32 v1, s16, v18
	v_lshlrev_b32_e32 v1, 3, v1
	ds_write_b64 v1, v[4:5]
.LBB735_300:
	s_or_b64 exec, exec, s[0:1]
	v_cmp_gt_u32_e32 vcc, s26, v0
	s_waitcnt lgkmcnt(0)
	s_barrier
	s_and_saveexec_b64 s[0:1], vcc
	s_cbranch_execz .LBB735_303
; %bb.301:
	s_mov_b32 s17, 0
	s_lshl_b64 s[2:3], s[16:17], 3
	s_add_u32 s4, s6, s2
	s_addc_u32 s5, s7, s3
	s_lshl_b64 s[2:3], s[22:23], 3
	s_add_u32 s4, s4, s2
	s_addc_u32 s5, s5, s3
	v_lshlrev_b32_e32 v1, 3, v0
	s_mov_b64 s[2:3], 0
	v_mov_b32_e32 v3, 0
	v_mov_b32_e32 v4, s5
	v_mov_b32_e32 v2, v0
.LBB735_302:                            ; =>This Inner Loop Header: Depth=1
	ds_read_b64 v[6:7], v1
	v_lshlrev_b64 v[8:9], 3, v[2:3]
	v_add_co_u32_e32 v8, vcc, s4, v8
	v_add_u32_e32 v2, 0x80, v2
	v_addc_co_u32_e32 v9, vcc, v4, v9, vcc
	v_cmp_le_u32_e32 vcc, s26, v2
	v_add_u32_e32 v1, 0x400, v1
	s_or_b64 s[2:3], vcc, s[2:3]
	s_waitcnt lgkmcnt(0)
	global_store_dwordx2 v[8:9], v[6:7], off
	s_andn2_b64 exec, exec, s[2:3]
	s_cbranch_execnz .LBB735_302
.LBB735_303:
	s_or_b64 exec, exec, s[0:1]
	v_cmp_eq_u32_e32 vcc, 0, v0
	s_and_b64 s[0:1], vcc, s[24:25]
	s_and_saveexec_b64 s[2:3], s[0:1]
	s_cbranch_execz .LBB735_278
.LBB735_304:
	s_add_u32 s0, s22, s26
	s_addc_u32 s1, s23, 0
	s_add_u32 s0, s0, s16
	s_addc_u32 s1, s1, 0
	v_mov_b32_e32 v2, 0
	v_pk_mov_b32 v[0:1], s[0:1], s[0:1] op_sel:[0,1]
	global_store_dwordx2 v2, v[0:1], s[20:21]
	s_endpgm
	.section	.rodata,"a",@progbits
	.p2align	6, 0x0
	.amdhsa_kernel _ZN7rocprim17ROCPRIM_400000_NS6detail17trampoline_kernelINS0_14default_configENS1_25partition_config_selectorILNS1_17partition_subalgoE9EllbEEZZNS1_14partition_implILS5_9ELb0ES3_jPlS8_PNS0_10empty_typeENS0_5tupleIJS8_S9_EEENSB_IJS8_SA_EEENS0_18inequality_wrapperIZN2at6native12_GLOBAL__N_124unique_dim_cuda_templateIsEESt5tupleIJNSF_6TensorESK_SK_EERKSK_lbbbEUlllE0_EEPmJS9_EEE10hipError_tPvRmT3_T4_T5_T6_T7_T9_mT8_P12ihipStream_tbDpT10_ENKUlT_T0_E_clISt17integral_constantIbLb1EES19_IbLb0EEEEDaS15_S16_EUlS15_E_NS1_11comp_targetILNS1_3genE4ELNS1_11target_archE910ELNS1_3gpuE8ELNS1_3repE0EEENS1_30default_config_static_selectorELNS0_4arch9wavefront6targetE1EEEvT1_
		.amdhsa_group_segment_fixed_size 4236
		.amdhsa_private_segment_fixed_size 0
		.amdhsa_kernarg_size 120
		.amdhsa_user_sgpr_count 6
		.amdhsa_user_sgpr_private_segment_buffer 1
		.amdhsa_user_sgpr_dispatch_ptr 0
		.amdhsa_user_sgpr_queue_ptr 0
		.amdhsa_user_sgpr_kernarg_segment_ptr 1
		.amdhsa_user_sgpr_dispatch_id 0
		.amdhsa_user_sgpr_flat_scratch_init 0
		.amdhsa_user_sgpr_kernarg_preload_length 0
		.amdhsa_user_sgpr_kernarg_preload_offset 0
		.amdhsa_user_sgpr_private_segment_size 0
		.amdhsa_uses_dynamic_stack 0
		.amdhsa_system_sgpr_private_segment_wavefront_offset 0
		.amdhsa_system_sgpr_workgroup_id_x 1
		.amdhsa_system_sgpr_workgroup_id_y 0
		.amdhsa_system_sgpr_workgroup_id_z 0
		.amdhsa_system_sgpr_workgroup_info 0
		.amdhsa_system_vgpr_workitem_id 0
		.amdhsa_next_free_vgpr 50
		.amdhsa_next_free_sgpr 46
		.amdhsa_accum_offset 52
		.amdhsa_reserve_vcc 1
		.amdhsa_reserve_flat_scratch 0
		.amdhsa_float_round_mode_32 0
		.amdhsa_float_round_mode_16_64 0
		.amdhsa_float_denorm_mode_32 3
		.amdhsa_float_denorm_mode_16_64 3
		.amdhsa_dx10_clamp 1
		.amdhsa_ieee_mode 1
		.amdhsa_fp16_overflow 0
		.amdhsa_tg_split 0
		.amdhsa_exception_fp_ieee_invalid_op 0
		.amdhsa_exception_fp_denorm_src 0
		.amdhsa_exception_fp_ieee_div_zero 0
		.amdhsa_exception_fp_ieee_overflow 0
		.amdhsa_exception_fp_ieee_underflow 0
		.amdhsa_exception_fp_ieee_inexact 0
		.amdhsa_exception_int_div_zero 0
	.end_amdhsa_kernel
	.section	.text._ZN7rocprim17ROCPRIM_400000_NS6detail17trampoline_kernelINS0_14default_configENS1_25partition_config_selectorILNS1_17partition_subalgoE9EllbEEZZNS1_14partition_implILS5_9ELb0ES3_jPlS8_PNS0_10empty_typeENS0_5tupleIJS8_S9_EEENSB_IJS8_SA_EEENS0_18inequality_wrapperIZN2at6native12_GLOBAL__N_124unique_dim_cuda_templateIsEESt5tupleIJNSF_6TensorESK_SK_EERKSK_lbbbEUlllE0_EEPmJS9_EEE10hipError_tPvRmT3_T4_T5_T6_T7_T9_mT8_P12ihipStream_tbDpT10_ENKUlT_T0_E_clISt17integral_constantIbLb1EES19_IbLb0EEEEDaS15_S16_EUlS15_E_NS1_11comp_targetILNS1_3genE4ELNS1_11target_archE910ELNS1_3gpuE8ELNS1_3repE0EEENS1_30default_config_static_selectorELNS0_4arch9wavefront6targetE1EEEvT1_,"axG",@progbits,_ZN7rocprim17ROCPRIM_400000_NS6detail17trampoline_kernelINS0_14default_configENS1_25partition_config_selectorILNS1_17partition_subalgoE9EllbEEZZNS1_14partition_implILS5_9ELb0ES3_jPlS8_PNS0_10empty_typeENS0_5tupleIJS8_S9_EEENSB_IJS8_SA_EEENS0_18inequality_wrapperIZN2at6native12_GLOBAL__N_124unique_dim_cuda_templateIsEESt5tupleIJNSF_6TensorESK_SK_EERKSK_lbbbEUlllE0_EEPmJS9_EEE10hipError_tPvRmT3_T4_T5_T6_T7_T9_mT8_P12ihipStream_tbDpT10_ENKUlT_T0_E_clISt17integral_constantIbLb1EES19_IbLb0EEEEDaS15_S16_EUlS15_E_NS1_11comp_targetILNS1_3genE4ELNS1_11target_archE910ELNS1_3gpuE8ELNS1_3repE0EEENS1_30default_config_static_selectorELNS0_4arch9wavefront6targetE1EEEvT1_,comdat
.Lfunc_end735:
	.size	_ZN7rocprim17ROCPRIM_400000_NS6detail17trampoline_kernelINS0_14default_configENS1_25partition_config_selectorILNS1_17partition_subalgoE9EllbEEZZNS1_14partition_implILS5_9ELb0ES3_jPlS8_PNS0_10empty_typeENS0_5tupleIJS8_S9_EEENSB_IJS8_SA_EEENS0_18inequality_wrapperIZN2at6native12_GLOBAL__N_124unique_dim_cuda_templateIsEESt5tupleIJNSF_6TensorESK_SK_EERKSK_lbbbEUlllE0_EEPmJS9_EEE10hipError_tPvRmT3_T4_T5_T6_T7_T9_mT8_P12ihipStream_tbDpT10_ENKUlT_T0_E_clISt17integral_constantIbLb1EES19_IbLb0EEEEDaS15_S16_EUlS15_E_NS1_11comp_targetILNS1_3genE4ELNS1_11target_archE910ELNS1_3gpuE8ELNS1_3repE0EEENS1_30default_config_static_selectorELNS0_4arch9wavefront6targetE1EEEvT1_, .Lfunc_end735-_ZN7rocprim17ROCPRIM_400000_NS6detail17trampoline_kernelINS0_14default_configENS1_25partition_config_selectorILNS1_17partition_subalgoE9EllbEEZZNS1_14partition_implILS5_9ELb0ES3_jPlS8_PNS0_10empty_typeENS0_5tupleIJS8_S9_EEENSB_IJS8_SA_EEENS0_18inequality_wrapperIZN2at6native12_GLOBAL__N_124unique_dim_cuda_templateIsEESt5tupleIJNSF_6TensorESK_SK_EERKSK_lbbbEUlllE0_EEPmJS9_EEE10hipError_tPvRmT3_T4_T5_T6_T7_T9_mT8_P12ihipStream_tbDpT10_ENKUlT_T0_E_clISt17integral_constantIbLb1EES19_IbLb0EEEEDaS15_S16_EUlS15_E_NS1_11comp_targetILNS1_3genE4ELNS1_11target_archE910ELNS1_3gpuE8ELNS1_3repE0EEENS1_30default_config_static_selectorELNS0_4arch9wavefront6targetE1EEEvT1_
                                        ; -- End function
	.section	.AMDGPU.csdata,"",@progbits
; Kernel info:
; codeLenInByte = 10876
; NumSgprs: 50
; NumVgprs: 50
; NumAgprs: 0
; TotalNumVgprs: 50
; ScratchSize: 0
; MemoryBound: 0
; FloatMode: 240
; IeeeMode: 1
; LDSByteSize: 4236 bytes/workgroup (compile time only)
; SGPRBlocks: 6
; VGPRBlocks: 6
; NumSGPRsForWavesPerEU: 50
; NumVGPRsForWavesPerEU: 50
; AccumOffset: 52
; Occupancy: 8
; WaveLimiterHint : 1
; COMPUTE_PGM_RSRC2:SCRATCH_EN: 0
; COMPUTE_PGM_RSRC2:USER_SGPR: 6
; COMPUTE_PGM_RSRC2:TRAP_HANDLER: 0
; COMPUTE_PGM_RSRC2:TGID_X_EN: 1
; COMPUTE_PGM_RSRC2:TGID_Y_EN: 0
; COMPUTE_PGM_RSRC2:TGID_Z_EN: 0
; COMPUTE_PGM_RSRC2:TIDIG_COMP_CNT: 0
; COMPUTE_PGM_RSRC3_GFX90A:ACCUM_OFFSET: 12
; COMPUTE_PGM_RSRC3_GFX90A:TG_SPLIT: 0
	.section	.text._ZN7rocprim17ROCPRIM_400000_NS6detail17trampoline_kernelINS0_14default_configENS1_25partition_config_selectorILNS1_17partition_subalgoE9EllbEEZZNS1_14partition_implILS5_9ELb0ES3_jPlS8_PNS0_10empty_typeENS0_5tupleIJS8_S9_EEENSB_IJS8_SA_EEENS0_18inequality_wrapperIZN2at6native12_GLOBAL__N_124unique_dim_cuda_templateIsEESt5tupleIJNSF_6TensorESK_SK_EERKSK_lbbbEUlllE0_EEPmJS9_EEE10hipError_tPvRmT3_T4_T5_T6_T7_T9_mT8_P12ihipStream_tbDpT10_ENKUlT_T0_E_clISt17integral_constantIbLb1EES19_IbLb0EEEEDaS15_S16_EUlS15_E_NS1_11comp_targetILNS1_3genE3ELNS1_11target_archE908ELNS1_3gpuE7ELNS1_3repE0EEENS1_30default_config_static_selectorELNS0_4arch9wavefront6targetE1EEEvT1_,"axG",@progbits,_ZN7rocprim17ROCPRIM_400000_NS6detail17trampoline_kernelINS0_14default_configENS1_25partition_config_selectorILNS1_17partition_subalgoE9EllbEEZZNS1_14partition_implILS5_9ELb0ES3_jPlS8_PNS0_10empty_typeENS0_5tupleIJS8_S9_EEENSB_IJS8_SA_EEENS0_18inequality_wrapperIZN2at6native12_GLOBAL__N_124unique_dim_cuda_templateIsEESt5tupleIJNSF_6TensorESK_SK_EERKSK_lbbbEUlllE0_EEPmJS9_EEE10hipError_tPvRmT3_T4_T5_T6_T7_T9_mT8_P12ihipStream_tbDpT10_ENKUlT_T0_E_clISt17integral_constantIbLb1EES19_IbLb0EEEEDaS15_S16_EUlS15_E_NS1_11comp_targetILNS1_3genE3ELNS1_11target_archE908ELNS1_3gpuE7ELNS1_3repE0EEENS1_30default_config_static_selectorELNS0_4arch9wavefront6targetE1EEEvT1_,comdat
	.globl	_ZN7rocprim17ROCPRIM_400000_NS6detail17trampoline_kernelINS0_14default_configENS1_25partition_config_selectorILNS1_17partition_subalgoE9EllbEEZZNS1_14partition_implILS5_9ELb0ES3_jPlS8_PNS0_10empty_typeENS0_5tupleIJS8_S9_EEENSB_IJS8_SA_EEENS0_18inequality_wrapperIZN2at6native12_GLOBAL__N_124unique_dim_cuda_templateIsEESt5tupleIJNSF_6TensorESK_SK_EERKSK_lbbbEUlllE0_EEPmJS9_EEE10hipError_tPvRmT3_T4_T5_T6_T7_T9_mT8_P12ihipStream_tbDpT10_ENKUlT_T0_E_clISt17integral_constantIbLb1EES19_IbLb0EEEEDaS15_S16_EUlS15_E_NS1_11comp_targetILNS1_3genE3ELNS1_11target_archE908ELNS1_3gpuE7ELNS1_3repE0EEENS1_30default_config_static_selectorELNS0_4arch9wavefront6targetE1EEEvT1_ ; -- Begin function _ZN7rocprim17ROCPRIM_400000_NS6detail17trampoline_kernelINS0_14default_configENS1_25partition_config_selectorILNS1_17partition_subalgoE9EllbEEZZNS1_14partition_implILS5_9ELb0ES3_jPlS8_PNS0_10empty_typeENS0_5tupleIJS8_S9_EEENSB_IJS8_SA_EEENS0_18inequality_wrapperIZN2at6native12_GLOBAL__N_124unique_dim_cuda_templateIsEESt5tupleIJNSF_6TensorESK_SK_EERKSK_lbbbEUlllE0_EEPmJS9_EEE10hipError_tPvRmT3_T4_T5_T6_T7_T9_mT8_P12ihipStream_tbDpT10_ENKUlT_T0_E_clISt17integral_constantIbLb1EES19_IbLb0EEEEDaS15_S16_EUlS15_E_NS1_11comp_targetILNS1_3genE3ELNS1_11target_archE908ELNS1_3gpuE7ELNS1_3repE0EEENS1_30default_config_static_selectorELNS0_4arch9wavefront6targetE1EEEvT1_
	.p2align	8
	.type	_ZN7rocprim17ROCPRIM_400000_NS6detail17trampoline_kernelINS0_14default_configENS1_25partition_config_selectorILNS1_17partition_subalgoE9EllbEEZZNS1_14partition_implILS5_9ELb0ES3_jPlS8_PNS0_10empty_typeENS0_5tupleIJS8_S9_EEENSB_IJS8_SA_EEENS0_18inequality_wrapperIZN2at6native12_GLOBAL__N_124unique_dim_cuda_templateIsEESt5tupleIJNSF_6TensorESK_SK_EERKSK_lbbbEUlllE0_EEPmJS9_EEE10hipError_tPvRmT3_T4_T5_T6_T7_T9_mT8_P12ihipStream_tbDpT10_ENKUlT_T0_E_clISt17integral_constantIbLb1EES19_IbLb0EEEEDaS15_S16_EUlS15_E_NS1_11comp_targetILNS1_3genE3ELNS1_11target_archE908ELNS1_3gpuE7ELNS1_3repE0EEENS1_30default_config_static_selectorELNS0_4arch9wavefront6targetE1EEEvT1_,@function
_ZN7rocprim17ROCPRIM_400000_NS6detail17trampoline_kernelINS0_14default_configENS1_25partition_config_selectorILNS1_17partition_subalgoE9EllbEEZZNS1_14partition_implILS5_9ELb0ES3_jPlS8_PNS0_10empty_typeENS0_5tupleIJS8_S9_EEENSB_IJS8_SA_EEENS0_18inequality_wrapperIZN2at6native12_GLOBAL__N_124unique_dim_cuda_templateIsEESt5tupleIJNSF_6TensorESK_SK_EERKSK_lbbbEUlllE0_EEPmJS9_EEE10hipError_tPvRmT3_T4_T5_T6_T7_T9_mT8_P12ihipStream_tbDpT10_ENKUlT_T0_E_clISt17integral_constantIbLb1EES19_IbLb0EEEEDaS15_S16_EUlS15_E_NS1_11comp_targetILNS1_3genE3ELNS1_11target_archE908ELNS1_3gpuE7ELNS1_3repE0EEENS1_30default_config_static_selectorELNS0_4arch9wavefront6targetE1EEEvT1_: ; @_ZN7rocprim17ROCPRIM_400000_NS6detail17trampoline_kernelINS0_14default_configENS1_25partition_config_selectorILNS1_17partition_subalgoE9EllbEEZZNS1_14partition_implILS5_9ELb0ES3_jPlS8_PNS0_10empty_typeENS0_5tupleIJS8_S9_EEENSB_IJS8_SA_EEENS0_18inequality_wrapperIZN2at6native12_GLOBAL__N_124unique_dim_cuda_templateIsEESt5tupleIJNSF_6TensorESK_SK_EERKSK_lbbbEUlllE0_EEPmJS9_EEE10hipError_tPvRmT3_T4_T5_T6_T7_T9_mT8_P12ihipStream_tbDpT10_ENKUlT_T0_E_clISt17integral_constantIbLb1EES19_IbLb0EEEEDaS15_S16_EUlS15_E_NS1_11comp_targetILNS1_3genE3ELNS1_11target_archE908ELNS1_3gpuE7ELNS1_3repE0EEENS1_30default_config_static_selectorELNS0_4arch9wavefront6targetE1EEEvT1_
; %bb.0:
	.section	.rodata,"a",@progbits
	.p2align	6, 0x0
	.amdhsa_kernel _ZN7rocprim17ROCPRIM_400000_NS6detail17trampoline_kernelINS0_14default_configENS1_25partition_config_selectorILNS1_17partition_subalgoE9EllbEEZZNS1_14partition_implILS5_9ELb0ES3_jPlS8_PNS0_10empty_typeENS0_5tupleIJS8_S9_EEENSB_IJS8_SA_EEENS0_18inequality_wrapperIZN2at6native12_GLOBAL__N_124unique_dim_cuda_templateIsEESt5tupleIJNSF_6TensorESK_SK_EERKSK_lbbbEUlllE0_EEPmJS9_EEE10hipError_tPvRmT3_T4_T5_T6_T7_T9_mT8_P12ihipStream_tbDpT10_ENKUlT_T0_E_clISt17integral_constantIbLb1EES19_IbLb0EEEEDaS15_S16_EUlS15_E_NS1_11comp_targetILNS1_3genE3ELNS1_11target_archE908ELNS1_3gpuE7ELNS1_3repE0EEENS1_30default_config_static_selectorELNS0_4arch9wavefront6targetE1EEEvT1_
		.amdhsa_group_segment_fixed_size 0
		.amdhsa_private_segment_fixed_size 0
		.amdhsa_kernarg_size 120
		.amdhsa_user_sgpr_count 6
		.amdhsa_user_sgpr_private_segment_buffer 1
		.amdhsa_user_sgpr_dispatch_ptr 0
		.amdhsa_user_sgpr_queue_ptr 0
		.amdhsa_user_sgpr_kernarg_segment_ptr 1
		.amdhsa_user_sgpr_dispatch_id 0
		.amdhsa_user_sgpr_flat_scratch_init 0
		.amdhsa_user_sgpr_kernarg_preload_length 0
		.amdhsa_user_sgpr_kernarg_preload_offset 0
		.amdhsa_user_sgpr_private_segment_size 0
		.amdhsa_uses_dynamic_stack 0
		.amdhsa_system_sgpr_private_segment_wavefront_offset 0
		.amdhsa_system_sgpr_workgroup_id_x 1
		.amdhsa_system_sgpr_workgroup_id_y 0
		.amdhsa_system_sgpr_workgroup_id_z 0
		.amdhsa_system_sgpr_workgroup_info 0
		.amdhsa_system_vgpr_workitem_id 0
		.amdhsa_next_free_vgpr 1
		.amdhsa_next_free_sgpr 0
		.amdhsa_accum_offset 4
		.amdhsa_reserve_vcc 0
		.amdhsa_reserve_flat_scratch 0
		.amdhsa_float_round_mode_32 0
		.amdhsa_float_round_mode_16_64 0
		.amdhsa_float_denorm_mode_32 3
		.amdhsa_float_denorm_mode_16_64 3
		.amdhsa_dx10_clamp 1
		.amdhsa_ieee_mode 1
		.amdhsa_fp16_overflow 0
		.amdhsa_tg_split 0
		.amdhsa_exception_fp_ieee_invalid_op 0
		.amdhsa_exception_fp_denorm_src 0
		.amdhsa_exception_fp_ieee_div_zero 0
		.amdhsa_exception_fp_ieee_overflow 0
		.amdhsa_exception_fp_ieee_underflow 0
		.amdhsa_exception_fp_ieee_inexact 0
		.amdhsa_exception_int_div_zero 0
	.end_amdhsa_kernel
	.section	.text._ZN7rocprim17ROCPRIM_400000_NS6detail17trampoline_kernelINS0_14default_configENS1_25partition_config_selectorILNS1_17partition_subalgoE9EllbEEZZNS1_14partition_implILS5_9ELb0ES3_jPlS8_PNS0_10empty_typeENS0_5tupleIJS8_S9_EEENSB_IJS8_SA_EEENS0_18inequality_wrapperIZN2at6native12_GLOBAL__N_124unique_dim_cuda_templateIsEESt5tupleIJNSF_6TensorESK_SK_EERKSK_lbbbEUlllE0_EEPmJS9_EEE10hipError_tPvRmT3_T4_T5_T6_T7_T9_mT8_P12ihipStream_tbDpT10_ENKUlT_T0_E_clISt17integral_constantIbLb1EES19_IbLb0EEEEDaS15_S16_EUlS15_E_NS1_11comp_targetILNS1_3genE3ELNS1_11target_archE908ELNS1_3gpuE7ELNS1_3repE0EEENS1_30default_config_static_selectorELNS0_4arch9wavefront6targetE1EEEvT1_,"axG",@progbits,_ZN7rocprim17ROCPRIM_400000_NS6detail17trampoline_kernelINS0_14default_configENS1_25partition_config_selectorILNS1_17partition_subalgoE9EllbEEZZNS1_14partition_implILS5_9ELb0ES3_jPlS8_PNS0_10empty_typeENS0_5tupleIJS8_S9_EEENSB_IJS8_SA_EEENS0_18inequality_wrapperIZN2at6native12_GLOBAL__N_124unique_dim_cuda_templateIsEESt5tupleIJNSF_6TensorESK_SK_EERKSK_lbbbEUlllE0_EEPmJS9_EEE10hipError_tPvRmT3_T4_T5_T6_T7_T9_mT8_P12ihipStream_tbDpT10_ENKUlT_T0_E_clISt17integral_constantIbLb1EES19_IbLb0EEEEDaS15_S16_EUlS15_E_NS1_11comp_targetILNS1_3genE3ELNS1_11target_archE908ELNS1_3gpuE7ELNS1_3repE0EEENS1_30default_config_static_selectorELNS0_4arch9wavefront6targetE1EEEvT1_,comdat
.Lfunc_end736:
	.size	_ZN7rocprim17ROCPRIM_400000_NS6detail17trampoline_kernelINS0_14default_configENS1_25partition_config_selectorILNS1_17partition_subalgoE9EllbEEZZNS1_14partition_implILS5_9ELb0ES3_jPlS8_PNS0_10empty_typeENS0_5tupleIJS8_S9_EEENSB_IJS8_SA_EEENS0_18inequality_wrapperIZN2at6native12_GLOBAL__N_124unique_dim_cuda_templateIsEESt5tupleIJNSF_6TensorESK_SK_EERKSK_lbbbEUlllE0_EEPmJS9_EEE10hipError_tPvRmT3_T4_T5_T6_T7_T9_mT8_P12ihipStream_tbDpT10_ENKUlT_T0_E_clISt17integral_constantIbLb1EES19_IbLb0EEEEDaS15_S16_EUlS15_E_NS1_11comp_targetILNS1_3genE3ELNS1_11target_archE908ELNS1_3gpuE7ELNS1_3repE0EEENS1_30default_config_static_selectorELNS0_4arch9wavefront6targetE1EEEvT1_, .Lfunc_end736-_ZN7rocprim17ROCPRIM_400000_NS6detail17trampoline_kernelINS0_14default_configENS1_25partition_config_selectorILNS1_17partition_subalgoE9EllbEEZZNS1_14partition_implILS5_9ELb0ES3_jPlS8_PNS0_10empty_typeENS0_5tupleIJS8_S9_EEENSB_IJS8_SA_EEENS0_18inequality_wrapperIZN2at6native12_GLOBAL__N_124unique_dim_cuda_templateIsEESt5tupleIJNSF_6TensorESK_SK_EERKSK_lbbbEUlllE0_EEPmJS9_EEE10hipError_tPvRmT3_T4_T5_T6_T7_T9_mT8_P12ihipStream_tbDpT10_ENKUlT_T0_E_clISt17integral_constantIbLb1EES19_IbLb0EEEEDaS15_S16_EUlS15_E_NS1_11comp_targetILNS1_3genE3ELNS1_11target_archE908ELNS1_3gpuE7ELNS1_3repE0EEENS1_30default_config_static_selectorELNS0_4arch9wavefront6targetE1EEEvT1_
                                        ; -- End function
	.section	.AMDGPU.csdata,"",@progbits
; Kernel info:
; codeLenInByte = 0
; NumSgprs: 4
; NumVgprs: 0
; NumAgprs: 0
; TotalNumVgprs: 0
; ScratchSize: 0
; MemoryBound: 0
; FloatMode: 240
; IeeeMode: 1
; LDSByteSize: 0 bytes/workgroup (compile time only)
; SGPRBlocks: 0
; VGPRBlocks: 0
; NumSGPRsForWavesPerEU: 4
; NumVGPRsForWavesPerEU: 1
; AccumOffset: 4
; Occupancy: 8
; WaveLimiterHint : 0
; COMPUTE_PGM_RSRC2:SCRATCH_EN: 0
; COMPUTE_PGM_RSRC2:USER_SGPR: 6
; COMPUTE_PGM_RSRC2:TRAP_HANDLER: 0
; COMPUTE_PGM_RSRC2:TGID_X_EN: 1
; COMPUTE_PGM_RSRC2:TGID_Y_EN: 0
; COMPUTE_PGM_RSRC2:TGID_Z_EN: 0
; COMPUTE_PGM_RSRC2:TIDIG_COMP_CNT: 0
; COMPUTE_PGM_RSRC3_GFX90A:ACCUM_OFFSET: 0
; COMPUTE_PGM_RSRC3_GFX90A:TG_SPLIT: 0
	.section	.text._ZN7rocprim17ROCPRIM_400000_NS6detail17trampoline_kernelINS0_14default_configENS1_25partition_config_selectorILNS1_17partition_subalgoE9EllbEEZZNS1_14partition_implILS5_9ELb0ES3_jPlS8_PNS0_10empty_typeENS0_5tupleIJS8_S9_EEENSB_IJS8_SA_EEENS0_18inequality_wrapperIZN2at6native12_GLOBAL__N_124unique_dim_cuda_templateIsEESt5tupleIJNSF_6TensorESK_SK_EERKSK_lbbbEUlllE0_EEPmJS9_EEE10hipError_tPvRmT3_T4_T5_T6_T7_T9_mT8_P12ihipStream_tbDpT10_ENKUlT_T0_E_clISt17integral_constantIbLb1EES19_IbLb0EEEEDaS15_S16_EUlS15_E_NS1_11comp_targetILNS1_3genE2ELNS1_11target_archE906ELNS1_3gpuE6ELNS1_3repE0EEENS1_30default_config_static_selectorELNS0_4arch9wavefront6targetE1EEEvT1_,"axG",@progbits,_ZN7rocprim17ROCPRIM_400000_NS6detail17trampoline_kernelINS0_14default_configENS1_25partition_config_selectorILNS1_17partition_subalgoE9EllbEEZZNS1_14partition_implILS5_9ELb0ES3_jPlS8_PNS0_10empty_typeENS0_5tupleIJS8_S9_EEENSB_IJS8_SA_EEENS0_18inequality_wrapperIZN2at6native12_GLOBAL__N_124unique_dim_cuda_templateIsEESt5tupleIJNSF_6TensorESK_SK_EERKSK_lbbbEUlllE0_EEPmJS9_EEE10hipError_tPvRmT3_T4_T5_T6_T7_T9_mT8_P12ihipStream_tbDpT10_ENKUlT_T0_E_clISt17integral_constantIbLb1EES19_IbLb0EEEEDaS15_S16_EUlS15_E_NS1_11comp_targetILNS1_3genE2ELNS1_11target_archE906ELNS1_3gpuE6ELNS1_3repE0EEENS1_30default_config_static_selectorELNS0_4arch9wavefront6targetE1EEEvT1_,comdat
	.globl	_ZN7rocprim17ROCPRIM_400000_NS6detail17trampoline_kernelINS0_14default_configENS1_25partition_config_selectorILNS1_17partition_subalgoE9EllbEEZZNS1_14partition_implILS5_9ELb0ES3_jPlS8_PNS0_10empty_typeENS0_5tupleIJS8_S9_EEENSB_IJS8_SA_EEENS0_18inequality_wrapperIZN2at6native12_GLOBAL__N_124unique_dim_cuda_templateIsEESt5tupleIJNSF_6TensorESK_SK_EERKSK_lbbbEUlllE0_EEPmJS9_EEE10hipError_tPvRmT3_T4_T5_T6_T7_T9_mT8_P12ihipStream_tbDpT10_ENKUlT_T0_E_clISt17integral_constantIbLb1EES19_IbLb0EEEEDaS15_S16_EUlS15_E_NS1_11comp_targetILNS1_3genE2ELNS1_11target_archE906ELNS1_3gpuE6ELNS1_3repE0EEENS1_30default_config_static_selectorELNS0_4arch9wavefront6targetE1EEEvT1_ ; -- Begin function _ZN7rocprim17ROCPRIM_400000_NS6detail17trampoline_kernelINS0_14default_configENS1_25partition_config_selectorILNS1_17partition_subalgoE9EllbEEZZNS1_14partition_implILS5_9ELb0ES3_jPlS8_PNS0_10empty_typeENS0_5tupleIJS8_S9_EEENSB_IJS8_SA_EEENS0_18inequality_wrapperIZN2at6native12_GLOBAL__N_124unique_dim_cuda_templateIsEESt5tupleIJNSF_6TensorESK_SK_EERKSK_lbbbEUlllE0_EEPmJS9_EEE10hipError_tPvRmT3_T4_T5_T6_T7_T9_mT8_P12ihipStream_tbDpT10_ENKUlT_T0_E_clISt17integral_constantIbLb1EES19_IbLb0EEEEDaS15_S16_EUlS15_E_NS1_11comp_targetILNS1_3genE2ELNS1_11target_archE906ELNS1_3gpuE6ELNS1_3repE0EEENS1_30default_config_static_selectorELNS0_4arch9wavefront6targetE1EEEvT1_
	.p2align	8
	.type	_ZN7rocprim17ROCPRIM_400000_NS6detail17trampoline_kernelINS0_14default_configENS1_25partition_config_selectorILNS1_17partition_subalgoE9EllbEEZZNS1_14partition_implILS5_9ELb0ES3_jPlS8_PNS0_10empty_typeENS0_5tupleIJS8_S9_EEENSB_IJS8_SA_EEENS0_18inequality_wrapperIZN2at6native12_GLOBAL__N_124unique_dim_cuda_templateIsEESt5tupleIJNSF_6TensorESK_SK_EERKSK_lbbbEUlllE0_EEPmJS9_EEE10hipError_tPvRmT3_T4_T5_T6_T7_T9_mT8_P12ihipStream_tbDpT10_ENKUlT_T0_E_clISt17integral_constantIbLb1EES19_IbLb0EEEEDaS15_S16_EUlS15_E_NS1_11comp_targetILNS1_3genE2ELNS1_11target_archE906ELNS1_3gpuE6ELNS1_3repE0EEENS1_30default_config_static_selectorELNS0_4arch9wavefront6targetE1EEEvT1_,@function
_ZN7rocprim17ROCPRIM_400000_NS6detail17trampoline_kernelINS0_14default_configENS1_25partition_config_selectorILNS1_17partition_subalgoE9EllbEEZZNS1_14partition_implILS5_9ELb0ES3_jPlS8_PNS0_10empty_typeENS0_5tupleIJS8_S9_EEENSB_IJS8_SA_EEENS0_18inequality_wrapperIZN2at6native12_GLOBAL__N_124unique_dim_cuda_templateIsEESt5tupleIJNSF_6TensorESK_SK_EERKSK_lbbbEUlllE0_EEPmJS9_EEE10hipError_tPvRmT3_T4_T5_T6_T7_T9_mT8_P12ihipStream_tbDpT10_ENKUlT_T0_E_clISt17integral_constantIbLb1EES19_IbLb0EEEEDaS15_S16_EUlS15_E_NS1_11comp_targetILNS1_3genE2ELNS1_11target_archE906ELNS1_3gpuE6ELNS1_3repE0EEENS1_30default_config_static_selectorELNS0_4arch9wavefront6targetE1EEEvT1_: ; @_ZN7rocprim17ROCPRIM_400000_NS6detail17trampoline_kernelINS0_14default_configENS1_25partition_config_selectorILNS1_17partition_subalgoE9EllbEEZZNS1_14partition_implILS5_9ELb0ES3_jPlS8_PNS0_10empty_typeENS0_5tupleIJS8_S9_EEENSB_IJS8_SA_EEENS0_18inequality_wrapperIZN2at6native12_GLOBAL__N_124unique_dim_cuda_templateIsEESt5tupleIJNSF_6TensorESK_SK_EERKSK_lbbbEUlllE0_EEPmJS9_EEE10hipError_tPvRmT3_T4_T5_T6_T7_T9_mT8_P12ihipStream_tbDpT10_ENKUlT_T0_E_clISt17integral_constantIbLb1EES19_IbLb0EEEEDaS15_S16_EUlS15_E_NS1_11comp_targetILNS1_3genE2ELNS1_11target_archE906ELNS1_3gpuE6ELNS1_3repE0EEENS1_30default_config_static_selectorELNS0_4arch9wavefront6targetE1EEEvT1_
; %bb.0:
	.section	.rodata,"a",@progbits
	.p2align	6, 0x0
	.amdhsa_kernel _ZN7rocprim17ROCPRIM_400000_NS6detail17trampoline_kernelINS0_14default_configENS1_25partition_config_selectorILNS1_17partition_subalgoE9EllbEEZZNS1_14partition_implILS5_9ELb0ES3_jPlS8_PNS0_10empty_typeENS0_5tupleIJS8_S9_EEENSB_IJS8_SA_EEENS0_18inequality_wrapperIZN2at6native12_GLOBAL__N_124unique_dim_cuda_templateIsEESt5tupleIJNSF_6TensorESK_SK_EERKSK_lbbbEUlllE0_EEPmJS9_EEE10hipError_tPvRmT3_T4_T5_T6_T7_T9_mT8_P12ihipStream_tbDpT10_ENKUlT_T0_E_clISt17integral_constantIbLb1EES19_IbLb0EEEEDaS15_S16_EUlS15_E_NS1_11comp_targetILNS1_3genE2ELNS1_11target_archE906ELNS1_3gpuE6ELNS1_3repE0EEENS1_30default_config_static_selectorELNS0_4arch9wavefront6targetE1EEEvT1_
		.amdhsa_group_segment_fixed_size 0
		.amdhsa_private_segment_fixed_size 0
		.amdhsa_kernarg_size 120
		.amdhsa_user_sgpr_count 6
		.amdhsa_user_sgpr_private_segment_buffer 1
		.amdhsa_user_sgpr_dispatch_ptr 0
		.amdhsa_user_sgpr_queue_ptr 0
		.amdhsa_user_sgpr_kernarg_segment_ptr 1
		.amdhsa_user_sgpr_dispatch_id 0
		.amdhsa_user_sgpr_flat_scratch_init 0
		.amdhsa_user_sgpr_kernarg_preload_length 0
		.amdhsa_user_sgpr_kernarg_preload_offset 0
		.amdhsa_user_sgpr_private_segment_size 0
		.amdhsa_uses_dynamic_stack 0
		.amdhsa_system_sgpr_private_segment_wavefront_offset 0
		.amdhsa_system_sgpr_workgroup_id_x 1
		.amdhsa_system_sgpr_workgroup_id_y 0
		.amdhsa_system_sgpr_workgroup_id_z 0
		.amdhsa_system_sgpr_workgroup_info 0
		.amdhsa_system_vgpr_workitem_id 0
		.amdhsa_next_free_vgpr 1
		.amdhsa_next_free_sgpr 0
		.amdhsa_accum_offset 4
		.amdhsa_reserve_vcc 0
		.amdhsa_reserve_flat_scratch 0
		.amdhsa_float_round_mode_32 0
		.amdhsa_float_round_mode_16_64 0
		.amdhsa_float_denorm_mode_32 3
		.amdhsa_float_denorm_mode_16_64 3
		.amdhsa_dx10_clamp 1
		.amdhsa_ieee_mode 1
		.amdhsa_fp16_overflow 0
		.amdhsa_tg_split 0
		.amdhsa_exception_fp_ieee_invalid_op 0
		.amdhsa_exception_fp_denorm_src 0
		.amdhsa_exception_fp_ieee_div_zero 0
		.amdhsa_exception_fp_ieee_overflow 0
		.amdhsa_exception_fp_ieee_underflow 0
		.amdhsa_exception_fp_ieee_inexact 0
		.amdhsa_exception_int_div_zero 0
	.end_amdhsa_kernel
	.section	.text._ZN7rocprim17ROCPRIM_400000_NS6detail17trampoline_kernelINS0_14default_configENS1_25partition_config_selectorILNS1_17partition_subalgoE9EllbEEZZNS1_14partition_implILS5_9ELb0ES3_jPlS8_PNS0_10empty_typeENS0_5tupleIJS8_S9_EEENSB_IJS8_SA_EEENS0_18inequality_wrapperIZN2at6native12_GLOBAL__N_124unique_dim_cuda_templateIsEESt5tupleIJNSF_6TensorESK_SK_EERKSK_lbbbEUlllE0_EEPmJS9_EEE10hipError_tPvRmT3_T4_T5_T6_T7_T9_mT8_P12ihipStream_tbDpT10_ENKUlT_T0_E_clISt17integral_constantIbLb1EES19_IbLb0EEEEDaS15_S16_EUlS15_E_NS1_11comp_targetILNS1_3genE2ELNS1_11target_archE906ELNS1_3gpuE6ELNS1_3repE0EEENS1_30default_config_static_selectorELNS0_4arch9wavefront6targetE1EEEvT1_,"axG",@progbits,_ZN7rocprim17ROCPRIM_400000_NS6detail17trampoline_kernelINS0_14default_configENS1_25partition_config_selectorILNS1_17partition_subalgoE9EllbEEZZNS1_14partition_implILS5_9ELb0ES3_jPlS8_PNS0_10empty_typeENS0_5tupleIJS8_S9_EEENSB_IJS8_SA_EEENS0_18inequality_wrapperIZN2at6native12_GLOBAL__N_124unique_dim_cuda_templateIsEESt5tupleIJNSF_6TensorESK_SK_EERKSK_lbbbEUlllE0_EEPmJS9_EEE10hipError_tPvRmT3_T4_T5_T6_T7_T9_mT8_P12ihipStream_tbDpT10_ENKUlT_T0_E_clISt17integral_constantIbLb1EES19_IbLb0EEEEDaS15_S16_EUlS15_E_NS1_11comp_targetILNS1_3genE2ELNS1_11target_archE906ELNS1_3gpuE6ELNS1_3repE0EEENS1_30default_config_static_selectorELNS0_4arch9wavefront6targetE1EEEvT1_,comdat
.Lfunc_end737:
	.size	_ZN7rocprim17ROCPRIM_400000_NS6detail17trampoline_kernelINS0_14default_configENS1_25partition_config_selectorILNS1_17partition_subalgoE9EllbEEZZNS1_14partition_implILS5_9ELb0ES3_jPlS8_PNS0_10empty_typeENS0_5tupleIJS8_S9_EEENSB_IJS8_SA_EEENS0_18inequality_wrapperIZN2at6native12_GLOBAL__N_124unique_dim_cuda_templateIsEESt5tupleIJNSF_6TensorESK_SK_EERKSK_lbbbEUlllE0_EEPmJS9_EEE10hipError_tPvRmT3_T4_T5_T6_T7_T9_mT8_P12ihipStream_tbDpT10_ENKUlT_T0_E_clISt17integral_constantIbLb1EES19_IbLb0EEEEDaS15_S16_EUlS15_E_NS1_11comp_targetILNS1_3genE2ELNS1_11target_archE906ELNS1_3gpuE6ELNS1_3repE0EEENS1_30default_config_static_selectorELNS0_4arch9wavefront6targetE1EEEvT1_, .Lfunc_end737-_ZN7rocprim17ROCPRIM_400000_NS6detail17trampoline_kernelINS0_14default_configENS1_25partition_config_selectorILNS1_17partition_subalgoE9EllbEEZZNS1_14partition_implILS5_9ELb0ES3_jPlS8_PNS0_10empty_typeENS0_5tupleIJS8_S9_EEENSB_IJS8_SA_EEENS0_18inequality_wrapperIZN2at6native12_GLOBAL__N_124unique_dim_cuda_templateIsEESt5tupleIJNSF_6TensorESK_SK_EERKSK_lbbbEUlllE0_EEPmJS9_EEE10hipError_tPvRmT3_T4_T5_T6_T7_T9_mT8_P12ihipStream_tbDpT10_ENKUlT_T0_E_clISt17integral_constantIbLb1EES19_IbLb0EEEEDaS15_S16_EUlS15_E_NS1_11comp_targetILNS1_3genE2ELNS1_11target_archE906ELNS1_3gpuE6ELNS1_3repE0EEENS1_30default_config_static_selectorELNS0_4arch9wavefront6targetE1EEEvT1_
                                        ; -- End function
	.section	.AMDGPU.csdata,"",@progbits
; Kernel info:
; codeLenInByte = 0
; NumSgprs: 4
; NumVgprs: 0
; NumAgprs: 0
; TotalNumVgprs: 0
; ScratchSize: 0
; MemoryBound: 0
; FloatMode: 240
; IeeeMode: 1
; LDSByteSize: 0 bytes/workgroup (compile time only)
; SGPRBlocks: 0
; VGPRBlocks: 0
; NumSGPRsForWavesPerEU: 4
; NumVGPRsForWavesPerEU: 1
; AccumOffset: 4
; Occupancy: 8
; WaveLimiterHint : 0
; COMPUTE_PGM_RSRC2:SCRATCH_EN: 0
; COMPUTE_PGM_RSRC2:USER_SGPR: 6
; COMPUTE_PGM_RSRC2:TRAP_HANDLER: 0
; COMPUTE_PGM_RSRC2:TGID_X_EN: 1
; COMPUTE_PGM_RSRC2:TGID_Y_EN: 0
; COMPUTE_PGM_RSRC2:TGID_Z_EN: 0
; COMPUTE_PGM_RSRC2:TIDIG_COMP_CNT: 0
; COMPUTE_PGM_RSRC3_GFX90A:ACCUM_OFFSET: 0
; COMPUTE_PGM_RSRC3_GFX90A:TG_SPLIT: 0
	.section	.text._ZN7rocprim17ROCPRIM_400000_NS6detail17trampoline_kernelINS0_14default_configENS1_25partition_config_selectorILNS1_17partition_subalgoE9EllbEEZZNS1_14partition_implILS5_9ELb0ES3_jPlS8_PNS0_10empty_typeENS0_5tupleIJS8_S9_EEENSB_IJS8_SA_EEENS0_18inequality_wrapperIZN2at6native12_GLOBAL__N_124unique_dim_cuda_templateIsEESt5tupleIJNSF_6TensorESK_SK_EERKSK_lbbbEUlllE0_EEPmJS9_EEE10hipError_tPvRmT3_T4_T5_T6_T7_T9_mT8_P12ihipStream_tbDpT10_ENKUlT_T0_E_clISt17integral_constantIbLb1EES19_IbLb0EEEEDaS15_S16_EUlS15_E_NS1_11comp_targetILNS1_3genE10ELNS1_11target_archE1200ELNS1_3gpuE4ELNS1_3repE0EEENS1_30default_config_static_selectorELNS0_4arch9wavefront6targetE1EEEvT1_,"axG",@progbits,_ZN7rocprim17ROCPRIM_400000_NS6detail17trampoline_kernelINS0_14default_configENS1_25partition_config_selectorILNS1_17partition_subalgoE9EllbEEZZNS1_14partition_implILS5_9ELb0ES3_jPlS8_PNS0_10empty_typeENS0_5tupleIJS8_S9_EEENSB_IJS8_SA_EEENS0_18inequality_wrapperIZN2at6native12_GLOBAL__N_124unique_dim_cuda_templateIsEESt5tupleIJNSF_6TensorESK_SK_EERKSK_lbbbEUlllE0_EEPmJS9_EEE10hipError_tPvRmT3_T4_T5_T6_T7_T9_mT8_P12ihipStream_tbDpT10_ENKUlT_T0_E_clISt17integral_constantIbLb1EES19_IbLb0EEEEDaS15_S16_EUlS15_E_NS1_11comp_targetILNS1_3genE10ELNS1_11target_archE1200ELNS1_3gpuE4ELNS1_3repE0EEENS1_30default_config_static_selectorELNS0_4arch9wavefront6targetE1EEEvT1_,comdat
	.globl	_ZN7rocprim17ROCPRIM_400000_NS6detail17trampoline_kernelINS0_14default_configENS1_25partition_config_selectorILNS1_17partition_subalgoE9EllbEEZZNS1_14partition_implILS5_9ELb0ES3_jPlS8_PNS0_10empty_typeENS0_5tupleIJS8_S9_EEENSB_IJS8_SA_EEENS0_18inequality_wrapperIZN2at6native12_GLOBAL__N_124unique_dim_cuda_templateIsEESt5tupleIJNSF_6TensorESK_SK_EERKSK_lbbbEUlllE0_EEPmJS9_EEE10hipError_tPvRmT3_T4_T5_T6_T7_T9_mT8_P12ihipStream_tbDpT10_ENKUlT_T0_E_clISt17integral_constantIbLb1EES19_IbLb0EEEEDaS15_S16_EUlS15_E_NS1_11comp_targetILNS1_3genE10ELNS1_11target_archE1200ELNS1_3gpuE4ELNS1_3repE0EEENS1_30default_config_static_selectorELNS0_4arch9wavefront6targetE1EEEvT1_ ; -- Begin function _ZN7rocprim17ROCPRIM_400000_NS6detail17trampoline_kernelINS0_14default_configENS1_25partition_config_selectorILNS1_17partition_subalgoE9EllbEEZZNS1_14partition_implILS5_9ELb0ES3_jPlS8_PNS0_10empty_typeENS0_5tupleIJS8_S9_EEENSB_IJS8_SA_EEENS0_18inequality_wrapperIZN2at6native12_GLOBAL__N_124unique_dim_cuda_templateIsEESt5tupleIJNSF_6TensorESK_SK_EERKSK_lbbbEUlllE0_EEPmJS9_EEE10hipError_tPvRmT3_T4_T5_T6_T7_T9_mT8_P12ihipStream_tbDpT10_ENKUlT_T0_E_clISt17integral_constantIbLb1EES19_IbLb0EEEEDaS15_S16_EUlS15_E_NS1_11comp_targetILNS1_3genE10ELNS1_11target_archE1200ELNS1_3gpuE4ELNS1_3repE0EEENS1_30default_config_static_selectorELNS0_4arch9wavefront6targetE1EEEvT1_
	.p2align	8
	.type	_ZN7rocprim17ROCPRIM_400000_NS6detail17trampoline_kernelINS0_14default_configENS1_25partition_config_selectorILNS1_17partition_subalgoE9EllbEEZZNS1_14partition_implILS5_9ELb0ES3_jPlS8_PNS0_10empty_typeENS0_5tupleIJS8_S9_EEENSB_IJS8_SA_EEENS0_18inequality_wrapperIZN2at6native12_GLOBAL__N_124unique_dim_cuda_templateIsEESt5tupleIJNSF_6TensorESK_SK_EERKSK_lbbbEUlllE0_EEPmJS9_EEE10hipError_tPvRmT3_T4_T5_T6_T7_T9_mT8_P12ihipStream_tbDpT10_ENKUlT_T0_E_clISt17integral_constantIbLb1EES19_IbLb0EEEEDaS15_S16_EUlS15_E_NS1_11comp_targetILNS1_3genE10ELNS1_11target_archE1200ELNS1_3gpuE4ELNS1_3repE0EEENS1_30default_config_static_selectorELNS0_4arch9wavefront6targetE1EEEvT1_,@function
_ZN7rocprim17ROCPRIM_400000_NS6detail17trampoline_kernelINS0_14default_configENS1_25partition_config_selectorILNS1_17partition_subalgoE9EllbEEZZNS1_14partition_implILS5_9ELb0ES3_jPlS8_PNS0_10empty_typeENS0_5tupleIJS8_S9_EEENSB_IJS8_SA_EEENS0_18inequality_wrapperIZN2at6native12_GLOBAL__N_124unique_dim_cuda_templateIsEESt5tupleIJNSF_6TensorESK_SK_EERKSK_lbbbEUlllE0_EEPmJS9_EEE10hipError_tPvRmT3_T4_T5_T6_T7_T9_mT8_P12ihipStream_tbDpT10_ENKUlT_T0_E_clISt17integral_constantIbLb1EES19_IbLb0EEEEDaS15_S16_EUlS15_E_NS1_11comp_targetILNS1_3genE10ELNS1_11target_archE1200ELNS1_3gpuE4ELNS1_3repE0EEENS1_30default_config_static_selectorELNS0_4arch9wavefront6targetE1EEEvT1_: ; @_ZN7rocprim17ROCPRIM_400000_NS6detail17trampoline_kernelINS0_14default_configENS1_25partition_config_selectorILNS1_17partition_subalgoE9EllbEEZZNS1_14partition_implILS5_9ELb0ES3_jPlS8_PNS0_10empty_typeENS0_5tupleIJS8_S9_EEENSB_IJS8_SA_EEENS0_18inequality_wrapperIZN2at6native12_GLOBAL__N_124unique_dim_cuda_templateIsEESt5tupleIJNSF_6TensorESK_SK_EERKSK_lbbbEUlllE0_EEPmJS9_EEE10hipError_tPvRmT3_T4_T5_T6_T7_T9_mT8_P12ihipStream_tbDpT10_ENKUlT_T0_E_clISt17integral_constantIbLb1EES19_IbLb0EEEEDaS15_S16_EUlS15_E_NS1_11comp_targetILNS1_3genE10ELNS1_11target_archE1200ELNS1_3gpuE4ELNS1_3repE0EEENS1_30default_config_static_selectorELNS0_4arch9wavefront6targetE1EEEvT1_
; %bb.0:
	.section	.rodata,"a",@progbits
	.p2align	6, 0x0
	.amdhsa_kernel _ZN7rocprim17ROCPRIM_400000_NS6detail17trampoline_kernelINS0_14default_configENS1_25partition_config_selectorILNS1_17partition_subalgoE9EllbEEZZNS1_14partition_implILS5_9ELb0ES3_jPlS8_PNS0_10empty_typeENS0_5tupleIJS8_S9_EEENSB_IJS8_SA_EEENS0_18inequality_wrapperIZN2at6native12_GLOBAL__N_124unique_dim_cuda_templateIsEESt5tupleIJNSF_6TensorESK_SK_EERKSK_lbbbEUlllE0_EEPmJS9_EEE10hipError_tPvRmT3_T4_T5_T6_T7_T9_mT8_P12ihipStream_tbDpT10_ENKUlT_T0_E_clISt17integral_constantIbLb1EES19_IbLb0EEEEDaS15_S16_EUlS15_E_NS1_11comp_targetILNS1_3genE10ELNS1_11target_archE1200ELNS1_3gpuE4ELNS1_3repE0EEENS1_30default_config_static_selectorELNS0_4arch9wavefront6targetE1EEEvT1_
		.amdhsa_group_segment_fixed_size 0
		.amdhsa_private_segment_fixed_size 0
		.amdhsa_kernarg_size 120
		.amdhsa_user_sgpr_count 6
		.amdhsa_user_sgpr_private_segment_buffer 1
		.amdhsa_user_sgpr_dispatch_ptr 0
		.amdhsa_user_sgpr_queue_ptr 0
		.amdhsa_user_sgpr_kernarg_segment_ptr 1
		.amdhsa_user_sgpr_dispatch_id 0
		.amdhsa_user_sgpr_flat_scratch_init 0
		.amdhsa_user_sgpr_kernarg_preload_length 0
		.amdhsa_user_sgpr_kernarg_preload_offset 0
		.amdhsa_user_sgpr_private_segment_size 0
		.amdhsa_uses_dynamic_stack 0
		.amdhsa_system_sgpr_private_segment_wavefront_offset 0
		.amdhsa_system_sgpr_workgroup_id_x 1
		.amdhsa_system_sgpr_workgroup_id_y 0
		.amdhsa_system_sgpr_workgroup_id_z 0
		.amdhsa_system_sgpr_workgroup_info 0
		.amdhsa_system_vgpr_workitem_id 0
		.amdhsa_next_free_vgpr 1
		.amdhsa_next_free_sgpr 0
		.amdhsa_accum_offset 4
		.amdhsa_reserve_vcc 0
		.amdhsa_reserve_flat_scratch 0
		.amdhsa_float_round_mode_32 0
		.amdhsa_float_round_mode_16_64 0
		.amdhsa_float_denorm_mode_32 3
		.amdhsa_float_denorm_mode_16_64 3
		.amdhsa_dx10_clamp 1
		.amdhsa_ieee_mode 1
		.amdhsa_fp16_overflow 0
		.amdhsa_tg_split 0
		.amdhsa_exception_fp_ieee_invalid_op 0
		.amdhsa_exception_fp_denorm_src 0
		.amdhsa_exception_fp_ieee_div_zero 0
		.amdhsa_exception_fp_ieee_overflow 0
		.amdhsa_exception_fp_ieee_underflow 0
		.amdhsa_exception_fp_ieee_inexact 0
		.amdhsa_exception_int_div_zero 0
	.end_amdhsa_kernel
	.section	.text._ZN7rocprim17ROCPRIM_400000_NS6detail17trampoline_kernelINS0_14default_configENS1_25partition_config_selectorILNS1_17partition_subalgoE9EllbEEZZNS1_14partition_implILS5_9ELb0ES3_jPlS8_PNS0_10empty_typeENS0_5tupleIJS8_S9_EEENSB_IJS8_SA_EEENS0_18inequality_wrapperIZN2at6native12_GLOBAL__N_124unique_dim_cuda_templateIsEESt5tupleIJNSF_6TensorESK_SK_EERKSK_lbbbEUlllE0_EEPmJS9_EEE10hipError_tPvRmT3_T4_T5_T6_T7_T9_mT8_P12ihipStream_tbDpT10_ENKUlT_T0_E_clISt17integral_constantIbLb1EES19_IbLb0EEEEDaS15_S16_EUlS15_E_NS1_11comp_targetILNS1_3genE10ELNS1_11target_archE1200ELNS1_3gpuE4ELNS1_3repE0EEENS1_30default_config_static_selectorELNS0_4arch9wavefront6targetE1EEEvT1_,"axG",@progbits,_ZN7rocprim17ROCPRIM_400000_NS6detail17trampoline_kernelINS0_14default_configENS1_25partition_config_selectorILNS1_17partition_subalgoE9EllbEEZZNS1_14partition_implILS5_9ELb0ES3_jPlS8_PNS0_10empty_typeENS0_5tupleIJS8_S9_EEENSB_IJS8_SA_EEENS0_18inequality_wrapperIZN2at6native12_GLOBAL__N_124unique_dim_cuda_templateIsEESt5tupleIJNSF_6TensorESK_SK_EERKSK_lbbbEUlllE0_EEPmJS9_EEE10hipError_tPvRmT3_T4_T5_T6_T7_T9_mT8_P12ihipStream_tbDpT10_ENKUlT_T0_E_clISt17integral_constantIbLb1EES19_IbLb0EEEEDaS15_S16_EUlS15_E_NS1_11comp_targetILNS1_3genE10ELNS1_11target_archE1200ELNS1_3gpuE4ELNS1_3repE0EEENS1_30default_config_static_selectorELNS0_4arch9wavefront6targetE1EEEvT1_,comdat
.Lfunc_end738:
	.size	_ZN7rocprim17ROCPRIM_400000_NS6detail17trampoline_kernelINS0_14default_configENS1_25partition_config_selectorILNS1_17partition_subalgoE9EllbEEZZNS1_14partition_implILS5_9ELb0ES3_jPlS8_PNS0_10empty_typeENS0_5tupleIJS8_S9_EEENSB_IJS8_SA_EEENS0_18inequality_wrapperIZN2at6native12_GLOBAL__N_124unique_dim_cuda_templateIsEESt5tupleIJNSF_6TensorESK_SK_EERKSK_lbbbEUlllE0_EEPmJS9_EEE10hipError_tPvRmT3_T4_T5_T6_T7_T9_mT8_P12ihipStream_tbDpT10_ENKUlT_T0_E_clISt17integral_constantIbLb1EES19_IbLb0EEEEDaS15_S16_EUlS15_E_NS1_11comp_targetILNS1_3genE10ELNS1_11target_archE1200ELNS1_3gpuE4ELNS1_3repE0EEENS1_30default_config_static_selectorELNS0_4arch9wavefront6targetE1EEEvT1_, .Lfunc_end738-_ZN7rocprim17ROCPRIM_400000_NS6detail17trampoline_kernelINS0_14default_configENS1_25partition_config_selectorILNS1_17partition_subalgoE9EllbEEZZNS1_14partition_implILS5_9ELb0ES3_jPlS8_PNS0_10empty_typeENS0_5tupleIJS8_S9_EEENSB_IJS8_SA_EEENS0_18inequality_wrapperIZN2at6native12_GLOBAL__N_124unique_dim_cuda_templateIsEESt5tupleIJNSF_6TensorESK_SK_EERKSK_lbbbEUlllE0_EEPmJS9_EEE10hipError_tPvRmT3_T4_T5_T6_T7_T9_mT8_P12ihipStream_tbDpT10_ENKUlT_T0_E_clISt17integral_constantIbLb1EES19_IbLb0EEEEDaS15_S16_EUlS15_E_NS1_11comp_targetILNS1_3genE10ELNS1_11target_archE1200ELNS1_3gpuE4ELNS1_3repE0EEENS1_30default_config_static_selectorELNS0_4arch9wavefront6targetE1EEEvT1_
                                        ; -- End function
	.section	.AMDGPU.csdata,"",@progbits
; Kernel info:
; codeLenInByte = 0
; NumSgprs: 4
; NumVgprs: 0
; NumAgprs: 0
; TotalNumVgprs: 0
; ScratchSize: 0
; MemoryBound: 0
; FloatMode: 240
; IeeeMode: 1
; LDSByteSize: 0 bytes/workgroup (compile time only)
; SGPRBlocks: 0
; VGPRBlocks: 0
; NumSGPRsForWavesPerEU: 4
; NumVGPRsForWavesPerEU: 1
; AccumOffset: 4
; Occupancy: 8
; WaveLimiterHint : 0
; COMPUTE_PGM_RSRC2:SCRATCH_EN: 0
; COMPUTE_PGM_RSRC2:USER_SGPR: 6
; COMPUTE_PGM_RSRC2:TRAP_HANDLER: 0
; COMPUTE_PGM_RSRC2:TGID_X_EN: 1
; COMPUTE_PGM_RSRC2:TGID_Y_EN: 0
; COMPUTE_PGM_RSRC2:TGID_Z_EN: 0
; COMPUTE_PGM_RSRC2:TIDIG_COMP_CNT: 0
; COMPUTE_PGM_RSRC3_GFX90A:ACCUM_OFFSET: 0
; COMPUTE_PGM_RSRC3_GFX90A:TG_SPLIT: 0
	.section	.text._ZN7rocprim17ROCPRIM_400000_NS6detail17trampoline_kernelINS0_14default_configENS1_25partition_config_selectorILNS1_17partition_subalgoE9EllbEEZZNS1_14partition_implILS5_9ELb0ES3_jPlS8_PNS0_10empty_typeENS0_5tupleIJS8_S9_EEENSB_IJS8_SA_EEENS0_18inequality_wrapperIZN2at6native12_GLOBAL__N_124unique_dim_cuda_templateIsEESt5tupleIJNSF_6TensorESK_SK_EERKSK_lbbbEUlllE0_EEPmJS9_EEE10hipError_tPvRmT3_T4_T5_T6_T7_T9_mT8_P12ihipStream_tbDpT10_ENKUlT_T0_E_clISt17integral_constantIbLb1EES19_IbLb0EEEEDaS15_S16_EUlS15_E_NS1_11comp_targetILNS1_3genE9ELNS1_11target_archE1100ELNS1_3gpuE3ELNS1_3repE0EEENS1_30default_config_static_selectorELNS0_4arch9wavefront6targetE1EEEvT1_,"axG",@progbits,_ZN7rocprim17ROCPRIM_400000_NS6detail17trampoline_kernelINS0_14default_configENS1_25partition_config_selectorILNS1_17partition_subalgoE9EllbEEZZNS1_14partition_implILS5_9ELb0ES3_jPlS8_PNS0_10empty_typeENS0_5tupleIJS8_S9_EEENSB_IJS8_SA_EEENS0_18inequality_wrapperIZN2at6native12_GLOBAL__N_124unique_dim_cuda_templateIsEESt5tupleIJNSF_6TensorESK_SK_EERKSK_lbbbEUlllE0_EEPmJS9_EEE10hipError_tPvRmT3_T4_T5_T6_T7_T9_mT8_P12ihipStream_tbDpT10_ENKUlT_T0_E_clISt17integral_constantIbLb1EES19_IbLb0EEEEDaS15_S16_EUlS15_E_NS1_11comp_targetILNS1_3genE9ELNS1_11target_archE1100ELNS1_3gpuE3ELNS1_3repE0EEENS1_30default_config_static_selectorELNS0_4arch9wavefront6targetE1EEEvT1_,comdat
	.globl	_ZN7rocprim17ROCPRIM_400000_NS6detail17trampoline_kernelINS0_14default_configENS1_25partition_config_selectorILNS1_17partition_subalgoE9EllbEEZZNS1_14partition_implILS5_9ELb0ES3_jPlS8_PNS0_10empty_typeENS0_5tupleIJS8_S9_EEENSB_IJS8_SA_EEENS0_18inequality_wrapperIZN2at6native12_GLOBAL__N_124unique_dim_cuda_templateIsEESt5tupleIJNSF_6TensorESK_SK_EERKSK_lbbbEUlllE0_EEPmJS9_EEE10hipError_tPvRmT3_T4_T5_T6_T7_T9_mT8_P12ihipStream_tbDpT10_ENKUlT_T0_E_clISt17integral_constantIbLb1EES19_IbLb0EEEEDaS15_S16_EUlS15_E_NS1_11comp_targetILNS1_3genE9ELNS1_11target_archE1100ELNS1_3gpuE3ELNS1_3repE0EEENS1_30default_config_static_selectorELNS0_4arch9wavefront6targetE1EEEvT1_ ; -- Begin function _ZN7rocprim17ROCPRIM_400000_NS6detail17trampoline_kernelINS0_14default_configENS1_25partition_config_selectorILNS1_17partition_subalgoE9EllbEEZZNS1_14partition_implILS5_9ELb0ES3_jPlS8_PNS0_10empty_typeENS0_5tupleIJS8_S9_EEENSB_IJS8_SA_EEENS0_18inequality_wrapperIZN2at6native12_GLOBAL__N_124unique_dim_cuda_templateIsEESt5tupleIJNSF_6TensorESK_SK_EERKSK_lbbbEUlllE0_EEPmJS9_EEE10hipError_tPvRmT3_T4_T5_T6_T7_T9_mT8_P12ihipStream_tbDpT10_ENKUlT_T0_E_clISt17integral_constantIbLb1EES19_IbLb0EEEEDaS15_S16_EUlS15_E_NS1_11comp_targetILNS1_3genE9ELNS1_11target_archE1100ELNS1_3gpuE3ELNS1_3repE0EEENS1_30default_config_static_selectorELNS0_4arch9wavefront6targetE1EEEvT1_
	.p2align	8
	.type	_ZN7rocprim17ROCPRIM_400000_NS6detail17trampoline_kernelINS0_14default_configENS1_25partition_config_selectorILNS1_17partition_subalgoE9EllbEEZZNS1_14partition_implILS5_9ELb0ES3_jPlS8_PNS0_10empty_typeENS0_5tupleIJS8_S9_EEENSB_IJS8_SA_EEENS0_18inequality_wrapperIZN2at6native12_GLOBAL__N_124unique_dim_cuda_templateIsEESt5tupleIJNSF_6TensorESK_SK_EERKSK_lbbbEUlllE0_EEPmJS9_EEE10hipError_tPvRmT3_T4_T5_T6_T7_T9_mT8_P12ihipStream_tbDpT10_ENKUlT_T0_E_clISt17integral_constantIbLb1EES19_IbLb0EEEEDaS15_S16_EUlS15_E_NS1_11comp_targetILNS1_3genE9ELNS1_11target_archE1100ELNS1_3gpuE3ELNS1_3repE0EEENS1_30default_config_static_selectorELNS0_4arch9wavefront6targetE1EEEvT1_,@function
_ZN7rocprim17ROCPRIM_400000_NS6detail17trampoline_kernelINS0_14default_configENS1_25partition_config_selectorILNS1_17partition_subalgoE9EllbEEZZNS1_14partition_implILS5_9ELb0ES3_jPlS8_PNS0_10empty_typeENS0_5tupleIJS8_S9_EEENSB_IJS8_SA_EEENS0_18inequality_wrapperIZN2at6native12_GLOBAL__N_124unique_dim_cuda_templateIsEESt5tupleIJNSF_6TensorESK_SK_EERKSK_lbbbEUlllE0_EEPmJS9_EEE10hipError_tPvRmT3_T4_T5_T6_T7_T9_mT8_P12ihipStream_tbDpT10_ENKUlT_T0_E_clISt17integral_constantIbLb1EES19_IbLb0EEEEDaS15_S16_EUlS15_E_NS1_11comp_targetILNS1_3genE9ELNS1_11target_archE1100ELNS1_3gpuE3ELNS1_3repE0EEENS1_30default_config_static_selectorELNS0_4arch9wavefront6targetE1EEEvT1_: ; @_ZN7rocprim17ROCPRIM_400000_NS6detail17trampoline_kernelINS0_14default_configENS1_25partition_config_selectorILNS1_17partition_subalgoE9EllbEEZZNS1_14partition_implILS5_9ELb0ES3_jPlS8_PNS0_10empty_typeENS0_5tupleIJS8_S9_EEENSB_IJS8_SA_EEENS0_18inequality_wrapperIZN2at6native12_GLOBAL__N_124unique_dim_cuda_templateIsEESt5tupleIJNSF_6TensorESK_SK_EERKSK_lbbbEUlllE0_EEPmJS9_EEE10hipError_tPvRmT3_T4_T5_T6_T7_T9_mT8_P12ihipStream_tbDpT10_ENKUlT_T0_E_clISt17integral_constantIbLb1EES19_IbLb0EEEEDaS15_S16_EUlS15_E_NS1_11comp_targetILNS1_3genE9ELNS1_11target_archE1100ELNS1_3gpuE3ELNS1_3repE0EEENS1_30default_config_static_selectorELNS0_4arch9wavefront6targetE1EEEvT1_
; %bb.0:
	.section	.rodata,"a",@progbits
	.p2align	6, 0x0
	.amdhsa_kernel _ZN7rocprim17ROCPRIM_400000_NS6detail17trampoline_kernelINS0_14default_configENS1_25partition_config_selectorILNS1_17partition_subalgoE9EllbEEZZNS1_14partition_implILS5_9ELb0ES3_jPlS8_PNS0_10empty_typeENS0_5tupleIJS8_S9_EEENSB_IJS8_SA_EEENS0_18inequality_wrapperIZN2at6native12_GLOBAL__N_124unique_dim_cuda_templateIsEESt5tupleIJNSF_6TensorESK_SK_EERKSK_lbbbEUlllE0_EEPmJS9_EEE10hipError_tPvRmT3_T4_T5_T6_T7_T9_mT8_P12ihipStream_tbDpT10_ENKUlT_T0_E_clISt17integral_constantIbLb1EES19_IbLb0EEEEDaS15_S16_EUlS15_E_NS1_11comp_targetILNS1_3genE9ELNS1_11target_archE1100ELNS1_3gpuE3ELNS1_3repE0EEENS1_30default_config_static_selectorELNS0_4arch9wavefront6targetE1EEEvT1_
		.amdhsa_group_segment_fixed_size 0
		.amdhsa_private_segment_fixed_size 0
		.amdhsa_kernarg_size 120
		.amdhsa_user_sgpr_count 6
		.amdhsa_user_sgpr_private_segment_buffer 1
		.amdhsa_user_sgpr_dispatch_ptr 0
		.amdhsa_user_sgpr_queue_ptr 0
		.amdhsa_user_sgpr_kernarg_segment_ptr 1
		.amdhsa_user_sgpr_dispatch_id 0
		.amdhsa_user_sgpr_flat_scratch_init 0
		.amdhsa_user_sgpr_kernarg_preload_length 0
		.amdhsa_user_sgpr_kernarg_preload_offset 0
		.amdhsa_user_sgpr_private_segment_size 0
		.amdhsa_uses_dynamic_stack 0
		.amdhsa_system_sgpr_private_segment_wavefront_offset 0
		.amdhsa_system_sgpr_workgroup_id_x 1
		.amdhsa_system_sgpr_workgroup_id_y 0
		.amdhsa_system_sgpr_workgroup_id_z 0
		.amdhsa_system_sgpr_workgroup_info 0
		.amdhsa_system_vgpr_workitem_id 0
		.amdhsa_next_free_vgpr 1
		.amdhsa_next_free_sgpr 0
		.amdhsa_accum_offset 4
		.amdhsa_reserve_vcc 0
		.amdhsa_reserve_flat_scratch 0
		.amdhsa_float_round_mode_32 0
		.amdhsa_float_round_mode_16_64 0
		.amdhsa_float_denorm_mode_32 3
		.amdhsa_float_denorm_mode_16_64 3
		.amdhsa_dx10_clamp 1
		.amdhsa_ieee_mode 1
		.amdhsa_fp16_overflow 0
		.amdhsa_tg_split 0
		.amdhsa_exception_fp_ieee_invalid_op 0
		.amdhsa_exception_fp_denorm_src 0
		.amdhsa_exception_fp_ieee_div_zero 0
		.amdhsa_exception_fp_ieee_overflow 0
		.amdhsa_exception_fp_ieee_underflow 0
		.amdhsa_exception_fp_ieee_inexact 0
		.amdhsa_exception_int_div_zero 0
	.end_amdhsa_kernel
	.section	.text._ZN7rocprim17ROCPRIM_400000_NS6detail17trampoline_kernelINS0_14default_configENS1_25partition_config_selectorILNS1_17partition_subalgoE9EllbEEZZNS1_14partition_implILS5_9ELb0ES3_jPlS8_PNS0_10empty_typeENS0_5tupleIJS8_S9_EEENSB_IJS8_SA_EEENS0_18inequality_wrapperIZN2at6native12_GLOBAL__N_124unique_dim_cuda_templateIsEESt5tupleIJNSF_6TensorESK_SK_EERKSK_lbbbEUlllE0_EEPmJS9_EEE10hipError_tPvRmT3_T4_T5_T6_T7_T9_mT8_P12ihipStream_tbDpT10_ENKUlT_T0_E_clISt17integral_constantIbLb1EES19_IbLb0EEEEDaS15_S16_EUlS15_E_NS1_11comp_targetILNS1_3genE9ELNS1_11target_archE1100ELNS1_3gpuE3ELNS1_3repE0EEENS1_30default_config_static_selectorELNS0_4arch9wavefront6targetE1EEEvT1_,"axG",@progbits,_ZN7rocprim17ROCPRIM_400000_NS6detail17trampoline_kernelINS0_14default_configENS1_25partition_config_selectorILNS1_17partition_subalgoE9EllbEEZZNS1_14partition_implILS5_9ELb0ES3_jPlS8_PNS0_10empty_typeENS0_5tupleIJS8_S9_EEENSB_IJS8_SA_EEENS0_18inequality_wrapperIZN2at6native12_GLOBAL__N_124unique_dim_cuda_templateIsEESt5tupleIJNSF_6TensorESK_SK_EERKSK_lbbbEUlllE0_EEPmJS9_EEE10hipError_tPvRmT3_T4_T5_T6_T7_T9_mT8_P12ihipStream_tbDpT10_ENKUlT_T0_E_clISt17integral_constantIbLb1EES19_IbLb0EEEEDaS15_S16_EUlS15_E_NS1_11comp_targetILNS1_3genE9ELNS1_11target_archE1100ELNS1_3gpuE3ELNS1_3repE0EEENS1_30default_config_static_selectorELNS0_4arch9wavefront6targetE1EEEvT1_,comdat
.Lfunc_end739:
	.size	_ZN7rocprim17ROCPRIM_400000_NS6detail17trampoline_kernelINS0_14default_configENS1_25partition_config_selectorILNS1_17partition_subalgoE9EllbEEZZNS1_14partition_implILS5_9ELb0ES3_jPlS8_PNS0_10empty_typeENS0_5tupleIJS8_S9_EEENSB_IJS8_SA_EEENS0_18inequality_wrapperIZN2at6native12_GLOBAL__N_124unique_dim_cuda_templateIsEESt5tupleIJNSF_6TensorESK_SK_EERKSK_lbbbEUlllE0_EEPmJS9_EEE10hipError_tPvRmT3_T4_T5_T6_T7_T9_mT8_P12ihipStream_tbDpT10_ENKUlT_T0_E_clISt17integral_constantIbLb1EES19_IbLb0EEEEDaS15_S16_EUlS15_E_NS1_11comp_targetILNS1_3genE9ELNS1_11target_archE1100ELNS1_3gpuE3ELNS1_3repE0EEENS1_30default_config_static_selectorELNS0_4arch9wavefront6targetE1EEEvT1_, .Lfunc_end739-_ZN7rocprim17ROCPRIM_400000_NS6detail17trampoline_kernelINS0_14default_configENS1_25partition_config_selectorILNS1_17partition_subalgoE9EllbEEZZNS1_14partition_implILS5_9ELb0ES3_jPlS8_PNS0_10empty_typeENS0_5tupleIJS8_S9_EEENSB_IJS8_SA_EEENS0_18inequality_wrapperIZN2at6native12_GLOBAL__N_124unique_dim_cuda_templateIsEESt5tupleIJNSF_6TensorESK_SK_EERKSK_lbbbEUlllE0_EEPmJS9_EEE10hipError_tPvRmT3_T4_T5_T6_T7_T9_mT8_P12ihipStream_tbDpT10_ENKUlT_T0_E_clISt17integral_constantIbLb1EES19_IbLb0EEEEDaS15_S16_EUlS15_E_NS1_11comp_targetILNS1_3genE9ELNS1_11target_archE1100ELNS1_3gpuE3ELNS1_3repE0EEENS1_30default_config_static_selectorELNS0_4arch9wavefront6targetE1EEEvT1_
                                        ; -- End function
	.section	.AMDGPU.csdata,"",@progbits
; Kernel info:
; codeLenInByte = 0
; NumSgprs: 4
; NumVgprs: 0
; NumAgprs: 0
; TotalNumVgprs: 0
; ScratchSize: 0
; MemoryBound: 0
; FloatMode: 240
; IeeeMode: 1
; LDSByteSize: 0 bytes/workgroup (compile time only)
; SGPRBlocks: 0
; VGPRBlocks: 0
; NumSGPRsForWavesPerEU: 4
; NumVGPRsForWavesPerEU: 1
; AccumOffset: 4
; Occupancy: 8
; WaveLimiterHint : 0
; COMPUTE_PGM_RSRC2:SCRATCH_EN: 0
; COMPUTE_PGM_RSRC2:USER_SGPR: 6
; COMPUTE_PGM_RSRC2:TRAP_HANDLER: 0
; COMPUTE_PGM_RSRC2:TGID_X_EN: 1
; COMPUTE_PGM_RSRC2:TGID_Y_EN: 0
; COMPUTE_PGM_RSRC2:TGID_Z_EN: 0
; COMPUTE_PGM_RSRC2:TIDIG_COMP_CNT: 0
; COMPUTE_PGM_RSRC3_GFX90A:ACCUM_OFFSET: 0
; COMPUTE_PGM_RSRC3_GFX90A:TG_SPLIT: 0
	.section	.text._ZN7rocprim17ROCPRIM_400000_NS6detail17trampoline_kernelINS0_14default_configENS1_25partition_config_selectorILNS1_17partition_subalgoE9EllbEEZZNS1_14partition_implILS5_9ELb0ES3_jPlS8_PNS0_10empty_typeENS0_5tupleIJS8_S9_EEENSB_IJS8_SA_EEENS0_18inequality_wrapperIZN2at6native12_GLOBAL__N_124unique_dim_cuda_templateIsEESt5tupleIJNSF_6TensorESK_SK_EERKSK_lbbbEUlllE0_EEPmJS9_EEE10hipError_tPvRmT3_T4_T5_T6_T7_T9_mT8_P12ihipStream_tbDpT10_ENKUlT_T0_E_clISt17integral_constantIbLb1EES19_IbLb0EEEEDaS15_S16_EUlS15_E_NS1_11comp_targetILNS1_3genE8ELNS1_11target_archE1030ELNS1_3gpuE2ELNS1_3repE0EEENS1_30default_config_static_selectorELNS0_4arch9wavefront6targetE1EEEvT1_,"axG",@progbits,_ZN7rocprim17ROCPRIM_400000_NS6detail17trampoline_kernelINS0_14default_configENS1_25partition_config_selectorILNS1_17partition_subalgoE9EllbEEZZNS1_14partition_implILS5_9ELb0ES3_jPlS8_PNS0_10empty_typeENS0_5tupleIJS8_S9_EEENSB_IJS8_SA_EEENS0_18inequality_wrapperIZN2at6native12_GLOBAL__N_124unique_dim_cuda_templateIsEESt5tupleIJNSF_6TensorESK_SK_EERKSK_lbbbEUlllE0_EEPmJS9_EEE10hipError_tPvRmT3_T4_T5_T6_T7_T9_mT8_P12ihipStream_tbDpT10_ENKUlT_T0_E_clISt17integral_constantIbLb1EES19_IbLb0EEEEDaS15_S16_EUlS15_E_NS1_11comp_targetILNS1_3genE8ELNS1_11target_archE1030ELNS1_3gpuE2ELNS1_3repE0EEENS1_30default_config_static_selectorELNS0_4arch9wavefront6targetE1EEEvT1_,comdat
	.globl	_ZN7rocprim17ROCPRIM_400000_NS6detail17trampoline_kernelINS0_14default_configENS1_25partition_config_selectorILNS1_17partition_subalgoE9EllbEEZZNS1_14partition_implILS5_9ELb0ES3_jPlS8_PNS0_10empty_typeENS0_5tupleIJS8_S9_EEENSB_IJS8_SA_EEENS0_18inequality_wrapperIZN2at6native12_GLOBAL__N_124unique_dim_cuda_templateIsEESt5tupleIJNSF_6TensorESK_SK_EERKSK_lbbbEUlllE0_EEPmJS9_EEE10hipError_tPvRmT3_T4_T5_T6_T7_T9_mT8_P12ihipStream_tbDpT10_ENKUlT_T0_E_clISt17integral_constantIbLb1EES19_IbLb0EEEEDaS15_S16_EUlS15_E_NS1_11comp_targetILNS1_3genE8ELNS1_11target_archE1030ELNS1_3gpuE2ELNS1_3repE0EEENS1_30default_config_static_selectorELNS0_4arch9wavefront6targetE1EEEvT1_ ; -- Begin function _ZN7rocprim17ROCPRIM_400000_NS6detail17trampoline_kernelINS0_14default_configENS1_25partition_config_selectorILNS1_17partition_subalgoE9EllbEEZZNS1_14partition_implILS5_9ELb0ES3_jPlS8_PNS0_10empty_typeENS0_5tupleIJS8_S9_EEENSB_IJS8_SA_EEENS0_18inequality_wrapperIZN2at6native12_GLOBAL__N_124unique_dim_cuda_templateIsEESt5tupleIJNSF_6TensorESK_SK_EERKSK_lbbbEUlllE0_EEPmJS9_EEE10hipError_tPvRmT3_T4_T5_T6_T7_T9_mT8_P12ihipStream_tbDpT10_ENKUlT_T0_E_clISt17integral_constantIbLb1EES19_IbLb0EEEEDaS15_S16_EUlS15_E_NS1_11comp_targetILNS1_3genE8ELNS1_11target_archE1030ELNS1_3gpuE2ELNS1_3repE0EEENS1_30default_config_static_selectorELNS0_4arch9wavefront6targetE1EEEvT1_
	.p2align	8
	.type	_ZN7rocprim17ROCPRIM_400000_NS6detail17trampoline_kernelINS0_14default_configENS1_25partition_config_selectorILNS1_17partition_subalgoE9EllbEEZZNS1_14partition_implILS5_9ELb0ES3_jPlS8_PNS0_10empty_typeENS0_5tupleIJS8_S9_EEENSB_IJS8_SA_EEENS0_18inequality_wrapperIZN2at6native12_GLOBAL__N_124unique_dim_cuda_templateIsEESt5tupleIJNSF_6TensorESK_SK_EERKSK_lbbbEUlllE0_EEPmJS9_EEE10hipError_tPvRmT3_T4_T5_T6_T7_T9_mT8_P12ihipStream_tbDpT10_ENKUlT_T0_E_clISt17integral_constantIbLb1EES19_IbLb0EEEEDaS15_S16_EUlS15_E_NS1_11comp_targetILNS1_3genE8ELNS1_11target_archE1030ELNS1_3gpuE2ELNS1_3repE0EEENS1_30default_config_static_selectorELNS0_4arch9wavefront6targetE1EEEvT1_,@function
_ZN7rocprim17ROCPRIM_400000_NS6detail17trampoline_kernelINS0_14default_configENS1_25partition_config_selectorILNS1_17partition_subalgoE9EllbEEZZNS1_14partition_implILS5_9ELb0ES3_jPlS8_PNS0_10empty_typeENS0_5tupleIJS8_S9_EEENSB_IJS8_SA_EEENS0_18inequality_wrapperIZN2at6native12_GLOBAL__N_124unique_dim_cuda_templateIsEESt5tupleIJNSF_6TensorESK_SK_EERKSK_lbbbEUlllE0_EEPmJS9_EEE10hipError_tPvRmT3_T4_T5_T6_T7_T9_mT8_P12ihipStream_tbDpT10_ENKUlT_T0_E_clISt17integral_constantIbLb1EES19_IbLb0EEEEDaS15_S16_EUlS15_E_NS1_11comp_targetILNS1_3genE8ELNS1_11target_archE1030ELNS1_3gpuE2ELNS1_3repE0EEENS1_30default_config_static_selectorELNS0_4arch9wavefront6targetE1EEEvT1_: ; @_ZN7rocprim17ROCPRIM_400000_NS6detail17trampoline_kernelINS0_14default_configENS1_25partition_config_selectorILNS1_17partition_subalgoE9EllbEEZZNS1_14partition_implILS5_9ELb0ES3_jPlS8_PNS0_10empty_typeENS0_5tupleIJS8_S9_EEENSB_IJS8_SA_EEENS0_18inequality_wrapperIZN2at6native12_GLOBAL__N_124unique_dim_cuda_templateIsEESt5tupleIJNSF_6TensorESK_SK_EERKSK_lbbbEUlllE0_EEPmJS9_EEE10hipError_tPvRmT3_T4_T5_T6_T7_T9_mT8_P12ihipStream_tbDpT10_ENKUlT_T0_E_clISt17integral_constantIbLb1EES19_IbLb0EEEEDaS15_S16_EUlS15_E_NS1_11comp_targetILNS1_3genE8ELNS1_11target_archE1030ELNS1_3gpuE2ELNS1_3repE0EEENS1_30default_config_static_selectorELNS0_4arch9wavefront6targetE1EEEvT1_
; %bb.0:
	.section	.rodata,"a",@progbits
	.p2align	6, 0x0
	.amdhsa_kernel _ZN7rocprim17ROCPRIM_400000_NS6detail17trampoline_kernelINS0_14default_configENS1_25partition_config_selectorILNS1_17partition_subalgoE9EllbEEZZNS1_14partition_implILS5_9ELb0ES3_jPlS8_PNS0_10empty_typeENS0_5tupleIJS8_S9_EEENSB_IJS8_SA_EEENS0_18inequality_wrapperIZN2at6native12_GLOBAL__N_124unique_dim_cuda_templateIsEESt5tupleIJNSF_6TensorESK_SK_EERKSK_lbbbEUlllE0_EEPmJS9_EEE10hipError_tPvRmT3_T4_T5_T6_T7_T9_mT8_P12ihipStream_tbDpT10_ENKUlT_T0_E_clISt17integral_constantIbLb1EES19_IbLb0EEEEDaS15_S16_EUlS15_E_NS1_11comp_targetILNS1_3genE8ELNS1_11target_archE1030ELNS1_3gpuE2ELNS1_3repE0EEENS1_30default_config_static_selectorELNS0_4arch9wavefront6targetE1EEEvT1_
		.amdhsa_group_segment_fixed_size 0
		.amdhsa_private_segment_fixed_size 0
		.amdhsa_kernarg_size 120
		.amdhsa_user_sgpr_count 6
		.amdhsa_user_sgpr_private_segment_buffer 1
		.amdhsa_user_sgpr_dispatch_ptr 0
		.amdhsa_user_sgpr_queue_ptr 0
		.amdhsa_user_sgpr_kernarg_segment_ptr 1
		.amdhsa_user_sgpr_dispatch_id 0
		.amdhsa_user_sgpr_flat_scratch_init 0
		.amdhsa_user_sgpr_kernarg_preload_length 0
		.amdhsa_user_sgpr_kernarg_preload_offset 0
		.amdhsa_user_sgpr_private_segment_size 0
		.amdhsa_uses_dynamic_stack 0
		.amdhsa_system_sgpr_private_segment_wavefront_offset 0
		.amdhsa_system_sgpr_workgroup_id_x 1
		.amdhsa_system_sgpr_workgroup_id_y 0
		.amdhsa_system_sgpr_workgroup_id_z 0
		.amdhsa_system_sgpr_workgroup_info 0
		.amdhsa_system_vgpr_workitem_id 0
		.amdhsa_next_free_vgpr 1
		.amdhsa_next_free_sgpr 0
		.amdhsa_accum_offset 4
		.amdhsa_reserve_vcc 0
		.amdhsa_reserve_flat_scratch 0
		.amdhsa_float_round_mode_32 0
		.amdhsa_float_round_mode_16_64 0
		.amdhsa_float_denorm_mode_32 3
		.amdhsa_float_denorm_mode_16_64 3
		.amdhsa_dx10_clamp 1
		.amdhsa_ieee_mode 1
		.amdhsa_fp16_overflow 0
		.amdhsa_tg_split 0
		.amdhsa_exception_fp_ieee_invalid_op 0
		.amdhsa_exception_fp_denorm_src 0
		.amdhsa_exception_fp_ieee_div_zero 0
		.amdhsa_exception_fp_ieee_overflow 0
		.amdhsa_exception_fp_ieee_underflow 0
		.amdhsa_exception_fp_ieee_inexact 0
		.amdhsa_exception_int_div_zero 0
	.end_amdhsa_kernel
	.section	.text._ZN7rocprim17ROCPRIM_400000_NS6detail17trampoline_kernelINS0_14default_configENS1_25partition_config_selectorILNS1_17partition_subalgoE9EllbEEZZNS1_14partition_implILS5_9ELb0ES3_jPlS8_PNS0_10empty_typeENS0_5tupleIJS8_S9_EEENSB_IJS8_SA_EEENS0_18inequality_wrapperIZN2at6native12_GLOBAL__N_124unique_dim_cuda_templateIsEESt5tupleIJNSF_6TensorESK_SK_EERKSK_lbbbEUlllE0_EEPmJS9_EEE10hipError_tPvRmT3_T4_T5_T6_T7_T9_mT8_P12ihipStream_tbDpT10_ENKUlT_T0_E_clISt17integral_constantIbLb1EES19_IbLb0EEEEDaS15_S16_EUlS15_E_NS1_11comp_targetILNS1_3genE8ELNS1_11target_archE1030ELNS1_3gpuE2ELNS1_3repE0EEENS1_30default_config_static_selectorELNS0_4arch9wavefront6targetE1EEEvT1_,"axG",@progbits,_ZN7rocprim17ROCPRIM_400000_NS6detail17trampoline_kernelINS0_14default_configENS1_25partition_config_selectorILNS1_17partition_subalgoE9EllbEEZZNS1_14partition_implILS5_9ELb0ES3_jPlS8_PNS0_10empty_typeENS0_5tupleIJS8_S9_EEENSB_IJS8_SA_EEENS0_18inequality_wrapperIZN2at6native12_GLOBAL__N_124unique_dim_cuda_templateIsEESt5tupleIJNSF_6TensorESK_SK_EERKSK_lbbbEUlllE0_EEPmJS9_EEE10hipError_tPvRmT3_T4_T5_T6_T7_T9_mT8_P12ihipStream_tbDpT10_ENKUlT_T0_E_clISt17integral_constantIbLb1EES19_IbLb0EEEEDaS15_S16_EUlS15_E_NS1_11comp_targetILNS1_3genE8ELNS1_11target_archE1030ELNS1_3gpuE2ELNS1_3repE0EEENS1_30default_config_static_selectorELNS0_4arch9wavefront6targetE1EEEvT1_,comdat
.Lfunc_end740:
	.size	_ZN7rocprim17ROCPRIM_400000_NS6detail17trampoline_kernelINS0_14default_configENS1_25partition_config_selectorILNS1_17partition_subalgoE9EllbEEZZNS1_14partition_implILS5_9ELb0ES3_jPlS8_PNS0_10empty_typeENS0_5tupleIJS8_S9_EEENSB_IJS8_SA_EEENS0_18inequality_wrapperIZN2at6native12_GLOBAL__N_124unique_dim_cuda_templateIsEESt5tupleIJNSF_6TensorESK_SK_EERKSK_lbbbEUlllE0_EEPmJS9_EEE10hipError_tPvRmT3_T4_T5_T6_T7_T9_mT8_P12ihipStream_tbDpT10_ENKUlT_T0_E_clISt17integral_constantIbLb1EES19_IbLb0EEEEDaS15_S16_EUlS15_E_NS1_11comp_targetILNS1_3genE8ELNS1_11target_archE1030ELNS1_3gpuE2ELNS1_3repE0EEENS1_30default_config_static_selectorELNS0_4arch9wavefront6targetE1EEEvT1_, .Lfunc_end740-_ZN7rocprim17ROCPRIM_400000_NS6detail17trampoline_kernelINS0_14default_configENS1_25partition_config_selectorILNS1_17partition_subalgoE9EllbEEZZNS1_14partition_implILS5_9ELb0ES3_jPlS8_PNS0_10empty_typeENS0_5tupleIJS8_S9_EEENSB_IJS8_SA_EEENS0_18inequality_wrapperIZN2at6native12_GLOBAL__N_124unique_dim_cuda_templateIsEESt5tupleIJNSF_6TensorESK_SK_EERKSK_lbbbEUlllE0_EEPmJS9_EEE10hipError_tPvRmT3_T4_T5_T6_T7_T9_mT8_P12ihipStream_tbDpT10_ENKUlT_T0_E_clISt17integral_constantIbLb1EES19_IbLb0EEEEDaS15_S16_EUlS15_E_NS1_11comp_targetILNS1_3genE8ELNS1_11target_archE1030ELNS1_3gpuE2ELNS1_3repE0EEENS1_30default_config_static_selectorELNS0_4arch9wavefront6targetE1EEEvT1_
                                        ; -- End function
	.section	.AMDGPU.csdata,"",@progbits
; Kernel info:
; codeLenInByte = 0
; NumSgprs: 4
; NumVgprs: 0
; NumAgprs: 0
; TotalNumVgprs: 0
; ScratchSize: 0
; MemoryBound: 0
; FloatMode: 240
; IeeeMode: 1
; LDSByteSize: 0 bytes/workgroup (compile time only)
; SGPRBlocks: 0
; VGPRBlocks: 0
; NumSGPRsForWavesPerEU: 4
; NumVGPRsForWavesPerEU: 1
; AccumOffset: 4
; Occupancy: 8
; WaveLimiterHint : 0
; COMPUTE_PGM_RSRC2:SCRATCH_EN: 0
; COMPUTE_PGM_RSRC2:USER_SGPR: 6
; COMPUTE_PGM_RSRC2:TRAP_HANDLER: 0
; COMPUTE_PGM_RSRC2:TGID_X_EN: 1
; COMPUTE_PGM_RSRC2:TGID_Y_EN: 0
; COMPUTE_PGM_RSRC2:TGID_Z_EN: 0
; COMPUTE_PGM_RSRC2:TIDIG_COMP_CNT: 0
; COMPUTE_PGM_RSRC3_GFX90A:ACCUM_OFFSET: 0
; COMPUTE_PGM_RSRC3_GFX90A:TG_SPLIT: 0
	.section	.text._ZN7rocprim17ROCPRIM_400000_NS6detail17trampoline_kernelINS0_14default_configENS1_25partition_config_selectorILNS1_17partition_subalgoE9EllbEEZZNS1_14partition_implILS5_9ELb0ES3_jPlS8_PNS0_10empty_typeENS0_5tupleIJS8_S9_EEENSB_IJS8_SA_EEENS0_18inequality_wrapperIZN2at6native12_GLOBAL__N_124unique_dim_cuda_templateIsEESt5tupleIJNSF_6TensorESK_SK_EERKSK_lbbbEUlllE0_EEPmJS9_EEE10hipError_tPvRmT3_T4_T5_T6_T7_T9_mT8_P12ihipStream_tbDpT10_ENKUlT_T0_E_clISt17integral_constantIbLb0EES19_IbLb1EEEEDaS15_S16_EUlS15_E_NS1_11comp_targetILNS1_3genE0ELNS1_11target_archE4294967295ELNS1_3gpuE0ELNS1_3repE0EEENS1_30default_config_static_selectorELNS0_4arch9wavefront6targetE1EEEvT1_,"axG",@progbits,_ZN7rocprim17ROCPRIM_400000_NS6detail17trampoline_kernelINS0_14default_configENS1_25partition_config_selectorILNS1_17partition_subalgoE9EllbEEZZNS1_14partition_implILS5_9ELb0ES3_jPlS8_PNS0_10empty_typeENS0_5tupleIJS8_S9_EEENSB_IJS8_SA_EEENS0_18inequality_wrapperIZN2at6native12_GLOBAL__N_124unique_dim_cuda_templateIsEESt5tupleIJNSF_6TensorESK_SK_EERKSK_lbbbEUlllE0_EEPmJS9_EEE10hipError_tPvRmT3_T4_T5_T6_T7_T9_mT8_P12ihipStream_tbDpT10_ENKUlT_T0_E_clISt17integral_constantIbLb0EES19_IbLb1EEEEDaS15_S16_EUlS15_E_NS1_11comp_targetILNS1_3genE0ELNS1_11target_archE4294967295ELNS1_3gpuE0ELNS1_3repE0EEENS1_30default_config_static_selectorELNS0_4arch9wavefront6targetE1EEEvT1_,comdat
	.globl	_ZN7rocprim17ROCPRIM_400000_NS6detail17trampoline_kernelINS0_14default_configENS1_25partition_config_selectorILNS1_17partition_subalgoE9EllbEEZZNS1_14partition_implILS5_9ELb0ES3_jPlS8_PNS0_10empty_typeENS0_5tupleIJS8_S9_EEENSB_IJS8_SA_EEENS0_18inequality_wrapperIZN2at6native12_GLOBAL__N_124unique_dim_cuda_templateIsEESt5tupleIJNSF_6TensorESK_SK_EERKSK_lbbbEUlllE0_EEPmJS9_EEE10hipError_tPvRmT3_T4_T5_T6_T7_T9_mT8_P12ihipStream_tbDpT10_ENKUlT_T0_E_clISt17integral_constantIbLb0EES19_IbLb1EEEEDaS15_S16_EUlS15_E_NS1_11comp_targetILNS1_3genE0ELNS1_11target_archE4294967295ELNS1_3gpuE0ELNS1_3repE0EEENS1_30default_config_static_selectorELNS0_4arch9wavefront6targetE1EEEvT1_ ; -- Begin function _ZN7rocprim17ROCPRIM_400000_NS6detail17trampoline_kernelINS0_14default_configENS1_25partition_config_selectorILNS1_17partition_subalgoE9EllbEEZZNS1_14partition_implILS5_9ELb0ES3_jPlS8_PNS0_10empty_typeENS0_5tupleIJS8_S9_EEENSB_IJS8_SA_EEENS0_18inequality_wrapperIZN2at6native12_GLOBAL__N_124unique_dim_cuda_templateIsEESt5tupleIJNSF_6TensorESK_SK_EERKSK_lbbbEUlllE0_EEPmJS9_EEE10hipError_tPvRmT3_T4_T5_T6_T7_T9_mT8_P12ihipStream_tbDpT10_ENKUlT_T0_E_clISt17integral_constantIbLb0EES19_IbLb1EEEEDaS15_S16_EUlS15_E_NS1_11comp_targetILNS1_3genE0ELNS1_11target_archE4294967295ELNS1_3gpuE0ELNS1_3repE0EEENS1_30default_config_static_selectorELNS0_4arch9wavefront6targetE1EEEvT1_
	.p2align	8
	.type	_ZN7rocprim17ROCPRIM_400000_NS6detail17trampoline_kernelINS0_14default_configENS1_25partition_config_selectorILNS1_17partition_subalgoE9EllbEEZZNS1_14partition_implILS5_9ELb0ES3_jPlS8_PNS0_10empty_typeENS0_5tupleIJS8_S9_EEENSB_IJS8_SA_EEENS0_18inequality_wrapperIZN2at6native12_GLOBAL__N_124unique_dim_cuda_templateIsEESt5tupleIJNSF_6TensorESK_SK_EERKSK_lbbbEUlllE0_EEPmJS9_EEE10hipError_tPvRmT3_T4_T5_T6_T7_T9_mT8_P12ihipStream_tbDpT10_ENKUlT_T0_E_clISt17integral_constantIbLb0EES19_IbLb1EEEEDaS15_S16_EUlS15_E_NS1_11comp_targetILNS1_3genE0ELNS1_11target_archE4294967295ELNS1_3gpuE0ELNS1_3repE0EEENS1_30default_config_static_selectorELNS0_4arch9wavefront6targetE1EEEvT1_,@function
_ZN7rocprim17ROCPRIM_400000_NS6detail17trampoline_kernelINS0_14default_configENS1_25partition_config_selectorILNS1_17partition_subalgoE9EllbEEZZNS1_14partition_implILS5_9ELb0ES3_jPlS8_PNS0_10empty_typeENS0_5tupleIJS8_S9_EEENSB_IJS8_SA_EEENS0_18inequality_wrapperIZN2at6native12_GLOBAL__N_124unique_dim_cuda_templateIsEESt5tupleIJNSF_6TensorESK_SK_EERKSK_lbbbEUlllE0_EEPmJS9_EEE10hipError_tPvRmT3_T4_T5_T6_T7_T9_mT8_P12ihipStream_tbDpT10_ENKUlT_T0_E_clISt17integral_constantIbLb0EES19_IbLb1EEEEDaS15_S16_EUlS15_E_NS1_11comp_targetILNS1_3genE0ELNS1_11target_archE4294967295ELNS1_3gpuE0ELNS1_3repE0EEENS1_30default_config_static_selectorELNS0_4arch9wavefront6targetE1EEEvT1_: ; @_ZN7rocprim17ROCPRIM_400000_NS6detail17trampoline_kernelINS0_14default_configENS1_25partition_config_selectorILNS1_17partition_subalgoE9EllbEEZZNS1_14partition_implILS5_9ELb0ES3_jPlS8_PNS0_10empty_typeENS0_5tupleIJS8_S9_EEENSB_IJS8_SA_EEENS0_18inequality_wrapperIZN2at6native12_GLOBAL__N_124unique_dim_cuda_templateIsEESt5tupleIJNSF_6TensorESK_SK_EERKSK_lbbbEUlllE0_EEPmJS9_EEE10hipError_tPvRmT3_T4_T5_T6_T7_T9_mT8_P12ihipStream_tbDpT10_ENKUlT_T0_E_clISt17integral_constantIbLb0EES19_IbLb1EEEEDaS15_S16_EUlS15_E_NS1_11comp_targetILNS1_3genE0ELNS1_11target_archE4294967295ELNS1_3gpuE0ELNS1_3repE0EEENS1_30default_config_static_selectorELNS0_4arch9wavefront6targetE1EEEvT1_
; %bb.0:
	.section	.rodata,"a",@progbits
	.p2align	6, 0x0
	.amdhsa_kernel _ZN7rocprim17ROCPRIM_400000_NS6detail17trampoline_kernelINS0_14default_configENS1_25partition_config_selectorILNS1_17partition_subalgoE9EllbEEZZNS1_14partition_implILS5_9ELb0ES3_jPlS8_PNS0_10empty_typeENS0_5tupleIJS8_S9_EEENSB_IJS8_SA_EEENS0_18inequality_wrapperIZN2at6native12_GLOBAL__N_124unique_dim_cuda_templateIsEESt5tupleIJNSF_6TensorESK_SK_EERKSK_lbbbEUlllE0_EEPmJS9_EEE10hipError_tPvRmT3_T4_T5_T6_T7_T9_mT8_P12ihipStream_tbDpT10_ENKUlT_T0_E_clISt17integral_constantIbLb0EES19_IbLb1EEEEDaS15_S16_EUlS15_E_NS1_11comp_targetILNS1_3genE0ELNS1_11target_archE4294967295ELNS1_3gpuE0ELNS1_3repE0EEENS1_30default_config_static_selectorELNS0_4arch9wavefront6targetE1EEEvT1_
		.amdhsa_group_segment_fixed_size 0
		.amdhsa_private_segment_fixed_size 0
		.amdhsa_kernarg_size 136
		.amdhsa_user_sgpr_count 6
		.amdhsa_user_sgpr_private_segment_buffer 1
		.amdhsa_user_sgpr_dispatch_ptr 0
		.amdhsa_user_sgpr_queue_ptr 0
		.amdhsa_user_sgpr_kernarg_segment_ptr 1
		.amdhsa_user_sgpr_dispatch_id 0
		.amdhsa_user_sgpr_flat_scratch_init 0
		.amdhsa_user_sgpr_kernarg_preload_length 0
		.amdhsa_user_sgpr_kernarg_preload_offset 0
		.amdhsa_user_sgpr_private_segment_size 0
		.amdhsa_uses_dynamic_stack 0
		.amdhsa_system_sgpr_private_segment_wavefront_offset 0
		.amdhsa_system_sgpr_workgroup_id_x 1
		.amdhsa_system_sgpr_workgroup_id_y 0
		.amdhsa_system_sgpr_workgroup_id_z 0
		.amdhsa_system_sgpr_workgroup_info 0
		.amdhsa_system_vgpr_workitem_id 0
		.amdhsa_next_free_vgpr 1
		.amdhsa_next_free_sgpr 0
		.amdhsa_accum_offset 4
		.amdhsa_reserve_vcc 0
		.amdhsa_reserve_flat_scratch 0
		.amdhsa_float_round_mode_32 0
		.amdhsa_float_round_mode_16_64 0
		.amdhsa_float_denorm_mode_32 3
		.amdhsa_float_denorm_mode_16_64 3
		.amdhsa_dx10_clamp 1
		.amdhsa_ieee_mode 1
		.amdhsa_fp16_overflow 0
		.amdhsa_tg_split 0
		.amdhsa_exception_fp_ieee_invalid_op 0
		.amdhsa_exception_fp_denorm_src 0
		.amdhsa_exception_fp_ieee_div_zero 0
		.amdhsa_exception_fp_ieee_overflow 0
		.amdhsa_exception_fp_ieee_underflow 0
		.amdhsa_exception_fp_ieee_inexact 0
		.amdhsa_exception_int_div_zero 0
	.end_amdhsa_kernel
	.section	.text._ZN7rocprim17ROCPRIM_400000_NS6detail17trampoline_kernelINS0_14default_configENS1_25partition_config_selectorILNS1_17partition_subalgoE9EllbEEZZNS1_14partition_implILS5_9ELb0ES3_jPlS8_PNS0_10empty_typeENS0_5tupleIJS8_S9_EEENSB_IJS8_SA_EEENS0_18inequality_wrapperIZN2at6native12_GLOBAL__N_124unique_dim_cuda_templateIsEESt5tupleIJNSF_6TensorESK_SK_EERKSK_lbbbEUlllE0_EEPmJS9_EEE10hipError_tPvRmT3_T4_T5_T6_T7_T9_mT8_P12ihipStream_tbDpT10_ENKUlT_T0_E_clISt17integral_constantIbLb0EES19_IbLb1EEEEDaS15_S16_EUlS15_E_NS1_11comp_targetILNS1_3genE0ELNS1_11target_archE4294967295ELNS1_3gpuE0ELNS1_3repE0EEENS1_30default_config_static_selectorELNS0_4arch9wavefront6targetE1EEEvT1_,"axG",@progbits,_ZN7rocprim17ROCPRIM_400000_NS6detail17trampoline_kernelINS0_14default_configENS1_25partition_config_selectorILNS1_17partition_subalgoE9EllbEEZZNS1_14partition_implILS5_9ELb0ES3_jPlS8_PNS0_10empty_typeENS0_5tupleIJS8_S9_EEENSB_IJS8_SA_EEENS0_18inequality_wrapperIZN2at6native12_GLOBAL__N_124unique_dim_cuda_templateIsEESt5tupleIJNSF_6TensorESK_SK_EERKSK_lbbbEUlllE0_EEPmJS9_EEE10hipError_tPvRmT3_T4_T5_T6_T7_T9_mT8_P12ihipStream_tbDpT10_ENKUlT_T0_E_clISt17integral_constantIbLb0EES19_IbLb1EEEEDaS15_S16_EUlS15_E_NS1_11comp_targetILNS1_3genE0ELNS1_11target_archE4294967295ELNS1_3gpuE0ELNS1_3repE0EEENS1_30default_config_static_selectorELNS0_4arch9wavefront6targetE1EEEvT1_,comdat
.Lfunc_end741:
	.size	_ZN7rocprim17ROCPRIM_400000_NS6detail17trampoline_kernelINS0_14default_configENS1_25partition_config_selectorILNS1_17partition_subalgoE9EllbEEZZNS1_14partition_implILS5_9ELb0ES3_jPlS8_PNS0_10empty_typeENS0_5tupleIJS8_S9_EEENSB_IJS8_SA_EEENS0_18inequality_wrapperIZN2at6native12_GLOBAL__N_124unique_dim_cuda_templateIsEESt5tupleIJNSF_6TensorESK_SK_EERKSK_lbbbEUlllE0_EEPmJS9_EEE10hipError_tPvRmT3_T4_T5_T6_T7_T9_mT8_P12ihipStream_tbDpT10_ENKUlT_T0_E_clISt17integral_constantIbLb0EES19_IbLb1EEEEDaS15_S16_EUlS15_E_NS1_11comp_targetILNS1_3genE0ELNS1_11target_archE4294967295ELNS1_3gpuE0ELNS1_3repE0EEENS1_30default_config_static_selectorELNS0_4arch9wavefront6targetE1EEEvT1_, .Lfunc_end741-_ZN7rocprim17ROCPRIM_400000_NS6detail17trampoline_kernelINS0_14default_configENS1_25partition_config_selectorILNS1_17partition_subalgoE9EllbEEZZNS1_14partition_implILS5_9ELb0ES3_jPlS8_PNS0_10empty_typeENS0_5tupleIJS8_S9_EEENSB_IJS8_SA_EEENS0_18inequality_wrapperIZN2at6native12_GLOBAL__N_124unique_dim_cuda_templateIsEESt5tupleIJNSF_6TensorESK_SK_EERKSK_lbbbEUlllE0_EEPmJS9_EEE10hipError_tPvRmT3_T4_T5_T6_T7_T9_mT8_P12ihipStream_tbDpT10_ENKUlT_T0_E_clISt17integral_constantIbLb0EES19_IbLb1EEEEDaS15_S16_EUlS15_E_NS1_11comp_targetILNS1_3genE0ELNS1_11target_archE4294967295ELNS1_3gpuE0ELNS1_3repE0EEENS1_30default_config_static_selectorELNS0_4arch9wavefront6targetE1EEEvT1_
                                        ; -- End function
	.section	.AMDGPU.csdata,"",@progbits
; Kernel info:
; codeLenInByte = 0
; NumSgprs: 4
; NumVgprs: 0
; NumAgprs: 0
; TotalNumVgprs: 0
; ScratchSize: 0
; MemoryBound: 0
; FloatMode: 240
; IeeeMode: 1
; LDSByteSize: 0 bytes/workgroup (compile time only)
; SGPRBlocks: 0
; VGPRBlocks: 0
; NumSGPRsForWavesPerEU: 4
; NumVGPRsForWavesPerEU: 1
; AccumOffset: 4
; Occupancy: 8
; WaveLimiterHint : 0
; COMPUTE_PGM_RSRC2:SCRATCH_EN: 0
; COMPUTE_PGM_RSRC2:USER_SGPR: 6
; COMPUTE_PGM_RSRC2:TRAP_HANDLER: 0
; COMPUTE_PGM_RSRC2:TGID_X_EN: 1
; COMPUTE_PGM_RSRC2:TGID_Y_EN: 0
; COMPUTE_PGM_RSRC2:TGID_Z_EN: 0
; COMPUTE_PGM_RSRC2:TIDIG_COMP_CNT: 0
; COMPUTE_PGM_RSRC3_GFX90A:ACCUM_OFFSET: 0
; COMPUTE_PGM_RSRC3_GFX90A:TG_SPLIT: 0
	.section	.text._ZN7rocprim17ROCPRIM_400000_NS6detail17trampoline_kernelINS0_14default_configENS1_25partition_config_selectorILNS1_17partition_subalgoE9EllbEEZZNS1_14partition_implILS5_9ELb0ES3_jPlS8_PNS0_10empty_typeENS0_5tupleIJS8_S9_EEENSB_IJS8_SA_EEENS0_18inequality_wrapperIZN2at6native12_GLOBAL__N_124unique_dim_cuda_templateIsEESt5tupleIJNSF_6TensorESK_SK_EERKSK_lbbbEUlllE0_EEPmJS9_EEE10hipError_tPvRmT3_T4_T5_T6_T7_T9_mT8_P12ihipStream_tbDpT10_ENKUlT_T0_E_clISt17integral_constantIbLb0EES19_IbLb1EEEEDaS15_S16_EUlS15_E_NS1_11comp_targetILNS1_3genE5ELNS1_11target_archE942ELNS1_3gpuE9ELNS1_3repE0EEENS1_30default_config_static_selectorELNS0_4arch9wavefront6targetE1EEEvT1_,"axG",@progbits,_ZN7rocprim17ROCPRIM_400000_NS6detail17trampoline_kernelINS0_14default_configENS1_25partition_config_selectorILNS1_17partition_subalgoE9EllbEEZZNS1_14partition_implILS5_9ELb0ES3_jPlS8_PNS0_10empty_typeENS0_5tupleIJS8_S9_EEENSB_IJS8_SA_EEENS0_18inequality_wrapperIZN2at6native12_GLOBAL__N_124unique_dim_cuda_templateIsEESt5tupleIJNSF_6TensorESK_SK_EERKSK_lbbbEUlllE0_EEPmJS9_EEE10hipError_tPvRmT3_T4_T5_T6_T7_T9_mT8_P12ihipStream_tbDpT10_ENKUlT_T0_E_clISt17integral_constantIbLb0EES19_IbLb1EEEEDaS15_S16_EUlS15_E_NS1_11comp_targetILNS1_3genE5ELNS1_11target_archE942ELNS1_3gpuE9ELNS1_3repE0EEENS1_30default_config_static_selectorELNS0_4arch9wavefront6targetE1EEEvT1_,comdat
	.globl	_ZN7rocprim17ROCPRIM_400000_NS6detail17trampoline_kernelINS0_14default_configENS1_25partition_config_selectorILNS1_17partition_subalgoE9EllbEEZZNS1_14partition_implILS5_9ELb0ES3_jPlS8_PNS0_10empty_typeENS0_5tupleIJS8_S9_EEENSB_IJS8_SA_EEENS0_18inequality_wrapperIZN2at6native12_GLOBAL__N_124unique_dim_cuda_templateIsEESt5tupleIJNSF_6TensorESK_SK_EERKSK_lbbbEUlllE0_EEPmJS9_EEE10hipError_tPvRmT3_T4_T5_T6_T7_T9_mT8_P12ihipStream_tbDpT10_ENKUlT_T0_E_clISt17integral_constantIbLb0EES19_IbLb1EEEEDaS15_S16_EUlS15_E_NS1_11comp_targetILNS1_3genE5ELNS1_11target_archE942ELNS1_3gpuE9ELNS1_3repE0EEENS1_30default_config_static_selectorELNS0_4arch9wavefront6targetE1EEEvT1_ ; -- Begin function _ZN7rocprim17ROCPRIM_400000_NS6detail17trampoline_kernelINS0_14default_configENS1_25partition_config_selectorILNS1_17partition_subalgoE9EllbEEZZNS1_14partition_implILS5_9ELb0ES3_jPlS8_PNS0_10empty_typeENS0_5tupleIJS8_S9_EEENSB_IJS8_SA_EEENS0_18inequality_wrapperIZN2at6native12_GLOBAL__N_124unique_dim_cuda_templateIsEESt5tupleIJNSF_6TensorESK_SK_EERKSK_lbbbEUlllE0_EEPmJS9_EEE10hipError_tPvRmT3_T4_T5_T6_T7_T9_mT8_P12ihipStream_tbDpT10_ENKUlT_T0_E_clISt17integral_constantIbLb0EES19_IbLb1EEEEDaS15_S16_EUlS15_E_NS1_11comp_targetILNS1_3genE5ELNS1_11target_archE942ELNS1_3gpuE9ELNS1_3repE0EEENS1_30default_config_static_selectorELNS0_4arch9wavefront6targetE1EEEvT1_
	.p2align	8
	.type	_ZN7rocprim17ROCPRIM_400000_NS6detail17trampoline_kernelINS0_14default_configENS1_25partition_config_selectorILNS1_17partition_subalgoE9EllbEEZZNS1_14partition_implILS5_9ELb0ES3_jPlS8_PNS0_10empty_typeENS0_5tupleIJS8_S9_EEENSB_IJS8_SA_EEENS0_18inequality_wrapperIZN2at6native12_GLOBAL__N_124unique_dim_cuda_templateIsEESt5tupleIJNSF_6TensorESK_SK_EERKSK_lbbbEUlllE0_EEPmJS9_EEE10hipError_tPvRmT3_T4_T5_T6_T7_T9_mT8_P12ihipStream_tbDpT10_ENKUlT_T0_E_clISt17integral_constantIbLb0EES19_IbLb1EEEEDaS15_S16_EUlS15_E_NS1_11comp_targetILNS1_3genE5ELNS1_11target_archE942ELNS1_3gpuE9ELNS1_3repE0EEENS1_30default_config_static_selectorELNS0_4arch9wavefront6targetE1EEEvT1_,@function
_ZN7rocprim17ROCPRIM_400000_NS6detail17trampoline_kernelINS0_14default_configENS1_25partition_config_selectorILNS1_17partition_subalgoE9EllbEEZZNS1_14partition_implILS5_9ELb0ES3_jPlS8_PNS0_10empty_typeENS0_5tupleIJS8_S9_EEENSB_IJS8_SA_EEENS0_18inequality_wrapperIZN2at6native12_GLOBAL__N_124unique_dim_cuda_templateIsEESt5tupleIJNSF_6TensorESK_SK_EERKSK_lbbbEUlllE0_EEPmJS9_EEE10hipError_tPvRmT3_T4_T5_T6_T7_T9_mT8_P12ihipStream_tbDpT10_ENKUlT_T0_E_clISt17integral_constantIbLb0EES19_IbLb1EEEEDaS15_S16_EUlS15_E_NS1_11comp_targetILNS1_3genE5ELNS1_11target_archE942ELNS1_3gpuE9ELNS1_3repE0EEENS1_30default_config_static_selectorELNS0_4arch9wavefront6targetE1EEEvT1_: ; @_ZN7rocprim17ROCPRIM_400000_NS6detail17trampoline_kernelINS0_14default_configENS1_25partition_config_selectorILNS1_17partition_subalgoE9EllbEEZZNS1_14partition_implILS5_9ELb0ES3_jPlS8_PNS0_10empty_typeENS0_5tupleIJS8_S9_EEENSB_IJS8_SA_EEENS0_18inequality_wrapperIZN2at6native12_GLOBAL__N_124unique_dim_cuda_templateIsEESt5tupleIJNSF_6TensorESK_SK_EERKSK_lbbbEUlllE0_EEPmJS9_EEE10hipError_tPvRmT3_T4_T5_T6_T7_T9_mT8_P12ihipStream_tbDpT10_ENKUlT_T0_E_clISt17integral_constantIbLb0EES19_IbLb1EEEEDaS15_S16_EUlS15_E_NS1_11comp_targetILNS1_3genE5ELNS1_11target_archE942ELNS1_3gpuE9ELNS1_3repE0EEENS1_30default_config_static_selectorELNS0_4arch9wavefront6targetE1EEEvT1_
; %bb.0:
	.section	.rodata,"a",@progbits
	.p2align	6, 0x0
	.amdhsa_kernel _ZN7rocprim17ROCPRIM_400000_NS6detail17trampoline_kernelINS0_14default_configENS1_25partition_config_selectorILNS1_17partition_subalgoE9EllbEEZZNS1_14partition_implILS5_9ELb0ES3_jPlS8_PNS0_10empty_typeENS0_5tupleIJS8_S9_EEENSB_IJS8_SA_EEENS0_18inequality_wrapperIZN2at6native12_GLOBAL__N_124unique_dim_cuda_templateIsEESt5tupleIJNSF_6TensorESK_SK_EERKSK_lbbbEUlllE0_EEPmJS9_EEE10hipError_tPvRmT3_T4_T5_T6_T7_T9_mT8_P12ihipStream_tbDpT10_ENKUlT_T0_E_clISt17integral_constantIbLb0EES19_IbLb1EEEEDaS15_S16_EUlS15_E_NS1_11comp_targetILNS1_3genE5ELNS1_11target_archE942ELNS1_3gpuE9ELNS1_3repE0EEENS1_30default_config_static_selectorELNS0_4arch9wavefront6targetE1EEEvT1_
		.amdhsa_group_segment_fixed_size 0
		.amdhsa_private_segment_fixed_size 0
		.amdhsa_kernarg_size 136
		.amdhsa_user_sgpr_count 6
		.amdhsa_user_sgpr_private_segment_buffer 1
		.amdhsa_user_sgpr_dispatch_ptr 0
		.amdhsa_user_sgpr_queue_ptr 0
		.amdhsa_user_sgpr_kernarg_segment_ptr 1
		.amdhsa_user_sgpr_dispatch_id 0
		.amdhsa_user_sgpr_flat_scratch_init 0
		.amdhsa_user_sgpr_kernarg_preload_length 0
		.amdhsa_user_sgpr_kernarg_preload_offset 0
		.amdhsa_user_sgpr_private_segment_size 0
		.amdhsa_uses_dynamic_stack 0
		.amdhsa_system_sgpr_private_segment_wavefront_offset 0
		.amdhsa_system_sgpr_workgroup_id_x 1
		.amdhsa_system_sgpr_workgroup_id_y 0
		.amdhsa_system_sgpr_workgroup_id_z 0
		.amdhsa_system_sgpr_workgroup_info 0
		.amdhsa_system_vgpr_workitem_id 0
		.amdhsa_next_free_vgpr 1
		.amdhsa_next_free_sgpr 0
		.amdhsa_accum_offset 4
		.amdhsa_reserve_vcc 0
		.amdhsa_reserve_flat_scratch 0
		.amdhsa_float_round_mode_32 0
		.amdhsa_float_round_mode_16_64 0
		.amdhsa_float_denorm_mode_32 3
		.amdhsa_float_denorm_mode_16_64 3
		.amdhsa_dx10_clamp 1
		.amdhsa_ieee_mode 1
		.amdhsa_fp16_overflow 0
		.amdhsa_tg_split 0
		.amdhsa_exception_fp_ieee_invalid_op 0
		.amdhsa_exception_fp_denorm_src 0
		.amdhsa_exception_fp_ieee_div_zero 0
		.amdhsa_exception_fp_ieee_overflow 0
		.amdhsa_exception_fp_ieee_underflow 0
		.amdhsa_exception_fp_ieee_inexact 0
		.amdhsa_exception_int_div_zero 0
	.end_amdhsa_kernel
	.section	.text._ZN7rocprim17ROCPRIM_400000_NS6detail17trampoline_kernelINS0_14default_configENS1_25partition_config_selectorILNS1_17partition_subalgoE9EllbEEZZNS1_14partition_implILS5_9ELb0ES3_jPlS8_PNS0_10empty_typeENS0_5tupleIJS8_S9_EEENSB_IJS8_SA_EEENS0_18inequality_wrapperIZN2at6native12_GLOBAL__N_124unique_dim_cuda_templateIsEESt5tupleIJNSF_6TensorESK_SK_EERKSK_lbbbEUlllE0_EEPmJS9_EEE10hipError_tPvRmT3_T4_T5_T6_T7_T9_mT8_P12ihipStream_tbDpT10_ENKUlT_T0_E_clISt17integral_constantIbLb0EES19_IbLb1EEEEDaS15_S16_EUlS15_E_NS1_11comp_targetILNS1_3genE5ELNS1_11target_archE942ELNS1_3gpuE9ELNS1_3repE0EEENS1_30default_config_static_selectorELNS0_4arch9wavefront6targetE1EEEvT1_,"axG",@progbits,_ZN7rocprim17ROCPRIM_400000_NS6detail17trampoline_kernelINS0_14default_configENS1_25partition_config_selectorILNS1_17partition_subalgoE9EllbEEZZNS1_14partition_implILS5_9ELb0ES3_jPlS8_PNS0_10empty_typeENS0_5tupleIJS8_S9_EEENSB_IJS8_SA_EEENS0_18inequality_wrapperIZN2at6native12_GLOBAL__N_124unique_dim_cuda_templateIsEESt5tupleIJNSF_6TensorESK_SK_EERKSK_lbbbEUlllE0_EEPmJS9_EEE10hipError_tPvRmT3_T4_T5_T6_T7_T9_mT8_P12ihipStream_tbDpT10_ENKUlT_T0_E_clISt17integral_constantIbLb0EES19_IbLb1EEEEDaS15_S16_EUlS15_E_NS1_11comp_targetILNS1_3genE5ELNS1_11target_archE942ELNS1_3gpuE9ELNS1_3repE0EEENS1_30default_config_static_selectorELNS0_4arch9wavefront6targetE1EEEvT1_,comdat
.Lfunc_end742:
	.size	_ZN7rocprim17ROCPRIM_400000_NS6detail17trampoline_kernelINS0_14default_configENS1_25partition_config_selectorILNS1_17partition_subalgoE9EllbEEZZNS1_14partition_implILS5_9ELb0ES3_jPlS8_PNS0_10empty_typeENS0_5tupleIJS8_S9_EEENSB_IJS8_SA_EEENS0_18inequality_wrapperIZN2at6native12_GLOBAL__N_124unique_dim_cuda_templateIsEESt5tupleIJNSF_6TensorESK_SK_EERKSK_lbbbEUlllE0_EEPmJS9_EEE10hipError_tPvRmT3_T4_T5_T6_T7_T9_mT8_P12ihipStream_tbDpT10_ENKUlT_T0_E_clISt17integral_constantIbLb0EES19_IbLb1EEEEDaS15_S16_EUlS15_E_NS1_11comp_targetILNS1_3genE5ELNS1_11target_archE942ELNS1_3gpuE9ELNS1_3repE0EEENS1_30default_config_static_selectorELNS0_4arch9wavefront6targetE1EEEvT1_, .Lfunc_end742-_ZN7rocprim17ROCPRIM_400000_NS6detail17trampoline_kernelINS0_14default_configENS1_25partition_config_selectorILNS1_17partition_subalgoE9EllbEEZZNS1_14partition_implILS5_9ELb0ES3_jPlS8_PNS0_10empty_typeENS0_5tupleIJS8_S9_EEENSB_IJS8_SA_EEENS0_18inequality_wrapperIZN2at6native12_GLOBAL__N_124unique_dim_cuda_templateIsEESt5tupleIJNSF_6TensorESK_SK_EERKSK_lbbbEUlllE0_EEPmJS9_EEE10hipError_tPvRmT3_T4_T5_T6_T7_T9_mT8_P12ihipStream_tbDpT10_ENKUlT_T0_E_clISt17integral_constantIbLb0EES19_IbLb1EEEEDaS15_S16_EUlS15_E_NS1_11comp_targetILNS1_3genE5ELNS1_11target_archE942ELNS1_3gpuE9ELNS1_3repE0EEENS1_30default_config_static_selectorELNS0_4arch9wavefront6targetE1EEEvT1_
                                        ; -- End function
	.section	.AMDGPU.csdata,"",@progbits
; Kernel info:
; codeLenInByte = 0
; NumSgprs: 4
; NumVgprs: 0
; NumAgprs: 0
; TotalNumVgprs: 0
; ScratchSize: 0
; MemoryBound: 0
; FloatMode: 240
; IeeeMode: 1
; LDSByteSize: 0 bytes/workgroup (compile time only)
; SGPRBlocks: 0
; VGPRBlocks: 0
; NumSGPRsForWavesPerEU: 4
; NumVGPRsForWavesPerEU: 1
; AccumOffset: 4
; Occupancy: 8
; WaveLimiterHint : 0
; COMPUTE_PGM_RSRC2:SCRATCH_EN: 0
; COMPUTE_PGM_RSRC2:USER_SGPR: 6
; COMPUTE_PGM_RSRC2:TRAP_HANDLER: 0
; COMPUTE_PGM_RSRC2:TGID_X_EN: 1
; COMPUTE_PGM_RSRC2:TGID_Y_EN: 0
; COMPUTE_PGM_RSRC2:TGID_Z_EN: 0
; COMPUTE_PGM_RSRC2:TIDIG_COMP_CNT: 0
; COMPUTE_PGM_RSRC3_GFX90A:ACCUM_OFFSET: 0
; COMPUTE_PGM_RSRC3_GFX90A:TG_SPLIT: 0
	.section	.text._ZN7rocprim17ROCPRIM_400000_NS6detail17trampoline_kernelINS0_14default_configENS1_25partition_config_selectorILNS1_17partition_subalgoE9EllbEEZZNS1_14partition_implILS5_9ELb0ES3_jPlS8_PNS0_10empty_typeENS0_5tupleIJS8_S9_EEENSB_IJS8_SA_EEENS0_18inequality_wrapperIZN2at6native12_GLOBAL__N_124unique_dim_cuda_templateIsEESt5tupleIJNSF_6TensorESK_SK_EERKSK_lbbbEUlllE0_EEPmJS9_EEE10hipError_tPvRmT3_T4_T5_T6_T7_T9_mT8_P12ihipStream_tbDpT10_ENKUlT_T0_E_clISt17integral_constantIbLb0EES19_IbLb1EEEEDaS15_S16_EUlS15_E_NS1_11comp_targetILNS1_3genE4ELNS1_11target_archE910ELNS1_3gpuE8ELNS1_3repE0EEENS1_30default_config_static_selectorELNS0_4arch9wavefront6targetE1EEEvT1_,"axG",@progbits,_ZN7rocprim17ROCPRIM_400000_NS6detail17trampoline_kernelINS0_14default_configENS1_25partition_config_selectorILNS1_17partition_subalgoE9EllbEEZZNS1_14partition_implILS5_9ELb0ES3_jPlS8_PNS0_10empty_typeENS0_5tupleIJS8_S9_EEENSB_IJS8_SA_EEENS0_18inequality_wrapperIZN2at6native12_GLOBAL__N_124unique_dim_cuda_templateIsEESt5tupleIJNSF_6TensorESK_SK_EERKSK_lbbbEUlllE0_EEPmJS9_EEE10hipError_tPvRmT3_T4_T5_T6_T7_T9_mT8_P12ihipStream_tbDpT10_ENKUlT_T0_E_clISt17integral_constantIbLb0EES19_IbLb1EEEEDaS15_S16_EUlS15_E_NS1_11comp_targetILNS1_3genE4ELNS1_11target_archE910ELNS1_3gpuE8ELNS1_3repE0EEENS1_30default_config_static_selectorELNS0_4arch9wavefront6targetE1EEEvT1_,comdat
	.globl	_ZN7rocprim17ROCPRIM_400000_NS6detail17trampoline_kernelINS0_14default_configENS1_25partition_config_selectorILNS1_17partition_subalgoE9EllbEEZZNS1_14partition_implILS5_9ELb0ES3_jPlS8_PNS0_10empty_typeENS0_5tupleIJS8_S9_EEENSB_IJS8_SA_EEENS0_18inequality_wrapperIZN2at6native12_GLOBAL__N_124unique_dim_cuda_templateIsEESt5tupleIJNSF_6TensorESK_SK_EERKSK_lbbbEUlllE0_EEPmJS9_EEE10hipError_tPvRmT3_T4_T5_T6_T7_T9_mT8_P12ihipStream_tbDpT10_ENKUlT_T0_E_clISt17integral_constantIbLb0EES19_IbLb1EEEEDaS15_S16_EUlS15_E_NS1_11comp_targetILNS1_3genE4ELNS1_11target_archE910ELNS1_3gpuE8ELNS1_3repE0EEENS1_30default_config_static_selectorELNS0_4arch9wavefront6targetE1EEEvT1_ ; -- Begin function _ZN7rocprim17ROCPRIM_400000_NS6detail17trampoline_kernelINS0_14default_configENS1_25partition_config_selectorILNS1_17partition_subalgoE9EllbEEZZNS1_14partition_implILS5_9ELb0ES3_jPlS8_PNS0_10empty_typeENS0_5tupleIJS8_S9_EEENSB_IJS8_SA_EEENS0_18inequality_wrapperIZN2at6native12_GLOBAL__N_124unique_dim_cuda_templateIsEESt5tupleIJNSF_6TensorESK_SK_EERKSK_lbbbEUlllE0_EEPmJS9_EEE10hipError_tPvRmT3_T4_T5_T6_T7_T9_mT8_P12ihipStream_tbDpT10_ENKUlT_T0_E_clISt17integral_constantIbLb0EES19_IbLb1EEEEDaS15_S16_EUlS15_E_NS1_11comp_targetILNS1_3genE4ELNS1_11target_archE910ELNS1_3gpuE8ELNS1_3repE0EEENS1_30default_config_static_selectorELNS0_4arch9wavefront6targetE1EEEvT1_
	.p2align	8
	.type	_ZN7rocprim17ROCPRIM_400000_NS6detail17trampoline_kernelINS0_14default_configENS1_25partition_config_selectorILNS1_17partition_subalgoE9EllbEEZZNS1_14partition_implILS5_9ELb0ES3_jPlS8_PNS0_10empty_typeENS0_5tupleIJS8_S9_EEENSB_IJS8_SA_EEENS0_18inequality_wrapperIZN2at6native12_GLOBAL__N_124unique_dim_cuda_templateIsEESt5tupleIJNSF_6TensorESK_SK_EERKSK_lbbbEUlllE0_EEPmJS9_EEE10hipError_tPvRmT3_T4_T5_T6_T7_T9_mT8_P12ihipStream_tbDpT10_ENKUlT_T0_E_clISt17integral_constantIbLb0EES19_IbLb1EEEEDaS15_S16_EUlS15_E_NS1_11comp_targetILNS1_3genE4ELNS1_11target_archE910ELNS1_3gpuE8ELNS1_3repE0EEENS1_30default_config_static_selectorELNS0_4arch9wavefront6targetE1EEEvT1_,@function
_ZN7rocprim17ROCPRIM_400000_NS6detail17trampoline_kernelINS0_14default_configENS1_25partition_config_selectorILNS1_17partition_subalgoE9EllbEEZZNS1_14partition_implILS5_9ELb0ES3_jPlS8_PNS0_10empty_typeENS0_5tupleIJS8_S9_EEENSB_IJS8_SA_EEENS0_18inequality_wrapperIZN2at6native12_GLOBAL__N_124unique_dim_cuda_templateIsEESt5tupleIJNSF_6TensorESK_SK_EERKSK_lbbbEUlllE0_EEPmJS9_EEE10hipError_tPvRmT3_T4_T5_T6_T7_T9_mT8_P12ihipStream_tbDpT10_ENKUlT_T0_E_clISt17integral_constantIbLb0EES19_IbLb1EEEEDaS15_S16_EUlS15_E_NS1_11comp_targetILNS1_3genE4ELNS1_11target_archE910ELNS1_3gpuE8ELNS1_3repE0EEENS1_30default_config_static_selectorELNS0_4arch9wavefront6targetE1EEEvT1_: ; @_ZN7rocprim17ROCPRIM_400000_NS6detail17trampoline_kernelINS0_14default_configENS1_25partition_config_selectorILNS1_17partition_subalgoE9EllbEEZZNS1_14partition_implILS5_9ELb0ES3_jPlS8_PNS0_10empty_typeENS0_5tupleIJS8_S9_EEENSB_IJS8_SA_EEENS0_18inequality_wrapperIZN2at6native12_GLOBAL__N_124unique_dim_cuda_templateIsEESt5tupleIJNSF_6TensorESK_SK_EERKSK_lbbbEUlllE0_EEPmJS9_EEE10hipError_tPvRmT3_T4_T5_T6_T7_T9_mT8_P12ihipStream_tbDpT10_ENKUlT_T0_E_clISt17integral_constantIbLb0EES19_IbLb1EEEEDaS15_S16_EUlS15_E_NS1_11comp_targetILNS1_3genE4ELNS1_11target_archE910ELNS1_3gpuE8ELNS1_3repE0EEENS1_30default_config_static_selectorELNS0_4arch9wavefront6targetE1EEEvT1_
; %bb.0:
	s_load_dwordx4 s[8:11], s[4:5], 0x8
	s_load_dwordx2 s[14:15], s[4:5], 0x18
	s_load_dwordx8 s[20:27], s[4:5], 0x40
	s_load_dwordx4 s[16:19], s[4:5], 0x60
	v_cmp_ne_u32_e64 s[2:3], 0, v0
	v_cmp_eq_u32_e64 s[0:1], 0, v0
	s_and_saveexec_b64 s[6:7], s[0:1]
	s_cbranch_execz .LBB743_4
; %bb.1:
	s_mov_b64 s[28:29], exec
	v_mbcnt_lo_u32_b32 v1, s28, 0
	v_mbcnt_hi_u32_b32 v1, s29, v1
	v_cmp_eq_u32_e32 vcc, 0, v1
                                        ; implicit-def: $vgpr2
	s_and_saveexec_b64 s[12:13], vcc
	s_cbranch_execz .LBB743_3
; %bb.2:
	s_load_dwordx2 s[30:31], s[4:5], 0x78
	s_bcnt1_i32_b64 s28, s[28:29]
	v_mov_b32_e32 v2, 0
	v_mov_b32_e32 v3, s28
	s_waitcnt lgkmcnt(0)
	global_atomic_add v2, v2, v3, s[30:31] glc
.LBB743_3:
	s_or_b64 exec, exec, s[12:13]
	s_waitcnt vmcnt(0)
	v_readfirstlane_b32 s12, v2
	v_add_u32_e32 v1, s12, v1
	v_mov_b32_e32 v2, 0
	ds_write_b32 v2, v1
.LBB743_4:
	s_or_b64 exec, exec, s[6:7]
	v_mov_b32_e32 v1, 0
	s_load_dwordx4 s[28:31], s[4:5], 0x28
	s_load_dword s6, s[4:5], 0x70
	s_waitcnt lgkmcnt(0)
	s_barrier
	ds_read_b32 v6, v1
	s_waitcnt lgkmcnt(0)
	s_barrier
	global_load_dwordx2 v[2:3], v1, s[22:23]
	s_lshl_b64 s[36:37], s[10:11], 3
	s_add_u32 s22, s8, s36
	s_addc_u32 s23, s9, s37
	s_add_i32 s12, s6, -1
	s_lshl_b32 s8, s6, 9
	s_lshl_b32 s6, s12, 9
	s_add_i32 s6, s10, s6
	v_readfirstlane_b32 s33, v6
	s_sub_i32 s48, s24, s6
	s_lshl_b32 s6, s33, 9
	s_add_u32 s8, s10, s8
	s_addc_u32 s9, s11, 0
	v_mov_b32_e32 v4, s24
	v_mov_b32_e32 v5, s25
	s_cmp_eq_u32 s33, s12
	v_cmp_ge_u64_e32 vcc, s[8:9], v[4:5]
	s_cselect_b64 s[24:25], -1, 0
	s_mov_b32 s7, 0
	s_and_b64 s[12:13], vcc, s[24:25]
	s_lshl_b64 s[8:9], s[6:7], 3
	s_xor_b64 s[34:35], s[12:13], -1
	s_add_u32 s6, s22, s8
	s_mov_b64 s[4:5], -1
	v_lshrrev_b32_e32 v18, 2, v0
	s_addc_u32 s7, s23, s9
	s_and_b64 vcc, exec, s[34:35]
	s_waitcnt vmcnt(0)
	v_readfirstlane_b32 s22, v2
	v_readfirstlane_b32 s23, v3
	s_cbranch_vccz .LBB743_6
; %bb.5:
	v_lshlrev_b32_e32 v1, 3, v0
	global_load_dwordx2 v[2:3], v1, s[6:7]
	global_load_dwordx2 v[4:5], v1, s[6:7] offset:1024
	global_load_dwordx2 v[6:7], v1, s[6:7] offset:2048
	;; [unrolled: 1-line block ×3, first 2 shown]
	v_or_b32_e32 v11, 0x80, v0
	v_or_b32_e32 v12, 0x100, v0
	;; [unrolled: 1-line block ×3, first 2 shown]
	v_and_b32_e32 v10, 24, v18
	v_lshrrev_b32_e32 v11, 2, v11
	v_lshrrev_b32_e32 v12, 2, v12
	;; [unrolled: 1-line block ×3, first 2 shown]
	v_add_u32_e32 v10, v10, v1
	v_and_b32_e32 v11, 56, v11
	v_and_b32_e32 v12, 0x58, v12
	;; [unrolled: 1-line block ×3, first 2 shown]
	v_add_u32_e32 v11, v11, v1
	v_add_u32_e32 v12, v12, v1
	;; [unrolled: 1-line block ×3, first 2 shown]
	s_mov_b64 s[4:5], 0
	s_waitcnt vmcnt(3)
	ds_write_b64 v10, v[2:3]
	s_waitcnt vmcnt(2)
	ds_write_b64 v11, v[4:5] offset:1024
	s_waitcnt vmcnt(1)
	ds_write_b64 v12, v[6:7] offset:2048
	;; [unrolled: 2-line block ×3, first 2 shown]
	s_waitcnt lgkmcnt(0)
	s_barrier
.LBB743_6:
	s_andn2_b64 vcc, exec, s[4:5]
	v_cmp_gt_u32_e64 s[4:5], s48, v0
	s_cbranch_vccnz .LBB743_16
; %bb.7:
                                        ; implicit-def: $vgpr2_vgpr3_vgpr4_vgpr5_vgpr6_vgpr7_vgpr8_vgpr9
	s_and_saveexec_b64 s[38:39], s[4:5]
	s_cbranch_execz .LBB743_9
; %bb.8:
	v_lshlrev_b32_e32 v1, 3, v0
	global_load_dwordx2 v[2:3], v1, s[6:7]
.LBB743_9:
	s_or_b64 exec, exec, s[38:39]
	v_or_b32_e32 v1, 0x80, v0
	v_cmp_gt_u32_e32 vcc, s48, v1
	s_and_saveexec_b64 s[4:5], vcc
	s_cbranch_execz .LBB743_11
; %bb.10:
	v_lshlrev_b32_e32 v4, 3, v0
	global_load_dwordx2 v[4:5], v4, s[6:7] offset:1024
.LBB743_11:
	s_or_b64 exec, exec, s[4:5]
	v_or_b32_e32 v10, 0x100, v0
	v_cmp_gt_u32_e32 vcc, s48, v10
	s_and_saveexec_b64 s[4:5], vcc
	s_cbranch_execz .LBB743_13
; %bb.12:
	v_lshlrev_b32_e32 v6, 3, v0
	global_load_dwordx2 v[6:7], v6, s[6:7] offset:2048
.LBB743_13:
	;; [unrolled: 9-line block ×3, first 2 shown]
	s_or_b64 exec, exec, s[4:5]
	v_lshrrev_b32_e32 v1, 2, v1
	v_lshlrev_b32_e32 v13, 3, v0
	v_and_b32_e32 v1, 56, v1
	v_add_u32_e32 v1, v1, v13
	s_waitcnt vmcnt(0)
	ds_write_b64 v1, v[4:5] offset:1024
	v_lshrrev_b32_e32 v1, 2, v10
	v_and_b32_e32 v1, 0x78, v1
	v_add_u32_e32 v1, v1, v13
	ds_write_b64 v1, v[6:7] offset:2048
	v_lshrrev_b32_e32 v1, 2, v11
	v_and_b32_e32 v12, 24, v18
	v_and_b32_e32 v1, 0x78, v1
	v_add_u32_e32 v12, v12, v13
	v_add_u32_e32 v1, v1, v13
	ds_write_b64 v12, v[2:3]
	ds_write_b64 v1, v[8:9] offset:3072
	s_waitcnt lgkmcnt(0)
	s_barrier
.LBB743_16:
	v_lshlrev_b32_e32 v1, 2, v0
	v_lshrrev_b32_e32 v2, 3, v0
	v_add_lshl_u32 v19, v2, v1, 3
	ds_read2_b64 v[14:17], v19 offset1:1
	ds_read2_b64 v[10:13], v19 offset0:2 offset1:3
	s_add_u32 s4, s14, s36
	s_addc_u32 s5, s15, s37
	s_add_u32 s4, s4, s8
	s_addc_u32 s5, s5, s9
	s_mov_b64 s[8:9], -1
	s_and_b64 vcc, exec, s[34:35]
	s_waitcnt lgkmcnt(0)
	s_barrier
	s_cbranch_vccz .LBB743_18
; %bb.17:
	v_lshlrev_b32_e32 v20, 3, v0
	global_load_dwordx2 v[2:3], v20, s[4:5]
	global_load_dwordx2 v[4:5], v20, s[4:5] offset:1024
	global_load_dwordx2 v[6:7], v20, s[4:5] offset:2048
	;; [unrolled: 1-line block ×3, first 2 shown]
	v_or_b32_e32 v22, 0x80, v0
	v_or_b32_e32 v23, 0x100, v0
	;; [unrolled: 1-line block ×3, first 2 shown]
	v_and_b32_e32 v21, 24, v18
	v_lshrrev_b32_e32 v22, 2, v22
	v_lshrrev_b32_e32 v23, 2, v23
	;; [unrolled: 1-line block ×3, first 2 shown]
	v_add_u32_e32 v21, v21, v20
	v_and_b32_e32 v22, 56, v22
	v_and_b32_e32 v23, 0x58, v23
	;; [unrolled: 1-line block ×3, first 2 shown]
	v_add_u32_e32 v22, v22, v20
	v_add_u32_e32 v23, v23, v20
	;; [unrolled: 1-line block ×3, first 2 shown]
	s_mov_b64 s[8:9], 0
	s_waitcnt vmcnt(3)
	ds_write_b64 v21, v[2:3]
	s_waitcnt vmcnt(2)
	ds_write_b64 v22, v[4:5] offset:1024
	s_waitcnt vmcnt(1)
	ds_write_b64 v23, v[6:7] offset:2048
	s_waitcnt vmcnt(0)
	ds_write_b64 v20, v[8:9] offset:3072
	s_waitcnt lgkmcnt(0)
	s_barrier
.LBB743_18:
	s_andn2_b64 vcc, exec, s[8:9]
	s_cbranch_vccnz .LBB743_28
; %bb.19:
	v_cmp_gt_u32_e32 vcc, s48, v0
                                        ; implicit-def: $vgpr2_vgpr3
	s_and_saveexec_b64 s[8:9], vcc
	s_cbranch_execz .LBB743_21
; %bb.20:
	v_lshlrev_b32_e32 v2, 3, v0
	global_load_dwordx2 v[2:3], v2, s[4:5]
.LBB743_21:
	s_or_b64 exec, exec, s[8:9]
	v_or_b32_e32 v20, 0x80, v0
	v_cmp_gt_u32_e32 vcc, s48, v20
                                        ; implicit-def: $vgpr4_vgpr5
	s_and_saveexec_b64 s[8:9], vcc
	s_cbranch_execz .LBB743_23
; %bb.22:
	v_lshlrev_b32_e32 v4, 3, v0
	global_load_dwordx2 v[4:5], v4, s[4:5] offset:1024
.LBB743_23:
	s_or_b64 exec, exec, s[8:9]
	v_or_b32_e32 v21, 0x100, v0
	v_cmp_gt_u32_e32 vcc, s48, v21
                                        ; implicit-def: $vgpr6_vgpr7
	s_and_saveexec_b64 s[8:9], vcc
	s_cbranch_execz .LBB743_25
; %bb.24:
	v_lshlrev_b32_e32 v6, 3, v0
	global_load_dwordx2 v[6:7], v6, s[4:5] offset:2048
.LBB743_25:
	s_or_b64 exec, exec, s[8:9]
	v_or_b32_e32 v22, 0x180, v0
	v_cmp_gt_u32_e32 vcc, s48, v22
                                        ; implicit-def: $vgpr8_vgpr9
	s_and_saveexec_b64 s[8:9], vcc
	s_cbranch_execz .LBB743_27
; %bb.26:
	v_lshlrev_b32_e32 v8, 3, v0
	global_load_dwordx2 v[8:9], v8, s[4:5] offset:3072
.LBB743_27:
	s_or_b64 exec, exec, s[8:9]
	v_and_b32_e32 v18, 24, v18
	v_lshlrev_b32_e32 v23, 3, v0
	v_add_u32_e32 v18, v18, v23
	s_waitcnt vmcnt(0)
	ds_write_b64 v18, v[2:3]
	v_lshrrev_b32_e32 v2, 2, v20
	v_and_b32_e32 v2, 56, v2
	v_add_u32_e32 v2, v2, v23
	ds_write_b64 v2, v[4:5] offset:1024
	v_lshrrev_b32_e32 v2, 2, v21
	v_and_b32_e32 v2, 0x78, v2
	v_add_u32_e32 v2, v2, v23
	ds_write_b64 v2, v[6:7] offset:2048
	;; [unrolled: 4-line block ×3, first 2 shown]
	s_waitcnt lgkmcnt(0)
	s_barrier
.LBB743_28:
	ds_read2_b64 v[6:9], v19 offset1:1
	ds_read2_b64 v[2:5], v19 offset0:2 offset1:3
	s_cmp_lg_u32 s33, 0
	s_cselect_b64 s[36:37], -1, 0
	s_cmp_lg_u64 s[10:11], 0
	s_cselect_b64 s[4:5], -1, 0
	s_or_b64 s[4:5], s[4:5], s[36:37]
	s_mov_b64 s[14:15], 0
	s_and_b64 vcc, exec, s[4:5]
	v_cmp_gt_i64_e64 s[4:5], s[26:27], 0
	s_waitcnt lgkmcnt(0)
	s_barrier
	s_cbranch_vccz .LBB743_37
; %bb.29:
	v_mov_b32_e32 v18, 0
	global_load_dwordx2 v[18:19], v18, s[6:7] offset:-8
	v_cndmask_b32_e64 v20, 0, 1, s[4:5]
	v_lshlrev_b32_e32 v29, 3, v0
	s_mov_b64 s[10:11], 0
	s_and_b64 vcc, exec, s[34:35]
	v_cmp_ne_u32_e64 s[4:5], 1, v20
	ds_write_b64 v29, v[12:13]
	s_cbranch_vccz .LBB743_38
; %bb.30:
	v_mul_lo_u32 v22, v11, s26
	v_mul_lo_u32 v23, v10, s27
	v_mad_u64_u32 v[20:21], s[6:7], v10, s26, 0
	v_add3_u32 v21, v21, v23, v22
	s_and_b64 vcc, exec, s[4:5]
	v_lshlrev_b64 v[20:21], 1, v[20:21]
	s_cbranch_vccnz .LBB743_41
; %bb.31:
	v_mul_lo_u32 v24, v13, s26
	v_mul_lo_u32 v25, v12, s27
	v_mad_u64_u32 v[22:23], s[6:7], v12, s26, 0
	v_add3_u32 v23, v23, v25, v24
	v_mov_b32_e32 v25, s17
	v_add_co_u32_e32 v24, vcc, s16, v20
	v_addc_co_u32_e64 v25, s[6:7], v25, v21, vcc
	v_lshlrev_b64 v[22:23], 1, v[22:23]
	v_mov_b32_e32 v27, s17
	v_add_co_u32_e64 v26, s[6:7], s16, v22
	v_addc_co_u32_e64 v27, s[8:9], v27, v23, s[6:7]
	global_load_ushort v22, v[24:25], off
	global_load_ushort v28, v[26:27], off
	s_mov_b64 s[10:11], -1
	s_waitcnt vmcnt(0)
	v_cmp_eq_u16_e64 s[8:9], v22, v28
	s_and_saveexec_b64 s[14:15], s[8:9]
	s_cbranch_execz .LBB743_40
; %bb.32:
	v_mov_b32_e32 v22, s17
	v_addc_co_u32_e64 v23, s[6:7], v23, v22, s[6:7]
	v_add_co_u32_e64 v22, s[6:7], 2, v26
	v_mov_b32_e32 v25, s17
	v_addc_co_u32_e64 v23, s[6:7], 0, v23, s[6:7]
	v_addc_co_u32_e32 v25, vcc, v21, v25, vcc
	v_add_co_u32_e32 v24, vcc, 2, v24
	s_add_u32 s6, s26, -1
	v_addc_co_u32_e32 v25, vcc, 0, v25, vcc
	s_addc_u32 s7, s27, -1
	s_mov_b64 s[8:9], 0
	s_mov_b64 s[38:39], 0
                                        ; implicit-def: $sgpr10_sgpr11
	s_branch .LBB743_35
.LBB743_33:                             ;   in Loop: Header=BB743_35 Depth=1
	global_load_ushort v26, v[24:25], off
	global_load_ushort v27, v[22:23], off
	v_add_co_u32_e32 v22, vcc, 2, v22
	v_addc_co_u32_e32 v23, vcc, 0, v23, vcc
	v_add_co_u32_e32 v24, vcc, 2, v24
	v_addc_co_u32_e32 v25, vcc, 0, v25, vcc
	s_add_u32 s38, s38, 1
	s_addc_u32 s39, s39, 0
	s_andn2_b64 s[10:11], s[10:11], exec
	s_waitcnt vmcnt(0)
	v_cmp_ne_u16_e32 vcc, v26, v27
	s_and_b64 s[40:41], vcc, exec
	s_or_b64 s[10:11], s[10:11], s[40:41]
.LBB743_34:                             ;   in Loop: Header=BB743_35 Depth=1
	s_and_b64 s[40:41], exec, s[10:11]
	s_or_b64 s[8:9], s[40:41], s[8:9]
	v_pk_mov_b32 v[26:27], s[38:39], s[38:39] op_sel:[0,1]
	s_andn2_b64 exec, exec, s[8:9]
	s_cbranch_execz .LBB743_39
.LBB743_35:                             ; =>This Inner Loop Header: Depth=1
	s_or_b64 s[10:11], s[10:11], exec
	s_cmp_eq_u64 s[6:7], s[38:39]
	s_cbranch_scc0 .LBB743_33
; %bb.36:                               ;   in Loop: Header=BB743_35 Depth=1
                                        ; implicit-def: $vgpr22_vgpr23
                                        ; implicit-def: $vgpr24_vgpr25
	s_mov_b64 s[38:39], s[26:27]
	s_branch .LBB743_34
.LBB743_37:
                                        ; implicit-def: $sgpr38_sgpr39
                                        ; implicit-def: $vgpr28
	s_branch .LBB743_119
.LBB743_38:
                                        ; implicit-def: $sgpr38_sgpr39
                                        ; implicit-def: $vgpr28
	s_cbranch_execnz .LBB743_71
	s_branch .LBB743_118
.LBB743_39:
	s_or_b64 exec, exec, s[8:9]
	v_cmp_gt_i64_e32 vcc, s[26:27], v[26:27]
	s_orn2_b64 s[10:11], vcc, exec
.LBB743_40:
	s_or_b64 exec, exec, s[14:15]
.LBB743_41:
	v_mul_lo_u32 v24, v17, s26
	v_mul_lo_u32 v25, v16, s27
	v_mad_u64_u32 v[22:23], s[6:7], v16, s26, 0
	v_add3_u32 v23, v23, v25, v24
	s_mov_b64 s[14:15], 0
	s_and_b64 vcc, exec, s[4:5]
	v_lshlrev_b64 v[22:23], 1, v[22:23]
	s_mov_b64 s[38:39], 0
	s_cbranch_vccnz .LBB743_50
; %bb.42:
	v_mov_b32_e32 v25, s17
	v_add_co_u32_e32 v24, vcc, s16, v22
	v_addc_co_u32_e64 v25, s[6:7], v25, v23, vcc
	v_mov_b32_e32 v27, s17
	v_add_co_u32_e64 v26, s[6:7], s16, v20
	v_addc_co_u32_e64 v27, s[8:9], v27, v21, s[6:7]
	global_load_ushort v20, v[24:25], off
	global_load_ushort v28, v[26:27], off
	s_mov_b64 s[38:39], -1
	s_waitcnt vmcnt(0)
	v_cmp_eq_u16_e64 s[8:9], v20, v28
	s_and_saveexec_b64 s[40:41], s[8:9]
	s_cbranch_execz .LBB743_49
; %bb.43:
	v_mov_b32_e32 v20, s17
	v_addc_co_u32_e64 v21, s[6:7], v21, v20, s[6:7]
	v_add_co_u32_e64 v20, s[6:7], 2, v26
	v_mov_b32_e32 v25, s17
	v_addc_co_u32_e64 v21, s[6:7], 0, v21, s[6:7]
	v_addc_co_u32_e32 v25, vcc, v23, v25, vcc
	v_add_co_u32_e32 v24, vcc, 2, v24
	s_add_u32 s6, s26, -1
	v_addc_co_u32_e32 v25, vcc, 0, v25, vcc
	s_addc_u32 s7, s27, -1
	s_mov_b64 s[8:9], 0
	s_mov_b64 s[42:43], 0
                                        ; implicit-def: $sgpr38_sgpr39
	s_branch .LBB743_46
.LBB743_44:                             ;   in Loop: Header=BB743_46 Depth=1
	global_load_ushort v26, v[24:25], off
	global_load_ushort v27, v[20:21], off
	v_add_co_u32_e32 v20, vcc, 2, v20
	v_addc_co_u32_e32 v21, vcc, 0, v21, vcc
	v_add_co_u32_e32 v24, vcc, 2, v24
	v_addc_co_u32_e32 v25, vcc, 0, v25, vcc
	s_add_u32 s42, s42, 1
	s_addc_u32 s43, s43, 0
	s_andn2_b64 s[38:39], s[38:39], exec
	s_waitcnt vmcnt(0)
	v_cmp_ne_u16_e32 vcc, v26, v27
	s_and_b64 s[44:45], vcc, exec
	s_or_b64 s[38:39], s[38:39], s[44:45]
.LBB743_45:                             ;   in Loop: Header=BB743_46 Depth=1
	s_and_b64 s[44:45], exec, s[38:39]
	s_or_b64 s[8:9], s[44:45], s[8:9]
	v_pk_mov_b32 v[26:27], s[42:43], s[42:43] op_sel:[0,1]
	s_andn2_b64 exec, exec, s[8:9]
	s_cbranch_execz .LBB743_48
.LBB743_46:                             ; =>This Inner Loop Header: Depth=1
	s_or_b64 s[38:39], s[38:39], exec
	s_cmp_eq_u64 s[6:7], s[42:43]
	s_cbranch_scc0 .LBB743_44
; %bb.47:                               ;   in Loop: Header=BB743_46 Depth=1
                                        ; implicit-def: $vgpr20_vgpr21
                                        ; implicit-def: $vgpr24_vgpr25
	s_mov_b64 s[42:43], s[26:27]
	s_branch .LBB743_45
.LBB743_48:
	s_or_b64 exec, exec, s[8:9]
	v_cmp_gt_i64_e32 vcc, s[26:27], v[26:27]
	s_orn2_b64 s[38:39], vcc, exec
.LBB743_49:
	s_or_b64 exec, exec, s[40:41]
.LBB743_50:
	v_mul_lo_u32 v24, v15, s26
	v_mul_lo_u32 v25, v14, s27
	v_mad_u64_u32 v[20:21], s[6:7], v14, s26, 0
	v_add3_u32 v21, v21, v25, v24
	s_and_b64 vcc, exec, s[4:5]
	v_lshlrev_b64 v[20:21], 1, v[20:21]
	s_cbranch_vccnz .LBB743_59
; %bb.51:
	v_mov_b32_e32 v25, s17
	v_add_co_u32_e32 v24, vcc, s16, v20
	v_addc_co_u32_e64 v25, s[6:7], v25, v21, vcc
	v_mov_b32_e32 v27, s17
	v_add_co_u32_e64 v26, s[6:7], s16, v22
	v_addc_co_u32_e64 v27, s[8:9], v27, v23, s[6:7]
	global_load_ushort v22, v[24:25], off
	global_load_ushort v28, v[26:27], off
	s_mov_b64 s[14:15], -1
	s_waitcnt vmcnt(0)
	v_cmp_eq_u16_e64 s[8:9], v22, v28
	s_and_saveexec_b64 s[40:41], s[8:9]
	s_cbranch_execz .LBB743_58
; %bb.52:
	v_mov_b32_e32 v22, s17
	v_addc_co_u32_e64 v23, s[6:7], v23, v22, s[6:7]
	v_add_co_u32_e64 v22, s[6:7], 2, v26
	v_mov_b32_e32 v25, s17
	v_addc_co_u32_e64 v23, s[6:7], 0, v23, s[6:7]
	v_addc_co_u32_e32 v25, vcc, v21, v25, vcc
	v_add_co_u32_e32 v24, vcc, 2, v24
	s_add_u32 s6, s26, -1
	v_addc_co_u32_e32 v25, vcc, 0, v25, vcc
	s_addc_u32 s7, s27, -1
	s_mov_b64 s[8:9], 0
	s_mov_b64 s[42:43], 0
                                        ; implicit-def: $sgpr14_sgpr15
	s_branch .LBB743_55
.LBB743_53:                             ;   in Loop: Header=BB743_55 Depth=1
	global_load_ushort v26, v[24:25], off
	global_load_ushort v27, v[22:23], off
	v_add_co_u32_e32 v22, vcc, 2, v22
	v_addc_co_u32_e32 v23, vcc, 0, v23, vcc
	v_add_co_u32_e32 v24, vcc, 2, v24
	v_addc_co_u32_e32 v25, vcc, 0, v25, vcc
	s_add_u32 s42, s42, 1
	s_addc_u32 s43, s43, 0
	s_andn2_b64 s[14:15], s[14:15], exec
	s_waitcnt vmcnt(0)
	v_cmp_ne_u16_e32 vcc, v26, v27
	s_and_b64 s[44:45], vcc, exec
	s_or_b64 s[14:15], s[14:15], s[44:45]
.LBB743_54:                             ;   in Loop: Header=BB743_55 Depth=1
	s_and_b64 s[44:45], exec, s[14:15]
	s_or_b64 s[8:9], s[44:45], s[8:9]
	v_pk_mov_b32 v[26:27], s[42:43], s[42:43] op_sel:[0,1]
	s_andn2_b64 exec, exec, s[8:9]
	s_cbranch_execz .LBB743_57
.LBB743_55:                             ; =>This Inner Loop Header: Depth=1
	s_or_b64 s[14:15], s[14:15], exec
	s_cmp_eq_u64 s[6:7], s[42:43]
	s_cbranch_scc0 .LBB743_53
; %bb.56:                               ;   in Loop: Header=BB743_55 Depth=1
                                        ; implicit-def: $vgpr22_vgpr23
                                        ; implicit-def: $vgpr24_vgpr25
	s_mov_b64 s[42:43], s[26:27]
	s_branch .LBB743_54
.LBB743_57:
	s_or_b64 exec, exec, s[8:9]
	v_cmp_gt_i64_e32 vcc, s[26:27], v[26:27]
	s_orn2_b64 s[14:15], vcc, exec
.LBB743_58:
	s_or_b64 exec, exec, s[40:41]
.LBB743_59:
	s_waitcnt vmcnt(0)
	v_pk_mov_b32 v[22:23], v[18:19], v[18:19] op_sel:[0,1]
	s_waitcnt lgkmcnt(0)
	s_barrier
	s_and_saveexec_b64 s[6:7], s[2:3]
	s_cbranch_execz .LBB743_61
; %bb.60:
	v_add_u32_e32 v22, -8, v29
	ds_read_b64 v[22:23], v22
.LBB743_61:
	s_or_b64 exec, exec, s[6:7]
	v_cndmask_b32_e64 v25, 0, 1, s[10:11]
	v_cndmask_b32_e64 v24, 0, 1, s[38:39]
	;; [unrolled: 1-line block ×3, first 2 shown]
	v_lshlrev_b16_e32 v25, 8, v25
	v_lshlrev_b16_e32 v28, 8, v26
	v_or_b32_sdwa v30, v24, v25 dst_sel:WORD_1 dst_unused:UNUSED_PAD src0_sel:DWORD src1_sel:DWORD
	s_mov_b64 s[10:11], 0
	s_and_b64 vcc, exec, s[4:5]
	s_mov_b64 s[38:39], 0
	s_cbranch_vccnz .LBB743_70
; %bb.62:
	s_waitcnt lgkmcnt(0)
	v_mul_lo_u32 v24, v23, s26
	v_mul_lo_u32 v25, v22, s27
	v_mad_u64_u32 v[22:23], s[6:7], v22, s26, 0
	v_add3_u32 v23, v23, v25, v24
	v_lshlrev_b64 v[22:23], 1, v[22:23]
	v_mov_b32_e32 v25, s17
	v_add_co_u32_e32 v24, vcc, s16, v22
	v_addc_co_u32_e64 v25, s[6:7], v25, v23, vcc
	v_mov_b32_e32 v22, s17
	v_add_co_u32_e64 v26, s[6:7], s16, v20
	v_addc_co_u32_e64 v27, s[8:9], v22, v21, s[6:7]
	global_load_ushort v20, v[24:25], off
	global_load_ushort v22, v[26:27], off
	s_mov_b64 s[38:39], -1
	s_waitcnt vmcnt(0)
	v_cmp_eq_u16_e64 s[8:9], v20, v22
	s_and_saveexec_b64 s[14:15], s[8:9]
	s_cbranch_execz .LBB743_69
; %bb.63:
	v_mov_b32_e32 v20, s17
	v_addc_co_u32_e64 v21, s[6:7], v21, v20, s[6:7]
	v_add_co_u32_e64 v20, s[6:7], 2, v26
	v_mov_b32_e32 v22, s17
	v_addc_co_u32_e64 v21, s[6:7], 0, v21, s[6:7]
	v_addc_co_u32_e32 v23, vcc, v23, v22, vcc
	v_add_co_u32_e32 v22, vcc, 2, v24
	s_add_u32 s6, s26, -1
	v_addc_co_u32_e32 v23, vcc, 0, v23, vcc
	s_addc_u32 s7, s27, -1
	s_mov_b64 s[8:9], 0
	s_mov_b64 s[40:41], 0
                                        ; implicit-def: $sgpr38_sgpr39
	s_branch .LBB743_66
.LBB743_64:                             ;   in Loop: Header=BB743_66 Depth=1
	global_load_ushort v24, v[22:23], off
	global_load_ushort v25, v[20:21], off
	v_add_co_u32_e32 v20, vcc, 2, v20
	v_addc_co_u32_e32 v21, vcc, 0, v21, vcc
	v_add_co_u32_e32 v22, vcc, 2, v22
	v_addc_co_u32_e32 v23, vcc, 0, v23, vcc
	s_add_u32 s40, s40, 1
	s_addc_u32 s41, s41, 0
	s_andn2_b64 s[38:39], s[38:39], exec
	s_waitcnt vmcnt(0)
	v_cmp_ne_u16_e32 vcc, v24, v25
	s_and_b64 s[42:43], vcc, exec
	s_or_b64 s[38:39], s[38:39], s[42:43]
.LBB743_65:                             ;   in Loop: Header=BB743_66 Depth=1
	s_and_b64 s[42:43], exec, s[38:39]
	s_or_b64 s[8:9], s[42:43], s[8:9]
	v_pk_mov_b32 v[24:25], s[40:41], s[40:41] op_sel:[0,1]
	s_andn2_b64 exec, exec, s[8:9]
	s_cbranch_execz .LBB743_68
.LBB743_66:                             ; =>This Inner Loop Header: Depth=1
	s_or_b64 s[38:39], s[38:39], exec
	s_cmp_eq_u64 s[6:7], s[40:41]
	s_cbranch_scc0 .LBB743_64
; %bb.67:                               ;   in Loop: Header=BB743_66 Depth=1
                                        ; implicit-def: $vgpr20_vgpr21
                                        ; implicit-def: $vgpr22_vgpr23
	s_mov_b64 s[40:41], s[26:27]
	s_branch .LBB743_65
.LBB743_68:
	s_or_b64 exec, exec, s[8:9]
	v_cmp_gt_i64_e32 vcc, s[26:27], v[24:25]
	s_orn2_b64 s[38:39], vcc, exec
.LBB743_69:
	s_or_b64 exec, exec, s[14:15]
.LBB743_70:
	v_or_b32_e32 v28, v28, v30
	s_and_b64 vcc, exec, s[10:11]
	s_cbranch_vccz .LBB743_118
.LBB743_71:
	v_or_b32_e32 v20, 3, v1
	v_cmp_gt_u32_e32 vcc, s48, v20
	s_mov_b64 s[14:15], 0
	s_mov_b64 s[10:11], 0
	s_and_saveexec_b64 s[38:39], vcc
	s_cbranch_execz .LBB743_82
; %bb.72:
	s_and_b64 vcc, exec, s[4:5]
	s_mov_b64 s[40:41], 0
	s_cbranch_vccnz .LBB743_81
; %bb.73:
	s_waitcnt lgkmcnt(0)
	v_mul_lo_u32 v22, v11, s26
	v_mul_lo_u32 v23, v10, s27
	v_mad_u64_u32 v[20:21], s[6:7], v10, s26, 0
	v_add3_u32 v21, v21, v23, v22
	v_mul_lo_u32 v22, v13, s26
	v_mul_lo_u32 v23, v12, s27
	v_mad_u64_u32 v[26:27], s[6:7], v12, s26, 0
	v_add3_u32 v27, v27, v23, v22
	v_lshlrev_b64 v[22:23], 1, v[20:21]
	v_mov_b32_e32 v20, s17
	v_add_co_u32_e32 v24, vcc, s16, v22
	v_addc_co_u32_e64 v25, s[6:7], v20, v23, vcc
	v_lshlrev_b64 v[20:21], 1, v[26:27]
	v_mov_b32_e32 v22, s17
	v_add_co_u32_e64 v26, s[6:7], s16, v20
	v_addc_co_u32_e64 v27, s[8:9], v22, v21, s[6:7]
	global_load_ushort v20, v[24:25], off
	global_load_ushort v22, v[26:27], off
	s_mov_b64 s[40:41], -1
	s_waitcnt vmcnt(0)
	v_cmp_eq_u16_e64 s[8:9], v20, v22
	s_and_saveexec_b64 s[10:11], s[8:9]
	s_cbranch_execz .LBB743_80
; %bb.74:
	v_mov_b32_e32 v20, s17
	v_addc_co_u32_e64 v21, s[6:7], v21, v20, s[6:7]
	v_add_co_u32_e64 v20, s[6:7], 2, v26
	v_mov_b32_e32 v22, s17
	v_addc_co_u32_e64 v21, s[6:7], 0, v21, s[6:7]
	v_addc_co_u32_e32 v23, vcc, v23, v22, vcc
	v_add_co_u32_e32 v22, vcc, 2, v24
	s_add_u32 s6, s26, -1
	v_addc_co_u32_e32 v23, vcc, 0, v23, vcc
	s_addc_u32 s7, s27, -1
	s_mov_b64 s[8:9], 0
	s_mov_b64 s[42:43], 0
                                        ; implicit-def: $sgpr40_sgpr41
	s_branch .LBB743_77
.LBB743_75:                             ;   in Loop: Header=BB743_77 Depth=1
	global_load_ushort v24, v[22:23], off
	global_load_ushort v25, v[20:21], off
	v_add_co_u32_e32 v20, vcc, 2, v20
	v_addc_co_u32_e32 v21, vcc, 0, v21, vcc
	v_add_co_u32_e32 v22, vcc, 2, v22
	v_addc_co_u32_e32 v23, vcc, 0, v23, vcc
	s_add_u32 s42, s42, 1
	s_addc_u32 s43, s43, 0
	s_andn2_b64 s[40:41], s[40:41], exec
	s_waitcnt vmcnt(0)
	v_cmp_ne_u16_e32 vcc, v24, v25
	s_and_b64 s[44:45], vcc, exec
	s_or_b64 s[40:41], s[40:41], s[44:45]
.LBB743_76:                             ;   in Loop: Header=BB743_77 Depth=1
	s_and_b64 s[44:45], exec, s[40:41]
	s_or_b64 s[8:9], s[44:45], s[8:9]
	v_pk_mov_b32 v[24:25], s[42:43], s[42:43] op_sel:[0,1]
	s_andn2_b64 exec, exec, s[8:9]
	s_cbranch_execz .LBB743_79
.LBB743_77:                             ; =>This Inner Loop Header: Depth=1
	s_or_b64 s[40:41], s[40:41], exec
	s_cmp_eq_u64 s[6:7], s[42:43]
	s_cbranch_scc0 .LBB743_75
; %bb.78:                               ;   in Loop: Header=BB743_77 Depth=1
                                        ; implicit-def: $vgpr20_vgpr21
                                        ; implicit-def: $vgpr22_vgpr23
	s_mov_b64 s[42:43], s[26:27]
	s_branch .LBB743_76
.LBB743_79:
	s_or_b64 exec, exec, s[8:9]
	v_cmp_gt_i64_e32 vcc, s[26:27], v[24:25]
	s_orn2_b64 s[40:41], vcc, exec
.LBB743_80:
	s_or_b64 exec, exec, s[10:11]
.LBB743_81:
	s_and_b64 s[10:11], s[40:41], exec
.LBB743_82:
	s_or_b64 exec, exec, s[38:39]
	v_or_b32_e32 v20, 2, v1
	v_cmp_gt_u32_e32 vcc, s48, v20
	s_and_saveexec_b64 s[38:39], vcc
	s_cbranch_execz .LBB743_93
; %bb.83:
	s_and_b64 vcc, exec, s[4:5]
	s_mov_b64 s[40:41], 0
	s_cbranch_vccnz .LBB743_92
; %bb.84:
	s_waitcnt lgkmcnt(0)
	v_mul_lo_u32 v22, v17, s26
	v_mul_lo_u32 v23, v16, s27
	v_mad_u64_u32 v[20:21], s[6:7], v16, s26, 0
	v_add3_u32 v21, v21, v23, v22
	v_mul_lo_u32 v22, v11, s26
	v_mul_lo_u32 v23, v10, s27
	v_mad_u64_u32 v[26:27], s[6:7], v10, s26, 0
	v_add3_u32 v27, v27, v23, v22
	v_lshlrev_b64 v[22:23], 1, v[20:21]
	v_mov_b32_e32 v20, s17
	v_add_co_u32_e32 v24, vcc, s16, v22
	v_addc_co_u32_e64 v25, s[6:7], v20, v23, vcc
	v_lshlrev_b64 v[20:21], 1, v[26:27]
	v_mov_b32_e32 v22, s17
	v_add_co_u32_e64 v26, s[6:7], s16, v20
	v_addc_co_u32_e64 v27, s[8:9], v22, v21, s[6:7]
	global_load_ushort v20, v[24:25], off
	global_load_ushort v22, v[26:27], off
	s_mov_b64 s[40:41], -1
	s_waitcnt vmcnt(0)
	v_cmp_eq_u16_e64 s[8:9], v20, v22
	s_and_saveexec_b64 s[14:15], s[8:9]
	s_cbranch_execz .LBB743_91
; %bb.85:
	v_mov_b32_e32 v20, s17
	v_addc_co_u32_e64 v21, s[6:7], v21, v20, s[6:7]
	v_add_co_u32_e64 v20, s[6:7], 2, v26
	v_mov_b32_e32 v22, s17
	v_addc_co_u32_e64 v21, s[6:7], 0, v21, s[6:7]
	v_addc_co_u32_e32 v23, vcc, v23, v22, vcc
	v_add_co_u32_e32 v22, vcc, 2, v24
	s_add_u32 s6, s26, -1
	v_addc_co_u32_e32 v23, vcc, 0, v23, vcc
	s_addc_u32 s7, s27, -1
	s_mov_b64 s[8:9], 0
	s_mov_b64 s[42:43], 0
                                        ; implicit-def: $sgpr40_sgpr41
	s_branch .LBB743_88
.LBB743_86:                             ;   in Loop: Header=BB743_88 Depth=1
	global_load_ushort v24, v[22:23], off
	global_load_ushort v25, v[20:21], off
	v_add_co_u32_e32 v20, vcc, 2, v20
	v_addc_co_u32_e32 v21, vcc, 0, v21, vcc
	v_add_co_u32_e32 v22, vcc, 2, v22
	v_addc_co_u32_e32 v23, vcc, 0, v23, vcc
	s_add_u32 s42, s42, 1
	s_addc_u32 s43, s43, 0
	s_andn2_b64 s[40:41], s[40:41], exec
	s_waitcnt vmcnt(0)
	v_cmp_ne_u16_e32 vcc, v24, v25
	s_and_b64 s[44:45], vcc, exec
	s_or_b64 s[40:41], s[40:41], s[44:45]
.LBB743_87:                             ;   in Loop: Header=BB743_88 Depth=1
	s_and_b64 s[44:45], exec, s[40:41]
	s_or_b64 s[8:9], s[44:45], s[8:9]
	v_pk_mov_b32 v[24:25], s[42:43], s[42:43] op_sel:[0,1]
	s_andn2_b64 exec, exec, s[8:9]
	s_cbranch_execz .LBB743_90
.LBB743_88:                             ; =>This Inner Loop Header: Depth=1
	s_or_b64 s[40:41], s[40:41], exec
	s_cmp_eq_u64 s[6:7], s[42:43]
	s_cbranch_scc0 .LBB743_86
; %bb.89:                               ;   in Loop: Header=BB743_88 Depth=1
                                        ; implicit-def: $vgpr20_vgpr21
                                        ; implicit-def: $vgpr22_vgpr23
	s_mov_b64 s[42:43], s[26:27]
	s_branch .LBB743_87
.LBB743_90:
	s_or_b64 exec, exec, s[8:9]
	v_cmp_gt_i64_e32 vcc, s[26:27], v[24:25]
	s_orn2_b64 s[40:41], vcc, exec
.LBB743_91:
	s_or_b64 exec, exec, s[14:15]
.LBB743_92:
	s_and_b64 s[14:15], s[40:41], exec
.LBB743_93:
	s_or_b64 exec, exec, s[38:39]
	v_or_b32_e32 v20, 1, v1
	v_cmp_gt_u32_e32 vcc, s48, v20
	s_mov_b64 s[6:7], 0
	s_and_saveexec_b64 s[38:39], vcc
	s_cbranch_execz .LBB743_104
; %bb.94:
	s_and_b64 vcc, exec, s[4:5]
	s_mov_b64 s[42:43], 0
	s_cbranch_vccnz .LBB743_103
; %bb.95:
	s_waitcnt lgkmcnt(0)
	v_mul_lo_u32 v22, v15, s26
	v_mul_lo_u32 v23, v14, s27
	v_mad_u64_u32 v[20:21], s[6:7], v14, s26, 0
	v_add3_u32 v21, v21, v23, v22
	v_mul_lo_u32 v22, v17, s26
	v_mul_lo_u32 v23, v16, s27
	v_mad_u64_u32 v[26:27], s[6:7], v16, s26, 0
	v_add3_u32 v27, v27, v23, v22
	v_lshlrev_b64 v[22:23], 1, v[20:21]
	v_mov_b32_e32 v20, s17
	v_add_co_u32_e32 v24, vcc, s16, v22
	v_addc_co_u32_e64 v25, s[6:7], v20, v23, vcc
	v_lshlrev_b64 v[20:21], 1, v[26:27]
	v_mov_b32_e32 v22, s17
	v_add_co_u32_e64 v26, s[6:7], s16, v20
	v_addc_co_u32_e64 v27, s[8:9], v22, v21, s[6:7]
	global_load_ushort v20, v[24:25], off
	global_load_ushort v22, v[26:27], off
	s_mov_b64 s[42:43], -1
	s_waitcnt vmcnt(0)
	v_cmp_eq_u16_e64 s[8:9], v20, v22
	s_and_saveexec_b64 s[40:41], s[8:9]
	s_cbranch_execz .LBB743_102
; %bb.96:
	v_mov_b32_e32 v20, s17
	v_addc_co_u32_e64 v21, s[6:7], v21, v20, s[6:7]
	v_add_co_u32_e64 v20, s[6:7], 2, v26
	v_mov_b32_e32 v22, s17
	v_addc_co_u32_e64 v21, s[6:7], 0, v21, s[6:7]
	v_addc_co_u32_e32 v23, vcc, v23, v22, vcc
	v_add_co_u32_e32 v22, vcc, 2, v24
	s_add_u32 s6, s26, -1
	v_addc_co_u32_e32 v23, vcc, 0, v23, vcc
	s_addc_u32 s7, s27, -1
	s_mov_b64 s[8:9], 0
	s_mov_b64 s[44:45], 0
                                        ; implicit-def: $sgpr42_sgpr43
	s_branch .LBB743_99
.LBB743_97:                             ;   in Loop: Header=BB743_99 Depth=1
	global_load_ushort v24, v[22:23], off
	global_load_ushort v25, v[20:21], off
	v_add_co_u32_e32 v20, vcc, 2, v20
	v_addc_co_u32_e32 v21, vcc, 0, v21, vcc
	v_add_co_u32_e32 v22, vcc, 2, v22
	v_addc_co_u32_e32 v23, vcc, 0, v23, vcc
	s_add_u32 s44, s44, 1
	s_addc_u32 s45, s45, 0
	s_andn2_b64 s[42:43], s[42:43], exec
	s_waitcnt vmcnt(0)
	v_cmp_ne_u16_e32 vcc, v24, v25
	s_and_b64 s[46:47], vcc, exec
	s_or_b64 s[42:43], s[42:43], s[46:47]
.LBB743_98:                             ;   in Loop: Header=BB743_99 Depth=1
	s_and_b64 s[46:47], exec, s[42:43]
	s_or_b64 s[8:9], s[46:47], s[8:9]
	v_pk_mov_b32 v[24:25], s[44:45], s[44:45] op_sel:[0,1]
	s_andn2_b64 exec, exec, s[8:9]
	s_cbranch_execz .LBB743_101
.LBB743_99:                             ; =>This Inner Loop Header: Depth=1
	s_or_b64 s[42:43], s[42:43], exec
	s_cmp_eq_u64 s[6:7], s[44:45]
	s_cbranch_scc0 .LBB743_97
; %bb.100:                              ;   in Loop: Header=BB743_99 Depth=1
                                        ; implicit-def: $vgpr20_vgpr21
                                        ; implicit-def: $vgpr22_vgpr23
	s_mov_b64 s[44:45], s[26:27]
	s_branch .LBB743_98
.LBB743_101:
	s_or_b64 exec, exec, s[8:9]
	v_cmp_gt_i64_e32 vcc, s[26:27], v[24:25]
	s_orn2_b64 s[42:43], vcc, exec
.LBB743_102:
	s_or_b64 exec, exec, s[40:41]
.LBB743_103:
	s_and_b64 s[6:7], s[42:43], exec
.LBB743_104:
	s_or_b64 exec, exec, s[38:39]
	s_waitcnt lgkmcnt(0)
	s_barrier
	s_and_saveexec_b64 s[8:9], s[2:3]
	s_cbranch_execz .LBB743_106
; %bb.105:
	s_waitcnt vmcnt(0)
	v_add_u32_e32 v18, -8, v29
	ds_read_b64 v[18:19], v18
.LBB743_106:
	s_or_b64 exec, exec, s[8:9]
	v_cndmask_b32_e64 v21, 0, 1, s[10:11]
	v_cndmask_b32_e64 v20, 0, 1, s[14:15]
	;; [unrolled: 1-line block ×3, first 2 shown]
	v_lshlrev_b16_e32 v21, 8, v21
	v_lshlrev_b16_e32 v26, 8, v22
	v_or_b32_sdwa v27, v20, v21 dst_sel:WORD_1 dst_unused:UNUSED_PAD src0_sel:DWORD src1_sel:DWORD
	v_cmp_gt_u32_e32 vcc, s48, v1
	s_mov_b64 s[38:39], 0
	s_and_saveexec_b64 s[8:9], vcc
	s_cbranch_execz .LBB743_117
; %bb.107:
	s_and_b64 vcc, exec, s[4:5]
	s_mov_b64 s[14:15], 0
	s_cbranch_vccnz .LBB743_116
; %bb.108:
	s_waitcnt vmcnt(0) lgkmcnt(0)
	v_mul_lo_u32 v20, v19, s26
	v_mul_lo_u32 v21, v18, s27
	v_mad_u64_u32 v[18:19], s[4:5], v18, s26, 0
	v_add3_u32 v19, v19, v21, v20
	v_mul_lo_u32 v20, v15, s26
	v_mul_lo_u32 v21, v14, s27
	v_mad_u64_u32 v[24:25], s[4:5], v14, s26, 0
	v_add3_u32 v25, v25, v21, v20
	v_lshlrev_b64 v[20:21], 1, v[18:19]
	v_mov_b32_e32 v18, s17
	v_add_co_u32_e32 v22, vcc, s16, v20
	v_addc_co_u32_e64 v23, s[4:5], v18, v21, vcc
	v_lshlrev_b64 v[18:19], 1, v[24:25]
	v_mov_b32_e32 v20, s17
	v_add_co_u32_e64 v24, s[4:5], s16, v18
	v_addc_co_u32_e64 v25, s[6:7], v20, v19, s[4:5]
	global_load_ushort v18, v[22:23], off
	global_load_ushort v20, v[24:25], off
	s_mov_b64 s[14:15], -1
	s_waitcnt vmcnt(0)
	v_cmp_eq_u16_e64 s[6:7], v18, v20
	s_and_saveexec_b64 s[10:11], s[6:7]
	s_cbranch_execz .LBB743_115
; %bb.109:
	v_mov_b32_e32 v18, s17
	v_addc_co_u32_e64 v19, s[4:5], v19, v18, s[4:5]
	v_add_co_u32_e64 v18, s[4:5], 2, v24
	v_mov_b32_e32 v20, s17
	v_addc_co_u32_e64 v19, s[4:5], 0, v19, s[4:5]
	v_addc_co_u32_e32 v21, vcc, v21, v20, vcc
	v_add_co_u32_e32 v20, vcc, 2, v22
	s_add_u32 s4, s26, -1
	v_addc_co_u32_e32 v21, vcc, 0, v21, vcc
	s_addc_u32 s5, s27, -1
	s_mov_b64 s[6:7], 0
                                        ; implicit-def: $sgpr14_sgpr15
	s_branch .LBB743_112
.LBB743_110:                            ;   in Loop: Header=BB743_112 Depth=1
	global_load_ushort v22, v[20:21], off
	global_load_ushort v23, v[18:19], off
	v_add_co_u32_e32 v18, vcc, 2, v18
	v_addc_co_u32_e32 v19, vcc, 0, v19, vcc
	v_add_co_u32_e32 v20, vcc, 2, v20
	v_addc_co_u32_e32 v21, vcc, 0, v21, vcc
	s_add_u32 s38, s38, 1
	s_addc_u32 s39, s39, 0
	s_andn2_b64 s[14:15], s[14:15], exec
	s_waitcnt vmcnt(0)
	v_cmp_ne_u16_e32 vcc, v22, v23
	s_and_b64 s[40:41], vcc, exec
	s_or_b64 s[14:15], s[14:15], s[40:41]
.LBB743_111:                            ;   in Loop: Header=BB743_112 Depth=1
	s_and_b64 s[40:41], exec, s[14:15]
	s_or_b64 s[6:7], s[40:41], s[6:7]
	v_pk_mov_b32 v[22:23], s[38:39], s[38:39] op_sel:[0,1]
	s_andn2_b64 exec, exec, s[6:7]
	s_cbranch_execz .LBB743_114
.LBB743_112:                            ; =>This Inner Loop Header: Depth=1
	s_or_b64 s[14:15], s[14:15], exec
	s_cmp_eq_u64 s[4:5], s[38:39]
	s_cbranch_scc0 .LBB743_110
; %bb.113:                              ;   in Loop: Header=BB743_112 Depth=1
                                        ; implicit-def: $vgpr18_vgpr19
                                        ; implicit-def: $vgpr20_vgpr21
	s_mov_b64 s[38:39], s[26:27]
	s_branch .LBB743_111
.LBB743_114:
	s_or_b64 exec, exec, s[6:7]
	v_cmp_gt_i64_e32 vcc, s[26:27], v[22:23]
	s_orn2_b64 s[14:15], vcc, exec
.LBB743_115:
	s_or_b64 exec, exec, s[10:11]
.LBB743_116:
	s_and_b64 s[38:39], s[14:15], exec
.LBB743_117:
	s_or_b64 exec, exec, s[8:9]
	v_or_b32_e32 v28, v26, v27
.LBB743_118:
	s_mov_b64 s[14:15], -1
	s_cbranch_execnz .LBB743_207
.LBB743_119:
	v_lshlrev_b32_e32 v29, 3, v0
	s_mov_b64 s[38:39], 0
	v_cmp_gt_i64_e64 s[10:11], s[26:27], 0
	s_and_b64 vcc, exec, s[34:35]
	ds_write_b64 v29, v[12:13]
	s_cbranch_vccz .LBB743_127
; %bb.120:
	v_mul_lo_u32 v20, v11, s26
	v_mul_lo_u32 v21, v10, s27
	s_waitcnt vmcnt(0) lgkmcnt(1)
	v_mad_u64_u32 v[18:19], s[4:5], v10, s26, 0
	v_add3_u32 v19, v19, v21, v20
	v_cndmask_b32_e64 v20, 0, 1, s[10:11]
	v_cmp_ne_u32_e64 s[4:5], 1, v20
	s_andn2_b64 vcc, exec, s[10:11]
	v_lshlrev_b64 v[18:19], 1, v[18:19]
	s_cbranch_vccnz .LBB743_130
; %bb.121:
	v_mul_lo_u32 v22, v13, s26
	v_mul_lo_u32 v23, v12, s27
	v_mad_u64_u32 v[20:21], s[6:7], v12, s26, 0
	v_add3_u32 v21, v21, v23, v22
	v_mov_b32_e32 v23, s17
	v_add_co_u32_e32 v22, vcc, s16, v18
	v_addc_co_u32_e64 v23, s[6:7], v23, v19, vcc
	v_lshlrev_b64 v[20:21], 1, v[20:21]
	v_mov_b32_e32 v25, s17
	v_add_co_u32_e64 v24, s[6:7], s16, v20
	v_addc_co_u32_e64 v25, s[8:9], v25, v21, s[6:7]
	global_load_ushort v20, v[22:23], off
	global_load_ushort v26, v[24:25], off
	s_mov_b64 s[38:39], -1
	s_waitcnt vmcnt(0)
	v_cmp_eq_u16_e64 s[8:9], v20, v26
	s_and_saveexec_b64 s[40:41], s[8:9]
	s_cbranch_execz .LBB743_129
; %bb.122:
	v_mov_b32_e32 v20, s17
	v_addc_co_u32_e64 v21, s[6:7], v21, v20, s[6:7]
	v_add_co_u32_e64 v20, s[6:7], 2, v24
	v_mov_b32_e32 v23, s17
	v_addc_co_u32_e64 v21, s[6:7], 0, v21, s[6:7]
	v_addc_co_u32_e32 v23, vcc, v19, v23, vcc
	v_add_co_u32_e32 v22, vcc, 2, v22
	s_add_u32 s6, s26, -1
	v_addc_co_u32_e32 v23, vcc, 0, v23, vcc
	s_addc_u32 s7, s27, -1
	s_mov_b64 s[8:9], 0
	s_mov_b64 s[42:43], 0
                                        ; implicit-def: $sgpr38_sgpr39
	s_branch .LBB743_125
.LBB743_123:                            ;   in Loop: Header=BB743_125 Depth=1
	global_load_ushort v24, v[22:23], off
	global_load_ushort v25, v[20:21], off
	v_add_co_u32_e32 v20, vcc, 2, v20
	v_addc_co_u32_e32 v21, vcc, 0, v21, vcc
	v_add_co_u32_e32 v22, vcc, 2, v22
	v_addc_co_u32_e32 v23, vcc, 0, v23, vcc
	s_add_u32 s42, s42, 1
	s_addc_u32 s43, s43, 0
	s_andn2_b64 s[38:39], s[38:39], exec
	s_waitcnt vmcnt(0)
	v_cmp_ne_u16_e32 vcc, v24, v25
	s_and_b64 s[44:45], vcc, exec
	s_or_b64 s[38:39], s[38:39], s[44:45]
.LBB743_124:                            ;   in Loop: Header=BB743_125 Depth=1
	s_and_b64 s[44:45], exec, s[38:39]
	s_or_b64 s[8:9], s[44:45], s[8:9]
	v_pk_mov_b32 v[24:25], s[42:43], s[42:43] op_sel:[0,1]
	s_andn2_b64 exec, exec, s[8:9]
	s_cbranch_execz .LBB743_128
.LBB743_125:                            ; =>This Inner Loop Header: Depth=1
	s_or_b64 s[38:39], s[38:39], exec
	s_cmp_eq_u64 s[6:7], s[42:43]
	s_cbranch_scc0 .LBB743_123
; %bb.126:                              ;   in Loop: Header=BB743_125 Depth=1
                                        ; implicit-def: $vgpr20_vgpr21
                                        ; implicit-def: $vgpr22_vgpr23
	s_mov_b64 s[42:43], s[26:27]
	s_branch .LBB743_124
.LBB743_127:
                                        ; implicit-def: $sgpr38_sgpr39
                                        ; implicit-def: $vgpr28
	s_cbranch_execnz .LBB743_160
	s_branch .LBB743_207
.LBB743_128:
	s_or_b64 exec, exec, s[8:9]
	v_cmp_gt_i64_e32 vcc, s[26:27], v[24:25]
	s_orn2_b64 s[38:39], vcc, exec
.LBB743_129:
	s_or_b64 exec, exec, s[40:41]
.LBB743_130:
	v_mul_lo_u32 v22, v17, s26
	v_mul_lo_u32 v23, v16, s27
	v_mad_u64_u32 v[20:21], s[6:7], v16, s26, 0
	v_add3_u32 v21, v21, v23, v22
	s_mov_b64 s[40:41], 0
	s_and_b64 vcc, exec, s[4:5]
	v_lshlrev_b64 v[20:21], 1, v[20:21]
	s_mov_b64 s[42:43], 0
	s_cbranch_vccnz .LBB743_139
; %bb.131:
	v_mov_b32_e32 v23, s17
	v_add_co_u32_e32 v22, vcc, s16, v20
	v_addc_co_u32_e64 v23, s[6:7], v23, v21, vcc
	v_mov_b32_e32 v25, s17
	v_add_co_u32_e64 v24, s[6:7], s16, v18
	v_addc_co_u32_e64 v25, s[8:9], v25, v19, s[6:7]
	global_load_ushort v18, v[22:23], off
	global_load_ushort v26, v[24:25], off
	s_mov_b64 s[42:43], -1
	s_waitcnt vmcnt(0)
	v_cmp_eq_u16_e64 s[8:9], v18, v26
	s_and_saveexec_b64 s[44:45], s[8:9]
	s_cbranch_execz .LBB743_138
; %bb.132:
	v_mov_b32_e32 v18, s17
	v_addc_co_u32_e64 v19, s[6:7], v19, v18, s[6:7]
	v_add_co_u32_e64 v18, s[6:7], 2, v24
	v_mov_b32_e32 v23, s17
	v_addc_co_u32_e64 v19, s[6:7], 0, v19, s[6:7]
	v_addc_co_u32_e32 v23, vcc, v21, v23, vcc
	v_add_co_u32_e32 v22, vcc, 2, v22
	s_add_u32 s6, s26, -1
	v_addc_co_u32_e32 v23, vcc, 0, v23, vcc
	s_addc_u32 s7, s27, -1
	s_mov_b64 s[8:9], 0
	s_mov_b64 s[46:47], 0
                                        ; implicit-def: $sgpr42_sgpr43
	s_branch .LBB743_135
.LBB743_133:                            ;   in Loop: Header=BB743_135 Depth=1
	global_load_ushort v24, v[22:23], off
	global_load_ushort v25, v[18:19], off
	v_add_co_u32_e32 v18, vcc, 2, v18
	v_addc_co_u32_e32 v19, vcc, 0, v19, vcc
	v_add_co_u32_e32 v22, vcc, 2, v22
	v_addc_co_u32_e32 v23, vcc, 0, v23, vcc
	s_add_u32 s46, s46, 1
	s_addc_u32 s47, s47, 0
	s_andn2_b64 s[42:43], s[42:43], exec
	s_waitcnt vmcnt(0)
	v_cmp_ne_u16_e32 vcc, v24, v25
	s_and_b64 s[50:51], vcc, exec
	s_or_b64 s[42:43], s[42:43], s[50:51]
.LBB743_134:                            ;   in Loop: Header=BB743_135 Depth=1
	s_and_b64 s[50:51], exec, s[42:43]
	s_or_b64 s[8:9], s[50:51], s[8:9]
	v_pk_mov_b32 v[24:25], s[46:47], s[46:47] op_sel:[0,1]
	s_andn2_b64 exec, exec, s[8:9]
	s_cbranch_execz .LBB743_137
.LBB743_135:                            ; =>This Inner Loop Header: Depth=1
	s_or_b64 s[42:43], s[42:43], exec
	s_cmp_eq_u64 s[6:7], s[46:47]
	s_cbranch_scc0 .LBB743_133
; %bb.136:                              ;   in Loop: Header=BB743_135 Depth=1
                                        ; implicit-def: $vgpr18_vgpr19
                                        ; implicit-def: $vgpr22_vgpr23
	s_mov_b64 s[46:47], s[26:27]
	s_branch .LBB743_134
.LBB743_137:
	s_or_b64 exec, exec, s[8:9]
	v_cmp_gt_i64_e32 vcc, s[26:27], v[24:25]
	s_orn2_b64 s[42:43], vcc, exec
.LBB743_138:
	s_or_b64 exec, exec, s[44:45]
.LBB743_139:
	v_mul_lo_u32 v22, v15, s26
	v_mul_lo_u32 v23, v14, s27
	v_mad_u64_u32 v[18:19], s[6:7], v14, s26, 0
	s_and_b64 vcc, exec, s[4:5]
	v_add3_u32 v19, v19, v23, v22
	s_cbranch_vccnz .LBB743_148
; %bb.140:
	v_lshlrev_b64 v[22:23], 1, v[18:19]
	v_mov_b32_e32 v25, s17
	v_add_co_u32_e32 v24, vcc, s16, v22
	v_addc_co_u32_e64 v25, s[6:7], v25, v23, vcc
	v_mov_b32_e32 v22, s17
	v_add_co_u32_e64 v26, s[6:7], s16, v20
	v_addc_co_u32_e64 v27, s[8:9], v22, v21, s[6:7]
	global_load_ushort v20, v[24:25], off
	global_load_ushort v22, v[26:27], off
	s_mov_b64 s[40:41], -1
	s_waitcnt vmcnt(0)
	v_cmp_eq_u16_e64 s[8:9], v20, v22
	s_and_saveexec_b64 s[44:45], s[8:9]
	s_cbranch_execz .LBB743_147
; %bb.141:
	v_mov_b32_e32 v20, s17
	v_addc_co_u32_e64 v21, s[6:7], v21, v20, s[6:7]
	v_add_co_u32_e64 v20, s[6:7], 2, v26
	v_mov_b32_e32 v22, s17
	v_addc_co_u32_e64 v21, s[6:7], 0, v21, s[6:7]
	v_addc_co_u32_e32 v23, vcc, v23, v22, vcc
	v_add_co_u32_e32 v22, vcc, 2, v24
	s_add_u32 s6, s26, -1
	v_addc_co_u32_e32 v23, vcc, 0, v23, vcc
	s_addc_u32 s7, s27, -1
	s_mov_b64 s[8:9], 0
	s_mov_b64 s[46:47], 0
                                        ; implicit-def: $sgpr40_sgpr41
	s_branch .LBB743_144
.LBB743_142:                            ;   in Loop: Header=BB743_144 Depth=1
	global_load_ushort v24, v[22:23], off
	global_load_ushort v25, v[20:21], off
	v_add_co_u32_e32 v20, vcc, 2, v20
	v_addc_co_u32_e32 v21, vcc, 0, v21, vcc
	v_add_co_u32_e32 v22, vcc, 2, v22
	v_addc_co_u32_e32 v23, vcc, 0, v23, vcc
	s_add_u32 s46, s46, 1
	s_addc_u32 s47, s47, 0
	s_andn2_b64 s[40:41], s[40:41], exec
	s_waitcnt vmcnt(0)
	v_cmp_ne_u16_e32 vcc, v24, v25
	s_and_b64 s[50:51], vcc, exec
	s_or_b64 s[40:41], s[40:41], s[50:51]
.LBB743_143:                            ;   in Loop: Header=BB743_144 Depth=1
	s_and_b64 s[50:51], exec, s[40:41]
	s_or_b64 s[8:9], s[50:51], s[8:9]
	v_pk_mov_b32 v[24:25], s[46:47], s[46:47] op_sel:[0,1]
	s_andn2_b64 exec, exec, s[8:9]
	s_cbranch_execz .LBB743_146
.LBB743_144:                            ; =>This Inner Loop Header: Depth=1
	s_or_b64 s[40:41], s[40:41], exec
	s_cmp_eq_u64 s[6:7], s[46:47]
	s_cbranch_scc0 .LBB743_142
; %bb.145:                              ;   in Loop: Header=BB743_144 Depth=1
                                        ; implicit-def: $vgpr20_vgpr21
                                        ; implicit-def: $vgpr22_vgpr23
	s_mov_b64 s[46:47], s[26:27]
	s_branch .LBB743_143
.LBB743_146:
	s_or_b64 exec, exec, s[8:9]
	v_cmp_gt_i64_e32 vcc, s[26:27], v[24:25]
	s_orn2_b64 s[40:41], vcc, exec
.LBB743_147:
	s_or_b64 exec, exec, s[44:45]
.LBB743_148:
	v_cndmask_b32_e64 v21, 0, 1, s[38:39]
	v_cndmask_b32_e64 v22, 0, 1, s[40:41]
	;; [unrolled: 1-line block ×3, first 2 shown]
	v_lshlrev_b16_e32 v22, 8, v22
	v_lshlrev_b16_e32 v21, 8, v21
	v_or_b32_e32 v22, 1, v22
	v_or_b32_sdwa v20, v20, v21 dst_sel:WORD_1 dst_unused:UNUSED_PAD src0_sel:DWORD src1_sel:DWORD
	v_or_b32_sdwa v28, v22, v20 dst_sel:DWORD dst_unused:UNUSED_PAD src0_sel:WORD_0 src1_sel:DWORD
	s_waitcnt lgkmcnt(0)
	s_barrier
	s_waitcnt lgkmcnt(0)
                                        ; implicit-def: $sgpr38_sgpr39
	s_and_saveexec_b64 s[6:7], s[2:3]
	s_xor_b64 s[8:9], exec, s[6:7]
	s_cbranch_execz .LBB743_159
; %bb.149:
	s_and_b64 vcc, exec, s[4:5]
	s_mov_b64 s[40:41], 0
	s_cbranch_vccnz .LBB743_158
; %bb.150:
	v_add_u32_e32 v20, -8, v29
	ds_read_b64 v[20:21], v20
	v_mov_b32_e32 v23, s17
	v_lshlrev_b64 v[18:19], 1, v[18:19]
	s_mov_b64 s[40:41], -1
	s_waitcnt lgkmcnt(0)
	v_mul_lo_u32 v22, v21, s26
	v_mul_lo_u32 v24, v20, s27
	v_mad_u64_u32 v[20:21], s[4:5], v20, s26, 0
	v_add3_u32 v21, v21, v24, v22
	v_lshlrev_b64 v[20:21], 1, v[20:21]
	v_add_co_u32_e32 v22, vcc, s16, v20
	v_addc_co_u32_e64 v23, s[4:5], v23, v21, vcc
	v_mov_b32_e32 v20, s17
	v_add_co_u32_e64 v24, s[4:5], s16, v18
	v_addc_co_u32_e64 v25, s[6:7], v20, v19, s[4:5]
	global_load_ushort v18, v[22:23], off
	global_load_ushort v20, v[24:25], off
	s_waitcnt vmcnt(0)
	v_cmp_eq_u16_e64 s[6:7], v18, v20
	s_and_saveexec_b64 s[38:39], s[6:7]
	s_cbranch_execz .LBB743_157
; %bb.151:
	v_mov_b32_e32 v18, s17
	v_addc_co_u32_e64 v19, s[4:5], v19, v18, s[4:5]
	v_add_co_u32_e64 v18, s[4:5], 2, v24
	v_mov_b32_e32 v20, s17
	v_addc_co_u32_e64 v19, s[4:5], 0, v19, s[4:5]
	v_addc_co_u32_e32 v21, vcc, v21, v20, vcc
	v_add_co_u32_e32 v20, vcc, 2, v22
	s_add_u32 s4, s26, -1
	v_addc_co_u32_e32 v21, vcc, 0, v21, vcc
	s_addc_u32 s5, s27, -1
	s_mov_b64 s[6:7], 0
	s_mov_b64 s[42:43], 0
                                        ; implicit-def: $sgpr40_sgpr41
	s_branch .LBB743_154
.LBB743_152:                            ;   in Loop: Header=BB743_154 Depth=1
	global_load_ushort v22, v[20:21], off
	global_load_ushort v23, v[18:19], off
	v_add_co_u32_e32 v18, vcc, 2, v18
	v_addc_co_u32_e32 v19, vcc, 0, v19, vcc
	v_add_co_u32_e32 v20, vcc, 2, v20
	v_addc_co_u32_e32 v21, vcc, 0, v21, vcc
	s_add_u32 s42, s42, 1
	s_addc_u32 s43, s43, 0
	s_andn2_b64 s[40:41], s[40:41], exec
	s_waitcnt vmcnt(0)
	v_cmp_ne_u16_e32 vcc, v22, v23
	s_and_b64 s[44:45], vcc, exec
	s_or_b64 s[40:41], s[40:41], s[44:45]
.LBB743_153:                            ;   in Loop: Header=BB743_154 Depth=1
	s_and_b64 s[44:45], exec, s[40:41]
	s_or_b64 s[6:7], s[44:45], s[6:7]
	v_pk_mov_b32 v[22:23], s[42:43], s[42:43] op_sel:[0,1]
	s_andn2_b64 exec, exec, s[6:7]
	s_cbranch_execz .LBB743_156
.LBB743_154:                            ; =>This Inner Loop Header: Depth=1
	s_or_b64 s[40:41], s[40:41], exec
	s_cmp_eq_u64 s[4:5], s[42:43]
	s_cbranch_scc0 .LBB743_152
; %bb.155:                              ;   in Loop: Header=BB743_154 Depth=1
                                        ; implicit-def: $vgpr18_vgpr19
                                        ; implicit-def: $vgpr20_vgpr21
	s_mov_b64 s[42:43], s[26:27]
	s_branch .LBB743_153
.LBB743_156:
	s_or_b64 exec, exec, s[6:7]
	v_cmp_gt_i64_e32 vcc, s[26:27], v[22:23]
	s_orn2_b64 s[40:41], vcc, exec
.LBB743_157:
	s_or_b64 exec, exec, s[38:39]
.LBB743_158:
	s_and_b64 s[38:39], s[40:41], exec
	s_or_b64 s[14:15], s[14:15], exec
.LBB743_159:
	s_or_b64 exec, exec, s[8:9]
	s_branch .LBB743_207
.LBB743_160:
	s_waitcnt vmcnt(0) lgkmcnt(1)
	v_or_b32_e32 v18, 3, v1
	v_cmp_gt_u32_e32 vcc, s48, v18
	s_mov_b64 s[38:39], 0
	s_mov_b64 s[8:9], 0
	s_and_saveexec_b64 s[40:41], vcc
	s_cbranch_execz .LBB743_171
; %bb.161:
	s_andn2_b64 vcc, exec, s[10:11]
	s_mov_b64 s[42:43], 0
	s_cbranch_vccnz .LBB743_170
; %bb.162:
	v_mul_lo_u32 v20, v11, s26
	v_mul_lo_u32 v21, v10, s27
	v_mad_u64_u32 v[18:19], s[4:5], v10, s26, 0
	v_add3_u32 v19, v19, v21, v20
	v_mul_lo_u32 v20, v13, s26
	v_mul_lo_u32 v21, v12, s27
	v_mad_u64_u32 v[24:25], s[4:5], v12, s26, 0
	v_add3_u32 v25, v25, v21, v20
	v_lshlrev_b64 v[20:21], 1, v[18:19]
	v_mov_b32_e32 v18, s17
	v_add_co_u32_e32 v22, vcc, s16, v20
	v_addc_co_u32_e64 v23, s[4:5], v18, v21, vcc
	v_lshlrev_b64 v[18:19], 1, v[24:25]
	v_mov_b32_e32 v20, s17
	v_add_co_u32_e64 v24, s[4:5], s16, v18
	v_addc_co_u32_e64 v25, s[6:7], v20, v19, s[4:5]
	global_load_ushort v18, v[22:23], off
	global_load_ushort v20, v[24:25], off
	s_mov_b64 s[42:43], -1
	s_waitcnt vmcnt(0)
	v_cmp_eq_u16_e64 s[6:7], v18, v20
	s_and_saveexec_b64 s[8:9], s[6:7]
	s_cbranch_execz .LBB743_169
; %bb.163:
	v_mov_b32_e32 v18, s17
	v_addc_co_u32_e64 v19, s[4:5], v19, v18, s[4:5]
	v_add_co_u32_e64 v18, s[4:5], 2, v24
	v_mov_b32_e32 v20, s17
	v_addc_co_u32_e64 v19, s[4:5], 0, v19, s[4:5]
	v_addc_co_u32_e32 v21, vcc, v21, v20, vcc
	v_add_co_u32_e32 v20, vcc, 2, v22
	s_add_u32 s4, s26, -1
	v_addc_co_u32_e32 v21, vcc, 0, v21, vcc
	s_addc_u32 s5, s27, -1
	s_mov_b64 s[6:7], 0
	s_mov_b64 s[44:45], 0
                                        ; implicit-def: $sgpr42_sgpr43
	s_branch .LBB743_166
.LBB743_164:                            ;   in Loop: Header=BB743_166 Depth=1
	global_load_ushort v22, v[20:21], off
	global_load_ushort v23, v[18:19], off
	v_add_co_u32_e32 v18, vcc, 2, v18
	v_addc_co_u32_e32 v19, vcc, 0, v19, vcc
	v_add_co_u32_e32 v20, vcc, 2, v20
	v_addc_co_u32_e32 v21, vcc, 0, v21, vcc
	s_add_u32 s44, s44, 1
	s_addc_u32 s45, s45, 0
	s_andn2_b64 s[42:43], s[42:43], exec
	s_waitcnt vmcnt(0)
	v_cmp_ne_u16_e32 vcc, v22, v23
	s_and_b64 s[46:47], vcc, exec
	s_or_b64 s[42:43], s[42:43], s[46:47]
.LBB743_165:                            ;   in Loop: Header=BB743_166 Depth=1
	s_and_b64 s[46:47], exec, s[42:43]
	s_or_b64 s[6:7], s[46:47], s[6:7]
	v_pk_mov_b32 v[22:23], s[44:45], s[44:45] op_sel:[0,1]
	s_andn2_b64 exec, exec, s[6:7]
	s_cbranch_execz .LBB743_168
.LBB743_166:                            ; =>This Inner Loop Header: Depth=1
	s_or_b64 s[42:43], s[42:43], exec
	s_cmp_eq_u64 s[4:5], s[44:45]
	s_cbranch_scc0 .LBB743_164
; %bb.167:                              ;   in Loop: Header=BB743_166 Depth=1
                                        ; implicit-def: $vgpr18_vgpr19
                                        ; implicit-def: $vgpr20_vgpr21
	s_mov_b64 s[44:45], s[26:27]
	s_branch .LBB743_165
.LBB743_168:
	s_or_b64 exec, exec, s[6:7]
	v_cmp_gt_i64_e32 vcc, s[26:27], v[22:23]
	s_orn2_b64 s[42:43], vcc, exec
.LBB743_169:
	s_or_b64 exec, exec, s[8:9]
.LBB743_170:
	s_and_b64 s[8:9], s[42:43], exec
.LBB743_171:
	s_or_b64 exec, exec, s[40:41]
	v_or_b32_e32 v18, 2, v1
	v_cmp_gt_u32_e32 vcc, s48, v18
	s_and_saveexec_b64 s[40:41], vcc
	s_cbranch_execz .LBB743_182
; %bb.172:
	s_andn2_b64 vcc, exec, s[10:11]
	s_mov_b64 s[42:43], 0
	s_cbranch_vccnz .LBB743_181
; %bb.173:
	v_mul_lo_u32 v20, v17, s26
	v_mul_lo_u32 v21, v16, s27
	v_mad_u64_u32 v[18:19], s[4:5], v16, s26, 0
	v_add3_u32 v19, v19, v21, v20
	v_mul_lo_u32 v20, v11, s26
	v_mul_lo_u32 v21, v10, s27
	v_mad_u64_u32 v[24:25], s[4:5], v10, s26, 0
	v_add3_u32 v25, v25, v21, v20
	v_lshlrev_b64 v[20:21], 1, v[18:19]
	v_mov_b32_e32 v18, s17
	v_add_co_u32_e32 v22, vcc, s16, v20
	v_addc_co_u32_e64 v23, s[4:5], v18, v21, vcc
	v_lshlrev_b64 v[18:19], 1, v[24:25]
	v_mov_b32_e32 v20, s17
	v_add_co_u32_e64 v24, s[4:5], s16, v18
	v_addc_co_u32_e64 v25, s[6:7], v20, v19, s[4:5]
	global_load_ushort v18, v[22:23], off
	global_load_ushort v20, v[24:25], off
	s_mov_b64 s[42:43], -1
	s_waitcnt vmcnt(0)
	v_cmp_eq_u16_e64 s[6:7], v18, v20
	s_and_saveexec_b64 s[38:39], s[6:7]
	s_cbranch_execz .LBB743_180
; %bb.174:
	v_mov_b32_e32 v18, s17
	v_addc_co_u32_e64 v19, s[4:5], v19, v18, s[4:5]
	v_add_co_u32_e64 v18, s[4:5], 2, v24
	v_mov_b32_e32 v20, s17
	v_addc_co_u32_e64 v19, s[4:5], 0, v19, s[4:5]
	v_addc_co_u32_e32 v21, vcc, v21, v20, vcc
	v_add_co_u32_e32 v20, vcc, 2, v22
	s_add_u32 s4, s26, -1
	v_addc_co_u32_e32 v21, vcc, 0, v21, vcc
	s_addc_u32 s5, s27, -1
	s_mov_b64 s[6:7], 0
	s_mov_b64 s[44:45], 0
                                        ; implicit-def: $sgpr42_sgpr43
	s_branch .LBB743_177
.LBB743_175:                            ;   in Loop: Header=BB743_177 Depth=1
	global_load_ushort v22, v[20:21], off
	global_load_ushort v23, v[18:19], off
	v_add_co_u32_e32 v18, vcc, 2, v18
	v_addc_co_u32_e32 v19, vcc, 0, v19, vcc
	v_add_co_u32_e32 v20, vcc, 2, v20
	v_addc_co_u32_e32 v21, vcc, 0, v21, vcc
	s_add_u32 s44, s44, 1
	s_addc_u32 s45, s45, 0
	s_andn2_b64 s[42:43], s[42:43], exec
	s_waitcnt vmcnt(0)
	v_cmp_ne_u16_e32 vcc, v22, v23
	s_and_b64 s[46:47], vcc, exec
	s_or_b64 s[42:43], s[42:43], s[46:47]
.LBB743_176:                            ;   in Loop: Header=BB743_177 Depth=1
	s_and_b64 s[46:47], exec, s[42:43]
	s_or_b64 s[6:7], s[46:47], s[6:7]
	v_pk_mov_b32 v[22:23], s[44:45], s[44:45] op_sel:[0,1]
	s_andn2_b64 exec, exec, s[6:7]
	s_cbranch_execz .LBB743_179
.LBB743_177:                            ; =>This Inner Loop Header: Depth=1
	s_or_b64 s[42:43], s[42:43], exec
	s_cmp_eq_u64 s[4:5], s[44:45]
	s_cbranch_scc0 .LBB743_175
; %bb.178:                              ;   in Loop: Header=BB743_177 Depth=1
                                        ; implicit-def: $vgpr18_vgpr19
                                        ; implicit-def: $vgpr20_vgpr21
	s_mov_b64 s[44:45], s[26:27]
	s_branch .LBB743_176
.LBB743_179:
	s_or_b64 exec, exec, s[6:7]
	v_cmp_gt_i64_e32 vcc, s[26:27], v[22:23]
	s_orn2_b64 s[42:43], vcc, exec
.LBB743_180:
	s_or_b64 exec, exec, s[38:39]
.LBB743_181:
	s_and_b64 s[38:39], s[42:43], exec
.LBB743_182:
	s_or_b64 exec, exec, s[40:41]
	v_or_b32_e32 v18, 1, v1
	v_cmp_gt_u32_e32 vcc, s48, v18
	s_mov_b64 s[4:5], 0
	s_and_saveexec_b64 s[40:41], vcc
	s_cbranch_execz .LBB743_193
; %bb.183:
	s_andn2_b64 vcc, exec, s[10:11]
	s_mov_b64 s[44:45], 0
	s_cbranch_vccnz .LBB743_192
; %bb.184:
	v_mul_lo_u32 v20, v15, s26
	v_mul_lo_u32 v21, v14, s27
	v_mad_u64_u32 v[18:19], s[4:5], v14, s26, 0
	v_add3_u32 v19, v19, v21, v20
	v_mul_lo_u32 v20, v17, s26
	v_mul_lo_u32 v21, v16, s27
	v_mad_u64_u32 v[24:25], s[4:5], v16, s26, 0
	v_add3_u32 v25, v25, v21, v20
	v_lshlrev_b64 v[20:21], 1, v[18:19]
	v_mov_b32_e32 v18, s17
	v_add_co_u32_e32 v22, vcc, s16, v20
	v_addc_co_u32_e64 v23, s[4:5], v18, v21, vcc
	v_lshlrev_b64 v[18:19], 1, v[24:25]
	v_mov_b32_e32 v20, s17
	v_add_co_u32_e64 v24, s[4:5], s16, v18
	v_addc_co_u32_e64 v25, s[6:7], v20, v19, s[4:5]
	global_load_ushort v18, v[22:23], off
	global_load_ushort v20, v[24:25], off
	s_mov_b64 s[44:45], -1
	s_waitcnt vmcnt(0)
	v_cmp_eq_u16_e64 s[6:7], v18, v20
	s_and_saveexec_b64 s[42:43], s[6:7]
	s_cbranch_execz .LBB743_191
; %bb.185:
	v_mov_b32_e32 v18, s17
	v_addc_co_u32_e64 v19, s[4:5], v19, v18, s[4:5]
	v_add_co_u32_e64 v18, s[4:5], 2, v24
	v_mov_b32_e32 v20, s17
	v_addc_co_u32_e64 v19, s[4:5], 0, v19, s[4:5]
	v_addc_co_u32_e32 v21, vcc, v21, v20, vcc
	v_add_co_u32_e32 v20, vcc, 2, v22
	s_add_u32 s4, s26, -1
	v_addc_co_u32_e32 v21, vcc, 0, v21, vcc
	s_addc_u32 s5, s27, -1
	s_mov_b64 s[6:7], 0
	s_mov_b64 s[46:47], 0
                                        ; implicit-def: $sgpr44_sgpr45
	s_branch .LBB743_188
.LBB743_186:                            ;   in Loop: Header=BB743_188 Depth=1
	global_load_ushort v22, v[20:21], off
	global_load_ushort v23, v[18:19], off
	v_add_co_u32_e32 v18, vcc, 2, v18
	v_addc_co_u32_e32 v19, vcc, 0, v19, vcc
	v_add_co_u32_e32 v20, vcc, 2, v20
	v_addc_co_u32_e32 v21, vcc, 0, v21, vcc
	s_add_u32 s46, s46, 1
	s_addc_u32 s47, s47, 0
	s_andn2_b64 s[44:45], s[44:45], exec
	s_waitcnt vmcnt(0)
	v_cmp_ne_u16_e32 vcc, v22, v23
	s_and_b64 s[50:51], vcc, exec
	s_or_b64 s[44:45], s[44:45], s[50:51]
.LBB743_187:                            ;   in Loop: Header=BB743_188 Depth=1
	s_and_b64 s[50:51], exec, s[44:45]
	s_or_b64 s[6:7], s[50:51], s[6:7]
	v_pk_mov_b32 v[22:23], s[46:47], s[46:47] op_sel:[0,1]
	s_andn2_b64 exec, exec, s[6:7]
	s_cbranch_execz .LBB743_190
.LBB743_188:                            ; =>This Inner Loop Header: Depth=1
	s_or_b64 s[44:45], s[44:45], exec
	s_cmp_eq_u64 s[4:5], s[46:47]
	s_cbranch_scc0 .LBB743_186
; %bb.189:                              ;   in Loop: Header=BB743_188 Depth=1
                                        ; implicit-def: $vgpr18_vgpr19
                                        ; implicit-def: $vgpr20_vgpr21
	s_mov_b64 s[46:47], s[26:27]
	s_branch .LBB743_187
.LBB743_190:
	s_or_b64 exec, exec, s[6:7]
	v_cmp_gt_i64_e32 vcc, s[26:27], v[22:23]
	s_orn2_b64 s[44:45], vcc, exec
.LBB743_191:
	s_or_b64 exec, exec, s[42:43]
.LBB743_192:
	s_and_b64 s[4:5], s[44:45], exec
.LBB743_193:
	s_or_b64 exec, exec, s[40:41]
	v_cndmask_b32_e64 v19, 0, 1, s[8:9]
	v_cndmask_b32_e64 v20, 0, 1, s[4:5]
	;; [unrolled: 1-line block ×3, first 2 shown]
	v_lshlrev_b16_e32 v20, 8, v20
	v_lshlrev_b16_e32 v19, 8, v19
	v_or_b32_e32 v20, 1, v20
	v_or_b32_sdwa v18, v18, v19 dst_sel:WORD_1 dst_unused:UNUSED_PAD src0_sel:DWORD src1_sel:DWORD
	v_or_b32_sdwa v28, v20, v18 dst_sel:DWORD dst_unused:UNUSED_PAD src0_sel:WORD_0 src1_sel:DWORD
	s_waitcnt lgkmcnt(0)
	s_barrier
	s_waitcnt lgkmcnt(0)
                                        ; implicit-def: $sgpr38_sgpr39
	s_and_saveexec_b64 s[6:7], s[2:3]
	s_cbranch_execz .LBB743_206
; %bb.194:
	v_cmp_gt_u32_e32 vcc, s48, v1
	s_mov_b64 s[2:3], 0
	s_and_saveexec_b64 s[8:9], vcc
	s_cbranch_execz .LBB743_205
; %bb.195:
	s_andn2_b64 vcc, exec, s[10:11]
	s_mov_b64 s[38:39], 0
	s_cbranch_vccnz .LBB743_204
; %bb.196:
	v_add_u32_e32 v18, -8, v29
	ds_read_b64 v[18:19], v18
	v_mul_lo_u32 v20, v15, s26
	v_mad_u64_u32 v[24:25], s[2:3], v14, s26, 0
	s_mov_b64 s[38:39], -1
	s_waitcnt lgkmcnt(0)
	v_mul_lo_u32 v21, v19, s26
	v_mul_lo_u32 v22, v18, s27
	v_mad_u64_u32 v[18:19], s[2:3], v18, s26, 0
	v_add3_u32 v19, v19, v22, v21
	v_mul_lo_u32 v21, v14, s27
	v_add3_u32 v25, v25, v21, v20
	v_lshlrev_b64 v[20:21], 1, v[18:19]
	v_mov_b32_e32 v18, s17
	v_add_co_u32_e32 v22, vcc, s16, v20
	v_addc_co_u32_e64 v23, s[2:3], v18, v21, vcc
	v_lshlrev_b64 v[18:19], 1, v[24:25]
	v_mov_b32_e32 v20, s17
	v_add_co_u32_e64 v24, s[2:3], s16, v18
	v_addc_co_u32_e64 v25, s[4:5], v20, v19, s[2:3]
	global_load_ushort v18, v[22:23], off
	global_load_ushort v20, v[24:25], off
	s_waitcnt vmcnt(0)
	v_cmp_eq_u16_e64 s[4:5], v18, v20
	s_and_saveexec_b64 s[10:11], s[4:5]
	s_cbranch_execz .LBB743_203
; %bb.197:
	v_mov_b32_e32 v18, s17
	v_addc_co_u32_e64 v19, s[2:3], v19, v18, s[2:3]
	v_add_co_u32_e64 v18, s[2:3], 2, v24
	v_mov_b32_e32 v20, s17
	v_addc_co_u32_e64 v19, s[2:3], 0, v19, s[2:3]
	v_addc_co_u32_e32 v21, vcc, v21, v20, vcc
	v_add_co_u32_e32 v20, vcc, 2, v22
	s_add_u32 s2, s26, -1
	v_addc_co_u32_e32 v21, vcc, 0, v21, vcc
	s_addc_u32 s3, s27, -1
	s_mov_b64 s[4:5], 0
	s_mov_b64 s[38:39], 0
                                        ; implicit-def: $sgpr16_sgpr17
	s_branch .LBB743_200
.LBB743_198:                            ;   in Loop: Header=BB743_200 Depth=1
	global_load_ushort v22, v[20:21], off
	global_load_ushort v23, v[18:19], off
	v_add_co_u32_e32 v18, vcc, 2, v18
	v_addc_co_u32_e32 v19, vcc, 0, v19, vcc
	v_add_co_u32_e32 v20, vcc, 2, v20
	v_addc_co_u32_e32 v21, vcc, 0, v21, vcc
	s_add_u32 s38, s38, 1
	s_addc_u32 s39, s39, 0
	s_andn2_b64 s[16:17], s[16:17], exec
	s_waitcnt vmcnt(0)
	v_cmp_ne_u16_e32 vcc, v22, v23
	s_and_b64 s[40:41], vcc, exec
	s_or_b64 s[16:17], s[16:17], s[40:41]
.LBB743_199:                            ;   in Loop: Header=BB743_200 Depth=1
	s_and_b64 s[40:41], exec, s[16:17]
	s_or_b64 s[4:5], s[40:41], s[4:5]
	v_pk_mov_b32 v[22:23], s[38:39], s[38:39] op_sel:[0,1]
	s_andn2_b64 exec, exec, s[4:5]
	s_cbranch_execz .LBB743_202
.LBB743_200:                            ; =>This Inner Loop Header: Depth=1
	s_or_b64 s[16:17], s[16:17], exec
	s_cmp_eq_u64 s[2:3], s[38:39]
	s_cbranch_scc0 .LBB743_198
; %bb.201:                              ;   in Loop: Header=BB743_200 Depth=1
                                        ; implicit-def: $vgpr18_vgpr19
                                        ; implicit-def: $vgpr20_vgpr21
	s_mov_b64 s[38:39], s[26:27]
	s_branch .LBB743_199
.LBB743_202:
	s_or_b64 exec, exec, s[4:5]
	v_cmp_gt_i64_e32 vcc, s[26:27], v[22:23]
	s_orn2_b64 s[38:39], vcc, exec
.LBB743_203:
	s_or_b64 exec, exec, s[10:11]
.LBB743_204:
	s_and_b64 s[2:3], s[38:39], exec
.LBB743_205:
	s_or_b64 exec, exec, s[8:9]
	s_and_b64 s[38:39], s[2:3], exec
	s_or_b64 s[14:15], s[14:15], exec
.LBB743_206:
	s_or_b64 exec, exec, s[6:7]
.LBB743_207:
	s_and_saveexec_b64 s[2:3], s[14:15]
	s_cbranch_execz .LBB743_209
; %bb.208:
	s_waitcnt vmcnt(0) lgkmcnt(0)
	v_and_b32_e32 v18, 0xffffff00, v28
	v_cndmask_b32_e64 v19, 0, 1, s[38:39]
	v_or_b32_e32 v18, v19, v18
	v_and_b32_e32 v18, 0xffff, v18
	s_mov_b32 s4, 0xffff0000
	v_and_or_b32 v28, v28, s4, v18
.LBB743_209:
	s_or_b64 exec, exec, s[2:3]
	s_andn2_b64 vcc, exec, s[12:13]
	s_cbranch_vccnz .LBB743_211
; %bb.210:
	v_cmp_gt_u32_e32 vcc, s48, v1
	s_waitcnt vmcnt(0) lgkmcnt(0)
	v_cndmask_b32_e32 v18, 0, v28, vcc
	v_or_b32_e32 v19, 1, v1
	v_and_b32_e32 v18, 0xff, v18
	v_cmp_gt_u32_e32 vcc, s48, v19
	v_cndmask_b32_e32 v18, v18, v28, vcc
	v_or_b32_e32 v19, 2, v1
	v_and_b32_e32 v18, 0xffff, v18
	v_cmp_gt_u32_e32 vcc, s48, v19
	;; [unrolled: 4-line block ×3, first 2 shown]
	v_cndmask_b32_e32 v28, v18, v28, vcc
.LBB743_211:
	v_bfe_u32 v30, v28, 16, 8
	v_lshrrev_b32_e32 v29, 24, v28
	s_waitcnt vmcnt(0) lgkmcnt(0)
	v_add_u32_sdwa v18, v28, v28 dst_sel:DWORD dst_unused:UNUSED_PAD src0_sel:BYTE_1 src1_sel:BYTE_0
	v_add3_u32 v33, v18, v30, v29
	v_mbcnt_lo_u32_b32 v18, -1, 0
	v_mbcnt_hi_u32_b32 v31, -1, v18
	v_and_b32_e32 v18, 15, v31
	v_cmp_eq_u32_e64 s[14:15], 0, v18
	v_cmp_lt_u32_e64 s[12:13], 1, v18
	v_cmp_lt_u32_e64 s[10:11], 3, v18
	;; [unrolled: 1-line block ×3, first 2 shown]
	v_and_b32_e32 v18, 16, v31
	v_cmp_eq_u32_e64 s[6:7], 0, v18
	v_or_b32_e32 v18, 63, v0
	v_cmp_lt_u32_e64 s[2:3], 31, v31
	v_lshrrev_b32_e32 v32, 6, v0
	v_cmp_eq_u32_e64 s[4:5], v18, v0
	s_and_b64 vcc, exec, s[36:37]
	s_barrier
	s_cbranch_vccz .LBB743_238
; %bb.212:
	v_mov_b32_dpp v18, v33 row_shr:1 row_mask:0xf bank_mask:0xf
	v_cndmask_b32_e64 v18, v18, 0, s[14:15]
	v_add_u32_e32 v18, v18, v33
	s_nop 1
	v_mov_b32_dpp v19, v18 row_shr:2 row_mask:0xf bank_mask:0xf
	v_cndmask_b32_e64 v19, 0, v19, s[12:13]
	v_add_u32_e32 v18, v18, v19
	s_nop 1
	v_mov_b32_dpp v19, v18 row_shr:4 row_mask:0xf bank_mask:0xf
	v_cndmask_b32_e64 v19, 0, v19, s[10:11]
	v_add_u32_e32 v18, v18, v19
	s_nop 1
	v_mov_b32_dpp v19, v18 row_shr:8 row_mask:0xf bank_mask:0xf
	v_cndmask_b32_e64 v19, 0, v19, s[8:9]
	v_add_u32_e32 v18, v18, v19
	s_nop 1
	v_mov_b32_dpp v19, v18 row_bcast:15 row_mask:0xf bank_mask:0xf
	v_cndmask_b32_e64 v19, v19, 0, s[6:7]
	v_add_u32_e32 v18, v18, v19
	s_nop 1
	v_mov_b32_dpp v19, v18 row_bcast:31 row_mask:0xf bank_mask:0xf
	v_cndmask_b32_e64 v19, 0, v19, s[2:3]
	v_add_u32_e32 v18, v18, v19
	s_and_saveexec_b64 s[16:17], s[4:5]
	s_cbranch_execz .LBB743_214
; %bb.213:
	v_lshlrev_b32_e32 v19, 2, v32
	ds_write_b32 v19, v18
.LBB743_214:
	s_or_b64 exec, exec, s[16:17]
	v_cmp_gt_u32_e32 vcc, 2, v0
	s_waitcnt lgkmcnt(0)
	s_barrier
	s_and_saveexec_b64 s[16:17], vcc
	s_cbranch_execz .LBB743_216
; %bb.215:
	ds_read_b32 v19, v1
	v_bfe_i32 v20, v31, 0, 1
	s_waitcnt lgkmcnt(0)
	v_mov_b32_dpp v21, v19 row_shr:1 row_mask:0xf bank_mask:0xf
	v_and_b32_e32 v20, v20, v21
	v_add_u32_e32 v19, v20, v19
	ds_write_b32 v1, v19
.LBB743_216:
	s_or_b64 exec, exec, s[16:17]
	v_cmp_gt_u32_e32 vcc, 64, v0
	v_cmp_lt_u32_e64 s[16:17], 63, v0
	s_waitcnt lgkmcnt(0)
	s_barrier
	s_waitcnt lgkmcnt(0)
                                        ; implicit-def: $vgpr34
	s_and_saveexec_b64 s[26:27], s[16:17]
	s_cbranch_execz .LBB743_218
; %bb.217:
	v_lshl_add_u32 v19, v32, 2, -4
	ds_read_b32 v34, v19
	s_waitcnt lgkmcnt(0)
	v_add_u32_e32 v18, v34, v18
.LBB743_218:
	s_or_b64 exec, exec, s[26:27]
	v_add_u32_e32 v19, -1, v31
	v_and_b32_e32 v20, 64, v31
	v_cmp_lt_i32_e64 s[16:17], v19, v20
	v_cndmask_b32_e64 v19, v19, v31, s[16:17]
	v_lshlrev_b32_e32 v19, 2, v19
	ds_bpermute_b32 v35, v19, v18
	v_cmp_eq_u32_e64 s[16:17], 0, v31
	s_and_saveexec_b64 s[26:27], vcc
	s_cbranch_execz .LBB743_237
; %bb.219:
	v_mov_b32_e32 v25, 0
	ds_read_b32 v18, v25 offset:4
	s_and_saveexec_b64 s[36:37], s[16:17]
	s_cbranch_execz .LBB743_221
; %bb.220:
	s_add_i32 s38, s33, 64
	s_mov_b32 s39, 0
	s_lshl_b64 s[38:39], s[38:39], 3
	s_add_u32 s38, s18, s38
	v_mov_b32_e32 v19, 1
	s_addc_u32 s39, s19, s39
	s_waitcnt lgkmcnt(0)
	global_store_dwordx2 v25, v[18:19], s[38:39]
.LBB743_221:
	s_or_b64 exec, exec, s[36:37]
	v_xad_u32 v20, v31, -1, s33
	v_add_u32_e32 v24, 64, v20
	v_lshlrev_b64 v[22:23], 3, v[24:25]
	v_mov_b32_e32 v19, s19
	v_add_co_u32_e32 v26, vcc, s18, v22
	v_addc_co_u32_e32 v27, vcc, v19, v23, vcc
	global_load_dwordx2 v[22:23], v[26:27], off glc
	s_waitcnt vmcnt(0)
	v_cmp_eq_u16_sdwa s[38:39], v23, v25 src0_sel:BYTE_0 src1_sel:DWORD
	s_and_saveexec_b64 s[36:37], s[38:39]
	s_cbranch_execz .LBB743_225
; %bb.222:
	s_mov_b64 s[38:39], 0
	v_mov_b32_e32 v19, 0
.LBB743_223:                            ; =>This Inner Loop Header: Depth=1
	global_load_dwordx2 v[22:23], v[26:27], off glc
	s_waitcnt vmcnt(0)
	v_cmp_ne_u16_sdwa s[40:41], v23, v19 src0_sel:BYTE_0 src1_sel:DWORD
	s_or_b64 s[38:39], s[40:41], s[38:39]
	s_andn2_b64 exec, exec, s[38:39]
	s_cbranch_execnz .LBB743_223
; %bb.224:
	s_or_b64 exec, exec, s[38:39]
.LBB743_225:
	s_or_b64 exec, exec, s[36:37]
	v_and_b32_e32 v36, 63, v31
	v_mov_b32_e32 v19, 2
	v_cmp_ne_u32_e32 vcc, 63, v36
	v_cmp_eq_u16_sdwa s[36:37], v23, v19 src0_sel:BYTE_0 src1_sel:DWORD
	v_lshlrev_b64 v[24:25], v31, -1
	v_addc_co_u32_e32 v27, vcc, 0, v31, vcc
	v_and_b32_e32 v21, s37, v25
	v_lshlrev_b32_e32 v37, 2, v27
	v_or_b32_e32 v21, 0x80000000, v21
	ds_bpermute_b32 v27, v37, v22
	v_and_b32_e32 v26, s36, v24
	v_ffbl_b32_e32 v21, v21
	v_add_u32_e32 v21, 32, v21
	v_ffbl_b32_e32 v26, v26
	v_min_u32_e32 v21, v26, v21
	v_cmp_lt_u32_e32 vcc, v36, v21
	s_waitcnt lgkmcnt(0)
	v_cndmask_b32_e32 v26, 0, v27, vcc
	v_cmp_gt_u32_e32 vcc, 62, v36
	v_add_u32_e32 v22, v26, v22
	v_cndmask_b32_e64 v26, 0, 1, vcc
	v_lshlrev_b32_e32 v26, 1, v26
	v_add_lshl_u32 v38, v26, v31, 2
	ds_bpermute_b32 v26, v38, v22
	v_add_u32_e32 v39, 2, v36
	v_cmp_le_u32_e32 vcc, v39, v21
	v_add_u32_e32 v41, 4, v36
	v_add_u32_e32 v43, 8, v36
	s_waitcnt lgkmcnt(0)
	v_cndmask_b32_e32 v26, 0, v26, vcc
	v_cmp_gt_u32_e32 vcc, 60, v36
	v_add_u32_e32 v22, v22, v26
	v_cndmask_b32_e64 v26, 0, 1, vcc
	v_lshlrev_b32_e32 v26, 2, v26
	v_add_lshl_u32 v40, v26, v31, 2
	ds_bpermute_b32 v26, v40, v22
	v_cmp_le_u32_e32 vcc, v41, v21
	v_add_u32_e32 v46, 16, v36
	v_add_u32_e32 v48, 32, v36
	s_waitcnt lgkmcnt(0)
	v_cndmask_b32_e32 v26, 0, v26, vcc
	v_cmp_gt_u32_e32 vcc, 56, v36
	v_add_u32_e32 v22, v22, v26
	v_cndmask_b32_e64 v26, 0, 1, vcc
	v_lshlrev_b32_e32 v26, 3, v26
	v_add_lshl_u32 v42, v26, v31, 2
	ds_bpermute_b32 v26, v42, v22
	v_cmp_le_u32_e32 vcc, v43, v21
	s_waitcnt lgkmcnt(0)
	v_cndmask_b32_e32 v26, 0, v26, vcc
	v_cmp_gt_u32_e32 vcc, 48, v36
	v_add_u32_e32 v22, v22, v26
	v_cndmask_b32_e64 v26, 0, 1, vcc
	v_lshlrev_b32_e32 v26, 4, v26
	v_add_lshl_u32 v45, v26, v31, 2
	ds_bpermute_b32 v26, v45, v22
	v_cmp_le_u32_e32 vcc, v46, v21
	;; [unrolled: 9-line block ×3, first 2 shown]
	s_waitcnt lgkmcnt(0)
	v_cndmask_b32_e32 v21, 0, v26, vcc
	v_add_u32_e32 v22, v22, v21
	v_mov_b32_e32 v21, 0
	s_branch .LBB743_227
.LBB743_226:                            ;   in Loop: Header=BB743_227 Depth=1
	s_or_b64 exec, exec, s[36:37]
	v_cmp_eq_u16_sdwa s[36:37], v23, v19 src0_sel:BYTE_0 src1_sel:DWORD
	v_and_b32_e32 v26, s37, v25
	v_or_b32_e32 v26, 0x80000000, v26
	ds_bpermute_b32 v49, v37, v22
	v_and_b32_e32 v27, s36, v24
	v_ffbl_b32_e32 v26, v26
	v_add_u32_e32 v26, 32, v26
	v_ffbl_b32_e32 v27, v27
	v_min_u32_e32 v26, v27, v26
	v_cmp_lt_u32_e32 vcc, v36, v26
	s_waitcnt lgkmcnt(0)
	v_cndmask_b32_e32 v27, 0, v49, vcc
	v_add_u32_e32 v22, v27, v22
	ds_bpermute_b32 v27, v38, v22
	v_cmp_le_u32_e32 vcc, v39, v26
	v_subrev_u32_e32 v20, 64, v20
	s_waitcnt lgkmcnt(0)
	v_cndmask_b32_e32 v27, 0, v27, vcc
	v_add_u32_e32 v22, v22, v27
	ds_bpermute_b32 v27, v40, v22
	v_cmp_le_u32_e32 vcc, v41, v26
	s_waitcnt lgkmcnt(0)
	v_cndmask_b32_e32 v27, 0, v27, vcc
	v_add_u32_e32 v22, v22, v27
	ds_bpermute_b32 v27, v42, v22
	v_cmp_le_u32_e32 vcc, v43, v26
	;; [unrolled: 5-line block ×4, first 2 shown]
	s_waitcnt lgkmcnt(0)
	v_cndmask_b32_e32 v26, 0, v27, vcc
	v_add3_u32 v22, v26, v44, v22
.LBB743_227:                            ; =>This Loop Header: Depth=1
                                        ;     Child Loop BB743_230 Depth 2
	v_cmp_ne_u16_sdwa s[36:37], v23, v19 src0_sel:BYTE_0 src1_sel:DWORD
	v_cndmask_b32_e64 v23, 0, 1, s[36:37]
	;;#ASMSTART
	;;#ASMEND
	v_cmp_ne_u32_e32 vcc, 0, v23
	s_cmp_lg_u64 vcc, exec
	v_mov_b32_e32 v44, v22
	s_cbranch_scc1 .LBB743_232
; %bb.228:                              ;   in Loop: Header=BB743_227 Depth=1
	v_lshlrev_b64 v[22:23], 3, v[20:21]
	v_mov_b32_e32 v27, s19
	v_add_co_u32_e32 v26, vcc, s18, v22
	v_addc_co_u32_e32 v27, vcc, v27, v23, vcc
	global_load_dwordx2 v[22:23], v[26:27], off glc
	s_waitcnt vmcnt(0)
	v_cmp_eq_u16_sdwa s[38:39], v23, v21 src0_sel:BYTE_0 src1_sel:DWORD
	s_and_saveexec_b64 s[36:37], s[38:39]
	s_cbranch_execz .LBB743_226
; %bb.229:                              ;   in Loop: Header=BB743_227 Depth=1
	s_mov_b64 s[38:39], 0
.LBB743_230:                            ;   Parent Loop BB743_227 Depth=1
                                        ; =>  This Inner Loop Header: Depth=2
	global_load_dwordx2 v[22:23], v[26:27], off glc
	s_waitcnt vmcnt(0)
	v_cmp_ne_u16_sdwa s[40:41], v23, v21 src0_sel:BYTE_0 src1_sel:DWORD
	s_or_b64 s[38:39], s[40:41], s[38:39]
	s_andn2_b64 exec, exec, s[38:39]
	s_cbranch_execnz .LBB743_230
; %bb.231:                              ;   in Loop: Header=BB743_227 Depth=1
	s_or_b64 exec, exec, s[38:39]
	s_branch .LBB743_226
.LBB743_232:                            ;   in Loop: Header=BB743_227 Depth=1
                                        ; implicit-def: $vgpr22
                                        ; implicit-def: $vgpr23
	s_cbranch_execz .LBB743_227
; %bb.233:
	s_and_saveexec_b64 s[36:37], s[16:17]
	s_cbranch_execz .LBB743_235
; %bb.234:
	s_add_i32 s38, s33, 64
	s_mov_b32 s39, 0
	s_lshl_b64 s[38:39], s[38:39], 3
	s_add_u32 s38, s18, s38
	v_add_u32_e32 v20, v44, v18
	v_mov_b32_e32 v21, 2
	s_addc_u32 s39, s19, s39
	v_mov_b32_e32 v19, 0
	s_movk_i32 s33, 0x1000
	global_store_dwordx2 v19, v[20:21], s[38:39]
	v_add_u32_e64 v19, s33, 0
	ds_write2_b32 v19, v18, v44 offset0:32 offset1:34
.LBB743_235:
	s_or_b64 exec, exec, s[36:37]
	s_and_b64 exec, exec, s[0:1]
	s_cbranch_execz .LBB743_237
; %bb.236:
	v_mov_b32_e32 v18, 0
	ds_write_b32 v18, v44 offset:4
.LBB743_237:
	s_or_b64 exec, exec, s[26:27]
	v_mov_b32_e32 v19, 0
	s_waitcnt lgkmcnt(0)
	s_barrier
	ds_read_b32 v19, v19 offset:4
	v_cndmask_b32_e64 v18, v35, v34, s[16:17]
	s_movk_i32 s16, 0x1000
	v_add_u32_e64 v20, s16, 0
	s_waitcnt lgkmcnt(0)
	s_barrier
	ds_read2_b32 v[26:27], v20 offset0:32 offset1:34
	v_cndmask_b32_e64 v18, v18, 0, s[0:1]
	v_add_u32_e32 v24, v19, v18
	v_add_u32_sdwa v22, v24, v28 dst_sel:DWORD dst_unused:UNUSED_PAD src0_sel:DWORD src1_sel:BYTE_0
	v_add_u32_sdwa v20, v22, v28 dst_sel:DWORD dst_unused:UNUSED_PAD src0_sel:DWORD src1_sel:BYTE_1
	v_add_u32_e32 v18, v20, v30
	s_waitcnt lgkmcnt(0)
	v_readfirstlane_b32 s33, v26
	v_readfirstlane_b32 s16, v27
	s_branch .LBB743_248
.LBB743_238:
                                        ; implicit-def: $vgpr18
                                        ; implicit-def: $vgpr20
                                        ; implicit-def: $vgpr22
                                        ; implicit-def: $vgpr24
                                        ; implicit-def: $sgpr16
                                        ; implicit-def: $sgpr33
	s_cbranch_execz .LBB743_248
; %bb.239:
	s_nop 0
	v_mov_b32_dpp v18, v33 row_shr:1 row_mask:0xf bank_mask:0xf
	v_cndmask_b32_e64 v18, v18, 0, s[14:15]
	v_add_u32_e32 v18, v18, v33
	s_nop 1
	v_mov_b32_dpp v19, v18 row_shr:2 row_mask:0xf bank_mask:0xf
	v_cndmask_b32_e64 v19, 0, v19, s[12:13]
	v_add_u32_e32 v18, v18, v19
	;; [unrolled: 4-line block ×4, first 2 shown]
	s_nop 1
	v_mov_b32_dpp v19, v18 row_bcast:15 row_mask:0xf bank_mask:0xf
	v_cndmask_b32_e64 v19, v19, 0, s[6:7]
	v_add_u32_e32 v18, v18, v19
	s_nop 1
	v_mov_b32_dpp v19, v18 row_bcast:31 row_mask:0xf bank_mask:0xf
	v_cndmask_b32_e64 v19, 0, v19, s[2:3]
	v_add_u32_e32 v18, v18, v19
	s_and_saveexec_b64 s[2:3], s[4:5]
	s_cbranch_execz .LBB743_241
; %bb.240:
	v_lshlrev_b32_e32 v19, 2, v32
	ds_write_b32 v19, v18
.LBB743_241:
	s_or_b64 exec, exec, s[2:3]
	v_cmp_gt_u32_e32 vcc, 2, v0
	s_waitcnt lgkmcnt(0)
	s_barrier
	s_and_saveexec_b64 s[2:3], vcc
	s_cbranch_execz .LBB743_243
; %bb.242:
	ds_read_b32 v19, v1
	v_bfe_i32 v20, v31, 0, 1
	s_waitcnt lgkmcnt(0)
	v_mov_b32_dpp v21, v19 row_shr:1 row_mask:0xf bank_mask:0xf
	v_and_b32_e32 v20, v20, v21
	v_add_u32_e32 v19, v20, v19
	ds_write_b32 v1, v19
.LBB743_243:
	s_or_b64 exec, exec, s[2:3]
	v_cmp_lt_u32_e32 vcc, 63, v0
	v_mov_b32_e32 v19, 0
	v_mov_b32_e32 v1, 0
	s_waitcnt lgkmcnt(0)
	s_barrier
	s_and_saveexec_b64 s[2:3], vcc
	s_cbranch_execz .LBB743_245
; %bb.244:
	v_lshl_add_u32 v1, v32, 2, -4
	ds_read_b32 v1, v1
.LBB743_245:
	s_or_b64 exec, exec, s[2:3]
	v_add_u32_e32 v20, -1, v31
	v_and_b32_e32 v21, 64, v31
	v_cmp_lt_i32_e32 vcc, v20, v21
	v_cndmask_b32_e32 v20, v20, v31, vcc
	s_waitcnt lgkmcnt(0)
	v_add_u32_e32 v18, v1, v18
	v_lshlrev_b32_e32 v20, 2, v20
	ds_read_b32 v19, v19 offset:4
	ds_bpermute_b32 v18, v20, v18
	s_waitcnt lgkmcnt(1)
	v_readfirstlane_b32 s33, v19
	s_and_saveexec_b64 s[2:3], s[0:1]
	s_cbranch_execz .LBB743_247
; %bb.246:
	v_mov_b32_e32 v19, 0
	v_mov_b32_e32 v20, s33
	v_mov_b32_e32 v21, 2
	global_store_dwordx2 v19, v[20:21], s[18:19] offset:512
.LBB743_247:
	s_or_b64 exec, exec, s[2:3]
	v_cmp_eq_u32_e32 vcc, 0, v31
	s_waitcnt lgkmcnt(0)
	v_cndmask_b32_e32 v1, v18, v1, vcc
	v_cndmask_b32_e64 v24, v1, 0, s[0:1]
	v_add_u32_sdwa v22, v24, v28 dst_sel:DWORD dst_unused:UNUSED_PAD src0_sel:DWORD src1_sel:BYTE_0
	v_add_u32_sdwa v20, v22, v28 dst_sel:DWORD dst_unused:UNUSED_PAD src0_sel:DWORD src1_sel:BYTE_1
	s_mov_b32 s16, 0
	v_add_u32_e32 v18, v20, v30
	s_barrier
.LBB743_248:
	s_cmpk_lt_u32 s33, 0x81
	s_cselect_b64 s[4:5], -1, 0
	v_lshrrev_b32_e32 v1, 8, v28
	s_mov_b64 s[2:3], -1
	s_and_b64 vcc, exec, s[4:5]
	s_cbranch_vccz .LBB743_262
; %bb.249:
	s_add_i32 s6, s16, s33
	v_cmp_gt_u32_e32 vcc, s6, v24
	s_or_b64 s[8:9], s[34:35], vcc
	s_and_saveexec_b64 s[2:3], s[8:9]
	s_cbranch_execz .LBB743_252
; %bb.250:
	v_and_b32_e32 v19, 1, v28
	v_cmp_eq_u32_e32 vcc, 1, v19
	s_and_b64 exec, exec, vcc
	s_cbranch_execz .LBB743_252
; %bb.251:
	s_lshl_b64 s[8:9], s[22:23], 3
	s_add_u32 s7, s28, s8
	v_mov_b32_e32 v25, 0
	s_addc_u32 s8, s29, s9
	v_lshlrev_b64 v[26:27], 3, v[24:25]
	v_mov_b32_e32 v19, s8
	v_add_co_u32_e32 v26, vcc, s7, v26
	v_addc_co_u32_e32 v27, vcc, v19, v27, vcc
	global_store_dwordx2 v[26:27], v[14:15], off
.LBB743_252:
	s_or_b64 exec, exec, s[2:3]
	v_cmp_gt_u32_e32 vcc, s6, v22
	s_or_b64 s[8:9], s[34:35], vcc
	s_and_saveexec_b64 s[2:3], s[8:9]
	s_cbranch_execz .LBB743_255
; %bb.253:
	v_and_b32_e32 v19, 1, v1
	v_cmp_eq_u32_e32 vcc, 1, v19
	s_and_b64 exec, exec, vcc
	s_cbranch_execz .LBB743_255
; %bb.254:
	s_lshl_b64 s[8:9], s[22:23], 3
	s_add_u32 s7, s28, s8
	v_mov_b32_e32 v23, 0
	s_addc_u32 s8, s29, s9
	v_lshlrev_b64 v[26:27], 3, v[22:23]
	v_mov_b32_e32 v19, s8
	v_add_co_u32_e32 v26, vcc, s7, v26
	v_addc_co_u32_e32 v27, vcc, v19, v27, vcc
	global_store_dwordx2 v[26:27], v[16:17], off
.LBB743_255:
	s_or_b64 exec, exec, s[2:3]
	v_cmp_gt_u32_e32 vcc, s6, v20
	s_or_b64 s[8:9], s[34:35], vcc
	s_and_saveexec_b64 s[2:3], s[8:9]
	s_cbranch_execz .LBB743_258
; %bb.256:
	v_mov_b32_e32 v19, 1
	v_and_b32_sdwa v19, v19, v28 dst_sel:DWORD dst_unused:UNUSED_PAD src0_sel:DWORD src1_sel:WORD_1
	v_cmp_eq_u32_e32 vcc, 1, v19
	s_and_b64 exec, exec, vcc
	s_cbranch_execz .LBB743_258
; %bb.257:
	s_lshl_b64 s[8:9], s[22:23], 3
	s_add_u32 s7, s28, s8
	v_mov_b32_e32 v21, 0
	s_addc_u32 s8, s29, s9
	v_lshlrev_b64 v[26:27], 3, v[20:21]
	v_mov_b32_e32 v19, s8
	v_add_co_u32_e32 v26, vcc, s7, v26
	v_addc_co_u32_e32 v27, vcc, v19, v27, vcc
	global_store_dwordx2 v[26:27], v[10:11], off
.LBB743_258:
	s_or_b64 exec, exec, s[2:3]
	v_cmp_gt_u32_e32 vcc, s6, v18
	s_or_b64 s[6:7], s[34:35], vcc
	s_and_saveexec_b64 s[2:3], s[6:7]
	s_cbranch_execz .LBB743_261
; %bb.259:
	v_and_b32_e32 v19, 1, v29
	v_cmp_eq_u32_e32 vcc, 1, v19
	s_and_b64 exec, exec, vcc
	s_cbranch_execz .LBB743_261
; %bb.260:
	s_lshl_b64 s[6:7], s[22:23], 3
	s_add_u32 s6, s28, s6
	v_mov_b32_e32 v19, 0
	s_addc_u32 s7, s29, s7
	v_lshlrev_b64 v[26:27], 3, v[18:19]
	v_mov_b32_e32 v19, s7
	v_add_co_u32_e32 v26, vcc, s6, v26
	v_addc_co_u32_e32 v27, vcc, v19, v27, vcc
	global_store_dwordx2 v[26:27], v[12:13], off
.LBB743_261:
	s_or_b64 exec, exec, s[2:3]
	s_mov_b64 s[2:3], 0
.LBB743_262:
	v_and_b32_e32 v26, 1, v28
	s_and_b64 vcc, exec, s[2:3]
	v_cmp_eq_u32_e64 s[2:3], 1, v26
	s_cbranch_vccz .LBB743_275
; %bb.263:
	s_and_saveexec_b64 s[6:7], s[2:3]
	s_cbranch_execz .LBB743_265
; %bb.264:
	v_subrev_u32_e32 v19, s16, v24
	v_lshlrev_b32_e32 v19, 3, v19
	ds_write_b64 v19, v[14:15]
.LBB743_265:
	s_or_b64 exec, exec, s[6:7]
	v_and_b32_e32 v14, 1, v1
	v_cmp_eq_u32_e32 vcc, 1, v14
	s_and_saveexec_b64 s[2:3], vcc
	s_cbranch_execz .LBB743_267
; %bb.266:
	v_subrev_u32_e32 v14, s16, v22
	v_lshlrev_b32_e32 v14, 3, v14
	ds_write_b64 v14, v[16:17]
.LBB743_267:
	s_or_b64 exec, exec, s[2:3]
	v_mov_b32_e32 v14, 1
	v_and_b32_sdwa v14, v14, v28 dst_sel:DWORD dst_unused:UNUSED_PAD src0_sel:DWORD src1_sel:WORD_1
	v_cmp_eq_u32_e32 vcc, 1, v14
	s_and_saveexec_b64 s[2:3], vcc
	s_cbranch_execz .LBB743_269
; %bb.268:
	v_subrev_u32_e32 v14, s16, v20
	v_lshlrev_b32_e32 v14, 3, v14
	ds_write_b64 v14, v[10:11]
.LBB743_269:
	s_or_b64 exec, exec, s[2:3]
	v_and_b32_e32 v10, 1, v29
	v_cmp_eq_u32_e32 vcc, 1, v10
	s_and_saveexec_b64 s[2:3], vcc
	s_cbranch_execz .LBB743_271
; %bb.270:
	v_subrev_u32_e32 v10, s16, v18
	v_lshlrev_b32_e32 v10, 3, v10
	ds_write_b64 v10, v[12:13]
.LBB743_271:
	s_or_b64 exec, exec, s[2:3]
	v_cmp_gt_u32_e32 vcc, s33, v0
	s_waitcnt lgkmcnt(0)
	s_barrier
	s_and_saveexec_b64 s[2:3], vcc
	s_cbranch_execz .LBB743_274
; %bb.272:
	s_mov_b32 s17, 0
	s_lshl_b64 s[6:7], s[16:17], 3
	s_add_u32 s8, s28, s6
	s_addc_u32 s9, s29, s7
	s_lshl_b64 s[6:7], s[22:23], 3
	s_add_u32 s8, s8, s6
	s_addc_u32 s9, s9, s7
	v_lshlrev_b32_e32 v12, 3, v0
	s_mov_b64 s[6:7], 0
	v_mov_b32_e32 v11, 0
	v_mov_b32_e32 v13, s9
	;; [unrolled: 1-line block ×3, first 2 shown]
.LBB743_273:                            ; =>This Inner Loop Header: Depth=1
	ds_read_b64 v[14:15], v12
	v_lshlrev_b64 v[16:17], 3, v[10:11]
	v_add_co_u32_e32 v16, vcc, s8, v16
	v_add_u32_e32 v10, 0x80, v10
	v_addc_co_u32_e32 v17, vcc, v13, v17, vcc
	v_cmp_le_u32_e32 vcc, s33, v10
	v_add_u32_e32 v12, 0x400, v12
	s_or_b64 s[6:7], vcc, s[6:7]
	s_waitcnt lgkmcnt(0)
	global_store_dwordx2 v[16:17], v[14:15], off
	s_andn2_b64 exec, exec, s[6:7]
	s_cbranch_execnz .LBB743_273
.LBB743_274:
	s_or_b64 exec, exec, s[2:3]
.LBB743_275:
	s_mov_b64 s[2:3], -1
	s_and_b64 vcc, exec, s[4:5]
	s_barrier
	s_cbranch_vccnz .LBB743_279
; %bb.276:
	s_and_b64 vcc, exec, s[2:3]
	s_cbranch_vccnz .LBB743_292
.LBB743_277:
	s_and_b64 s[0:1], s[0:1], s[24:25]
	s_and_saveexec_b64 s[2:3], s[0:1]
	s_cbranch_execnz .LBB743_304
.LBB743_278:
	s_endpgm
.LBB743_279:
	s_add_i32 s4, s16, s33
	v_cmp_gt_u32_e32 vcc, s4, v24
	s_or_b64 s[6:7], s[34:35], vcc
	s_and_saveexec_b64 s[2:3], s[6:7]
	s_cbranch_execz .LBB743_282
; %bb.280:
	v_cmp_eq_u32_e32 vcc, 1, v26
	s_and_b64 exec, exec, vcc
	s_cbranch_execz .LBB743_282
; %bb.281:
	s_lshl_b64 s[6:7], s[22:23], 3
	s_add_u32 s5, s30, s6
	v_mov_b32_e32 v25, 0
	s_addc_u32 s6, s31, s7
	v_lshlrev_b64 v[10:11], 3, v[24:25]
	v_mov_b32_e32 v12, s6
	v_add_co_u32_e32 v10, vcc, s5, v10
	v_addc_co_u32_e32 v11, vcc, v12, v11, vcc
	global_store_dwordx2 v[10:11], v[6:7], off
.LBB743_282:
	s_or_b64 exec, exec, s[2:3]
	v_cmp_gt_u32_e32 vcc, s4, v22
	s_or_b64 s[6:7], s[34:35], vcc
	s_and_saveexec_b64 s[2:3], s[6:7]
	s_cbranch_execz .LBB743_285
; %bb.283:
	v_and_b32_e32 v10, 1, v1
	v_cmp_eq_u32_e32 vcc, 1, v10
	s_and_b64 exec, exec, vcc
	s_cbranch_execz .LBB743_285
; %bb.284:
	s_lshl_b64 s[6:7], s[22:23], 3
	s_add_u32 s5, s30, s6
	v_mov_b32_e32 v23, 0
	s_addc_u32 s6, s31, s7
	v_lshlrev_b64 v[10:11], 3, v[22:23]
	v_mov_b32_e32 v12, s6
	v_add_co_u32_e32 v10, vcc, s5, v10
	v_addc_co_u32_e32 v11, vcc, v12, v11, vcc
	global_store_dwordx2 v[10:11], v[8:9], off
.LBB743_285:
	s_or_b64 exec, exec, s[2:3]
	v_cmp_gt_u32_e32 vcc, s4, v20
	s_or_b64 s[6:7], s[34:35], vcc
	s_and_saveexec_b64 s[2:3], s[6:7]
	s_cbranch_execz .LBB743_288
; %bb.286:
	v_mov_b32_e32 v10, 1
	v_and_b32_sdwa v10, v10, v28 dst_sel:DWORD dst_unused:UNUSED_PAD src0_sel:DWORD src1_sel:WORD_1
	v_cmp_eq_u32_e32 vcc, 1, v10
	s_and_b64 exec, exec, vcc
	s_cbranch_execz .LBB743_288
; %bb.287:
	s_lshl_b64 s[6:7], s[22:23], 3
	s_add_u32 s5, s30, s6
	v_mov_b32_e32 v21, 0
	s_addc_u32 s6, s31, s7
	v_lshlrev_b64 v[10:11], 3, v[20:21]
	v_mov_b32_e32 v12, s6
	v_add_co_u32_e32 v10, vcc, s5, v10
	v_addc_co_u32_e32 v11, vcc, v12, v11, vcc
	global_store_dwordx2 v[10:11], v[2:3], off
.LBB743_288:
	s_or_b64 exec, exec, s[2:3]
	v_cmp_gt_u32_e32 vcc, s4, v18
	s_or_b64 s[4:5], s[34:35], vcc
	s_and_saveexec_b64 s[2:3], s[4:5]
	s_cbranch_execz .LBB743_291
; %bb.289:
	v_and_b32_e32 v10, 1, v29
	v_cmp_eq_u32_e32 vcc, 1, v10
	s_and_b64 exec, exec, vcc
	s_cbranch_execz .LBB743_291
; %bb.290:
	s_lshl_b64 s[4:5], s[22:23], 3
	s_add_u32 s4, s30, s4
	v_mov_b32_e32 v19, 0
	s_addc_u32 s5, s31, s5
	v_lshlrev_b64 v[10:11], 3, v[18:19]
	v_mov_b32_e32 v12, s5
	v_add_co_u32_e32 v10, vcc, s4, v10
	v_addc_co_u32_e32 v11, vcc, v12, v11, vcc
	global_store_dwordx2 v[10:11], v[4:5], off
.LBB743_291:
	s_or_b64 exec, exec, s[2:3]
	s_branch .LBB743_277
.LBB743_292:
	v_cmp_eq_u32_e32 vcc, 1, v26
	s_and_saveexec_b64 s[2:3], vcc
	s_cbranch_execz .LBB743_294
; %bb.293:
	v_subrev_u32_e32 v10, s16, v24
	v_lshlrev_b32_e32 v10, 3, v10
	ds_write_b64 v10, v[6:7]
.LBB743_294:
	s_or_b64 exec, exec, s[2:3]
	v_and_b32_e32 v1, 1, v1
	v_cmp_eq_u32_e32 vcc, 1, v1
	s_and_saveexec_b64 s[2:3], vcc
	s_cbranch_execz .LBB743_296
; %bb.295:
	v_subrev_u32_e32 v1, s16, v22
	v_lshlrev_b32_e32 v1, 3, v1
	ds_write_b64 v1, v[8:9]
.LBB743_296:
	s_or_b64 exec, exec, s[2:3]
	v_mov_b32_e32 v1, 1
	v_and_b32_sdwa v1, v1, v28 dst_sel:DWORD dst_unused:UNUSED_PAD src0_sel:DWORD src1_sel:WORD_1
	v_cmp_eq_u32_e32 vcc, 1, v1
	s_and_saveexec_b64 s[2:3], vcc
	s_cbranch_execz .LBB743_298
; %bb.297:
	v_subrev_u32_e32 v1, s16, v20
	v_lshlrev_b32_e32 v1, 3, v1
	ds_write_b64 v1, v[2:3]
.LBB743_298:
	s_or_b64 exec, exec, s[2:3]
	v_and_b32_e32 v1, 1, v29
	v_cmp_eq_u32_e32 vcc, 1, v1
	s_and_saveexec_b64 s[2:3], vcc
	s_cbranch_execz .LBB743_300
; %bb.299:
	v_subrev_u32_e32 v1, s16, v18
	v_lshlrev_b32_e32 v1, 3, v1
	ds_write_b64 v1, v[4:5]
.LBB743_300:
	s_or_b64 exec, exec, s[2:3]
	v_cmp_gt_u32_e32 vcc, s33, v0
	s_waitcnt lgkmcnt(0)
	s_barrier
	s_and_saveexec_b64 s[2:3], vcc
	s_cbranch_execz .LBB743_303
; %bb.301:
	s_mov_b32 s17, 0
	s_lshl_b64 s[4:5], s[16:17], 3
	s_add_u32 s6, s30, s4
	s_addc_u32 s7, s31, s5
	s_lshl_b64 s[4:5], s[22:23], 3
	s_add_u32 s6, s6, s4
	s_addc_u32 s7, s7, s5
	v_lshlrev_b32_e32 v2, 3, v0
	s_mov_b64 s[4:5], 0
	v_mov_b32_e32 v1, 0
	v_mov_b32_e32 v3, s7
.LBB743_302:                            ; =>This Inner Loop Header: Depth=1
	ds_read_b64 v[4:5], v2
	v_lshlrev_b64 v[6:7], 3, v[0:1]
	v_add_co_u32_e32 v6, vcc, s6, v6
	v_add_u32_e32 v0, 0x80, v0
	v_addc_co_u32_e32 v7, vcc, v3, v7, vcc
	v_cmp_le_u32_e32 vcc, s33, v0
	v_add_u32_e32 v2, 0x400, v2
	s_or_b64 s[4:5], vcc, s[4:5]
	s_waitcnt lgkmcnt(0)
	global_store_dwordx2 v[6:7], v[4:5], off
	s_andn2_b64 exec, exec, s[4:5]
	s_cbranch_execnz .LBB743_302
.LBB743_303:
	s_or_b64 exec, exec, s[2:3]
	s_and_b64 s[0:1], s[0:1], s[24:25]
	s_and_saveexec_b64 s[2:3], s[0:1]
	s_cbranch_execz .LBB743_278
.LBB743_304:
	s_add_u32 s0, s22, s33
	s_addc_u32 s1, s23, 0
	s_add_u32 s0, s0, s16
	s_addc_u32 s1, s1, 0
	v_mov_b32_e32 v2, 0
	v_pk_mov_b32 v[0:1], s[0:1], s[0:1] op_sel:[0,1]
	global_store_dwordx2 v2, v[0:1], s[20:21]
	s_endpgm
	.section	.rodata,"a",@progbits
	.p2align	6, 0x0
	.amdhsa_kernel _ZN7rocprim17ROCPRIM_400000_NS6detail17trampoline_kernelINS0_14default_configENS1_25partition_config_selectorILNS1_17partition_subalgoE9EllbEEZZNS1_14partition_implILS5_9ELb0ES3_jPlS8_PNS0_10empty_typeENS0_5tupleIJS8_S9_EEENSB_IJS8_SA_EEENS0_18inequality_wrapperIZN2at6native12_GLOBAL__N_124unique_dim_cuda_templateIsEESt5tupleIJNSF_6TensorESK_SK_EERKSK_lbbbEUlllE0_EEPmJS9_EEE10hipError_tPvRmT3_T4_T5_T6_T7_T9_mT8_P12ihipStream_tbDpT10_ENKUlT_T0_E_clISt17integral_constantIbLb0EES19_IbLb1EEEEDaS15_S16_EUlS15_E_NS1_11comp_targetILNS1_3genE4ELNS1_11target_archE910ELNS1_3gpuE8ELNS1_3repE0EEENS1_30default_config_static_selectorELNS0_4arch9wavefront6targetE1EEEvT1_
		.amdhsa_group_segment_fixed_size 4236
		.amdhsa_private_segment_fixed_size 0
		.amdhsa_kernarg_size 136
		.amdhsa_user_sgpr_count 6
		.amdhsa_user_sgpr_private_segment_buffer 1
		.amdhsa_user_sgpr_dispatch_ptr 0
		.amdhsa_user_sgpr_queue_ptr 0
		.amdhsa_user_sgpr_kernarg_segment_ptr 1
		.amdhsa_user_sgpr_dispatch_id 0
		.amdhsa_user_sgpr_flat_scratch_init 0
		.amdhsa_user_sgpr_kernarg_preload_length 0
		.amdhsa_user_sgpr_kernarg_preload_offset 0
		.amdhsa_user_sgpr_private_segment_size 0
		.amdhsa_uses_dynamic_stack 0
		.amdhsa_system_sgpr_private_segment_wavefront_offset 0
		.amdhsa_system_sgpr_workgroup_id_x 1
		.amdhsa_system_sgpr_workgroup_id_y 0
		.amdhsa_system_sgpr_workgroup_id_z 0
		.amdhsa_system_sgpr_workgroup_info 0
		.amdhsa_system_vgpr_workitem_id 0
		.amdhsa_next_free_vgpr 50
		.amdhsa_next_free_sgpr 52
		.amdhsa_accum_offset 52
		.amdhsa_reserve_vcc 1
		.amdhsa_reserve_flat_scratch 0
		.amdhsa_float_round_mode_32 0
		.amdhsa_float_round_mode_16_64 0
		.amdhsa_float_denorm_mode_32 3
		.amdhsa_float_denorm_mode_16_64 3
		.amdhsa_dx10_clamp 1
		.amdhsa_ieee_mode 1
		.amdhsa_fp16_overflow 0
		.amdhsa_tg_split 0
		.amdhsa_exception_fp_ieee_invalid_op 0
		.amdhsa_exception_fp_denorm_src 0
		.amdhsa_exception_fp_ieee_div_zero 0
		.amdhsa_exception_fp_ieee_overflow 0
		.amdhsa_exception_fp_ieee_underflow 0
		.amdhsa_exception_fp_ieee_inexact 0
		.amdhsa_exception_int_div_zero 0
	.end_amdhsa_kernel
	.section	.text._ZN7rocprim17ROCPRIM_400000_NS6detail17trampoline_kernelINS0_14default_configENS1_25partition_config_selectorILNS1_17partition_subalgoE9EllbEEZZNS1_14partition_implILS5_9ELb0ES3_jPlS8_PNS0_10empty_typeENS0_5tupleIJS8_S9_EEENSB_IJS8_SA_EEENS0_18inequality_wrapperIZN2at6native12_GLOBAL__N_124unique_dim_cuda_templateIsEESt5tupleIJNSF_6TensorESK_SK_EERKSK_lbbbEUlllE0_EEPmJS9_EEE10hipError_tPvRmT3_T4_T5_T6_T7_T9_mT8_P12ihipStream_tbDpT10_ENKUlT_T0_E_clISt17integral_constantIbLb0EES19_IbLb1EEEEDaS15_S16_EUlS15_E_NS1_11comp_targetILNS1_3genE4ELNS1_11target_archE910ELNS1_3gpuE8ELNS1_3repE0EEENS1_30default_config_static_selectorELNS0_4arch9wavefront6targetE1EEEvT1_,"axG",@progbits,_ZN7rocprim17ROCPRIM_400000_NS6detail17trampoline_kernelINS0_14default_configENS1_25partition_config_selectorILNS1_17partition_subalgoE9EllbEEZZNS1_14partition_implILS5_9ELb0ES3_jPlS8_PNS0_10empty_typeENS0_5tupleIJS8_S9_EEENSB_IJS8_SA_EEENS0_18inequality_wrapperIZN2at6native12_GLOBAL__N_124unique_dim_cuda_templateIsEESt5tupleIJNSF_6TensorESK_SK_EERKSK_lbbbEUlllE0_EEPmJS9_EEE10hipError_tPvRmT3_T4_T5_T6_T7_T9_mT8_P12ihipStream_tbDpT10_ENKUlT_T0_E_clISt17integral_constantIbLb0EES19_IbLb1EEEEDaS15_S16_EUlS15_E_NS1_11comp_targetILNS1_3genE4ELNS1_11target_archE910ELNS1_3gpuE8ELNS1_3repE0EEENS1_30default_config_static_selectorELNS0_4arch9wavefront6targetE1EEEvT1_,comdat
.Lfunc_end743:
	.size	_ZN7rocprim17ROCPRIM_400000_NS6detail17trampoline_kernelINS0_14default_configENS1_25partition_config_selectorILNS1_17partition_subalgoE9EllbEEZZNS1_14partition_implILS5_9ELb0ES3_jPlS8_PNS0_10empty_typeENS0_5tupleIJS8_S9_EEENSB_IJS8_SA_EEENS0_18inequality_wrapperIZN2at6native12_GLOBAL__N_124unique_dim_cuda_templateIsEESt5tupleIJNSF_6TensorESK_SK_EERKSK_lbbbEUlllE0_EEPmJS9_EEE10hipError_tPvRmT3_T4_T5_T6_T7_T9_mT8_P12ihipStream_tbDpT10_ENKUlT_T0_E_clISt17integral_constantIbLb0EES19_IbLb1EEEEDaS15_S16_EUlS15_E_NS1_11comp_targetILNS1_3genE4ELNS1_11target_archE910ELNS1_3gpuE8ELNS1_3repE0EEENS1_30default_config_static_selectorELNS0_4arch9wavefront6targetE1EEEvT1_, .Lfunc_end743-_ZN7rocprim17ROCPRIM_400000_NS6detail17trampoline_kernelINS0_14default_configENS1_25partition_config_selectorILNS1_17partition_subalgoE9EllbEEZZNS1_14partition_implILS5_9ELb0ES3_jPlS8_PNS0_10empty_typeENS0_5tupleIJS8_S9_EEENSB_IJS8_SA_EEENS0_18inequality_wrapperIZN2at6native12_GLOBAL__N_124unique_dim_cuda_templateIsEESt5tupleIJNSF_6TensorESK_SK_EERKSK_lbbbEUlllE0_EEPmJS9_EEE10hipError_tPvRmT3_T4_T5_T6_T7_T9_mT8_P12ihipStream_tbDpT10_ENKUlT_T0_E_clISt17integral_constantIbLb0EES19_IbLb1EEEEDaS15_S16_EUlS15_E_NS1_11comp_targetILNS1_3genE4ELNS1_11target_archE910ELNS1_3gpuE8ELNS1_3repE0EEENS1_30default_config_static_selectorELNS0_4arch9wavefront6targetE1EEEvT1_
                                        ; -- End function
	.section	.AMDGPU.csdata,"",@progbits
; Kernel info:
; codeLenInByte = 10900
; NumSgprs: 56
; NumVgprs: 50
; NumAgprs: 0
; TotalNumVgprs: 50
; ScratchSize: 0
; MemoryBound: 0
; FloatMode: 240
; IeeeMode: 1
; LDSByteSize: 4236 bytes/workgroup (compile time only)
; SGPRBlocks: 6
; VGPRBlocks: 6
; NumSGPRsForWavesPerEU: 56
; NumVGPRsForWavesPerEU: 50
; AccumOffset: 52
; Occupancy: 8
; WaveLimiterHint : 1
; COMPUTE_PGM_RSRC2:SCRATCH_EN: 0
; COMPUTE_PGM_RSRC2:USER_SGPR: 6
; COMPUTE_PGM_RSRC2:TRAP_HANDLER: 0
; COMPUTE_PGM_RSRC2:TGID_X_EN: 1
; COMPUTE_PGM_RSRC2:TGID_Y_EN: 0
; COMPUTE_PGM_RSRC2:TGID_Z_EN: 0
; COMPUTE_PGM_RSRC2:TIDIG_COMP_CNT: 0
; COMPUTE_PGM_RSRC3_GFX90A:ACCUM_OFFSET: 12
; COMPUTE_PGM_RSRC3_GFX90A:TG_SPLIT: 0
	.section	.text._ZN7rocprim17ROCPRIM_400000_NS6detail17trampoline_kernelINS0_14default_configENS1_25partition_config_selectorILNS1_17partition_subalgoE9EllbEEZZNS1_14partition_implILS5_9ELb0ES3_jPlS8_PNS0_10empty_typeENS0_5tupleIJS8_S9_EEENSB_IJS8_SA_EEENS0_18inequality_wrapperIZN2at6native12_GLOBAL__N_124unique_dim_cuda_templateIsEESt5tupleIJNSF_6TensorESK_SK_EERKSK_lbbbEUlllE0_EEPmJS9_EEE10hipError_tPvRmT3_T4_T5_T6_T7_T9_mT8_P12ihipStream_tbDpT10_ENKUlT_T0_E_clISt17integral_constantIbLb0EES19_IbLb1EEEEDaS15_S16_EUlS15_E_NS1_11comp_targetILNS1_3genE3ELNS1_11target_archE908ELNS1_3gpuE7ELNS1_3repE0EEENS1_30default_config_static_selectorELNS0_4arch9wavefront6targetE1EEEvT1_,"axG",@progbits,_ZN7rocprim17ROCPRIM_400000_NS6detail17trampoline_kernelINS0_14default_configENS1_25partition_config_selectorILNS1_17partition_subalgoE9EllbEEZZNS1_14partition_implILS5_9ELb0ES3_jPlS8_PNS0_10empty_typeENS0_5tupleIJS8_S9_EEENSB_IJS8_SA_EEENS0_18inequality_wrapperIZN2at6native12_GLOBAL__N_124unique_dim_cuda_templateIsEESt5tupleIJNSF_6TensorESK_SK_EERKSK_lbbbEUlllE0_EEPmJS9_EEE10hipError_tPvRmT3_T4_T5_T6_T7_T9_mT8_P12ihipStream_tbDpT10_ENKUlT_T0_E_clISt17integral_constantIbLb0EES19_IbLb1EEEEDaS15_S16_EUlS15_E_NS1_11comp_targetILNS1_3genE3ELNS1_11target_archE908ELNS1_3gpuE7ELNS1_3repE0EEENS1_30default_config_static_selectorELNS0_4arch9wavefront6targetE1EEEvT1_,comdat
	.globl	_ZN7rocprim17ROCPRIM_400000_NS6detail17trampoline_kernelINS0_14default_configENS1_25partition_config_selectorILNS1_17partition_subalgoE9EllbEEZZNS1_14partition_implILS5_9ELb0ES3_jPlS8_PNS0_10empty_typeENS0_5tupleIJS8_S9_EEENSB_IJS8_SA_EEENS0_18inequality_wrapperIZN2at6native12_GLOBAL__N_124unique_dim_cuda_templateIsEESt5tupleIJNSF_6TensorESK_SK_EERKSK_lbbbEUlllE0_EEPmJS9_EEE10hipError_tPvRmT3_T4_T5_T6_T7_T9_mT8_P12ihipStream_tbDpT10_ENKUlT_T0_E_clISt17integral_constantIbLb0EES19_IbLb1EEEEDaS15_S16_EUlS15_E_NS1_11comp_targetILNS1_3genE3ELNS1_11target_archE908ELNS1_3gpuE7ELNS1_3repE0EEENS1_30default_config_static_selectorELNS0_4arch9wavefront6targetE1EEEvT1_ ; -- Begin function _ZN7rocprim17ROCPRIM_400000_NS6detail17trampoline_kernelINS0_14default_configENS1_25partition_config_selectorILNS1_17partition_subalgoE9EllbEEZZNS1_14partition_implILS5_9ELb0ES3_jPlS8_PNS0_10empty_typeENS0_5tupleIJS8_S9_EEENSB_IJS8_SA_EEENS0_18inequality_wrapperIZN2at6native12_GLOBAL__N_124unique_dim_cuda_templateIsEESt5tupleIJNSF_6TensorESK_SK_EERKSK_lbbbEUlllE0_EEPmJS9_EEE10hipError_tPvRmT3_T4_T5_T6_T7_T9_mT8_P12ihipStream_tbDpT10_ENKUlT_T0_E_clISt17integral_constantIbLb0EES19_IbLb1EEEEDaS15_S16_EUlS15_E_NS1_11comp_targetILNS1_3genE3ELNS1_11target_archE908ELNS1_3gpuE7ELNS1_3repE0EEENS1_30default_config_static_selectorELNS0_4arch9wavefront6targetE1EEEvT1_
	.p2align	8
	.type	_ZN7rocprim17ROCPRIM_400000_NS6detail17trampoline_kernelINS0_14default_configENS1_25partition_config_selectorILNS1_17partition_subalgoE9EllbEEZZNS1_14partition_implILS5_9ELb0ES3_jPlS8_PNS0_10empty_typeENS0_5tupleIJS8_S9_EEENSB_IJS8_SA_EEENS0_18inequality_wrapperIZN2at6native12_GLOBAL__N_124unique_dim_cuda_templateIsEESt5tupleIJNSF_6TensorESK_SK_EERKSK_lbbbEUlllE0_EEPmJS9_EEE10hipError_tPvRmT3_T4_T5_T6_T7_T9_mT8_P12ihipStream_tbDpT10_ENKUlT_T0_E_clISt17integral_constantIbLb0EES19_IbLb1EEEEDaS15_S16_EUlS15_E_NS1_11comp_targetILNS1_3genE3ELNS1_11target_archE908ELNS1_3gpuE7ELNS1_3repE0EEENS1_30default_config_static_selectorELNS0_4arch9wavefront6targetE1EEEvT1_,@function
_ZN7rocprim17ROCPRIM_400000_NS6detail17trampoline_kernelINS0_14default_configENS1_25partition_config_selectorILNS1_17partition_subalgoE9EllbEEZZNS1_14partition_implILS5_9ELb0ES3_jPlS8_PNS0_10empty_typeENS0_5tupleIJS8_S9_EEENSB_IJS8_SA_EEENS0_18inequality_wrapperIZN2at6native12_GLOBAL__N_124unique_dim_cuda_templateIsEESt5tupleIJNSF_6TensorESK_SK_EERKSK_lbbbEUlllE0_EEPmJS9_EEE10hipError_tPvRmT3_T4_T5_T6_T7_T9_mT8_P12ihipStream_tbDpT10_ENKUlT_T0_E_clISt17integral_constantIbLb0EES19_IbLb1EEEEDaS15_S16_EUlS15_E_NS1_11comp_targetILNS1_3genE3ELNS1_11target_archE908ELNS1_3gpuE7ELNS1_3repE0EEENS1_30default_config_static_selectorELNS0_4arch9wavefront6targetE1EEEvT1_: ; @_ZN7rocprim17ROCPRIM_400000_NS6detail17trampoline_kernelINS0_14default_configENS1_25partition_config_selectorILNS1_17partition_subalgoE9EllbEEZZNS1_14partition_implILS5_9ELb0ES3_jPlS8_PNS0_10empty_typeENS0_5tupleIJS8_S9_EEENSB_IJS8_SA_EEENS0_18inequality_wrapperIZN2at6native12_GLOBAL__N_124unique_dim_cuda_templateIsEESt5tupleIJNSF_6TensorESK_SK_EERKSK_lbbbEUlllE0_EEPmJS9_EEE10hipError_tPvRmT3_T4_T5_T6_T7_T9_mT8_P12ihipStream_tbDpT10_ENKUlT_T0_E_clISt17integral_constantIbLb0EES19_IbLb1EEEEDaS15_S16_EUlS15_E_NS1_11comp_targetILNS1_3genE3ELNS1_11target_archE908ELNS1_3gpuE7ELNS1_3repE0EEENS1_30default_config_static_selectorELNS0_4arch9wavefront6targetE1EEEvT1_
; %bb.0:
	.section	.rodata,"a",@progbits
	.p2align	6, 0x0
	.amdhsa_kernel _ZN7rocprim17ROCPRIM_400000_NS6detail17trampoline_kernelINS0_14default_configENS1_25partition_config_selectorILNS1_17partition_subalgoE9EllbEEZZNS1_14partition_implILS5_9ELb0ES3_jPlS8_PNS0_10empty_typeENS0_5tupleIJS8_S9_EEENSB_IJS8_SA_EEENS0_18inequality_wrapperIZN2at6native12_GLOBAL__N_124unique_dim_cuda_templateIsEESt5tupleIJNSF_6TensorESK_SK_EERKSK_lbbbEUlllE0_EEPmJS9_EEE10hipError_tPvRmT3_T4_T5_T6_T7_T9_mT8_P12ihipStream_tbDpT10_ENKUlT_T0_E_clISt17integral_constantIbLb0EES19_IbLb1EEEEDaS15_S16_EUlS15_E_NS1_11comp_targetILNS1_3genE3ELNS1_11target_archE908ELNS1_3gpuE7ELNS1_3repE0EEENS1_30default_config_static_selectorELNS0_4arch9wavefront6targetE1EEEvT1_
		.amdhsa_group_segment_fixed_size 0
		.amdhsa_private_segment_fixed_size 0
		.amdhsa_kernarg_size 136
		.amdhsa_user_sgpr_count 6
		.amdhsa_user_sgpr_private_segment_buffer 1
		.amdhsa_user_sgpr_dispatch_ptr 0
		.amdhsa_user_sgpr_queue_ptr 0
		.amdhsa_user_sgpr_kernarg_segment_ptr 1
		.amdhsa_user_sgpr_dispatch_id 0
		.amdhsa_user_sgpr_flat_scratch_init 0
		.amdhsa_user_sgpr_kernarg_preload_length 0
		.amdhsa_user_sgpr_kernarg_preload_offset 0
		.amdhsa_user_sgpr_private_segment_size 0
		.amdhsa_uses_dynamic_stack 0
		.amdhsa_system_sgpr_private_segment_wavefront_offset 0
		.amdhsa_system_sgpr_workgroup_id_x 1
		.amdhsa_system_sgpr_workgroup_id_y 0
		.amdhsa_system_sgpr_workgroup_id_z 0
		.amdhsa_system_sgpr_workgroup_info 0
		.amdhsa_system_vgpr_workitem_id 0
		.amdhsa_next_free_vgpr 1
		.amdhsa_next_free_sgpr 0
		.amdhsa_accum_offset 4
		.amdhsa_reserve_vcc 0
		.amdhsa_reserve_flat_scratch 0
		.amdhsa_float_round_mode_32 0
		.amdhsa_float_round_mode_16_64 0
		.amdhsa_float_denorm_mode_32 3
		.amdhsa_float_denorm_mode_16_64 3
		.amdhsa_dx10_clamp 1
		.amdhsa_ieee_mode 1
		.amdhsa_fp16_overflow 0
		.amdhsa_tg_split 0
		.amdhsa_exception_fp_ieee_invalid_op 0
		.amdhsa_exception_fp_denorm_src 0
		.amdhsa_exception_fp_ieee_div_zero 0
		.amdhsa_exception_fp_ieee_overflow 0
		.amdhsa_exception_fp_ieee_underflow 0
		.amdhsa_exception_fp_ieee_inexact 0
		.amdhsa_exception_int_div_zero 0
	.end_amdhsa_kernel
	.section	.text._ZN7rocprim17ROCPRIM_400000_NS6detail17trampoline_kernelINS0_14default_configENS1_25partition_config_selectorILNS1_17partition_subalgoE9EllbEEZZNS1_14partition_implILS5_9ELb0ES3_jPlS8_PNS0_10empty_typeENS0_5tupleIJS8_S9_EEENSB_IJS8_SA_EEENS0_18inequality_wrapperIZN2at6native12_GLOBAL__N_124unique_dim_cuda_templateIsEESt5tupleIJNSF_6TensorESK_SK_EERKSK_lbbbEUlllE0_EEPmJS9_EEE10hipError_tPvRmT3_T4_T5_T6_T7_T9_mT8_P12ihipStream_tbDpT10_ENKUlT_T0_E_clISt17integral_constantIbLb0EES19_IbLb1EEEEDaS15_S16_EUlS15_E_NS1_11comp_targetILNS1_3genE3ELNS1_11target_archE908ELNS1_3gpuE7ELNS1_3repE0EEENS1_30default_config_static_selectorELNS0_4arch9wavefront6targetE1EEEvT1_,"axG",@progbits,_ZN7rocprim17ROCPRIM_400000_NS6detail17trampoline_kernelINS0_14default_configENS1_25partition_config_selectorILNS1_17partition_subalgoE9EllbEEZZNS1_14partition_implILS5_9ELb0ES3_jPlS8_PNS0_10empty_typeENS0_5tupleIJS8_S9_EEENSB_IJS8_SA_EEENS0_18inequality_wrapperIZN2at6native12_GLOBAL__N_124unique_dim_cuda_templateIsEESt5tupleIJNSF_6TensorESK_SK_EERKSK_lbbbEUlllE0_EEPmJS9_EEE10hipError_tPvRmT3_T4_T5_T6_T7_T9_mT8_P12ihipStream_tbDpT10_ENKUlT_T0_E_clISt17integral_constantIbLb0EES19_IbLb1EEEEDaS15_S16_EUlS15_E_NS1_11comp_targetILNS1_3genE3ELNS1_11target_archE908ELNS1_3gpuE7ELNS1_3repE0EEENS1_30default_config_static_selectorELNS0_4arch9wavefront6targetE1EEEvT1_,comdat
.Lfunc_end744:
	.size	_ZN7rocprim17ROCPRIM_400000_NS6detail17trampoline_kernelINS0_14default_configENS1_25partition_config_selectorILNS1_17partition_subalgoE9EllbEEZZNS1_14partition_implILS5_9ELb0ES3_jPlS8_PNS0_10empty_typeENS0_5tupleIJS8_S9_EEENSB_IJS8_SA_EEENS0_18inequality_wrapperIZN2at6native12_GLOBAL__N_124unique_dim_cuda_templateIsEESt5tupleIJNSF_6TensorESK_SK_EERKSK_lbbbEUlllE0_EEPmJS9_EEE10hipError_tPvRmT3_T4_T5_T6_T7_T9_mT8_P12ihipStream_tbDpT10_ENKUlT_T0_E_clISt17integral_constantIbLb0EES19_IbLb1EEEEDaS15_S16_EUlS15_E_NS1_11comp_targetILNS1_3genE3ELNS1_11target_archE908ELNS1_3gpuE7ELNS1_3repE0EEENS1_30default_config_static_selectorELNS0_4arch9wavefront6targetE1EEEvT1_, .Lfunc_end744-_ZN7rocprim17ROCPRIM_400000_NS6detail17trampoline_kernelINS0_14default_configENS1_25partition_config_selectorILNS1_17partition_subalgoE9EllbEEZZNS1_14partition_implILS5_9ELb0ES3_jPlS8_PNS0_10empty_typeENS0_5tupleIJS8_S9_EEENSB_IJS8_SA_EEENS0_18inequality_wrapperIZN2at6native12_GLOBAL__N_124unique_dim_cuda_templateIsEESt5tupleIJNSF_6TensorESK_SK_EERKSK_lbbbEUlllE0_EEPmJS9_EEE10hipError_tPvRmT3_T4_T5_T6_T7_T9_mT8_P12ihipStream_tbDpT10_ENKUlT_T0_E_clISt17integral_constantIbLb0EES19_IbLb1EEEEDaS15_S16_EUlS15_E_NS1_11comp_targetILNS1_3genE3ELNS1_11target_archE908ELNS1_3gpuE7ELNS1_3repE0EEENS1_30default_config_static_selectorELNS0_4arch9wavefront6targetE1EEEvT1_
                                        ; -- End function
	.section	.AMDGPU.csdata,"",@progbits
; Kernel info:
; codeLenInByte = 0
; NumSgprs: 4
; NumVgprs: 0
; NumAgprs: 0
; TotalNumVgprs: 0
; ScratchSize: 0
; MemoryBound: 0
; FloatMode: 240
; IeeeMode: 1
; LDSByteSize: 0 bytes/workgroup (compile time only)
; SGPRBlocks: 0
; VGPRBlocks: 0
; NumSGPRsForWavesPerEU: 4
; NumVGPRsForWavesPerEU: 1
; AccumOffset: 4
; Occupancy: 8
; WaveLimiterHint : 0
; COMPUTE_PGM_RSRC2:SCRATCH_EN: 0
; COMPUTE_PGM_RSRC2:USER_SGPR: 6
; COMPUTE_PGM_RSRC2:TRAP_HANDLER: 0
; COMPUTE_PGM_RSRC2:TGID_X_EN: 1
; COMPUTE_PGM_RSRC2:TGID_Y_EN: 0
; COMPUTE_PGM_RSRC2:TGID_Z_EN: 0
; COMPUTE_PGM_RSRC2:TIDIG_COMP_CNT: 0
; COMPUTE_PGM_RSRC3_GFX90A:ACCUM_OFFSET: 0
; COMPUTE_PGM_RSRC3_GFX90A:TG_SPLIT: 0
	.section	.text._ZN7rocprim17ROCPRIM_400000_NS6detail17trampoline_kernelINS0_14default_configENS1_25partition_config_selectorILNS1_17partition_subalgoE9EllbEEZZNS1_14partition_implILS5_9ELb0ES3_jPlS8_PNS0_10empty_typeENS0_5tupleIJS8_S9_EEENSB_IJS8_SA_EEENS0_18inequality_wrapperIZN2at6native12_GLOBAL__N_124unique_dim_cuda_templateIsEESt5tupleIJNSF_6TensorESK_SK_EERKSK_lbbbEUlllE0_EEPmJS9_EEE10hipError_tPvRmT3_T4_T5_T6_T7_T9_mT8_P12ihipStream_tbDpT10_ENKUlT_T0_E_clISt17integral_constantIbLb0EES19_IbLb1EEEEDaS15_S16_EUlS15_E_NS1_11comp_targetILNS1_3genE2ELNS1_11target_archE906ELNS1_3gpuE6ELNS1_3repE0EEENS1_30default_config_static_selectorELNS0_4arch9wavefront6targetE1EEEvT1_,"axG",@progbits,_ZN7rocprim17ROCPRIM_400000_NS6detail17trampoline_kernelINS0_14default_configENS1_25partition_config_selectorILNS1_17partition_subalgoE9EllbEEZZNS1_14partition_implILS5_9ELb0ES3_jPlS8_PNS0_10empty_typeENS0_5tupleIJS8_S9_EEENSB_IJS8_SA_EEENS0_18inequality_wrapperIZN2at6native12_GLOBAL__N_124unique_dim_cuda_templateIsEESt5tupleIJNSF_6TensorESK_SK_EERKSK_lbbbEUlllE0_EEPmJS9_EEE10hipError_tPvRmT3_T4_T5_T6_T7_T9_mT8_P12ihipStream_tbDpT10_ENKUlT_T0_E_clISt17integral_constantIbLb0EES19_IbLb1EEEEDaS15_S16_EUlS15_E_NS1_11comp_targetILNS1_3genE2ELNS1_11target_archE906ELNS1_3gpuE6ELNS1_3repE0EEENS1_30default_config_static_selectorELNS0_4arch9wavefront6targetE1EEEvT1_,comdat
	.globl	_ZN7rocprim17ROCPRIM_400000_NS6detail17trampoline_kernelINS0_14default_configENS1_25partition_config_selectorILNS1_17partition_subalgoE9EllbEEZZNS1_14partition_implILS5_9ELb0ES3_jPlS8_PNS0_10empty_typeENS0_5tupleIJS8_S9_EEENSB_IJS8_SA_EEENS0_18inequality_wrapperIZN2at6native12_GLOBAL__N_124unique_dim_cuda_templateIsEESt5tupleIJNSF_6TensorESK_SK_EERKSK_lbbbEUlllE0_EEPmJS9_EEE10hipError_tPvRmT3_T4_T5_T6_T7_T9_mT8_P12ihipStream_tbDpT10_ENKUlT_T0_E_clISt17integral_constantIbLb0EES19_IbLb1EEEEDaS15_S16_EUlS15_E_NS1_11comp_targetILNS1_3genE2ELNS1_11target_archE906ELNS1_3gpuE6ELNS1_3repE0EEENS1_30default_config_static_selectorELNS0_4arch9wavefront6targetE1EEEvT1_ ; -- Begin function _ZN7rocprim17ROCPRIM_400000_NS6detail17trampoline_kernelINS0_14default_configENS1_25partition_config_selectorILNS1_17partition_subalgoE9EllbEEZZNS1_14partition_implILS5_9ELb0ES3_jPlS8_PNS0_10empty_typeENS0_5tupleIJS8_S9_EEENSB_IJS8_SA_EEENS0_18inequality_wrapperIZN2at6native12_GLOBAL__N_124unique_dim_cuda_templateIsEESt5tupleIJNSF_6TensorESK_SK_EERKSK_lbbbEUlllE0_EEPmJS9_EEE10hipError_tPvRmT3_T4_T5_T6_T7_T9_mT8_P12ihipStream_tbDpT10_ENKUlT_T0_E_clISt17integral_constantIbLb0EES19_IbLb1EEEEDaS15_S16_EUlS15_E_NS1_11comp_targetILNS1_3genE2ELNS1_11target_archE906ELNS1_3gpuE6ELNS1_3repE0EEENS1_30default_config_static_selectorELNS0_4arch9wavefront6targetE1EEEvT1_
	.p2align	8
	.type	_ZN7rocprim17ROCPRIM_400000_NS6detail17trampoline_kernelINS0_14default_configENS1_25partition_config_selectorILNS1_17partition_subalgoE9EllbEEZZNS1_14partition_implILS5_9ELb0ES3_jPlS8_PNS0_10empty_typeENS0_5tupleIJS8_S9_EEENSB_IJS8_SA_EEENS0_18inequality_wrapperIZN2at6native12_GLOBAL__N_124unique_dim_cuda_templateIsEESt5tupleIJNSF_6TensorESK_SK_EERKSK_lbbbEUlllE0_EEPmJS9_EEE10hipError_tPvRmT3_T4_T5_T6_T7_T9_mT8_P12ihipStream_tbDpT10_ENKUlT_T0_E_clISt17integral_constantIbLb0EES19_IbLb1EEEEDaS15_S16_EUlS15_E_NS1_11comp_targetILNS1_3genE2ELNS1_11target_archE906ELNS1_3gpuE6ELNS1_3repE0EEENS1_30default_config_static_selectorELNS0_4arch9wavefront6targetE1EEEvT1_,@function
_ZN7rocprim17ROCPRIM_400000_NS6detail17trampoline_kernelINS0_14default_configENS1_25partition_config_selectorILNS1_17partition_subalgoE9EllbEEZZNS1_14partition_implILS5_9ELb0ES3_jPlS8_PNS0_10empty_typeENS0_5tupleIJS8_S9_EEENSB_IJS8_SA_EEENS0_18inequality_wrapperIZN2at6native12_GLOBAL__N_124unique_dim_cuda_templateIsEESt5tupleIJNSF_6TensorESK_SK_EERKSK_lbbbEUlllE0_EEPmJS9_EEE10hipError_tPvRmT3_T4_T5_T6_T7_T9_mT8_P12ihipStream_tbDpT10_ENKUlT_T0_E_clISt17integral_constantIbLb0EES19_IbLb1EEEEDaS15_S16_EUlS15_E_NS1_11comp_targetILNS1_3genE2ELNS1_11target_archE906ELNS1_3gpuE6ELNS1_3repE0EEENS1_30default_config_static_selectorELNS0_4arch9wavefront6targetE1EEEvT1_: ; @_ZN7rocprim17ROCPRIM_400000_NS6detail17trampoline_kernelINS0_14default_configENS1_25partition_config_selectorILNS1_17partition_subalgoE9EllbEEZZNS1_14partition_implILS5_9ELb0ES3_jPlS8_PNS0_10empty_typeENS0_5tupleIJS8_S9_EEENSB_IJS8_SA_EEENS0_18inequality_wrapperIZN2at6native12_GLOBAL__N_124unique_dim_cuda_templateIsEESt5tupleIJNSF_6TensorESK_SK_EERKSK_lbbbEUlllE0_EEPmJS9_EEE10hipError_tPvRmT3_T4_T5_T6_T7_T9_mT8_P12ihipStream_tbDpT10_ENKUlT_T0_E_clISt17integral_constantIbLb0EES19_IbLb1EEEEDaS15_S16_EUlS15_E_NS1_11comp_targetILNS1_3genE2ELNS1_11target_archE906ELNS1_3gpuE6ELNS1_3repE0EEENS1_30default_config_static_selectorELNS0_4arch9wavefront6targetE1EEEvT1_
; %bb.0:
	.section	.rodata,"a",@progbits
	.p2align	6, 0x0
	.amdhsa_kernel _ZN7rocprim17ROCPRIM_400000_NS6detail17trampoline_kernelINS0_14default_configENS1_25partition_config_selectorILNS1_17partition_subalgoE9EllbEEZZNS1_14partition_implILS5_9ELb0ES3_jPlS8_PNS0_10empty_typeENS0_5tupleIJS8_S9_EEENSB_IJS8_SA_EEENS0_18inequality_wrapperIZN2at6native12_GLOBAL__N_124unique_dim_cuda_templateIsEESt5tupleIJNSF_6TensorESK_SK_EERKSK_lbbbEUlllE0_EEPmJS9_EEE10hipError_tPvRmT3_T4_T5_T6_T7_T9_mT8_P12ihipStream_tbDpT10_ENKUlT_T0_E_clISt17integral_constantIbLb0EES19_IbLb1EEEEDaS15_S16_EUlS15_E_NS1_11comp_targetILNS1_3genE2ELNS1_11target_archE906ELNS1_3gpuE6ELNS1_3repE0EEENS1_30default_config_static_selectorELNS0_4arch9wavefront6targetE1EEEvT1_
		.amdhsa_group_segment_fixed_size 0
		.amdhsa_private_segment_fixed_size 0
		.amdhsa_kernarg_size 136
		.amdhsa_user_sgpr_count 6
		.amdhsa_user_sgpr_private_segment_buffer 1
		.amdhsa_user_sgpr_dispatch_ptr 0
		.amdhsa_user_sgpr_queue_ptr 0
		.amdhsa_user_sgpr_kernarg_segment_ptr 1
		.amdhsa_user_sgpr_dispatch_id 0
		.amdhsa_user_sgpr_flat_scratch_init 0
		.amdhsa_user_sgpr_kernarg_preload_length 0
		.amdhsa_user_sgpr_kernarg_preload_offset 0
		.amdhsa_user_sgpr_private_segment_size 0
		.amdhsa_uses_dynamic_stack 0
		.amdhsa_system_sgpr_private_segment_wavefront_offset 0
		.amdhsa_system_sgpr_workgroup_id_x 1
		.amdhsa_system_sgpr_workgroup_id_y 0
		.amdhsa_system_sgpr_workgroup_id_z 0
		.amdhsa_system_sgpr_workgroup_info 0
		.amdhsa_system_vgpr_workitem_id 0
		.amdhsa_next_free_vgpr 1
		.amdhsa_next_free_sgpr 0
		.amdhsa_accum_offset 4
		.amdhsa_reserve_vcc 0
		.amdhsa_reserve_flat_scratch 0
		.amdhsa_float_round_mode_32 0
		.amdhsa_float_round_mode_16_64 0
		.amdhsa_float_denorm_mode_32 3
		.amdhsa_float_denorm_mode_16_64 3
		.amdhsa_dx10_clamp 1
		.amdhsa_ieee_mode 1
		.amdhsa_fp16_overflow 0
		.amdhsa_tg_split 0
		.amdhsa_exception_fp_ieee_invalid_op 0
		.amdhsa_exception_fp_denorm_src 0
		.amdhsa_exception_fp_ieee_div_zero 0
		.amdhsa_exception_fp_ieee_overflow 0
		.amdhsa_exception_fp_ieee_underflow 0
		.amdhsa_exception_fp_ieee_inexact 0
		.amdhsa_exception_int_div_zero 0
	.end_amdhsa_kernel
	.section	.text._ZN7rocprim17ROCPRIM_400000_NS6detail17trampoline_kernelINS0_14default_configENS1_25partition_config_selectorILNS1_17partition_subalgoE9EllbEEZZNS1_14partition_implILS5_9ELb0ES3_jPlS8_PNS0_10empty_typeENS0_5tupleIJS8_S9_EEENSB_IJS8_SA_EEENS0_18inequality_wrapperIZN2at6native12_GLOBAL__N_124unique_dim_cuda_templateIsEESt5tupleIJNSF_6TensorESK_SK_EERKSK_lbbbEUlllE0_EEPmJS9_EEE10hipError_tPvRmT3_T4_T5_T6_T7_T9_mT8_P12ihipStream_tbDpT10_ENKUlT_T0_E_clISt17integral_constantIbLb0EES19_IbLb1EEEEDaS15_S16_EUlS15_E_NS1_11comp_targetILNS1_3genE2ELNS1_11target_archE906ELNS1_3gpuE6ELNS1_3repE0EEENS1_30default_config_static_selectorELNS0_4arch9wavefront6targetE1EEEvT1_,"axG",@progbits,_ZN7rocprim17ROCPRIM_400000_NS6detail17trampoline_kernelINS0_14default_configENS1_25partition_config_selectorILNS1_17partition_subalgoE9EllbEEZZNS1_14partition_implILS5_9ELb0ES3_jPlS8_PNS0_10empty_typeENS0_5tupleIJS8_S9_EEENSB_IJS8_SA_EEENS0_18inequality_wrapperIZN2at6native12_GLOBAL__N_124unique_dim_cuda_templateIsEESt5tupleIJNSF_6TensorESK_SK_EERKSK_lbbbEUlllE0_EEPmJS9_EEE10hipError_tPvRmT3_T4_T5_T6_T7_T9_mT8_P12ihipStream_tbDpT10_ENKUlT_T0_E_clISt17integral_constantIbLb0EES19_IbLb1EEEEDaS15_S16_EUlS15_E_NS1_11comp_targetILNS1_3genE2ELNS1_11target_archE906ELNS1_3gpuE6ELNS1_3repE0EEENS1_30default_config_static_selectorELNS0_4arch9wavefront6targetE1EEEvT1_,comdat
.Lfunc_end745:
	.size	_ZN7rocprim17ROCPRIM_400000_NS6detail17trampoline_kernelINS0_14default_configENS1_25partition_config_selectorILNS1_17partition_subalgoE9EllbEEZZNS1_14partition_implILS5_9ELb0ES3_jPlS8_PNS0_10empty_typeENS0_5tupleIJS8_S9_EEENSB_IJS8_SA_EEENS0_18inequality_wrapperIZN2at6native12_GLOBAL__N_124unique_dim_cuda_templateIsEESt5tupleIJNSF_6TensorESK_SK_EERKSK_lbbbEUlllE0_EEPmJS9_EEE10hipError_tPvRmT3_T4_T5_T6_T7_T9_mT8_P12ihipStream_tbDpT10_ENKUlT_T0_E_clISt17integral_constantIbLb0EES19_IbLb1EEEEDaS15_S16_EUlS15_E_NS1_11comp_targetILNS1_3genE2ELNS1_11target_archE906ELNS1_3gpuE6ELNS1_3repE0EEENS1_30default_config_static_selectorELNS0_4arch9wavefront6targetE1EEEvT1_, .Lfunc_end745-_ZN7rocprim17ROCPRIM_400000_NS6detail17trampoline_kernelINS0_14default_configENS1_25partition_config_selectorILNS1_17partition_subalgoE9EllbEEZZNS1_14partition_implILS5_9ELb0ES3_jPlS8_PNS0_10empty_typeENS0_5tupleIJS8_S9_EEENSB_IJS8_SA_EEENS0_18inequality_wrapperIZN2at6native12_GLOBAL__N_124unique_dim_cuda_templateIsEESt5tupleIJNSF_6TensorESK_SK_EERKSK_lbbbEUlllE0_EEPmJS9_EEE10hipError_tPvRmT3_T4_T5_T6_T7_T9_mT8_P12ihipStream_tbDpT10_ENKUlT_T0_E_clISt17integral_constantIbLb0EES19_IbLb1EEEEDaS15_S16_EUlS15_E_NS1_11comp_targetILNS1_3genE2ELNS1_11target_archE906ELNS1_3gpuE6ELNS1_3repE0EEENS1_30default_config_static_selectorELNS0_4arch9wavefront6targetE1EEEvT1_
                                        ; -- End function
	.section	.AMDGPU.csdata,"",@progbits
; Kernel info:
; codeLenInByte = 0
; NumSgprs: 4
; NumVgprs: 0
; NumAgprs: 0
; TotalNumVgprs: 0
; ScratchSize: 0
; MemoryBound: 0
; FloatMode: 240
; IeeeMode: 1
; LDSByteSize: 0 bytes/workgroup (compile time only)
; SGPRBlocks: 0
; VGPRBlocks: 0
; NumSGPRsForWavesPerEU: 4
; NumVGPRsForWavesPerEU: 1
; AccumOffset: 4
; Occupancy: 8
; WaveLimiterHint : 0
; COMPUTE_PGM_RSRC2:SCRATCH_EN: 0
; COMPUTE_PGM_RSRC2:USER_SGPR: 6
; COMPUTE_PGM_RSRC2:TRAP_HANDLER: 0
; COMPUTE_PGM_RSRC2:TGID_X_EN: 1
; COMPUTE_PGM_RSRC2:TGID_Y_EN: 0
; COMPUTE_PGM_RSRC2:TGID_Z_EN: 0
; COMPUTE_PGM_RSRC2:TIDIG_COMP_CNT: 0
; COMPUTE_PGM_RSRC3_GFX90A:ACCUM_OFFSET: 0
; COMPUTE_PGM_RSRC3_GFX90A:TG_SPLIT: 0
	.section	.text._ZN7rocprim17ROCPRIM_400000_NS6detail17trampoline_kernelINS0_14default_configENS1_25partition_config_selectorILNS1_17partition_subalgoE9EllbEEZZNS1_14partition_implILS5_9ELb0ES3_jPlS8_PNS0_10empty_typeENS0_5tupleIJS8_S9_EEENSB_IJS8_SA_EEENS0_18inequality_wrapperIZN2at6native12_GLOBAL__N_124unique_dim_cuda_templateIsEESt5tupleIJNSF_6TensorESK_SK_EERKSK_lbbbEUlllE0_EEPmJS9_EEE10hipError_tPvRmT3_T4_T5_T6_T7_T9_mT8_P12ihipStream_tbDpT10_ENKUlT_T0_E_clISt17integral_constantIbLb0EES19_IbLb1EEEEDaS15_S16_EUlS15_E_NS1_11comp_targetILNS1_3genE10ELNS1_11target_archE1200ELNS1_3gpuE4ELNS1_3repE0EEENS1_30default_config_static_selectorELNS0_4arch9wavefront6targetE1EEEvT1_,"axG",@progbits,_ZN7rocprim17ROCPRIM_400000_NS6detail17trampoline_kernelINS0_14default_configENS1_25partition_config_selectorILNS1_17partition_subalgoE9EllbEEZZNS1_14partition_implILS5_9ELb0ES3_jPlS8_PNS0_10empty_typeENS0_5tupleIJS8_S9_EEENSB_IJS8_SA_EEENS0_18inequality_wrapperIZN2at6native12_GLOBAL__N_124unique_dim_cuda_templateIsEESt5tupleIJNSF_6TensorESK_SK_EERKSK_lbbbEUlllE0_EEPmJS9_EEE10hipError_tPvRmT3_T4_T5_T6_T7_T9_mT8_P12ihipStream_tbDpT10_ENKUlT_T0_E_clISt17integral_constantIbLb0EES19_IbLb1EEEEDaS15_S16_EUlS15_E_NS1_11comp_targetILNS1_3genE10ELNS1_11target_archE1200ELNS1_3gpuE4ELNS1_3repE0EEENS1_30default_config_static_selectorELNS0_4arch9wavefront6targetE1EEEvT1_,comdat
	.globl	_ZN7rocprim17ROCPRIM_400000_NS6detail17trampoline_kernelINS0_14default_configENS1_25partition_config_selectorILNS1_17partition_subalgoE9EllbEEZZNS1_14partition_implILS5_9ELb0ES3_jPlS8_PNS0_10empty_typeENS0_5tupleIJS8_S9_EEENSB_IJS8_SA_EEENS0_18inequality_wrapperIZN2at6native12_GLOBAL__N_124unique_dim_cuda_templateIsEESt5tupleIJNSF_6TensorESK_SK_EERKSK_lbbbEUlllE0_EEPmJS9_EEE10hipError_tPvRmT3_T4_T5_T6_T7_T9_mT8_P12ihipStream_tbDpT10_ENKUlT_T0_E_clISt17integral_constantIbLb0EES19_IbLb1EEEEDaS15_S16_EUlS15_E_NS1_11comp_targetILNS1_3genE10ELNS1_11target_archE1200ELNS1_3gpuE4ELNS1_3repE0EEENS1_30default_config_static_selectorELNS0_4arch9wavefront6targetE1EEEvT1_ ; -- Begin function _ZN7rocprim17ROCPRIM_400000_NS6detail17trampoline_kernelINS0_14default_configENS1_25partition_config_selectorILNS1_17partition_subalgoE9EllbEEZZNS1_14partition_implILS5_9ELb0ES3_jPlS8_PNS0_10empty_typeENS0_5tupleIJS8_S9_EEENSB_IJS8_SA_EEENS0_18inequality_wrapperIZN2at6native12_GLOBAL__N_124unique_dim_cuda_templateIsEESt5tupleIJNSF_6TensorESK_SK_EERKSK_lbbbEUlllE0_EEPmJS9_EEE10hipError_tPvRmT3_T4_T5_T6_T7_T9_mT8_P12ihipStream_tbDpT10_ENKUlT_T0_E_clISt17integral_constantIbLb0EES19_IbLb1EEEEDaS15_S16_EUlS15_E_NS1_11comp_targetILNS1_3genE10ELNS1_11target_archE1200ELNS1_3gpuE4ELNS1_3repE0EEENS1_30default_config_static_selectorELNS0_4arch9wavefront6targetE1EEEvT1_
	.p2align	8
	.type	_ZN7rocprim17ROCPRIM_400000_NS6detail17trampoline_kernelINS0_14default_configENS1_25partition_config_selectorILNS1_17partition_subalgoE9EllbEEZZNS1_14partition_implILS5_9ELb0ES3_jPlS8_PNS0_10empty_typeENS0_5tupleIJS8_S9_EEENSB_IJS8_SA_EEENS0_18inequality_wrapperIZN2at6native12_GLOBAL__N_124unique_dim_cuda_templateIsEESt5tupleIJNSF_6TensorESK_SK_EERKSK_lbbbEUlllE0_EEPmJS9_EEE10hipError_tPvRmT3_T4_T5_T6_T7_T9_mT8_P12ihipStream_tbDpT10_ENKUlT_T0_E_clISt17integral_constantIbLb0EES19_IbLb1EEEEDaS15_S16_EUlS15_E_NS1_11comp_targetILNS1_3genE10ELNS1_11target_archE1200ELNS1_3gpuE4ELNS1_3repE0EEENS1_30default_config_static_selectorELNS0_4arch9wavefront6targetE1EEEvT1_,@function
_ZN7rocprim17ROCPRIM_400000_NS6detail17trampoline_kernelINS0_14default_configENS1_25partition_config_selectorILNS1_17partition_subalgoE9EllbEEZZNS1_14partition_implILS5_9ELb0ES3_jPlS8_PNS0_10empty_typeENS0_5tupleIJS8_S9_EEENSB_IJS8_SA_EEENS0_18inequality_wrapperIZN2at6native12_GLOBAL__N_124unique_dim_cuda_templateIsEESt5tupleIJNSF_6TensorESK_SK_EERKSK_lbbbEUlllE0_EEPmJS9_EEE10hipError_tPvRmT3_T4_T5_T6_T7_T9_mT8_P12ihipStream_tbDpT10_ENKUlT_T0_E_clISt17integral_constantIbLb0EES19_IbLb1EEEEDaS15_S16_EUlS15_E_NS1_11comp_targetILNS1_3genE10ELNS1_11target_archE1200ELNS1_3gpuE4ELNS1_3repE0EEENS1_30default_config_static_selectorELNS0_4arch9wavefront6targetE1EEEvT1_: ; @_ZN7rocprim17ROCPRIM_400000_NS6detail17trampoline_kernelINS0_14default_configENS1_25partition_config_selectorILNS1_17partition_subalgoE9EllbEEZZNS1_14partition_implILS5_9ELb0ES3_jPlS8_PNS0_10empty_typeENS0_5tupleIJS8_S9_EEENSB_IJS8_SA_EEENS0_18inequality_wrapperIZN2at6native12_GLOBAL__N_124unique_dim_cuda_templateIsEESt5tupleIJNSF_6TensorESK_SK_EERKSK_lbbbEUlllE0_EEPmJS9_EEE10hipError_tPvRmT3_T4_T5_T6_T7_T9_mT8_P12ihipStream_tbDpT10_ENKUlT_T0_E_clISt17integral_constantIbLb0EES19_IbLb1EEEEDaS15_S16_EUlS15_E_NS1_11comp_targetILNS1_3genE10ELNS1_11target_archE1200ELNS1_3gpuE4ELNS1_3repE0EEENS1_30default_config_static_selectorELNS0_4arch9wavefront6targetE1EEEvT1_
; %bb.0:
	.section	.rodata,"a",@progbits
	.p2align	6, 0x0
	.amdhsa_kernel _ZN7rocprim17ROCPRIM_400000_NS6detail17trampoline_kernelINS0_14default_configENS1_25partition_config_selectorILNS1_17partition_subalgoE9EllbEEZZNS1_14partition_implILS5_9ELb0ES3_jPlS8_PNS0_10empty_typeENS0_5tupleIJS8_S9_EEENSB_IJS8_SA_EEENS0_18inequality_wrapperIZN2at6native12_GLOBAL__N_124unique_dim_cuda_templateIsEESt5tupleIJNSF_6TensorESK_SK_EERKSK_lbbbEUlllE0_EEPmJS9_EEE10hipError_tPvRmT3_T4_T5_T6_T7_T9_mT8_P12ihipStream_tbDpT10_ENKUlT_T0_E_clISt17integral_constantIbLb0EES19_IbLb1EEEEDaS15_S16_EUlS15_E_NS1_11comp_targetILNS1_3genE10ELNS1_11target_archE1200ELNS1_3gpuE4ELNS1_3repE0EEENS1_30default_config_static_selectorELNS0_4arch9wavefront6targetE1EEEvT1_
		.amdhsa_group_segment_fixed_size 0
		.amdhsa_private_segment_fixed_size 0
		.amdhsa_kernarg_size 136
		.amdhsa_user_sgpr_count 6
		.amdhsa_user_sgpr_private_segment_buffer 1
		.amdhsa_user_sgpr_dispatch_ptr 0
		.amdhsa_user_sgpr_queue_ptr 0
		.amdhsa_user_sgpr_kernarg_segment_ptr 1
		.amdhsa_user_sgpr_dispatch_id 0
		.amdhsa_user_sgpr_flat_scratch_init 0
		.amdhsa_user_sgpr_kernarg_preload_length 0
		.amdhsa_user_sgpr_kernarg_preload_offset 0
		.amdhsa_user_sgpr_private_segment_size 0
		.amdhsa_uses_dynamic_stack 0
		.amdhsa_system_sgpr_private_segment_wavefront_offset 0
		.amdhsa_system_sgpr_workgroup_id_x 1
		.amdhsa_system_sgpr_workgroup_id_y 0
		.amdhsa_system_sgpr_workgroup_id_z 0
		.amdhsa_system_sgpr_workgroup_info 0
		.amdhsa_system_vgpr_workitem_id 0
		.amdhsa_next_free_vgpr 1
		.amdhsa_next_free_sgpr 0
		.amdhsa_accum_offset 4
		.amdhsa_reserve_vcc 0
		.amdhsa_reserve_flat_scratch 0
		.amdhsa_float_round_mode_32 0
		.amdhsa_float_round_mode_16_64 0
		.amdhsa_float_denorm_mode_32 3
		.amdhsa_float_denorm_mode_16_64 3
		.amdhsa_dx10_clamp 1
		.amdhsa_ieee_mode 1
		.amdhsa_fp16_overflow 0
		.amdhsa_tg_split 0
		.amdhsa_exception_fp_ieee_invalid_op 0
		.amdhsa_exception_fp_denorm_src 0
		.amdhsa_exception_fp_ieee_div_zero 0
		.amdhsa_exception_fp_ieee_overflow 0
		.amdhsa_exception_fp_ieee_underflow 0
		.amdhsa_exception_fp_ieee_inexact 0
		.amdhsa_exception_int_div_zero 0
	.end_amdhsa_kernel
	.section	.text._ZN7rocprim17ROCPRIM_400000_NS6detail17trampoline_kernelINS0_14default_configENS1_25partition_config_selectorILNS1_17partition_subalgoE9EllbEEZZNS1_14partition_implILS5_9ELb0ES3_jPlS8_PNS0_10empty_typeENS0_5tupleIJS8_S9_EEENSB_IJS8_SA_EEENS0_18inequality_wrapperIZN2at6native12_GLOBAL__N_124unique_dim_cuda_templateIsEESt5tupleIJNSF_6TensorESK_SK_EERKSK_lbbbEUlllE0_EEPmJS9_EEE10hipError_tPvRmT3_T4_T5_T6_T7_T9_mT8_P12ihipStream_tbDpT10_ENKUlT_T0_E_clISt17integral_constantIbLb0EES19_IbLb1EEEEDaS15_S16_EUlS15_E_NS1_11comp_targetILNS1_3genE10ELNS1_11target_archE1200ELNS1_3gpuE4ELNS1_3repE0EEENS1_30default_config_static_selectorELNS0_4arch9wavefront6targetE1EEEvT1_,"axG",@progbits,_ZN7rocprim17ROCPRIM_400000_NS6detail17trampoline_kernelINS0_14default_configENS1_25partition_config_selectorILNS1_17partition_subalgoE9EllbEEZZNS1_14partition_implILS5_9ELb0ES3_jPlS8_PNS0_10empty_typeENS0_5tupleIJS8_S9_EEENSB_IJS8_SA_EEENS0_18inequality_wrapperIZN2at6native12_GLOBAL__N_124unique_dim_cuda_templateIsEESt5tupleIJNSF_6TensorESK_SK_EERKSK_lbbbEUlllE0_EEPmJS9_EEE10hipError_tPvRmT3_T4_T5_T6_T7_T9_mT8_P12ihipStream_tbDpT10_ENKUlT_T0_E_clISt17integral_constantIbLb0EES19_IbLb1EEEEDaS15_S16_EUlS15_E_NS1_11comp_targetILNS1_3genE10ELNS1_11target_archE1200ELNS1_3gpuE4ELNS1_3repE0EEENS1_30default_config_static_selectorELNS0_4arch9wavefront6targetE1EEEvT1_,comdat
.Lfunc_end746:
	.size	_ZN7rocprim17ROCPRIM_400000_NS6detail17trampoline_kernelINS0_14default_configENS1_25partition_config_selectorILNS1_17partition_subalgoE9EllbEEZZNS1_14partition_implILS5_9ELb0ES3_jPlS8_PNS0_10empty_typeENS0_5tupleIJS8_S9_EEENSB_IJS8_SA_EEENS0_18inequality_wrapperIZN2at6native12_GLOBAL__N_124unique_dim_cuda_templateIsEESt5tupleIJNSF_6TensorESK_SK_EERKSK_lbbbEUlllE0_EEPmJS9_EEE10hipError_tPvRmT3_T4_T5_T6_T7_T9_mT8_P12ihipStream_tbDpT10_ENKUlT_T0_E_clISt17integral_constantIbLb0EES19_IbLb1EEEEDaS15_S16_EUlS15_E_NS1_11comp_targetILNS1_3genE10ELNS1_11target_archE1200ELNS1_3gpuE4ELNS1_3repE0EEENS1_30default_config_static_selectorELNS0_4arch9wavefront6targetE1EEEvT1_, .Lfunc_end746-_ZN7rocprim17ROCPRIM_400000_NS6detail17trampoline_kernelINS0_14default_configENS1_25partition_config_selectorILNS1_17partition_subalgoE9EllbEEZZNS1_14partition_implILS5_9ELb0ES3_jPlS8_PNS0_10empty_typeENS0_5tupleIJS8_S9_EEENSB_IJS8_SA_EEENS0_18inequality_wrapperIZN2at6native12_GLOBAL__N_124unique_dim_cuda_templateIsEESt5tupleIJNSF_6TensorESK_SK_EERKSK_lbbbEUlllE0_EEPmJS9_EEE10hipError_tPvRmT3_T4_T5_T6_T7_T9_mT8_P12ihipStream_tbDpT10_ENKUlT_T0_E_clISt17integral_constantIbLb0EES19_IbLb1EEEEDaS15_S16_EUlS15_E_NS1_11comp_targetILNS1_3genE10ELNS1_11target_archE1200ELNS1_3gpuE4ELNS1_3repE0EEENS1_30default_config_static_selectorELNS0_4arch9wavefront6targetE1EEEvT1_
                                        ; -- End function
	.section	.AMDGPU.csdata,"",@progbits
; Kernel info:
; codeLenInByte = 0
; NumSgprs: 4
; NumVgprs: 0
; NumAgprs: 0
; TotalNumVgprs: 0
; ScratchSize: 0
; MemoryBound: 0
; FloatMode: 240
; IeeeMode: 1
; LDSByteSize: 0 bytes/workgroup (compile time only)
; SGPRBlocks: 0
; VGPRBlocks: 0
; NumSGPRsForWavesPerEU: 4
; NumVGPRsForWavesPerEU: 1
; AccumOffset: 4
; Occupancy: 8
; WaveLimiterHint : 0
; COMPUTE_PGM_RSRC2:SCRATCH_EN: 0
; COMPUTE_PGM_RSRC2:USER_SGPR: 6
; COMPUTE_PGM_RSRC2:TRAP_HANDLER: 0
; COMPUTE_PGM_RSRC2:TGID_X_EN: 1
; COMPUTE_PGM_RSRC2:TGID_Y_EN: 0
; COMPUTE_PGM_RSRC2:TGID_Z_EN: 0
; COMPUTE_PGM_RSRC2:TIDIG_COMP_CNT: 0
; COMPUTE_PGM_RSRC3_GFX90A:ACCUM_OFFSET: 0
; COMPUTE_PGM_RSRC3_GFX90A:TG_SPLIT: 0
	.section	.text._ZN7rocprim17ROCPRIM_400000_NS6detail17trampoline_kernelINS0_14default_configENS1_25partition_config_selectorILNS1_17partition_subalgoE9EllbEEZZNS1_14partition_implILS5_9ELb0ES3_jPlS8_PNS0_10empty_typeENS0_5tupleIJS8_S9_EEENSB_IJS8_SA_EEENS0_18inequality_wrapperIZN2at6native12_GLOBAL__N_124unique_dim_cuda_templateIsEESt5tupleIJNSF_6TensorESK_SK_EERKSK_lbbbEUlllE0_EEPmJS9_EEE10hipError_tPvRmT3_T4_T5_T6_T7_T9_mT8_P12ihipStream_tbDpT10_ENKUlT_T0_E_clISt17integral_constantIbLb0EES19_IbLb1EEEEDaS15_S16_EUlS15_E_NS1_11comp_targetILNS1_3genE9ELNS1_11target_archE1100ELNS1_3gpuE3ELNS1_3repE0EEENS1_30default_config_static_selectorELNS0_4arch9wavefront6targetE1EEEvT1_,"axG",@progbits,_ZN7rocprim17ROCPRIM_400000_NS6detail17trampoline_kernelINS0_14default_configENS1_25partition_config_selectorILNS1_17partition_subalgoE9EllbEEZZNS1_14partition_implILS5_9ELb0ES3_jPlS8_PNS0_10empty_typeENS0_5tupleIJS8_S9_EEENSB_IJS8_SA_EEENS0_18inequality_wrapperIZN2at6native12_GLOBAL__N_124unique_dim_cuda_templateIsEESt5tupleIJNSF_6TensorESK_SK_EERKSK_lbbbEUlllE0_EEPmJS9_EEE10hipError_tPvRmT3_T4_T5_T6_T7_T9_mT8_P12ihipStream_tbDpT10_ENKUlT_T0_E_clISt17integral_constantIbLb0EES19_IbLb1EEEEDaS15_S16_EUlS15_E_NS1_11comp_targetILNS1_3genE9ELNS1_11target_archE1100ELNS1_3gpuE3ELNS1_3repE0EEENS1_30default_config_static_selectorELNS0_4arch9wavefront6targetE1EEEvT1_,comdat
	.globl	_ZN7rocprim17ROCPRIM_400000_NS6detail17trampoline_kernelINS0_14default_configENS1_25partition_config_selectorILNS1_17partition_subalgoE9EllbEEZZNS1_14partition_implILS5_9ELb0ES3_jPlS8_PNS0_10empty_typeENS0_5tupleIJS8_S9_EEENSB_IJS8_SA_EEENS0_18inequality_wrapperIZN2at6native12_GLOBAL__N_124unique_dim_cuda_templateIsEESt5tupleIJNSF_6TensorESK_SK_EERKSK_lbbbEUlllE0_EEPmJS9_EEE10hipError_tPvRmT3_T4_T5_T6_T7_T9_mT8_P12ihipStream_tbDpT10_ENKUlT_T0_E_clISt17integral_constantIbLb0EES19_IbLb1EEEEDaS15_S16_EUlS15_E_NS1_11comp_targetILNS1_3genE9ELNS1_11target_archE1100ELNS1_3gpuE3ELNS1_3repE0EEENS1_30default_config_static_selectorELNS0_4arch9wavefront6targetE1EEEvT1_ ; -- Begin function _ZN7rocprim17ROCPRIM_400000_NS6detail17trampoline_kernelINS0_14default_configENS1_25partition_config_selectorILNS1_17partition_subalgoE9EllbEEZZNS1_14partition_implILS5_9ELb0ES3_jPlS8_PNS0_10empty_typeENS0_5tupleIJS8_S9_EEENSB_IJS8_SA_EEENS0_18inequality_wrapperIZN2at6native12_GLOBAL__N_124unique_dim_cuda_templateIsEESt5tupleIJNSF_6TensorESK_SK_EERKSK_lbbbEUlllE0_EEPmJS9_EEE10hipError_tPvRmT3_T4_T5_T6_T7_T9_mT8_P12ihipStream_tbDpT10_ENKUlT_T0_E_clISt17integral_constantIbLb0EES19_IbLb1EEEEDaS15_S16_EUlS15_E_NS1_11comp_targetILNS1_3genE9ELNS1_11target_archE1100ELNS1_3gpuE3ELNS1_3repE0EEENS1_30default_config_static_selectorELNS0_4arch9wavefront6targetE1EEEvT1_
	.p2align	8
	.type	_ZN7rocprim17ROCPRIM_400000_NS6detail17trampoline_kernelINS0_14default_configENS1_25partition_config_selectorILNS1_17partition_subalgoE9EllbEEZZNS1_14partition_implILS5_9ELb0ES3_jPlS8_PNS0_10empty_typeENS0_5tupleIJS8_S9_EEENSB_IJS8_SA_EEENS0_18inequality_wrapperIZN2at6native12_GLOBAL__N_124unique_dim_cuda_templateIsEESt5tupleIJNSF_6TensorESK_SK_EERKSK_lbbbEUlllE0_EEPmJS9_EEE10hipError_tPvRmT3_T4_T5_T6_T7_T9_mT8_P12ihipStream_tbDpT10_ENKUlT_T0_E_clISt17integral_constantIbLb0EES19_IbLb1EEEEDaS15_S16_EUlS15_E_NS1_11comp_targetILNS1_3genE9ELNS1_11target_archE1100ELNS1_3gpuE3ELNS1_3repE0EEENS1_30default_config_static_selectorELNS0_4arch9wavefront6targetE1EEEvT1_,@function
_ZN7rocprim17ROCPRIM_400000_NS6detail17trampoline_kernelINS0_14default_configENS1_25partition_config_selectorILNS1_17partition_subalgoE9EllbEEZZNS1_14partition_implILS5_9ELb0ES3_jPlS8_PNS0_10empty_typeENS0_5tupleIJS8_S9_EEENSB_IJS8_SA_EEENS0_18inequality_wrapperIZN2at6native12_GLOBAL__N_124unique_dim_cuda_templateIsEESt5tupleIJNSF_6TensorESK_SK_EERKSK_lbbbEUlllE0_EEPmJS9_EEE10hipError_tPvRmT3_T4_T5_T6_T7_T9_mT8_P12ihipStream_tbDpT10_ENKUlT_T0_E_clISt17integral_constantIbLb0EES19_IbLb1EEEEDaS15_S16_EUlS15_E_NS1_11comp_targetILNS1_3genE9ELNS1_11target_archE1100ELNS1_3gpuE3ELNS1_3repE0EEENS1_30default_config_static_selectorELNS0_4arch9wavefront6targetE1EEEvT1_: ; @_ZN7rocprim17ROCPRIM_400000_NS6detail17trampoline_kernelINS0_14default_configENS1_25partition_config_selectorILNS1_17partition_subalgoE9EllbEEZZNS1_14partition_implILS5_9ELb0ES3_jPlS8_PNS0_10empty_typeENS0_5tupleIJS8_S9_EEENSB_IJS8_SA_EEENS0_18inequality_wrapperIZN2at6native12_GLOBAL__N_124unique_dim_cuda_templateIsEESt5tupleIJNSF_6TensorESK_SK_EERKSK_lbbbEUlllE0_EEPmJS9_EEE10hipError_tPvRmT3_T4_T5_T6_T7_T9_mT8_P12ihipStream_tbDpT10_ENKUlT_T0_E_clISt17integral_constantIbLb0EES19_IbLb1EEEEDaS15_S16_EUlS15_E_NS1_11comp_targetILNS1_3genE9ELNS1_11target_archE1100ELNS1_3gpuE3ELNS1_3repE0EEENS1_30default_config_static_selectorELNS0_4arch9wavefront6targetE1EEEvT1_
; %bb.0:
	.section	.rodata,"a",@progbits
	.p2align	6, 0x0
	.amdhsa_kernel _ZN7rocprim17ROCPRIM_400000_NS6detail17trampoline_kernelINS0_14default_configENS1_25partition_config_selectorILNS1_17partition_subalgoE9EllbEEZZNS1_14partition_implILS5_9ELb0ES3_jPlS8_PNS0_10empty_typeENS0_5tupleIJS8_S9_EEENSB_IJS8_SA_EEENS0_18inequality_wrapperIZN2at6native12_GLOBAL__N_124unique_dim_cuda_templateIsEESt5tupleIJNSF_6TensorESK_SK_EERKSK_lbbbEUlllE0_EEPmJS9_EEE10hipError_tPvRmT3_T4_T5_T6_T7_T9_mT8_P12ihipStream_tbDpT10_ENKUlT_T0_E_clISt17integral_constantIbLb0EES19_IbLb1EEEEDaS15_S16_EUlS15_E_NS1_11comp_targetILNS1_3genE9ELNS1_11target_archE1100ELNS1_3gpuE3ELNS1_3repE0EEENS1_30default_config_static_selectorELNS0_4arch9wavefront6targetE1EEEvT1_
		.amdhsa_group_segment_fixed_size 0
		.amdhsa_private_segment_fixed_size 0
		.amdhsa_kernarg_size 136
		.amdhsa_user_sgpr_count 6
		.amdhsa_user_sgpr_private_segment_buffer 1
		.amdhsa_user_sgpr_dispatch_ptr 0
		.amdhsa_user_sgpr_queue_ptr 0
		.amdhsa_user_sgpr_kernarg_segment_ptr 1
		.amdhsa_user_sgpr_dispatch_id 0
		.amdhsa_user_sgpr_flat_scratch_init 0
		.amdhsa_user_sgpr_kernarg_preload_length 0
		.amdhsa_user_sgpr_kernarg_preload_offset 0
		.amdhsa_user_sgpr_private_segment_size 0
		.amdhsa_uses_dynamic_stack 0
		.amdhsa_system_sgpr_private_segment_wavefront_offset 0
		.amdhsa_system_sgpr_workgroup_id_x 1
		.amdhsa_system_sgpr_workgroup_id_y 0
		.amdhsa_system_sgpr_workgroup_id_z 0
		.amdhsa_system_sgpr_workgroup_info 0
		.amdhsa_system_vgpr_workitem_id 0
		.amdhsa_next_free_vgpr 1
		.amdhsa_next_free_sgpr 0
		.amdhsa_accum_offset 4
		.amdhsa_reserve_vcc 0
		.amdhsa_reserve_flat_scratch 0
		.amdhsa_float_round_mode_32 0
		.amdhsa_float_round_mode_16_64 0
		.amdhsa_float_denorm_mode_32 3
		.amdhsa_float_denorm_mode_16_64 3
		.amdhsa_dx10_clamp 1
		.amdhsa_ieee_mode 1
		.amdhsa_fp16_overflow 0
		.amdhsa_tg_split 0
		.amdhsa_exception_fp_ieee_invalid_op 0
		.amdhsa_exception_fp_denorm_src 0
		.amdhsa_exception_fp_ieee_div_zero 0
		.amdhsa_exception_fp_ieee_overflow 0
		.amdhsa_exception_fp_ieee_underflow 0
		.amdhsa_exception_fp_ieee_inexact 0
		.amdhsa_exception_int_div_zero 0
	.end_amdhsa_kernel
	.section	.text._ZN7rocprim17ROCPRIM_400000_NS6detail17trampoline_kernelINS0_14default_configENS1_25partition_config_selectorILNS1_17partition_subalgoE9EllbEEZZNS1_14partition_implILS5_9ELb0ES3_jPlS8_PNS0_10empty_typeENS0_5tupleIJS8_S9_EEENSB_IJS8_SA_EEENS0_18inequality_wrapperIZN2at6native12_GLOBAL__N_124unique_dim_cuda_templateIsEESt5tupleIJNSF_6TensorESK_SK_EERKSK_lbbbEUlllE0_EEPmJS9_EEE10hipError_tPvRmT3_T4_T5_T6_T7_T9_mT8_P12ihipStream_tbDpT10_ENKUlT_T0_E_clISt17integral_constantIbLb0EES19_IbLb1EEEEDaS15_S16_EUlS15_E_NS1_11comp_targetILNS1_3genE9ELNS1_11target_archE1100ELNS1_3gpuE3ELNS1_3repE0EEENS1_30default_config_static_selectorELNS0_4arch9wavefront6targetE1EEEvT1_,"axG",@progbits,_ZN7rocprim17ROCPRIM_400000_NS6detail17trampoline_kernelINS0_14default_configENS1_25partition_config_selectorILNS1_17partition_subalgoE9EllbEEZZNS1_14partition_implILS5_9ELb0ES3_jPlS8_PNS0_10empty_typeENS0_5tupleIJS8_S9_EEENSB_IJS8_SA_EEENS0_18inequality_wrapperIZN2at6native12_GLOBAL__N_124unique_dim_cuda_templateIsEESt5tupleIJNSF_6TensorESK_SK_EERKSK_lbbbEUlllE0_EEPmJS9_EEE10hipError_tPvRmT3_T4_T5_T6_T7_T9_mT8_P12ihipStream_tbDpT10_ENKUlT_T0_E_clISt17integral_constantIbLb0EES19_IbLb1EEEEDaS15_S16_EUlS15_E_NS1_11comp_targetILNS1_3genE9ELNS1_11target_archE1100ELNS1_3gpuE3ELNS1_3repE0EEENS1_30default_config_static_selectorELNS0_4arch9wavefront6targetE1EEEvT1_,comdat
.Lfunc_end747:
	.size	_ZN7rocprim17ROCPRIM_400000_NS6detail17trampoline_kernelINS0_14default_configENS1_25partition_config_selectorILNS1_17partition_subalgoE9EllbEEZZNS1_14partition_implILS5_9ELb0ES3_jPlS8_PNS0_10empty_typeENS0_5tupleIJS8_S9_EEENSB_IJS8_SA_EEENS0_18inequality_wrapperIZN2at6native12_GLOBAL__N_124unique_dim_cuda_templateIsEESt5tupleIJNSF_6TensorESK_SK_EERKSK_lbbbEUlllE0_EEPmJS9_EEE10hipError_tPvRmT3_T4_T5_T6_T7_T9_mT8_P12ihipStream_tbDpT10_ENKUlT_T0_E_clISt17integral_constantIbLb0EES19_IbLb1EEEEDaS15_S16_EUlS15_E_NS1_11comp_targetILNS1_3genE9ELNS1_11target_archE1100ELNS1_3gpuE3ELNS1_3repE0EEENS1_30default_config_static_selectorELNS0_4arch9wavefront6targetE1EEEvT1_, .Lfunc_end747-_ZN7rocprim17ROCPRIM_400000_NS6detail17trampoline_kernelINS0_14default_configENS1_25partition_config_selectorILNS1_17partition_subalgoE9EllbEEZZNS1_14partition_implILS5_9ELb0ES3_jPlS8_PNS0_10empty_typeENS0_5tupleIJS8_S9_EEENSB_IJS8_SA_EEENS0_18inequality_wrapperIZN2at6native12_GLOBAL__N_124unique_dim_cuda_templateIsEESt5tupleIJNSF_6TensorESK_SK_EERKSK_lbbbEUlllE0_EEPmJS9_EEE10hipError_tPvRmT3_T4_T5_T6_T7_T9_mT8_P12ihipStream_tbDpT10_ENKUlT_T0_E_clISt17integral_constantIbLb0EES19_IbLb1EEEEDaS15_S16_EUlS15_E_NS1_11comp_targetILNS1_3genE9ELNS1_11target_archE1100ELNS1_3gpuE3ELNS1_3repE0EEENS1_30default_config_static_selectorELNS0_4arch9wavefront6targetE1EEEvT1_
                                        ; -- End function
	.section	.AMDGPU.csdata,"",@progbits
; Kernel info:
; codeLenInByte = 0
; NumSgprs: 4
; NumVgprs: 0
; NumAgprs: 0
; TotalNumVgprs: 0
; ScratchSize: 0
; MemoryBound: 0
; FloatMode: 240
; IeeeMode: 1
; LDSByteSize: 0 bytes/workgroup (compile time only)
; SGPRBlocks: 0
; VGPRBlocks: 0
; NumSGPRsForWavesPerEU: 4
; NumVGPRsForWavesPerEU: 1
; AccumOffset: 4
; Occupancy: 8
; WaveLimiterHint : 0
; COMPUTE_PGM_RSRC2:SCRATCH_EN: 0
; COMPUTE_PGM_RSRC2:USER_SGPR: 6
; COMPUTE_PGM_RSRC2:TRAP_HANDLER: 0
; COMPUTE_PGM_RSRC2:TGID_X_EN: 1
; COMPUTE_PGM_RSRC2:TGID_Y_EN: 0
; COMPUTE_PGM_RSRC2:TGID_Z_EN: 0
; COMPUTE_PGM_RSRC2:TIDIG_COMP_CNT: 0
; COMPUTE_PGM_RSRC3_GFX90A:ACCUM_OFFSET: 0
; COMPUTE_PGM_RSRC3_GFX90A:TG_SPLIT: 0
	.section	.text._ZN7rocprim17ROCPRIM_400000_NS6detail17trampoline_kernelINS0_14default_configENS1_25partition_config_selectorILNS1_17partition_subalgoE9EllbEEZZNS1_14partition_implILS5_9ELb0ES3_jPlS8_PNS0_10empty_typeENS0_5tupleIJS8_S9_EEENSB_IJS8_SA_EEENS0_18inequality_wrapperIZN2at6native12_GLOBAL__N_124unique_dim_cuda_templateIsEESt5tupleIJNSF_6TensorESK_SK_EERKSK_lbbbEUlllE0_EEPmJS9_EEE10hipError_tPvRmT3_T4_T5_T6_T7_T9_mT8_P12ihipStream_tbDpT10_ENKUlT_T0_E_clISt17integral_constantIbLb0EES19_IbLb1EEEEDaS15_S16_EUlS15_E_NS1_11comp_targetILNS1_3genE8ELNS1_11target_archE1030ELNS1_3gpuE2ELNS1_3repE0EEENS1_30default_config_static_selectorELNS0_4arch9wavefront6targetE1EEEvT1_,"axG",@progbits,_ZN7rocprim17ROCPRIM_400000_NS6detail17trampoline_kernelINS0_14default_configENS1_25partition_config_selectorILNS1_17partition_subalgoE9EllbEEZZNS1_14partition_implILS5_9ELb0ES3_jPlS8_PNS0_10empty_typeENS0_5tupleIJS8_S9_EEENSB_IJS8_SA_EEENS0_18inequality_wrapperIZN2at6native12_GLOBAL__N_124unique_dim_cuda_templateIsEESt5tupleIJNSF_6TensorESK_SK_EERKSK_lbbbEUlllE0_EEPmJS9_EEE10hipError_tPvRmT3_T4_T5_T6_T7_T9_mT8_P12ihipStream_tbDpT10_ENKUlT_T0_E_clISt17integral_constantIbLb0EES19_IbLb1EEEEDaS15_S16_EUlS15_E_NS1_11comp_targetILNS1_3genE8ELNS1_11target_archE1030ELNS1_3gpuE2ELNS1_3repE0EEENS1_30default_config_static_selectorELNS0_4arch9wavefront6targetE1EEEvT1_,comdat
	.globl	_ZN7rocprim17ROCPRIM_400000_NS6detail17trampoline_kernelINS0_14default_configENS1_25partition_config_selectorILNS1_17partition_subalgoE9EllbEEZZNS1_14partition_implILS5_9ELb0ES3_jPlS8_PNS0_10empty_typeENS0_5tupleIJS8_S9_EEENSB_IJS8_SA_EEENS0_18inequality_wrapperIZN2at6native12_GLOBAL__N_124unique_dim_cuda_templateIsEESt5tupleIJNSF_6TensorESK_SK_EERKSK_lbbbEUlllE0_EEPmJS9_EEE10hipError_tPvRmT3_T4_T5_T6_T7_T9_mT8_P12ihipStream_tbDpT10_ENKUlT_T0_E_clISt17integral_constantIbLb0EES19_IbLb1EEEEDaS15_S16_EUlS15_E_NS1_11comp_targetILNS1_3genE8ELNS1_11target_archE1030ELNS1_3gpuE2ELNS1_3repE0EEENS1_30default_config_static_selectorELNS0_4arch9wavefront6targetE1EEEvT1_ ; -- Begin function _ZN7rocprim17ROCPRIM_400000_NS6detail17trampoline_kernelINS0_14default_configENS1_25partition_config_selectorILNS1_17partition_subalgoE9EllbEEZZNS1_14partition_implILS5_9ELb0ES3_jPlS8_PNS0_10empty_typeENS0_5tupleIJS8_S9_EEENSB_IJS8_SA_EEENS0_18inequality_wrapperIZN2at6native12_GLOBAL__N_124unique_dim_cuda_templateIsEESt5tupleIJNSF_6TensorESK_SK_EERKSK_lbbbEUlllE0_EEPmJS9_EEE10hipError_tPvRmT3_T4_T5_T6_T7_T9_mT8_P12ihipStream_tbDpT10_ENKUlT_T0_E_clISt17integral_constantIbLb0EES19_IbLb1EEEEDaS15_S16_EUlS15_E_NS1_11comp_targetILNS1_3genE8ELNS1_11target_archE1030ELNS1_3gpuE2ELNS1_3repE0EEENS1_30default_config_static_selectorELNS0_4arch9wavefront6targetE1EEEvT1_
	.p2align	8
	.type	_ZN7rocprim17ROCPRIM_400000_NS6detail17trampoline_kernelINS0_14default_configENS1_25partition_config_selectorILNS1_17partition_subalgoE9EllbEEZZNS1_14partition_implILS5_9ELb0ES3_jPlS8_PNS0_10empty_typeENS0_5tupleIJS8_S9_EEENSB_IJS8_SA_EEENS0_18inequality_wrapperIZN2at6native12_GLOBAL__N_124unique_dim_cuda_templateIsEESt5tupleIJNSF_6TensorESK_SK_EERKSK_lbbbEUlllE0_EEPmJS9_EEE10hipError_tPvRmT3_T4_T5_T6_T7_T9_mT8_P12ihipStream_tbDpT10_ENKUlT_T0_E_clISt17integral_constantIbLb0EES19_IbLb1EEEEDaS15_S16_EUlS15_E_NS1_11comp_targetILNS1_3genE8ELNS1_11target_archE1030ELNS1_3gpuE2ELNS1_3repE0EEENS1_30default_config_static_selectorELNS0_4arch9wavefront6targetE1EEEvT1_,@function
_ZN7rocprim17ROCPRIM_400000_NS6detail17trampoline_kernelINS0_14default_configENS1_25partition_config_selectorILNS1_17partition_subalgoE9EllbEEZZNS1_14partition_implILS5_9ELb0ES3_jPlS8_PNS0_10empty_typeENS0_5tupleIJS8_S9_EEENSB_IJS8_SA_EEENS0_18inequality_wrapperIZN2at6native12_GLOBAL__N_124unique_dim_cuda_templateIsEESt5tupleIJNSF_6TensorESK_SK_EERKSK_lbbbEUlllE0_EEPmJS9_EEE10hipError_tPvRmT3_T4_T5_T6_T7_T9_mT8_P12ihipStream_tbDpT10_ENKUlT_T0_E_clISt17integral_constantIbLb0EES19_IbLb1EEEEDaS15_S16_EUlS15_E_NS1_11comp_targetILNS1_3genE8ELNS1_11target_archE1030ELNS1_3gpuE2ELNS1_3repE0EEENS1_30default_config_static_selectorELNS0_4arch9wavefront6targetE1EEEvT1_: ; @_ZN7rocprim17ROCPRIM_400000_NS6detail17trampoline_kernelINS0_14default_configENS1_25partition_config_selectorILNS1_17partition_subalgoE9EllbEEZZNS1_14partition_implILS5_9ELb0ES3_jPlS8_PNS0_10empty_typeENS0_5tupleIJS8_S9_EEENSB_IJS8_SA_EEENS0_18inequality_wrapperIZN2at6native12_GLOBAL__N_124unique_dim_cuda_templateIsEESt5tupleIJNSF_6TensorESK_SK_EERKSK_lbbbEUlllE0_EEPmJS9_EEE10hipError_tPvRmT3_T4_T5_T6_T7_T9_mT8_P12ihipStream_tbDpT10_ENKUlT_T0_E_clISt17integral_constantIbLb0EES19_IbLb1EEEEDaS15_S16_EUlS15_E_NS1_11comp_targetILNS1_3genE8ELNS1_11target_archE1030ELNS1_3gpuE2ELNS1_3repE0EEENS1_30default_config_static_selectorELNS0_4arch9wavefront6targetE1EEEvT1_
; %bb.0:
	.section	.rodata,"a",@progbits
	.p2align	6, 0x0
	.amdhsa_kernel _ZN7rocprim17ROCPRIM_400000_NS6detail17trampoline_kernelINS0_14default_configENS1_25partition_config_selectorILNS1_17partition_subalgoE9EllbEEZZNS1_14partition_implILS5_9ELb0ES3_jPlS8_PNS0_10empty_typeENS0_5tupleIJS8_S9_EEENSB_IJS8_SA_EEENS0_18inequality_wrapperIZN2at6native12_GLOBAL__N_124unique_dim_cuda_templateIsEESt5tupleIJNSF_6TensorESK_SK_EERKSK_lbbbEUlllE0_EEPmJS9_EEE10hipError_tPvRmT3_T4_T5_T6_T7_T9_mT8_P12ihipStream_tbDpT10_ENKUlT_T0_E_clISt17integral_constantIbLb0EES19_IbLb1EEEEDaS15_S16_EUlS15_E_NS1_11comp_targetILNS1_3genE8ELNS1_11target_archE1030ELNS1_3gpuE2ELNS1_3repE0EEENS1_30default_config_static_selectorELNS0_4arch9wavefront6targetE1EEEvT1_
		.amdhsa_group_segment_fixed_size 0
		.amdhsa_private_segment_fixed_size 0
		.amdhsa_kernarg_size 136
		.amdhsa_user_sgpr_count 6
		.amdhsa_user_sgpr_private_segment_buffer 1
		.amdhsa_user_sgpr_dispatch_ptr 0
		.amdhsa_user_sgpr_queue_ptr 0
		.amdhsa_user_sgpr_kernarg_segment_ptr 1
		.amdhsa_user_sgpr_dispatch_id 0
		.amdhsa_user_sgpr_flat_scratch_init 0
		.amdhsa_user_sgpr_kernarg_preload_length 0
		.amdhsa_user_sgpr_kernarg_preload_offset 0
		.amdhsa_user_sgpr_private_segment_size 0
		.amdhsa_uses_dynamic_stack 0
		.amdhsa_system_sgpr_private_segment_wavefront_offset 0
		.amdhsa_system_sgpr_workgroup_id_x 1
		.amdhsa_system_sgpr_workgroup_id_y 0
		.amdhsa_system_sgpr_workgroup_id_z 0
		.amdhsa_system_sgpr_workgroup_info 0
		.amdhsa_system_vgpr_workitem_id 0
		.amdhsa_next_free_vgpr 1
		.amdhsa_next_free_sgpr 0
		.amdhsa_accum_offset 4
		.amdhsa_reserve_vcc 0
		.amdhsa_reserve_flat_scratch 0
		.amdhsa_float_round_mode_32 0
		.amdhsa_float_round_mode_16_64 0
		.amdhsa_float_denorm_mode_32 3
		.amdhsa_float_denorm_mode_16_64 3
		.amdhsa_dx10_clamp 1
		.amdhsa_ieee_mode 1
		.amdhsa_fp16_overflow 0
		.amdhsa_tg_split 0
		.amdhsa_exception_fp_ieee_invalid_op 0
		.amdhsa_exception_fp_denorm_src 0
		.amdhsa_exception_fp_ieee_div_zero 0
		.amdhsa_exception_fp_ieee_overflow 0
		.amdhsa_exception_fp_ieee_underflow 0
		.amdhsa_exception_fp_ieee_inexact 0
		.amdhsa_exception_int_div_zero 0
	.end_amdhsa_kernel
	.section	.text._ZN7rocprim17ROCPRIM_400000_NS6detail17trampoline_kernelINS0_14default_configENS1_25partition_config_selectorILNS1_17partition_subalgoE9EllbEEZZNS1_14partition_implILS5_9ELb0ES3_jPlS8_PNS0_10empty_typeENS0_5tupleIJS8_S9_EEENSB_IJS8_SA_EEENS0_18inequality_wrapperIZN2at6native12_GLOBAL__N_124unique_dim_cuda_templateIsEESt5tupleIJNSF_6TensorESK_SK_EERKSK_lbbbEUlllE0_EEPmJS9_EEE10hipError_tPvRmT3_T4_T5_T6_T7_T9_mT8_P12ihipStream_tbDpT10_ENKUlT_T0_E_clISt17integral_constantIbLb0EES19_IbLb1EEEEDaS15_S16_EUlS15_E_NS1_11comp_targetILNS1_3genE8ELNS1_11target_archE1030ELNS1_3gpuE2ELNS1_3repE0EEENS1_30default_config_static_selectorELNS0_4arch9wavefront6targetE1EEEvT1_,"axG",@progbits,_ZN7rocprim17ROCPRIM_400000_NS6detail17trampoline_kernelINS0_14default_configENS1_25partition_config_selectorILNS1_17partition_subalgoE9EllbEEZZNS1_14partition_implILS5_9ELb0ES3_jPlS8_PNS0_10empty_typeENS0_5tupleIJS8_S9_EEENSB_IJS8_SA_EEENS0_18inequality_wrapperIZN2at6native12_GLOBAL__N_124unique_dim_cuda_templateIsEESt5tupleIJNSF_6TensorESK_SK_EERKSK_lbbbEUlllE0_EEPmJS9_EEE10hipError_tPvRmT3_T4_T5_T6_T7_T9_mT8_P12ihipStream_tbDpT10_ENKUlT_T0_E_clISt17integral_constantIbLb0EES19_IbLb1EEEEDaS15_S16_EUlS15_E_NS1_11comp_targetILNS1_3genE8ELNS1_11target_archE1030ELNS1_3gpuE2ELNS1_3repE0EEENS1_30default_config_static_selectorELNS0_4arch9wavefront6targetE1EEEvT1_,comdat
.Lfunc_end748:
	.size	_ZN7rocprim17ROCPRIM_400000_NS6detail17trampoline_kernelINS0_14default_configENS1_25partition_config_selectorILNS1_17partition_subalgoE9EllbEEZZNS1_14partition_implILS5_9ELb0ES3_jPlS8_PNS0_10empty_typeENS0_5tupleIJS8_S9_EEENSB_IJS8_SA_EEENS0_18inequality_wrapperIZN2at6native12_GLOBAL__N_124unique_dim_cuda_templateIsEESt5tupleIJNSF_6TensorESK_SK_EERKSK_lbbbEUlllE0_EEPmJS9_EEE10hipError_tPvRmT3_T4_T5_T6_T7_T9_mT8_P12ihipStream_tbDpT10_ENKUlT_T0_E_clISt17integral_constantIbLb0EES19_IbLb1EEEEDaS15_S16_EUlS15_E_NS1_11comp_targetILNS1_3genE8ELNS1_11target_archE1030ELNS1_3gpuE2ELNS1_3repE0EEENS1_30default_config_static_selectorELNS0_4arch9wavefront6targetE1EEEvT1_, .Lfunc_end748-_ZN7rocprim17ROCPRIM_400000_NS6detail17trampoline_kernelINS0_14default_configENS1_25partition_config_selectorILNS1_17partition_subalgoE9EllbEEZZNS1_14partition_implILS5_9ELb0ES3_jPlS8_PNS0_10empty_typeENS0_5tupleIJS8_S9_EEENSB_IJS8_SA_EEENS0_18inequality_wrapperIZN2at6native12_GLOBAL__N_124unique_dim_cuda_templateIsEESt5tupleIJNSF_6TensorESK_SK_EERKSK_lbbbEUlllE0_EEPmJS9_EEE10hipError_tPvRmT3_T4_T5_T6_T7_T9_mT8_P12ihipStream_tbDpT10_ENKUlT_T0_E_clISt17integral_constantIbLb0EES19_IbLb1EEEEDaS15_S16_EUlS15_E_NS1_11comp_targetILNS1_3genE8ELNS1_11target_archE1030ELNS1_3gpuE2ELNS1_3repE0EEENS1_30default_config_static_selectorELNS0_4arch9wavefront6targetE1EEEvT1_
                                        ; -- End function
	.section	.AMDGPU.csdata,"",@progbits
; Kernel info:
; codeLenInByte = 0
; NumSgprs: 4
; NumVgprs: 0
; NumAgprs: 0
; TotalNumVgprs: 0
; ScratchSize: 0
; MemoryBound: 0
; FloatMode: 240
; IeeeMode: 1
; LDSByteSize: 0 bytes/workgroup (compile time only)
; SGPRBlocks: 0
; VGPRBlocks: 0
; NumSGPRsForWavesPerEU: 4
; NumVGPRsForWavesPerEU: 1
; AccumOffset: 4
; Occupancy: 8
; WaveLimiterHint : 0
; COMPUTE_PGM_RSRC2:SCRATCH_EN: 0
; COMPUTE_PGM_RSRC2:USER_SGPR: 6
; COMPUTE_PGM_RSRC2:TRAP_HANDLER: 0
; COMPUTE_PGM_RSRC2:TGID_X_EN: 1
; COMPUTE_PGM_RSRC2:TGID_Y_EN: 0
; COMPUTE_PGM_RSRC2:TGID_Z_EN: 0
; COMPUTE_PGM_RSRC2:TIDIG_COMP_CNT: 0
; COMPUTE_PGM_RSRC3_GFX90A:ACCUM_OFFSET: 0
; COMPUTE_PGM_RSRC3_GFX90A:TG_SPLIT: 0
	.section	.text._ZN7rocprim17ROCPRIM_400000_NS6detail17trampoline_kernelINS0_14default_configENS1_37merge_sort_block_sort_config_selectorIlNS0_10empty_typeEEEZNS1_21merge_sort_block_sortIS3_PlS8_PS5_S9_ZN2at6native12_GLOBAL__N_124unique_dim_cuda_templateIdEESt5tupleIJNSA_6TensorESF_SF_EERKSF_lbbbEUlllE_EE10hipError_tT0_T1_T2_T3_mRjT4_P12ihipStream_tbNS1_7vsmem_tEEUlT_E_NS1_11comp_targetILNS1_3genE0ELNS1_11target_archE4294967295ELNS1_3gpuE0ELNS1_3repE0EEENS1_30default_config_static_selectorELNS0_4arch9wavefront6targetE1EEEvSM_,"axG",@progbits,_ZN7rocprim17ROCPRIM_400000_NS6detail17trampoline_kernelINS0_14default_configENS1_37merge_sort_block_sort_config_selectorIlNS0_10empty_typeEEEZNS1_21merge_sort_block_sortIS3_PlS8_PS5_S9_ZN2at6native12_GLOBAL__N_124unique_dim_cuda_templateIdEESt5tupleIJNSA_6TensorESF_SF_EERKSF_lbbbEUlllE_EE10hipError_tT0_T1_T2_T3_mRjT4_P12ihipStream_tbNS1_7vsmem_tEEUlT_E_NS1_11comp_targetILNS1_3genE0ELNS1_11target_archE4294967295ELNS1_3gpuE0ELNS1_3repE0EEENS1_30default_config_static_selectorELNS0_4arch9wavefront6targetE1EEEvSM_,comdat
	.globl	_ZN7rocprim17ROCPRIM_400000_NS6detail17trampoline_kernelINS0_14default_configENS1_37merge_sort_block_sort_config_selectorIlNS0_10empty_typeEEEZNS1_21merge_sort_block_sortIS3_PlS8_PS5_S9_ZN2at6native12_GLOBAL__N_124unique_dim_cuda_templateIdEESt5tupleIJNSA_6TensorESF_SF_EERKSF_lbbbEUlllE_EE10hipError_tT0_T1_T2_T3_mRjT4_P12ihipStream_tbNS1_7vsmem_tEEUlT_E_NS1_11comp_targetILNS1_3genE0ELNS1_11target_archE4294967295ELNS1_3gpuE0ELNS1_3repE0EEENS1_30default_config_static_selectorELNS0_4arch9wavefront6targetE1EEEvSM_ ; -- Begin function _ZN7rocprim17ROCPRIM_400000_NS6detail17trampoline_kernelINS0_14default_configENS1_37merge_sort_block_sort_config_selectorIlNS0_10empty_typeEEEZNS1_21merge_sort_block_sortIS3_PlS8_PS5_S9_ZN2at6native12_GLOBAL__N_124unique_dim_cuda_templateIdEESt5tupleIJNSA_6TensorESF_SF_EERKSF_lbbbEUlllE_EE10hipError_tT0_T1_T2_T3_mRjT4_P12ihipStream_tbNS1_7vsmem_tEEUlT_E_NS1_11comp_targetILNS1_3genE0ELNS1_11target_archE4294967295ELNS1_3gpuE0ELNS1_3repE0EEENS1_30default_config_static_selectorELNS0_4arch9wavefront6targetE1EEEvSM_
	.p2align	8
	.type	_ZN7rocprim17ROCPRIM_400000_NS6detail17trampoline_kernelINS0_14default_configENS1_37merge_sort_block_sort_config_selectorIlNS0_10empty_typeEEEZNS1_21merge_sort_block_sortIS3_PlS8_PS5_S9_ZN2at6native12_GLOBAL__N_124unique_dim_cuda_templateIdEESt5tupleIJNSA_6TensorESF_SF_EERKSF_lbbbEUlllE_EE10hipError_tT0_T1_T2_T3_mRjT4_P12ihipStream_tbNS1_7vsmem_tEEUlT_E_NS1_11comp_targetILNS1_3genE0ELNS1_11target_archE4294967295ELNS1_3gpuE0ELNS1_3repE0EEENS1_30default_config_static_selectorELNS0_4arch9wavefront6targetE1EEEvSM_,@function
_ZN7rocprim17ROCPRIM_400000_NS6detail17trampoline_kernelINS0_14default_configENS1_37merge_sort_block_sort_config_selectorIlNS0_10empty_typeEEEZNS1_21merge_sort_block_sortIS3_PlS8_PS5_S9_ZN2at6native12_GLOBAL__N_124unique_dim_cuda_templateIdEESt5tupleIJNSA_6TensorESF_SF_EERKSF_lbbbEUlllE_EE10hipError_tT0_T1_T2_T3_mRjT4_P12ihipStream_tbNS1_7vsmem_tEEUlT_E_NS1_11comp_targetILNS1_3genE0ELNS1_11target_archE4294967295ELNS1_3gpuE0ELNS1_3repE0EEENS1_30default_config_static_selectorELNS0_4arch9wavefront6targetE1EEEvSM_: ; @_ZN7rocprim17ROCPRIM_400000_NS6detail17trampoline_kernelINS0_14default_configENS1_37merge_sort_block_sort_config_selectorIlNS0_10empty_typeEEEZNS1_21merge_sort_block_sortIS3_PlS8_PS5_S9_ZN2at6native12_GLOBAL__N_124unique_dim_cuda_templateIdEESt5tupleIJNSA_6TensorESF_SF_EERKSF_lbbbEUlllE_EE10hipError_tT0_T1_T2_T3_mRjT4_P12ihipStream_tbNS1_7vsmem_tEEUlT_E_NS1_11comp_targetILNS1_3genE0ELNS1_11target_archE4294967295ELNS1_3gpuE0ELNS1_3repE0EEENS1_30default_config_static_selectorELNS0_4arch9wavefront6targetE1EEEvSM_
; %bb.0:
	.section	.rodata,"a",@progbits
	.p2align	6, 0x0
	.amdhsa_kernel _ZN7rocprim17ROCPRIM_400000_NS6detail17trampoline_kernelINS0_14default_configENS1_37merge_sort_block_sort_config_selectorIlNS0_10empty_typeEEEZNS1_21merge_sort_block_sortIS3_PlS8_PS5_S9_ZN2at6native12_GLOBAL__N_124unique_dim_cuda_templateIdEESt5tupleIJNSA_6TensorESF_SF_EERKSF_lbbbEUlllE_EE10hipError_tT0_T1_T2_T3_mRjT4_P12ihipStream_tbNS1_7vsmem_tEEUlT_E_NS1_11comp_targetILNS1_3genE0ELNS1_11target_archE4294967295ELNS1_3gpuE0ELNS1_3repE0EEENS1_30default_config_static_selectorELNS0_4arch9wavefront6targetE1EEEvSM_
		.amdhsa_group_segment_fixed_size 0
		.amdhsa_private_segment_fixed_size 0
		.amdhsa_kernarg_size 72
		.amdhsa_user_sgpr_count 6
		.amdhsa_user_sgpr_private_segment_buffer 1
		.amdhsa_user_sgpr_dispatch_ptr 0
		.amdhsa_user_sgpr_queue_ptr 0
		.amdhsa_user_sgpr_kernarg_segment_ptr 1
		.amdhsa_user_sgpr_dispatch_id 0
		.amdhsa_user_sgpr_flat_scratch_init 0
		.amdhsa_user_sgpr_kernarg_preload_length 0
		.amdhsa_user_sgpr_kernarg_preload_offset 0
		.amdhsa_user_sgpr_private_segment_size 0
		.amdhsa_uses_dynamic_stack 0
		.amdhsa_system_sgpr_private_segment_wavefront_offset 0
		.amdhsa_system_sgpr_workgroup_id_x 1
		.amdhsa_system_sgpr_workgroup_id_y 0
		.amdhsa_system_sgpr_workgroup_id_z 0
		.amdhsa_system_sgpr_workgroup_info 0
		.amdhsa_system_vgpr_workitem_id 0
		.amdhsa_next_free_vgpr 1
		.amdhsa_next_free_sgpr 0
		.amdhsa_accum_offset 4
		.amdhsa_reserve_vcc 0
		.amdhsa_reserve_flat_scratch 0
		.amdhsa_float_round_mode_32 0
		.amdhsa_float_round_mode_16_64 0
		.amdhsa_float_denorm_mode_32 3
		.amdhsa_float_denorm_mode_16_64 3
		.amdhsa_dx10_clamp 1
		.amdhsa_ieee_mode 1
		.amdhsa_fp16_overflow 0
		.amdhsa_tg_split 0
		.amdhsa_exception_fp_ieee_invalid_op 0
		.amdhsa_exception_fp_denorm_src 0
		.amdhsa_exception_fp_ieee_div_zero 0
		.amdhsa_exception_fp_ieee_overflow 0
		.amdhsa_exception_fp_ieee_underflow 0
		.amdhsa_exception_fp_ieee_inexact 0
		.amdhsa_exception_int_div_zero 0
	.end_amdhsa_kernel
	.section	.text._ZN7rocprim17ROCPRIM_400000_NS6detail17trampoline_kernelINS0_14default_configENS1_37merge_sort_block_sort_config_selectorIlNS0_10empty_typeEEEZNS1_21merge_sort_block_sortIS3_PlS8_PS5_S9_ZN2at6native12_GLOBAL__N_124unique_dim_cuda_templateIdEESt5tupleIJNSA_6TensorESF_SF_EERKSF_lbbbEUlllE_EE10hipError_tT0_T1_T2_T3_mRjT4_P12ihipStream_tbNS1_7vsmem_tEEUlT_E_NS1_11comp_targetILNS1_3genE0ELNS1_11target_archE4294967295ELNS1_3gpuE0ELNS1_3repE0EEENS1_30default_config_static_selectorELNS0_4arch9wavefront6targetE1EEEvSM_,"axG",@progbits,_ZN7rocprim17ROCPRIM_400000_NS6detail17trampoline_kernelINS0_14default_configENS1_37merge_sort_block_sort_config_selectorIlNS0_10empty_typeEEEZNS1_21merge_sort_block_sortIS3_PlS8_PS5_S9_ZN2at6native12_GLOBAL__N_124unique_dim_cuda_templateIdEESt5tupleIJNSA_6TensorESF_SF_EERKSF_lbbbEUlllE_EE10hipError_tT0_T1_T2_T3_mRjT4_P12ihipStream_tbNS1_7vsmem_tEEUlT_E_NS1_11comp_targetILNS1_3genE0ELNS1_11target_archE4294967295ELNS1_3gpuE0ELNS1_3repE0EEENS1_30default_config_static_selectorELNS0_4arch9wavefront6targetE1EEEvSM_,comdat
.Lfunc_end749:
	.size	_ZN7rocprim17ROCPRIM_400000_NS6detail17trampoline_kernelINS0_14default_configENS1_37merge_sort_block_sort_config_selectorIlNS0_10empty_typeEEEZNS1_21merge_sort_block_sortIS3_PlS8_PS5_S9_ZN2at6native12_GLOBAL__N_124unique_dim_cuda_templateIdEESt5tupleIJNSA_6TensorESF_SF_EERKSF_lbbbEUlllE_EE10hipError_tT0_T1_T2_T3_mRjT4_P12ihipStream_tbNS1_7vsmem_tEEUlT_E_NS1_11comp_targetILNS1_3genE0ELNS1_11target_archE4294967295ELNS1_3gpuE0ELNS1_3repE0EEENS1_30default_config_static_selectorELNS0_4arch9wavefront6targetE1EEEvSM_, .Lfunc_end749-_ZN7rocprim17ROCPRIM_400000_NS6detail17trampoline_kernelINS0_14default_configENS1_37merge_sort_block_sort_config_selectorIlNS0_10empty_typeEEEZNS1_21merge_sort_block_sortIS3_PlS8_PS5_S9_ZN2at6native12_GLOBAL__N_124unique_dim_cuda_templateIdEESt5tupleIJNSA_6TensorESF_SF_EERKSF_lbbbEUlllE_EE10hipError_tT0_T1_T2_T3_mRjT4_P12ihipStream_tbNS1_7vsmem_tEEUlT_E_NS1_11comp_targetILNS1_3genE0ELNS1_11target_archE4294967295ELNS1_3gpuE0ELNS1_3repE0EEENS1_30default_config_static_selectorELNS0_4arch9wavefront6targetE1EEEvSM_
                                        ; -- End function
	.section	.AMDGPU.csdata,"",@progbits
; Kernel info:
; codeLenInByte = 0
; NumSgprs: 4
; NumVgprs: 0
; NumAgprs: 0
; TotalNumVgprs: 0
; ScratchSize: 0
; MemoryBound: 0
; FloatMode: 240
; IeeeMode: 1
; LDSByteSize: 0 bytes/workgroup (compile time only)
; SGPRBlocks: 0
; VGPRBlocks: 0
; NumSGPRsForWavesPerEU: 4
; NumVGPRsForWavesPerEU: 1
; AccumOffset: 4
; Occupancy: 8
; WaveLimiterHint : 0
; COMPUTE_PGM_RSRC2:SCRATCH_EN: 0
; COMPUTE_PGM_RSRC2:USER_SGPR: 6
; COMPUTE_PGM_RSRC2:TRAP_HANDLER: 0
; COMPUTE_PGM_RSRC2:TGID_X_EN: 1
; COMPUTE_PGM_RSRC2:TGID_Y_EN: 0
; COMPUTE_PGM_RSRC2:TGID_Z_EN: 0
; COMPUTE_PGM_RSRC2:TIDIG_COMP_CNT: 0
; COMPUTE_PGM_RSRC3_GFX90A:ACCUM_OFFSET: 0
; COMPUTE_PGM_RSRC3_GFX90A:TG_SPLIT: 0
	.section	.text._ZN7rocprim17ROCPRIM_400000_NS6detail17trampoline_kernelINS0_14default_configENS1_37merge_sort_block_sort_config_selectorIlNS0_10empty_typeEEEZNS1_21merge_sort_block_sortIS3_PlS8_PS5_S9_ZN2at6native12_GLOBAL__N_124unique_dim_cuda_templateIdEESt5tupleIJNSA_6TensorESF_SF_EERKSF_lbbbEUlllE_EE10hipError_tT0_T1_T2_T3_mRjT4_P12ihipStream_tbNS1_7vsmem_tEEUlT_E_NS1_11comp_targetILNS1_3genE5ELNS1_11target_archE942ELNS1_3gpuE9ELNS1_3repE0EEENS1_30default_config_static_selectorELNS0_4arch9wavefront6targetE1EEEvSM_,"axG",@progbits,_ZN7rocprim17ROCPRIM_400000_NS6detail17trampoline_kernelINS0_14default_configENS1_37merge_sort_block_sort_config_selectorIlNS0_10empty_typeEEEZNS1_21merge_sort_block_sortIS3_PlS8_PS5_S9_ZN2at6native12_GLOBAL__N_124unique_dim_cuda_templateIdEESt5tupleIJNSA_6TensorESF_SF_EERKSF_lbbbEUlllE_EE10hipError_tT0_T1_T2_T3_mRjT4_P12ihipStream_tbNS1_7vsmem_tEEUlT_E_NS1_11comp_targetILNS1_3genE5ELNS1_11target_archE942ELNS1_3gpuE9ELNS1_3repE0EEENS1_30default_config_static_selectorELNS0_4arch9wavefront6targetE1EEEvSM_,comdat
	.globl	_ZN7rocprim17ROCPRIM_400000_NS6detail17trampoline_kernelINS0_14default_configENS1_37merge_sort_block_sort_config_selectorIlNS0_10empty_typeEEEZNS1_21merge_sort_block_sortIS3_PlS8_PS5_S9_ZN2at6native12_GLOBAL__N_124unique_dim_cuda_templateIdEESt5tupleIJNSA_6TensorESF_SF_EERKSF_lbbbEUlllE_EE10hipError_tT0_T1_T2_T3_mRjT4_P12ihipStream_tbNS1_7vsmem_tEEUlT_E_NS1_11comp_targetILNS1_3genE5ELNS1_11target_archE942ELNS1_3gpuE9ELNS1_3repE0EEENS1_30default_config_static_selectorELNS0_4arch9wavefront6targetE1EEEvSM_ ; -- Begin function _ZN7rocprim17ROCPRIM_400000_NS6detail17trampoline_kernelINS0_14default_configENS1_37merge_sort_block_sort_config_selectorIlNS0_10empty_typeEEEZNS1_21merge_sort_block_sortIS3_PlS8_PS5_S9_ZN2at6native12_GLOBAL__N_124unique_dim_cuda_templateIdEESt5tupleIJNSA_6TensorESF_SF_EERKSF_lbbbEUlllE_EE10hipError_tT0_T1_T2_T3_mRjT4_P12ihipStream_tbNS1_7vsmem_tEEUlT_E_NS1_11comp_targetILNS1_3genE5ELNS1_11target_archE942ELNS1_3gpuE9ELNS1_3repE0EEENS1_30default_config_static_selectorELNS0_4arch9wavefront6targetE1EEEvSM_
	.p2align	8
	.type	_ZN7rocprim17ROCPRIM_400000_NS6detail17trampoline_kernelINS0_14default_configENS1_37merge_sort_block_sort_config_selectorIlNS0_10empty_typeEEEZNS1_21merge_sort_block_sortIS3_PlS8_PS5_S9_ZN2at6native12_GLOBAL__N_124unique_dim_cuda_templateIdEESt5tupleIJNSA_6TensorESF_SF_EERKSF_lbbbEUlllE_EE10hipError_tT0_T1_T2_T3_mRjT4_P12ihipStream_tbNS1_7vsmem_tEEUlT_E_NS1_11comp_targetILNS1_3genE5ELNS1_11target_archE942ELNS1_3gpuE9ELNS1_3repE0EEENS1_30default_config_static_selectorELNS0_4arch9wavefront6targetE1EEEvSM_,@function
_ZN7rocprim17ROCPRIM_400000_NS6detail17trampoline_kernelINS0_14default_configENS1_37merge_sort_block_sort_config_selectorIlNS0_10empty_typeEEEZNS1_21merge_sort_block_sortIS3_PlS8_PS5_S9_ZN2at6native12_GLOBAL__N_124unique_dim_cuda_templateIdEESt5tupleIJNSA_6TensorESF_SF_EERKSF_lbbbEUlllE_EE10hipError_tT0_T1_T2_T3_mRjT4_P12ihipStream_tbNS1_7vsmem_tEEUlT_E_NS1_11comp_targetILNS1_3genE5ELNS1_11target_archE942ELNS1_3gpuE9ELNS1_3repE0EEENS1_30default_config_static_selectorELNS0_4arch9wavefront6targetE1EEEvSM_: ; @_ZN7rocprim17ROCPRIM_400000_NS6detail17trampoline_kernelINS0_14default_configENS1_37merge_sort_block_sort_config_selectorIlNS0_10empty_typeEEEZNS1_21merge_sort_block_sortIS3_PlS8_PS5_S9_ZN2at6native12_GLOBAL__N_124unique_dim_cuda_templateIdEESt5tupleIJNSA_6TensorESF_SF_EERKSF_lbbbEUlllE_EE10hipError_tT0_T1_T2_T3_mRjT4_P12ihipStream_tbNS1_7vsmem_tEEUlT_E_NS1_11comp_targetILNS1_3genE5ELNS1_11target_archE942ELNS1_3gpuE9ELNS1_3repE0EEENS1_30default_config_static_selectorELNS0_4arch9wavefront6targetE1EEEvSM_
; %bb.0:
	.section	.rodata,"a",@progbits
	.p2align	6, 0x0
	.amdhsa_kernel _ZN7rocprim17ROCPRIM_400000_NS6detail17trampoline_kernelINS0_14default_configENS1_37merge_sort_block_sort_config_selectorIlNS0_10empty_typeEEEZNS1_21merge_sort_block_sortIS3_PlS8_PS5_S9_ZN2at6native12_GLOBAL__N_124unique_dim_cuda_templateIdEESt5tupleIJNSA_6TensorESF_SF_EERKSF_lbbbEUlllE_EE10hipError_tT0_T1_T2_T3_mRjT4_P12ihipStream_tbNS1_7vsmem_tEEUlT_E_NS1_11comp_targetILNS1_3genE5ELNS1_11target_archE942ELNS1_3gpuE9ELNS1_3repE0EEENS1_30default_config_static_selectorELNS0_4arch9wavefront6targetE1EEEvSM_
		.amdhsa_group_segment_fixed_size 0
		.amdhsa_private_segment_fixed_size 0
		.amdhsa_kernarg_size 72
		.amdhsa_user_sgpr_count 6
		.amdhsa_user_sgpr_private_segment_buffer 1
		.amdhsa_user_sgpr_dispatch_ptr 0
		.amdhsa_user_sgpr_queue_ptr 0
		.amdhsa_user_sgpr_kernarg_segment_ptr 1
		.amdhsa_user_sgpr_dispatch_id 0
		.amdhsa_user_sgpr_flat_scratch_init 0
		.amdhsa_user_sgpr_kernarg_preload_length 0
		.amdhsa_user_sgpr_kernarg_preload_offset 0
		.amdhsa_user_sgpr_private_segment_size 0
		.amdhsa_uses_dynamic_stack 0
		.amdhsa_system_sgpr_private_segment_wavefront_offset 0
		.amdhsa_system_sgpr_workgroup_id_x 1
		.amdhsa_system_sgpr_workgroup_id_y 0
		.amdhsa_system_sgpr_workgroup_id_z 0
		.amdhsa_system_sgpr_workgroup_info 0
		.amdhsa_system_vgpr_workitem_id 0
		.amdhsa_next_free_vgpr 1
		.amdhsa_next_free_sgpr 0
		.amdhsa_accum_offset 4
		.amdhsa_reserve_vcc 0
		.amdhsa_reserve_flat_scratch 0
		.amdhsa_float_round_mode_32 0
		.amdhsa_float_round_mode_16_64 0
		.amdhsa_float_denorm_mode_32 3
		.amdhsa_float_denorm_mode_16_64 3
		.amdhsa_dx10_clamp 1
		.amdhsa_ieee_mode 1
		.amdhsa_fp16_overflow 0
		.amdhsa_tg_split 0
		.amdhsa_exception_fp_ieee_invalid_op 0
		.amdhsa_exception_fp_denorm_src 0
		.amdhsa_exception_fp_ieee_div_zero 0
		.amdhsa_exception_fp_ieee_overflow 0
		.amdhsa_exception_fp_ieee_underflow 0
		.amdhsa_exception_fp_ieee_inexact 0
		.amdhsa_exception_int_div_zero 0
	.end_amdhsa_kernel
	.section	.text._ZN7rocprim17ROCPRIM_400000_NS6detail17trampoline_kernelINS0_14default_configENS1_37merge_sort_block_sort_config_selectorIlNS0_10empty_typeEEEZNS1_21merge_sort_block_sortIS3_PlS8_PS5_S9_ZN2at6native12_GLOBAL__N_124unique_dim_cuda_templateIdEESt5tupleIJNSA_6TensorESF_SF_EERKSF_lbbbEUlllE_EE10hipError_tT0_T1_T2_T3_mRjT4_P12ihipStream_tbNS1_7vsmem_tEEUlT_E_NS1_11comp_targetILNS1_3genE5ELNS1_11target_archE942ELNS1_3gpuE9ELNS1_3repE0EEENS1_30default_config_static_selectorELNS0_4arch9wavefront6targetE1EEEvSM_,"axG",@progbits,_ZN7rocprim17ROCPRIM_400000_NS6detail17trampoline_kernelINS0_14default_configENS1_37merge_sort_block_sort_config_selectorIlNS0_10empty_typeEEEZNS1_21merge_sort_block_sortIS3_PlS8_PS5_S9_ZN2at6native12_GLOBAL__N_124unique_dim_cuda_templateIdEESt5tupleIJNSA_6TensorESF_SF_EERKSF_lbbbEUlllE_EE10hipError_tT0_T1_T2_T3_mRjT4_P12ihipStream_tbNS1_7vsmem_tEEUlT_E_NS1_11comp_targetILNS1_3genE5ELNS1_11target_archE942ELNS1_3gpuE9ELNS1_3repE0EEENS1_30default_config_static_selectorELNS0_4arch9wavefront6targetE1EEEvSM_,comdat
.Lfunc_end750:
	.size	_ZN7rocprim17ROCPRIM_400000_NS6detail17trampoline_kernelINS0_14default_configENS1_37merge_sort_block_sort_config_selectorIlNS0_10empty_typeEEEZNS1_21merge_sort_block_sortIS3_PlS8_PS5_S9_ZN2at6native12_GLOBAL__N_124unique_dim_cuda_templateIdEESt5tupleIJNSA_6TensorESF_SF_EERKSF_lbbbEUlllE_EE10hipError_tT0_T1_T2_T3_mRjT4_P12ihipStream_tbNS1_7vsmem_tEEUlT_E_NS1_11comp_targetILNS1_3genE5ELNS1_11target_archE942ELNS1_3gpuE9ELNS1_3repE0EEENS1_30default_config_static_selectorELNS0_4arch9wavefront6targetE1EEEvSM_, .Lfunc_end750-_ZN7rocprim17ROCPRIM_400000_NS6detail17trampoline_kernelINS0_14default_configENS1_37merge_sort_block_sort_config_selectorIlNS0_10empty_typeEEEZNS1_21merge_sort_block_sortIS3_PlS8_PS5_S9_ZN2at6native12_GLOBAL__N_124unique_dim_cuda_templateIdEESt5tupleIJNSA_6TensorESF_SF_EERKSF_lbbbEUlllE_EE10hipError_tT0_T1_T2_T3_mRjT4_P12ihipStream_tbNS1_7vsmem_tEEUlT_E_NS1_11comp_targetILNS1_3genE5ELNS1_11target_archE942ELNS1_3gpuE9ELNS1_3repE0EEENS1_30default_config_static_selectorELNS0_4arch9wavefront6targetE1EEEvSM_
                                        ; -- End function
	.section	.AMDGPU.csdata,"",@progbits
; Kernel info:
; codeLenInByte = 0
; NumSgprs: 4
; NumVgprs: 0
; NumAgprs: 0
; TotalNumVgprs: 0
; ScratchSize: 0
; MemoryBound: 0
; FloatMode: 240
; IeeeMode: 1
; LDSByteSize: 0 bytes/workgroup (compile time only)
; SGPRBlocks: 0
; VGPRBlocks: 0
; NumSGPRsForWavesPerEU: 4
; NumVGPRsForWavesPerEU: 1
; AccumOffset: 4
; Occupancy: 8
; WaveLimiterHint : 0
; COMPUTE_PGM_RSRC2:SCRATCH_EN: 0
; COMPUTE_PGM_RSRC2:USER_SGPR: 6
; COMPUTE_PGM_RSRC2:TRAP_HANDLER: 0
; COMPUTE_PGM_RSRC2:TGID_X_EN: 1
; COMPUTE_PGM_RSRC2:TGID_Y_EN: 0
; COMPUTE_PGM_RSRC2:TGID_Z_EN: 0
; COMPUTE_PGM_RSRC2:TIDIG_COMP_CNT: 0
; COMPUTE_PGM_RSRC3_GFX90A:ACCUM_OFFSET: 0
; COMPUTE_PGM_RSRC3_GFX90A:TG_SPLIT: 0
	.section	.text._ZN7rocprim17ROCPRIM_400000_NS6detail17trampoline_kernelINS0_14default_configENS1_37merge_sort_block_sort_config_selectorIlNS0_10empty_typeEEEZNS1_21merge_sort_block_sortIS3_PlS8_PS5_S9_ZN2at6native12_GLOBAL__N_124unique_dim_cuda_templateIdEESt5tupleIJNSA_6TensorESF_SF_EERKSF_lbbbEUlllE_EE10hipError_tT0_T1_T2_T3_mRjT4_P12ihipStream_tbNS1_7vsmem_tEEUlT_E_NS1_11comp_targetILNS1_3genE4ELNS1_11target_archE910ELNS1_3gpuE8ELNS1_3repE0EEENS1_30default_config_static_selectorELNS0_4arch9wavefront6targetE1EEEvSM_,"axG",@progbits,_ZN7rocprim17ROCPRIM_400000_NS6detail17trampoline_kernelINS0_14default_configENS1_37merge_sort_block_sort_config_selectorIlNS0_10empty_typeEEEZNS1_21merge_sort_block_sortIS3_PlS8_PS5_S9_ZN2at6native12_GLOBAL__N_124unique_dim_cuda_templateIdEESt5tupleIJNSA_6TensorESF_SF_EERKSF_lbbbEUlllE_EE10hipError_tT0_T1_T2_T3_mRjT4_P12ihipStream_tbNS1_7vsmem_tEEUlT_E_NS1_11comp_targetILNS1_3genE4ELNS1_11target_archE910ELNS1_3gpuE8ELNS1_3repE0EEENS1_30default_config_static_selectorELNS0_4arch9wavefront6targetE1EEEvSM_,comdat
	.globl	_ZN7rocprim17ROCPRIM_400000_NS6detail17trampoline_kernelINS0_14default_configENS1_37merge_sort_block_sort_config_selectorIlNS0_10empty_typeEEEZNS1_21merge_sort_block_sortIS3_PlS8_PS5_S9_ZN2at6native12_GLOBAL__N_124unique_dim_cuda_templateIdEESt5tupleIJNSA_6TensorESF_SF_EERKSF_lbbbEUlllE_EE10hipError_tT0_T1_T2_T3_mRjT4_P12ihipStream_tbNS1_7vsmem_tEEUlT_E_NS1_11comp_targetILNS1_3genE4ELNS1_11target_archE910ELNS1_3gpuE8ELNS1_3repE0EEENS1_30default_config_static_selectorELNS0_4arch9wavefront6targetE1EEEvSM_ ; -- Begin function _ZN7rocprim17ROCPRIM_400000_NS6detail17trampoline_kernelINS0_14default_configENS1_37merge_sort_block_sort_config_selectorIlNS0_10empty_typeEEEZNS1_21merge_sort_block_sortIS3_PlS8_PS5_S9_ZN2at6native12_GLOBAL__N_124unique_dim_cuda_templateIdEESt5tupleIJNSA_6TensorESF_SF_EERKSF_lbbbEUlllE_EE10hipError_tT0_T1_T2_T3_mRjT4_P12ihipStream_tbNS1_7vsmem_tEEUlT_E_NS1_11comp_targetILNS1_3genE4ELNS1_11target_archE910ELNS1_3gpuE8ELNS1_3repE0EEENS1_30default_config_static_selectorELNS0_4arch9wavefront6targetE1EEEvSM_
	.p2align	8
	.type	_ZN7rocprim17ROCPRIM_400000_NS6detail17trampoline_kernelINS0_14default_configENS1_37merge_sort_block_sort_config_selectorIlNS0_10empty_typeEEEZNS1_21merge_sort_block_sortIS3_PlS8_PS5_S9_ZN2at6native12_GLOBAL__N_124unique_dim_cuda_templateIdEESt5tupleIJNSA_6TensorESF_SF_EERKSF_lbbbEUlllE_EE10hipError_tT0_T1_T2_T3_mRjT4_P12ihipStream_tbNS1_7vsmem_tEEUlT_E_NS1_11comp_targetILNS1_3genE4ELNS1_11target_archE910ELNS1_3gpuE8ELNS1_3repE0EEENS1_30default_config_static_selectorELNS0_4arch9wavefront6targetE1EEEvSM_,@function
_ZN7rocprim17ROCPRIM_400000_NS6detail17trampoline_kernelINS0_14default_configENS1_37merge_sort_block_sort_config_selectorIlNS0_10empty_typeEEEZNS1_21merge_sort_block_sortIS3_PlS8_PS5_S9_ZN2at6native12_GLOBAL__N_124unique_dim_cuda_templateIdEESt5tupleIJNSA_6TensorESF_SF_EERKSF_lbbbEUlllE_EE10hipError_tT0_T1_T2_T3_mRjT4_P12ihipStream_tbNS1_7vsmem_tEEUlT_E_NS1_11comp_targetILNS1_3genE4ELNS1_11target_archE910ELNS1_3gpuE8ELNS1_3repE0EEENS1_30default_config_static_selectorELNS0_4arch9wavefront6targetE1EEEvSM_: ; @_ZN7rocprim17ROCPRIM_400000_NS6detail17trampoline_kernelINS0_14default_configENS1_37merge_sort_block_sort_config_selectorIlNS0_10empty_typeEEEZNS1_21merge_sort_block_sortIS3_PlS8_PS5_S9_ZN2at6native12_GLOBAL__N_124unique_dim_cuda_templateIdEESt5tupleIJNSA_6TensorESF_SF_EERKSF_lbbbEUlllE_EE10hipError_tT0_T1_T2_T3_mRjT4_P12ihipStream_tbNS1_7vsmem_tEEUlT_E_NS1_11comp_targetILNS1_3genE4ELNS1_11target_archE910ELNS1_3gpuE8ELNS1_3repE0EEENS1_30default_config_static_selectorELNS0_4arch9wavefront6targetE1EEEvSM_
; %bb.0:
	s_load_dwordx2 s[18:19], s[4:5], 0x48
	s_load_dword s0, s[4:5], 0x0
	s_add_u32 s10, s4, 0x48
	s_addc_u32 s11, s5, 0
	s_waitcnt lgkmcnt(0)
	s_mul_i32 s1, s19, s8
	s_add_i32 s1, s1, s7
	s_mul_i32 s1, s1, s18
	s_add_i32 s20, s1, s6
	s_cmp_ge_u32 s20, s0
	s_cbranch_scc1 .LBB751_725
; %bb.1:
	s_load_dwordx2 s[22:23], s[4:5], 0x8
	s_load_dwordx4 s[0:3], s[4:5], 0x18
	s_load_dwordx4 s[12:15], s[4:5], 0x38
	s_mov_b32 s21, 0
	s_lshl_b64 s[4:5], s[20:21], 13
	s_waitcnt lgkmcnt(0)
	s_lshr_b64 s[24:25], s[22:23], 10
	s_add_u32 s8, s0, s4
	s_addc_u32 s9, s1, s5
	s_add_u32 s16, s2, s4
	s_addc_u32 s17, s3, s5
	v_and_b32_e32 v12, 0x3ff, v0
	s_cmp_lg_u64 s[24:25], s[20:21]
	v_bfe_u32 v24, v0, 10, 10
	v_bfe_u32 v25, v0, 20, 10
	v_lshlrev_b32_e32 v22, 3, v12
	v_lshrrev_b32_e32 v27, 2, v12
	v_lshlrev_b32_e32 v23, 2, v12
	v_lshrrev_b32_e32 v26, 3, v12
	v_cmp_gt_i64_e64 s[26:27], s[12:13], 0
	s_cbranch_scc0 .LBB751_8
; %bb.2:
	v_mov_b32_e32 v0, s9
	v_add_co_u32_e32 v4, vcc, s8, v22
	v_addc_co_u32_e32 v5, vcc, 0, v0, vcc
	v_add_co_u32_e32 v4, vcc, 0x1000, v4
	v_addc_co_u32_e32 v5, vcc, 0, v5, vcc
	global_load_dwordx2 v[0:1], v22, s[8:9]
	global_load_dwordx2 v[2:3], v22, s[8:9] offset:2048
	global_load_dwordx2 v[6:7], v[4:5], off
	global_load_dwordx2 v[8:9], v[4:5], off offset:2048
	v_and_b32_e32 v4, 0xf8, v27
	v_add_u32_e32 v5, 0x100, v12
	v_add_u32_e32 v10, 0x200, v12
	;; [unrolled: 1-line block ×4, first 2 shown]
	v_lshrrev_b32_e32 v4, 2, v5
	v_lshrrev_b32_e32 v5, 2, v10
	;; [unrolled: 1-line block ×3, first 2 shown]
	v_add_lshl_u32 v29, v26, v23, 3
	v_and_b32_e32 v4, 0x1f8, v4
	v_and_b32_e32 v5, 0x1f8, v5
	v_and_b32_e32 v10, 0x1f8, v10
	v_add_u32_e32 v30, v4, v22
	v_add_u32_e32 v31, v5, v22
	;; [unrolled: 1-line block ×3, first 2 shown]
	v_mov_b32_e32 v13, 0
	v_cndmask_b32_e64 v15, 0, 1, s[26:27]
	s_waitcnt vmcnt(3)
	ds_write_b64 v28, v[0:1]
	s_waitcnt vmcnt(2)
	ds_write_b64 v30, v[2:3] offset:2048
	s_waitcnt vmcnt(1)
	ds_write_b64 v31, v[6:7] offset:4096
	;; [unrolled: 2-line block ×3, first 2 shown]
	s_waitcnt lgkmcnt(0)
	s_barrier
	ds_read2_b64 v[8:11], v29 offset1:1
	ds_read2_b64 v[4:7], v29 offset0:2 offset1:3
	s_waitcnt lgkmcnt(0)
	s_barrier
	s_load_dword s0, s[10:11], 0xc
	v_mov_b32_e32 v0, v8
	v_mov_b32_e32 v1, v9
	;; [unrolled: 1-line block ×4, first 2 shown]
	s_waitcnt lgkmcnt(0)
	s_lshr_b32 s2, s0, 16
	s_cmp_lt_u32 s6, s18
	s_cselect_b32 s0, 12, 18
	s_add_u32 s0, s10, s0
	s_addc_u32 s1, s11, 0
	global_load_ushort v14, v13, s[0:1]
	v_mad_u32_u24 v16, v25, s2, v24
	s_movk_i32 s0, 0x400
	s_waitcnt vmcnt(0)
	v_mul_lo_u32 v14, v16, v14
	v_add_lshl_u32 v33, v14, v12, 2
	v_cmp_gt_u32_e32 vcc, s0, v33
	v_cmp_ne_u32_e64 s[0:1], 1, v15
	s_and_saveexec_b64 s[24:25], vcc
	s_cbranch_execz .LBB751_60
; %bb.3:
	s_and_b64 vcc, exec, s[0:1]
	s_cbranch_vccnz .LBB751_14
; %bb.4:
	v_mul_lo_u32 v16, v11, s12
	v_mul_lo_u32 v17, v10, s13
	v_mad_u64_u32 v[14:15], s[2:3], v10, s12, 0
	v_add3_u32 v15, v15, v17, v16
	v_lshlrev_b64 v[14:15], 3, v[14:15]
	v_mov_b32_e32 v16, s15
	v_add_co_u32_e32 v14, vcc, s14, v14
	v_addc_co_u32_e32 v15, vcc, v16, v15, vcc
	v_mul_lo_u32 v18, v9, s12
	v_mul_lo_u32 v19, v8, s13
	v_mad_u64_u32 v[16:17], s[2:3], v8, s12, 0
	v_add3_u32 v17, v17, v19, v18
	v_lshlrev_b64 v[16:17], 3, v[16:17]
	v_mov_b32_e32 v18, s15
	v_add_co_u32_e32 v16, vcc, s14, v16
	v_addc_co_u32_e32 v17, vcc, v18, v17, vcc
	s_mov_b64 s[34:35], 0
	s_mov_b64 s[42:43], s[12:13]
                                        ; implicit-def: $sgpr28_sgpr29
                                        ; implicit-def: $sgpr30_sgpr31
                                        ; implicit-def: $sgpr38_sgpr39
                                        ; implicit-def: $sgpr36_sgpr37
                                        ; implicit-def: $sgpr40_sgpr41
                                        ; implicit-def: $sgpr44_sgpr45
	s_branch .LBB751_6
.LBB751_5:                              ;   in Loop: Header=BB751_6 Depth=1
	s_or_b64 exec, exec, s[46:47]
	s_and_b64 s[4:5], exec, s[38:39]
	s_or_b64 s[34:35], s[4:5], s[34:35]
	s_andn2_b64 s[4:5], s[44:45], exec
	s_and_b64 s[44:45], s[40:41], exec
	s_or_b64 s[44:45], s[4:5], s[44:45]
	s_andn2_b64 s[4:5], s[30:31], exec
	s_and_b64 s[30:31], s[36:37], exec
	;; [unrolled: 3-line block ×3, first 2 shown]
	s_or_b64 s[28:29], s[4:5], s[2:3]
	s_andn2_b64 exec, exec, s[34:35]
	s_cbranch_execz .LBB751_9
.LBB751_6:                              ; =>This Inner Loop Header: Depth=1
	global_load_dwordx2 v[18:19], v[14:15], off
	global_load_dwordx2 v[20:21], v[16:17], off
	s_andn2_b64 s[40:41], s[40:41], exec
	s_or_b64 s[36:37], s[36:37], exec
	s_or_b64 s[38:39], s[38:39], exec
	s_waitcnt vmcnt(0)
	v_cmp_ngt_f64_e64 s[2:3], v[18:19], v[20:21]
	v_cmp_lt_f64_e32 vcc, v[18:19], v[20:21]
	s_and_b64 s[2:3], s[2:3], s[44:45]
	v_cmp_nlg_f64_e64 s[4:5], v[18:19], v[20:21]
	s_or_b64 s[2:3], vcc, s[2:3]
	s_and_saveexec_b64 s[46:47], s[4:5]
	s_cbranch_execz .LBB751_5
; %bb.7:                                ;   in Loop: Header=BB751_6 Depth=1
	s_add_u32 s42, s42, -1
	s_addc_u32 s43, s43, -1
	v_add_co_u32_e32 v14, vcc, 8, v14
	s_cmp_eq_u64 s[42:43], 0
	v_addc_co_u32_e32 v15, vcc, 0, v15, vcc
	s_cselect_b64 s[4:5], -1, 0
	v_add_co_u32_e32 v16, vcc, 8, v16
	s_andn2_b64 s[40:41], s[40:41], exec
	s_and_b64 s[44:45], s[2:3], exec
	s_andn2_b64 s[38:39], s[38:39], exec
	s_and_b64 s[4:5], s[4:5], exec
	v_addc_co_u32_e32 v17, vcc, 0, v17, vcc
	s_or_b64 s[40:41], s[40:41], s[44:45]
	s_andn2_b64 s[36:37], s[36:37], exec
	s_or_b64 s[38:39], s[38:39], s[4:5]
                                        ; implicit-def: $sgpr44_sgpr45
	s_branch .LBB751_5
.LBB751_8:
	s_mov_b64 s[24:25], 0
                                        ; implicit-def: $vgpr0_vgpr1
	s_cbranch_execnz .LBB751_429
	s_branch .LBB751_723
.LBB751_9:
	s_or_b64 exec, exec, s[34:35]
	s_and_saveexec_b64 s[2:3], s[30:31]
	s_xor_b64 s[2:3], exec, s[2:3]
	s_cbranch_execz .LBB751_13
; %bb.10:
	v_pk_mov_b32 v[14:15], v[10:11], v[10:11] op_sel:[0,1]
	s_and_saveexec_b64 s[4:5], s[28:29]
; %bb.11:
	v_mov_b32_e32 v0, v10
	v_mov_b32_e32 v1, v11
	;; [unrolled: 1-line block ×4, first 2 shown]
	v_pk_mov_b32 v[14:15], v[8:9], v[8:9] op_sel:[0,1]
	v_pk_mov_b32 v[8:9], v[10:11], v[10:11] op_sel:[0,1]
; %bb.12:
	s_or_b64 exec, exec, s[4:5]
	v_pk_mov_b32 v[10:11], v[14:15], v[14:15] op_sel:[0,1]
.LBB751_13:
	s_or_b64 exec, exec, s[2:3]
.LBB751_14:
	v_mov_b32_e32 v16, v6
	v_mov_b32_e32 v17, v7
	;; [unrolled: 1-line block ×3, first 2 shown]
	s_and_b64 vcc, exec, s[0:1]
	v_mov_b32_e32 v15, v5
	s_cbranch_vccnz .LBB751_24
; %bb.15:
	v_mul_lo_u32 v20, v7, s12
	v_mul_lo_u32 v21, v6, s13
	v_mad_u64_u32 v[18:19], s[2:3], v6, s12, 0
	v_add3_u32 v19, v19, v21, v20
	v_lshlrev_b64 v[18:19], 3, v[18:19]
	v_mov_b32_e32 v20, s15
	v_add_co_u32_e32 v18, vcc, s14, v18
	v_addc_co_u32_e32 v19, vcc, v20, v19, vcc
	v_mul_lo_u32 v34, v5, s12
	v_mul_lo_u32 v35, v4, s13
	v_mad_u64_u32 v[20:21], s[2:3], v4, s12, 0
	v_add3_u32 v21, v21, v35, v34
	v_lshlrev_b64 v[20:21], 3, v[20:21]
	v_mov_b32_e32 v34, s15
	v_add_co_u32_e32 v20, vcc, s14, v20
	v_addc_co_u32_e32 v21, vcc, v34, v21, vcc
	s_mov_b64 s[34:35], 0
	s_mov_b64 s[42:43], s[12:13]
                                        ; implicit-def: $sgpr28_sgpr29
                                        ; implicit-def: $sgpr30_sgpr31
                                        ; implicit-def: $sgpr38_sgpr39
                                        ; implicit-def: $sgpr36_sgpr37
                                        ; implicit-def: $sgpr40_sgpr41
                                        ; implicit-def: $sgpr44_sgpr45
	s_branch .LBB751_17
.LBB751_16:                             ;   in Loop: Header=BB751_17 Depth=1
	s_or_b64 exec, exec, s[46:47]
	s_and_b64 s[4:5], exec, s[38:39]
	s_or_b64 s[34:35], s[4:5], s[34:35]
	s_andn2_b64 s[4:5], s[44:45], exec
	s_and_b64 s[44:45], s[40:41], exec
	s_or_b64 s[44:45], s[4:5], s[44:45]
	s_andn2_b64 s[4:5], s[30:31], exec
	s_and_b64 s[30:31], s[36:37], exec
	;; [unrolled: 3-line block ×3, first 2 shown]
	s_or_b64 s[28:29], s[4:5], s[2:3]
	s_andn2_b64 exec, exec, s[34:35]
	s_cbranch_execz .LBB751_19
.LBB751_17:                             ; =>This Inner Loop Header: Depth=1
	global_load_dwordx2 v[34:35], v[18:19], off
	global_load_dwordx2 v[36:37], v[20:21], off
	s_andn2_b64 s[40:41], s[40:41], exec
	s_or_b64 s[36:37], s[36:37], exec
	s_or_b64 s[38:39], s[38:39], exec
	s_waitcnt vmcnt(0)
	v_cmp_ngt_f64_e64 s[2:3], v[34:35], v[36:37]
	v_cmp_lt_f64_e32 vcc, v[34:35], v[36:37]
	s_and_b64 s[2:3], s[2:3], s[44:45]
	v_cmp_nlg_f64_e64 s[4:5], v[34:35], v[36:37]
	s_or_b64 s[2:3], vcc, s[2:3]
	s_and_saveexec_b64 s[46:47], s[4:5]
	s_cbranch_execz .LBB751_16
; %bb.18:                               ;   in Loop: Header=BB751_17 Depth=1
	s_add_u32 s42, s42, -1
	s_addc_u32 s43, s43, -1
	v_add_co_u32_e32 v18, vcc, 8, v18
	s_cmp_eq_u64 s[42:43], 0
	v_addc_co_u32_e32 v19, vcc, 0, v19, vcc
	s_cselect_b64 s[4:5], -1, 0
	v_add_co_u32_e32 v20, vcc, 8, v20
	s_andn2_b64 s[40:41], s[40:41], exec
	s_and_b64 s[44:45], s[2:3], exec
	s_andn2_b64 s[38:39], s[38:39], exec
	s_and_b64 s[4:5], s[4:5], exec
	v_addc_co_u32_e32 v21, vcc, 0, v21, vcc
	s_or_b64 s[40:41], s[40:41], s[44:45]
	s_andn2_b64 s[36:37], s[36:37], exec
	s_or_b64 s[38:39], s[38:39], s[4:5]
                                        ; implicit-def: $sgpr44_sgpr45
	s_branch .LBB751_16
.LBB751_19:
	s_or_b64 exec, exec, s[34:35]
	s_and_saveexec_b64 s[2:3], s[30:31]
	s_xor_b64 s[2:3], exec, s[2:3]
	s_cbranch_execz .LBB751_23
; %bb.20:
	s_and_saveexec_b64 s[4:5], s[28:29]
	s_cbranch_execz .LBB751_22
; %bb.21:
	v_mov_b32_e32 v34, v0
	v_mov_b32_e32 v35, v1
	;; [unrolled: 1-line block ×8, first 2 shown]
	v_pk_mov_b32 v[18:19], v[16:17], v[16:17] op_sel:[0,1]
	v_pk_mov_b32 v[0:1], v[34:35], v[34:35] op_sel:[0,1]
	;; [unrolled: 1-line block ×7, first 2 shown]
.LBB751_22:
	s_or_b64 exec, exec, s[4:5]
.LBB751_23:
	s_or_b64 exec, exec, s[2:3]
.LBB751_24:
	s_and_b64 vcc, exec, s[26:27]
	s_cbranch_vccz .LBB751_34
; %bb.25:
	v_mul_lo_u32 v20, v15, s12
	v_mul_lo_u32 v21, v14, s13
	v_mad_u64_u32 v[18:19], s[2:3], v14, s12, 0
	v_add3_u32 v19, v19, v21, v20
	v_lshlrev_b64 v[18:19], 3, v[18:19]
	v_mov_b32_e32 v20, s15
	v_add_co_u32_e32 v18, vcc, s14, v18
	v_addc_co_u32_e32 v19, vcc, v20, v19, vcc
	v_mul_lo_u32 v34, v11, s12
	v_mul_lo_u32 v35, v10, s13
	v_mad_u64_u32 v[20:21], s[2:3], v10, s12, 0
	v_add3_u32 v21, v21, v35, v34
	v_lshlrev_b64 v[20:21], 3, v[20:21]
	v_mov_b32_e32 v34, s15
	v_add_co_u32_e32 v20, vcc, s14, v20
	v_addc_co_u32_e32 v21, vcc, v34, v21, vcc
	s_mov_b64 s[30:31], 0
	s_mov_b64 s[40:41], s[12:13]
                                        ; implicit-def: $sgpr26_sgpr27
                                        ; implicit-def: $sgpr28_sgpr29
                                        ; implicit-def: $sgpr36_sgpr37
                                        ; implicit-def: $sgpr34_sgpr35
                                        ; implicit-def: $sgpr38_sgpr39
                                        ; implicit-def: $sgpr42_sgpr43
	s_branch .LBB751_27
.LBB751_26:                             ;   in Loop: Header=BB751_27 Depth=1
	s_or_b64 exec, exec, s[44:45]
	s_and_b64 s[4:5], exec, s[36:37]
	s_or_b64 s[30:31], s[4:5], s[30:31]
	s_andn2_b64 s[4:5], s[42:43], exec
	s_and_b64 s[42:43], s[38:39], exec
	s_or_b64 s[42:43], s[4:5], s[42:43]
	s_andn2_b64 s[4:5], s[28:29], exec
	s_and_b64 s[28:29], s[34:35], exec
	;; [unrolled: 3-line block ×3, first 2 shown]
	s_or_b64 s[26:27], s[4:5], s[2:3]
	s_andn2_b64 exec, exec, s[30:31]
	s_cbranch_execz .LBB751_29
.LBB751_27:                             ; =>This Inner Loop Header: Depth=1
	global_load_dwordx2 v[34:35], v[18:19], off
	global_load_dwordx2 v[36:37], v[20:21], off
	s_andn2_b64 s[38:39], s[38:39], exec
	s_or_b64 s[34:35], s[34:35], exec
	s_or_b64 s[36:37], s[36:37], exec
	s_waitcnt vmcnt(0)
	v_cmp_ngt_f64_e64 s[2:3], v[34:35], v[36:37]
	v_cmp_lt_f64_e32 vcc, v[34:35], v[36:37]
	s_and_b64 s[2:3], s[2:3], s[42:43]
	v_cmp_nlg_f64_e64 s[4:5], v[34:35], v[36:37]
	s_or_b64 s[2:3], vcc, s[2:3]
	s_and_saveexec_b64 s[44:45], s[4:5]
	s_cbranch_execz .LBB751_26
; %bb.28:                               ;   in Loop: Header=BB751_27 Depth=1
	s_add_u32 s40, s40, -1
	s_addc_u32 s41, s41, -1
	v_add_co_u32_e32 v18, vcc, 8, v18
	s_cmp_eq_u64 s[40:41], 0
	v_addc_co_u32_e32 v19, vcc, 0, v19, vcc
	s_cselect_b64 s[4:5], -1, 0
	v_add_co_u32_e32 v20, vcc, 8, v20
	s_andn2_b64 s[38:39], s[38:39], exec
	s_and_b64 s[42:43], s[2:3], exec
	s_andn2_b64 s[36:37], s[36:37], exec
	s_and_b64 s[4:5], s[4:5], exec
	v_addc_co_u32_e32 v21, vcc, 0, v21, vcc
	s_or_b64 s[38:39], s[38:39], s[42:43]
	s_andn2_b64 s[34:35], s[34:35], exec
	s_or_b64 s[36:37], s[36:37], s[4:5]
                                        ; implicit-def: $sgpr42_sgpr43
	s_branch .LBB751_26
.LBB751_29:
	s_or_b64 exec, exec, s[30:31]
	s_and_saveexec_b64 s[2:3], s[28:29]
	s_xor_b64 s[2:3], exec, s[2:3]
	s_cbranch_execz .LBB751_33
; %bb.30:
	v_pk_mov_b32 v[18:19], v[10:11], v[10:11] op_sel:[0,1]
	s_and_saveexec_b64 s[4:5], s[26:27]
; %bb.31:
	v_mov_b32_e32 v2, v14
	v_mov_b32_e32 v3, v15
	;; [unrolled: 1-line block ×4, first 2 shown]
	v_pk_mov_b32 v[18:19], v[14:15], v[14:15] op_sel:[0,1]
	v_pk_mov_b32 v[14:15], v[10:11], v[10:11] op_sel:[0,1]
; %bb.32:
	s_or_b64 exec, exec, s[4:5]
	v_pk_mov_b32 v[10:11], v[18:19], v[18:19] op_sel:[0,1]
.LBB751_33:
	s_or_b64 exec, exec, s[2:3]
.LBB751_34:
	s_and_b64 vcc, exec, s[0:1]
	s_cbranch_vccnz .LBB751_44
; %bb.35:
	v_mul_lo_u32 v20, v11, s12
	v_mul_lo_u32 v21, v10, s13
	v_mad_u64_u32 v[18:19], s[2:3], v10, s12, 0
	v_add3_u32 v19, v19, v21, v20
	v_lshlrev_b64 v[18:19], 3, v[18:19]
	v_mov_b32_e32 v20, s15
	v_add_co_u32_e32 v18, vcc, s14, v18
	v_addc_co_u32_e32 v19, vcc, v20, v19, vcc
	v_mul_lo_u32 v34, v9, s12
	v_mul_lo_u32 v35, v8, s13
	v_mad_u64_u32 v[20:21], s[2:3], v8, s12, 0
	v_add3_u32 v21, v21, v35, v34
	v_lshlrev_b64 v[20:21], 3, v[20:21]
	v_mov_b32_e32 v34, s15
	v_add_co_u32_e32 v20, vcc, s14, v20
	v_addc_co_u32_e32 v21, vcc, v34, v21, vcc
	s_mov_b64 s[30:31], 0
	s_mov_b64 s[40:41], s[12:13]
                                        ; implicit-def: $sgpr26_sgpr27
                                        ; implicit-def: $sgpr28_sgpr29
                                        ; implicit-def: $sgpr36_sgpr37
                                        ; implicit-def: $sgpr34_sgpr35
                                        ; implicit-def: $sgpr38_sgpr39
                                        ; implicit-def: $sgpr42_sgpr43
	s_branch .LBB751_37
.LBB751_36:                             ;   in Loop: Header=BB751_37 Depth=1
	s_or_b64 exec, exec, s[44:45]
	s_and_b64 s[4:5], exec, s[36:37]
	s_or_b64 s[30:31], s[4:5], s[30:31]
	s_andn2_b64 s[4:5], s[42:43], exec
	s_and_b64 s[42:43], s[38:39], exec
	s_or_b64 s[42:43], s[4:5], s[42:43]
	s_andn2_b64 s[4:5], s[28:29], exec
	s_and_b64 s[28:29], s[34:35], exec
	;; [unrolled: 3-line block ×3, first 2 shown]
	s_or_b64 s[26:27], s[4:5], s[2:3]
	s_andn2_b64 exec, exec, s[30:31]
	s_cbranch_execz .LBB751_39
.LBB751_37:                             ; =>This Inner Loop Header: Depth=1
	global_load_dwordx2 v[34:35], v[18:19], off
	global_load_dwordx2 v[36:37], v[20:21], off
	s_andn2_b64 s[38:39], s[38:39], exec
	s_or_b64 s[34:35], s[34:35], exec
	s_or_b64 s[36:37], s[36:37], exec
	s_waitcnt vmcnt(0)
	v_cmp_ngt_f64_e64 s[2:3], v[34:35], v[36:37]
	v_cmp_lt_f64_e32 vcc, v[34:35], v[36:37]
	s_and_b64 s[2:3], s[2:3], s[42:43]
	v_cmp_nlg_f64_e64 s[4:5], v[34:35], v[36:37]
	s_or_b64 s[2:3], vcc, s[2:3]
	s_and_saveexec_b64 s[44:45], s[4:5]
	s_cbranch_execz .LBB751_36
; %bb.38:                               ;   in Loop: Header=BB751_37 Depth=1
	s_add_u32 s40, s40, -1
	s_addc_u32 s41, s41, -1
	v_add_co_u32_e32 v18, vcc, 8, v18
	s_cmp_eq_u64 s[40:41], 0
	v_addc_co_u32_e32 v19, vcc, 0, v19, vcc
	s_cselect_b64 s[4:5], -1, 0
	v_add_co_u32_e32 v20, vcc, 8, v20
	s_andn2_b64 s[38:39], s[38:39], exec
	s_and_b64 s[42:43], s[2:3], exec
	s_andn2_b64 s[36:37], s[36:37], exec
	s_and_b64 s[4:5], s[4:5], exec
	v_addc_co_u32_e32 v21, vcc, 0, v21, vcc
	s_or_b64 s[38:39], s[38:39], s[42:43]
	s_andn2_b64 s[34:35], s[34:35], exec
	s_or_b64 s[36:37], s[36:37], s[4:5]
                                        ; implicit-def: $sgpr42_sgpr43
	s_branch .LBB751_36
.LBB751_39:
	s_or_b64 exec, exec, s[30:31]
	s_and_saveexec_b64 s[2:3], s[28:29]
	s_xor_b64 s[2:3], exec, s[2:3]
	s_cbranch_execz .LBB751_43
; %bb.40:
	v_pk_mov_b32 v[18:19], v[10:11], v[10:11] op_sel:[0,1]
	s_and_saveexec_b64 s[4:5], s[26:27]
; %bb.41:
	v_mov_b32_e32 v0, v10
	v_mov_b32_e32 v1, v11
	v_mov_b32_e32 v2, v8
	v_mov_b32_e32 v3, v9
	v_pk_mov_b32 v[18:19], v[8:9], v[8:9] op_sel:[0,1]
	v_pk_mov_b32 v[8:9], v[10:11], v[10:11] op_sel:[0,1]
; %bb.42:
	s_or_b64 exec, exec, s[4:5]
	v_pk_mov_b32 v[10:11], v[18:19], v[18:19] op_sel:[0,1]
.LBB751_43:
	s_or_b64 exec, exec, s[2:3]
.LBB751_44:
	s_and_b64 vcc, exec, s[0:1]
	s_cbranch_vccnz .LBB751_52
; %bb.45:
	v_mul_lo_u32 v20, v17, s12
	v_mul_lo_u32 v21, v16, s13
	v_mad_u64_u32 v[18:19], s[2:3], v16, s12, 0
	v_add3_u32 v19, v19, v21, v20
	v_lshlrev_b64 v[18:19], 3, v[18:19]
	v_mov_b32_e32 v20, s15
	v_add_co_u32_e32 v18, vcc, s14, v18
	v_addc_co_u32_e32 v19, vcc, v20, v19, vcc
	v_mul_lo_u32 v34, v15, s12
	v_mul_lo_u32 v35, v14, s13
	v_mad_u64_u32 v[20:21], s[2:3], v14, s12, 0
	v_add3_u32 v21, v21, v35, v34
	v_lshlrev_b64 v[20:21], 3, v[20:21]
	v_mov_b32_e32 v34, s15
	v_add_co_u32_e32 v20, vcc, s14, v20
	v_addc_co_u32_e32 v21, vcc, v34, v21, vcc
	s_mov_b64 s[28:29], 0
	s_mov_b64 s[40:41], s[12:13]
                                        ; implicit-def: $sgpr26_sgpr27
                                        ; implicit-def: $sgpr30_sgpr31
                                        ; implicit-def: $sgpr36_sgpr37
                                        ; implicit-def: $sgpr34_sgpr35
                                        ; implicit-def: $sgpr38_sgpr39
                                        ; implicit-def: $sgpr42_sgpr43
	s_branch .LBB751_47
.LBB751_46:                             ;   in Loop: Header=BB751_47 Depth=1
	s_or_b64 exec, exec, s[44:45]
	s_and_b64 s[4:5], exec, s[36:37]
	s_or_b64 s[28:29], s[4:5], s[28:29]
	s_andn2_b64 s[4:5], s[42:43], exec
	s_and_b64 s[42:43], s[38:39], exec
	s_or_b64 s[42:43], s[4:5], s[42:43]
	s_andn2_b64 s[4:5], s[30:31], exec
	s_and_b64 s[30:31], s[34:35], exec
	;; [unrolled: 3-line block ×3, first 2 shown]
	s_or_b64 s[26:27], s[4:5], s[2:3]
	s_andn2_b64 exec, exec, s[28:29]
	s_cbranch_execz .LBB751_49
.LBB751_47:                             ; =>This Inner Loop Header: Depth=1
	global_load_dwordx2 v[34:35], v[18:19], off
	global_load_dwordx2 v[36:37], v[20:21], off
	s_andn2_b64 s[38:39], s[38:39], exec
	s_or_b64 s[34:35], s[34:35], exec
	s_or_b64 s[36:37], s[36:37], exec
	s_waitcnt vmcnt(0)
	v_cmp_ngt_f64_e64 s[2:3], v[34:35], v[36:37]
	v_cmp_lt_f64_e32 vcc, v[34:35], v[36:37]
	s_and_b64 s[2:3], s[2:3], s[42:43]
	v_cmp_nlg_f64_e64 s[4:5], v[34:35], v[36:37]
	s_or_b64 s[2:3], vcc, s[2:3]
	s_and_saveexec_b64 s[44:45], s[4:5]
	s_cbranch_execz .LBB751_46
; %bb.48:                               ;   in Loop: Header=BB751_47 Depth=1
	s_add_u32 s40, s40, -1
	s_addc_u32 s41, s41, -1
	v_add_co_u32_e32 v18, vcc, 8, v18
	s_cmp_eq_u64 s[40:41], 0
	v_addc_co_u32_e32 v19, vcc, 0, v19, vcc
	s_cselect_b64 s[4:5], -1, 0
	v_add_co_u32_e32 v20, vcc, 8, v20
	s_andn2_b64 s[38:39], s[38:39], exec
	s_and_b64 s[42:43], s[2:3], exec
	s_andn2_b64 s[36:37], s[36:37], exec
	s_and_b64 s[4:5], s[4:5], exec
	v_addc_co_u32_e32 v21, vcc, 0, v21, vcc
	s_or_b64 s[38:39], s[38:39], s[42:43]
	s_andn2_b64 s[34:35], s[34:35], exec
	s_or_b64 s[36:37], s[36:37], s[4:5]
                                        ; implicit-def: $sgpr42_sgpr43
	s_branch .LBB751_46
.LBB751_49:
	s_or_b64 exec, exec, s[28:29]
	s_and_saveexec_b64 s[2:3], s[30:31]
	s_xor_b64 s[2:3], exec, s[2:3]
; %bb.50:
	v_cndmask_b32_e64 v7, v7, v15, s[26:27]
	v_cndmask_b32_e64 v6, v6, v14, s[26:27]
	;; [unrolled: 1-line block ×6, first 2 shown]
; %bb.51:
	s_or_b64 exec, exec, s[2:3]
.LBB751_52:
	s_and_b64 vcc, exec, s[0:1]
	s_cbranch_vccnz .LBB751_60
; %bb.53:
	v_mul_lo_u32 v18, v15, s12
	v_mul_lo_u32 v19, v14, s13
	v_mad_u64_u32 v[16:17], s[2:3], v14, s12, 0
	v_add3_u32 v17, v17, v19, v18
	v_lshlrev_b64 v[16:17], 3, v[16:17]
	v_mov_b32_e32 v18, s15
	v_add_co_u32_e32 v16, vcc, s14, v16
	v_addc_co_u32_e32 v17, vcc, v18, v17, vcc
	v_mul_lo_u32 v20, v11, s12
	v_mul_lo_u32 v21, v10, s13
	v_mad_u64_u32 v[18:19], s[2:3], v10, s12, 0
	v_add3_u32 v19, v19, v21, v20
	v_lshlrev_b64 v[18:19], 3, v[18:19]
	v_mov_b32_e32 v20, s15
	v_add_co_u32_e32 v18, vcc, s14, v18
	v_addc_co_u32_e32 v19, vcc, v20, v19, vcc
	s_mov_b64 s[28:29], 0
	s_mov_b64 s[40:41], s[12:13]
                                        ; implicit-def: $sgpr26_sgpr27
                                        ; implicit-def: $sgpr30_sgpr31
                                        ; implicit-def: $sgpr36_sgpr37
                                        ; implicit-def: $sgpr34_sgpr35
                                        ; implicit-def: $sgpr38_sgpr39
                                        ; implicit-def: $sgpr42_sgpr43
	s_branch .LBB751_55
.LBB751_54:                             ;   in Loop: Header=BB751_55 Depth=1
	s_or_b64 exec, exec, s[44:45]
	s_and_b64 s[4:5], exec, s[36:37]
	s_or_b64 s[28:29], s[4:5], s[28:29]
	s_andn2_b64 s[4:5], s[42:43], exec
	s_and_b64 s[42:43], s[38:39], exec
	s_or_b64 s[42:43], s[4:5], s[42:43]
	s_andn2_b64 s[4:5], s[30:31], exec
	s_and_b64 s[30:31], s[34:35], exec
	s_or_b64 s[30:31], s[4:5], s[30:31]
	s_andn2_b64 s[4:5], s[26:27], exec
	s_and_b64 s[2:3], s[2:3], exec
	s_or_b64 s[26:27], s[4:5], s[2:3]
	s_andn2_b64 exec, exec, s[28:29]
	s_cbranch_execz .LBB751_57
.LBB751_55:                             ; =>This Inner Loop Header: Depth=1
	global_load_dwordx2 v[20:21], v[16:17], off
	global_load_dwordx2 v[34:35], v[18:19], off
	s_andn2_b64 s[38:39], s[38:39], exec
	s_or_b64 s[34:35], s[34:35], exec
	s_or_b64 s[36:37], s[36:37], exec
	s_waitcnt vmcnt(0)
	v_cmp_ngt_f64_e64 s[2:3], v[20:21], v[34:35]
	v_cmp_lt_f64_e32 vcc, v[20:21], v[34:35]
	s_and_b64 s[2:3], s[2:3], s[42:43]
	v_cmp_nlg_f64_e64 s[4:5], v[20:21], v[34:35]
	s_or_b64 s[2:3], vcc, s[2:3]
	s_and_saveexec_b64 s[44:45], s[4:5]
	s_cbranch_execz .LBB751_54
; %bb.56:                               ;   in Loop: Header=BB751_55 Depth=1
	s_add_u32 s40, s40, -1
	s_addc_u32 s41, s41, -1
	v_add_co_u32_e32 v16, vcc, 8, v16
	s_cmp_eq_u64 s[40:41], 0
	v_addc_co_u32_e32 v17, vcc, 0, v17, vcc
	s_cselect_b64 s[4:5], -1, 0
	v_add_co_u32_e32 v18, vcc, 8, v18
	s_andn2_b64 s[38:39], s[38:39], exec
	s_and_b64 s[42:43], s[2:3], exec
	s_andn2_b64 s[36:37], s[36:37], exec
	s_and_b64 s[4:5], s[4:5], exec
	v_addc_co_u32_e32 v19, vcc, 0, v19, vcc
	s_or_b64 s[38:39], s[38:39], s[42:43]
	s_andn2_b64 s[34:35], s[34:35], exec
	s_or_b64 s[36:37], s[36:37], s[4:5]
                                        ; implicit-def: $sgpr42_sgpr43
	s_branch .LBB751_54
.LBB751_57:
	s_or_b64 exec, exec, s[28:29]
	s_and_saveexec_b64 s[2:3], s[30:31]
	s_xor_b64 s[2:3], exec, s[2:3]
; %bb.58:
	v_cndmask_b32_e64 v5, v5, v11, s[26:27]
	v_cndmask_b32_e64 v4, v4, v10, s[26:27]
	;; [unrolled: 1-line block ×4, first 2 shown]
; %bb.59:
	s_or_b64 exec, exec, s[2:3]
.LBB751_60:
	s_or_b64 exec, exec, s[24:25]
	v_mbcnt_lo_u32_b32 v10, -1, 0
	v_and_b32_e32 v11, 0xffffff00, v33
	v_mbcnt_hi_u32_b32 v10, -1, v10
	s_movk_i32 s2, 0x400
	v_lshlrev_b32_e32 v14, 3, v11
	v_sub_u32_e64 v15, s2, v11 clamp
	v_lshlrev_b32_e32 v16, 2, v10
	v_lshl_add_u32 v17, v10, 5, v14
	v_mov_b32_e32 v10, v2
	v_mov_b32_e32 v11, v3
	ds_write_b128 v17, v[8:11]
	ds_write_b128 v17, v[4:7] offset:16
	v_or_b32_e32 v8, 4, v16
	v_min_u32_e32 v18, v15, v8
	v_add_u32_e32 v8, 4, v18
	v_and_b32_e32 v33, 0x1f8, v16
	v_min_u32_e32 v19, v15, v8
	v_and_b32_e32 v8, 4, v16
	v_min_u32_e32 v34, v15, v8
	v_sub_u32_e32 v8, v18, v33
	v_sub_u32_e32 v9, v19, v18
	v_sub_u32_e64 v21, v34, v9 clamp
	v_min_u32_e32 v35, v34, v8
	v_lshl_add_u32 v20, v33, 3, v14
	v_cmp_lt_u32_e32 vcc, v21, v35
	; wave barrier
	s_and_saveexec_b64 s[24:25], vcc
	s_cbranch_execz .LBB751_70
; %bb.61:
	v_lshlrev_b32_e32 v8, 3, v18
	v_lshlrev_b32_e32 v9, 3, v34
	v_add3_u32 v36, v14, v8, v9
	s_lshl_b64 s[28:29], s[12:13], 3
	s_mov_b64 s[26:27], 0
	s_branch .LBB751_64
.LBB751_62:                             ;   in Loop: Header=BB751_64 Depth=1
	s_or_b64 exec, exec, s[34:35]
.LBB751_63:                             ;   in Loop: Header=BB751_64 Depth=1
	v_add_u32_e32 v8, 1, v37
	v_cndmask_b32_e64 v35, v35, v37, s[30:31]
	v_cndmask_b32_e64 v21, v8, v21, s[30:31]
	v_cmp_ge_u32_e32 vcc, v21, v35
	s_or_b64 s[26:27], vcc, s[26:27]
	s_andn2_b64 exec, exec, s[26:27]
	s_cbranch_execz .LBB751_69
.LBB751_64:                             ; =>This Loop Header: Depth=1
                                        ;     Child Loop BB751_67 Depth 2
	v_add_u32_e32 v8, v35, v21
	v_lshrrev_b32_e32 v37, 1, v8
	s_and_b64 vcc, exec, s[0:1]
	s_mov_b64 s[30:31], 0
	s_cbranch_vccnz .LBB751_63
; %bb.65:                               ;   in Loop: Header=BB751_64 Depth=1
	v_not_b32_e32 v8, v37
	v_lshl_add_u32 v8, v8, 3, v36
	ds_read_b64 v[8:9], v8
	v_lshl_add_u32 v38, v37, 3, v20
	ds_read_b64 v[38:39], v38
	v_pk_mov_b32 v[10:11], s[14:15], s[14:15] op_sel:[0,1]
	s_mov_b64 s[34:35], 0
	s_waitcnt lgkmcnt(1)
	v_mul_lo_u32 v40, s28, v9
	v_mul_lo_u32 v41, s29, v8
	v_mad_u64_u32 v[8:9], s[2:3], s28, v8, v[10:11]
	v_add3_u32 v9, v41, v9, v40
	s_waitcnt lgkmcnt(0)
	v_mul_lo_u32 v39, s28, v39
	v_mul_lo_u32 v40, s29, v38
	v_mad_u64_u32 v[10:11], s[2:3], s28, v38, v[10:11]
	v_add3_u32 v11, v40, v11, v39
	s_mov_b64 s[40:41], s[12:13]
                                        ; implicit-def: $sgpr30_sgpr31
                                        ; implicit-def: $sgpr36_sgpr37
                                        ; implicit-def: $sgpr38_sgpr39
                                        ; implicit-def: $sgpr2_sgpr3
                                        ; implicit-def: $sgpr42_sgpr43
	s_branch .LBB751_67
.LBB751_66:                             ;   in Loop: Header=BB751_67 Depth=2
	s_or_b64 exec, exec, s[44:45]
	s_and_b64 s[4:5], exec, s[36:37]
	s_or_b64 s[34:35], s[4:5], s[34:35]
	s_andn2_b64 s[4:5], s[42:43], exec
	s_and_b64 s[42:43], s[38:39], exec
	s_or_b64 s[42:43], s[4:5], s[42:43]
	s_andn2_b64 s[4:5], s[30:31], exec
	s_and_b64 s[30:31], s[2:3], exec
	s_or_b64 s[30:31], s[4:5], s[30:31]
	s_andn2_b64 exec, exec, s[34:35]
	s_cbranch_execz .LBB751_62
.LBB751_67:                             ;   Parent Loop BB751_64 Depth=1
                                        ; =>  This Inner Loop Header: Depth=2
	global_load_dwordx2 v[38:39], v[8:9], off
	global_load_dwordx2 v[40:41], v[10:11], off
	s_andn2_b64 s[44:45], s[2:3], exec
	s_andn2_b64 s[38:39], s[38:39], exec
	s_or_b64 s[36:37], s[36:37], exec
	s_waitcnt vmcnt(0)
	v_cmp_ngt_f64_e64 s[2:3], v[38:39], v[40:41]
	v_cmp_lt_f64_e32 vcc, v[38:39], v[40:41]
	s_and_b64 s[2:3], s[2:3], s[42:43]
	s_or_b64 s[46:47], vcc, s[2:3]
	s_and_b64 s[2:3], s[46:47], exec
	v_cmp_nlg_f64_e64 s[4:5], v[38:39], v[40:41]
	s_or_b64 s[2:3], s[44:45], s[2:3]
	s_and_saveexec_b64 s[44:45], s[4:5]
	s_cbranch_execz .LBB751_66
; %bb.68:                               ;   in Loop: Header=BB751_67 Depth=2
	s_add_u32 s40, s40, -1
	s_addc_u32 s41, s41, -1
	v_add_co_u32_e32 v8, vcc, 8, v8
	s_cmp_eq_u64 s[40:41], 0
	v_addc_co_u32_e32 v9, vcc, 0, v9, vcc
	s_cselect_b64 s[4:5], -1, 0
	v_add_co_u32_e32 v10, vcc, 8, v10
	s_andn2_b64 s[38:39], s[38:39], exec
	s_and_b64 s[42:43], s[46:47], exec
	s_andn2_b64 s[36:37], s[36:37], exec
	s_and_b64 s[4:5], s[4:5], exec
	v_addc_co_u32_e32 v11, vcc, 0, v11, vcc
	s_andn2_b64 s[2:3], s[2:3], exec
	s_or_b64 s[38:39], s[38:39], s[42:43]
	s_or_b64 s[36:37], s[36:37], s[4:5]
                                        ; implicit-def: $sgpr42_sgpr43
	s_branch .LBB751_66
.LBB751_69:
	s_or_b64 exec, exec, s[26:27]
.LBB751_70:
	s_or_b64 exec, exec, s[24:25]
	v_add_u32_e32 v9, v18, v34
	v_add_u32_e32 v8, v21, v33
	v_sub_u32_e32 v9, v9, v21
	v_cmp_le_u32_e32 vcc, v8, v18
	v_cmp_le_u32_e64 s[2:3], v9, v19
	v_cmp_lt_i64_e64 s[24:25], s[12:13], 1
	s_or_b64 s[2:3], vcc, s[2:3]
	s_and_saveexec_b64 s[26:27], s[2:3]
	s_cbranch_execz .LBB751_106
; %bb.71:
	v_cmp_ge_u32_e32 vcc, v8, v18
	v_cmp_lt_u32_e64 s[2:3], v8, v18
                                        ; implicit-def: $vgpr0_vgpr1
	s_and_saveexec_b64 s[4:5], s[2:3]
	s_cbranch_execz .LBB751_73
; %bb.72:
	v_lshl_add_u32 v0, v21, 3, v20
	ds_read_b64 v[0:1], v0
.LBB751_73:
	s_or_b64 exec, exec, s[4:5]
	v_cmp_ge_u32_e64 s[2:3], v9, v19
	v_cmp_lt_u32_e64 s[4:5], v9, v19
                                        ; implicit-def: $vgpr2_vgpr3
	s_and_saveexec_b64 s[28:29], s[4:5]
	s_cbranch_execz .LBB751_75
; %bb.74:
	v_lshl_add_u32 v2, v9, 3, v14
	ds_read_b64 v[2:3], v2
.LBB751_75:
	s_or_b64 exec, exec, s[28:29]
	s_or_b64 s[4:5], vcc, s[2:3]
	s_or_b64 s[4:5], s[4:5], s[24:25]
	s_xor_b64 s[28:29], vcc, -1
	s_xor_b64 s[4:5], s[4:5], -1
	s_or_b64 s[28:29], s[2:3], s[28:29]
	s_and_saveexec_b64 s[30:31], s[4:5]
	s_cbranch_execz .LBB751_81
; %bb.76:
	s_waitcnt lgkmcnt(0)
	v_mul_lo_u32 v6, v3, s12
	v_mul_lo_u32 v7, v2, s13
	v_mad_u64_u32 v[4:5], s[2:3], v2, s12, 0
	v_add3_u32 v5, v5, v7, v6
	v_lshlrev_b64 v[4:5], 3, v[4:5]
	v_mov_b32_e32 v6, s15
	v_add_co_u32_e32 v4, vcc, s14, v4
	v_addc_co_u32_e32 v5, vcc, v6, v5, vcc
	v_mul_lo_u32 v10, v1, s12
	v_mul_lo_u32 v11, v0, s13
	v_mad_u64_u32 v[6:7], s[2:3], v0, s12, 0
	v_add3_u32 v7, v7, v11, v10
	v_lshlrev_b64 v[6:7], 3, v[6:7]
	v_mov_b32_e32 v10, s15
	v_add_co_u32_e32 v6, vcc, s14, v6
	v_addc_co_u32_e32 v7, vcc, v10, v7, vcc
	s_mov_b64 s[34:35], 0
	s_mov_b64 s[42:43], s[12:13]
                                        ; implicit-def: $sgpr36_sgpr37
                                        ; implicit-def: $sgpr38_sgpr39
                                        ; implicit-def: $sgpr2_sgpr3
                                        ; implicit-def: $sgpr40_sgpr41
                                        ; implicit-def: $sgpr44_sgpr45
	s_branch .LBB751_78
.LBB751_77:                             ;   in Loop: Header=BB751_78 Depth=1
	s_or_b64 exec, exec, s[46:47]
	s_and_b64 s[4:5], exec, s[38:39]
	s_or_b64 s[34:35], s[4:5], s[34:35]
	s_andn2_b64 s[4:5], s[44:45], exec
	s_and_b64 s[44:45], s[40:41], exec
	s_or_b64 s[44:45], s[4:5], s[44:45]
	s_andn2_b64 s[4:5], s[36:37], exec
	s_and_b64 s[36:37], s[2:3], exec
	s_or_b64 s[36:37], s[4:5], s[36:37]
	s_andn2_b64 exec, exec, s[34:35]
	s_cbranch_execz .LBB751_80
.LBB751_78:                             ; =>This Inner Loop Header: Depth=1
	global_load_dwordx2 v[10:11], v[4:5], off
	global_load_dwordx2 v[20:21], v[6:7], off
	s_andn2_b64 s[46:47], s[2:3], exec
	s_andn2_b64 s[40:41], s[40:41], exec
	s_or_b64 s[38:39], s[38:39], exec
	s_waitcnt vmcnt(0)
	v_cmp_ngt_f64_e64 s[2:3], v[10:11], v[20:21]
	v_cmp_lt_f64_e32 vcc, v[10:11], v[20:21]
	s_and_b64 s[2:3], s[2:3], s[44:45]
	s_or_b64 s[48:49], vcc, s[2:3]
	s_and_b64 s[2:3], s[48:49], exec
	v_cmp_nlg_f64_e64 s[4:5], v[10:11], v[20:21]
	s_or_b64 s[2:3], s[46:47], s[2:3]
	s_and_saveexec_b64 s[46:47], s[4:5]
	s_cbranch_execz .LBB751_77
; %bb.79:                               ;   in Loop: Header=BB751_78 Depth=1
	s_add_u32 s42, s42, -1
	s_addc_u32 s43, s43, -1
	v_add_co_u32_e32 v4, vcc, 8, v4
	s_cmp_eq_u64 s[42:43], 0
	v_addc_co_u32_e32 v5, vcc, 0, v5, vcc
	s_cselect_b64 s[4:5], -1, 0
	v_add_co_u32_e32 v6, vcc, 8, v6
	s_andn2_b64 s[40:41], s[40:41], exec
	s_and_b64 s[44:45], s[48:49], exec
	s_andn2_b64 s[38:39], s[38:39], exec
	s_and_b64 s[4:5], s[4:5], exec
	v_addc_co_u32_e32 v7, vcc, 0, v7, vcc
	s_or_b64 s[40:41], s[40:41], s[44:45]
	s_andn2_b64 s[2:3], s[2:3], exec
	s_or_b64 s[38:39], s[38:39], s[4:5]
                                        ; implicit-def: $sgpr44_sgpr45
	s_branch .LBB751_77
.LBB751_80:
	s_or_b64 exec, exec, s[34:35]
	s_xor_b64 s[2:3], s[36:37], -1
	s_andn2_b64 s[4:5], s[28:29], exec
	s_and_b64 s[2:3], s[2:3], exec
	s_or_b64 s[28:29], s[4:5], s[2:3]
.LBB751_81:
	s_or_b64 exec, exec, s[30:31]
	v_cndmask_b32_e64 v4, v9, v8, s[28:29]
	v_cndmask_b32_e64 v5, v19, v18, s[28:29]
	v_add_u32_e32 v6, 1, v4
	v_add_u32_e32 v4, -1, v5
	v_min_u32_e32 v4, v6, v4
	v_lshl_add_u32 v4, v4, 3, v14
	ds_read_b64 v[4:5], v4
	v_cndmask_b32_e64 v9, v6, v9, s[28:29]
	v_cndmask_b32_e64 v8, v8, v6, s[28:29]
	v_cmp_lt_u32_e32 vcc, v9, v19
	s_mov_b64 s[30:31], -1
	s_waitcnt lgkmcnt(0)
	v_cndmask_b32_e64 v10, v5, v3, s[28:29]
	v_cndmask_b32_e64 v11, v4, v2, s[28:29]
	;; [unrolled: 1-line block ×4, first 2 shown]
	s_mov_b64 s[34:35], -1
	s_and_saveexec_b64 s[36:37], vcc
	s_cbranch_execz .LBB751_89
; %bb.82:
	v_cmp_lt_u32_e64 s[34:35], v8, v18
	s_xor_b64 s[2:3], s[24:25], -1
	s_and_b64 s[2:3], s[34:35], s[2:3]
	s_and_saveexec_b64 s[38:39], s[2:3]
	s_cbranch_execz .LBB751_88
; %bb.83:
	v_mul_lo_u32 v6, v10, s12
	v_mul_lo_u32 v7, v11, s13
	v_mad_u64_u32 v[4:5], s[2:3], v11, s12, 0
	v_add3_u32 v5, v5, v7, v6
	v_lshlrev_b64 v[4:5], 3, v[4:5]
	v_mov_b32_e32 v6, s15
	v_add_co_u32_e32 v4, vcc, s14, v4
	v_addc_co_u32_e32 v5, vcc, v6, v5, vcc
	v_mul_lo_u32 v33, v20, s12
	v_mul_lo_u32 v34, v21, s13
	v_mad_u64_u32 v[6:7], s[2:3], v21, s12, 0
	v_add3_u32 v7, v7, v34, v33
	v_lshlrev_b64 v[6:7], 3, v[6:7]
	v_mov_b32_e32 v33, s15
	v_add_co_u32_e32 v6, vcc, s14, v6
	v_addc_co_u32_e32 v7, vcc, v33, v7, vcc
	s_mov_b64 s[40:41], 0
	s_mov_b64 s[48:49], s[12:13]
                                        ; implicit-def: $sgpr42_sgpr43
                                        ; implicit-def: $sgpr44_sgpr45
                                        ; implicit-def: $sgpr2_sgpr3
                                        ; implicit-def: $sgpr46_sgpr47
                                        ; implicit-def: $sgpr50_sgpr51
	s_branch .LBB751_85
.LBB751_84:                             ;   in Loop: Header=BB751_85 Depth=1
	s_or_b64 exec, exec, s[52:53]
	s_and_b64 s[4:5], exec, s[44:45]
	s_or_b64 s[40:41], s[4:5], s[40:41]
	s_andn2_b64 s[4:5], s[50:51], exec
	s_and_b64 s[50:51], s[46:47], exec
	s_or_b64 s[50:51], s[4:5], s[50:51]
	s_andn2_b64 s[4:5], s[42:43], exec
	s_and_b64 s[42:43], s[2:3], exec
	s_or_b64 s[42:43], s[4:5], s[42:43]
	s_andn2_b64 exec, exec, s[40:41]
	s_cbranch_execz .LBB751_87
.LBB751_85:                             ; =>This Inner Loop Header: Depth=1
	global_load_dwordx2 v[34:35], v[4:5], off
	global_load_dwordx2 v[36:37], v[6:7], off
	s_andn2_b64 s[52:53], s[2:3], exec
	s_andn2_b64 s[46:47], s[46:47], exec
	s_or_b64 s[44:45], s[44:45], exec
	s_waitcnt vmcnt(0)
	v_cmp_ngt_f64_e64 s[2:3], v[34:35], v[36:37]
	v_cmp_lt_f64_e32 vcc, v[34:35], v[36:37]
	s_and_b64 s[2:3], s[2:3], s[50:51]
	s_or_b64 s[54:55], vcc, s[2:3]
	s_and_b64 s[2:3], s[54:55], exec
	v_cmp_nlg_f64_e64 s[4:5], v[34:35], v[36:37]
	s_or_b64 s[2:3], s[52:53], s[2:3]
	s_and_saveexec_b64 s[52:53], s[4:5]
	s_cbranch_execz .LBB751_84
; %bb.86:                               ;   in Loop: Header=BB751_85 Depth=1
	s_add_u32 s48, s48, -1
	s_addc_u32 s49, s49, -1
	v_add_co_u32_e32 v4, vcc, 8, v4
	s_cmp_eq_u64 s[48:49], 0
	v_addc_co_u32_e32 v5, vcc, 0, v5, vcc
	s_cselect_b64 s[4:5], -1, 0
	v_add_co_u32_e32 v6, vcc, 8, v6
	s_andn2_b64 s[46:47], s[46:47], exec
	s_and_b64 s[50:51], s[54:55], exec
	s_andn2_b64 s[44:45], s[44:45], exec
	s_and_b64 s[4:5], s[4:5], exec
	v_addc_co_u32_e32 v7, vcc, 0, v7, vcc
	s_or_b64 s[46:47], s[46:47], s[50:51]
	s_andn2_b64 s[2:3], s[2:3], exec
	s_or_b64 s[44:45], s[44:45], s[4:5]
                                        ; implicit-def: $sgpr50_sgpr51
	s_branch .LBB751_84
.LBB751_87:
	s_or_b64 exec, exec, s[40:41]
	s_xor_b64 s[2:3], s[42:43], -1
	s_andn2_b64 s[4:5], s[34:35], exec
	s_and_b64 s[2:3], s[2:3], exec
	s_or_b64 s[34:35], s[4:5], s[2:3]
.LBB751_88:
	s_or_b64 exec, exec, s[38:39]
	s_orn2_b64 s[34:35], s[34:35], exec
.LBB751_89:
	s_or_b64 exec, exec, s[36:37]
	v_cndmask_b32_e64 v4, v9, v8, s[34:35]
	v_cndmask_b32_e64 v5, v19, v18, s[34:35]
	v_add_u32_e32 v6, 1, v4
	v_add_u32_e32 v4, -1, v5
	v_min_u32_e32 v4, v6, v4
	v_lshl_add_u32 v4, v4, 3, v14
	ds_read_b64 v[4:5], v4
	v_cndmask_b32_e64 v9, v6, v9, s[34:35]
	v_cndmask_b32_e64 v8, v8, v6, s[34:35]
	v_cmp_lt_u32_e32 vcc, v9, v19
	s_waitcnt lgkmcnt(0)
	v_cndmask_b32_e64 v33, v5, v10, s[34:35]
	v_cndmask_b32_e64 v34, v4, v11, s[34:35]
	;; [unrolled: 1-line block ×4, first 2 shown]
	s_and_saveexec_b64 s[36:37], vcc
	s_cbranch_execz .LBB751_97
; %bb.90:
	v_cmp_lt_u32_e64 s[30:31], v8, v18
	s_xor_b64 s[2:3], s[24:25], -1
	s_and_b64 s[2:3], s[30:31], s[2:3]
	s_and_saveexec_b64 s[38:39], s[2:3]
	s_cbranch_execz .LBB751_96
; %bb.91:
	v_mul_lo_u32 v6, v33, s12
	v_mul_lo_u32 v7, v34, s13
	v_mad_u64_u32 v[4:5], s[2:3], v34, s12, 0
	v_add3_u32 v5, v5, v7, v6
	v_lshlrev_b64 v[4:5], 3, v[4:5]
	v_mov_b32_e32 v6, s15
	v_add_co_u32_e32 v4, vcc, s14, v4
	v_addc_co_u32_e32 v5, vcc, v6, v5, vcc
	v_mul_lo_u32 v37, v35, s12
	v_mul_lo_u32 v38, v36, s13
	v_mad_u64_u32 v[6:7], s[2:3], v36, s12, 0
	v_add3_u32 v7, v7, v38, v37
	v_lshlrev_b64 v[6:7], 3, v[6:7]
	v_mov_b32_e32 v37, s15
	v_add_co_u32_e32 v6, vcc, s14, v6
	v_addc_co_u32_e32 v7, vcc, v37, v7, vcc
	s_mov_b64 s[40:41], 0
	s_mov_b64 s[48:49], s[12:13]
                                        ; implicit-def: $sgpr42_sgpr43
                                        ; implicit-def: $sgpr44_sgpr45
                                        ; implicit-def: $sgpr2_sgpr3
                                        ; implicit-def: $sgpr46_sgpr47
                                        ; implicit-def: $sgpr50_sgpr51
	s_branch .LBB751_93
.LBB751_92:                             ;   in Loop: Header=BB751_93 Depth=1
	s_or_b64 exec, exec, s[52:53]
	s_and_b64 s[4:5], exec, s[44:45]
	s_or_b64 s[40:41], s[4:5], s[40:41]
	s_andn2_b64 s[4:5], s[50:51], exec
	s_and_b64 s[50:51], s[46:47], exec
	s_or_b64 s[50:51], s[4:5], s[50:51]
	s_andn2_b64 s[4:5], s[42:43], exec
	s_and_b64 s[42:43], s[2:3], exec
	s_or_b64 s[42:43], s[4:5], s[42:43]
	s_andn2_b64 exec, exec, s[40:41]
	s_cbranch_execz .LBB751_95
.LBB751_93:                             ; =>This Inner Loop Header: Depth=1
	global_load_dwordx2 v[38:39], v[4:5], off
	global_load_dwordx2 v[40:41], v[6:7], off
	s_andn2_b64 s[52:53], s[2:3], exec
	s_andn2_b64 s[46:47], s[46:47], exec
	s_or_b64 s[44:45], s[44:45], exec
	s_waitcnt vmcnt(0)
	v_cmp_ngt_f64_e64 s[2:3], v[38:39], v[40:41]
	v_cmp_lt_f64_e32 vcc, v[38:39], v[40:41]
	s_and_b64 s[2:3], s[2:3], s[50:51]
	s_or_b64 s[54:55], vcc, s[2:3]
	s_and_b64 s[2:3], s[54:55], exec
	v_cmp_nlg_f64_e64 s[4:5], v[38:39], v[40:41]
	s_or_b64 s[2:3], s[52:53], s[2:3]
	s_and_saveexec_b64 s[52:53], s[4:5]
	s_cbranch_execz .LBB751_92
; %bb.94:                               ;   in Loop: Header=BB751_93 Depth=1
	s_add_u32 s48, s48, -1
	s_addc_u32 s49, s49, -1
	v_add_co_u32_e32 v4, vcc, 8, v4
	s_cmp_eq_u64 s[48:49], 0
	v_addc_co_u32_e32 v5, vcc, 0, v5, vcc
	s_cselect_b64 s[4:5], -1, 0
	v_add_co_u32_e32 v6, vcc, 8, v6
	s_andn2_b64 s[46:47], s[46:47], exec
	s_and_b64 s[50:51], s[54:55], exec
	s_andn2_b64 s[44:45], s[44:45], exec
	s_and_b64 s[4:5], s[4:5], exec
	v_addc_co_u32_e32 v7, vcc, 0, v7, vcc
	s_or_b64 s[46:47], s[46:47], s[50:51]
	s_andn2_b64 s[2:3], s[2:3], exec
	s_or_b64 s[44:45], s[44:45], s[4:5]
                                        ; implicit-def: $sgpr50_sgpr51
	s_branch .LBB751_92
.LBB751_95:
	s_or_b64 exec, exec, s[40:41]
	s_xor_b64 s[2:3], s[42:43], -1
	s_andn2_b64 s[4:5], s[30:31], exec
	s_and_b64 s[2:3], s[2:3], exec
	s_or_b64 s[30:31], s[4:5], s[2:3]
.LBB751_96:
	s_or_b64 exec, exec, s[38:39]
	s_orn2_b64 s[30:31], s[30:31], exec
.LBB751_97:
	s_or_b64 exec, exec, s[36:37]
	v_cndmask_b32_e64 v4, v9, v8, s[30:31]
	v_cndmask_b32_e64 v5, v19, v18, s[30:31]
	v_add_u32_e32 v38, 1, v4
	v_add_u32_e32 v4, -1, v5
	v_min_u32_e32 v4, v38, v4
	v_lshl_add_u32 v4, v4, 3, v14
	ds_read_b64 v[4:5], v4
	v_cndmask_b32_e64 v9, v38, v9, s[30:31]
	v_cmp_lt_u32_e32 vcc, v9, v19
	s_waitcnt lgkmcnt(0)
	v_cndmask_b32_e64 v7, v35, v5, s[30:31]
	v_cndmask_b32_e64 v6, v36, v4, s[30:31]
	s_and_saveexec_b64 s[36:37], vcc
	s_cbranch_execz .LBB751_105
; %bb.98:
	v_cndmask_b32_e64 v37, v4, v34, s[30:31]
	v_cndmask_b32_e64 v4, v8, v38, s[30:31]
	v_cmp_ge_u32_e32 vcc, v4, v18
	v_cndmask_b32_e64 v19, v5, v33, s[30:31]
	s_or_b64 s[2:3], vcc, s[24:25]
	v_cndmask_b32_e32 v5, v7, v19, vcc
	s_xor_b64 s[2:3], s[2:3], -1
	v_cndmask_b32_e32 v4, v6, v37, vcc
	s_and_saveexec_b64 s[38:39], s[2:3]
	s_cbranch_execz .LBB751_104
; %bb.99:
	v_mul_lo_u32 v8, v19, s12
	v_mul_lo_u32 v9, v37, s13
	v_mad_u64_u32 v[4:5], s[2:3], v37, s12, 0
	v_add3_u32 v5, v5, v9, v8
	v_lshlrev_b64 v[4:5], 3, v[4:5]
	v_mov_b32_e32 v8, s15
	v_add_co_u32_e32 v4, vcc, s14, v4
	v_addc_co_u32_e32 v5, vcc, v8, v5, vcc
	v_mul_lo_u32 v18, v7, s12
	v_mul_lo_u32 v38, v6, s13
	v_mad_u64_u32 v[8:9], s[2:3], v6, s12, 0
	v_add3_u32 v9, v9, v38, v18
	v_lshlrev_b64 v[8:9], 3, v[8:9]
	v_mov_b32_e32 v18, s15
	v_add_co_u32_e32 v8, vcc, s14, v8
	v_addc_co_u32_e32 v9, vcc, v18, v9, vcc
	s_mov_b64 s[40:41], 0
	s_mov_b64 s[48:49], s[12:13]
                                        ; implicit-def: $sgpr42_sgpr43
                                        ; implicit-def: $sgpr44_sgpr45
                                        ; implicit-def: $sgpr2_sgpr3
                                        ; implicit-def: $sgpr46_sgpr47
                                        ; implicit-def: $sgpr50_sgpr51
	s_branch .LBB751_101
.LBB751_100:                            ;   in Loop: Header=BB751_101 Depth=1
	s_or_b64 exec, exec, s[52:53]
	s_and_b64 s[4:5], exec, s[44:45]
	s_or_b64 s[40:41], s[4:5], s[40:41]
	s_andn2_b64 s[4:5], s[50:51], exec
	s_and_b64 s[50:51], s[46:47], exec
	s_or_b64 s[50:51], s[4:5], s[50:51]
	s_andn2_b64 s[4:5], s[42:43], exec
	s_and_b64 s[42:43], s[2:3], exec
	s_or_b64 s[42:43], s[4:5], s[42:43]
	s_andn2_b64 exec, exec, s[40:41]
	s_cbranch_execz .LBB751_103
.LBB751_101:                            ; =>This Inner Loop Header: Depth=1
	global_load_dwordx2 v[38:39], v[4:5], off
	global_load_dwordx2 v[40:41], v[8:9], off
	s_andn2_b64 s[52:53], s[2:3], exec
	s_andn2_b64 s[46:47], s[46:47], exec
	s_or_b64 s[44:45], s[44:45], exec
	s_waitcnt vmcnt(0)
	v_cmp_ngt_f64_e64 s[2:3], v[38:39], v[40:41]
	v_cmp_lt_f64_e32 vcc, v[38:39], v[40:41]
	s_and_b64 s[2:3], s[2:3], s[50:51]
	s_or_b64 s[54:55], vcc, s[2:3]
	s_and_b64 s[2:3], s[54:55], exec
	v_cmp_nlg_f64_e64 s[4:5], v[38:39], v[40:41]
	s_or_b64 s[2:3], s[52:53], s[2:3]
	s_and_saveexec_b64 s[52:53], s[4:5]
	s_cbranch_execz .LBB751_100
; %bb.102:                              ;   in Loop: Header=BB751_101 Depth=1
	s_add_u32 s48, s48, -1
	s_addc_u32 s49, s49, -1
	v_add_co_u32_e32 v4, vcc, 8, v4
	s_cmp_eq_u64 s[48:49], 0
	v_addc_co_u32_e32 v5, vcc, 0, v5, vcc
	s_cselect_b64 s[4:5], -1, 0
	v_add_co_u32_e32 v8, vcc, 8, v8
	s_andn2_b64 s[46:47], s[46:47], exec
	s_and_b64 s[50:51], s[54:55], exec
	s_andn2_b64 s[44:45], s[44:45], exec
	s_and_b64 s[4:5], s[4:5], exec
	v_addc_co_u32_e32 v9, vcc, 0, v9, vcc
	s_or_b64 s[46:47], s[46:47], s[50:51]
	s_andn2_b64 s[2:3], s[2:3], exec
	s_or_b64 s[44:45], s[44:45], s[4:5]
                                        ; implicit-def: $sgpr50_sgpr51
	s_branch .LBB751_100
.LBB751_103:
	s_or_b64 exec, exec, s[40:41]
	v_cndmask_b32_e64 v5, v7, v19, s[42:43]
	v_cndmask_b32_e64 v4, v6, v37, s[42:43]
.LBB751_104:
	s_or_b64 exec, exec, s[38:39]
	v_pk_mov_b32 v[6:7], v[4:5], v[4:5] op_sel:[0,1]
.LBB751_105:
	s_or_b64 exec, exec, s[36:37]
	v_cndmask_b32_e64 v1, v3, v1, s[28:29]
	v_cndmask_b32_e64 v0, v2, v0, s[28:29]
	;; [unrolled: 1-line block ×6, first 2 shown]
.LBB751_106:
	s_or_b64 exec, exec, s[26:27]
	v_and_b32_e32 v21, 0x1f0, v16
	v_or_b32_e32 v8, 8, v21
	v_min_u32_e32 v18, v15, v8
	v_add_u32_e32 v8, 8, v18
	v_min_u32_e32 v19, v15, v8
	v_and_b32_e32 v8, 12, v16
	v_min_u32_e32 v34, v15, v8
	v_sub_u32_e32 v8, v18, v21
	v_sub_u32_e32 v9, v19, v18
	v_sub_u32_e64 v33, v34, v9 clamp
	v_min_u32_e32 v35, v34, v8
	v_lshl_add_u32 v20, v21, 3, v14
	v_cmp_lt_u32_e32 vcc, v33, v35
	; wave barrier
	ds_write_b128 v17, v[0:3]
	ds_write_b128 v17, v[4:7] offset:16
	; wave barrier
	s_and_saveexec_b64 s[26:27], vcc
	s_cbranch_execz .LBB751_116
; %bb.107:
	v_lshlrev_b32_e32 v8, 3, v18
	v_lshlrev_b32_e32 v9, 3, v34
	v_add3_u32 v36, v14, v8, v9
	s_lshl_b64 s[30:31], s[12:13], 3
	s_mov_b64 s[28:29], 0
	s_branch .LBB751_110
.LBB751_108:                            ;   in Loop: Header=BB751_110 Depth=1
	s_or_b64 exec, exec, s[36:37]
.LBB751_109:                            ;   in Loop: Header=BB751_110 Depth=1
	v_add_u32_e32 v8, 1, v37
	v_cndmask_b32_e64 v35, v35, v37, s[34:35]
	v_cndmask_b32_e64 v33, v8, v33, s[34:35]
	v_cmp_ge_u32_e32 vcc, v33, v35
	s_or_b64 s[28:29], vcc, s[28:29]
	s_andn2_b64 exec, exec, s[28:29]
	s_cbranch_execz .LBB751_115
.LBB751_110:                            ; =>This Loop Header: Depth=1
                                        ;     Child Loop BB751_113 Depth 2
	v_add_u32_e32 v8, v35, v33
	v_lshrrev_b32_e32 v37, 1, v8
	s_and_b64 vcc, exec, s[0:1]
	s_mov_b64 s[34:35], 0
	s_cbranch_vccnz .LBB751_109
; %bb.111:                              ;   in Loop: Header=BB751_110 Depth=1
	v_not_b32_e32 v8, v37
	v_lshl_add_u32 v8, v8, 3, v36
	ds_read_b64 v[8:9], v8
	v_lshl_add_u32 v38, v37, 3, v20
	ds_read_b64 v[38:39], v38
	v_pk_mov_b32 v[10:11], s[14:15], s[14:15] op_sel:[0,1]
	s_mov_b64 s[36:37], 0
	s_waitcnt lgkmcnt(1)
	v_mul_lo_u32 v40, s30, v9
	v_mul_lo_u32 v41, s31, v8
	v_mad_u64_u32 v[8:9], s[2:3], s30, v8, v[10:11]
	v_add3_u32 v9, v41, v9, v40
	s_waitcnt lgkmcnt(0)
	v_mul_lo_u32 v39, s30, v39
	v_mul_lo_u32 v40, s31, v38
	v_mad_u64_u32 v[10:11], s[2:3], s30, v38, v[10:11]
	v_add3_u32 v11, v40, v11, v39
	s_mov_b64 s[42:43], s[12:13]
                                        ; implicit-def: $sgpr34_sgpr35
                                        ; implicit-def: $sgpr38_sgpr39
                                        ; implicit-def: $sgpr40_sgpr41
                                        ; implicit-def: $sgpr2_sgpr3
                                        ; implicit-def: $sgpr44_sgpr45
	s_branch .LBB751_113
.LBB751_112:                            ;   in Loop: Header=BB751_113 Depth=2
	s_or_b64 exec, exec, s[46:47]
	s_and_b64 s[4:5], exec, s[38:39]
	s_or_b64 s[36:37], s[4:5], s[36:37]
	s_andn2_b64 s[4:5], s[44:45], exec
	s_and_b64 s[44:45], s[40:41], exec
	s_or_b64 s[44:45], s[4:5], s[44:45]
	s_andn2_b64 s[4:5], s[34:35], exec
	s_and_b64 s[34:35], s[2:3], exec
	s_or_b64 s[34:35], s[4:5], s[34:35]
	s_andn2_b64 exec, exec, s[36:37]
	s_cbranch_execz .LBB751_108
.LBB751_113:                            ;   Parent Loop BB751_110 Depth=1
                                        ; =>  This Inner Loop Header: Depth=2
	global_load_dwordx2 v[38:39], v[8:9], off
	global_load_dwordx2 v[40:41], v[10:11], off
	s_andn2_b64 s[46:47], s[2:3], exec
	s_andn2_b64 s[40:41], s[40:41], exec
	s_or_b64 s[38:39], s[38:39], exec
	s_waitcnt vmcnt(0)
	v_cmp_ngt_f64_e64 s[2:3], v[38:39], v[40:41]
	v_cmp_lt_f64_e32 vcc, v[38:39], v[40:41]
	s_and_b64 s[2:3], s[2:3], s[44:45]
	s_or_b64 s[48:49], vcc, s[2:3]
	s_and_b64 s[2:3], s[48:49], exec
	v_cmp_nlg_f64_e64 s[4:5], v[38:39], v[40:41]
	s_or_b64 s[2:3], s[46:47], s[2:3]
	s_and_saveexec_b64 s[46:47], s[4:5]
	s_cbranch_execz .LBB751_112
; %bb.114:                              ;   in Loop: Header=BB751_113 Depth=2
	s_add_u32 s42, s42, -1
	s_addc_u32 s43, s43, -1
	v_add_co_u32_e32 v8, vcc, 8, v8
	s_cmp_eq_u64 s[42:43], 0
	v_addc_co_u32_e32 v9, vcc, 0, v9, vcc
	s_cselect_b64 s[4:5], -1, 0
	v_add_co_u32_e32 v10, vcc, 8, v10
	s_andn2_b64 s[40:41], s[40:41], exec
	s_and_b64 s[44:45], s[48:49], exec
	s_andn2_b64 s[38:39], s[38:39], exec
	s_and_b64 s[4:5], s[4:5], exec
	v_addc_co_u32_e32 v11, vcc, 0, v11, vcc
	s_andn2_b64 s[2:3], s[2:3], exec
	s_or_b64 s[40:41], s[40:41], s[44:45]
	s_or_b64 s[38:39], s[38:39], s[4:5]
                                        ; implicit-def: $sgpr44_sgpr45
	s_branch .LBB751_112
.LBB751_115:
	s_or_b64 exec, exec, s[28:29]
.LBB751_116:
	s_or_b64 exec, exec, s[26:27]
	v_add_u32_e32 v8, v18, v34
	v_add_u32_e32 v21, v33, v21
	v_sub_u32_e32 v34, v8, v33
	v_cmp_le_u32_e32 vcc, v21, v18
	v_cmp_le_u32_e64 s[2:3], v34, v19
	s_or_b64 s[2:3], vcc, s[2:3]
	s_and_saveexec_b64 s[26:27], s[2:3]
	s_cbranch_execz .LBB751_152
; %bb.117:
	v_cmp_ge_u32_e32 vcc, v21, v18
	v_cmp_lt_u32_e64 s[2:3], v21, v18
                                        ; implicit-def: $vgpr0_vgpr1
	s_and_saveexec_b64 s[4:5], s[2:3]
	s_cbranch_execz .LBB751_119
; %bb.118:
	v_lshl_add_u32 v0, v33, 3, v20
	ds_read_b64 v[0:1], v0
.LBB751_119:
	s_or_b64 exec, exec, s[4:5]
	v_cmp_ge_u32_e64 s[2:3], v34, v19
	v_cmp_lt_u32_e64 s[4:5], v34, v19
                                        ; implicit-def: $vgpr4_vgpr5
	s_and_saveexec_b64 s[28:29], s[4:5]
	s_cbranch_execz .LBB751_121
; %bb.120:
	v_lshl_add_u32 v2, v34, 3, v14
	ds_read_b64 v[4:5], v2
.LBB751_121:
	s_or_b64 exec, exec, s[28:29]
	s_or_b64 s[4:5], vcc, s[2:3]
	s_or_b64 s[4:5], s[4:5], s[24:25]
	s_xor_b64 s[28:29], vcc, -1
	s_xor_b64 s[4:5], s[4:5], -1
	s_or_b64 s[28:29], s[2:3], s[28:29]
	s_and_saveexec_b64 s[30:31], s[4:5]
	s_cbranch_execz .LBB751_127
; %bb.122:
	s_waitcnt lgkmcnt(0)
	v_mul_lo_u32 v6, v5, s12
	v_mul_lo_u32 v7, v4, s13
	v_mad_u64_u32 v[2:3], s[2:3], v4, s12, 0
	v_add3_u32 v3, v3, v7, v6
	v_lshlrev_b64 v[2:3], 3, v[2:3]
	v_mov_b32_e32 v6, s15
	v_add_co_u32_e32 v2, vcc, s14, v2
	v_addc_co_u32_e32 v3, vcc, v6, v3, vcc
	v_mul_lo_u32 v8, v1, s12
	v_mul_lo_u32 v9, v0, s13
	v_mad_u64_u32 v[6:7], s[2:3], v0, s12, 0
	v_add3_u32 v7, v7, v9, v8
	v_lshlrev_b64 v[6:7], 3, v[6:7]
	v_mov_b32_e32 v8, s15
	v_add_co_u32_e32 v6, vcc, s14, v6
	v_addc_co_u32_e32 v7, vcc, v8, v7, vcc
	s_mov_b64 s[34:35], 0
	s_mov_b64 s[42:43], s[12:13]
                                        ; implicit-def: $sgpr36_sgpr37
                                        ; implicit-def: $sgpr38_sgpr39
                                        ; implicit-def: $sgpr2_sgpr3
                                        ; implicit-def: $sgpr40_sgpr41
                                        ; implicit-def: $sgpr44_sgpr45
	s_branch .LBB751_124
.LBB751_123:                            ;   in Loop: Header=BB751_124 Depth=1
	s_or_b64 exec, exec, s[46:47]
	s_and_b64 s[4:5], exec, s[38:39]
	s_or_b64 s[34:35], s[4:5], s[34:35]
	s_andn2_b64 s[4:5], s[44:45], exec
	s_and_b64 s[44:45], s[40:41], exec
	s_or_b64 s[44:45], s[4:5], s[44:45]
	s_andn2_b64 s[4:5], s[36:37], exec
	s_and_b64 s[36:37], s[2:3], exec
	s_or_b64 s[36:37], s[4:5], s[36:37]
	s_andn2_b64 exec, exec, s[34:35]
	s_cbranch_execz .LBB751_126
.LBB751_124:                            ; =>This Inner Loop Header: Depth=1
	global_load_dwordx2 v[8:9], v[2:3], off
	global_load_dwordx2 v[10:11], v[6:7], off
	s_andn2_b64 s[46:47], s[2:3], exec
	s_andn2_b64 s[40:41], s[40:41], exec
	s_or_b64 s[38:39], s[38:39], exec
	s_waitcnt vmcnt(0)
	v_cmp_ngt_f64_e64 s[2:3], v[8:9], v[10:11]
	v_cmp_lt_f64_e32 vcc, v[8:9], v[10:11]
	s_and_b64 s[2:3], s[2:3], s[44:45]
	s_or_b64 s[48:49], vcc, s[2:3]
	s_and_b64 s[2:3], s[48:49], exec
	v_cmp_nlg_f64_e64 s[4:5], v[8:9], v[10:11]
	s_or_b64 s[2:3], s[46:47], s[2:3]
	s_and_saveexec_b64 s[46:47], s[4:5]
	s_cbranch_execz .LBB751_123
; %bb.125:                              ;   in Loop: Header=BB751_124 Depth=1
	s_add_u32 s42, s42, -1
	s_addc_u32 s43, s43, -1
	v_add_co_u32_e32 v2, vcc, 8, v2
	s_cmp_eq_u64 s[42:43], 0
	v_addc_co_u32_e32 v3, vcc, 0, v3, vcc
	s_cselect_b64 s[4:5], -1, 0
	v_add_co_u32_e32 v6, vcc, 8, v6
	s_andn2_b64 s[40:41], s[40:41], exec
	s_and_b64 s[44:45], s[48:49], exec
	s_andn2_b64 s[38:39], s[38:39], exec
	s_and_b64 s[4:5], s[4:5], exec
	v_addc_co_u32_e32 v7, vcc, 0, v7, vcc
	s_or_b64 s[40:41], s[40:41], s[44:45]
	s_andn2_b64 s[2:3], s[2:3], exec
	s_or_b64 s[38:39], s[38:39], s[4:5]
                                        ; implicit-def: $sgpr44_sgpr45
	s_branch .LBB751_123
.LBB751_126:
	s_or_b64 exec, exec, s[34:35]
	s_xor_b64 s[2:3], s[36:37], -1
	s_andn2_b64 s[4:5], s[28:29], exec
	s_and_b64 s[2:3], s[2:3], exec
	s_or_b64 s[28:29], s[4:5], s[2:3]
.LBB751_127:
	s_or_b64 exec, exec, s[30:31]
	v_cndmask_b32_e64 v2, v34, v21, s[28:29]
	v_cndmask_b32_e64 v3, v19, v18, s[28:29]
	v_add_u32_e32 v6, 1, v2
	v_add_u32_e32 v2, -1, v3
	v_min_u32_e32 v2, v6, v2
	v_lshl_add_u32 v2, v2, 3, v14
	ds_read_b64 v[2:3], v2
	v_cndmask_b32_e64 v33, v6, v34, s[28:29]
	v_cndmask_b32_e64 v37, v21, v6, s[28:29]
	v_cmp_lt_u32_e32 vcc, v33, v19
	s_mov_b64 s[30:31], -1
	s_waitcnt lgkmcnt(0)
	v_cndmask_b32_e64 v8, v3, v5, s[28:29]
	v_cndmask_b32_e64 v9, v2, v4, s[28:29]
	;; [unrolled: 1-line block ×4, first 2 shown]
	s_mov_b64 s[34:35], -1
	s_and_saveexec_b64 s[36:37], vcc
	s_cbranch_execz .LBB751_135
; %bb.128:
	v_cmp_lt_u32_e64 s[34:35], v37, v18
	s_xor_b64 s[2:3], s[24:25], -1
	s_and_b64 s[2:3], s[34:35], s[2:3]
	s_and_saveexec_b64 s[38:39], s[2:3]
	s_cbranch_execz .LBB751_134
; %bb.129:
	v_mul_lo_u32 v6, v8, s12
	v_mul_lo_u32 v7, v9, s13
	v_mad_u64_u32 v[2:3], s[2:3], v9, s12, 0
	v_add3_u32 v3, v3, v7, v6
	v_lshlrev_b64 v[2:3], 3, v[2:3]
	v_mov_b32_e32 v6, s15
	v_add_co_u32_e32 v2, vcc, s14, v2
	v_addc_co_u32_e32 v3, vcc, v6, v3, vcc
	v_mul_lo_u32 v20, v10, s12
	v_mul_lo_u32 v21, v11, s13
	v_mad_u64_u32 v[6:7], s[2:3], v11, s12, 0
	v_add3_u32 v7, v7, v21, v20
	v_lshlrev_b64 v[6:7], 3, v[6:7]
	v_mov_b32_e32 v20, s15
	v_add_co_u32_e32 v6, vcc, s14, v6
	v_addc_co_u32_e32 v7, vcc, v20, v7, vcc
	s_mov_b64 s[40:41], 0
	s_mov_b64 s[48:49], s[12:13]
                                        ; implicit-def: $sgpr42_sgpr43
                                        ; implicit-def: $sgpr44_sgpr45
                                        ; implicit-def: $sgpr2_sgpr3
                                        ; implicit-def: $sgpr46_sgpr47
                                        ; implicit-def: $sgpr50_sgpr51
	s_branch .LBB751_131
.LBB751_130:                            ;   in Loop: Header=BB751_131 Depth=1
	s_or_b64 exec, exec, s[52:53]
	s_and_b64 s[4:5], exec, s[44:45]
	s_or_b64 s[40:41], s[4:5], s[40:41]
	s_andn2_b64 s[4:5], s[50:51], exec
	s_and_b64 s[50:51], s[46:47], exec
	s_or_b64 s[50:51], s[4:5], s[50:51]
	s_andn2_b64 s[4:5], s[42:43], exec
	s_and_b64 s[42:43], s[2:3], exec
	s_or_b64 s[42:43], s[4:5], s[42:43]
	s_andn2_b64 exec, exec, s[40:41]
	s_cbranch_execz .LBB751_133
.LBB751_131:                            ; =>This Inner Loop Header: Depth=1
	global_load_dwordx2 v[20:21], v[2:3], off
	global_load_dwordx2 v[34:35], v[6:7], off
	s_andn2_b64 s[52:53], s[2:3], exec
	s_andn2_b64 s[46:47], s[46:47], exec
	s_or_b64 s[44:45], s[44:45], exec
	s_waitcnt vmcnt(0)
	v_cmp_ngt_f64_e64 s[2:3], v[20:21], v[34:35]
	v_cmp_lt_f64_e32 vcc, v[20:21], v[34:35]
	s_and_b64 s[2:3], s[2:3], s[50:51]
	s_or_b64 s[54:55], vcc, s[2:3]
	s_and_b64 s[2:3], s[54:55], exec
	v_cmp_nlg_f64_e64 s[4:5], v[20:21], v[34:35]
	s_or_b64 s[2:3], s[52:53], s[2:3]
	s_and_saveexec_b64 s[52:53], s[4:5]
	s_cbranch_execz .LBB751_130
; %bb.132:                              ;   in Loop: Header=BB751_131 Depth=1
	s_add_u32 s48, s48, -1
	s_addc_u32 s49, s49, -1
	v_add_co_u32_e32 v2, vcc, 8, v2
	s_cmp_eq_u64 s[48:49], 0
	v_addc_co_u32_e32 v3, vcc, 0, v3, vcc
	s_cselect_b64 s[4:5], -1, 0
	v_add_co_u32_e32 v6, vcc, 8, v6
	s_andn2_b64 s[46:47], s[46:47], exec
	s_and_b64 s[50:51], s[54:55], exec
	s_andn2_b64 s[44:45], s[44:45], exec
	s_and_b64 s[4:5], s[4:5], exec
	v_addc_co_u32_e32 v7, vcc, 0, v7, vcc
	s_or_b64 s[46:47], s[46:47], s[50:51]
	s_andn2_b64 s[2:3], s[2:3], exec
	s_or_b64 s[44:45], s[44:45], s[4:5]
                                        ; implicit-def: $sgpr50_sgpr51
	s_branch .LBB751_130
.LBB751_133:
	s_or_b64 exec, exec, s[40:41]
	s_xor_b64 s[2:3], s[42:43], -1
	s_andn2_b64 s[4:5], s[34:35], exec
	s_and_b64 s[2:3], s[2:3], exec
	s_or_b64 s[34:35], s[4:5], s[2:3]
.LBB751_134:
	s_or_b64 exec, exec, s[38:39]
	s_orn2_b64 s[34:35], s[34:35], exec
.LBB751_135:
	s_or_b64 exec, exec, s[36:37]
	v_cndmask_b32_e64 v2, v33, v37, s[34:35]
	v_cndmask_b32_e64 v3, v19, v18, s[34:35]
	v_add_u32_e32 v6, 1, v2
	v_add_u32_e32 v2, -1, v3
	v_min_u32_e32 v2, v6, v2
	v_lshl_add_u32 v2, v2, 3, v14
	ds_read_b64 v[2:3], v2
	v_cndmask_b32_e64 v34, v6, v33, s[34:35]
	v_cndmask_b32_e64 v33, v37, v6, s[34:35]
	v_cmp_lt_u32_e32 vcc, v34, v19
	s_waitcnt lgkmcnt(0)
	v_cndmask_b32_e64 v20, v3, v8, s[34:35]
	v_cndmask_b32_e64 v21, v2, v9, s[34:35]
	;; [unrolled: 1-line block ×4, first 2 shown]
	s_and_saveexec_b64 s[36:37], vcc
	s_cbranch_execz .LBB751_143
; %bb.136:
	v_cmp_lt_u32_e64 s[30:31], v33, v18
	s_xor_b64 s[2:3], s[24:25], -1
	s_and_b64 s[2:3], s[30:31], s[2:3]
	s_and_saveexec_b64 s[38:39], s[2:3]
	s_cbranch_execz .LBB751_142
; %bb.137:
	v_mul_lo_u32 v6, v20, s12
	v_mul_lo_u32 v7, v21, s13
	v_mad_u64_u32 v[2:3], s[2:3], v21, s12, 0
	v_add3_u32 v3, v3, v7, v6
	v_lshlrev_b64 v[2:3], 3, v[2:3]
	v_mov_b32_e32 v6, s15
	v_add_co_u32_e32 v2, vcc, s14, v2
	v_addc_co_u32_e32 v3, vcc, v6, v3, vcc
	v_mul_lo_u32 v37, v35, s12
	v_mul_lo_u32 v38, v36, s13
	v_mad_u64_u32 v[6:7], s[2:3], v36, s12, 0
	v_add3_u32 v7, v7, v38, v37
	v_lshlrev_b64 v[6:7], 3, v[6:7]
	v_mov_b32_e32 v37, s15
	v_add_co_u32_e32 v6, vcc, s14, v6
	v_addc_co_u32_e32 v7, vcc, v37, v7, vcc
	s_mov_b64 s[40:41], 0
	s_mov_b64 s[48:49], s[12:13]
                                        ; implicit-def: $sgpr42_sgpr43
                                        ; implicit-def: $sgpr44_sgpr45
                                        ; implicit-def: $sgpr2_sgpr3
                                        ; implicit-def: $sgpr46_sgpr47
                                        ; implicit-def: $sgpr50_sgpr51
	s_branch .LBB751_139
.LBB751_138:                            ;   in Loop: Header=BB751_139 Depth=1
	s_or_b64 exec, exec, s[52:53]
	s_and_b64 s[4:5], exec, s[44:45]
	s_or_b64 s[40:41], s[4:5], s[40:41]
	s_andn2_b64 s[4:5], s[50:51], exec
	s_and_b64 s[50:51], s[46:47], exec
	s_or_b64 s[50:51], s[4:5], s[50:51]
	s_andn2_b64 s[4:5], s[42:43], exec
	s_and_b64 s[42:43], s[2:3], exec
	s_or_b64 s[42:43], s[4:5], s[42:43]
	s_andn2_b64 exec, exec, s[40:41]
	s_cbranch_execz .LBB751_141
.LBB751_139:                            ; =>This Inner Loop Header: Depth=1
	global_load_dwordx2 v[38:39], v[2:3], off
	global_load_dwordx2 v[40:41], v[6:7], off
	s_andn2_b64 s[52:53], s[2:3], exec
	s_andn2_b64 s[46:47], s[46:47], exec
	s_or_b64 s[44:45], s[44:45], exec
	s_waitcnt vmcnt(0)
	v_cmp_ngt_f64_e64 s[2:3], v[38:39], v[40:41]
	v_cmp_lt_f64_e32 vcc, v[38:39], v[40:41]
	s_and_b64 s[2:3], s[2:3], s[50:51]
	s_or_b64 s[54:55], vcc, s[2:3]
	s_and_b64 s[2:3], s[54:55], exec
	v_cmp_nlg_f64_e64 s[4:5], v[38:39], v[40:41]
	s_or_b64 s[2:3], s[52:53], s[2:3]
	s_and_saveexec_b64 s[52:53], s[4:5]
	s_cbranch_execz .LBB751_138
; %bb.140:                              ;   in Loop: Header=BB751_139 Depth=1
	s_add_u32 s48, s48, -1
	s_addc_u32 s49, s49, -1
	v_add_co_u32_e32 v2, vcc, 8, v2
	s_cmp_eq_u64 s[48:49], 0
	v_addc_co_u32_e32 v3, vcc, 0, v3, vcc
	s_cselect_b64 s[4:5], -1, 0
	v_add_co_u32_e32 v6, vcc, 8, v6
	s_andn2_b64 s[46:47], s[46:47], exec
	s_and_b64 s[50:51], s[54:55], exec
	s_andn2_b64 s[44:45], s[44:45], exec
	s_and_b64 s[4:5], s[4:5], exec
	v_addc_co_u32_e32 v7, vcc, 0, v7, vcc
	s_or_b64 s[46:47], s[46:47], s[50:51]
	s_andn2_b64 s[2:3], s[2:3], exec
	s_or_b64 s[44:45], s[44:45], s[4:5]
                                        ; implicit-def: $sgpr50_sgpr51
	s_branch .LBB751_138
.LBB751_141:
	s_or_b64 exec, exec, s[40:41]
	s_xor_b64 s[2:3], s[42:43], -1
	s_andn2_b64 s[4:5], s[30:31], exec
	s_and_b64 s[2:3], s[2:3], exec
	s_or_b64 s[30:31], s[4:5], s[2:3]
.LBB751_142:
	s_or_b64 exec, exec, s[38:39]
	s_orn2_b64 s[30:31], s[30:31], exec
.LBB751_143:
	s_or_b64 exec, exec, s[36:37]
	v_cndmask_b32_e64 v6, v34, v33, s[30:31]
	v_cndmask_b32_e64 v7, v19, v18, s[30:31]
	;; [unrolled: 1-line block ×3, first 2 shown]
	v_add_u32_e32 v10, 1, v6
	v_add_u32_e32 v6, -1, v7
	v_min_u32_e32 v6, v10, v6
	v_lshl_add_u32 v6, v6, 3, v14
	v_cndmask_b32_e64 v2, v9, v11, s[34:35]
	ds_read_b64 v[8:9], v6
	v_cndmask_b32_e64 v11, v10, v34, s[30:31]
	v_cndmask_b32_e64 v1, v5, v1, s[28:29]
	v_cndmask_b32_e64 v0, v4, v0, s[28:29]
	v_cndmask_b32_e64 v5, v20, v35, s[30:31]
	v_cndmask_b32_e64 v4, v21, v36, s[30:31]
	s_waitcnt lgkmcnt(0)
	v_cndmask_b32_e64 v7, v35, v9, s[30:31]
	v_cndmask_b32_e64 v6, v36, v8, s[30:31]
	v_cmp_lt_u32_e32 vcc, v11, v19
	s_and_saveexec_b64 s[28:29], vcc
	s_cbranch_execz .LBB751_151
; %bb.144:
	v_cndmask_b32_e64 v19, v9, v20, s[30:31]
	v_cndmask_b32_e64 v20, v8, v21, s[30:31]
	;; [unrolled: 1-line block ×3, first 2 shown]
	v_cmp_ge_u32_e32 vcc, v8, v18
	s_or_b64 s[2:3], vcc, s[24:25]
	v_cndmask_b32_e32 v9, v7, v19, vcc
	s_xor_b64 s[2:3], s[2:3], -1
	v_cndmask_b32_e32 v8, v6, v20, vcc
	s_and_saveexec_b64 s[30:31], s[2:3]
	s_cbranch_execz .LBB751_150
; %bb.145:
	v_mul_lo_u32 v10, v19, s12
	v_mul_lo_u32 v11, v20, s13
	v_mad_u64_u32 v[8:9], s[2:3], v20, s12, 0
	v_add3_u32 v9, v9, v11, v10
	v_lshlrev_b64 v[8:9], 3, v[8:9]
	v_mov_b32_e32 v10, s15
	v_add_co_u32_e32 v8, vcc, s14, v8
	v_addc_co_u32_e32 v9, vcc, v10, v9, vcc
	v_mul_lo_u32 v18, v7, s12
	v_mul_lo_u32 v21, v6, s13
	v_mad_u64_u32 v[10:11], s[2:3], v6, s12, 0
	v_add3_u32 v11, v11, v21, v18
	v_lshlrev_b64 v[10:11], 3, v[10:11]
	v_mov_b32_e32 v18, s15
	v_add_co_u32_e32 v10, vcc, s14, v10
	v_addc_co_u32_e32 v11, vcc, v18, v11, vcc
	s_mov_b64 s[34:35], 0
	s_mov_b64 s[42:43], s[12:13]
                                        ; implicit-def: $sgpr36_sgpr37
                                        ; implicit-def: $sgpr38_sgpr39
                                        ; implicit-def: $sgpr2_sgpr3
                                        ; implicit-def: $sgpr40_sgpr41
                                        ; implicit-def: $sgpr44_sgpr45
	s_branch .LBB751_147
.LBB751_146:                            ;   in Loop: Header=BB751_147 Depth=1
	s_or_b64 exec, exec, s[46:47]
	s_and_b64 s[4:5], exec, s[38:39]
	s_or_b64 s[34:35], s[4:5], s[34:35]
	s_andn2_b64 s[4:5], s[44:45], exec
	s_and_b64 s[44:45], s[40:41], exec
	s_or_b64 s[44:45], s[4:5], s[44:45]
	s_andn2_b64 s[4:5], s[36:37], exec
	s_and_b64 s[36:37], s[2:3], exec
	s_or_b64 s[36:37], s[4:5], s[36:37]
	s_andn2_b64 exec, exec, s[34:35]
	s_cbranch_execz .LBB751_149
.LBB751_147:                            ; =>This Inner Loop Header: Depth=1
	global_load_dwordx2 v[34:35], v[8:9], off
	global_load_dwordx2 v[36:37], v[10:11], off
	s_andn2_b64 s[46:47], s[2:3], exec
	s_andn2_b64 s[40:41], s[40:41], exec
	s_or_b64 s[38:39], s[38:39], exec
	s_waitcnt vmcnt(0)
	v_cmp_ngt_f64_e64 s[2:3], v[34:35], v[36:37]
	v_cmp_lt_f64_e32 vcc, v[34:35], v[36:37]
	s_and_b64 s[2:3], s[2:3], s[44:45]
	s_or_b64 s[48:49], vcc, s[2:3]
	s_and_b64 s[2:3], s[48:49], exec
	v_cmp_nlg_f64_e64 s[4:5], v[34:35], v[36:37]
	s_or_b64 s[2:3], s[46:47], s[2:3]
	s_and_saveexec_b64 s[46:47], s[4:5]
	s_cbranch_execz .LBB751_146
; %bb.148:                              ;   in Loop: Header=BB751_147 Depth=1
	s_add_u32 s42, s42, -1
	s_addc_u32 s43, s43, -1
	v_add_co_u32_e32 v8, vcc, 8, v8
	s_cmp_eq_u64 s[42:43], 0
	v_addc_co_u32_e32 v9, vcc, 0, v9, vcc
	s_cselect_b64 s[4:5], -1, 0
	v_add_co_u32_e32 v10, vcc, 8, v10
	s_andn2_b64 s[40:41], s[40:41], exec
	s_and_b64 s[44:45], s[48:49], exec
	s_andn2_b64 s[38:39], s[38:39], exec
	s_and_b64 s[4:5], s[4:5], exec
	v_addc_co_u32_e32 v11, vcc, 0, v11, vcc
	s_or_b64 s[40:41], s[40:41], s[44:45]
	s_andn2_b64 s[2:3], s[2:3], exec
	s_or_b64 s[38:39], s[38:39], s[4:5]
                                        ; implicit-def: $sgpr44_sgpr45
	s_branch .LBB751_146
.LBB751_149:
	s_or_b64 exec, exec, s[34:35]
	v_cndmask_b32_e64 v9, v7, v19, s[36:37]
	v_cndmask_b32_e64 v8, v6, v20, s[36:37]
.LBB751_150:
	s_or_b64 exec, exec, s[30:31]
	v_pk_mov_b32 v[6:7], v[8:9], v[8:9] op_sel:[0,1]
.LBB751_151:
	s_or_b64 exec, exec, s[28:29]
.LBB751_152:
	s_or_b64 exec, exec, s[26:27]
	v_and_b32_e32 v21, 0x1e0, v16
	v_or_b32_e32 v8, 16, v21
	v_min_u32_e32 v18, v15, v8
	v_add_u32_e32 v8, 16, v18
	v_min_u32_e32 v19, v15, v8
	v_and_b32_e32 v8, 28, v16
	v_min_u32_e32 v34, v15, v8
	v_sub_u32_e32 v8, v18, v21
	v_sub_u32_e32 v9, v19, v18
	v_sub_u32_e64 v33, v34, v9 clamp
	v_min_u32_e32 v35, v34, v8
	v_lshl_add_u32 v20, v21, 3, v14
	v_cmp_lt_u32_e32 vcc, v33, v35
	; wave barrier
	ds_write_b128 v17, v[0:3]
	ds_write_b128 v17, v[4:7] offset:16
	; wave barrier
	s_and_saveexec_b64 s[26:27], vcc
	s_cbranch_execz .LBB751_162
; %bb.153:
	v_lshlrev_b32_e32 v8, 3, v18
	v_lshlrev_b32_e32 v9, 3, v34
	v_add3_u32 v36, v14, v8, v9
	s_lshl_b64 s[30:31], s[12:13], 3
	s_mov_b64 s[28:29], 0
	s_branch .LBB751_156
.LBB751_154:                            ;   in Loop: Header=BB751_156 Depth=1
	s_or_b64 exec, exec, s[36:37]
.LBB751_155:                            ;   in Loop: Header=BB751_156 Depth=1
	v_add_u32_e32 v8, 1, v37
	v_cndmask_b32_e64 v35, v35, v37, s[34:35]
	v_cndmask_b32_e64 v33, v8, v33, s[34:35]
	v_cmp_ge_u32_e32 vcc, v33, v35
	s_or_b64 s[28:29], vcc, s[28:29]
	s_andn2_b64 exec, exec, s[28:29]
	s_cbranch_execz .LBB751_161
.LBB751_156:                            ; =>This Loop Header: Depth=1
                                        ;     Child Loop BB751_159 Depth 2
	v_add_u32_e32 v8, v35, v33
	v_lshrrev_b32_e32 v37, 1, v8
	s_and_b64 vcc, exec, s[0:1]
	s_mov_b64 s[34:35], 0
	s_cbranch_vccnz .LBB751_155
; %bb.157:                              ;   in Loop: Header=BB751_156 Depth=1
	v_not_b32_e32 v8, v37
	v_lshl_add_u32 v8, v8, 3, v36
	ds_read_b64 v[8:9], v8
	v_lshl_add_u32 v38, v37, 3, v20
	ds_read_b64 v[38:39], v38
	v_pk_mov_b32 v[10:11], s[14:15], s[14:15] op_sel:[0,1]
	s_mov_b64 s[36:37], 0
	s_waitcnt lgkmcnt(1)
	v_mul_lo_u32 v40, s30, v9
	v_mul_lo_u32 v41, s31, v8
	v_mad_u64_u32 v[8:9], s[2:3], s30, v8, v[10:11]
	v_add3_u32 v9, v41, v9, v40
	s_waitcnt lgkmcnt(0)
	v_mul_lo_u32 v39, s30, v39
	v_mul_lo_u32 v40, s31, v38
	v_mad_u64_u32 v[10:11], s[2:3], s30, v38, v[10:11]
	v_add3_u32 v11, v40, v11, v39
	s_mov_b64 s[42:43], s[12:13]
                                        ; implicit-def: $sgpr34_sgpr35
                                        ; implicit-def: $sgpr38_sgpr39
                                        ; implicit-def: $sgpr40_sgpr41
                                        ; implicit-def: $sgpr2_sgpr3
                                        ; implicit-def: $sgpr44_sgpr45
	s_branch .LBB751_159
.LBB751_158:                            ;   in Loop: Header=BB751_159 Depth=2
	s_or_b64 exec, exec, s[46:47]
	s_and_b64 s[4:5], exec, s[38:39]
	s_or_b64 s[36:37], s[4:5], s[36:37]
	s_andn2_b64 s[4:5], s[44:45], exec
	s_and_b64 s[44:45], s[40:41], exec
	s_or_b64 s[44:45], s[4:5], s[44:45]
	s_andn2_b64 s[4:5], s[34:35], exec
	s_and_b64 s[34:35], s[2:3], exec
	s_or_b64 s[34:35], s[4:5], s[34:35]
	s_andn2_b64 exec, exec, s[36:37]
	s_cbranch_execz .LBB751_154
.LBB751_159:                            ;   Parent Loop BB751_156 Depth=1
                                        ; =>  This Inner Loop Header: Depth=2
	global_load_dwordx2 v[38:39], v[8:9], off
	global_load_dwordx2 v[40:41], v[10:11], off
	s_andn2_b64 s[46:47], s[2:3], exec
	s_andn2_b64 s[40:41], s[40:41], exec
	s_or_b64 s[38:39], s[38:39], exec
	s_waitcnt vmcnt(0)
	v_cmp_ngt_f64_e64 s[2:3], v[38:39], v[40:41]
	v_cmp_lt_f64_e32 vcc, v[38:39], v[40:41]
	s_and_b64 s[2:3], s[2:3], s[44:45]
	s_or_b64 s[48:49], vcc, s[2:3]
	s_and_b64 s[2:3], s[48:49], exec
	v_cmp_nlg_f64_e64 s[4:5], v[38:39], v[40:41]
	s_or_b64 s[2:3], s[46:47], s[2:3]
	s_and_saveexec_b64 s[46:47], s[4:5]
	s_cbranch_execz .LBB751_158
; %bb.160:                              ;   in Loop: Header=BB751_159 Depth=2
	s_add_u32 s42, s42, -1
	s_addc_u32 s43, s43, -1
	v_add_co_u32_e32 v8, vcc, 8, v8
	s_cmp_eq_u64 s[42:43], 0
	v_addc_co_u32_e32 v9, vcc, 0, v9, vcc
	s_cselect_b64 s[4:5], -1, 0
	v_add_co_u32_e32 v10, vcc, 8, v10
	s_andn2_b64 s[40:41], s[40:41], exec
	s_and_b64 s[44:45], s[48:49], exec
	s_andn2_b64 s[38:39], s[38:39], exec
	s_and_b64 s[4:5], s[4:5], exec
	v_addc_co_u32_e32 v11, vcc, 0, v11, vcc
	s_andn2_b64 s[2:3], s[2:3], exec
	s_or_b64 s[40:41], s[40:41], s[44:45]
	s_or_b64 s[38:39], s[38:39], s[4:5]
                                        ; implicit-def: $sgpr44_sgpr45
	s_branch .LBB751_158
.LBB751_161:
	s_or_b64 exec, exec, s[28:29]
.LBB751_162:
	s_or_b64 exec, exec, s[26:27]
	v_add_u32_e32 v8, v18, v34
	v_add_u32_e32 v21, v33, v21
	v_sub_u32_e32 v34, v8, v33
	v_cmp_le_u32_e32 vcc, v21, v18
	v_cmp_le_u32_e64 s[2:3], v34, v19
	s_or_b64 s[2:3], vcc, s[2:3]
	s_and_saveexec_b64 s[26:27], s[2:3]
	s_cbranch_execz .LBB751_198
; %bb.163:
	v_cmp_ge_u32_e32 vcc, v21, v18
	v_cmp_lt_u32_e64 s[2:3], v21, v18
                                        ; implicit-def: $vgpr0_vgpr1
	s_and_saveexec_b64 s[4:5], s[2:3]
	s_cbranch_execz .LBB751_165
; %bb.164:
	v_lshl_add_u32 v0, v33, 3, v20
	ds_read_b64 v[0:1], v0
.LBB751_165:
	s_or_b64 exec, exec, s[4:5]
	v_cmp_ge_u32_e64 s[2:3], v34, v19
	v_cmp_lt_u32_e64 s[4:5], v34, v19
                                        ; implicit-def: $vgpr4_vgpr5
	s_and_saveexec_b64 s[28:29], s[4:5]
	s_cbranch_execz .LBB751_167
; %bb.166:
	v_lshl_add_u32 v2, v34, 3, v14
	ds_read_b64 v[4:5], v2
.LBB751_167:
	s_or_b64 exec, exec, s[28:29]
	s_or_b64 s[4:5], vcc, s[2:3]
	s_or_b64 s[4:5], s[4:5], s[24:25]
	s_xor_b64 s[28:29], vcc, -1
	s_xor_b64 s[4:5], s[4:5], -1
	s_or_b64 s[28:29], s[2:3], s[28:29]
	s_and_saveexec_b64 s[30:31], s[4:5]
	s_cbranch_execz .LBB751_173
; %bb.168:
	s_waitcnt lgkmcnt(0)
	v_mul_lo_u32 v6, v5, s12
	v_mul_lo_u32 v7, v4, s13
	v_mad_u64_u32 v[2:3], s[2:3], v4, s12, 0
	v_add3_u32 v3, v3, v7, v6
	v_lshlrev_b64 v[2:3], 3, v[2:3]
	v_mov_b32_e32 v6, s15
	v_add_co_u32_e32 v2, vcc, s14, v2
	v_addc_co_u32_e32 v3, vcc, v6, v3, vcc
	v_mul_lo_u32 v8, v1, s12
	v_mul_lo_u32 v9, v0, s13
	v_mad_u64_u32 v[6:7], s[2:3], v0, s12, 0
	v_add3_u32 v7, v7, v9, v8
	v_lshlrev_b64 v[6:7], 3, v[6:7]
	v_mov_b32_e32 v8, s15
	v_add_co_u32_e32 v6, vcc, s14, v6
	v_addc_co_u32_e32 v7, vcc, v8, v7, vcc
	s_mov_b64 s[34:35], 0
	s_mov_b64 s[42:43], s[12:13]
                                        ; implicit-def: $sgpr36_sgpr37
                                        ; implicit-def: $sgpr38_sgpr39
                                        ; implicit-def: $sgpr2_sgpr3
                                        ; implicit-def: $sgpr40_sgpr41
                                        ; implicit-def: $sgpr44_sgpr45
	s_branch .LBB751_170
.LBB751_169:                            ;   in Loop: Header=BB751_170 Depth=1
	s_or_b64 exec, exec, s[46:47]
	s_and_b64 s[4:5], exec, s[38:39]
	s_or_b64 s[34:35], s[4:5], s[34:35]
	s_andn2_b64 s[4:5], s[44:45], exec
	s_and_b64 s[44:45], s[40:41], exec
	s_or_b64 s[44:45], s[4:5], s[44:45]
	s_andn2_b64 s[4:5], s[36:37], exec
	s_and_b64 s[36:37], s[2:3], exec
	s_or_b64 s[36:37], s[4:5], s[36:37]
	s_andn2_b64 exec, exec, s[34:35]
	s_cbranch_execz .LBB751_172
.LBB751_170:                            ; =>This Inner Loop Header: Depth=1
	global_load_dwordx2 v[8:9], v[2:3], off
	global_load_dwordx2 v[10:11], v[6:7], off
	s_andn2_b64 s[46:47], s[2:3], exec
	s_andn2_b64 s[40:41], s[40:41], exec
	s_or_b64 s[38:39], s[38:39], exec
	s_waitcnt vmcnt(0)
	v_cmp_ngt_f64_e64 s[2:3], v[8:9], v[10:11]
	v_cmp_lt_f64_e32 vcc, v[8:9], v[10:11]
	s_and_b64 s[2:3], s[2:3], s[44:45]
	s_or_b64 s[48:49], vcc, s[2:3]
	s_and_b64 s[2:3], s[48:49], exec
	v_cmp_nlg_f64_e64 s[4:5], v[8:9], v[10:11]
	s_or_b64 s[2:3], s[46:47], s[2:3]
	s_and_saveexec_b64 s[46:47], s[4:5]
	s_cbranch_execz .LBB751_169
; %bb.171:                              ;   in Loop: Header=BB751_170 Depth=1
	s_add_u32 s42, s42, -1
	s_addc_u32 s43, s43, -1
	v_add_co_u32_e32 v2, vcc, 8, v2
	s_cmp_eq_u64 s[42:43], 0
	v_addc_co_u32_e32 v3, vcc, 0, v3, vcc
	s_cselect_b64 s[4:5], -1, 0
	v_add_co_u32_e32 v6, vcc, 8, v6
	s_andn2_b64 s[40:41], s[40:41], exec
	s_and_b64 s[44:45], s[48:49], exec
	s_andn2_b64 s[38:39], s[38:39], exec
	s_and_b64 s[4:5], s[4:5], exec
	v_addc_co_u32_e32 v7, vcc, 0, v7, vcc
	s_or_b64 s[40:41], s[40:41], s[44:45]
	s_andn2_b64 s[2:3], s[2:3], exec
	s_or_b64 s[38:39], s[38:39], s[4:5]
                                        ; implicit-def: $sgpr44_sgpr45
	s_branch .LBB751_169
.LBB751_172:
	s_or_b64 exec, exec, s[34:35]
	s_xor_b64 s[2:3], s[36:37], -1
	s_andn2_b64 s[4:5], s[28:29], exec
	s_and_b64 s[2:3], s[2:3], exec
	s_or_b64 s[28:29], s[4:5], s[2:3]
.LBB751_173:
	s_or_b64 exec, exec, s[30:31]
	v_cndmask_b32_e64 v2, v34, v21, s[28:29]
	v_cndmask_b32_e64 v3, v19, v18, s[28:29]
	v_add_u32_e32 v6, 1, v2
	v_add_u32_e32 v2, -1, v3
	v_min_u32_e32 v2, v6, v2
	v_lshl_add_u32 v2, v2, 3, v14
	ds_read_b64 v[2:3], v2
	v_cndmask_b32_e64 v33, v6, v34, s[28:29]
	v_cndmask_b32_e64 v37, v21, v6, s[28:29]
	v_cmp_lt_u32_e32 vcc, v33, v19
	s_mov_b64 s[30:31], -1
	s_waitcnt lgkmcnt(0)
	v_cndmask_b32_e64 v8, v3, v5, s[28:29]
	v_cndmask_b32_e64 v9, v2, v4, s[28:29]
	;; [unrolled: 1-line block ×4, first 2 shown]
	s_mov_b64 s[34:35], -1
	s_and_saveexec_b64 s[36:37], vcc
	s_cbranch_execz .LBB751_181
; %bb.174:
	v_cmp_lt_u32_e64 s[34:35], v37, v18
	s_xor_b64 s[2:3], s[24:25], -1
	s_and_b64 s[2:3], s[34:35], s[2:3]
	s_and_saveexec_b64 s[38:39], s[2:3]
	s_cbranch_execz .LBB751_180
; %bb.175:
	v_mul_lo_u32 v6, v8, s12
	v_mul_lo_u32 v7, v9, s13
	v_mad_u64_u32 v[2:3], s[2:3], v9, s12, 0
	v_add3_u32 v3, v3, v7, v6
	v_lshlrev_b64 v[2:3], 3, v[2:3]
	v_mov_b32_e32 v6, s15
	v_add_co_u32_e32 v2, vcc, s14, v2
	v_addc_co_u32_e32 v3, vcc, v6, v3, vcc
	v_mul_lo_u32 v20, v10, s12
	v_mul_lo_u32 v21, v11, s13
	v_mad_u64_u32 v[6:7], s[2:3], v11, s12, 0
	v_add3_u32 v7, v7, v21, v20
	v_lshlrev_b64 v[6:7], 3, v[6:7]
	v_mov_b32_e32 v20, s15
	v_add_co_u32_e32 v6, vcc, s14, v6
	v_addc_co_u32_e32 v7, vcc, v20, v7, vcc
	s_mov_b64 s[40:41], 0
	s_mov_b64 s[48:49], s[12:13]
                                        ; implicit-def: $sgpr42_sgpr43
                                        ; implicit-def: $sgpr44_sgpr45
                                        ; implicit-def: $sgpr2_sgpr3
                                        ; implicit-def: $sgpr46_sgpr47
                                        ; implicit-def: $sgpr50_sgpr51
	s_branch .LBB751_177
.LBB751_176:                            ;   in Loop: Header=BB751_177 Depth=1
	s_or_b64 exec, exec, s[52:53]
	s_and_b64 s[4:5], exec, s[44:45]
	s_or_b64 s[40:41], s[4:5], s[40:41]
	s_andn2_b64 s[4:5], s[50:51], exec
	s_and_b64 s[50:51], s[46:47], exec
	s_or_b64 s[50:51], s[4:5], s[50:51]
	s_andn2_b64 s[4:5], s[42:43], exec
	s_and_b64 s[42:43], s[2:3], exec
	s_or_b64 s[42:43], s[4:5], s[42:43]
	s_andn2_b64 exec, exec, s[40:41]
	s_cbranch_execz .LBB751_179
.LBB751_177:                            ; =>This Inner Loop Header: Depth=1
	global_load_dwordx2 v[20:21], v[2:3], off
	global_load_dwordx2 v[34:35], v[6:7], off
	s_andn2_b64 s[52:53], s[2:3], exec
	s_andn2_b64 s[46:47], s[46:47], exec
	s_or_b64 s[44:45], s[44:45], exec
	s_waitcnt vmcnt(0)
	v_cmp_ngt_f64_e64 s[2:3], v[20:21], v[34:35]
	v_cmp_lt_f64_e32 vcc, v[20:21], v[34:35]
	s_and_b64 s[2:3], s[2:3], s[50:51]
	s_or_b64 s[54:55], vcc, s[2:3]
	s_and_b64 s[2:3], s[54:55], exec
	v_cmp_nlg_f64_e64 s[4:5], v[20:21], v[34:35]
	s_or_b64 s[2:3], s[52:53], s[2:3]
	s_and_saveexec_b64 s[52:53], s[4:5]
	s_cbranch_execz .LBB751_176
; %bb.178:                              ;   in Loop: Header=BB751_177 Depth=1
	s_add_u32 s48, s48, -1
	s_addc_u32 s49, s49, -1
	v_add_co_u32_e32 v2, vcc, 8, v2
	s_cmp_eq_u64 s[48:49], 0
	v_addc_co_u32_e32 v3, vcc, 0, v3, vcc
	s_cselect_b64 s[4:5], -1, 0
	v_add_co_u32_e32 v6, vcc, 8, v6
	s_andn2_b64 s[46:47], s[46:47], exec
	s_and_b64 s[50:51], s[54:55], exec
	s_andn2_b64 s[44:45], s[44:45], exec
	s_and_b64 s[4:5], s[4:5], exec
	v_addc_co_u32_e32 v7, vcc, 0, v7, vcc
	s_or_b64 s[46:47], s[46:47], s[50:51]
	s_andn2_b64 s[2:3], s[2:3], exec
	s_or_b64 s[44:45], s[44:45], s[4:5]
                                        ; implicit-def: $sgpr50_sgpr51
	s_branch .LBB751_176
.LBB751_179:
	s_or_b64 exec, exec, s[40:41]
	s_xor_b64 s[2:3], s[42:43], -1
	s_andn2_b64 s[4:5], s[34:35], exec
	s_and_b64 s[2:3], s[2:3], exec
	s_or_b64 s[34:35], s[4:5], s[2:3]
.LBB751_180:
	s_or_b64 exec, exec, s[38:39]
	s_orn2_b64 s[34:35], s[34:35], exec
.LBB751_181:
	s_or_b64 exec, exec, s[36:37]
	v_cndmask_b32_e64 v2, v33, v37, s[34:35]
	v_cndmask_b32_e64 v3, v19, v18, s[34:35]
	v_add_u32_e32 v6, 1, v2
	v_add_u32_e32 v2, -1, v3
	v_min_u32_e32 v2, v6, v2
	v_lshl_add_u32 v2, v2, 3, v14
	ds_read_b64 v[2:3], v2
	v_cndmask_b32_e64 v34, v6, v33, s[34:35]
	v_cndmask_b32_e64 v33, v37, v6, s[34:35]
	v_cmp_lt_u32_e32 vcc, v34, v19
	s_waitcnt lgkmcnt(0)
	v_cndmask_b32_e64 v20, v3, v8, s[34:35]
	v_cndmask_b32_e64 v21, v2, v9, s[34:35]
	;; [unrolled: 1-line block ×4, first 2 shown]
	s_and_saveexec_b64 s[36:37], vcc
	s_cbranch_execz .LBB751_189
; %bb.182:
	v_cmp_lt_u32_e64 s[30:31], v33, v18
	s_xor_b64 s[2:3], s[24:25], -1
	s_and_b64 s[2:3], s[30:31], s[2:3]
	s_and_saveexec_b64 s[38:39], s[2:3]
	s_cbranch_execz .LBB751_188
; %bb.183:
	v_mul_lo_u32 v6, v20, s12
	v_mul_lo_u32 v7, v21, s13
	v_mad_u64_u32 v[2:3], s[2:3], v21, s12, 0
	v_add3_u32 v3, v3, v7, v6
	v_lshlrev_b64 v[2:3], 3, v[2:3]
	v_mov_b32_e32 v6, s15
	v_add_co_u32_e32 v2, vcc, s14, v2
	v_addc_co_u32_e32 v3, vcc, v6, v3, vcc
	v_mul_lo_u32 v37, v35, s12
	v_mul_lo_u32 v38, v36, s13
	v_mad_u64_u32 v[6:7], s[2:3], v36, s12, 0
	v_add3_u32 v7, v7, v38, v37
	v_lshlrev_b64 v[6:7], 3, v[6:7]
	v_mov_b32_e32 v37, s15
	v_add_co_u32_e32 v6, vcc, s14, v6
	v_addc_co_u32_e32 v7, vcc, v37, v7, vcc
	s_mov_b64 s[40:41], 0
	s_mov_b64 s[48:49], s[12:13]
                                        ; implicit-def: $sgpr42_sgpr43
                                        ; implicit-def: $sgpr44_sgpr45
                                        ; implicit-def: $sgpr2_sgpr3
                                        ; implicit-def: $sgpr46_sgpr47
                                        ; implicit-def: $sgpr50_sgpr51
	s_branch .LBB751_185
.LBB751_184:                            ;   in Loop: Header=BB751_185 Depth=1
	s_or_b64 exec, exec, s[52:53]
	s_and_b64 s[4:5], exec, s[44:45]
	s_or_b64 s[40:41], s[4:5], s[40:41]
	s_andn2_b64 s[4:5], s[50:51], exec
	s_and_b64 s[50:51], s[46:47], exec
	s_or_b64 s[50:51], s[4:5], s[50:51]
	s_andn2_b64 s[4:5], s[42:43], exec
	s_and_b64 s[42:43], s[2:3], exec
	s_or_b64 s[42:43], s[4:5], s[42:43]
	s_andn2_b64 exec, exec, s[40:41]
	s_cbranch_execz .LBB751_187
.LBB751_185:                            ; =>This Inner Loop Header: Depth=1
	global_load_dwordx2 v[38:39], v[2:3], off
	global_load_dwordx2 v[40:41], v[6:7], off
	s_andn2_b64 s[52:53], s[2:3], exec
	s_andn2_b64 s[46:47], s[46:47], exec
	s_or_b64 s[44:45], s[44:45], exec
	s_waitcnt vmcnt(0)
	v_cmp_ngt_f64_e64 s[2:3], v[38:39], v[40:41]
	v_cmp_lt_f64_e32 vcc, v[38:39], v[40:41]
	s_and_b64 s[2:3], s[2:3], s[50:51]
	s_or_b64 s[54:55], vcc, s[2:3]
	s_and_b64 s[2:3], s[54:55], exec
	v_cmp_nlg_f64_e64 s[4:5], v[38:39], v[40:41]
	s_or_b64 s[2:3], s[52:53], s[2:3]
	s_and_saveexec_b64 s[52:53], s[4:5]
	s_cbranch_execz .LBB751_184
; %bb.186:                              ;   in Loop: Header=BB751_185 Depth=1
	s_add_u32 s48, s48, -1
	s_addc_u32 s49, s49, -1
	v_add_co_u32_e32 v2, vcc, 8, v2
	s_cmp_eq_u64 s[48:49], 0
	v_addc_co_u32_e32 v3, vcc, 0, v3, vcc
	s_cselect_b64 s[4:5], -1, 0
	v_add_co_u32_e32 v6, vcc, 8, v6
	s_andn2_b64 s[46:47], s[46:47], exec
	s_and_b64 s[50:51], s[54:55], exec
	s_andn2_b64 s[44:45], s[44:45], exec
	s_and_b64 s[4:5], s[4:5], exec
	v_addc_co_u32_e32 v7, vcc, 0, v7, vcc
	s_or_b64 s[46:47], s[46:47], s[50:51]
	s_andn2_b64 s[2:3], s[2:3], exec
	s_or_b64 s[44:45], s[44:45], s[4:5]
                                        ; implicit-def: $sgpr50_sgpr51
	s_branch .LBB751_184
.LBB751_187:
	s_or_b64 exec, exec, s[40:41]
	s_xor_b64 s[2:3], s[42:43], -1
	s_andn2_b64 s[4:5], s[30:31], exec
	s_and_b64 s[2:3], s[2:3], exec
	s_or_b64 s[30:31], s[4:5], s[2:3]
.LBB751_188:
	s_or_b64 exec, exec, s[38:39]
	s_orn2_b64 s[30:31], s[30:31], exec
.LBB751_189:
	s_or_b64 exec, exec, s[36:37]
	v_cndmask_b32_e64 v6, v34, v33, s[30:31]
	v_cndmask_b32_e64 v7, v19, v18, s[30:31]
	;; [unrolled: 1-line block ×3, first 2 shown]
	v_add_u32_e32 v10, 1, v6
	v_add_u32_e32 v6, -1, v7
	v_min_u32_e32 v6, v10, v6
	v_lshl_add_u32 v6, v6, 3, v14
	v_cndmask_b32_e64 v2, v9, v11, s[34:35]
	ds_read_b64 v[8:9], v6
	v_cndmask_b32_e64 v11, v10, v34, s[30:31]
	v_cndmask_b32_e64 v1, v5, v1, s[28:29]
	;; [unrolled: 1-line block ×5, first 2 shown]
	s_waitcnt lgkmcnt(0)
	v_cndmask_b32_e64 v7, v35, v9, s[30:31]
	v_cndmask_b32_e64 v6, v36, v8, s[30:31]
	v_cmp_lt_u32_e32 vcc, v11, v19
	s_and_saveexec_b64 s[28:29], vcc
	s_cbranch_execz .LBB751_197
; %bb.190:
	v_cndmask_b32_e64 v19, v9, v20, s[30:31]
	v_cndmask_b32_e64 v20, v8, v21, s[30:31]
	;; [unrolled: 1-line block ×3, first 2 shown]
	v_cmp_ge_u32_e32 vcc, v8, v18
	s_or_b64 s[2:3], vcc, s[24:25]
	v_cndmask_b32_e32 v9, v7, v19, vcc
	s_xor_b64 s[2:3], s[2:3], -1
	v_cndmask_b32_e32 v8, v6, v20, vcc
	s_and_saveexec_b64 s[30:31], s[2:3]
	s_cbranch_execz .LBB751_196
; %bb.191:
	v_mul_lo_u32 v10, v19, s12
	v_mul_lo_u32 v11, v20, s13
	v_mad_u64_u32 v[8:9], s[2:3], v20, s12, 0
	v_add3_u32 v9, v9, v11, v10
	v_lshlrev_b64 v[8:9], 3, v[8:9]
	v_mov_b32_e32 v10, s15
	v_add_co_u32_e32 v8, vcc, s14, v8
	v_addc_co_u32_e32 v9, vcc, v10, v9, vcc
	v_mul_lo_u32 v18, v7, s12
	v_mul_lo_u32 v21, v6, s13
	v_mad_u64_u32 v[10:11], s[2:3], v6, s12, 0
	v_add3_u32 v11, v11, v21, v18
	v_lshlrev_b64 v[10:11], 3, v[10:11]
	v_mov_b32_e32 v18, s15
	v_add_co_u32_e32 v10, vcc, s14, v10
	v_addc_co_u32_e32 v11, vcc, v18, v11, vcc
	s_mov_b64 s[34:35], 0
	s_mov_b64 s[42:43], s[12:13]
                                        ; implicit-def: $sgpr36_sgpr37
                                        ; implicit-def: $sgpr38_sgpr39
                                        ; implicit-def: $sgpr2_sgpr3
                                        ; implicit-def: $sgpr40_sgpr41
                                        ; implicit-def: $sgpr44_sgpr45
	s_branch .LBB751_193
.LBB751_192:                            ;   in Loop: Header=BB751_193 Depth=1
	s_or_b64 exec, exec, s[46:47]
	s_and_b64 s[4:5], exec, s[38:39]
	s_or_b64 s[34:35], s[4:5], s[34:35]
	s_andn2_b64 s[4:5], s[44:45], exec
	s_and_b64 s[44:45], s[40:41], exec
	s_or_b64 s[44:45], s[4:5], s[44:45]
	s_andn2_b64 s[4:5], s[36:37], exec
	s_and_b64 s[36:37], s[2:3], exec
	s_or_b64 s[36:37], s[4:5], s[36:37]
	s_andn2_b64 exec, exec, s[34:35]
	s_cbranch_execz .LBB751_195
.LBB751_193:                            ; =>This Inner Loop Header: Depth=1
	global_load_dwordx2 v[34:35], v[8:9], off
	global_load_dwordx2 v[36:37], v[10:11], off
	s_andn2_b64 s[46:47], s[2:3], exec
	s_andn2_b64 s[40:41], s[40:41], exec
	s_or_b64 s[38:39], s[38:39], exec
	s_waitcnt vmcnt(0)
	v_cmp_ngt_f64_e64 s[2:3], v[34:35], v[36:37]
	v_cmp_lt_f64_e32 vcc, v[34:35], v[36:37]
	s_and_b64 s[2:3], s[2:3], s[44:45]
	s_or_b64 s[48:49], vcc, s[2:3]
	s_and_b64 s[2:3], s[48:49], exec
	v_cmp_nlg_f64_e64 s[4:5], v[34:35], v[36:37]
	s_or_b64 s[2:3], s[46:47], s[2:3]
	s_and_saveexec_b64 s[46:47], s[4:5]
	s_cbranch_execz .LBB751_192
; %bb.194:                              ;   in Loop: Header=BB751_193 Depth=1
	s_add_u32 s42, s42, -1
	s_addc_u32 s43, s43, -1
	v_add_co_u32_e32 v8, vcc, 8, v8
	s_cmp_eq_u64 s[42:43], 0
	v_addc_co_u32_e32 v9, vcc, 0, v9, vcc
	s_cselect_b64 s[4:5], -1, 0
	v_add_co_u32_e32 v10, vcc, 8, v10
	s_andn2_b64 s[40:41], s[40:41], exec
	s_and_b64 s[44:45], s[48:49], exec
	s_andn2_b64 s[38:39], s[38:39], exec
	s_and_b64 s[4:5], s[4:5], exec
	v_addc_co_u32_e32 v11, vcc, 0, v11, vcc
	s_or_b64 s[40:41], s[40:41], s[44:45]
	s_andn2_b64 s[2:3], s[2:3], exec
	s_or_b64 s[38:39], s[38:39], s[4:5]
                                        ; implicit-def: $sgpr44_sgpr45
	s_branch .LBB751_192
.LBB751_195:
	s_or_b64 exec, exec, s[34:35]
	v_cndmask_b32_e64 v9, v7, v19, s[36:37]
	v_cndmask_b32_e64 v8, v6, v20, s[36:37]
.LBB751_196:
	s_or_b64 exec, exec, s[30:31]
	v_pk_mov_b32 v[6:7], v[8:9], v[8:9] op_sel:[0,1]
.LBB751_197:
	s_or_b64 exec, exec, s[28:29]
.LBB751_198:
	s_or_b64 exec, exec, s[26:27]
	v_and_b32_e32 v20, 0x1c0, v16
	v_or_b32_e32 v8, 32, v20
	; wave barrier
	ds_write_b128 v17, v[0:3]
	ds_write_b128 v17, v[4:7] offset:16
	v_min_u32_e32 v17, v15, v8
	v_add_u32_e32 v8, 32, v17
	v_min_u32_e32 v18, v15, v8
	v_and_b32_e32 v8, 60, v16
	v_min_u32_e32 v21, v15, v8
	v_sub_u32_e32 v8, v17, v20
	v_sub_u32_e32 v9, v18, v17
	v_sub_u32_e64 v19, v21, v9 clamp
	v_min_u32_e32 v16, v21, v8
	v_lshl_add_u32 v15, v20, 3, v14
	v_cmp_lt_u32_e32 vcc, v19, v16
	; wave barrier
	s_and_saveexec_b64 s[26:27], vcc
	s_cbranch_execz .LBB751_208
; %bb.199:
	v_lshlrev_b32_e32 v8, 3, v17
	v_lshlrev_b32_e32 v9, 3, v21
	v_add3_u32 v33, v14, v8, v9
	s_lshl_b64 s[30:31], s[12:13], 3
	s_mov_b64 s[28:29], 0
	s_branch .LBB751_202
.LBB751_200:                            ;   in Loop: Header=BB751_202 Depth=1
	s_or_b64 exec, exec, s[36:37]
.LBB751_201:                            ;   in Loop: Header=BB751_202 Depth=1
	v_add_u32_e32 v8, 1, v34
	v_cndmask_b32_e64 v16, v16, v34, s[34:35]
	v_cndmask_b32_e64 v19, v8, v19, s[34:35]
	v_cmp_ge_u32_e32 vcc, v19, v16
	s_or_b64 s[28:29], vcc, s[28:29]
	s_andn2_b64 exec, exec, s[28:29]
	s_cbranch_execz .LBB751_207
.LBB751_202:                            ; =>This Loop Header: Depth=1
                                        ;     Child Loop BB751_205 Depth 2
	v_add_u32_e32 v8, v16, v19
	v_lshrrev_b32_e32 v34, 1, v8
	s_and_b64 vcc, exec, s[0:1]
	s_mov_b64 s[34:35], 0
	s_cbranch_vccnz .LBB751_201
; %bb.203:                              ;   in Loop: Header=BB751_202 Depth=1
	v_not_b32_e32 v8, v34
	v_lshl_add_u32 v8, v8, 3, v33
	ds_read_b64 v[8:9], v8
	v_lshl_add_u32 v35, v34, 3, v15
	ds_read_b64 v[36:37], v35
	v_pk_mov_b32 v[10:11], s[14:15], s[14:15] op_sel:[0,1]
	s_mov_b64 s[36:37], 0
	s_waitcnt lgkmcnt(1)
	v_mul_lo_u32 v35, s30, v9
	v_mul_lo_u32 v38, s31, v8
	v_mad_u64_u32 v[8:9], s[2:3], s30, v8, v[10:11]
	v_add3_u32 v9, v38, v9, v35
	s_waitcnt lgkmcnt(0)
	v_mul_lo_u32 v35, s30, v37
	v_mul_lo_u32 v37, s31, v36
	v_mad_u64_u32 v[10:11], s[2:3], s30, v36, v[10:11]
	v_add3_u32 v11, v37, v11, v35
	s_mov_b64 s[42:43], s[12:13]
                                        ; implicit-def: $sgpr34_sgpr35
                                        ; implicit-def: $sgpr38_sgpr39
                                        ; implicit-def: $sgpr40_sgpr41
                                        ; implicit-def: $sgpr2_sgpr3
                                        ; implicit-def: $sgpr44_sgpr45
	s_branch .LBB751_205
.LBB751_204:                            ;   in Loop: Header=BB751_205 Depth=2
	s_or_b64 exec, exec, s[46:47]
	s_and_b64 s[4:5], exec, s[38:39]
	s_or_b64 s[36:37], s[4:5], s[36:37]
	s_andn2_b64 s[4:5], s[44:45], exec
	s_and_b64 s[44:45], s[40:41], exec
	s_or_b64 s[44:45], s[4:5], s[44:45]
	s_andn2_b64 s[4:5], s[34:35], exec
	s_and_b64 s[34:35], s[2:3], exec
	s_or_b64 s[34:35], s[4:5], s[34:35]
	s_andn2_b64 exec, exec, s[36:37]
	s_cbranch_execz .LBB751_200
.LBB751_205:                            ;   Parent Loop BB751_202 Depth=1
                                        ; =>  This Inner Loop Header: Depth=2
	global_load_dwordx2 v[36:37], v[8:9], off
	global_load_dwordx2 v[38:39], v[10:11], off
	s_andn2_b64 s[46:47], s[2:3], exec
	s_andn2_b64 s[40:41], s[40:41], exec
	s_or_b64 s[38:39], s[38:39], exec
	s_waitcnt vmcnt(0)
	v_cmp_ngt_f64_e64 s[2:3], v[36:37], v[38:39]
	v_cmp_lt_f64_e32 vcc, v[36:37], v[38:39]
	s_and_b64 s[2:3], s[2:3], s[44:45]
	s_or_b64 s[48:49], vcc, s[2:3]
	s_and_b64 s[2:3], s[48:49], exec
	v_cmp_nlg_f64_e64 s[4:5], v[36:37], v[38:39]
	s_or_b64 s[2:3], s[46:47], s[2:3]
	s_and_saveexec_b64 s[46:47], s[4:5]
	s_cbranch_execz .LBB751_204
; %bb.206:                              ;   in Loop: Header=BB751_205 Depth=2
	s_add_u32 s42, s42, -1
	s_addc_u32 s43, s43, -1
	v_add_co_u32_e32 v8, vcc, 8, v8
	s_cmp_eq_u64 s[42:43], 0
	v_addc_co_u32_e32 v9, vcc, 0, v9, vcc
	s_cselect_b64 s[4:5], -1, 0
	v_add_co_u32_e32 v10, vcc, 8, v10
	s_andn2_b64 s[40:41], s[40:41], exec
	s_and_b64 s[44:45], s[48:49], exec
	s_andn2_b64 s[38:39], s[38:39], exec
	s_and_b64 s[4:5], s[4:5], exec
	v_addc_co_u32_e32 v11, vcc, 0, v11, vcc
	s_andn2_b64 s[2:3], s[2:3], exec
	s_or_b64 s[40:41], s[40:41], s[44:45]
	s_or_b64 s[38:39], s[38:39], s[4:5]
                                        ; implicit-def: $sgpr44_sgpr45
	s_branch .LBB751_204
.LBB751_207:
	s_or_b64 exec, exec, s[28:29]
.LBB751_208:
	s_or_b64 exec, exec, s[26:27]
	v_add_u32_e32 v8, v17, v21
	v_add_u32_e32 v16, v19, v20
	v_sub_u32_e32 v20, v8, v19
	v_cmp_le_u32_e32 vcc, v16, v17
	v_cmp_le_u32_e64 s[2:3], v20, v18
	s_or_b64 s[2:3], vcc, s[2:3]
	s_and_saveexec_b64 s[26:27], s[2:3]
	s_cbranch_execz .LBB751_244
; %bb.209:
	v_cmp_ge_u32_e32 vcc, v16, v17
	v_cmp_lt_u32_e64 s[2:3], v16, v17
                                        ; implicit-def: $vgpr0_vgpr1
	s_and_saveexec_b64 s[4:5], s[2:3]
	s_cbranch_execz .LBB751_211
; %bb.210:
	v_lshl_add_u32 v0, v19, 3, v15
	ds_read_b64 v[0:1], v0
.LBB751_211:
	s_or_b64 exec, exec, s[4:5]
	v_cmp_ge_u32_e64 s[2:3], v20, v18
	v_cmp_lt_u32_e64 s[4:5], v20, v18
                                        ; implicit-def: $vgpr4_vgpr5
	s_and_saveexec_b64 s[28:29], s[4:5]
	s_cbranch_execz .LBB751_213
; %bb.212:
	v_lshl_add_u32 v2, v20, 3, v14
	ds_read_b64 v[4:5], v2
.LBB751_213:
	s_or_b64 exec, exec, s[28:29]
	s_or_b64 s[4:5], vcc, s[2:3]
	s_or_b64 s[4:5], s[4:5], s[24:25]
	s_xor_b64 s[28:29], vcc, -1
	s_xor_b64 s[4:5], s[4:5], -1
	s_or_b64 s[28:29], s[2:3], s[28:29]
	s_and_saveexec_b64 s[30:31], s[4:5]
	s_cbranch_execz .LBB751_219
; %bb.214:
	s_waitcnt lgkmcnt(0)
	v_mul_lo_u32 v6, v5, s12
	v_mul_lo_u32 v7, v4, s13
	v_mad_u64_u32 v[2:3], s[2:3], v4, s12, 0
	v_add3_u32 v3, v3, v7, v6
	v_lshlrev_b64 v[2:3], 3, v[2:3]
	v_mov_b32_e32 v6, s15
	v_add_co_u32_e32 v2, vcc, s14, v2
	v_addc_co_u32_e32 v3, vcc, v6, v3, vcc
	v_mul_lo_u32 v8, v1, s12
	v_mul_lo_u32 v9, v0, s13
	v_mad_u64_u32 v[6:7], s[2:3], v0, s12, 0
	v_add3_u32 v7, v7, v9, v8
	v_lshlrev_b64 v[6:7], 3, v[6:7]
	v_mov_b32_e32 v8, s15
	v_add_co_u32_e32 v6, vcc, s14, v6
	v_addc_co_u32_e32 v7, vcc, v8, v7, vcc
	s_mov_b64 s[34:35], 0
	s_mov_b64 s[42:43], s[12:13]
                                        ; implicit-def: $sgpr36_sgpr37
                                        ; implicit-def: $sgpr38_sgpr39
                                        ; implicit-def: $sgpr2_sgpr3
                                        ; implicit-def: $sgpr40_sgpr41
                                        ; implicit-def: $sgpr44_sgpr45
	s_branch .LBB751_216
.LBB751_215:                            ;   in Loop: Header=BB751_216 Depth=1
	s_or_b64 exec, exec, s[46:47]
	s_and_b64 s[4:5], exec, s[38:39]
	s_or_b64 s[34:35], s[4:5], s[34:35]
	s_andn2_b64 s[4:5], s[44:45], exec
	s_and_b64 s[44:45], s[40:41], exec
	s_or_b64 s[44:45], s[4:5], s[44:45]
	s_andn2_b64 s[4:5], s[36:37], exec
	s_and_b64 s[36:37], s[2:3], exec
	s_or_b64 s[36:37], s[4:5], s[36:37]
	s_andn2_b64 exec, exec, s[34:35]
	s_cbranch_execz .LBB751_218
.LBB751_216:                            ; =>This Inner Loop Header: Depth=1
	global_load_dwordx2 v[8:9], v[2:3], off
	global_load_dwordx2 v[10:11], v[6:7], off
	s_andn2_b64 s[46:47], s[2:3], exec
	s_andn2_b64 s[40:41], s[40:41], exec
	s_or_b64 s[38:39], s[38:39], exec
	s_waitcnt vmcnt(0)
	v_cmp_ngt_f64_e64 s[2:3], v[8:9], v[10:11]
	v_cmp_lt_f64_e32 vcc, v[8:9], v[10:11]
	s_and_b64 s[2:3], s[2:3], s[44:45]
	s_or_b64 s[48:49], vcc, s[2:3]
	s_and_b64 s[2:3], s[48:49], exec
	v_cmp_nlg_f64_e64 s[4:5], v[8:9], v[10:11]
	s_or_b64 s[2:3], s[46:47], s[2:3]
	s_and_saveexec_b64 s[46:47], s[4:5]
	s_cbranch_execz .LBB751_215
; %bb.217:                              ;   in Loop: Header=BB751_216 Depth=1
	s_add_u32 s42, s42, -1
	s_addc_u32 s43, s43, -1
	v_add_co_u32_e32 v2, vcc, 8, v2
	s_cmp_eq_u64 s[42:43], 0
	v_addc_co_u32_e32 v3, vcc, 0, v3, vcc
	s_cselect_b64 s[4:5], -1, 0
	v_add_co_u32_e32 v6, vcc, 8, v6
	s_andn2_b64 s[40:41], s[40:41], exec
	s_and_b64 s[44:45], s[48:49], exec
	s_andn2_b64 s[38:39], s[38:39], exec
	s_and_b64 s[4:5], s[4:5], exec
	v_addc_co_u32_e32 v7, vcc, 0, v7, vcc
	s_or_b64 s[40:41], s[40:41], s[44:45]
	s_andn2_b64 s[2:3], s[2:3], exec
	s_or_b64 s[38:39], s[38:39], s[4:5]
                                        ; implicit-def: $sgpr44_sgpr45
	s_branch .LBB751_215
.LBB751_218:
	s_or_b64 exec, exec, s[34:35]
	s_xor_b64 s[2:3], s[36:37], -1
	s_andn2_b64 s[4:5], s[28:29], exec
	s_and_b64 s[2:3], s[2:3], exec
	s_or_b64 s[28:29], s[4:5], s[2:3]
.LBB751_219:
	s_or_b64 exec, exec, s[30:31]
	v_cndmask_b32_e64 v2, v20, v16, s[28:29]
	v_cndmask_b32_e64 v3, v18, v17, s[28:29]
	v_add_u32_e32 v6, 1, v2
	v_add_u32_e32 v2, -1, v3
	v_min_u32_e32 v2, v6, v2
	v_lshl_add_u32 v2, v2, 3, v14
	ds_read_b64 v[2:3], v2
	v_cndmask_b32_e64 v19, v6, v20, s[28:29]
	v_cndmask_b32_e64 v34, v16, v6, s[28:29]
	v_cmp_lt_u32_e32 vcc, v19, v18
	s_mov_b64 s[30:31], -1
	s_waitcnt lgkmcnt(0)
	v_cndmask_b32_e64 v8, v3, v5, s[28:29]
	v_cndmask_b32_e64 v9, v2, v4, s[28:29]
	;; [unrolled: 1-line block ×4, first 2 shown]
	s_mov_b64 s[34:35], -1
	s_and_saveexec_b64 s[36:37], vcc
	s_cbranch_execz .LBB751_227
; %bb.220:
	v_cmp_lt_u32_e64 s[34:35], v34, v17
	s_xor_b64 s[2:3], s[24:25], -1
	s_and_b64 s[2:3], s[34:35], s[2:3]
	s_and_saveexec_b64 s[38:39], s[2:3]
	s_cbranch_execz .LBB751_226
; %bb.221:
	v_mul_lo_u32 v6, v8, s12
	v_mul_lo_u32 v7, v9, s13
	v_mad_u64_u32 v[2:3], s[2:3], v9, s12, 0
	v_add3_u32 v3, v3, v7, v6
	v_lshlrev_b64 v[2:3], 3, v[2:3]
	v_mov_b32_e32 v6, s15
	v_add_co_u32_e32 v2, vcc, s14, v2
	v_addc_co_u32_e32 v3, vcc, v6, v3, vcc
	v_mul_lo_u32 v15, v10, s12
	v_mul_lo_u32 v16, v11, s13
	v_mad_u64_u32 v[6:7], s[2:3], v11, s12, 0
	v_add3_u32 v7, v7, v16, v15
	v_lshlrev_b64 v[6:7], 3, v[6:7]
	v_mov_b32_e32 v15, s15
	v_add_co_u32_e32 v6, vcc, s14, v6
	v_addc_co_u32_e32 v7, vcc, v15, v7, vcc
	s_mov_b64 s[40:41], 0
	s_mov_b64 s[48:49], s[12:13]
                                        ; implicit-def: $sgpr42_sgpr43
                                        ; implicit-def: $sgpr44_sgpr45
                                        ; implicit-def: $sgpr2_sgpr3
                                        ; implicit-def: $sgpr46_sgpr47
                                        ; implicit-def: $sgpr50_sgpr51
	s_branch .LBB751_223
.LBB751_222:                            ;   in Loop: Header=BB751_223 Depth=1
	s_or_b64 exec, exec, s[52:53]
	s_and_b64 s[4:5], exec, s[44:45]
	s_or_b64 s[40:41], s[4:5], s[40:41]
	s_andn2_b64 s[4:5], s[50:51], exec
	s_and_b64 s[50:51], s[46:47], exec
	s_or_b64 s[50:51], s[4:5], s[50:51]
	s_andn2_b64 s[4:5], s[42:43], exec
	s_and_b64 s[42:43], s[2:3], exec
	s_or_b64 s[42:43], s[4:5], s[42:43]
	s_andn2_b64 exec, exec, s[40:41]
	s_cbranch_execz .LBB751_225
.LBB751_223:                            ; =>This Inner Loop Header: Depth=1
	global_load_dwordx2 v[20:21], v[2:3], off
	global_load_dwordx2 v[36:37], v[6:7], off
	s_andn2_b64 s[52:53], s[2:3], exec
	s_andn2_b64 s[46:47], s[46:47], exec
	s_or_b64 s[44:45], s[44:45], exec
	s_waitcnt vmcnt(0)
	v_cmp_ngt_f64_e64 s[2:3], v[20:21], v[36:37]
	v_cmp_lt_f64_e32 vcc, v[20:21], v[36:37]
	s_and_b64 s[2:3], s[2:3], s[50:51]
	s_or_b64 s[54:55], vcc, s[2:3]
	s_and_b64 s[2:3], s[54:55], exec
	v_cmp_nlg_f64_e64 s[4:5], v[20:21], v[36:37]
	s_or_b64 s[2:3], s[52:53], s[2:3]
	s_and_saveexec_b64 s[52:53], s[4:5]
	s_cbranch_execz .LBB751_222
; %bb.224:                              ;   in Loop: Header=BB751_223 Depth=1
	s_add_u32 s48, s48, -1
	s_addc_u32 s49, s49, -1
	v_add_co_u32_e32 v2, vcc, 8, v2
	s_cmp_eq_u64 s[48:49], 0
	v_addc_co_u32_e32 v3, vcc, 0, v3, vcc
	s_cselect_b64 s[4:5], -1, 0
	v_add_co_u32_e32 v6, vcc, 8, v6
	s_andn2_b64 s[46:47], s[46:47], exec
	s_and_b64 s[50:51], s[54:55], exec
	s_andn2_b64 s[44:45], s[44:45], exec
	s_and_b64 s[4:5], s[4:5], exec
	v_addc_co_u32_e32 v7, vcc, 0, v7, vcc
	s_or_b64 s[46:47], s[46:47], s[50:51]
	s_andn2_b64 s[2:3], s[2:3], exec
	s_or_b64 s[44:45], s[44:45], s[4:5]
                                        ; implicit-def: $sgpr50_sgpr51
	s_branch .LBB751_222
.LBB751_225:
	s_or_b64 exec, exec, s[40:41]
	s_xor_b64 s[2:3], s[42:43], -1
	s_andn2_b64 s[4:5], s[34:35], exec
	s_and_b64 s[2:3], s[2:3], exec
	s_or_b64 s[34:35], s[4:5], s[2:3]
.LBB751_226:
	s_or_b64 exec, exec, s[38:39]
	s_orn2_b64 s[34:35], s[34:35], exec
.LBB751_227:
	s_or_b64 exec, exec, s[36:37]
	v_cndmask_b32_e64 v2, v19, v34, s[34:35]
	v_cndmask_b32_e64 v3, v18, v17, s[34:35]
	v_add_u32_e32 v6, 1, v2
	v_add_u32_e32 v2, -1, v3
	v_min_u32_e32 v2, v6, v2
	v_lshl_add_u32 v2, v2, 3, v14
	ds_read_b64 v[2:3], v2
	v_cndmask_b32_e64 v20, v6, v19, s[34:35]
	v_cndmask_b32_e64 v19, v34, v6, s[34:35]
	v_cmp_lt_u32_e32 vcc, v20, v18
	s_waitcnt lgkmcnt(0)
	v_cndmask_b32_e64 v15, v3, v8, s[34:35]
	v_cndmask_b32_e64 v16, v2, v9, s[34:35]
	;; [unrolled: 1-line block ×4, first 2 shown]
	s_and_saveexec_b64 s[36:37], vcc
	s_cbranch_execz .LBB751_235
; %bb.228:
	v_cmp_lt_u32_e64 s[30:31], v19, v17
	s_xor_b64 s[2:3], s[24:25], -1
	s_and_b64 s[2:3], s[30:31], s[2:3]
	s_and_saveexec_b64 s[38:39], s[2:3]
	s_cbranch_execz .LBB751_234
; %bb.229:
	v_mul_lo_u32 v6, v15, s12
	v_mul_lo_u32 v7, v16, s13
	v_mad_u64_u32 v[2:3], s[2:3], v16, s12, 0
	v_add3_u32 v3, v3, v7, v6
	v_lshlrev_b64 v[2:3], 3, v[2:3]
	v_mov_b32_e32 v6, s15
	v_add_co_u32_e32 v2, vcc, s14, v2
	v_addc_co_u32_e32 v3, vcc, v6, v3, vcc
	v_mul_lo_u32 v34, v21, s12
	v_mul_lo_u32 v35, v33, s13
	v_mad_u64_u32 v[6:7], s[2:3], v33, s12, 0
	v_add3_u32 v7, v7, v35, v34
	v_lshlrev_b64 v[6:7], 3, v[6:7]
	v_mov_b32_e32 v34, s15
	v_add_co_u32_e32 v6, vcc, s14, v6
	v_addc_co_u32_e32 v7, vcc, v34, v7, vcc
	s_mov_b64 s[40:41], 0
	s_mov_b64 s[48:49], s[12:13]
                                        ; implicit-def: $sgpr42_sgpr43
                                        ; implicit-def: $sgpr44_sgpr45
                                        ; implicit-def: $sgpr2_sgpr3
                                        ; implicit-def: $sgpr46_sgpr47
                                        ; implicit-def: $sgpr50_sgpr51
	s_branch .LBB751_231
.LBB751_230:                            ;   in Loop: Header=BB751_231 Depth=1
	s_or_b64 exec, exec, s[52:53]
	s_and_b64 s[4:5], exec, s[44:45]
	s_or_b64 s[40:41], s[4:5], s[40:41]
	s_andn2_b64 s[4:5], s[50:51], exec
	s_and_b64 s[50:51], s[46:47], exec
	s_or_b64 s[50:51], s[4:5], s[50:51]
	s_andn2_b64 s[4:5], s[42:43], exec
	s_and_b64 s[42:43], s[2:3], exec
	s_or_b64 s[42:43], s[4:5], s[42:43]
	s_andn2_b64 exec, exec, s[40:41]
	s_cbranch_execz .LBB751_233
.LBB751_231:                            ; =>This Inner Loop Header: Depth=1
	global_load_dwordx2 v[34:35], v[2:3], off
	global_load_dwordx2 v[36:37], v[6:7], off
	s_andn2_b64 s[52:53], s[2:3], exec
	s_andn2_b64 s[46:47], s[46:47], exec
	s_or_b64 s[44:45], s[44:45], exec
	s_waitcnt vmcnt(0)
	v_cmp_ngt_f64_e64 s[2:3], v[34:35], v[36:37]
	v_cmp_lt_f64_e32 vcc, v[34:35], v[36:37]
	s_and_b64 s[2:3], s[2:3], s[50:51]
	s_or_b64 s[54:55], vcc, s[2:3]
	s_and_b64 s[2:3], s[54:55], exec
	v_cmp_nlg_f64_e64 s[4:5], v[34:35], v[36:37]
	s_or_b64 s[2:3], s[52:53], s[2:3]
	s_and_saveexec_b64 s[52:53], s[4:5]
	s_cbranch_execz .LBB751_230
; %bb.232:                              ;   in Loop: Header=BB751_231 Depth=1
	s_add_u32 s48, s48, -1
	s_addc_u32 s49, s49, -1
	v_add_co_u32_e32 v2, vcc, 8, v2
	s_cmp_eq_u64 s[48:49], 0
	v_addc_co_u32_e32 v3, vcc, 0, v3, vcc
	s_cselect_b64 s[4:5], -1, 0
	v_add_co_u32_e32 v6, vcc, 8, v6
	s_andn2_b64 s[46:47], s[46:47], exec
	s_and_b64 s[50:51], s[54:55], exec
	s_andn2_b64 s[44:45], s[44:45], exec
	s_and_b64 s[4:5], s[4:5], exec
	v_addc_co_u32_e32 v7, vcc, 0, v7, vcc
	s_or_b64 s[46:47], s[46:47], s[50:51]
	s_andn2_b64 s[2:3], s[2:3], exec
	s_or_b64 s[44:45], s[44:45], s[4:5]
                                        ; implicit-def: $sgpr50_sgpr51
	s_branch .LBB751_230
.LBB751_233:
	s_or_b64 exec, exec, s[40:41]
	s_xor_b64 s[2:3], s[42:43], -1
	s_andn2_b64 s[4:5], s[30:31], exec
	s_and_b64 s[2:3], s[2:3], exec
	s_or_b64 s[30:31], s[4:5], s[2:3]
.LBB751_234:
	s_or_b64 exec, exec, s[38:39]
	s_orn2_b64 s[30:31], s[30:31], exec
.LBB751_235:
	s_or_b64 exec, exec, s[36:37]
	v_cndmask_b32_e64 v6, v20, v19, s[30:31]
	v_cndmask_b32_e64 v7, v18, v17, s[30:31]
	;; [unrolled: 1-line block ×3, first 2 shown]
	v_add_u32_e32 v10, 1, v6
	v_add_u32_e32 v6, -1, v7
	v_min_u32_e32 v6, v10, v6
	v_lshl_add_u32 v6, v6, 3, v14
	v_cndmask_b32_e64 v2, v9, v11, s[34:35]
	ds_read_b64 v[8:9], v6
	v_cndmask_b32_e64 v11, v10, v20, s[30:31]
	v_cndmask_b32_e64 v1, v5, v1, s[28:29]
	;; [unrolled: 1-line block ×5, first 2 shown]
	s_waitcnt lgkmcnt(0)
	v_cndmask_b32_e64 v7, v21, v9, s[30:31]
	v_cndmask_b32_e64 v6, v33, v8, s[30:31]
	v_cmp_lt_u32_e32 vcc, v11, v18
	s_and_saveexec_b64 s[28:29], vcc
	s_cbranch_execz .LBB751_243
; %bb.236:
	v_cndmask_b32_e64 v14, v9, v15, s[30:31]
	v_cndmask_b32_e64 v15, v8, v16, s[30:31]
	;; [unrolled: 1-line block ×3, first 2 shown]
	v_cmp_ge_u32_e32 vcc, v8, v17
	s_or_b64 s[2:3], vcc, s[24:25]
	v_cndmask_b32_e32 v9, v7, v14, vcc
	s_xor_b64 s[2:3], s[2:3], -1
	v_cndmask_b32_e32 v8, v6, v15, vcc
	s_and_saveexec_b64 s[30:31], s[2:3]
	s_cbranch_execz .LBB751_242
; %bb.237:
	v_mul_lo_u32 v10, v14, s12
	v_mul_lo_u32 v11, v15, s13
	v_mad_u64_u32 v[8:9], s[2:3], v15, s12, 0
	v_add3_u32 v9, v9, v11, v10
	v_lshlrev_b64 v[8:9], 3, v[8:9]
	v_mov_b32_e32 v10, s15
	v_add_co_u32_e32 v8, vcc, s14, v8
	v_addc_co_u32_e32 v9, vcc, v10, v9, vcc
	v_mul_lo_u32 v16, v7, s12
	v_mul_lo_u32 v17, v6, s13
	v_mad_u64_u32 v[10:11], s[2:3], v6, s12, 0
	v_add3_u32 v11, v11, v17, v16
	v_lshlrev_b64 v[10:11], 3, v[10:11]
	v_mov_b32_e32 v16, s15
	v_add_co_u32_e32 v10, vcc, s14, v10
	v_addc_co_u32_e32 v11, vcc, v16, v11, vcc
	s_mov_b64 s[34:35], 0
	s_mov_b64 s[42:43], s[12:13]
                                        ; implicit-def: $sgpr36_sgpr37
                                        ; implicit-def: $sgpr38_sgpr39
                                        ; implicit-def: $sgpr2_sgpr3
                                        ; implicit-def: $sgpr40_sgpr41
                                        ; implicit-def: $sgpr44_sgpr45
	s_branch .LBB751_239
.LBB751_238:                            ;   in Loop: Header=BB751_239 Depth=1
	s_or_b64 exec, exec, s[46:47]
	s_and_b64 s[4:5], exec, s[38:39]
	s_or_b64 s[34:35], s[4:5], s[34:35]
	s_andn2_b64 s[4:5], s[44:45], exec
	s_and_b64 s[44:45], s[40:41], exec
	s_or_b64 s[44:45], s[4:5], s[44:45]
	s_andn2_b64 s[4:5], s[36:37], exec
	s_and_b64 s[36:37], s[2:3], exec
	s_or_b64 s[36:37], s[4:5], s[36:37]
	s_andn2_b64 exec, exec, s[34:35]
	s_cbranch_execz .LBB751_241
.LBB751_239:                            ; =>This Inner Loop Header: Depth=1
	global_load_dwordx2 v[16:17], v[8:9], off
	global_load_dwordx2 v[18:19], v[10:11], off
	s_andn2_b64 s[46:47], s[2:3], exec
	s_andn2_b64 s[40:41], s[40:41], exec
	s_or_b64 s[38:39], s[38:39], exec
	s_waitcnt vmcnt(0)
	v_cmp_ngt_f64_e64 s[2:3], v[16:17], v[18:19]
	v_cmp_lt_f64_e32 vcc, v[16:17], v[18:19]
	s_and_b64 s[2:3], s[2:3], s[44:45]
	s_or_b64 s[48:49], vcc, s[2:3]
	s_and_b64 s[2:3], s[48:49], exec
	v_cmp_nlg_f64_e64 s[4:5], v[16:17], v[18:19]
	s_or_b64 s[2:3], s[46:47], s[2:3]
	s_and_saveexec_b64 s[46:47], s[4:5]
	s_cbranch_execz .LBB751_238
; %bb.240:                              ;   in Loop: Header=BB751_239 Depth=1
	s_add_u32 s42, s42, -1
	s_addc_u32 s43, s43, -1
	v_add_co_u32_e32 v8, vcc, 8, v8
	s_cmp_eq_u64 s[42:43], 0
	v_addc_co_u32_e32 v9, vcc, 0, v9, vcc
	s_cselect_b64 s[4:5], -1, 0
	v_add_co_u32_e32 v10, vcc, 8, v10
	s_andn2_b64 s[40:41], s[40:41], exec
	s_and_b64 s[44:45], s[48:49], exec
	s_andn2_b64 s[38:39], s[38:39], exec
	s_and_b64 s[4:5], s[4:5], exec
	v_addc_co_u32_e32 v11, vcc, 0, v11, vcc
	s_or_b64 s[40:41], s[40:41], s[44:45]
	s_andn2_b64 s[2:3], s[2:3], exec
	s_or_b64 s[38:39], s[38:39], s[4:5]
                                        ; implicit-def: $sgpr44_sgpr45
	s_branch .LBB751_238
.LBB751_241:
	s_or_b64 exec, exec, s[34:35]
	v_cndmask_b32_e64 v9, v7, v14, s[36:37]
	v_cndmask_b32_e64 v8, v6, v15, s[36:37]
.LBB751_242:
	s_or_b64 exec, exec, s[30:31]
	v_pk_mov_b32 v[6:7], v[8:9], v[8:9] op_sel:[0,1]
.LBB751_243:
	s_or_b64 exec, exec, s[28:29]
.LBB751_244:
	s_or_b64 exec, exec, s[26:27]
	v_and_b32_e32 v17, 0xf80, v23
	v_or_b32_e32 v8, 64, v17
	v_min_u32_e32 v15, 0x400, v8
	v_min_u32_e32 v8, 0x3c0, v8
	v_add_u32_e32 v16, 64, v8
	v_and_b32_e32 v19, 0x7c, v23
	v_sub_u32_e32 v8, v15, v17
	v_sub_u32_e32 v9, v16, v15
	v_sub_u32_e64 v20, v19, v9 clamp
	v_min_u32_e32 v21, v19, v8
	v_lshlrev_b32_e32 v14, 3, v23
	v_lshlrev_b32_e32 v18, 3, v17
	v_cmp_lt_u32_e32 vcc, v20, v21
	; wave barrier
	s_waitcnt lgkmcnt(0)
	s_barrier
	ds_write_b128 v14, v[0:3]
	ds_write_b128 v14, v[4:7] offset:16
	s_waitcnt lgkmcnt(0)
	s_barrier
	s_and_saveexec_b64 s[26:27], vcc
	s_cbranch_execz .LBB751_254
; %bb.245:
	v_lshlrev_b32_e32 v8, 3, v19
	v_lshl_add_u32 v33, v15, 3, v8
	s_lshl_b64 s[30:31], s[12:13], 3
	s_mov_b64 s[28:29], 0
	s_branch .LBB751_248
.LBB751_246:                            ;   in Loop: Header=BB751_248 Depth=1
	s_or_b64 exec, exec, s[36:37]
.LBB751_247:                            ;   in Loop: Header=BB751_248 Depth=1
	v_add_u32_e32 v8, 1, v34
	v_cndmask_b32_e64 v21, v21, v34, s[34:35]
	v_cndmask_b32_e64 v20, v8, v20, s[34:35]
	v_cmp_ge_u32_e32 vcc, v20, v21
	s_or_b64 s[28:29], vcc, s[28:29]
	s_andn2_b64 exec, exec, s[28:29]
	s_cbranch_execz .LBB751_253
.LBB751_248:                            ; =>This Loop Header: Depth=1
                                        ;     Child Loop BB751_251 Depth 2
	v_add_u32_e32 v8, v21, v20
	v_lshrrev_b32_e32 v34, 1, v8
	s_and_b64 vcc, exec, s[0:1]
	s_mov_b64 s[34:35], 0
	s_cbranch_vccnz .LBB751_247
; %bb.249:                              ;   in Loop: Header=BB751_248 Depth=1
	v_not_b32_e32 v8, v34
	v_lshl_add_u32 v8, v8, 3, v33
	ds_read_b64 v[8:9], v8
	v_lshl_add_u32 v35, v34, 3, v18
	ds_read_b64 v[36:37], v35
	v_pk_mov_b32 v[10:11], s[14:15], s[14:15] op_sel:[0,1]
	s_mov_b64 s[36:37], 0
	s_waitcnt lgkmcnt(1)
	v_mul_lo_u32 v35, s30, v9
	v_mul_lo_u32 v38, s31, v8
	v_mad_u64_u32 v[8:9], s[2:3], s30, v8, v[10:11]
	v_add3_u32 v9, v38, v9, v35
	s_waitcnt lgkmcnt(0)
	v_mul_lo_u32 v35, s30, v37
	v_mul_lo_u32 v37, s31, v36
	v_mad_u64_u32 v[10:11], s[2:3], s30, v36, v[10:11]
	v_add3_u32 v11, v37, v11, v35
	s_mov_b64 s[42:43], s[12:13]
                                        ; implicit-def: $sgpr34_sgpr35
                                        ; implicit-def: $sgpr38_sgpr39
                                        ; implicit-def: $sgpr40_sgpr41
                                        ; implicit-def: $sgpr2_sgpr3
                                        ; implicit-def: $sgpr44_sgpr45
	s_branch .LBB751_251
.LBB751_250:                            ;   in Loop: Header=BB751_251 Depth=2
	s_or_b64 exec, exec, s[46:47]
	s_and_b64 s[4:5], exec, s[38:39]
	s_or_b64 s[36:37], s[4:5], s[36:37]
	s_andn2_b64 s[4:5], s[44:45], exec
	s_and_b64 s[44:45], s[40:41], exec
	s_or_b64 s[44:45], s[4:5], s[44:45]
	s_andn2_b64 s[4:5], s[34:35], exec
	s_and_b64 s[34:35], s[2:3], exec
	s_or_b64 s[34:35], s[4:5], s[34:35]
	s_andn2_b64 exec, exec, s[36:37]
	s_cbranch_execz .LBB751_246
.LBB751_251:                            ;   Parent Loop BB751_248 Depth=1
                                        ; =>  This Inner Loop Header: Depth=2
	global_load_dwordx2 v[36:37], v[8:9], off
	global_load_dwordx2 v[38:39], v[10:11], off
	s_andn2_b64 s[46:47], s[2:3], exec
	s_andn2_b64 s[40:41], s[40:41], exec
	s_or_b64 s[38:39], s[38:39], exec
	s_waitcnt vmcnt(0)
	v_cmp_ngt_f64_e64 s[2:3], v[36:37], v[38:39]
	v_cmp_lt_f64_e32 vcc, v[36:37], v[38:39]
	s_and_b64 s[2:3], s[2:3], s[44:45]
	s_or_b64 s[48:49], vcc, s[2:3]
	s_and_b64 s[2:3], s[48:49], exec
	v_cmp_nlg_f64_e64 s[4:5], v[36:37], v[38:39]
	s_or_b64 s[2:3], s[46:47], s[2:3]
	s_and_saveexec_b64 s[46:47], s[4:5]
	s_cbranch_execz .LBB751_250
; %bb.252:                              ;   in Loop: Header=BB751_251 Depth=2
	s_add_u32 s42, s42, -1
	s_addc_u32 s43, s43, -1
	v_add_co_u32_e32 v8, vcc, 8, v8
	s_cmp_eq_u64 s[42:43], 0
	v_addc_co_u32_e32 v9, vcc, 0, v9, vcc
	s_cselect_b64 s[4:5], -1, 0
	v_add_co_u32_e32 v10, vcc, 8, v10
	s_andn2_b64 s[40:41], s[40:41], exec
	s_and_b64 s[44:45], s[48:49], exec
	s_andn2_b64 s[38:39], s[38:39], exec
	s_and_b64 s[4:5], s[4:5], exec
	v_addc_co_u32_e32 v11, vcc, 0, v11, vcc
	s_andn2_b64 s[2:3], s[2:3], exec
	s_or_b64 s[40:41], s[40:41], s[44:45]
	s_or_b64 s[38:39], s[38:39], s[4:5]
                                        ; implicit-def: $sgpr44_sgpr45
	s_branch .LBB751_250
.LBB751_253:
	s_or_b64 exec, exec, s[28:29]
.LBB751_254:
	s_or_b64 exec, exec, s[26:27]
	v_sub_u32_e32 v8, v19, v20
	v_add_u32_e32 v17, v20, v17
	v_add_u32_e32 v19, v8, v15
	v_cmp_le_u32_e32 vcc, v17, v15
	v_cmp_le_u32_e64 s[2:3], v19, v16
	s_or_b64 s[2:3], vcc, s[2:3]
	s_and_saveexec_b64 s[26:27], s[2:3]
	s_cbranch_execz .LBB751_290
; %bb.255:
	v_cmp_ge_u32_e32 vcc, v17, v15
	v_cmp_lt_u32_e64 s[2:3], v17, v15
                                        ; implicit-def: $vgpr0_vgpr1
	s_and_saveexec_b64 s[4:5], s[2:3]
	s_cbranch_execz .LBB751_257
; %bb.256:
	v_lshl_add_u32 v0, v20, 3, v18
	ds_read_b64 v[0:1], v0
.LBB751_257:
	s_or_b64 exec, exec, s[4:5]
	v_cmp_ge_u32_e64 s[2:3], v19, v16
	v_cmp_lt_u32_e64 s[4:5], v19, v16
                                        ; implicit-def: $vgpr4_vgpr5
	s_and_saveexec_b64 s[28:29], s[4:5]
	s_cbranch_execz .LBB751_259
; %bb.258:
	v_lshlrev_b32_e32 v2, 3, v19
	ds_read_b64 v[4:5], v2
.LBB751_259:
	s_or_b64 exec, exec, s[28:29]
	s_or_b64 s[4:5], vcc, s[2:3]
	s_or_b64 s[4:5], s[4:5], s[24:25]
	s_xor_b64 s[28:29], vcc, -1
	s_xor_b64 s[4:5], s[4:5], -1
	s_or_b64 s[28:29], s[2:3], s[28:29]
	s_and_saveexec_b64 s[30:31], s[4:5]
	s_cbranch_execz .LBB751_265
; %bb.260:
	s_waitcnt lgkmcnt(0)
	v_mul_lo_u32 v6, v5, s12
	v_mul_lo_u32 v7, v4, s13
	v_mad_u64_u32 v[2:3], s[2:3], v4, s12, 0
	v_add3_u32 v3, v3, v7, v6
	v_lshlrev_b64 v[2:3], 3, v[2:3]
	v_mov_b32_e32 v6, s15
	v_add_co_u32_e32 v2, vcc, s14, v2
	v_addc_co_u32_e32 v3, vcc, v6, v3, vcc
	v_mul_lo_u32 v8, v1, s12
	v_mul_lo_u32 v9, v0, s13
	v_mad_u64_u32 v[6:7], s[2:3], v0, s12, 0
	v_add3_u32 v7, v7, v9, v8
	v_lshlrev_b64 v[6:7], 3, v[6:7]
	v_mov_b32_e32 v8, s15
	v_add_co_u32_e32 v6, vcc, s14, v6
	v_addc_co_u32_e32 v7, vcc, v8, v7, vcc
	s_mov_b64 s[34:35], 0
	s_mov_b64 s[42:43], s[12:13]
                                        ; implicit-def: $sgpr36_sgpr37
                                        ; implicit-def: $sgpr38_sgpr39
                                        ; implicit-def: $sgpr2_sgpr3
                                        ; implicit-def: $sgpr40_sgpr41
                                        ; implicit-def: $sgpr44_sgpr45
	s_branch .LBB751_262
.LBB751_261:                            ;   in Loop: Header=BB751_262 Depth=1
	s_or_b64 exec, exec, s[46:47]
	s_and_b64 s[4:5], exec, s[38:39]
	s_or_b64 s[34:35], s[4:5], s[34:35]
	s_andn2_b64 s[4:5], s[44:45], exec
	s_and_b64 s[44:45], s[40:41], exec
	s_or_b64 s[44:45], s[4:5], s[44:45]
	s_andn2_b64 s[4:5], s[36:37], exec
	s_and_b64 s[36:37], s[2:3], exec
	s_or_b64 s[36:37], s[4:5], s[36:37]
	s_andn2_b64 exec, exec, s[34:35]
	s_cbranch_execz .LBB751_264
.LBB751_262:                            ; =>This Inner Loop Header: Depth=1
	global_load_dwordx2 v[8:9], v[2:3], off
	global_load_dwordx2 v[10:11], v[6:7], off
	s_andn2_b64 s[46:47], s[2:3], exec
	s_andn2_b64 s[40:41], s[40:41], exec
	s_or_b64 s[38:39], s[38:39], exec
	s_waitcnt vmcnt(0)
	v_cmp_ngt_f64_e64 s[2:3], v[8:9], v[10:11]
	v_cmp_lt_f64_e32 vcc, v[8:9], v[10:11]
	s_and_b64 s[2:3], s[2:3], s[44:45]
	s_or_b64 s[48:49], vcc, s[2:3]
	s_and_b64 s[2:3], s[48:49], exec
	v_cmp_nlg_f64_e64 s[4:5], v[8:9], v[10:11]
	s_or_b64 s[2:3], s[46:47], s[2:3]
	s_and_saveexec_b64 s[46:47], s[4:5]
	s_cbranch_execz .LBB751_261
; %bb.263:                              ;   in Loop: Header=BB751_262 Depth=1
	s_add_u32 s42, s42, -1
	s_addc_u32 s43, s43, -1
	v_add_co_u32_e32 v2, vcc, 8, v2
	s_cmp_eq_u64 s[42:43], 0
	v_addc_co_u32_e32 v3, vcc, 0, v3, vcc
	s_cselect_b64 s[4:5], -1, 0
	v_add_co_u32_e32 v6, vcc, 8, v6
	s_andn2_b64 s[40:41], s[40:41], exec
	s_and_b64 s[44:45], s[48:49], exec
	s_andn2_b64 s[38:39], s[38:39], exec
	s_and_b64 s[4:5], s[4:5], exec
	v_addc_co_u32_e32 v7, vcc, 0, v7, vcc
	s_or_b64 s[40:41], s[40:41], s[44:45]
	s_andn2_b64 s[2:3], s[2:3], exec
	s_or_b64 s[38:39], s[38:39], s[4:5]
                                        ; implicit-def: $sgpr44_sgpr45
	s_branch .LBB751_261
.LBB751_264:
	s_or_b64 exec, exec, s[34:35]
	s_xor_b64 s[2:3], s[36:37], -1
	s_andn2_b64 s[4:5], s[28:29], exec
	s_and_b64 s[2:3], s[2:3], exec
	s_or_b64 s[28:29], s[4:5], s[2:3]
.LBB751_265:
	s_or_b64 exec, exec, s[30:31]
	v_cndmask_b32_e64 v2, v19, v17, s[28:29]
	v_cndmask_b32_e64 v3, v16, v15, s[28:29]
	v_add_u32_e32 v6, 1, v2
	v_add_u32_e32 v2, -1, v3
	v_min_u32_e32 v2, v6, v2
	v_lshlrev_b32_e32 v2, 3, v2
	ds_read_b64 v[2:3], v2
	v_cndmask_b32_e64 v19, v6, v19, s[28:29]
	v_cndmask_b32_e64 v34, v17, v6, s[28:29]
	v_cmp_lt_u32_e32 vcc, v19, v16
	s_mov_b64 s[30:31], -1
	s_waitcnt lgkmcnt(0)
	v_cndmask_b32_e64 v8, v3, v5, s[28:29]
	v_cndmask_b32_e64 v9, v2, v4, s[28:29]
	;; [unrolled: 1-line block ×4, first 2 shown]
	s_mov_b64 s[34:35], -1
	s_and_saveexec_b64 s[36:37], vcc
	s_cbranch_execz .LBB751_273
; %bb.266:
	v_cmp_lt_u32_e64 s[34:35], v34, v15
	s_xor_b64 s[2:3], s[24:25], -1
	s_and_b64 s[2:3], s[34:35], s[2:3]
	s_and_saveexec_b64 s[38:39], s[2:3]
	s_cbranch_execz .LBB751_272
; %bb.267:
	v_mul_lo_u32 v6, v8, s12
	v_mul_lo_u32 v7, v9, s13
	v_mad_u64_u32 v[2:3], s[2:3], v9, s12, 0
	v_add3_u32 v3, v3, v7, v6
	v_lshlrev_b64 v[2:3], 3, v[2:3]
	v_mov_b32_e32 v6, s15
	v_add_co_u32_e32 v2, vcc, s14, v2
	v_addc_co_u32_e32 v3, vcc, v6, v3, vcc
	v_mul_lo_u32 v17, v10, s12
	v_mul_lo_u32 v18, v11, s13
	v_mad_u64_u32 v[6:7], s[2:3], v11, s12, 0
	v_add3_u32 v7, v7, v18, v17
	v_lshlrev_b64 v[6:7], 3, v[6:7]
	v_mov_b32_e32 v17, s15
	v_add_co_u32_e32 v6, vcc, s14, v6
	v_addc_co_u32_e32 v7, vcc, v17, v7, vcc
	s_mov_b64 s[40:41], 0
	s_mov_b64 s[48:49], s[12:13]
                                        ; implicit-def: $sgpr42_sgpr43
                                        ; implicit-def: $sgpr44_sgpr45
                                        ; implicit-def: $sgpr2_sgpr3
                                        ; implicit-def: $sgpr46_sgpr47
                                        ; implicit-def: $sgpr50_sgpr51
	s_branch .LBB751_269
.LBB751_268:                            ;   in Loop: Header=BB751_269 Depth=1
	s_or_b64 exec, exec, s[52:53]
	s_and_b64 s[4:5], exec, s[44:45]
	s_or_b64 s[40:41], s[4:5], s[40:41]
	s_andn2_b64 s[4:5], s[50:51], exec
	s_and_b64 s[50:51], s[46:47], exec
	s_or_b64 s[50:51], s[4:5], s[50:51]
	s_andn2_b64 s[4:5], s[42:43], exec
	s_and_b64 s[42:43], s[2:3], exec
	s_or_b64 s[42:43], s[4:5], s[42:43]
	s_andn2_b64 exec, exec, s[40:41]
	s_cbranch_execz .LBB751_271
.LBB751_269:                            ; =>This Inner Loop Header: Depth=1
	global_load_dwordx2 v[20:21], v[2:3], off
	global_load_dwordx2 v[36:37], v[6:7], off
	s_andn2_b64 s[52:53], s[2:3], exec
	s_andn2_b64 s[46:47], s[46:47], exec
	s_or_b64 s[44:45], s[44:45], exec
	s_waitcnt vmcnt(0)
	v_cmp_ngt_f64_e64 s[2:3], v[20:21], v[36:37]
	v_cmp_lt_f64_e32 vcc, v[20:21], v[36:37]
	s_and_b64 s[2:3], s[2:3], s[50:51]
	s_or_b64 s[54:55], vcc, s[2:3]
	s_and_b64 s[2:3], s[54:55], exec
	v_cmp_nlg_f64_e64 s[4:5], v[20:21], v[36:37]
	s_or_b64 s[2:3], s[52:53], s[2:3]
	s_and_saveexec_b64 s[52:53], s[4:5]
	s_cbranch_execz .LBB751_268
; %bb.270:                              ;   in Loop: Header=BB751_269 Depth=1
	s_add_u32 s48, s48, -1
	s_addc_u32 s49, s49, -1
	v_add_co_u32_e32 v2, vcc, 8, v2
	s_cmp_eq_u64 s[48:49], 0
	v_addc_co_u32_e32 v3, vcc, 0, v3, vcc
	s_cselect_b64 s[4:5], -1, 0
	v_add_co_u32_e32 v6, vcc, 8, v6
	s_andn2_b64 s[46:47], s[46:47], exec
	s_and_b64 s[50:51], s[54:55], exec
	s_andn2_b64 s[44:45], s[44:45], exec
	s_and_b64 s[4:5], s[4:5], exec
	v_addc_co_u32_e32 v7, vcc, 0, v7, vcc
	s_or_b64 s[46:47], s[46:47], s[50:51]
	s_andn2_b64 s[2:3], s[2:3], exec
	s_or_b64 s[44:45], s[44:45], s[4:5]
                                        ; implicit-def: $sgpr50_sgpr51
	s_branch .LBB751_268
.LBB751_271:
	s_or_b64 exec, exec, s[40:41]
	s_xor_b64 s[2:3], s[42:43], -1
	s_andn2_b64 s[4:5], s[34:35], exec
	s_and_b64 s[2:3], s[2:3], exec
	s_or_b64 s[34:35], s[4:5], s[2:3]
.LBB751_272:
	s_or_b64 exec, exec, s[38:39]
	s_orn2_b64 s[34:35], s[34:35], exec
.LBB751_273:
	s_or_b64 exec, exec, s[36:37]
	v_cndmask_b32_e64 v2, v19, v34, s[34:35]
	v_cndmask_b32_e64 v3, v16, v15, s[34:35]
	v_add_u32_e32 v6, 1, v2
	v_add_u32_e32 v2, -1, v3
	v_min_u32_e32 v2, v6, v2
	v_lshlrev_b32_e32 v2, 3, v2
	ds_read_b64 v[2:3], v2
	v_cndmask_b32_e64 v20, v6, v19, s[34:35]
	v_cndmask_b32_e64 v19, v34, v6, s[34:35]
	v_cmp_lt_u32_e32 vcc, v20, v16
	s_waitcnt lgkmcnt(0)
	v_cndmask_b32_e64 v17, v3, v8, s[34:35]
	v_cndmask_b32_e64 v18, v2, v9, s[34:35]
	;; [unrolled: 1-line block ×4, first 2 shown]
	s_and_saveexec_b64 s[36:37], vcc
	s_cbranch_execz .LBB751_281
; %bb.274:
	v_cmp_lt_u32_e64 s[30:31], v19, v15
	s_xor_b64 s[2:3], s[24:25], -1
	s_and_b64 s[2:3], s[30:31], s[2:3]
	s_and_saveexec_b64 s[38:39], s[2:3]
	s_cbranch_execz .LBB751_280
; %bb.275:
	v_mul_lo_u32 v6, v17, s12
	v_mul_lo_u32 v7, v18, s13
	v_mad_u64_u32 v[2:3], s[2:3], v18, s12, 0
	v_add3_u32 v3, v3, v7, v6
	v_lshlrev_b64 v[2:3], 3, v[2:3]
	v_mov_b32_e32 v6, s15
	v_add_co_u32_e32 v2, vcc, s14, v2
	v_addc_co_u32_e32 v3, vcc, v6, v3, vcc
	v_mul_lo_u32 v34, v21, s12
	v_mul_lo_u32 v35, v33, s13
	v_mad_u64_u32 v[6:7], s[2:3], v33, s12, 0
	v_add3_u32 v7, v7, v35, v34
	v_lshlrev_b64 v[6:7], 3, v[6:7]
	v_mov_b32_e32 v34, s15
	v_add_co_u32_e32 v6, vcc, s14, v6
	v_addc_co_u32_e32 v7, vcc, v34, v7, vcc
	s_mov_b64 s[40:41], 0
	s_mov_b64 s[48:49], s[12:13]
                                        ; implicit-def: $sgpr42_sgpr43
                                        ; implicit-def: $sgpr44_sgpr45
                                        ; implicit-def: $sgpr2_sgpr3
                                        ; implicit-def: $sgpr46_sgpr47
                                        ; implicit-def: $sgpr50_sgpr51
	s_branch .LBB751_277
.LBB751_276:                            ;   in Loop: Header=BB751_277 Depth=1
	s_or_b64 exec, exec, s[52:53]
	s_and_b64 s[4:5], exec, s[44:45]
	s_or_b64 s[40:41], s[4:5], s[40:41]
	s_andn2_b64 s[4:5], s[50:51], exec
	s_and_b64 s[50:51], s[46:47], exec
	s_or_b64 s[50:51], s[4:5], s[50:51]
	s_andn2_b64 s[4:5], s[42:43], exec
	s_and_b64 s[42:43], s[2:3], exec
	s_or_b64 s[42:43], s[4:5], s[42:43]
	s_andn2_b64 exec, exec, s[40:41]
	s_cbranch_execz .LBB751_279
.LBB751_277:                            ; =>This Inner Loop Header: Depth=1
	global_load_dwordx2 v[34:35], v[2:3], off
	global_load_dwordx2 v[36:37], v[6:7], off
	s_andn2_b64 s[52:53], s[2:3], exec
	s_andn2_b64 s[46:47], s[46:47], exec
	s_or_b64 s[44:45], s[44:45], exec
	s_waitcnt vmcnt(0)
	v_cmp_ngt_f64_e64 s[2:3], v[34:35], v[36:37]
	v_cmp_lt_f64_e32 vcc, v[34:35], v[36:37]
	s_and_b64 s[2:3], s[2:3], s[50:51]
	s_or_b64 s[54:55], vcc, s[2:3]
	s_and_b64 s[2:3], s[54:55], exec
	v_cmp_nlg_f64_e64 s[4:5], v[34:35], v[36:37]
	s_or_b64 s[2:3], s[52:53], s[2:3]
	s_and_saveexec_b64 s[52:53], s[4:5]
	s_cbranch_execz .LBB751_276
; %bb.278:                              ;   in Loop: Header=BB751_277 Depth=1
	s_add_u32 s48, s48, -1
	s_addc_u32 s49, s49, -1
	v_add_co_u32_e32 v2, vcc, 8, v2
	s_cmp_eq_u64 s[48:49], 0
	v_addc_co_u32_e32 v3, vcc, 0, v3, vcc
	s_cselect_b64 s[4:5], -1, 0
	v_add_co_u32_e32 v6, vcc, 8, v6
	s_andn2_b64 s[46:47], s[46:47], exec
	s_and_b64 s[50:51], s[54:55], exec
	s_andn2_b64 s[44:45], s[44:45], exec
	s_and_b64 s[4:5], s[4:5], exec
	v_addc_co_u32_e32 v7, vcc, 0, v7, vcc
	s_or_b64 s[46:47], s[46:47], s[50:51]
	s_andn2_b64 s[2:3], s[2:3], exec
	s_or_b64 s[44:45], s[44:45], s[4:5]
                                        ; implicit-def: $sgpr50_sgpr51
	s_branch .LBB751_276
.LBB751_279:
	s_or_b64 exec, exec, s[40:41]
	s_xor_b64 s[2:3], s[42:43], -1
	s_andn2_b64 s[4:5], s[30:31], exec
	s_and_b64 s[2:3], s[2:3], exec
	s_or_b64 s[30:31], s[4:5], s[2:3]
.LBB751_280:
	s_or_b64 exec, exec, s[38:39]
	s_orn2_b64 s[30:31], s[30:31], exec
.LBB751_281:
	s_or_b64 exec, exec, s[36:37]
	v_cndmask_b32_e64 v6, v20, v19, s[30:31]
	v_cndmask_b32_e64 v7, v16, v15, s[30:31]
	;; [unrolled: 1-line block ×3, first 2 shown]
	v_add_u32_e32 v10, 1, v6
	v_add_u32_e32 v6, -1, v7
	v_min_u32_e32 v6, v10, v6
	v_lshlrev_b32_e32 v6, 3, v6
	v_cndmask_b32_e64 v2, v9, v11, s[34:35]
	ds_read_b64 v[8:9], v6
	v_cndmask_b32_e64 v11, v10, v20, s[30:31]
	v_cndmask_b32_e64 v1, v5, v1, s[28:29]
	;; [unrolled: 1-line block ×5, first 2 shown]
	s_waitcnt lgkmcnt(0)
	v_cndmask_b32_e64 v7, v21, v9, s[30:31]
	v_cndmask_b32_e64 v6, v33, v8, s[30:31]
	v_cmp_lt_u32_e32 vcc, v11, v16
	s_and_saveexec_b64 s[28:29], vcc
	s_cbranch_execz .LBB751_289
; %bb.282:
	v_cndmask_b32_e64 v16, v9, v17, s[30:31]
	v_cndmask_b32_e64 v17, v8, v18, s[30:31]
	;; [unrolled: 1-line block ×3, first 2 shown]
	v_cmp_ge_u32_e32 vcc, v8, v15
	s_or_b64 s[2:3], vcc, s[24:25]
	v_cndmask_b32_e32 v9, v7, v16, vcc
	s_xor_b64 s[2:3], s[2:3], -1
	v_cndmask_b32_e32 v8, v6, v17, vcc
	s_and_saveexec_b64 s[30:31], s[2:3]
	s_cbranch_execz .LBB751_288
; %bb.283:
	v_mul_lo_u32 v10, v16, s12
	v_mul_lo_u32 v11, v17, s13
	v_mad_u64_u32 v[8:9], s[2:3], v17, s12, 0
	v_add3_u32 v9, v9, v11, v10
	v_lshlrev_b64 v[8:9], 3, v[8:9]
	v_mov_b32_e32 v10, s15
	v_add_co_u32_e32 v8, vcc, s14, v8
	v_addc_co_u32_e32 v9, vcc, v10, v9, vcc
	v_mul_lo_u32 v15, v7, s12
	v_mul_lo_u32 v18, v6, s13
	v_mad_u64_u32 v[10:11], s[2:3], v6, s12, 0
	v_add3_u32 v11, v11, v18, v15
	v_lshlrev_b64 v[10:11], 3, v[10:11]
	v_mov_b32_e32 v15, s15
	v_add_co_u32_e32 v10, vcc, s14, v10
	v_addc_co_u32_e32 v11, vcc, v15, v11, vcc
	s_mov_b64 s[34:35], 0
	s_mov_b64 s[42:43], s[12:13]
                                        ; implicit-def: $sgpr36_sgpr37
                                        ; implicit-def: $sgpr38_sgpr39
                                        ; implicit-def: $sgpr2_sgpr3
                                        ; implicit-def: $sgpr40_sgpr41
                                        ; implicit-def: $sgpr44_sgpr45
	s_branch .LBB751_285
.LBB751_284:                            ;   in Loop: Header=BB751_285 Depth=1
	s_or_b64 exec, exec, s[46:47]
	s_and_b64 s[4:5], exec, s[38:39]
	s_or_b64 s[34:35], s[4:5], s[34:35]
	s_andn2_b64 s[4:5], s[44:45], exec
	s_and_b64 s[44:45], s[40:41], exec
	s_or_b64 s[44:45], s[4:5], s[44:45]
	s_andn2_b64 s[4:5], s[36:37], exec
	s_and_b64 s[36:37], s[2:3], exec
	s_or_b64 s[36:37], s[4:5], s[36:37]
	s_andn2_b64 exec, exec, s[34:35]
	s_cbranch_execz .LBB751_287
.LBB751_285:                            ; =>This Inner Loop Header: Depth=1
	global_load_dwordx2 v[18:19], v[8:9], off
	global_load_dwordx2 v[20:21], v[10:11], off
	s_andn2_b64 s[46:47], s[2:3], exec
	s_andn2_b64 s[40:41], s[40:41], exec
	s_or_b64 s[38:39], s[38:39], exec
	s_waitcnt vmcnt(0)
	v_cmp_ngt_f64_e64 s[2:3], v[18:19], v[20:21]
	v_cmp_lt_f64_e32 vcc, v[18:19], v[20:21]
	s_and_b64 s[2:3], s[2:3], s[44:45]
	s_or_b64 s[48:49], vcc, s[2:3]
	s_and_b64 s[2:3], s[48:49], exec
	v_cmp_nlg_f64_e64 s[4:5], v[18:19], v[20:21]
	s_or_b64 s[2:3], s[46:47], s[2:3]
	s_and_saveexec_b64 s[46:47], s[4:5]
	s_cbranch_execz .LBB751_284
; %bb.286:                              ;   in Loop: Header=BB751_285 Depth=1
	s_add_u32 s42, s42, -1
	s_addc_u32 s43, s43, -1
	v_add_co_u32_e32 v8, vcc, 8, v8
	s_cmp_eq_u64 s[42:43], 0
	v_addc_co_u32_e32 v9, vcc, 0, v9, vcc
	s_cselect_b64 s[4:5], -1, 0
	v_add_co_u32_e32 v10, vcc, 8, v10
	s_andn2_b64 s[40:41], s[40:41], exec
	s_and_b64 s[44:45], s[48:49], exec
	s_andn2_b64 s[38:39], s[38:39], exec
	s_and_b64 s[4:5], s[4:5], exec
	v_addc_co_u32_e32 v11, vcc, 0, v11, vcc
	s_or_b64 s[40:41], s[40:41], s[44:45]
	s_andn2_b64 s[2:3], s[2:3], exec
	s_or_b64 s[38:39], s[38:39], s[4:5]
                                        ; implicit-def: $sgpr44_sgpr45
	s_branch .LBB751_284
.LBB751_287:
	s_or_b64 exec, exec, s[34:35]
	v_cndmask_b32_e64 v9, v7, v16, s[36:37]
	v_cndmask_b32_e64 v8, v6, v17, s[36:37]
.LBB751_288:
	s_or_b64 exec, exec, s[30:31]
	v_pk_mov_b32 v[6:7], v[8:9], v[8:9] op_sel:[0,1]
.LBB751_289:
	s_or_b64 exec, exec, s[28:29]
.LBB751_290:
	s_or_b64 exec, exec, s[26:27]
	v_and_b32_e32 v17, 0xf00, v23
	v_or_b32_e32 v8, 0x80, v17
	v_min_u32_e32 v15, 0x400, v8
	v_min_u32_e32 v8, 0x380, v8
	v_add_u32_e32 v16, 0x80, v8
	v_and_b32_e32 v19, 0xfc, v23
	v_sub_u32_e32 v8, v15, v17
	v_sub_u32_e32 v9, v16, v15
	v_sub_u32_e64 v20, v19, v9 clamp
	v_min_u32_e32 v21, v19, v8
	v_lshlrev_b32_e32 v18, 3, v17
	v_cmp_lt_u32_e32 vcc, v20, v21
	s_barrier
	ds_write_b128 v14, v[0:3]
	ds_write_b128 v14, v[4:7] offset:16
	s_waitcnt lgkmcnt(0)
	s_barrier
	s_and_saveexec_b64 s[26:27], vcc
	s_cbranch_execz .LBB751_300
; %bb.291:
	v_lshlrev_b32_e32 v8, 3, v19
	v_lshl_add_u32 v33, v15, 3, v8
	s_lshl_b64 s[30:31], s[12:13], 3
	s_mov_b64 s[28:29], 0
	s_branch .LBB751_294
.LBB751_292:                            ;   in Loop: Header=BB751_294 Depth=1
	s_or_b64 exec, exec, s[36:37]
.LBB751_293:                            ;   in Loop: Header=BB751_294 Depth=1
	v_add_u32_e32 v8, 1, v34
	v_cndmask_b32_e64 v21, v21, v34, s[34:35]
	v_cndmask_b32_e64 v20, v8, v20, s[34:35]
	v_cmp_ge_u32_e32 vcc, v20, v21
	s_or_b64 s[28:29], vcc, s[28:29]
	s_andn2_b64 exec, exec, s[28:29]
	s_cbranch_execz .LBB751_299
.LBB751_294:                            ; =>This Loop Header: Depth=1
                                        ;     Child Loop BB751_297 Depth 2
	v_add_u32_e32 v8, v21, v20
	v_lshrrev_b32_e32 v34, 1, v8
	s_and_b64 vcc, exec, s[0:1]
	s_mov_b64 s[34:35], 0
	s_cbranch_vccnz .LBB751_293
; %bb.295:                              ;   in Loop: Header=BB751_294 Depth=1
	v_not_b32_e32 v8, v34
	v_lshl_add_u32 v8, v8, 3, v33
	ds_read_b64 v[8:9], v8
	v_lshl_add_u32 v35, v34, 3, v18
	ds_read_b64 v[36:37], v35
	v_pk_mov_b32 v[10:11], s[14:15], s[14:15] op_sel:[0,1]
	s_mov_b64 s[36:37], 0
	s_waitcnt lgkmcnt(1)
	v_mul_lo_u32 v35, s30, v9
	v_mul_lo_u32 v38, s31, v8
	v_mad_u64_u32 v[8:9], s[2:3], s30, v8, v[10:11]
	v_add3_u32 v9, v38, v9, v35
	s_waitcnt lgkmcnt(0)
	v_mul_lo_u32 v35, s30, v37
	v_mul_lo_u32 v37, s31, v36
	v_mad_u64_u32 v[10:11], s[2:3], s30, v36, v[10:11]
	v_add3_u32 v11, v37, v11, v35
	s_mov_b64 s[42:43], s[12:13]
                                        ; implicit-def: $sgpr34_sgpr35
                                        ; implicit-def: $sgpr38_sgpr39
                                        ; implicit-def: $sgpr40_sgpr41
                                        ; implicit-def: $sgpr2_sgpr3
                                        ; implicit-def: $sgpr44_sgpr45
	s_branch .LBB751_297
.LBB751_296:                            ;   in Loop: Header=BB751_297 Depth=2
	s_or_b64 exec, exec, s[46:47]
	s_and_b64 s[4:5], exec, s[38:39]
	s_or_b64 s[36:37], s[4:5], s[36:37]
	s_andn2_b64 s[4:5], s[44:45], exec
	s_and_b64 s[44:45], s[40:41], exec
	s_or_b64 s[44:45], s[4:5], s[44:45]
	s_andn2_b64 s[4:5], s[34:35], exec
	s_and_b64 s[34:35], s[2:3], exec
	s_or_b64 s[34:35], s[4:5], s[34:35]
	s_andn2_b64 exec, exec, s[36:37]
	s_cbranch_execz .LBB751_292
.LBB751_297:                            ;   Parent Loop BB751_294 Depth=1
                                        ; =>  This Inner Loop Header: Depth=2
	global_load_dwordx2 v[36:37], v[8:9], off
	global_load_dwordx2 v[38:39], v[10:11], off
	s_andn2_b64 s[46:47], s[2:3], exec
	s_andn2_b64 s[40:41], s[40:41], exec
	s_or_b64 s[38:39], s[38:39], exec
	s_waitcnt vmcnt(0)
	v_cmp_ngt_f64_e64 s[2:3], v[36:37], v[38:39]
	v_cmp_lt_f64_e32 vcc, v[36:37], v[38:39]
	s_and_b64 s[2:3], s[2:3], s[44:45]
	s_or_b64 s[48:49], vcc, s[2:3]
	s_and_b64 s[2:3], s[48:49], exec
	v_cmp_nlg_f64_e64 s[4:5], v[36:37], v[38:39]
	s_or_b64 s[2:3], s[46:47], s[2:3]
	s_and_saveexec_b64 s[46:47], s[4:5]
	s_cbranch_execz .LBB751_296
; %bb.298:                              ;   in Loop: Header=BB751_297 Depth=2
	s_add_u32 s42, s42, -1
	s_addc_u32 s43, s43, -1
	v_add_co_u32_e32 v8, vcc, 8, v8
	s_cmp_eq_u64 s[42:43], 0
	v_addc_co_u32_e32 v9, vcc, 0, v9, vcc
	s_cselect_b64 s[4:5], -1, 0
	v_add_co_u32_e32 v10, vcc, 8, v10
	s_andn2_b64 s[40:41], s[40:41], exec
	s_and_b64 s[44:45], s[48:49], exec
	s_andn2_b64 s[38:39], s[38:39], exec
	s_and_b64 s[4:5], s[4:5], exec
	v_addc_co_u32_e32 v11, vcc, 0, v11, vcc
	s_andn2_b64 s[2:3], s[2:3], exec
	s_or_b64 s[40:41], s[40:41], s[44:45]
	s_or_b64 s[38:39], s[38:39], s[4:5]
                                        ; implicit-def: $sgpr44_sgpr45
	s_branch .LBB751_296
.LBB751_299:
	s_or_b64 exec, exec, s[28:29]
.LBB751_300:
	s_or_b64 exec, exec, s[26:27]
	v_sub_u32_e32 v8, v19, v20
	v_add_u32_e32 v17, v20, v17
	v_add_u32_e32 v19, v8, v15
	v_cmp_le_u32_e32 vcc, v17, v15
	v_cmp_le_u32_e64 s[2:3], v19, v16
	s_or_b64 s[2:3], vcc, s[2:3]
	s_and_saveexec_b64 s[26:27], s[2:3]
	s_cbranch_execz .LBB751_336
; %bb.301:
	v_cmp_ge_u32_e32 vcc, v17, v15
	v_cmp_lt_u32_e64 s[2:3], v17, v15
                                        ; implicit-def: $vgpr0_vgpr1
	s_and_saveexec_b64 s[4:5], s[2:3]
	s_cbranch_execz .LBB751_303
; %bb.302:
	v_lshl_add_u32 v0, v20, 3, v18
	ds_read_b64 v[0:1], v0
.LBB751_303:
	s_or_b64 exec, exec, s[4:5]
	v_cmp_ge_u32_e64 s[2:3], v19, v16
	v_cmp_lt_u32_e64 s[4:5], v19, v16
                                        ; implicit-def: $vgpr4_vgpr5
	s_and_saveexec_b64 s[28:29], s[4:5]
	s_cbranch_execz .LBB751_305
; %bb.304:
	v_lshlrev_b32_e32 v2, 3, v19
	ds_read_b64 v[4:5], v2
.LBB751_305:
	s_or_b64 exec, exec, s[28:29]
	s_or_b64 s[4:5], vcc, s[2:3]
	s_or_b64 s[4:5], s[4:5], s[24:25]
	s_xor_b64 s[28:29], vcc, -1
	s_xor_b64 s[4:5], s[4:5], -1
	s_or_b64 s[28:29], s[2:3], s[28:29]
	s_and_saveexec_b64 s[30:31], s[4:5]
	s_cbranch_execz .LBB751_311
; %bb.306:
	s_waitcnt lgkmcnt(0)
	v_mul_lo_u32 v6, v5, s12
	v_mul_lo_u32 v7, v4, s13
	v_mad_u64_u32 v[2:3], s[2:3], v4, s12, 0
	v_add3_u32 v3, v3, v7, v6
	v_lshlrev_b64 v[2:3], 3, v[2:3]
	v_mov_b32_e32 v6, s15
	v_add_co_u32_e32 v2, vcc, s14, v2
	v_addc_co_u32_e32 v3, vcc, v6, v3, vcc
	v_mul_lo_u32 v8, v1, s12
	v_mul_lo_u32 v9, v0, s13
	v_mad_u64_u32 v[6:7], s[2:3], v0, s12, 0
	v_add3_u32 v7, v7, v9, v8
	v_lshlrev_b64 v[6:7], 3, v[6:7]
	v_mov_b32_e32 v8, s15
	v_add_co_u32_e32 v6, vcc, s14, v6
	v_addc_co_u32_e32 v7, vcc, v8, v7, vcc
	s_mov_b64 s[34:35], 0
	s_mov_b64 s[42:43], s[12:13]
                                        ; implicit-def: $sgpr36_sgpr37
                                        ; implicit-def: $sgpr38_sgpr39
                                        ; implicit-def: $sgpr2_sgpr3
                                        ; implicit-def: $sgpr40_sgpr41
                                        ; implicit-def: $sgpr44_sgpr45
	s_branch .LBB751_308
.LBB751_307:                            ;   in Loop: Header=BB751_308 Depth=1
	s_or_b64 exec, exec, s[46:47]
	s_and_b64 s[4:5], exec, s[38:39]
	s_or_b64 s[34:35], s[4:5], s[34:35]
	s_andn2_b64 s[4:5], s[44:45], exec
	s_and_b64 s[44:45], s[40:41], exec
	s_or_b64 s[44:45], s[4:5], s[44:45]
	s_andn2_b64 s[4:5], s[36:37], exec
	s_and_b64 s[36:37], s[2:3], exec
	s_or_b64 s[36:37], s[4:5], s[36:37]
	s_andn2_b64 exec, exec, s[34:35]
	s_cbranch_execz .LBB751_310
.LBB751_308:                            ; =>This Inner Loop Header: Depth=1
	global_load_dwordx2 v[8:9], v[2:3], off
	global_load_dwordx2 v[10:11], v[6:7], off
	s_andn2_b64 s[46:47], s[2:3], exec
	s_andn2_b64 s[40:41], s[40:41], exec
	s_or_b64 s[38:39], s[38:39], exec
	s_waitcnt vmcnt(0)
	v_cmp_ngt_f64_e64 s[2:3], v[8:9], v[10:11]
	v_cmp_lt_f64_e32 vcc, v[8:9], v[10:11]
	s_and_b64 s[2:3], s[2:3], s[44:45]
	s_or_b64 s[48:49], vcc, s[2:3]
	s_and_b64 s[2:3], s[48:49], exec
	v_cmp_nlg_f64_e64 s[4:5], v[8:9], v[10:11]
	s_or_b64 s[2:3], s[46:47], s[2:3]
	s_and_saveexec_b64 s[46:47], s[4:5]
	s_cbranch_execz .LBB751_307
; %bb.309:                              ;   in Loop: Header=BB751_308 Depth=1
	s_add_u32 s42, s42, -1
	s_addc_u32 s43, s43, -1
	v_add_co_u32_e32 v2, vcc, 8, v2
	s_cmp_eq_u64 s[42:43], 0
	v_addc_co_u32_e32 v3, vcc, 0, v3, vcc
	s_cselect_b64 s[4:5], -1, 0
	v_add_co_u32_e32 v6, vcc, 8, v6
	s_andn2_b64 s[40:41], s[40:41], exec
	s_and_b64 s[44:45], s[48:49], exec
	s_andn2_b64 s[38:39], s[38:39], exec
	s_and_b64 s[4:5], s[4:5], exec
	v_addc_co_u32_e32 v7, vcc, 0, v7, vcc
	s_or_b64 s[40:41], s[40:41], s[44:45]
	s_andn2_b64 s[2:3], s[2:3], exec
	s_or_b64 s[38:39], s[38:39], s[4:5]
                                        ; implicit-def: $sgpr44_sgpr45
	s_branch .LBB751_307
.LBB751_310:
	s_or_b64 exec, exec, s[34:35]
	s_xor_b64 s[2:3], s[36:37], -1
	s_andn2_b64 s[4:5], s[28:29], exec
	s_and_b64 s[2:3], s[2:3], exec
	s_or_b64 s[28:29], s[4:5], s[2:3]
.LBB751_311:
	s_or_b64 exec, exec, s[30:31]
	v_cndmask_b32_e64 v2, v19, v17, s[28:29]
	v_cndmask_b32_e64 v3, v16, v15, s[28:29]
	v_add_u32_e32 v6, 1, v2
	v_add_u32_e32 v2, -1, v3
	v_min_u32_e32 v2, v6, v2
	v_lshlrev_b32_e32 v2, 3, v2
	ds_read_b64 v[2:3], v2
	v_cndmask_b32_e64 v19, v6, v19, s[28:29]
	v_cndmask_b32_e64 v34, v17, v6, s[28:29]
	v_cmp_lt_u32_e32 vcc, v19, v16
	s_mov_b64 s[30:31], -1
	s_waitcnt lgkmcnt(0)
	v_cndmask_b32_e64 v8, v3, v5, s[28:29]
	v_cndmask_b32_e64 v9, v2, v4, s[28:29]
	;; [unrolled: 1-line block ×4, first 2 shown]
	s_mov_b64 s[34:35], -1
	s_and_saveexec_b64 s[36:37], vcc
	s_cbranch_execz .LBB751_319
; %bb.312:
	v_cmp_lt_u32_e64 s[34:35], v34, v15
	s_xor_b64 s[2:3], s[24:25], -1
	s_and_b64 s[2:3], s[34:35], s[2:3]
	s_and_saveexec_b64 s[38:39], s[2:3]
	s_cbranch_execz .LBB751_318
; %bb.313:
	v_mul_lo_u32 v6, v8, s12
	v_mul_lo_u32 v7, v9, s13
	v_mad_u64_u32 v[2:3], s[2:3], v9, s12, 0
	v_add3_u32 v3, v3, v7, v6
	v_lshlrev_b64 v[2:3], 3, v[2:3]
	v_mov_b32_e32 v6, s15
	v_add_co_u32_e32 v2, vcc, s14, v2
	v_addc_co_u32_e32 v3, vcc, v6, v3, vcc
	v_mul_lo_u32 v17, v10, s12
	v_mul_lo_u32 v18, v11, s13
	v_mad_u64_u32 v[6:7], s[2:3], v11, s12, 0
	v_add3_u32 v7, v7, v18, v17
	v_lshlrev_b64 v[6:7], 3, v[6:7]
	v_mov_b32_e32 v17, s15
	v_add_co_u32_e32 v6, vcc, s14, v6
	v_addc_co_u32_e32 v7, vcc, v17, v7, vcc
	s_mov_b64 s[40:41], 0
	s_mov_b64 s[48:49], s[12:13]
                                        ; implicit-def: $sgpr42_sgpr43
                                        ; implicit-def: $sgpr44_sgpr45
                                        ; implicit-def: $sgpr2_sgpr3
                                        ; implicit-def: $sgpr46_sgpr47
                                        ; implicit-def: $sgpr50_sgpr51
	s_branch .LBB751_315
.LBB751_314:                            ;   in Loop: Header=BB751_315 Depth=1
	s_or_b64 exec, exec, s[52:53]
	s_and_b64 s[4:5], exec, s[44:45]
	s_or_b64 s[40:41], s[4:5], s[40:41]
	s_andn2_b64 s[4:5], s[50:51], exec
	s_and_b64 s[50:51], s[46:47], exec
	s_or_b64 s[50:51], s[4:5], s[50:51]
	s_andn2_b64 s[4:5], s[42:43], exec
	s_and_b64 s[42:43], s[2:3], exec
	s_or_b64 s[42:43], s[4:5], s[42:43]
	s_andn2_b64 exec, exec, s[40:41]
	s_cbranch_execz .LBB751_317
.LBB751_315:                            ; =>This Inner Loop Header: Depth=1
	global_load_dwordx2 v[20:21], v[2:3], off
	global_load_dwordx2 v[36:37], v[6:7], off
	s_andn2_b64 s[52:53], s[2:3], exec
	s_andn2_b64 s[46:47], s[46:47], exec
	s_or_b64 s[44:45], s[44:45], exec
	s_waitcnt vmcnt(0)
	v_cmp_ngt_f64_e64 s[2:3], v[20:21], v[36:37]
	v_cmp_lt_f64_e32 vcc, v[20:21], v[36:37]
	s_and_b64 s[2:3], s[2:3], s[50:51]
	s_or_b64 s[54:55], vcc, s[2:3]
	s_and_b64 s[2:3], s[54:55], exec
	v_cmp_nlg_f64_e64 s[4:5], v[20:21], v[36:37]
	s_or_b64 s[2:3], s[52:53], s[2:3]
	s_and_saveexec_b64 s[52:53], s[4:5]
	s_cbranch_execz .LBB751_314
; %bb.316:                              ;   in Loop: Header=BB751_315 Depth=1
	s_add_u32 s48, s48, -1
	s_addc_u32 s49, s49, -1
	v_add_co_u32_e32 v2, vcc, 8, v2
	s_cmp_eq_u64 s[48:49], 0
	v_addc_co_u32_e32 v3, vcc, 0, v3, vcc
	s_cselect_b64 s[4:5], -1, 0
	v_add_co_u32_e32 v6, vcc, 8, v6
	s_andn2_b64 s[46:47], s[46:47], exec
	s_and_b64 s[50:51], s[54:55], exec
	s_andn2_b64 s[44:45], s[44:45], exec
	s_and_b64 s[4:5], s[4:5], exec
	v_addc_co_u32_e32 v7, vcc, 0, v7, vcc
	s_or_b64 s[46:47], s[46:47], s[50:51]
	s_andn2_b64 s[2:3], s[2:3], exec
	s_or_b64 s[44:45], s[44:45], s[4:5]
                                        ; implicit-def: $sgpr50_sgpr51
	s_branch .LBB751_314
.LBB751_317:
	s_or_b64 exec, exec, s[40:41]
	s_xor_b64 s[2:3], s[42:43], -1
	s_andn2_b64 s[4:5], s[34:35], exec
	s_and_b64 s[2:3], s[2:3], exec
	s_or_b64 s[34:35], s[4:5], s[2:3]
.LBB751_318:
	s_or_b64 exec, exec, s[38:39]
	s_orn2_b64 s[34:35], s[34:35], exec
.LBB751_319:
	s_or_b64 exec, exec, s[36:37]
	v_cndmask_b32_e64 v2, v19, v34, s[34:35]
	v_cndmask_b32_e64 v3, v16, v15, s[34:35]
	v_add_u32_e32 v6, 1, v2
	v_add_u32_e32 v2, -1, v3
	v_min_u32_e32 v2, v6, v2
	v_lshlrev_b32_e32 v2, 3, v2
	ds_read_b64 v[2:3], v2
	v_cndmask_b32_e64 v20, v6, v19, s[34:35]
	v_cndmask_b32_e64 v19, v34, v6, s[34:35]
	v_cmp_lt_u32_e32 vcc, v20, v16
	s_waitcnt lgkmcnt(0)
	v_cndmask_b32_e64 v17, v3, v8, s[34:35]
	v_cndmask_b32_e64 v18, v2, v9, s[34:35]
	;; [unrolled: 1-line block ×4, first 2 shown]
	s_and_saveexec_b64 s[36:37], vcc
	s_cbranch_execz .LBB751_327
; %bb.320:
	v_cmp_lt_u32_e64 s[30:31], v19, v15
	s_xor_b64 s[2:3], s[24:25], -1
	s_and_b64 s[2:3], s[30:31], s[2:3]
	s_and_saveexec_b64 s[38:39], s[2:3]
	s_cbranch_execz .LBB751_326
; %bb.321:
	v_mul_lo_u32 v6, v17, s12
	v_mul_lo_u32 v7, v18, s13
	v_mad_u64_u32 v[2:3], s[2:3], v18, s12, 0
	v_add3_u32 v3, v3, v7, v6
	v_lshlrev_b64 v[2:3], 3, v[2:3]
	v_mov_b32_e32 v6, s15
	v_add_co_u32_e32 v2, vcc, s14, v2
	v_addc_co_u32_e32 v3, vcc, v6, v3, vcc
	v_mul_lo_u32 v34, v21, s12
	v_mul_lo_u32 v35, v33, s13
	v_mad_u64_u32 v[6:7], s[2:3], v33, s12, 0
	v_add3_u32 v7, v7, v35, v34
	v_lshlrev_b64 v[6:7], 3, v[6:7]
	v_mov_b32_e32 v34, s15
	v_add_co_u32_e32 v6, vcc, s14, v6
	v_addc_co_u32_e32 v7, vcc, v34, v7, vcc
	s_mov_b64 s[40:41], 0
	s_mov_b64 s[48:49], s[12:13]
                                        ; implicit-def: $sgpr42_sgpr43
                                        ; implicit-def: $sgpr44_sgpr45
                                        ; implicit-def: $sgpr2_sgpr3
                                        ; implicit-def: $sgpr46_sgpr47
                                        ; implicit-def: $sgpr50_sgpr51
	s_branch .LBB751_323
.LBB751_322:                            ;   in Loop: Header=BB751_323 Depth=1
	s_or_b64 exec, exec, s[52:53]
	s_and_b64 s[4:5], exec, s[44:45]
	s_or_b64 s[40:41], s[4:5], s[40:41]
	s_andn2_b64 s[4:5], s[50:51], exec
	s_and_b64 s[50:51], s[46:47], exec
	s_or_b64 s[50:51], s[4:5], s[50:51]
	s_andn2_b64 s[4:5], s[42:43], exec
	s_and_b64 s[42:43], s[2:3], exec
	s_or_b64 s[42:43], s[4:5], s[42:43]
	s_andn2_b64 exec, exec, s[40:41]
	s_cbranch_execz .LBB751_325
.LBB751_323:                            ; =>This Inner Loop Header: Depth=1
	global_load_dwordx2 v[34:35], v[2:3], off
	global_load_dwordx2 v[36:37], v[6:7], off
	s_andn2_b64 s[52:53], s[2:3], exec
	s_andn2_b64 s[46:47], s[46:47], exec
	s_or_b64 s[44:45], s[44:45], exec
	s_waitcnt vmcnt(0)
	v_cmp_ngt_f64_e64 s[2:3], v[34:35], v[36:37]
	v_cmp_lt_f64_e32 vcc, v[34:35], v[36:37]
	s_and_b64 s[2:3], s[2:3], s[50:51]
	s_or_b64 s[54:55], vcc, s[2:3]
	s_and_b64 s[2:3], s[54:55], exec
	v_cmp_nlg_f64_e64 s[4:5], v[34:35], v[36:37]
	s_or_b64 s[2:3], s[52:53], s[2:3]
	s_and_saveexec_b64 s[52:53], s[4:5]
	s_cbranch_execz .LBB751_322
; %bb.324:                              ;   in Loop: Header=BB751_323 Depth=1
	s_add_u32 s48, s48, -1
	s_addc_u32 s49, s49, -1
	v_add_co_u32_e32 v2, vcc, 8, v2
	s_cmp_eq_u64 s[48:49], 0
	v_addc_co_u32_e32 v3, vcc, 0, v3, vcc
	s_cselect_b64 s[4:5], -1, 0
	v_add_co_u32_e32 v6, vcc, 8, v6
	s_andn2_b64 s[46:47], s[46:47], exec
	s_and_b64 s[50:51], s[54:55], exec
	s_andn2_b64 s[44:45], s[44:45], exec
	s_and_b64 s[4:5], s[4:5], exec
	v_addc_co_u32_e32 v7, vcc, 0, v7, vcc
	s_or_b64 s[46:47], s[46:47], s[50:51]
	s_andn2_b64 s[2:3], s[2:3], exec
	s_or_b64 s[44:45], s[44:45], s[4:5]
                                        ; implicit-def: $sgpr50_sgpr51
	s_branch .LBB751_322
.LBB751_325:
	s_or_b64 exec, exec, s[40:41]
	s_xor_b64 s[2:3], s[42:43], -1
	s_andn2_b64 s[4:5], s[30:31], exec
	s_and_b64 s[2:3], s[2:3], exec
	s_or_b64 s[30:31], s[4:5], s[2:3]
.LBB751_326:
	s_or_b64 exec, exec, s[38:39]
	s_orn2_b64 s[30:31], s[30:31], exec
.LBB751_327:
	s_or_b64 exec, exec, s[36:37]
	v_cndmask_b32_e64 v6, v20, v19, s[30:31]
	v_cndmask_b32_e64 v7, v16, v15, s[30:31]
	;; [unrolled: 1-line block ×3, first 2 shown]
	v_add_u32_e32 v10, 1, v6
	v_add_u32_e32 v6, -1, v7
	v_min_u32_e32 v6, v10, v6
	v_lshlrev_b32_e32 v6, 3, v6
	v_cndmask_b32_e64 v2, v9, v11, s[34:35]
	ds_read_b64 v[8:9], v6
	v_cndmask_b32_e64 v11, v10, v20, s[30:31]
	v_cndmask_b32_e64 v1, v5, v1, s[28:29]
	;; [unrolled: 1-line block ×5, first 2 shown]
	s_waitcnt lgkmcnt(0)
	v_cndmask_b32_e64 v7, v21, v9, s[30:31]
	v_cndmask_b32_e64 v6, v33, v8, s[30:31]
	v_cmp_lt_u32_e32 vcc, v11, v16
	s_and_saveexec_b64 s[28:29], vcc
	s_cbranch_execz .LBB751_335
; %bb.328:
	v_cndmask_b32_e64 v16, v9, v17, s[30:31]
	v_cndmask_b32_e64 v17, v8, v18, s[30:31]
	;; [unrolled: 1-line block ×3, first 2 shown]
	v_cmp_ge_u32_e32 vcc, v8, v15
	s_or_b64 s[2:3], vcc, s[24:25]
	v_cndmask_b32_e32 v9, v7, v16, vcc
	s_xor_b64 s[2:3], s[2:3], -1
	v_cndmask_b32_e32 v8, v6, v17, vcc
	s_and_saveexec_b64 s[30:31], s[2:3]
	s_cbranch_execz .LBB751_334
; %bb.329:
	v_mul_lo_u32 v10, v16, s12
	v_mul_lo_u32 v11, v17, s13
	v_mad_u64_u32 v[8:9], s[2:3], v17, s12, 0
	v_add3_u32 v9, v9, v11, v10
	v_lshlrev_b64 v[8:9], 3, v[8:9]
	v_mov_b32_e32 v10, s15
	v_add_co_u32_e32 v8, vcc, s14, v8
	v_addc_co_u32_e32 v9, vcc, v10, v9, vcc
	v_mul_lo_u32 v15, v7, s12
	v_mul_lo_u32 v18, v6, s13
	v_mad_u64_u32 v[10:11], s[2:3], v6, s12, 0
	v_add3_u32 v11, v11, v18, v15
	v_lshlrev_b64 v[10:11], 3, v[10:11]
	v_mov_b32_e32 v15, s15
	v_add_co_u32_e32 v10, vcc, s14, v10
	v_addc_co_u32_e32 v11, vcc, v15, v11, vcc
	s_mov_b64 s[34:35], 0
	s_mov_b64 s[42:43], s[12:13]
                                        ; implicit-def: $sgpr36_sgpr37
                                        ; implicit-def: $sgpr38_sgpr39
                                        ; implicit-def: $sgpr2_sgpr3
                                        ; implicit-def: $sgpr40_sgpr41
                                        ; implicit-def: $sgpr44_sgpr45
	s_branch .LBB751_331
.LBB751_330:                            ;   in Loop: Header=BB751_331 Depth=1
	s_or_b64 exec, exec, s[46:47]
	s_and_b64 s[4:5], exec, s[38:39]
	s_or_b64 s[34:35], s[4:5], s[34:35]
	s_andn2_b64 s[4:5], s[44:45], exec
	s_and_b64 s[44:45], s[40:41], exec
	s_or_b64 s[44:45], s[4:5], s[44:45]
	s_andn2_b64 s[4:5], s[36:37], exec
	s_and_b64 s[36:37], s[2:3], exec
	s_or_b64 s[36:37], s[4:5], s[36:37]
	s_andn2_b64 exec, exec, s[34:35]
	s_cbranch_execz .LBB751_333
.LBB751_331:                            ; =>This Inner Loop Header: Depth=1
	global_load_dwordx2 v[18:19], v[8:9], off
	global_load_dwordx2 v[20:21], v[10:11], off
	s_andn2_b64 s[46:47], s[2:3], exec
	s_andn2_b64 s[40:41], s[40:41], exec
	s_or_b64 s[38:39], s[38:39], exec
	s_waitcnt vmcnt(0)
	v_cmp_ngt_f64_e64 s[2:3], v[18:19], v[20:21]
	v_cmp_lt_f64_e32 vcc, v[18:19], v[20:21]
	s_and_b64 s[2:3], s[2:3], s[44:45]
	s_or_b64 s[48:49], vcc, s[2:3]
	s_and_b64 s[2:3], s[48:49], exec
	v_cmp_nlg_f64_e64 s[4:5], v[18:19], v[20:21]
	s_or_b64 s[2:3], s[46:47], s[2:3]
	s_and_saveexec_b64 s[46:47], s[4:5]
	s_cbranch_execz .LBB751_330
; %bb.332:                              ;   in Loop: Header=BB751_331 Depth=1
	s_add_u32 s42, s42, -1
	s_addc_u32 s43, s43, -1
	v_add_co_u32_e32 v8, vcc, 8, v8
	s_cmp_eq_u64 s[42:43], 0
	v_addc_co_u32_e32 v9, vcc, 0, v9, vcc
	s_cselect_b64 s[4:5], -1, 0
	v_add_co_u32_e32 v10, vcc, 8, v10
	s_andn2_b64 s[40:41], s[40:41], exec
	s_and_b64 s[44:45], s[48:49], exec
	s_andn2_b64 s[38:39], s[38:39], exec
	s_and_b64 s[4:5], s[4:5], exec
	v_addc_co_u32_e32 v11, vcc, 0, v11, vcc
	s_or_b64 s[40:41], s[40:41], s[44:45]
	s_andn2_b64 s[2:3], s[2:3], exec
	s_or_b64 s[38:39], s[38:39], s[4:5]
                                        ; implicit-def: $sgpr44_sgpr45
	s_branch .LBB751_330
.LBB751_333:
	s_or_b64 exec, exec, s[34:35]
	v_cndmask_b32_e64 v9, v7, v16, s[36:37]
	v_cndmask_b32_e64 v8, v6, v17, s[36:37]
.LBB751_334:
	s_or_b64 exec, exec, s[30:31]
	v_pk_mov_b32 v[6:7], v[8:9], v[8:9] op_sel:[0,1]
.LBB751_335:
	s_or_b64 exec, exec, s[28:29]
.LBB751_336:
	s_or_b64 exec, exec, s[26:27]
	v_and_b32_e32 v17, 0xe00, v23
	v_or_b32_e32 v8, 0x100, v17
	v_min_u32_e32 v15, 0x400, v8
	v_min_u32_e32 v8, 0x300, v8
	v_add_u32_e32 v16, 0x100, v8
	v_and_b32_e32 v19, 0x1fc, v23
	v_sub_u32_e32 v8, v15, v17
	v_sub_u32_e32 v9, v16, v15
	v_sub_u32_e64 v20, v19, v9 clamp
	v_min_u32_e32 v21, v19, v8
	v_lshlrev_b32_e32 v18, 3, v17
	v_cmp_lt_u32_e32 vcc, v20, v21
	s_barrier
	ds_write_b128 v14, v[0:3]
	ds_write_b128 v14, v[4:7] offset:16
	s_waitcnt lgkmcnt(0)
	s_barrier
	s_and_saveexec_b64 s[26:27], vcc
	s_cbranch_execz .LBB751_346
; %bb.337:
	v_lshlrev_b32_e32 v8, 3, v19
	v_lshl_add_u32 v33, v15, 3, v8
	s_lshl_b64 s[30:31], s[12:13], 3
	s_mov_b64 s[28:29], 0
	s_branch .LBB751_340
.LBB751_338:                            ;   in Loop: Header=BB751_340 Depth=1
	s_or_b64 exec, exec, s[36:37]
.LBB751_339:                            ;   in Loop: Header=BB751_340 Depth=1
	v_add_u32_e32 v8, 1, v34
	v_cndmask_b32_e64 v21, v21, v34, s[34:35]
	v_cndmask_b32_e64 v20, v8, v20, s[34:35]
	v_cmp_ge_u32_e32 vcc, v20, v21
	s_or_b64 s[28:29], vcc, s[28:29]
	s_andn2_b64 exec, exec, s[28:29]
	s_cbranch_execz .LBB751_345
.LBB751_340:                            ; =>This Loop Header: Depth=1
                                        ;     Child Loop BB751_343 Depth 2
	v_add_u32_e32 v8, v21, v20
	v_lshrrev_b32_e32 v34, 1, v8
	s_and_b64 vcc, exec, s[0:1]
	s_mov_b64 s[34:35], 0
	s_cbranch_vccnz .LBB751_339
; %bb.341:                              ;   in Loop: Header=BB751_340 Depth=1
	v_not_b32_e32 v8, v34
	v_lshl_add_u32 v8, v8, 3, v33
	ds_read_b64 v[8:9], v8
	v_lshl_add_u32 v35, v34, 3, v18
	ds_read_b64 v[36:37], v35
	v_pk_mov_b32 v[10:11], s[14:15], s[14:15] op_sel:[0,1]
	s_mov_b64 s[36:37], 0
	s_waitcnt lgkmcnt(1)
	v_mul_lo_u32 v35, s30, v9
	v_mul_lo_u32 v38, s31, v8
	v_mad_u64_u32 v[8:9], s[2:3], s30, v8, v[10:11]
	v_add3_u32 v9, v38, v9, v35
	s_waitcnt lgkmcnt(0)
	v_mul_lo_u32 v35, s30, v37
	v_mul_lo_u32 v37, s31, v36
	v_mad_u64_u32 v[10:11], s[2:3], s30, v36, v[10:11]
	v_add3_u32 v11, v37, v11, v35
	s_mov_b64 s[42:43], s[12:13]
                                        ; implicit-def: $sgpr34_sgpr35
                                        ; implicit-def: $sgpr38_sgpr39
                                        ; implicit-def: $sgpr40_sgpr41
                                        ; implicit-def: $sgpr2_sgpr3
                                        ; implicit-def: $sgpr44_sgpr45
	s_branch .LBB751_343
.LBB751_342:                            ;   in Loop: Header=BB751_343 Depth=2
	s_or_b64 exec, exec, s[46:47]
	s_and_b64 s[4:5], exec, s[38:39]
	s_or_b64 s[36:37], s[4:5], s[36:37]
	s_andn2_b64 s[4:5], s[44:45], exec
	s_and_b64 s[44:45], s[40:41], exec
	s_or_b64 s[44:45], s[4:5], s[44:45]
	s_andn2_b64 s[4:5], s[34:35], exec
	s_and_b64 s[34:35], s[2:3], exec
	s_or_b64 s[34:35], s[4:5], s[34:35]
	s_andn2_b64 exec, exec, s[36:37]
	s_cbranch_execz .LBB751_338
.LBB751_343:                            ;   Parent Loop BB751_340 Depth=1
                                        ; =>  This Inner Loop Header: Depth=2
	global_load_dwordx2 v[36:37], v[8:9], off
	global_load_dwordx2 v[38:39], v[10:11], off
	s_andn2_b64 s[46:47], s[2:3], exec
	s_andn2_b64 s[40:41], s[40:41], exec
	s_or_b64 s[38:39], s[38:39], exec
	s_waitcnt vmcnt(0)
	v_cmp_ngt_f64_e64 s[2:3], v[36:37], v[38:39]
	v_cmp_lt_f64_e32 vcc, v[36:37], v[38:39]
	s_and_b64 s[2:3], s[2:3], s[44:45]
	s_or_b64 s[48:49], vcc, s[2:3]
	s_and_b64 s[2:3], s[48:49], exec
	v_cmp_nlg_f64_e64 s[4:5], v[36:37], v[38:39]
	s_or_b64 s[2:3], s[46:47], s[2:3]
	s_and_saveexec_b64 s[46:47], s[4:5]
	s_cbranch_execz .LBB751_342
; %bb.344:                              ;   in Loop: Header=BB751_343 Depth=2
	s_add_u32 s42, s42, -1
	s_addc_u32 s43, s43, -1
	v_add_co_u32_e32 v8, vcc, 8, v8
	s_cmp_eq_u64 s[42:43], 0
	v_addc_co_u32_e32 v9, vcc, 0, v9, vcc
	s_cselect_b64 s[4:5], -1, 0
	v_add_co_u32_e32 v10, vcc, 8, v10
	s_andn2_b64 s[40:41], s[40:41], exec
	s_and_b64 s[44:45], s[48:49], exec
	s_andn2_b64 s[38:39], s[38:39], exec
	s_and_b64 s[4:5], s[4:5], exec
	v_addc_co_u32_e32 v11, vcc, 0, v11, vcc
	s_andn2_b64 s[2:3], s[2:3], exec
	s_or_b64 s[40:41], s[40:41], s[44:45]
	s_or_b64 s[38:39], s[38:39], s[4:5]
                                        ; implicit-def: $sgpr44_sgpr45
	s_branch .LBB751_342
.LBB751_345:
	s_or_b64 exec, exec, s[28:29]
.LBB751_346:
	s_or_b64 exec, exec, s[26:27]
	v_sub_u32_e32 v8, v19, v20
	v_add_u32_e32 v17, v20, v17
	v_add_u32_e32 v19, v8, v15
	v_cmp_le_u32_e32 vcc, v17, v15
	v_cmp_le_u32_e64 s[2:3], v19, v16
	s_or_b64 s[2:3], vcc, s[2:3]
	s_and_saveexec_b64 s[26:27], s[2:3]
	s_cbranch_execz .LBB751_382
; %bb.347:
	v_cmp_ge_u32_e32 vcc, v17, v15
	v_cmp_lt_u32_e64 s[2:3], v17, v15
                                        ; implicit-def: $vgpr0_vgpr1
	s_and_saveexec_b64 s[4:5], s[2:3]
	s_cbranch_execz .LBB751_349
; %bb.348:
	v_lshl_add_u32 v0, v20, 3, v18
	ds_read_b64 v[0:1], v0
.LBB751_349:
	s_or_b64 exec, exec, s[4:5]
	v_cmp_ge_u32_e64 s[2:3], v19, v16
	v_cmp_lt_u32_e64 s[4:5], v19, v16
                                        ; implicit-def: $vgpr4_vgpr5
	s_and_saveexec_b64 s[28:29], s[4:5]
	s_cbranch_execz .LBB751_351
; %bb.350:
	v_lshlrev_b32_e32 v2, 3, v19
	ds_read_b64 v[4:5], v2
.LBB751_351:
	s_or_b64 exec, exec, s[28:29]
	s_or_b64 s[4:5], vcc, s[2:3]
	s_or_b64 s[4:5], s[4:5], s[24:25]
	s_xor_b64 s[28:29], vcc, -1
	s_xor_b64 s[4:5], s[4:5], -1
	s_or_b64 s[28:29], s[2:3], s[28:29]
	s_and_saveexec_b64 s[30:31], s[4:5]
	s_cbranch_execz .LBB751_357
; %bb.352:
	s_waitcnt lgkmcnt(0)
	v_mul_lo_u32 v6, v5, s12
	v_mul_lo_u32 v7, v4, s13
	v_mad_u64_u32 v[2:3], s[2:3], v4, s12, 0
	v_add3_u32 v3, v3, v7, v6
	v_lshlrev_b64 v[2:3], 3, v[2:3]
	v_mov_b32_e32 v6, s15
	v_add_co_u32_e32 v2, vcc, s14, v2
	v_addc_co_u32_e32 v3, vcc, v6, v3, vcc
	v_mul_lo_u32 v8, v1, s12
	v_mul_lo_u32 v9, v0, s13
	v_mad_u64_u32 v[6:7], s[2:3], v0, s12, 0
	v_add3_u32 v7, v7, v9, v8
	v_lshlrev_b64 v[6:7], 3, v[6:7]
	v_mov_b32_e32 v8, s15
	v_add_co_u32_e32 v6, vcc, s14, v6
	v_addc_co_u32_e32 v7, vcc, v8, v7, vcc
	s_mov_b64 s[34:35], 0
	s_mov_b64 s[42:43], s[12:13]
                                        ; implicit-def: $sgpr36_sgpr37
                                        ; implicit-def: $sgpr38_sgpr39
                                        ; implicit-def: $sgpr2_sgpr3
                                        ; implicit-def: $sgpr40_sgpr41
                                        ; implicit-def: $sgpr44_sgpr45
	s_branch .LBB751_354
.LBB751_353:                            ;   in Loop: Header=BB751_354 Depth=1
	s_or_b64 exec, exec, s[46:47]
	s_and_b64 s[4:5], exec, s[38:39]
	s_or_b64 s[34:35], s[4:5], s[34:35]
	s_andn2_b64 s[4:5], s[44:45], exec
	s_and_b64 s[44:45], s[40:41], exec
	s_or_b64 s[44:45], s[4:5], s[44:45]
	s_andn2_b64 s[4:5], s[36:37], exec
	s_and_b64 s[36:37], s[2:3], exec
	s_or_b64 s[36:37], s[4:5], s[36:37]
	s_andn2_b64 exec, exec, s[34:35]
	s_cbranch_execz .LBB751_356
.LBB751_354:                            ; =>This Inner Loop Header: Depth=1
	global_load_dwordx2 v[8:9], v[2:3], off
	global_load_dwordx2 v[10:11], v[6:7], off
	s_andn2_b64 s[46:47], s[2:3], exec
	s_andn2_b64 s[40:41], s[40:41], exec
	s_or_b64 s[38:39], s[38:39], exec
	s_waitcnt vmcnt(0)
	v_cmp_ngt_f64_e64 s[2:3], v[8:9], v[10:11]
	v_cmp_lt_f64_e32 vcc, v[8:9], v[10:11]
	s_and_b64 s[2:3], s[2:3], s[44:45]
	s_or_b64 s[48:49], vcc, s[2:3]
	s_and_b64 s[2:3], s[48:49], exec
	v_cmp_nlg_f64_e64 s[4:5], v[8:9], v[10:11]
	s_or_b64 s[2:3], s[46:47], s[2:3]
	s_and_saveexec_b64 s[46:47], s[4:5]
	s_cbranch_execz .LBB751_353
; %bb.355:                              ;   in Loop: Header=BB751_354 Depth=1
	s_add_u32 s42, s42, -1
	s_addc_u32 s43, s43, -1
	v_add_co_u32_e32 v2, vcc, 8, v2
	s_cmp_eq_u64 s[42:43], 0
	v_addc_co_u32_e32 v3, vcc, 0, v3, vcc
	s_cselect_b64 s[4:5], -1, 0
	v_add_co_u32_e32 v6, vcc, 8, v6
	s_andn2_b64 s[40:41], s[40:41], exec
	s_and_b64 s[44:45], s[48:49], exec
	s_andn2_b64 s[38:39], s[38:39], exec
	s_and_b64 s[4:5], s[4:5], exec
	v_addc_co_u32_e32 v7, vcc, 0, v7, vcc
	s_or_b64 s[40:41], s[40:41], s[44:45]
	s_andn2_b64 s[2:3], s[2:3], exec
	s_or_b64 s[38:39], s[38:39], s[4:5]
                                        ; implicit-def: $sgpr44_sgpr45
	s_branch .LBB751_353
.LBB751_356:
	s_or_b64 exec, exec, s[34:35]
	s_xor_b64 s[2:3], s[36:37], -1
	s_andn2_b64 s[4:5], s[28:29], exec
	s_and_b64 s[2:3], s[2:3], exec
	s_or_b64 s[28:29], s[4:5], s[2:3]
.LBB751_357:
	s_or_b64 exec, exec, s[30:31]
	v_cndmask_b32_e64 v2, v19, v17, s[28:29]
	v_cndmask_b32_e64 v3, v16, v15, s[28:29]
	v_add_u32_e32 v6, 1, v2
	v_add_u32_e32 v2, -1, v3
	v_min_u32_e32 v2, v6, v2
	v_lshlrev_b32_e32 v2, 3, v2
	ds_read_b64 v[2:3], v2
	v_cndmask_b32_e64 v19, v6, v19, s[28:29]
	v_cndmask_b32_e64 v34, v17, v6, s[28:29]
	v_cmp_lt_u32_e32 vcc, v19, v16
	s_mov_b64 s[30:31], -1
	s_waitcnt lgkmcnt(0)
	v_cndmask_b32_e64 v8, v3, v5, s[28:29]
	v_cndmask_b32_e64 v9, v2, v4, s[28:29]
	v_cndmask_b32_e64 v10, v1, v3, s[28:29]
	v_cndmask_b32_e64 v11, v0, v2, s[28:29]
	s_mov_b64 s[34:35], -1
	s_and_saveexec_b64 s[36:37], vcc
	s_cbranch_execz .LBB751_365
; %bb.358:
	v_cmp_lt_u32_e64 s[34:35], v34, v15
	s_xor_b64 s[2:3], s[24:25], -1
	s_and_b64 s[2:3], s[34:35], s[2:3]
	s_and_saveexec_b64 s[38:39], s[2:3]
	s_cbranch_execz .LBB751_364
; %bb.359:
	v_mul_lo_u32 v6, v8, s12
	v_mul_lo_u32 v7, v9, s13
	v_mad_u64_u32 v[2:3], s[2:3], v9, s12, 0
	v_add3_u32 v3, v3, v7, v6
	v_lshlrev_b64 v[2:3], 3, v[2:3]
	v_mov_b32_e32 v6, s15
	v_add_co_u32_e32 v2, vcc, s14, v2
	v_addc_co_u32_e32 v3, vcc, v6, v3, vcc
	v_mul_lo_u32 v17, v10, s12
	v_mul_lo_u32 v18, v11, s13
	v_mad_u64_u32 v[6:7], s[2:3], v11, s12, 0
	v_add3_u32 v7, v7, v18, v17
	v_lshlrev_b64 v[6:7], 3, v[6:7]
	v_mov_b32_e32 v17, s15
	v_add_co_u32_e32 v6, vcc, s14, v6
	v_addc_co_u32_e32 v7, vcc, v17, v7, vcc
	s_mov_b64 s[40:41], 0
	s_mov_b64 s[48:49], s[12:13]
                                        ; implicit-def: $sgpr42_sgpr43
                                        ; implicit-def: $sgpr44_sgpr45
                                        ; implicit-def: $sgpr2_sgpr3
                                        ; implicit-def: $sgpr46_sgpr47
                                        ; implicit-def: $sgpr50_sgpr51
	s_branch .LBB751_361
.LBB751_360:                            ;   in Loop: Header=BB751_361 Depth=1
	s_or_b64 exec, exec, s[52:53]
	s_and_b64 s[4:5], exec, s[44:45]
	s_or_b64 s[40:41], s[4:5], s[40:41]
	s_andn2_b64 s[4:5], s[50:51], exec
	s_and_b64 s[50:51], s[46:47], exec
	s_or_b64 s[50:51], s[4:5], s[50:51]
	s_andn2_b64 s[4:5], s[42:43], exec
	s_and_b64 s[42:43], s[2:3], exec
	s_or_b64 s[42:43], s[4:5], s[42:43]
	s_andn2_b64 exec, exec, s[40:41]
	s_cbranch_execz .LBB751_363
.LBB751_361:                            ; =>This Inner Loop Header: Depth=1
	global_load_dwordx2 v[20:21], v[2:3], off
	global_load_dwordx2 v[36:37], v[6:7], off
	s_andn2_b64 s[52:53], s[2:3], exec
	s_andn2_b64 s[46:47], s[46:47], exec
	s_or_b64 s[44:45], s[44:45], exec
	s_waitcnt vmcnt(0)
	v_cmp_ngt_f64_e64 s[2:3], v[20:21], v[36:37]
	v_cmp_lt_f64_e32 vcc, v[20:21], v[36:37]
	s_and_b64 s[2:3], s[2:3], s[50:51]
	s_or_b64 s[54:55], vcc, s[2:3]
	s_and_b64 s[2:3], s[54:55], exec
	v_cmp_nlg_f64_e64 s[4:5], v[20:21], v[36:37]
	s_or_b64 s[2:3], s[52:53], s[2:3]
	s_and_saveexec_b64 s[52:53], s[4:5]
	s_cbranch_execz .LBB751_360
; %bb.362:                              ;   in Loop: Header=BB751_361 Depth=1
	s_add_u32 s48, s48, -1
	s_addc_u32 s49, s49, -1
	v_add_co_u32_e32 v2, vcc, 8, v2
	s_cmp_eq_u64 s[48:49], 0
	v_addc_co_u32_e32 v3, vcc, 0, v3, vcc
	s_cselect_b64 s[4:5], -1, 0
	v_add_co_u32_e32 v6, vcc, 8, v6
	s_andn2_b64 s[46:47], s[46:47], exec
	s_and_b64 s[50:51], s[54:55], exec
	s_andn2_b64 s[44:45], s[44:45], exec
	s_and_b64 s[4:5], s[4:5], exec
	v_addc_co_u32_e32 v7, vcc, 0, v7, vcc
	s_or_b64 s[46:47], s[46:47], s[50:51]
	s_andn2_b64 s[2:3], s[2:3], exec
	s_or_b64 s[44:45], s[44:45], s[4:5]
                                        ; implicit-def: $sgpr50_sgpr51
	s_branch .LBB751_360
.LBB751_363:
	s_or_b64 exec, exec, s[40:41]
	s_xor_b64 s[2:3], s[42:43], -1
	s_andn2_b64 s[4:5], s[34:35], exec
	s_and_b64 s[2:3], s[2:3], exec
	s_or_b64 s[34:35], s[4:5], s[2:3]
.LBB751_364:
	s_or_b64 exec, exec, s[38:39]
	s_orn2_b64 s[34:35], s[34:35], exec
.LBB751_365:
	s_or_b64 exec, exec, s[36:37]
	v_cndmask_b32_e64 v2, v19, v34, s[34:35]
	v_cndmask_b32_e64 v3, v16, v15, s[34:35]
	v_add_u32_e32 v6, 1, v2
	v_add_u32_e32 v2, -1, v3
	v_min_u32_e32 v2, v6, v2
	v_lshlrev_b32_e32 v2, 3, v2
	ds_read_b64 v[2:3], v2
	v_cndmask_b32_e64 v20, v6, v19, s[34:35]
	v_cndmask_b32_e64 v19, v34, v6, s[34:35]
	v_cmp_lt_u32_e32 vcc, v20, v16
	s_waitcnt lgkmcnt(0)
	v_cndmask_b32_e64 v17, v3, v8, s[34:35]
	v_cndmask_b32_e64 v18, v2, v9, s[34:35]
	;; [unrolled: 1-line block ×4, first 2 shown]
	s_and_saveexec_b64 s[36:37], vcc
	s_cbranch_execz .LBB751_373
; %bb.366:
	v_cmp_lt_u32_e64 s[30:31], v19, v15
	s_xor_b64 s[2:3], s[24:25], -1
	s_and_b64 s[2:3], s[30:31], s[2:3]
	s_and_saveexec_b64 s[38:39], s[2:3]
	s_cbranch_execz .LBB751_372
; %bb.367:
	v_mul_lo_u32 v6, v17, s12
	v_mul_lo_u32 v7, v18, s13
	v_mad_u64_u32 v[2:3], s[2:3], v18, s12, 0
	v_add3_u32 v3, v3, v7, v6
	v_lshlrev_b64 v[2:3], 3, v[2:3]
	v_mov_b32_e32 v6, s15
	v_add_co_u32_e32 v2, vcc, s14, v2
	v_addc_co_u32_e32 v3, vcc, v6, v3, vcc
	v_mul_lo_u32 v34, v21, s12
	v_mul_lo_u32 v35, v33, s13
	v_mad_u64_u32 v[6:7], s[2:3], v33, s12, 0
	v_add3_u32 v7, v7, v35, v34
	v_lshlrev_b64 v[6:7], 3, v[6:7]
	v_mov_b32_e32 v34, s15
	v_add_co_u32_e32 v6, vcc, s14, v6
	v_addc_co_u32_e32 v7, vcc, v34, v7, vcc
	s_mov_b64 s[40:41], 0
	s_mov_b64 s[48:49], s[12:13]
                                        ; implicit-def: $sgpr42_sgpr43
                                        ; implicit-def: $sgpr44_sgpr45
                                        ; implicit-def: $sgpr2_sgpr3
                                        ; implicit-def: $sgpr46_sgpr47
                                        ; implicit-def: $sgpr50_sgpr51
	s_branch .LBB751_369
.LBB751_368:                            ;   in Loop: Header=BB751_369 Depth=1
	s_or_b64 exec, exec, s[52:53]
	s_and_b64 s[4:5], exec, s[44:45]
	s_or_b64 s[40:41], s[4:5], s[40:41]
	s_andn2_b64 s[4:5], s[50:51], exec
	s_and_b64 s[50:51], s[46:47], exec
	s_or_b64 s[50:51], s[4:5], s[50:51]
	s_andn2_b64 s[4:5], s[42:43], exec
	s_and_b64 s[42:43], s[2:3], exec
	s_or_b64 s[42:43], s[4:5], s[42:43]
	s_andn2_b64 exec, exec, s[40:41]
	s_cbranch_execz .LBB751_371
.LBB751_369:                            ; =>This Inner Loop Header: Depth=1
	global_load_dwordx2 v[34:35], v[2:3], off
	global_load_dwordx2 v[36:37], v[6:7], off
	s_andn2_b64 s[52:53], s[2:3], exec
	s_andn2_b64 s[46:47], s[46:47], exec
	s_or_b64 s[44:45], s[44:45], exec
	s_waitcnt vmcnt(0)
	v_cmp_ngt_f64_e64 s[2:3], v[34:35], v[36:37]
	v_cmp_lt_f64_e32 vcc, v[34:35], v[36:37]
	s_and_b64 s[2:3], s[2:3], s[50:51]
	s_or_b64 s[54:55], vcc, s[2:3]
	s_and_b64 s[2:3], s[54:55], exec
	v_cmp_nlg_f64_e64 s[4:5], v[34:35], v[36:37]
	s_or_b64 s[2:3], s[52:53], s[2:3]
	s_and_saveexec_b64 s[52:53], s[4:5]
	s_cbranch_execz .LBB751_368
; %bb.370:                              ;   in Loop: Header=BB751_369 Depth=1
	s_add_u32 s48, s48, -1
	s_addc_u32 s49, s49, -1
	v_add_co_u32_e32 v2, vcc, 8, v2
	s_cmp_eq_u64 s[48:49], 0
	v_addc_co_u32_e32 v3, vcc, 0, v3, vcc
	s_cselect_b64 s[4:5], -1, 0
	v_add_co_u32_e32 v6, vcc, 8, v6
	s_andn2_b64 s[46:47], s[46:47], exec
	s_and_b64 s[50:51], s[54:55], exec
	s_andn2_b64 s[44:45], s[44:45], exec
	s_and_b64 s[4:5], s[4:5], exec
	v_addc_co_u32_e32 v7, vcc, 0, v7, vcc
	s_or_b64 s[46:47], s[46:47], s[50:51]
	s_andn2_b64 s[2:3], s[2:3], exec
	s_or_b64 s[44:45], s[44:45], s[4:5]
                                        ; implicit-def: $sgpr50_sgpr51
	s_branch .LBB751_368
.LBB751_371:
	s_or_b64 exec, exec, s[40:41]
	s_xor_b64 s[2:3], s[42:43], -1
	s_andn2_b64 s[4:5], s[30:31], exec
	s_and_b64 s[2:3], s[2:3], exec
	s_or_b64 s[30:31], s[4:5], s[2:3]
.LBB751_372:
	s_or_b64 exec, exec, s[38:39]
	s_orn2_b64 s[30:31], s[30:31], exec
.LBB751_373:
	s_or_b64 exec, exec, s[36:37]
	v_cndmask_b32_e64 v6, v20, v19, s[30:31]
	v_cndmask_b32_e64 v7, v16, v15, s[30:31]
	;; [unrolled: 1-line block ×3, first 2 shown]
	v_add_u32_e32 v10, 1, v6
	v_add_u32_e32 v6, -1, v7
	v_min_u32_e32 v6, v10, v6
	v_lshlrev_b32_e32 v6, 3, v6
	v_cndmask_b32_e64 v2, v9, v11, s[34:35]
	ds_read_b64 v[8:9], v6
	v_cndmask_b32_e64 v11, v10, v20, s[30:31]
	v_cndmask_b32_e64 v1, v5, v1, s[28:29]
	;; [unrolled: 1-line block ×5, first 2 shown]
	s_waitcnt lgkmcnt(0)
	v_cndmask_b32_e64 v7, v21, v9, s[30:31]
	v_cndmask_b32_e64 v6, v33, v8, s[30:31]
	v_cmp_lt_u32_e32 vcc, v11, v16
	s_and_saveexec_b64 s[28:29], vcc
	s_cbranch_execz .LBB751_381
; %bb.374:
	v_cndmask_b32_e64 v16, v9, v17, s[30:31]
	v_cndmask_b32_e64 v17, v8, v18, s[30:31]
	;; [unrolled: 1-line block ×3, first 2 shown]
	v_cmp_ge_u32_e32 vcc, v8, v15
	s_or_b64 s[2:3], vcc, s[24:25]
	v_cndmask_b32_e32 v9, v7, v16, vcc
	s_xor_b64 s[2:3], s[2:3], -1
	v_cndmask_b32_e32 v8, v6, v17, vcc
	s_and_saveexec_b64 s[30:31], s[2:3]
	s_cbranch_execz .LBB751_380
; %bb.375:
	v_mul_lo_u32 v10, v16, s12
	v_mul_lo_u32 v11, v17, s13
	v_mad_u64_u32 v[8:9], s[2:3], v17, s12, 0
	v_add3_u32 v9, v9, v11, v10
	v_lshlrev_b64 v[8:9], 3, v[8:9]
	v_mov_b32_e32 v10, s15
	v_add_co_u32_e32 v8, vcc, s14, v8
	v_addc_co_u32_e32 v9, vcc, v10, v9, vcc
	v_mul_lo_u32 v15, v7, s12
	v_mul_lo_u32 v18, v6, s13
	v_mad_u64_u32 v[10:11], s[2:3], v6, s12, 0
	v_add3_u32 v11, v11, v18, v15
	v_lshlrev_b64 v[10:11], 3, v[10:11]
	v_mov_b32_e32 v15, s15
	v_add_co_u32_e32 v10, vcc, s14, v10
	v_addc_co_u32_e32 v11, vcc, v15, v11, vcc
	s_mov_b64 s[34:35], 0
	s_mov_b64 s[42:43], s[12:13]
                                        ; implicit-def: $sgpr36_sgpr37
                                        ; implicit-def: $sgpr38_sgpr39
                                        ; implicit-def: $sgpr2_sgpr3
                                        ; implicit-def: $sgpr40_sgpr41
                                        ; implicit-def: $sgpr44_sgpr45
	s_branch .LBB751_377
.LBB751_376:                            ;   in Loop: Header=BB751_377 Depth=1
	s_or_b64 exec, exec, s[46:47]
	s_and_b64 s[4:5], exec, s[38:39]
	s_or_b64 s[34:35], s[4:5], s[34:35]
	s_andn2_b64 s[4:5], s[44:45], exec
	s_and_b64 s[44:45], s[40:41], exec
	s_or_b64 s[44:45], s[4:5], s[44:45]
	s_andn2_b64 s[4:5], s[36:37], exec
	s_and_b64 s[36:37], s[2:3], exec
	s_or_b64 s[36:37], s[4:5], s[36:37]
	s_andn2_b64 exec, exec, s[34:35]
	s_cbranch_execz .LBB751_379
.LBB751_377:                            ; =>This Inner Loop Header: Depth=1
	global_load_dwordx2 v[18:19], v[8:9], off
	global_load_dwordx2 v[20:21], v[10:11], off
	s_andn2_b64 s[46:47], s[2:3], exec
	s_andn2_b64 s[40:41], s[40:41], exec
	s_or_b64 s[38:39], s[38:39], exec
	s_waitcnt vmcnt(0)
	v_cmp_ngt_f64_e64 s[2:3], v[18:19], v[20:21]
	v_cmp_lt_f64_e32 vcc, v[18:19], v[20:21]
	s_and_b64 s[2:3], s[2:3], s[44:45]
	s_or_b64 s[48:49], vcc, s[2:3]
	s_and_b64 s[2:3], s[48:49], exec
	v_cmp_nlg_f64_e64 s[4:5], v[18:19], v[20:21]
	s_or_b64 s[2:3], s[46:47], s[2:3]
	s_and_saveexec_b64 s[46:47], s[4:5]
	s_cbranch_execz .LBB751_376
; %bb.378:                              ;   in Loop: Header=BB751_377 Depth=1
	s_add_u32 s42, s42, -1
	s_addc_u32 s43, s43, -1
	v_add_co_u32_e32 v8, vcc, 8, v8
	s_cmp_eq_u64 s[42:43], 0
	v_addc_co_u32_e32 v9, vcc, 0, v9, vcc
	s_cselect_b64 s[4:5], -1, 0
	v_add_co_u32_e32 v10, vcc, 8, v10
	s_andn2_b64 s[40:41], s[40:41], exec
	s_and_b64 s[44:45], s[48:49], exec
	s_andn2_b64 s[38:39], s[38:39], exec
	s_and_b64 s[4:5], s[4:5], exec
	v_addc_co_u32_e32 v11, vcc, 0, v11, vcc
	s_or_b64 s[40:41], s[40:41], s[44:45]
	s_andn2_b64 s[2:3], s[2:3], exec
	s_or_b64 s[38:39], s[38:39], s[4:5]
                                        ; implicit-def: $sgpr44_sgpr45
	s_branch .LBB751_376
.LBB751_379:
	s_or_b64 exec, exec, s[34:35]
	v_cndmask_b32_e64 v9, v7, v16, s[36:37]
	v_cndmask_b32_e64 v8, v6, v17, s[36:37]
.LBB751_380:
	s_or_b64 exec, exec, s[30:31]
	v_pk_mov_b32 v[6:7], v[8:9], v[8:9] op_sel:[0,1]
.LBB751_381:
	s_or_b64 exec, exec, s[28:29]
.LBB751_382:
	s_or_b64 exec, exec, s[26:27]
	v_and_b32_e32 v16, 0xc00, v23
	v_or_b32_e32 v8, 0x200, v16
	s_barrier
	ds_write_b128 v14, v[0:3]
	ds_write_b128 v14, v[4:7] offset:16
	v_min_u32_e32 v14, 0x400, v8
	v_and_b32_e32 v17, 0x3fc, v23
	v_sub_u32_e32 v8, v14, v16
	v_sub_u32_e32 v9, 0x400, v14
	v_sub_u32_e64 v18, v17, v9 clamp
	v_min_u32_e32 v19, v17, v8
	v_lshlrev_b32_e32 v15, 3, v16
	v_cmp_lt_u32_e32 vcc, v18, v19
	s_waitcnt lgkmcnt(0)
	s_barrier
	s_and_saveexec_b64 s[26:27], vcc
	s_cbranch_execz .LBB751_392
; %bb.383:
	v_lshlrev_b32_e32 v8, 3, v17
	v_lshl_add_u32 v20, v14, 3, v8
	s_lshl_b64 s[30:31], s[12:13], 3
	s_mov_b64 s[28:29], 0
	s_branch .LBB751_386
.LBB751_384:                            ;   in Loop: Header=BB751_386 Depth=1
	s_or_b64 exec, exec, s[36:37]
.LBB751_385:                            ;   in Loop: Header=BB751_386 Depth=1
	v_add_u32_e32 v8, 1, v21
	v_cndmask_b32_e64 v19, v19, v21, s[34:35]
	v_cndmask_b32_e64 v18, v8, v18, s[34:35]
	v_cmp_ge_u32_e32 vcc, v18, v19
	s_or_b64 s[28:29], vcc, s[28:29]
	s_andn2_b64 exec, exec, s[28:29]
	s_cbranch_execz .LBB751_391
.LBB751_386:                            ; =>This Loop Header: Depth=1
                                        ;     Child Loop BB751_389 Depth 2
	v_add_u32_e32 v8, v19, v18
	v_lshrrev_b32_e32 v21, 1, v8
	s_and_b64 vcc, exec, s[0:1]
	s_mov_b64 s[34:35], 0
	s_cbranch_vccnz .LBB751_385
; %bb.387:                              ;   in Loop: Header=BB751_386 Depth=1
	v_not_b32_e32 v8, v21
	v_lshl_add_u32 v8, v8, 3, v20
	ds_read_b64 v[8:9], v8
	v_lshl_add_u32 v33, v21, 3, v15
	ds_read_b64 v[34:35], v33
	v_pk_mov_b32 v[10:11], s[14:15], s[14:15] op_sel:[0,1]
	s_mov_b64 s[36:37], 0
	s_waitcnt lgkmcnt(1)
	v_mul_lo_u32 v33, s30, v9
	v_mul_lo_u32 v36, s31, v8
	v_mad_u64_u32 v[8:9], s[2:3], s30, v8, v[10:11]
	v_add3_u32 v9, v36, v9, v33
	s_waitcnt lgkmcnt(0)
	v_mul_lo_u32 v33, s30, v35
	v_mul_lo_u32 v35, s31, v34
	v_mad_u64_u32 v[10:11], s[2:3], s30, v34, v[10:11]
	v_add3_u32 v11, v35, v11, v33
	s_mov_b64 s[42:43], s[12:13]
                                        ; implicit-def: $sgpr34_sgpr35
                                        ; implicit-def: $sgpr38_sgpr39
                                        ; implicit-def: $sgpr40_sgpr41
                                        ; implicit-def: $sgpr2_sgpr3
                                        ; implicit-def: $sgpr44_sgpr45
	s_branch .LBB751_389
.LBB751_388:                            ;   in Loop: Header=BB751_389 Depth=2
	s_or_b64 exec, exec, s[46:47]
	s_and_b64 s[4:5], exec, s[38:39]
	s_or_b64 s[36:37], s[4:5], s[36:37]
	s_andn2_b64 s[4:5], s[44:45], exec
	s_and_b64 s[44:45], s[40:41], exec
	s_or_b64 s[44:45], s[4:5], s[44:45]
	s_andn2_b64 s[4:5], s[34:35], exec
	s_and_b64 s[34:35], s[2:3], exec
	s_or_b64 s[34:35], s[4:5], s[34:35]
	s_andn2_b64 exec, exec, s[36:37]
	s_cbranch_execz .LBB751_384
.LBB751_389:                            ;   Parent Loop BB751_386 Depth=1
                                        ; =>  This Inner Loop Header: Depth=2
	global_load_dwordx2 v[34:35], v[8:9], off
	global_load_dwordx2 v[36:37], v[10:11], off
	s_andn2_b64 s[46:47], s[2:3], exec
	s_andn2_b64 s[40:41], s[40:41], exec
	s_or_b64 s[38:39], s[38:39], exec
	s_waitcnt vmcnt(0)
	v_cmp_ngt_f64_e64 s[2:3], v[34:35], v[36:37]
	v_cmp_lt_f64_e32 vcc, v[34:35], v[36:37]
	s_and_b64 s[2:3], s[2:3], s[44:45]
	s_or_b64 s[48:49], vcc, s[2:3]
	s_and_b64 s[2:3], s[48:49], exec
	v_cmp_nlg_f64_e64 s[4:5], v[34:35], v[36:37]
	s_or_b64 s[2:3], s[46:47], s[2:3]
	s_and_saveexec_b64 s[46:47], s[4:5]
	s_cbranch_execz .LBB751_388
; %bb.390:                              ;   in Loop: Header=BB751_389 Depth=2
	s_add_u32 s42, s42, -1
	s_addc_u32 s43, s43, -1
	v_add_co_u32_e32 v8, vcc, 8, v8
	s_cmp_eq_u64 s[42:43], 0
	v_addc_co_u32_e32 v9, vcc, 0, v9, vcc
	s_cselect_b64 s[4:5], -1, 0
	v_add_co_u32_e32 v10, vcc, 8, v10
	s_andn2_b64 s[40:41], s[40:41], exec
	s_and_b64 s[44:45], s[48:49], exec
	s_andn2_b64 s[38:39], s[38:39], exec
	s_and_b64 s[4:5], s[4:5], exec
	v_addc_co_u32_e32 v11, vcc, 0, v11, vcc
	s_andn2_b64 s[2:3], s[2:3], exec
	s_or_b64 s[40:41], s[40:41], s[44:45]
	s_or_b64 s[38:39], s[38:39], s[4:5]
                                        ; implicit-def: $sgpr44_sgpr45
	s_branch .LBB751_388
.LBB751_391:
	s_or_b64 exec, exec, s[28:29]
.LBB751_392:
	s_or_b64 exec, exec, s[26:27]
	v_sub_u32_e32 v8, v17, v18
	v_add_u32_e32 v16, v18, v16
	v_add_u32_e32 v17, v8, v14
	s_movk_i32 s0, 0x401
	v_cmp_le_u32_e32 vcc, v16, v14
	v_cmp_gt_u32_e64 s[0:1], s0, v17
	s_or_b64 s[0:1], vcc, s[0:1]
	s_and_saveexec_b64 s[4:5], s[0:1]
	s_cbranch_execz .LBB751_428
; %bb.393:
	v_cmp_ge_u32_e32 vcc, v16, v14
	v_cmp_lt_u32_e64 s[0:1], v16, v14
                                        ; implicit-def: $vgpr0_vgpr1
	s_and_saveexec_b64 s[2:3], s[0:1]
	s_cbranch_execz .LBB751_395
; %bb.394:
	v_lshl_add_u32 v0, v18, 3, v15
	ds_read_b64 v[0:1], v0
.LBB751_395:
	s_or_b64 exec, exec, s[2:3]
	s_movk_i32 s0, 0x3ff
	s_movk_i32 s2, 0x400
	v_cmp_lt_u32_e64 s[0:1], s0, v17
	v_cmp_gt_u32_e64 s[2:3], s2, v17
                                        ; implicit-def: $vgpr4_vgpr5
	s_and_saveexec_b64 s[26:27], s[2:3]
	s_cbranch_execz .LBB751_397
; %bb.396:
	v_lshlrev_b32_e32 v2, 3, v17
	ds_read_b64 v[4:5], v2
.LBB751_397:
	s_or_b64 exec, exec, s[26:27]
	s_or_b64 s[2:3], vcc, s[0:1]
	s_or_b64 s[2:3], s[2:3], s[24:25]
	s_xor_b64 s[26:27], vcc, -1
	s_xor_b64 s[2:3], s[2:3], -1
	s_or_b64 s[26:27], s[0:1], s[26:27]
	s_and_saveexec_b64 s[28:29], s[2:3]
	s_cbranch_execz .LBB751_403
; %bb.398:
	s_waitcnt lgkmcnt(0)
	v_mul_lo_u32 v6, v5, s12
	v_mul_lo_u32 v7, v4, s13
	v_mad_u64_u32 v[2:3], s[0:1], v4, s12, 0
	v_add3_u32 v3, v3, v7, v6
	v_lshlrev_b64 v[2:3], 3, v[2:3]
	v_mov_b32_e32 v6, s15
	v_add_co_u32_e32 v2, vcc, s14, v2
	v_addc_co_u32_e32 v3, vcc, v6, v3, vcc
	v_mul_lo_u32 v8, v1, s12
	v_mul_lo_u32 v9, v0, s13
	v_mad_u64_u32 v[6:7], s[0:1], v0, s12, 0
	v_add3_u32 v7, v7, v9, v8
	v_lshlrev_b64 v[6:7], 3, v[6:7]
	v_mov_b32_e32 v8, s15
	v_add_co_u32_e32 v6, vcc, s14, v6
	v_addc_co_u32_e32 v7, vcc, v8, v7, vcc
	s_mov_b64 s[30:31], 0
	s_mov_b64 s[40:41], s[12:13]
                                        ; implicit-def: $sgpr34_sgpr35
                                        ; implicit-def: $sgpr36_sgpr37
                                        ; implicit-def: $sgpr0_sgpr1
                                        ; implicit-def: $sgpr38_sgpr39
                                        ; implicit-def: $sgpr42_sgpr43
	s_branch .LBB751_400
.LBB751_399:                            ;   in Loop: Header=BB751_400 Depth=1
	s_or_b64 exec, exec, s[44:45]
	s_and_b64 s[2:3], exec, s[36:37]
	s_or_b64 s[30:31], s[2:3], s[30:31]
	s_andn2_b64 s[2:3], s[42:43], exec
	s_and_b64 s[42:43], s[38:39], exec
	s_or_b64 s[42:43], s[2:3], s[42:43]
	s_andn2_b64 s[2:3], s[34:35], exec
	s_and_b64 s[34:35], s[0:1], exec
	s_or_b64 s[34:35], s[2:3], s[34:35]
	s_andn2_b64 exec, exec, s[30:31]
	s_cbranch_execz .LBB751_402
.LBB751_400:                            ; =>This Inner Loop Header: Depth=1
	global_load_dwordx2 v[8:9], v[2:3], off
	global_load_dwordx2 v[10:11], v[6:7], off
	s_andn2_b64 s[44:45], s[0:1], exec
	s_andn2_b64 s[38:39], s[38:39], exec
	s_or_b64 s[36:37], s[36:37], exec
	s_waitcnt vmcnt(0)
	v_cmp_ngt_f64_e64 s[0:1], v[8:9], v[10:11]
	v_cmp_lt_f64_e32 vcc, v[8:9], v[10:11]
	s_and_b64 s[0:1], s[0:1], s[42:43]
	s_or_b64 s[46:47], vcc, s[0:1]
	s_and_b64 s[0:1], s[46:47], exec
	v_cmp_nlg_f64_e64 s[2:3], v[8:9], v[10:11]
	s_or_b64 s[0:1], s[44:45], s[0:1]
	s_and_saveexec_b64 s[44:45], s[2:3]
	s_cbranch_execz .LBB751_399
; %bb.401:                              ;   in Loop: Header=BB751_400 Depth=1
	s_add_u32 s40, s40, -1
	s_addc_u32 s41, s41, -1
	v_add_co_u32_e32 v2, vcc, 8, v2
	s_cmp_eq_u64 s[40:41], 0
	v_addc_co_u32_e32 v3, vcc, 0, v3, vcc
	s_cselect_b64 s[2:3], -1, 0
	v_add_co_u32_e32 v6, vcc, 8, v6
	s_andn2_b64 s[38:39], s[38:39], exec
	s_and_b64 s[42:43], s[46:47], exec
	s_andn2_b64 s[36:37], s[36:37], exec
	s_and_b64 s[2:3], s[2:3], exec
	v_addc_co_u32_e32 v7, vcc, 0, v7, vcc
	s_or_b64 s[38:39], s[38:39], s[42:43]
	s_andn2_b64 s[0:1], s[0:1], exec
	s_or_b64 s[36:37], s[36:37], s[2:3]
                                        ; implicit-def: $sgpr42_sgpr43
	s_branch .LBB751_399
.LBB751_402:
	s_or_b64 exec, exec, s[30:31]
	s_xor_b64 s[0:1], s[34:35], -1
	s_andn2_b64 s[2:3], s[26:27], exec
	s_and_b64 s[0:1], s[0:1], exec
	s_or_b64 s[26:27], s[2:3], s[0:1]
.LBB751_403:
	s_or_b64 exec, exec, s[28:29]
	v_cndmask_b32_e64 v2, v17, v16, s[26:27]
	v_add_u32_e32 v8, -1, v14
	v_mov_b32_e32 v18, 0x3ff
	v_add_u32_e32 v6, 1, v2
	v_cndmask_b32_e64 v2, v18, v8, s[26:27]
	v_min_u32_e32 v2, v6, v2
	v_lshlrev_b32_e32 v2, 3, v2
	ds_read_b64 v[2:3], v2
	v_cndmask_b32_e64 v19, v6, v17, s[26:27]
	s_movk_i32 s7, 0x400
	v_cndmask_b32_e64 v33, v16, v6, s[26:27]
	v_cmp_gt_u32_e32 vcc, s7, v19
	s_waitcnt lgkmcnt(0)
	v_cndmask_b32_e64 v9, v3, v5, s[26:27]
	v_cndmask_b32_e64 v10, v2, v4, s[26:27]
	;; [unrolled: 1-line block ×4, first 2 shown]
	s_mov_b64 s[28:29], -1
	s_mov_b64 s[30:31], -1
	s_and_saveexec_b64 s[34:35], vcc
	s_cbranch_execz .LBB751_411
; %bb.404:
	v_cmp_lt_u32_e64 s[30:31], v33, v14
	s_xor_b64 s[0:1], s[24:25], -1
	s_and_b64 s[0:1], s[30:31], s[0:1]
	s_and_saveexec_b64 s[36:37], s[0:1]
	s_cbranch_execz .LBB751_410
; %bb.405:
	v_mul_lo_u32 v6, v9, s12
	v_mul_lo_u32 v7, v10, s13
	v_mad_u64_u32 v[2:3], s[0:1], v10, s12, 0
	v_add3_u32 v3, v3, v7, v6
	v_lshlrev_b64 v[2:3], 3, v[2:3]
	v_mov_b32_e32 v6, s15
	v_add_co_u32_e32 v2, vcc, s14, v2
	v_addc_co_u32_e32 v3, vcc, v6, v3, vcc
	v_mul_lo_u32 v16, v11, s12
	v_mul_lo_u32 v17, v15, s13
	v_mad_u64_u32 v[6:7], s[0:1], v15, s12, 0
	v_add3_u32 v7, v7, v17, v16
	v_lshlrev_b64 v[6:7], 3, v[6:7]
	v_mov_b32_e32 v16, s15
	v_add_co_u32_e32 v6, vcc, s14, v6
	v_addc_co_u32_e32 v7, vcc, v16, v7, vcc
	s_mov_b64 s[38:39], 0
	s_mov_b64 s[46:47], s[12:13]
                                        ; implicit-def: $sgpr40_sgpr41
                                        ; implicit-def: $sgpr42_sgpr43
                                        ; implicit-def: $sgpr0_sgpr1
                                        ; implicit-def: $sgpr44_sgpr45
                                        ; implicit-def: $sgpr48_sgpr49
	s_branch .LBB751_407
.LBB751_406:                            ;   in Loop: Header=BB751_407 Depth=1
	s_or_b64 exec, exec, s[50:51]
	s_and_b64 s[2:3], exec, s[42:43]
	s_or_b64 s[38:39], s[2:3], s[38:39]
	s_andn2_b64 s[2:3], s[48:49], exec
	s_and_b64 s[48:49], s[44:45], exec
	s_or_b64 s[48:49], s[2:3], s[48:49]
	s_andn2_b64 s[2:3], s[40:41], exec
	s_and_b64 s[40:41], s[0:1], exec
	s_or_b64 s[40:41], s[2:3], s[40:41]
	s_andn2_b64 exec, exec, s[38:39]
	s_cbranch_execz .LBB751_409
.LBB751_407:                            ; =>This Inner Loop Header: Depth=1
	global_load_dwordx2 v[16:17], v[2:3], off
	global_load_dwordx2 v[20:21], v[6:7], off
	s_andn2_b64 s[50:51], s[0:1], exec
	s_andn2_b64 s[44:45], s[44:45], exec
	s_or_b64 s[42:43], s[42:43], exec
	s_waitcnt vmcnt(0)
	v_cmp_ngt_f64_e64 s[0:1], v[16:17], v[20:21]
	v_cmp_lt_f64_e32 vcc, v[16:17], v[20:21]
	s_and_b64 s[0:1], s[0:1], s[48:49]
	s_or_b64 s[52:53], vcc, s[0:1]
	s_and_b64 s[0:1], s[52:53], exec
	v_cmp_nlg_f64_e64 s[2:3], v[16:17], v[20:21]
	s_or_b64 s[0:1], s[50:51], s[0:1]
	s_and_saveexec_b64 s[50:51], s[2:3]
	s_cbranch_execz .LBB751_406
; %bb.408:                              ;   in Loop: Header=BB751_407 Depth=1
	s_add_u32 s46, s46, -1
	s_addc_u32 s47, s47, -1
	v_add_co_u32_e32 v2, vcc, 8, v2
	s_cmp_eq_u64 s[46:47], 0
	v_addc_co_u32_e32 v3, vcc, 0, v3, vcc
	s_cselect_b64 s[2:3], -1, 0
	v_add_co_u32_e32 v6, vcc, 8, v6
	s_andn2_b64 s[44:45], s[44:45], exec
	s_and_b64 s[48:49], s[52:53], exec
	s_andn2_b64 s[42:43], s[42:43], exec
	s_and_b64 s[2:3], s[2:3], exec
	v_addc_co_u32_e32 v7, vcc, 0, v7, vcc
	s_or_b64 s[44:45], s[44:45], s[48:49]
	s_andn2_b64 s[0:1], s[0:1], exec
	s_or_b64 s[42:43], s[42:43], s[2:3]
                                        ; implicit-def: $sgpr48_sgpr49
	s_branch .LBB751_406
.LBB751_409:
	s_or_b64 exec, exec, s[38:39]
	s_xor_b64 s[0:1], s[40:41], -1
	s_andn2_b64 s[2:3], s[30:31], exec
	s_and_b64 s[0:1], s[0:1], exec
	s_or_b64 s[30:31], s[2:3], s[0:1]
.LBB751_410:
	s_or_b64 exec, exec, s[36:37]
	s_orn2_b64 s[30:31], s[30:31], exec
.LBB751_411:
	s_or_b64 exec, exec, s[34:35]
	v_cndmask_b32_e64 v2, v19, v33, s[30:31]
	v_add_u32_e32 v6, 1, v2
	v_cndmask_b32_e64 v2, v18, v8, s[30:31]
	v_min_u32_e32 v2, v6, v2
	v_lshlrev_b32_e32 v2, 3, v2
	ds_read_b64 v[2:3], v2
	v_cndmask_b32_e64 v19, v6, v19, s[30:31]
	v_cndmask_b32_e64 v18, v33, v6, s[30:31]
	v_cmp_gt_u32_e32 vcc, s7, v19
	s_waitcnt lgkmcnt(0)
	v_cndmask_b32_e64 v16, v3, v9, s[30:31]
	v_cndmask_b32_e64 v17, v2, v10, s[30:31]
	;; [unrolled: 1-line block ×4, first 2 shown]
	s_and_saveexec_b64 s[34:35], vcc
	s_cbranch_execz .LBB751_419
; %bb.412:
	v_cmp_lt_u32_e64 s[28:29], v18, v14
	s_xor_b64 s[0:1], s[24:25], -1
	s_and_b64 s[0:1], s[28:29], s[0:1]
	s_and_saveexec_b64 s[36:37], s[0:1]
	s_cbranch_execz .LBB751_418
; %bb.413:
	v_mul_lo_u32 v6, v16, s12
	v_mul_lo_u32 v7, v17, s13
	v_mad_u64_u32 v[2:3], s[0:1], v17, s12, 0
	v_add3_u32 v3, v3, v7, v6
	v_lshlrev_b64 v[2:3], 3, v[2:3]
	v_mov_b32_e32 v6, s15
	v_add_co_u32_e32 v2, vcc, s14, v2
	v_addc_co_u32_e32 v3, vcc, v6, v3, vcc
	v_mul_lo_u32 v33, v20, s12
	v_mul_lo_u32 v34, v21, s13
	v_mad_u64_u32 v[6:7], s[0:1], v21, s12, 0
	v_add3_u32 v7, v7, v34, v33
	v_lshlrev_b64 v[6:7], 3, v[6:7]
	v_mov_b32_e32 v33, s15
	v_add_co_u32_e32 v6, vcc, s14, v6
	v_addc_co_u32_e32 v7, vcc, v33, v7, vcc
	s_mov_b64 s[38:39], 0
	s_mov_b64 s[46:47], s[12:13]
                                        ; implicit-def: $sgpr40_sgpr41
                                        ; implicit-def: $sgpr42_sgpr43
                                        ; implicit-def: $sgpr0_sgpr1
                                        ; implicit-def: $sgpr44_sgpr45
                                        ; implicit-def: $sgpr48_sgpr49
	s_branch .LBB751_415
.LBB751_414:                            ;   in Loop: Header=BB751_415 Depth=1
	s_or_b64 exec, exec, s[50:51]
	s_and_b64 s[2:3], exec, s[42:43]
	s_or_b64 s[38:39], s[2:3], s[38:39]
	s_andn2_b64 s[2:3], s[48:49], exec
	s_and_b64 s[48:49], s[44:45], exec
	s_or_b64 s[48:49], s[2:3], s[48:49]
	s_andn2_b64 s[2:3], s[40:41], exec
	s_and_b64 s[40:41], s[0:1], exec
	s_or_b64 s[40:41], s[2:3], s[40:41]
	s_andn2_b64 exec, exec, s[38:39]
	s_cbranch_execz .LBB751_417
.LBB751_415:                            ; =>This Inner Loop Header: Depth=1
	global_load_dwordx2 v[34:35], v[2:3], off
	global_load_dwordx2 v[36:37], v[6:7], off
	s_andn2_b64 s[50:51], s[0:1], exec
	s_andn2_b64 s[44:45], s[44:45], exec
	s_or_b64 s[42:43], s[42:43], exec
	s_waitcnt vmcnt(0)
	v_cmp_ngt_f64_e64 s[0:1], v[34:35], v[36:37]
	v_cmp_lt_f64_e32 vcc, v[34:35], v[36:37]
	s_and_b64 s[0:1], s[0:1], s[48:49]
	s_or_b64 s[52:53], vcc, s[0:1]
	s_and_b64 s[0:1], s[52:53], exec
	v_cmp_nlg_f64_e64 s[2:3], v[34:35], v[36:37]
	s_or_b64 s[0:1], s[50:51], s[0:1]
	s_and_saveexec_b64 s[50:51], s[2:3]
	s_cbranch_execz .LBB751_414
; %bb.416:                              ;   in Loop: Header=BB751_415 Depth=1
	s_add_u32 s46, s46, -1
	s_addc_u32 s47, s47, -1
	v_add_co_u32_e32 v2, vcc, 8, v2
	s_cmp_eq_u64 s[46:47], 0
	v_addc_co_u32_e32 v3, vcc, 0, v3, vcc
	s_cselect_b64 s[2:3], -1, 0
	v_add_co_u32_e32 v6, vcc, 8, v6
	s_andn2_b64 s[44:45], s[44:45], exec
	s_and_b64 s[48:49], s[52:53], exec
	s_andn2_b64 s[42:43], s[42:43], exec
	s_and_b64 s[2:3], s[2:3], exec
	v_addc_co_u32_e32 v7, vcc, 0, v7, vcc
	s_or_b64 s[44:45], s[44:45], s[48:49]
	s_andn2_b64 s[0:1], s[0:1], exec
	s_or_b64 s[42:43], s[42:43], s[2:3]
                                        ; implicit-def: $sgpr48_sgpr49
	s_branch .LBB751_414
.LBB751_417:
	s_or_b64 exec, exec, s[38:39]
	s_xor_b64 s[0:1], s[40:41], -1
	s_andn2_b64 s[2:3], s[28:29], exec
	s_and_b64 s[0:1], s[0:1], exec
	s_or_b64 s[28:29], s[2:3], s[0:1]
.LBB751_418:
	s_or_b64 exec, exec, s[36:37]
	s_orn2_b64 s[28:29], s[28:29], exec
.LBB751_419:
	s_or_b64 exec, exec, s[34:35]
	v_cndmask_b32_e64 v6, v19, v18, s[28:29]
	v_cndmask_b32_e64 v2, v10, v15, s[30:31]
	v_add_u32_e32 v10, 1, v6
	v_mov_b32_e32 v6, 0x3ff
	v_cndmask_b32_e64 v6, v6, v8, s[28:29]
	v_min_u32_e32 v6, v10, v6
	v_lshlrev_b32_e32 v6, 3, v6
	v_cndmask_b32_e64 v3, v9, v11, s[30:31]
	ds_read_b64 v[8:9], v6
	v_cndmask_b32_e64 v11, v10, v19, s[28:29]
	s_movk_i32 s0, 0x400
	v_cndmask_b32_e64 v1, v5, v1, s[26:27]
	v_cndmask_b32_e64 v0, v4, v0, s[26:27]
	;; [unrolled: 1-line block ×4, first 2 shown]
	s_waitcnt lgkmcnt(0)
	v_cndmask_b32_e64 v7, v20, v9, s[28:29]
	v_cndmask_b32_e64 v6, v21, v8, s[28:29]
	v_cmp_gt_u32_e32 vcc, s0, v11
	s_and_saveexec_b64 s[26:27], vcc
	s_cbranch_execz .LBB751_427
; %bb.420:
	v_cndmask_b32_e64 v15, v9, v16, s[28:29]
	v_cndmask_b32_e64 v16, v8, v17, s[28:29]
	;; [unrolled: 1-line block ×3, first 2 shown]
	v_cmp_ge_u32_e32 vcc, v8, v14
	s_or_b64 s[0:1], vcc, s[24:25]
	v_cndmask_b32_e32 v9, v7, v15, vcc
	s_xor_b64 s[0:1], s[0:1], -1
	v_cndmask_b32_e32 v8, v6, v16, vcc
	s_and_saveexec_b64 s[24:25], s[0:1]
	s_cbranch_execz .LBB751_426
; %bb.421:
	v_mul_lo_u32 v10, v15, s12
	v_mul_lo_u32 v11, v16, s13
	v_mad_u64_u32 v[8:9], s[0:1], v16, s12, 0
	v_add3_u32 v9, v9, v11, v10
	v_lshlrev_b64 v[8:9], 3, v[8:9]
	v_mov_b32_e32 v10, s15
	v_add_co_u32_e32 v8, vcc, s14, v8
	v_addc_co_u32_e32 v9, vcc, v10, v9, vcc
	v_mul_lo_u32 v14, v7, s12
	v_mul_lo_u32 v17, v6, s13
	v_mad_u64_u32 v[10:11], s[0:1], v6, s12, 0
	v_add3_u32 v11, v11, v17, v14
	v_lshlrev_b64 v[10:11], 3, v[10:11]
	v_mov_b32_e32 v14, s15
	v_add_co_u32_e32 v10, vcc, s14, v10
	v_addc_co_u32_e32 v11, vcc, v14, v11, vcc
	s_mov_b64 s[28:29], 0
	s_mov_b64 s[38:39], s[12:13]
                                        ; implicit-def: $sgpr30_sgpr31
                                        ; implicit-def: $sgpr34_sgpr35
                                        ; implicit-def: $sgpr0_sgpr1
                                        ; implicit-def: $sgpr36_sgpr37
                                        ; implicit-def: $sgpr40_sgpr41
	s_branch .LBB751_423
.LBB751_422:                            ;   in Loop: Header=BB751_423 Depth=1
	s_or_b64 exec, exec, s[42:43]
	s_and_b64 s[2:3], exec, s[34:35]
	s_or_b64 s[28:29], s[2:3], s[28:29]
	s_andn2_b64 s[2:3], s[40:41], exec
	s_and_b64 s[40:41], s[36:37], exec
	s_or_b64 s[40:41], s[2:3], s[40:41]
	s_andn2_b64 s[2:3], s[30:31], exec
	s_and_b64 s[30:31], s[0:1], exec
	s_or_b64 s[30:31], s[2:3], s[30:31]
	s_andn2_b64 exec, exec, s[28:29]
	s_cbranch_execz .LBB751_425
.LBB751_423:                            ; =>This Inner Loop Header: Depth=1
	global_load_dwordx2 v[18:19], v[8:9], off
	global_load_dwordx2 v[20:21], v[10:11], off
	s_andn2_b64 s[42:43], s[0:1], exec
	s_andn2_b64 s[36:37], s[36:37], exec
	s_or_b64 s[34:35], s[34:35], exec
	s_waitcnt vmcnt(0)
	v_cmp_ngt_f64_e64 s[0:1], v[18:19], v[20:21]
	v_cmp_lt_f64_e32 vcc, v[18:19], v[20:21]
	s_and_b64 s[0:1], s[0:1], s[40:41]
	s_or_b64 s[44:45], vcc, s[0:1]
	s_and_b64 s[0:1], s[44:45], exec
	v_cmp_nlg_f64_e64 s[2:3], v[18:19], v[20:21]
	s_or_b64 s[0:1], s[42:43], s[0:1]
	s_and_saveexec_b64 s[42:43], s[2:3]
	s_cbranch_execz .LBB751_422
; %bb.424:                              ;   in Loop: Header=BB751_423 Depth=1
	s_add_u32 s38, s38, -1
	s_addc_u32 s39, s39, -1
	v_add_co_u32_e32 v8, vcc, 8, v8
	s_cmp_eq_u64 s[38:39], 0
	v_addc_co_u32_e32 v9, vcc, 0, v9, vcc
	s_cselect_b64 s[2:3], -1, 0
	v_add_co_u32_e32 v10, vcc, 8, v10
	s_andn2_b64 s[36:37], s[36:37], exec
	s_and_b64 s[40:41], s[44:45], exec
	s_andn2_b64 s[34:35], s[34:35], exec
	s_and_b64 s[2:3], s[2:3], exec
	v_addc_co_u32_e32 v11, vcc, 0, v11, vcc
	s_or_b64 s[36:37], s[36:37], s[40:41]
	s_andn2_b64 s[0:1], s[0:1], exec
	s_or_b64 s[34:35], s[34:35], s[2:3]
                                        ; implicit-def: $sgpr40_sgpr41
	s_branch .LBB751_422
.LBB751_425:
	s_or_b64 exec, exec, s[28:29]
	v_cndmask_b32_e64 v9, v7, v15, s[30:31]
	v_cndmask_b32_e64 v8, v6, v16, s[30:31]
.LBB751_426:
	s_or_b64 exec, exec, s[24:25]
	v_pk_mov_b32 v[6:7], v[8:9], v[8:9] op_sel:[0,1]
.LBB751_427:
	s_or_b64 exec, exec, s[26:27]
.LBB751_428:
	s_or_b64 exec, exec, s[4:5]
	s_barrier
	s_barrier
	ds_write2_b64 v29, v[0:1], v[2:3] offset1:1
	ds_write2_b64 v29, v[4:5], v[6:7] offset0:2 offset1:3
	s_waitcnt lgkmcnt(0)
	s_barrier
	ds_read_b64 v[2:3], v28
	ds_read_b64 v[4:5], v30 offset:2048
	ds_read_b64 v[6:7], v31 offset:4096
	;; [unrolled: 1-line block ×3, first 2 shown]
	v_mov_b32_e32 v8, s17
	v_add_co_u32_e32 v9, vcc, s16, v22
	v_addc_co_u32_e32 v8, vcc, 0, v8, vcc
	s_waitcnt lgkmcnt(3)
	global_store_dwordx2 v22, v[2:3], s[16:17]
	s_waitcnt lgkmcnt(2)
	global_store_dwordx2 v22, v[4:5], s[16:17] offset:2048
	v_add_co_u32_e32 v2, vcc, 0x1000, v9
	v_addc_co_u32_e32 v3, vcc, 0, v8, vcc
	s_waitcnt lgkmcnt(1)
	global_store_dwordx2 v[2:3], v[6:7], off
	s_mov_b64 s[24:25], -1
	s_branch .LBB751_723
.LBB751_429:
	s_lshl_b64 s[0:1], s[20:21], 10
	s_sub_i32 s33, s22, s0
	v_cmp_gt_u32_e64 s[0:1], s33, v12
                                        ; implicit-def: $vgpr0_vgpr1_vgpr2_vgpr3_vgpr4_vgpr5_vgpr6_vgpr7
	s_and_saveexec_b64 s[2:3], s[0:1]
	s_cbranch_execz .LBB751_431
; %bb.430:
	s_waitcnt lgkmcnt(0)
	global_load_dwordx2 v[0:1], v22, s[8:9]
.LBB751_431:
	s_or_b64 exec, exec, s[2:3]
	v_add_u32_e32 v8, 0x100, v12
	v_cmp_gt_u32_e64 s[2:3], s33, v8
	s_and_saveexec_b64 s[4:5], s[2:3]
	s_cbranch_execz .LBB751_433
; %bb.432:
	global_load_dwordx2 v[2:3], v22, s[8:9] offset:2048
.LBB751_433:
	s_or_b64 exec, exec, s[4:5]
	v_add_u32_e32 v9, 0x200, v12
	v_cmp_gt_u32_e64 s[4:5], s33, v9
	s_and_saveexec_b64 s[20:21], s[4:5]
	s_cbranch_execz .LBB751_435
; %bb.434:
	v_lshlrev_b32_e32 v4, 3, v9
	global_load_dwordx2 v[4:5], v4, s[8:9]
.LBB751_435:
	s_or_b64 exec, exec, s[20:21]
	v_add_u32_e32 v10, 0x300, v12
	v_cmp_gt_u32_e64 s[24:25], s33, v10
	s_and_saveexec_b64 s[20:21], s[24:25]
	s_cbranch_execz .LBB751_437
; %bb.436:
	v_lshlrev_b32_e32 v6, 3, v10
	global_load_dwordx2 v[6:7], v6, s[8:9]
.LBB751_437:
	s_or_b64 exec, exec, s[20:21]
	v_and_b32_e32 v11, 0xf8, v27
	v_add_u32_e32 v14, v11, v22
	s_waitcnt vmcnt(0) lgkmcnt(0)
	ds_write_b64 v14, v[0:1]
	v_lshrrev_b32_e32 v0, 2, v8
	v_and_b32_e32 v0, 0x1f8, v0
	v_add_u32_e32 v13, v0, v22
	v_lshrrev_b32_e32 v0, 2, v9
	v_and_b32_e32 v0, 0x1f8, v0
	v_add_u32_e32 v15, v0, v22
	;; [unrolled: 3-line block ×3, first 2 shown]
	v_add_lshl_u32 v17, v26, v23, 3
	ds_write_b64 v13, v[2:3] offset:2048
	ds_write_b64 v15, v[4:5] offset:4096
	;; [unrolled: 1-line block ×3, first 2 shown]
	s_waitcnt lgkmcnt(0)
	s_barrier
	ds_read2_b64 v[0:3], v17 offset1:1
	ds_read2_b64 v[4:7], v17 offset0:2 offset1:3
	s_waitcnt lgkmcnt(0)
	s_barrier
	s_load_dword s7, s[10:11], 0xc
	v_mov_b32_e32 v8, 0
	s_mov_b64 s[26:27], 0
	s_waitcnt lgkmcnt(0)
	s_lshr_b32 s8, s7, 16
	s_cmp_lt_u32 s6, s18
	s_cselect_b32 s6, 12, 18
	s_add_u32 s6, s10, s6
	s_addc_u32 s7, s11, 0
	global_load_ushort v8, v8, s[6:7]
	v_mad_u32_u24 v9, v25, s8, v24
	v_cmp_gt_i64_e64 s[10:11], s[12:13], 0
	v_cmp_lt_i64_e64 s[18:19], s[12:13], 1
	s_waitcnt vmcnt(0)
	v_mul_lo_u32 v8, v9, v8
	v_add_lshl_u32 v18, v8, v12, 2
	v_sub_u32_e64 v19, s33, v18 clamp
	v_cmp_lt_u32_e32 vcc, 1, v19
	s_and_b64 s[22:23], vcc, s[10:11]
	s_and_saveexec_b64 s[20:21], s[22:23]
	s_cbranch_execz .LBB751_445
; %bb.438:
	v_mul_lo_u32 v10, v3, s12
	v_mul_lo_u32 v11, v2, s13
	v_mad_u64_u32 v[8:9], s[6:7], v2, s12, 0
	v_add3_u32 v9, v9, v11, v10
	v_lshlrev_b64 v[8:9], 3, v[8:9]
	v_mov_b32_e32 v10, s15
	v_add_co_u32_e32 v8, vcc, s14, v8
	v_addc_co_u32_e32 v9, vcc, v10, v9, vcc
	v_mul_lo_u32 v20, v1, s12
	v_mul_lo_u32 v21, v0, s13
	v_mad_u64_u32 v[10:11], s[6:7], v0, s12, 0
	v_add3_u32 v11, v11, v21, v20
	v_lshlrev_b64 v[10:11], 3, v[10:11]
	v_mov_b32_e32 v20, s15
	v_add_co_u32_e32 v10, vcc, s14, v10
	v_addc_co_u32_e32 v11, vcc, v20, v11, vcc
	s_mov_b64 s[40:41], s[12:13]
                                        ; implicit-def: $sgpr28_sgpr29
                                        ; implicit-def: $sgpr30_sgpr31
                                        ; implicit-def: $sgpr36_sgpr37
                                        ; implicit-def: $sgpr34_sgpr35
                                        ; implicit-def: $sgpr38_sgpr39
                                        ; implicit-def: $sgpr42_sgpr43
	s_branch .LBB751_440
.LBB751_439:                            ;   in Loop: Header=BB751_440 Depth=1
	s_or_b64 exec, exec, s[44:45]
	s_and_b64 s[8:9], exec, s[36:37]
	s_or_b64 s[26:27], s[8:9], s[26:27]
	s_andn2_b64 s[8:9], s[42:43], exec
	s_and_b64 s[42:43], s[38:39], exec
	s_or_b64 s[42:43], s[8:9], s[42:43]
	s_andn2_b64 s[8:9], s[30:31], exec
	s_and_b64 s[30:31], s[34:35], exec
	;; [unrolled: 3-line block ×3, first 2 shown]
	s_or_b64 s[28:29], s[8:9], s[6:7]
	s_andn2_b64 exec, exec, s[26:27]
	s_cbranch_execz .LBB751_442
.LBB751_440:                            ; =>This Inner Loop Header: Depth=1
	global_load_dwordx2 v[20:21], v[8:9], off
	global_load_dwordx2 v[24:25], v[10:11], off
	s_andn2_b64 s[38:39], s[38:39], exec
	s_or_b64 s[34:35], s[34:35], exec
	s_or_b64 s[36:37], s[36:37], exec
	s_waitcnt vmcnt(0)
	v_cmp_ngt_f64_e64 s[6:7], v[20:21], v[24:25]
	v_cmp_lt_f64_e32 vcc, v[20:21], v[24:25]
	s_and_b64 s[6:7], s[6:7], s[42:43]
	v_cmp_nlg_f64_e64 s[8:9], v[20:21], v[24:25]
	s_or_b64 s[6:7], vcc, s[6:7]
	s_and_saveexec_b64 s[44:45], s[8:9]
	s_cbranch_execz .LBB751_439
; %bb.441:                              ;   in Loop: Header=BB751_440 Depth=1
	s_add_u32 s40, s40, -1
	s_addc_u32 s41, s41, -1
	v_add_co_u32_e32 v8, vcc, 8, v8
	s_cmp_eq_u64 s[40:41], 0
	v_addc_co_u32_e32 v9, vcc, 0, v9, vcc
	s_cselect_b64 s[8:9], -1, 0
	v_add_co_u32_e32 v10, vcc, 8, v10
	s_andn2_b64 s[38:39], s[38:39], exec
	s_and_b64 s[42:43], s[6:7], exec
	s_andn2_b64 s[36:37], s[36:37], exec
	s_and_b64 s[8:9], s[8:9], exec
	v_addc_co_u32_e32 v11, vcc, 0, v11, vcc
	s_or_b64 s[38:39], s[38:39], s[42:43]
	s_andn2_b64 s[34:35], s[34:35], exec
	s_or_b64 s[36:37], s[36:37], s[8:9]
                                        ; implicit-def: $sgpr42_sgpr43
	s_branch .LBB751_439
.LBB751_442:
	s_or_b64 exec, exec, s[26:27]
	s_and_saveexec_b64 s[6:7], s[30:31]
	s_xor_b64 s[6:7], exec, s[6:7]
	s_cbranch_execz .LBB751_444
; %bb.443:
	v_cndmask_b32_e64 v25, v1, v3, s[28:29]
	v_cndmask_b32_e64 v24, v0, v2, s[28:29]
	;; [unrolled: 1-line block ×4, first 2 shown]
	v_mov_b32_e32 v28, v4
	v_mov_b32_e32 v29, v5
	;; [unrolled: 1-line block ×4, first 2 shown]
	v_pk_mov_b32 v[0:1], v[24:25], v[24:25] op_sel:[0,1]
	v_pk_mov_b32 v[2:3], v[26:27], v[26:27] op_sel:[0,1]
	;; [unrolled: 1-line block ×4, first 2 shown]
.LBB751_444:
	s_or_b64 exec, exec, s[6:7]
.LBB751_445:
	s_or_b64 exec, exec, s[20:21]
	v_cmp_lt_u32_e32 vcc, 3, v19
	s_xor_b64 s[20:21], s[18:19], -1
	s_and_b64 s[26:27], vcc, s[20:21]
	s_and_saveexec_b64 s[28:29], s[26:27]
	s_cbranch_execz .LBB751_453
; %bb.446:
	v_mul_lo_u32 v10, v7, s12
	v_mul_lo_u32 v11, v6, s13
	v_mad_u64_u32 v[8:9], s[6:7], v6, s12, 0
	v_add3_u32 v9, v9, v11, v10
	v_lshlrev_b64 v[8:9], 3, v[8:9]
	v_mov_b32_e32 v10, s15
	v_add_co_u32_e32 v8, vcc, s14, v8
	v_addc_co_u32_e32 v9, vcc, v10, v9, vcc
	v_mul_lo_u32 v20, v5, s12
	v_mul_lo_u32 v21, v4, s13
	v_mad_u64_u32 v[10:11], s[6:7], v4, s12, 0
	v_add3_u32 v11, v11, v21, v20
	v_lshlrev_b64 v[10:11], 3, v[10:11]
	v_mov_b32_e32 v20, s15
	v_add_co_u32_e32 v10, vcc, s14, v10
	v_addc_co_u32_e32 v11, vcc, v20, v11, vcc
	s_mov_b64 s[34:35], 0
	s_mov_b64 s[44:45], s[12:13]
                                        ; implicit-def: $sgpr30_sgpr31
                                        ; implicit-def: $sgpr36_sgpr37
                                        ; implicit-def: $sgpr40_sgpr41
                                        ; implicit-def: $sgpr38_sgpr39
                                        ; implicit-def: $sgpr42_sgpr43
                                        ; implicit-def: $sgpr46_sgpr47
	s_branch .LBB751_448
.LBB751_447:                            ;   in Loop: Header=BB751_448 Depth=1
	s_or_b64 exec, exec, s[48:49]
	s_and_b64 s[8:9], exec, s[40:41]
	s_or_b64 s[34:35], s[8:9], s[34:35]
	s_andn2_b64 s[8:9], s[46:47], exec
	s_and_b64 s[46:47], s[42:43], exec
	s_or_b64 s[46:47], s[8:9], s[46:47]
	s_andn2_b64 s[8:9], s[36:37], exec
	s_and_b64 s[36:37], s[38:39], exec
	;; [unrolled: 3-line block ×3, first 2 shown]
	s_or_b64 s[30:31], s[8:9], s[6:7]
	s_andn2_b64 exec, exec, s[34:35]
	s_cbranch_execz .LBB751_450
.LBB751_448:                            ; =>This Inner Loop Header: Depth=1
	global_load_dwordx2 v[20:21], v[8:9], off
	global_load_dwordx2 v[24:25], v[10:11], off
	s_andn2_b64 s[42:43], s[42:43], exec
	s_or_b64 s[38:39], s[38:39], exec
	s_or_b64 s[40:41], s[40:41], exec
	s_waitcnt vmcnt(0)
	v_cmp_ngt_f64_e64 s[6:7], v[20:21], v[24:25]
	v_cmp_lt_f64_e32 vcc, v[20:21], v[24:25]
	s_and_b64 s[6:7], s[6:7], s[46:47]
	v_cmp_nlg_f64_e64 s[8:9], v[20:21], v[24:25]
	s_or_b64 s[6:7], vcc, s[6:7]
	s_and_saveexec_b64 s[48:49], s[8:9]
	s_cbranch_execz .LBB751_447
; %bb.449:                              ;   in Loop: Header=BB751_448 Depth=1
	s_add_u32 s44, s44, -1
	s_addc_u32 s45, s45, -1
	v_add_co_u32_e32 v8, vcc, 8, v8
	s_cmp_eq_u64 s[44:45], 0
	v_addc_co_u32_e32 v9, vcc, 0, v9, vcc
	s_cselect_b64 s[8:9], -1, 0
	v_add_co_u32_e32 v10, vcc, 8, v10
	s_andn2_b64 s[42:43], s[42:43], exec
	s_and_b64 s[46:47], s[6:7], exec
	s_andn2_b64 s[40:41], s[40:41], exec
	s_and_b64 s[8:9], s[8:9], exec
	v_addc_co_u32_e32 v11, vcc, 0, v11, vcc
	s_or_b64 s[42:43], s[42:43], s[46:47]
	s_andn2_b64 s[38:39], s[38:39], exec
	s_or_b64 s[40:41], s[40:41], s[8:9]
                                        ; implicit-def: $sgpr46_sgpr47
	s_branch .LBB751_447
.LBB751_450:
	s_or_b64 exec, exec, s[34:35]
	s_and_saveexec_b64 s[6:7], s[36:37]
	s_xor_b64 s[6:7], exec, s[6:7]
; %bb.451:
	v_cndmask_b32_e64 v8, v7, v5, s[30:31]
	v_cndmask_b32_e64 v9, v6, v4, s[30:31]
	;; [unrolled: 1-line block ×4, first 2 shown]
	v_mov_b32_e32 v6, v9
	v_mov_b32_e32 v7, v8
; %bb.452:
	s_or_b64 exec, exec, s[6:7]
.LBB751_453:
	s_or_b64 exec, exec, s[28:29]
	v_cmp_lt_u32_e32 vcc, 2, v19
	s_and_b64 s[28:29], vcc, s[20:21]
	s_and_saveexec_b64 s[6:7], s[28:29]
	s_xor_b64 s[30:31], exec, s[6:7]
	s_cbranch_execnz .LBB751_457
; %bb.454:
	s_or_b64 exec, exec, s[30:31]
	s_and_saveexec_b64 s[30:31], s[22:23]
	s_cbranch_execnz .LBB751_464
.LBB751_455:
	s_or_b64 exec, exec, s[30:31]
	s_and_saveexec_b64 s[22:23], s[26:27]
	s_cbranch_execnz .LBB751_471
.LBB751_456:
	s_or_b64 exec, exec, s[22:23]
	s_and_saveexec_b64 s[22:23], s[28:29]
	s_cbranch_execnz .LBB751_478
	s_branch .LBB751_485
.LBB751_457:
	v_mul_lo_u32 v10, v5, s12
	v_mul_lo_u32 v11, v4, s13
	v_mad_u64_u32 v[8:9], s[6:7], v4, s12, 0
	v_add3_u32 v9, v9, v11, v10
	v_lshlrev_b64 v[8:9], 3, v[8:9]
	v_mov_b32_e32 v10, s15
	v_add_co_u32_e32 v8, vcc, s14, v8
	v_addc_co_u32_e32 v9, vcc, v10, v9, vcc
	v_mul_lo_u32 v19, v3, s12
	v_mul_lo_u32 v20, v2, s13
	v_mad_u64_u32 v[10:11], s[6:7], v2, s12, 0
	v_add3_u32 v11, v11, v20, v19
	v_lshlrev_b64 v[10:11], 3, v[10:11]
	v_mov_b32_e32 v19, s15
	v_add_co_u32_e32 v10, vcc, s14, v10
	v_addc_co_u32_e32 v11, vcc, v19, v11, vcc
	s_mov_b64 s[36:37], 0
	s_mov_b64 s[46:47], s[12:13]
                                        ; implicit-def: $sgpr34_sgpr35
                                        ; implicit-def: $sgpr38_sgpr39
                                        ; implicit-def: $sgpr42_sgpr43
                                        ; implicit-def: $sgpr40_sgpr41
                                        ; implicit-def: $sgpr44_sgpr45
                                        ; implicit-def: $sgpr48_sgpr49
	s_branch .LBB751_459
.LBB751_458:                            ;   in Loop: Header=BB751_459 Depth=1
	s_or_b64 exec, exec, s[50:51]
	s_and_b64 s[8:9], exec, s[42:43]
	s_or_b64 s[36:37], s[8:9], s[36:37]
	s_andn2_b64 s[8:9], s[48:49], exec
	s_and_b64 s[48:49], s[44:45], exec
	s_or_b64 s[48:49], s[8:9], s[48:49]
	s_andn2_b64 s[8:9], s[38:39], exec
	s_and_b64 s[38:39], s[40:41], exec
	;; [unrolled: 3-line block ×3, first 2 shown]
	s_or_b64 s[34:35], s[8:9], s[6:7]
	s_andn2_b64 exec, exec, s[36:37]
	s_cbranch_execz .LBB751_461
.LBB751_459:                            ; =>This Inner Loop Header: Depth=1
	global_load_dwordx2 v[20:21], v[8:9], off
	global_load_dwordx2 v[24:25], v[10:11], off
	s_andn2_b64 s[44:45], s[44:45], exec
	s_or_b64 s[40:41], s[40:41], exec
	s_or_b64 s[42:43], s[42:43], exec
	s_waitcnt vmcnt(0)
	v_cmp_ngt_f64_e64 s[6:7], v[20:21], v[24:25]
	v_cmp_lt_f64_e32 vcc, v[20:21], v[24:25]
	s_and_b64 s[6:7], s[6:7], s[48:49]
	v_cmp_nlg_f64_e64 s[8:9], v[20:21], v[24:25]
	s_or_b64 s[6:7], vcc, s[6:7]
	s_and_saveexec_b64 s[50:51], s[8:9]
	s_cbranch_execz .LBB751_458
; %bb.460:                              ;   in Loop: Header=BB751_459 Depth=1
	s_add_u32 s46, s46, -1
	s_addc_u32 s47, s47, -1
	v_add_co_u32_e32 v8, vcc, 8, v8
	s_cmp_eq_u64 s[46:47], 0
	v_addc_co_u32_e32 v9, vcc, 0, v9, vcc
	s_cselect_b64 s[8:9], -1, 0
	v_add_co_u32_e32 v10, vcc, 8, v10
	s_andn2_b64 s[44:45], s[44:45], exec
	s_and_b64 s[48:49], s[6:7], exec
	s_andn2_b64 s[42:43], s[42:43], exec
	s_and_b64 s[8:9], s[8:9], exec
	v_addc_co_u32_e32 v11, vcc, 0, v11, vcc
	s_or_b64 s[44:45], s[44:45], s[48:49]
	s_andn2_b64 s[40:41], s[40:41], exec
	s_or_b64 s[42:43], s[42:43], s[8:9]
                                        ; implicit-def: $sgpr48_sgpr49
	s_branch .LBB751_458
.LBB751_461:
	s_or_b64 exec, exec, s[36:37]
	s_and_saveexec_b64 s[6:7], s[38:39]
	s_xor_b64 s[6:7], exec, s[6:7]
; %bb.462:
	v_cndmask_b32_e64 v8, v5, v3, s[34:35]
	v_cndmask_b32_e64 v9, v4, v2, s[34:35]
	;; [unrolled: 1-line block ×4, first 2 shown]
	v_mov_b32_e32 v4, v9
	v_mov_b32_e32 v5, v8
; %bb.463:
	s_or_b64 exec, exec, s[6:7]
	s_or_b64 exec, exec, s[30:31]
	s_and_saveexec_b64 s[30:31], s[22:23]
	s_cbranch_execz .LBB751_455
.LBB751_464:
	v_mul_lo_u32 v10, v3, s12
	v_mul_lo_u32 v11, v2, s13
	v_mad_u64_u32 v[8:9], s[6:7], v2, s12, 0
	v_add3_u32 v9, v9, v11, v10
	v_lshlrev_b64 v[8:9], 3, v[8:9]
	v_mov_b32_e32 v10, s15
	v_add_co_u32_e32 v8, vcc, s14, v8
	v_addc_co_u32_e32 v9, vcc, v10, v9, vcc
	v_mul_lo_u32 v19, v1, s12
	v_mul_lo_u32 v20, v0, s13
	v_mad_u64_u32 v[10:11], s[6:7], v0, s12, 0
	v_add3_u32 v11, v11, v20, v19
	v_lshlrev_b64 v[10:11], 3, v[10:11]
	v_mov_b32_e32 v19, s15
	v_add_co_u32_e32 v10, vcc, s14, v10
	v_addc_co_u32_e32 v11, vcc, v19, v11, vcc
	s_mov_b64 s[34:35], 0
	s_mov_b64 s[44:45], s[12:13]
                                        ; implicit-def: $sgpr22_sgpr23
                                        ; implicit-def: $sgpr36_sgpr37
                                        ; implicit-def: $sgpr40_sgpr41
                                        ; implicit-def: $sgpr38_sgpr39
                                        ; implicit-def: $sgpr42_sgpr43
                                        ; implicit-def: $sgpr46_sgpr47
	s_branch .LBB751_466
.LBB751_465:                            ;   in Loop: Header=BB751_466 Depth=1
	s_or_b64 exec, exec, s[48:49]
	s_and_b64 s[8:9], exec, s[40:41]
	s_or_b64 s[34:35], s[8:9], s[34:35]
	s_andn2_b64 s[8:9], s[46:47], exec
	s_and_b64 s[46:47], s[42:43], exec
	s_or_b64 s[46:47], s[8:9], s[46:47]
	s_andn2_b64 s[8:9], s[36:37], exec
	s_and_b64 s[36:37], s[38:39], exec
	;; [unrolled: 3-line block ×3, first 2 shown]
	s_or_b64 s[22:23], s[8:9], s[6:7]
	s_andn2_b64 exec, exec, s[34:35]
	s_cbranch_execz .LBB751_468
.LBB751_466:                            ; =>This Inner Loop Header: Depth=1
	global_load_dwordx2 v[20:21], v[8:9], off
	global_load_dwordx2 v[24:25], v[10:11], off
	s_andn2_b64 s[42:43], s[42:43], exec
	s_or_b64 s[38:39], s[38:39], exec
	s_or_b64 s[40:41], s[40:41], exec
	s_waitcnt vmcnt(0)
	v_cmp_ngt_f64_e64 s[6:7], v[20:21], v[24:25]
	v_cmp_lt_f64_e32 vcc, v[20:21], v[24:25]
	s_and_b64 s[6:7], s[6:7], s[46:47]
	v_cmp_nlg_f64_e64 s[8:9], v[20:21], v[24:25]
	s_or_b64 s[6:7], vcc, s[6:7]
	s_and_saveexec_b64 s[48:49], s[8:9]
	s_cbranch_execz .LBB751_465
; %bb.467:                              ;   in Loop: Header=BB751_466 Depth=1
	s_add_u32 s44, s44, -1
	s_addc_u32 s45, s45, -1
	v_add_co_u32_e32 v8, vcc, 8, v8
	s_cmp_eq_u64 s[44:45], 0
	v_addc_co_u32_e32 v9, vcc, 0, v9, vcc
	s_cselect_b64 s[8:9], -1, 0
	v_add_co_u32_e32 v10, vcc, 8, v10
	s_andn2_b64 s[42:43], s[42:43], exec
	s_and_b64 s[46:47], s[6:7], exec
	s_andn2_b64 s[40:41], s[40:41], exec
	s_and_b64 s[8:9], s[8:9], exec
	v_addc_co_u32_e32 v11, vcc, 0, v11, vcc
	s_or_b64 s[42:43], s[42:43], s[46:47]
	s_andn2_b64 s[38:39], s[38:39], exec
	s_or_b64 s[40:41], s[40:41], s[8:9]
                                        ; implicit-def: $sgpr46_sgpr47
	s_branch .LBB751_465
.LBB751_468:
	s_or_b64 exec, exec, s[34:35]
	s_and_saveexec_b64 s[6:7], s[36:37]
	s_xor_b64 s[6:7], exec, s[6:7]
	s_cbranch_execz .LBB751_470
; %bb.469:
	v_cndmask_b32_e64 v25, v1, v3, s[22:23]
	v_cndmask_b32_e64 v24, v0, v2, s[22:23]
	;; [unrolled: 1-line block ×4, first 2 shown]
	v_mov_b32_e32 v28, v4
	v_mov_b32_e32 v29, v5
	;; [unrolled: 1-line block ×4, first 2 shown]
	v_pk_mov_b32 v[0:1], v[24:25], v[24:25] op_sel:[0,1]
	v_pk_mov_b32 v[2:3], v[26:27], v[26:27] op_sel:[0,1]
	;; [unrolled: 1-line block ×4, first 2 shown]
.LBB751_470:
	s_or_b64 exec, exec, s[6:7]
	s_or_b64 exec, exec, s[30:31]
	s_and_saveexec_b64 s[22:23], s[26:27]
	s_cbranch_execz .LBB751_456
.LBB751_471:
	v_mul_lo_u32 v10, v7, s12
	v_mul_lo_u32 v11, v6, s13
	v_mad_u64_u32 v[8:9], s[6:7], v6, s12, 0
	v_add3_u32 v9, v9, v11, v10
	v_lshlrev_b64 v[8:9], 3, v[8:9]
	v_mov_b32_e32 v10, s15
	v_add_co_u32_e32 v8, vcc, s14, v8
	v_addc_co_u32_e32 v9, vcc, v10, v9, vcc
	v_mul_lo_u32 v19, v5, s12
	v_mul_lo_u32 v20, v4, s13
	v_mad_u64_u32 v[10:11], s[6:7], v4, s12, 0
	v_add3_u32 v11, v11, v20, v19
	v_lshlrev_b64 v[10:11], 3, v[10:11]
	v_mov_b32_e32 v19, s15
	v_add_co_u32_e32 v10, vcc, s14, v10
	v_addc_co_u32_e32 v11, vcc, v19, v11, vcc
	s_mov_b64 s[30:31], 0
	s_mov_b64 s[42:43], s[12:13]
                                        ; implicit-def: $sgpr26_sgpr27
                                        ; implicit-def: $sgpr34_sgpr35
                                        ; implicit-def: $sgpr38_sgpr39
                                        ; implicit-def: $sgpr36_sgpr37
                                        ; implicit-def: $sgpr40_sgpr41
                                        ; implicit-def: $sgpr44_sgpr45
	s_branch .LBB751_473
.LBB751_472:                            ;   in Loop: Header=BB751_473 Depth=1
	s_or_b64 exec, exec, s[46:47]
	s_and_b64 s[8:9], exec, s[38:39]
	s_or_b64 s[30:31], s[8:9], s[30:31]
	s_andn2_b64 s[8:9], s[44:45], exec
	s_and_b64 s[44:45], s[40:41], exec
	s_or_b64 s[44:45], s[8:9], s[44:45]
	s_andn2_b64 s[8:9], s[34:35], exec
	s_and_b64 s[34:35], s[36:37], exec
	;; [unrolled: 3-line block ×3, first 2 shown]
	s_or_b64 s[26:27], s[8:9], s[6:7]
	s_andn2_b64 exec, exec, s[30:31]
	s_cbranch_execz .LBB751_475
.LBB751_473:                            ; =>This Inner Loop Header: Depth=1
	global_load_dwordx2 v[20:21], v[8:9], off
	global_load_dwordx2 v[24:25], v[10:11], off
	s_andn2_b64 s[40:41], s[40:41], exec
	s_or_b64 s[36:37], s[36:37], exec
	s_or_b64 s[38:39], s[38:39], exec
	s_waitcnt vmcnt(0)
	v_cmp_ngt_f64_e64 s[6:7], v[20:21], v[24:25]
	v_cmp_lt_f64_e32 vcc, v[20:21], v[24:25]
	s_and_b64 s[6:7], s[6:7], s[44:45]
	v_cmp_nlg_f64_e64 s[8:9], v[20:21], v[24:25]
	s_or_b64 s[6:7], vcc, s[6:7]
	s_and_saveexec_b64 s[46:47], s[8:9]
	s_cbranch_execz .LBB751_472
; %bb.474:                              ;   in Loop: Header=BB751_473 Depth=1
	s_add_u32 s42, s42, -1
	s_addc_u32 s43, s43, -1
	v_add_co_u32_e32 v8, vcc, 8, v8
	s_cmp_eq_u64 s[42:43], 0
	v_addc_co_u32_e32 v9, vcc, 0, v9, vcc
	s_cselect_b64 s[8:9], -1, 0
	v_add_co_u32_e32 v10, vcc, 8, v10
	s_andn2_b64 s[40:41], s[40:41], exec
	s_and_b64 s[44:45], s[6:7], exec
	s_andn2_b64 s[38:39], s[38:39], exec
	s_and_b64 s[8:9], s[8:9], exec
	v_addc_co_u32_e32 v11, vcc, 0, v11, vcc
	s_or_b64 s[40:41], s[40:41], s[44:45]
	s_andn2_b64 s[36:37], s[36:37], exec
	s_or_b64 s[38:39], s[38:39], s[8:9]
                                        ; implicit-def: $sgpr44_sgpr45
	s_branch .LBB751_472
.LBB751_475:
	s_or_b64 exec, exec, s[30:31]
	s_and_saveexec_b64 s[6:7], s[34:35]
	s_xor_b64 s[6:7], exec, s[6:7]
; %bb.476:
	v_cndmask_b32_e64 v8, v7, v5, s[26:27]
	v_cndmask_b32_e64 v9, v6, v4, s[26:27]
	;; [unrolled: 1-line block ×4, first 2 shown]
	v_mov_b32_e32 v6, v9
	v_mov_b32_e32 v7, v8
; %bb.477:
	s_or_b64 exec, exec, s[6:7]
	s_or_b64 exec, exec, s[22:23]
	s_and_saveexec_b64 s[22:23], s[28:29]
	s_cbranch_execz .LBB751_485
.LBB751_478:
	v_mul_lo_u32 v10, v5, s12
	v_mul_lo_u32 v11, v4, s13
	v_mad_u64_u32 v[8:9], s[6:7], v4, s12, 0
	v_add3_u32 v9, v9, v11, v10
	v_lshlrev_b64 v[8:9], 3, v[8:9]
	v_mov_b32_e32 v10, s15
	v_add_co_u32_e32 v8, vcc, s14, v8
	v_addc_co_u32_e32 v9, vcc, v10, v9, vcc
	v_mul_lo_u32 v19, v3, s12
	v_mul_lo_u32 v20, v2, s13
	v_mad_u64_u32 v[10:11], s[6:7], v2, s12, 0
	v_add3_u32 v11, v11, v20, v19
	v_lshlrev_b64 v[10:11], 3, v[10:11]
	v_mov_b32_e32 v19, s15
	v_add_co_u32_e32 v10, vcc, s14, v10
	v_addc_co_u32_e32 v11, vcc, v19, v11, vcc
	s_mov_b64 s[28:29], 0
	s_mov_b64 s[40:41], s[12:13]
                                        ; implicit-def: $sgpr26_sgpr27
                                        ; implicit-def: $sgpr30_sgpr31
                                        ; implicit-def: $sgpr36_sgpr37
                                        ; implicit-def: $sgpr34_sgpr35
                                        ; implicit-def: $sgpr38_sgpr39
                                        ; implicit-def: $sgpr42_sgpr43
	s_branch .LBB751_480
.LBB751_479:                            ;   in Loop: Header=BB751_480 Depth=1
	s_or_b64 exec, exec, s[44:45]
	s_and_b64 s[8:9], exec, s[36:37]
	s_or_b64 s[28:29], s[8:9], s[28:29]
	s_andn2_b64 s[8:9], s[42:43], exec
	s_and_b64 s[42:43], s[38:39], exec
	s_or_b64 s[42:43], s[8:9], s[42:43]
	s_andn2_b64 s[8:9], s[30:31], exec
	s_and_b64 s[30:31], s[34:35], exec
	;; [unrolled: 3-line block ×3, first 2 shown]
	s_or_b64 s[26:27], s[8:9], s[6:7]
	s_andn2_b64 exec, exec, s[28:29]
	s_cbranch_execz .LBB751_482
.LBB751_480:                            ; =>This Inner Loop Header: Depth=1
	global_load_dwordx2 v[20:21], v[8:9], off
	global_load_dwordx2 v[24:25], v[10:11], off
	s_andn2_b64 s[38:39], s[38:39], exec
	s_or_b64 s[34:35], s[34:35], exec
	s_or_b64 s[36:37], s[36:37], exec
	s_waitcnt vmcnt(0)
	v_cmp_ngt_f64_e64 s[6:7], v[20:21], v[24:25]
	v_cmp_lt_f64_e32 vcc, v[20:21], v[24:25]
	s_and_b64 s[6:7], s[6:7], s[42:43]
	v_cmp_nlg_f64_e64 s[8:9], v[20:21], v[24:25]
	s_or_b64 s[6:7], vcc, s[6:7]
	s_and_saveexec_b64 s[44:45], s[8:9]
	s_cbranch_execz .LBB751_479
; %bb.481:                              ;   in Loop: Header=BB751_480 Depth=1
	s_add_u32 s40, s40, -1
	s_addc_u32 s41, s41, -1
	v_add_co_u32_e32 v8, vcc, 8, v8
	s_cmp_eq_u64 s[40:41], 0
	v_addc_co_u32_e32 v9, vcc, 0, v9, vcc
	s_cselect_b64 s[8:9], -1, 0
	v_add_co_u32_e32 v10, vcc, 8, v10
	s_andn2_b64 s[38:39], s[38:39], exec
	s_and_b64 s[42:43], s[6:7], exec
	s_andn2_b64 s[36:37], s[36:37], exec
	s_and_b64 s[8:9], s[8:9], exec
	v_addc_co_u32_e32 v11, vcc, 0, v11, vcc
	s_or_b64 s[38:39], s[38:39], s[42:43]
	s_andn2_b64 s[34:35], s[34:35], exec
	s_or_b64 s[36:37], s[36:37], s[8:9]
                                        ; implicit-def: $sgpr42_sgpr43
	s_branch .LBB751_479
.LBB751_482:
	s_or_b64 exec, exec, s[28:29]
	s_and_saveexec_b64 s[6:7], s[30:31]
	s_xor_b64 s[6:7], exec, s[6:7]
; %bb.483:
	v_cndmask_b32_e64 v8, v5, v3, s[26:27]
	v_cndmask_b32_e64 v9, v4, v2, s[26:27]
	;; [unrolled: 1-line block ×4, first 2 shown]
	v_mov_b32_e32 v4, v9
	v_mov_b32_e32 v5, v8
; %bb.484:
	s_or_b64 exec, exec, s[6:7]
.LBB751_485:
	s_or_b64 exec, exec, s[22:23]
	v_mbcnt_lo_u32_b32 v8, -1, 0
	v_mbcnt_hi_u32_b32 v8, -1, v8
	v_and_b32_e32 v9, 0xffffff00, v18
	v_lshlrev_b32_e32 v18, 3, v9
	v_lshlrev_b32_e32 v20, 2, v8
	v_sub_u32_e64 v19, s33, v9 clamp
	v_lshl_add_u32 v21, v8, 5, v18
	v_or_b32_e32 v8, 4, v20
	v_min_u32_e32 v24, v19, v8
	v_add_u32_e32 v8, 4, v24
	v_and_b32_e32 v28, 0x1f8, v20
	v_min_u32_e32 v25, v19, v8
	v_and_b32_e32 v8, 4, v20
	v_min_u32_e32 v29, v19, v8
	v_sub_u32_e32 v8, v24, v28
	v_sub_u32_e32 v9, v25, v24
	v_sub_u32_e64 v27, v29, v9 clamp
	v_min_u32_e32 v30, v29, v8
	v_cndmask_b32_e64 v8, 0, 1, s[10:11]
	v_lshl_add_u32 v26, v28, 3, v18
	v_cmp_lt_u32_e32 vcc, v27, v30
	v_cmp_ne_u32_e64 s[6:7], 1, v8
	ds_write_b128 v21, v[0:3]
	ds_write_b128 v21, v[4:7] offset:16
	; wave barrier
	s_and_saveexec_b64 s[22:23], vcc
	s_cbranch_execz .LBB751_495
; %bb.486:
	v_lshlrev_b32_e32 v8, 3, v24
	v_lshlrev_b32_e32 v9, 3, v29
	v_add3_u32 v31, v18, v8, v9
	s_lshl_b64 s[28:29], s[12:13], 3
	s_mov_b64 s[26:27], 0
	s_branch .LBB751_489
.LBB751_487:                            ;   in Loop: Header=BB751_489 Depth=1
	s_or_b64 exec, exec, s[34:35]
.LBB751_488:                            ;   in Loop: Header=BB751_489 Depth=1
	v_add_u32_e32 v8, 1, v32
	v_cndmask_b32_e64 v30, v30, v32, s[30:31]
	v_cndmask_b32_e64 v27, v8, v27, s[30:31]
	v_cmp_ge_u32_e32 vcc, v27, v30
	s_or_b64 s[26:27], vcc, s[26:27]
	s_andn2_b64 exec, exec, s[26:27]
	s_cbranch_execz .LBB751_494
.LBB751_489:                            ; =>This Loop Header: Depth=1
                                        ;     Child Loop BB751_492 Depth 2
	v_add_u32_e32 v8, v30, v27
	v_lshrrev_b32_e32 v32, 1, v8
	s_and_b64 vcc, exec, s[6:7]
	s_mov_b64 s[30:31], 0
	s_cbranch_vccnz .LBB751_488
; %bb.490:                              ;   in Loop: Header=BB751_489 Depth=1
	v_not_b32_e32 v8, v32
	v_lshl_add_u32 v8, v8, 3, v31
	ds_read_b64 v[8:9], v8
	v_lshl_add_u32 v33, v32, 3, v26
	ds_read_b64 v[34:35], v33
	v_pk_mov_b32 v[10:11], s[14:15], s[14:15] op_sel:[0,1]
	s_mov_b64 s[34:35], 0
	s_waitcnt lgkmcnt(1)
	v_mul_lo_u32 v33, s28, v9
	v_mul_lo_u32 v36, s29, v8
	v_mad_u64_u32 v[8:9], s[8:9], s28, v8, v[10:11]
	v_add3_u32 v9, v36, v9, v33
	s_waitcnt lgkmcnt(0)
	v_mul_lo_u32 v33, s28, v35
	v_mul_lo_u32 v35, s29, v34
	v_mad_u64_u32 v[10:11], s[8:9], s28, v34, v[10:11]
	v_add3_u32 v11, v35, v11, v33
	s_mov_b64 s[40:41], s[12:13]
                                        ; implicit-def: $sgpr30_sgpr31
                                        ; implicit-def: $sgpr36_sgpr37
                                        ; implicit-def: $sgpr38_sgpr39
                                        ; implicit-def: $sgpr8_sgpr9
                                        ; implicit-def: $sgpr42_sgpr43
	s_branch .LBB751_492
.LBB751_491:                            ;   in Loop: Header=BB751_492 Depth=2
	s_or_b64 exec, exec, s[44:45]
	s_and_b64 s[10:11], exec, s[36:37]
	s_or_b64 s[34:35], s[10:11], s[34:35]
	s_andn2_b64 s[10:11], s[42:43], exec
	s_and_b64 s[42:43], s[38:39], exec
	s_or_b64 s[42:43], s[10:11], s[42:43]
	s_andn2_b64 s[10:11], s[30:31], exec
	s_and_b64 s[30:31], s[8:9], exec
	s_or_b64 s[30:31], s[10:11], s[30:31]
	s_andn2_b64 exec, exec, s[34:35]
	s_cbranch_execz .LBB751_487
.LBB751_492:                            ;   Parent Loop BB751_489 Depth=1
                                        ; =>  This Inner Loop Header: Depth=2
	global_load_dwordx2 v[34:35], v[8:9], off
	global_load_dwordx2 v[36:37], v[10:11], off
	s_andn2_b64 s[44:45], s[8:9], exec
	s_andn2_b64 s[38:39], s[38:39], exec
	s_or_b64 s[36:37], s[36:37], exec
	s_waitcnt vmcnt(0)
	v_cmp_ngt_f64_e64 s[8:9], v[34:35], v[36:37]
	v_cmp_lt_f64_e32 vcc, v[34:35], v[36:37]
	s_and_b64 s[8:9], s[8:9], s[42:43]
	s_or_b64 s[46:47], vcc, s[8:9]
	s_and_b64 s[8:9], s[46:47], exec
	v_cmp_nlg_f64_e64 s[10:11], v[34:35], v[36:37]
	s_or_b64 s[8:9], s[44:45], s[8:9]
	s_and_saveexec_b64 s[44:45], s[10:11]
	s_cbranch_execz .LBB751_491
; %bb.493:                              ;   in Loop: Header=BB751_492 Depth=2
	s_add_u32 s40, s40, -1
	s_addc_u32 s41, s41, -1
	v_add_co_u32_e32 v8, vcc, 8, v8
	s_cmp_eq_u64 s[40:41], 0
	v_addc_co_u32_e32 v9, vcc, 0, v9, vcc
	s_cselect_b64 s[10:11], -1, 0
	v_add_co_u32_e32 v10, vcc, 8, v10
	s_andn2_b64 s[38:39], s[38:39], exec
	s_and_b64 s[42:43], s[46:47], exec
	s_andn2_b64 s[36:37], s[36:37], exec
	s_and_b64 s[10:11], s[10:11], exec
	v_addc_co_u32_e32 v11, vcc, 0, v11, vcc
	s_andn2_b64 s[8:9], s[8:9], exec
	s_or_b64 s[38:39], s[38:39], s[42:43]
	s_or_b64 s[36:37], s[36:37], s[10:11]
                                        ; implicit-def: $sgpr42_sgpr43
	s_branch .LBB751_491
.LBB751_494:
	s_or_b64 exec, exec, s[26:27]
.LBB751_495:
	s_or_b64 exec, exec, s[22:23]
	v_add_u32_e32 v9, v24, v29
	v_add_u32_e32 v8, v27, v28
	v_sub_u32_e32 v9, v9, v27
	v_cmp_le_u32_e32 vcc, v8, v24
	v_cmp_le_u32_e64 s[8:9], v9, v25
	s_or_b64 s[8:9], vcc, s[8:9]
	s_and_saveexec_b64 s[22:23], s[8:9]
	s_cbranch_execz .LBB751_531
; %bb.496:
	v_cmp_ge_u32_e32 vcc, v8, v24
	v_cmp_lt_u32_e64 s[8:9], v8, v24
                                        ; implicit-def: $vgpr0_vgpr1
	s_and_saveexec_b64 s[10:11], s[8:9]
	s_cbranch_execz .LBB751_498
; %bb.497:
	v_lshl_add_u32 v0, v27, 3, v26
	ds_read_b64 v[0:1], v0
.LBB751_498:
	s_or_b64 exec, exec, s[10:11]
	v_cmp_ge_u32_e64 s[8:9], v9, v25
	v_cmp_lt_u32_e64 s[10:11], v9, v25
                                        ; implicit-def: $vgpr2_vgpr3
	s_and_saveexec_b64 s[26:27], s[10:11]
	s_cbranch_execz .LBB751_500
; %bb.499:
	v_lshl_add_u32 v2, v9, 3, v18
	ds_read_b64 v[2:3], v2
.LBB751_500:
	s_or_b64 exec, exec, s[26:27]
	s_or_b64 s[10:11], vcc, s[8:9]
	s_or_b64 s[10:11], s[10:11], s[18:19]
	s_xor_b64 s[26:27], vcc, -1
	s_xor_b64 s[10:11], s[10:11], -1
	s_or_b64 s[26:27], s[8:9], s[26:27]
	s_and_saveexec_b64 s[28:29], s[10:11]
	s_cbranch_execz .LBB751_506
; %bb.501:
	s_waitcnt lgkmcnt(0)
	v_mul_lo_u32 v6, v3, s12
	v_mul_lo_u32 v7, v2, s13
	v_mad_u64_u32 v[4:5], s[8:9], v2, s12, 0
	v_add3_u32 v5, v5, v7, v6
	v_lshlrev_b64 v[4:5], 3, v[4:5]
	v_mov_b32_e32 v6, s15
	v_add_co_u32_e32 v4, vcc, s14, v4
	v_addc_co_u32_e32 v5, vcc, v6, v5, vcc
	v_mul_lo_u32 v10, v1, s12
	v_mul_lo_u32 v11, v0, s13
	v_mad_u64_u32 v[6:7], s[8:9], v0, s12, 0
	v_add3_u32 v7, v7, v11, v10
	v_lshlrev_b64 v[6:7], 3, v[6:7]
	v_mov_b32_e32 v10, s15
	v_add_co_u32_e32 v6, vcc, s14, v6
	v_addc_co_u32_e32 v7, vcc, v10, v7, vcc
	s_mov_b64 s[30:31], 0
	s_mov_b64 s[40:41], s[12:13]
                                        ; implicit-def: $sgpr34_sgpr35
                                        ; implicit-def: $sgpr36_sgpr37
                                        ; implicit-def: $sgpr8_sgpr9
                                        ; implicit-def: $sgpr38_sgpr39
                                        ; implicit-def: $sgpr42_sgpr43
	s_branch .LBB751_503
.LBB751_502:                            ;   in Loop: Header=BB751_503 Depth=1
	s_or_b64 exec, exec, s[44:45]
	s_and_b64 s[10:11], exec, s[36:37]
	s_or_b64 s[30:31], s[10:11], s[30:31]
	s_andn2_b64 s[10:11], s[42:43], exec
	s_and_b64 s[42:43], s[38:39], exec
	s_or_b64 s[42:43], s[10:11], s[42:43]
	s_andn2_b64 s[10:11], s[34:35], exec
	s_and_b64 s[34:35], s[8:9], exec
	s_or_b64 s[34:35], s[10:11], s[34:35]
	s_andn2_b64 exec, exec, s[30:31]
	s_cbranch_execz .LBB751_505
.LBB751_503:                            ; =>This Inner Loop Header: Depth=1
	global_load_dwordx2 v[10:11], v[4:5], off
	global_load_dwordx2 v[26:27], v[6:7], off
	s_andn2_b64 s[44:45], s[8:9], exec
	s_andn2_b64 s[38:39], s[38:39], exec
	s_or_b64 s[36:37], s[36:37], exec
	s_waitcnt vmcnt(0)
	v_cmp_ngt_f64_e64 s[8:9], v[10:11], v[26:27]
	v_cmp_lt_f64_e32 vcc, v[10:11], v[26:27]
	s_and_b64 s[8:9], s[8:9], s[42:43]
	s_or_b64 s[46:47], vcc, s[8:9]
	s_and_b64 s[8:9], s[46:47], exec
	v_cmp_nlg_f64_e64 s[10:11], v[10:11], v[26:27]
	s_or_b64 s[8:9], s[44:45], s[8:9]
	s_and_saveexec_b64 s[44:45], s[10:11]
	s_cbranch_execz .LBB751_502
; %bb.504:                              ;   in Loop: Header=BB751_503 Depth=1
	s_add_u32 s40, s40, -1
	s_addc_u32 s41, s41, -1
	v_add_co_u32_e32 v4, vcc, 8, v4
	s_cmp_eq_u64 s[40:41], 0
	v_addc_co_u32_e32 v5, vcc, 0, v5, vcc
	s_cselect_b64 s[10:11], -1, 0
	v_add_co_u32_e32 v6, vcc, 8, v6
	s_andn2_b64 s[38:39], s[38:39], exec
	s_and_b64 s[42:43], s[46:47], exec
	s_andn2_b64 s[36:37], s[36:37], exec
	s_and_b64 s[10:11], s[10:11], exec
	v_addc_co_u32_e32 v7, vcc, 0, v7, vcc
	s_or_b64 s[38:39], s[38:39], s[42:43]
	s_andn2_b64 s[8:9], s[8:9], exec
	s_or_b64 s[36:37], s[36:37], s[10:11]
                                        ; implicit-def: $sgpr42_sgpr43
	s_branch .LBB751_502
.LBB751_505:
	s_or_b64 exec, exec, s[30:31]
	s_xor_b64 s[8:9], s[34:35], -1
	s_andn2_b64 s[10:11], s[26:27], exec
	s_and_b64 s[8:9], s[8:9], exec
	s_or_b64 s[26:27], s[10:11], s[8:9]
.LBB751_506:
	s_or_b64 exec, exec, s[28:29]
	v_cndmask_b32_e64 v4, v9, v8, s[26:27]
	v_cndmask_b32_e64 v5, v25, v24, s[26:27]
	v_add_u32_e32 v6, 1, v4
	v_add_u32_e32 v4, -1, v5
	v_min_u32_e32 v4, v6, v4
	v_lshl_add_u32 v4, v4, 3, v18
	ds_read_b64 v[4:5], v4
	v_cndmask_b32_e64 v9, v6, v9, s[26:27]
	v_cndmask_b32_e64 v8, v8, v6, s[26:27]
	v_cmp_lt_u32_e32 vcc, v9, v25
	s_mov_b64 s[28:29], -1
	s_waitcnt lgkmcnt(0)
	v_cndmask_b32_e64 v10, v5, v3, s[26:27]
	v_cndmask_b32_e64 v11, v4, v2, s[26:27]
	;; [unrolled: 1-line block ×4, first 2 shown]
	s_mov_b64 s[30:31], -1
	s_and_saveexec_b64 s[34:35], vcc
	s_cbranch_execz .LBB751_514
; %bb.507:
	v_cmp_lt_u32_e64 s[30:31], v8, v24
	s_and_b64 s[8:9], s[30:31], s[20:21]
	s_and_saveexec_b64 s[36:37], s[8:9]
	s_cbranch_execz .LBB751_513
; %bb.508:
	v_mul_lo_u32 v6, v10, s12
	v_mul_lo_u32 v7, v11, s13
	v_mad_u64_u32 v[4:5], s[8:9], v11, s12, 0
	v_add3_u32 v5, v5, v7, v6
	v_lshlrev_b64 v[4:5], 3, v[4:5]
	v_mov_b32_e32 v6, s15
	v_add_co_u32_e32 v4, vcc, s14, v4
	v_addc_co_u32_e32 v5, vcc, v6, v5, vcc
	v_mul_lo_u32 v28, v26, s12
	v_mul_lo_u32 v29, v27, s13
	v_mad_u64_u32 v[6:7], s[8:9], v27, s12, 0
	v_add3_u32 v7, v7, v29, v28
	v_lshlrev_b64 v[6:7], 3, v[6:7]
	v_mov_b32_e32 v28, s15
	v_add_co_u32_e32 v6, vcc, s14, v6
	v_addc_co_u32_e32 v7, vcc, v28, v7, vcc
	s_mov_b64 s[38:39], 0
	s_mov_b64 s[46:47], s[12:13]
                                        ; implicit-def: $sgpr40_sgpr41
                                        ; implicit-def: $sgpr42_sgpr43
                                        ; implicit-def: $sgpr8_sgpr9
                                        ; implicit-def: $sgpr44_sgpr45
                                        ; implicit-def: $sgpr48_sgpr49
	s_branch .LBB751_510
.LBB751_509:                            ;   in Loop: Header=BB751_510 Depth=1
	s_or_b64 exec, exec, s[50:51]
	s_and_b64 s[10:11], exec, s[42:43]
	s_or_b64 s[38:39], s[10:11], s[38:39]
	s_andn2_b64 s[10:11], s[48:49], exec
	s_and_b64 s[48:49], s[44:45], exec
	s_or_b64 s[48:49], s[10:11], s[48:49]
	s_andn2_b64 s[10:11], s[40:41], exec
	s_and_b64 s[40:41], s[8:9], exec
	s_or_b64 s[40:41], s[10:11], s[40:41]
	s_andn2_b64 exec, exec, s[38:39]
	s_cbranch_execz .LBB751_512
.LBB751_510:                            ; =>This Inner Loop Header: Depth=1
	global_load_dwordx2 v[28:29], v[4:5], off
	global_load_dwordx2 v[30:31], v[6:7], off
	s_andn2_b64 s[50:51], s[8:9], exec
	s_andn2_b64 s[44:45], s[44:45], exec
	s_or_b64 s[42:43], s[42:43], exec
	s_waitcnt vmcnt(0)
	v_cmp_ngt_f64_e64 s[8:9], v[28:29], v[30:31]
	v_cmp_lt_f64_e32 vcc, v[28:29], v[30:31]
	s_and_b64 s[8:9], s[8:9], s[48:49]
	s_or_b64 s[52:53], vcc, s[8:9]
	s_and_b64 s[8:9], s[52:53], exec
	v_cmp_nlg_f64_e64 s[10:11], v[28:29], v[30:31]
	s_or_b64 s[8:9], s[50:51], s[8:9]
	s_and_saveexec_b64 s[50:51], s[10:11]
	s_cbranch_execz .LBB751_509
; %bb.511:                              ;   in Loop: Header=BB751_510 Depth=1
	s_add_u32 s46, s46, -1
	s_addc_u32 s47, s47, -1
	v_add_co_u32_e32 v4, vcc, 8, v4
	s_cmp_eq_u64 s[46:47], 0
	v_addc_co_u32_e32 v5, vcc, 0, v5, vcc
	s_cselect_b64 s[10:11], -1, 0
	v_add_co_u32_e32 v6, vcc, 8, v6
	s_andn2_b64 s[44:45], s[44:45], exec
	s_and_b64 s[48:49], s[52:53], exec
	s_andn2_b64 s[42:43], s[42:43], exec
	s_and_b64 s[10:11], s[10:11], exec
	v_addc_co_u32_e32 v7, vcc, 0, v7, vcc
	s_or_b64 s[44:45], s[44:45], s[48:49]
	s_andn2_b64 s[8:9], s[8:9], exec
	s_or_b64 s[42:43], s[42:43], s[10:11]
                                        ; implicit-def: $sgpr48_sgpr49
	s_branch .LBB751_509
.LBB751_512:
	s_or_b64 exec, exec, s[38:39]
	s_xor_b64 s[8:9], s[40:41], -1
	s_andn2_b64 s[10:11], s[30:31], exec
	s_and_b64 s[8:9], s[8:9], exec
	s_or_b64 s[30:31], s[10:11], s[8:9]
.LBB751_513:
	s_or_b64 exec, exec, s[36:37]
	s_orn2_b64 s[30:31], s[30:31], exec
.LBB751_514:
	s_or_b64 exec, exec, s[34:35]
	v_cndmask_b32_e64 v4, v9, v8, s[30:31]
	v_cndmask_b32_e64 v5, v25, v24, s[30:31]
	v_add_u32_e32 v6, 1, v4
	v_add_u32_e32 v4, -1, v5
	v_min_u32_e32 v4, v6, v4
	v_lshl_add_u32 v4, v4, 3, v18
	ds_read_b64 v[4:5], v4
	v_cndmask_b32_e64 v9, v6, v9, s[30:31]
	v_cndmask_b32_e64 v8, v8, v6, s[30:31]
	v_cmp_lt_u32_e32 vcc, v9, v25
	s_waitcnt lgkmcnt(0)
	v_cndmask_b32_e64 v28, v5, v10, s[30:31]
	v_cndmask_b32_e64 v29, v4, v11, s[30:31]
	;; [unrolled: 1-line block ×4, first 2 shown]
	s_and_saveexec_b64 s[34:35], vcc
	s_cbranch_execz .LBB751_522
; %bb.515:
	v_cmp_lt_u32_e64 s[28:29], v8, v24
	s_and_b64 s[8:9], s[28:29], s[20:21]
	s_and_saveexec_b64 s[36:37], s[8:9]
	s_cbranch_execz .LBB751_521
; %bb.516:
	v_mul_lo_u32 v6, v28, s12
	v_mul_lo_u32 v7, v29, s13
	v_mad_u64_u32 v[4:5], s[8:9], v29, s12, 0
	v_add3_u32 v5, v5, v7, v6
	v_lshlrev_b64 v[4:5], 3, v[4:5]
	v_mov_b32_e32 v6, s15
	v_add_co_u32_e32 v4, vcc, s14, v4
	v_addc_co_u32_e32 v5, vcc, v6, v5, vcc
	v_mul_lo_u32 v32, v30, s12
	v_mul_lo_u32 v33, v31, s13
	v_mad_u64_u32 v[6:7], s[8:9], v31, s12, 0
	v_add3_u32 v7, v7, v33, v32
	v_lshlrev_b64 v[6:7], 3, v[6:7]
	v_mov_b32_e32 v32, s15
	v_add_co_u32_e32 v6, vcc, s14, v6
	v_addc_co_u32_e32 v7, vcc, v32, v7, vcc
	s_mov_b64 s[38:39], 0
	s_mov_b64 s[46:47], s[12:13]
                                        ; implicit-def: $sgpr40_sgpr41
                                        ; implicit-def: $sgpr42_sgpr43
                                        ; implicit-def: $sgpr8_sgpr9
                                        ; implicit-def: $sgpr44_sgpr45
                                        ; implicit-def: $sgpr48_sgpr49
	s_branch .LBB751_518
.LBB751_517:                            ;   in Loop: Header=BB751_518 Depth=1
	s_or_b64 exec, exec, s[50:51]
	s_and_b64 s[10:11], exec, s[42:43]
	s_or_b64 s[38:39], s[10:11], s[38:39]
	s_andn2_b64 s[10:11], s[48:49], exec
	s_and_b64 s[48:49], s[44:45], exec
	s_or_b64 s[48:49], s[10:11], s[48:49]
	s_andn2_b64 s[10:11], s[40:41], exec
	s_and_b64 s[40:41], s[8:9], exec
	s_or_b64 s[40:41], s[10:11], s[40:41]
	s_andn2_b64 exec, exec, s[38:39]
	s_cbranch_execz .LBB751_520
.LBB751_518:                            ; =>This Inner Loop Header: Depth=1
	global_load_dwordx2 v[32:33], v[4:5], off
	global_load_dwordx2 v[34:35], v[6:7], off
	s_andn2_b64 s[50:51], s[8:9], exec
	s_andn2_b64 s[44:45], s[44:45], exec
	s_or_b64 s[42:43], s[42:43], exec
	s_waitcnt vmcnt(0)
	v_cmp_ngt_f64_e64 s[8:9], v[32:33], v[34:35]
	v_cmp_lt_f64_e32 vcc, v[32:33], v[34:35]
	s_and_b64 s[8:9], s[8:9], s[48:49]
	s_or_b64 s[52:53], vcc, s[8:9]
	s_and_b64 s[8:9], s[52:53], exec
	v_cmp_nlg_f64_e64 s[10:11], v[32:33], v[34:35]
	s_or_b64 s[8:9], s[50:51], s[8:9]
	s_and_saveexec_b64 s[50:51], s[10:11]
	s_cbranch_execz .LBB751_517
; %bb.519:                              ;   in Loop: Header=BB751_518 Depth=1
	s_add_u32 s46, s46, -1
	s_addc_u32 s47, s47, -1
	v_add_co_u32_e32 v4, vcc, 8, v4
	s_cmp_eq_u64 s[46:47], 0
	v_addc_co_u32_e32 v5, vcc, 0, v5, vcc
	s_cselect_b64 s[10:11], -1, 0
	v_add_co_u32_e32 v6, vcc, 8, v6
	s_andn2_b64 s[44:45], s[44:45], exec
	s_and_b64 s[48:49], s[52:53], exec
	s_andn2_b64 s[42:43], s[42:43], exec
	s_and_b64 s[10:11], s[10:11], exec
	v_addc_co_u32_e32 v7, vcc, 0, v7, vcc
	s_or_b64 s[44:45], s[44:45], s[48:49]
	s_andn2_b64 s[8:9], s[8:9], exec
	s_or_b64 s[42:43], s[42:43], s[10:11]
                                        ; implicit-def: $sgpr48_sgpr49
	s_branch .LBB751_517
.LBB751_520:
	s_or_b64 exec, exec, s[38:39]
	s_xor_b64 s[8:9], s[40:41], -1
	s_andn2_b64 s[10:11], s[28:29], exec
	s_and_b64 s[8:9], s[8:9], exec
	s_or_b64 s[28:29], s[10:11], s[8:9]
.LBB751_521:
	s_or_b64 exec, exec, s[36:37]
	s_orn2_b64 s[28:29], s[28:29], exec
.LBB751_522:
	s_or_b64 exec, exec, s[34:35]
	v_cndmask_b32_e64 v4, v9, v8, s[28:29]
	v_cndmask_b32_e64 v5, v25, v24, s[28:29]
	v_add_u32_e32 v33, 1, v4
	v_add_u32_e32 v4, -1, v5
	v_min_u32_e32 v4, v33, v4
	v_lshl_add_u32 v4, v4, 3, v18
	ds_read_b64 v[4:5], v4
	v_cndmask_b32_e64 v9, v33, v9, s[28:29]
	v_cmp_lt_u32_e32 vcc, v9, v25
	s_waitcnt lgkmcnt(0)
	v_cndmask_b32_e64 v7, v30, v5, s[28:29]
	v_cndmask_b32_e64 v6, v31, v4, s[28:29]
	s_and_saveexec_b64 s[34:35], vcc
	s_cbranch_execz .LBB751_530
; %bb.523:
	v_cndmask_b32_e64 v32, v4, v29, s[28:29]
	v_cndmask_b32_e64 v4, v8, v33, s[28:29]
	v_cmp_ge_u32_e32 vcc, v4, v24
	v_cndmask_b32_e64 v25, v5, v28, s[28:29]
	s_or_b64 s[8:9], vcc, s[18:19]
	v_cndmask_b32_e32 v5, v7, v25, vcc
	s_xor_b64 s[8:9], s[8:9], -1
	v_cndmask_b32_e32 v4, v6, v32, vcc
	s_and_saveexec_b64 s[36:37], s[8:9]
	s_cbranch_execz .LBB751_529
; %bb.524:
	v_mul_lo_u32 v8, v25, s12
	v_mul_lo_u32 v9, v32, s13
	v_mad_u64_u32 v[4:5], s[8:9], v32, s12, 0
	v_add3_u32 v5, v5, v9, v8
	v_lshlrev_b64 v[4:5], 3, v[4:5]
	v_mov_b32_e32 v8, s15
	v_add_co_u32_e32 v4, vcc, s14, v4
	v_addc_co_u32_e32 v5, vcc, v8, v5, vcc
	v_mul_lo_u32 v24, v7, s12
	v_mul_lo_u32 v33, v6, s13
	v_mad_u64_u32 v[8:9], s[8:9], v6, s12, 0
	v_add3_u32 v9, v9, v33, v24
	v_lshlrev_b64 v[8:9], 3, v[8:9]
	v_mov_b32_e32 v24, s15
	v_add_co_u32_e32 v8, vcc, s14, v8
	v_addc_co_u32_e32 v9, vcc, v24, v9, vcc
	s_mov_b64 s[38:39], 0
	s_mov_b64 s[46:47], s[12:13]
                                        ; implicit-def: $sgpr40_sgpr41
                                        ; implicit-def: $sgpr42_sgpr43
                                        ; implicit-def: $sgpr8_sgpr9
                                        ; implicit-def: $sgpr44_sgpr45
                                        ; implicit-def: $sgpr48_sgpr49
	s_branch .LBB751_526
.LBB751_525:                            ;   in Loop: Header=BB751_526 Depth=1
	s_or_b64 exec, exec, s[50:51]
	s_and_b64 s[10:11], exec, s[42:43]
	s_or_b64 s[38:39], s[10:11], s[38:39]
	s_andn2_b64 s[10:11], s[48:49], exec
	s_and_b64 s[48:49], s[44:45], exec
	s_or_b64 s[48:49], s[10:11], s[48:49]
	s_andn2_b64 s[10:11], s[40:41], exec
	s_and_b64 s[40:41], s[8:9], exec
	s_or_b64 s[40:41], s[10:11], s[40:41]
	s_andn2_b64 exec, exec, s[38:39]
	s_cbranch_execz .LBB751_528
.LBB751_526:                            ; =>This Inner Loop Header: Depth=1
	global_load_dwordx2 v[34:35], v[4:5], off
	global_load_dwordx2 v[36:37], v[8:9], off
	s_andn2_b64 s[50:51], s[8:9], exec
	s_andn2_b64 s[44:45], s[44:45], exec
	s_or_b64 s[42:43], s[42:43], exec
	s_waitcnt vmcnt(0)
	v_cmp_ngt_f64_e64 s[8:9], v[34:35], v[36:37]
	v_cmp_lt_f64_e32 vcc, v[34:35], v[36:37]
	s_and_b64 s[8:9], s[8:9], s[48:49]
	s_or_b64 s[52:53], vcc, s[8:9]
	s_and_b64 s[8:9], s[52:53], exec
	v_cmp_nlg_f64_e64 s[10:11], v[34:35], v[36:37]
	s_or_b64 s[8:9], s[50:51], s[8:9]
	s_and_saveexec_b64 s[50:51], s[10:11]
	s_cbranch_execz .LBB751_525
; %bb.527:                              ;   in Loop: Header=BB751_526 Depth=1
	s_add_u32 s46, s46, -1
	s_addc_u32 s47, s47, -1
	v_add_co_u32_e32 v4, vcc, 8, v4
	s_cmp_eq_u64 s[46:47], 0
	v_addc_co_u32_e32 v5, vcc, 0, v5, vcc
	s_cselect_b64 s[10:11], -1, 0
	v_add_co_u32_e32 v8, vcc, 8, v8
	s_andn2_b64 s[44:45], s[44:45], exec
	s_and_b64 s[48:49], s[52:53], exec
	s_andn2_b64 s[42:43], s[42:43], exec
	s_and_b64 s[10:11], s[10:11], exec
	v_addc_co_u32_e32 v9, vcc, 0, v9, vcc
	s_or_b64 s[44:45], s[44:45], s[48:49]
	s_andn2_b64 s[8:9], s[8:9], exec
	s_or_b64 s[42:43], s[42:43], s[10:11]
                                        ; implicit-def: $sgpr48_sgpr49
	s_branch .LBB751_525
.LBB751_528:
	s_or_b64 exec, exec, s[38:39]
	v_cndmask_b32_e64 v5, v7, v25, s[40:41]
	v_cndmask_b32_e64 v4, v6, v32, s[40:41]
.LBB751_529:
	s_or_b64 exec, exec, s[36:37]
	v_pk_mov_b32 v[6:7], v[4:5], v[4:5] op_sel:[0,1]
.LBB751_530:
	s_or_b64 exec, exec, s[34:35]
	v_cndmask_b32_e64 v1, v3, v1, s[26:27]
	v_cndmask_b32_e64 v0, v2, v0, s[26:27]
	;; [unrolled: 1-line block ×6, first 2 shown]
.LBB751_531:
	s_or_b64 exec, exec, s[22:23]
	v_and_b32_e32 v28, 0x1f0, v20
	v_or_b32_e32 v8, 8, v28
	v_min_u32_e32 v24, v19, v8
	v_add_u32_e32 v8, 8, v24
	v_min_u32_e32 v25, v19, v8
	v_and_b32_e32 v8, 12, v20
	v_min_u32_e32 v29, v19, v8
	v_sub_u32_e32 v8, v24, v28
	v_sub_u32_e32 v9, v25, v24
	v_sub_u32_e64 v27, v29, v9 clamp
	v_min_u32_e32 v30, v29, v8
	v_lshl_add_u32 v26, v28, 3, v18
	v_cmp_lt_u32_e32 vcc, v27, v30
	; wave barrier
	ds_write_b128 v21, v[0:3]
	ds_write_b128 v21, v[4:7] offset:16
	; wave barrier
	s_and_saveexec_b64 s[22:23], vcc
	s_cbranch_execz .LBB751_541
; %bb.532:
	v_lshlrev_b32_e32 v8, 3, v24
	v_lshlrev_b32_e32 v9, 3, v29
	v_add3_u32 v31, v18, v8, v9
	s_lshl_b64 s[28:29], s[12:13], 3
	s_mov_b64 s[26:27], 0
	s_branch .LBB751_535
.LBB751_533:                            ;   in Loop: Header=BB751_535 Depth=1
	s_or_b64 exec, exec, s[34:35]
.LBB751_534:                            ;   in Loop: Header=BB751_535 Depth=1
	v_add_u32_e32 v8, 1, v32
	v_cndmask_b32_e64 v30, v30, v32, s[30:31]
	v_cndmask_b32_e64 v27, v8, v27, s[30:31]
	v_cmp_ge_u32_e32 vcc, v27, v30
	s_or_b64 s[26:27], vcc, s[26:27]
	s_andn2_b64 exec, exec, s[26:27]
	s_cbranch_execz .LBB751_540
.LBB751_535:                            ; =>This Loop Header: Depth=1
                                        ;     Child Loop BB751_538 Depth 2
	v_add_u32_e32 v8, v30, v27
	v_lshrrev_b32_e32 v32, 1, v8
	s_and_b64 vcc, exec, s[6:7]
	s_mov_b64 s[30:31], 0
	s_cbranch_vccnz .LBB751_534
; %bb.536:                              ;   in Loop: Header=BB751_535 Depth=1
	v_not_b32_e32 v8, v32
	v_lshl_add_u32 v8, v8, 3, v31
	ds_read_b64 v[8:9], v8
	v_lshl_add_u32 v33, v32, 3, v26
	ds_read_b64 v[34:35], v33
	v_pk_mov_b32 v[10:11], s[14:15], s[14:15] op_sel:[0,1]
	s_mov_b64 s[34:35], 0
	s_waitcnt lgkmcnt(1)
	v_mul_lo_u32 v33, s28, v9
	v_mul_lo_u32 v36, s29, v8
	v_mad_u64_u32 v[8:9], s[8:9], s28, v8, v[10:11]
	v_add3_u32 v9, v36, v9, v33
	s_waitcnt lgkmcnt(0)
	v_mul_lo_u32 v33, s28, v35
	v_mul_lo_u32 v35, s29, v34
	v_mad_u64_u32 v[10:11], s[8:9], s28, v34, v[10:11]
	v_add3_u32 v11, v35, v11, v33
	s_mov_b64 s[40:41], s[12:13]
                                        ; implicit-def: $sgpr30_sgpr31
                                        ; implicit-def: $sgpr36_sgpr37
                                        ; implicit-def: $sgpr38_sgpr39
                                        ; implicit-def: $sgpr8_sgpr9
                                        ; implicit-def: $sgpr42_sgpr43
	s_branch .LBB751_538
.LBB751_537:                            ;   in Loop: Header=BB751_538 Depth=2
	s_or_b64 exec, exec, s[44:45]
	s_and_b64 s[10:11], exec, s[36:37]
	s_or_b64 s[34:35], s[10:11], s[34:35]
	s_andn2_b64 s[10:11], s[42:43], exec
	s_and_b64 s[42:43], s[38:39], exec
	s_or_b64 s[42:43], s[10:11], s[42:43]
	s_andn2_b64 s[10:11], s[30:31], exec
	s_and_b64 s[30:31], s[8:9], exec
	s_or_b64 s[30:31], s[10:11], s[30:31]
	s_andn2_b64 exec, exec, s[34:35]
	s_cbranch_execz .LBB751_533
.LBB751_538:                            ;   Parent Loop BB751_535 Depth=1
                                        ; =>  This Inner Loop Header: Depth=2
	global_load_dwordx2 v[34:35], v[8:9], off
	global_load_dwordx2 v[36:37], v[10:11], off
	s_andn2_b64 s[44:45], s[8:9], exec
	s_andn2_b64 s[38:39], s[38:39], exec
	s_or_b64 s[36:37], s[36:37], exec
	s_waitcnt vmcnt(0)
	v_cmp_ngt_f64_e64 s[8:9], v[34:35], v[36:37]
	v_cmp_lt_f64_e32 vcc, v[34:35], v[36:37]
	s_and_b64 s[8:9], s[8:9], s[42:43]
	s_or_b64 s[46:47], vcc, s[8:9]
	s_and_b64 s[8:9], s[46:47], exec
	v_cmp_nlg_f64_e64 s[10:11], v[34:35], v[36:37]
	s_or_b64 s[8:9], s[44:45], s[8:9]
	s_and_saveexec_b64 s[44:45], s[10:11]
	s_cbranch_execz .LBB751_537
; %bb.539:                              ;   in Loop: Header=BB751_538 Depth=2
	s_add_u32 s40, s40, -1
	s_addc_u32 s41, s41, -1
	v_add_co_u32_e32 v8, vcc, 8, v8
	s_cmp_eq_u64 s[40:41], 0
	v_addc_co_u32_e32 v9, vcc, 0, v9, vcc
	s_cselect_b64 s[10:11], -1, 0
	v_add_co_u32_e32 v10, vcc, 8, v10
	s_andn2_b64 s[38:39], s[38:39], exec
	s_and_b64 s[42:43], s[46:47], exec
	s_andn2_b64 s[36:37], s[36:37], exec
	s_and_b64 s[10:11], s[10:11], exec
	v_addc_co_u32_e32 v11, vcc, 0, v11, vcc
	s_andn2_b64 s[8:9], s[8:9], exec
	s_or_b64 s[38:39], s[38:39], s[42:43]
	s_or_b64 s[36:37], s[36:37], s[10:11]
                                        ; implicit-def: $sgpr42_sgpr43
	s_branch .LBB751_537
.LBB751_540:
	s_or_b64 exec, exec, s[26:27]
.LBB751_541:
	s_or_b64 exec, exec, s[22:23]
	v_add_u32_e32 v9, v24, v29
	v_add_u32_e32 v8, v27, v28
	v_sub_u32_e32 v9, v9, v27
	v_cmp_le_u32_e32 vcc, v8, v24
	v_cmp_le_u32_e64 s[8:9], v9, v25
	s_or_b64 s[8:9], vcc, s[8:9]
	s_and_saveexec_b64 s[22:23], s[8:9]
	s_cbranch_execz .LBB751_577
; %bb.542:
	v_cmp_ge_u32_e32 vcc, v8, v24
	v_cmp_lt_u32_e64 s[8:9], v8, v24
                                        ; implicit-def: $vgpr0_vgpr1
	s_and_saveexec_b64 s[10:11], s[8:9]
	s_cbranch_execz .LBB751_544
; %bb.543:
	v_lshl_add_u32 v0, v27, 3, v26
	ds_read_b64 v[0:1], v0
.LBB751_544:
	s_or_b64 exec, exec, s[10:11]
	v_cmp_ge_u32_e64 s[8:9], v9, v25
	v_cmp_lt_u32_e64 s[10:11], v9, v25
                                        ; implicit-def: $vgpr2_vgpr3
	s_and_saveexec_b64 s[26:27], s[10:11]
	s_cbranch_execz .LBB751_546
; %bb.545:
	v_lshl_add_u32 v2, v9, 3, v18
	ds_read_b64 v[2:3], v2
.LBB751_546:
	s_or_b64 exec, exec, s[26:27]
	s_or_b64 s[10:11], vcc, s[8:9]
	s_or_b64 s[10:11], s[10:11], s[18:19]
	s_xor_b64 s[26:27], vcc, -1
	s_xor_b64 s[10:11], s[10:11], -1
	s_or_b64 s[26:27], s[8:9], s[26:27]
	s_and_saveexec_b64 s[28:29], s[10:11]
	s_cbranch_execz .LBB751_552
; %bb.547:
	s_waitcnt lgkmcnt(0)
	v_mul_lo_u32 v6, v3, s12
	v_mul_lo_u32 v7, v2, s13
	v_mad_u64_u32 v[4:5], s[8:9], v2, s12, 0
	v_add3_u32 v5, v5, v7, v6
	v_lshlrev_b64 v[4:5], 3, v[4:5]
	v_mov_b32_e32 v6, s15
	v_add_co_u32_e32 v4, vcc, s14, v4
	v_addc_co_u32_e32 v5, vcc, v6, v5, vcc
	v_mul_lo_u32 v10, v1, s12
	v_mul_lo_u32 v11, v0, s13
	v_mad_u64_u32 v[6:7], s[8:9], v0, s12, 0
	v_add3_u32 v7, v7, v11, v10
	v_lshlrev_b64 v[6:7], 3, v[6:7]
	v_mov_b32_e32 v10, s15
	v_add_co_u32_e32 v6, vcc, s14, v6
	v_addc_co_u32_e32 v7, vcc, v10, v7, vcc
	s_mov_b64 s[30:31], 0
	s_mov_b64 s[40:41], s[12:13]
                                        ; implicit-def: $sgpr34_sgpr35
                                        ; implicit-def: $sgpr36_sgpr37
                                        ; implicit-def: $sgpr8_sgpr9
                                        ; implicit-def: $sgpr38_sgpr39
                                        ; implicit-def: $sgpr42_sgpr43
	s_branch .LBB751_549
.LBB751_548:                            ;   in Loop: Header=BB751_549 Depth=1
	s_or_b64 exec, exec, s[44:45]
	s_and_b64 s[10:11], exec, s[36:37]
	s_or_b64 s[30:31], s[10:11], s[30:31]
	s_andn2_b64 s[10:11], s[42:43], exec
	s_and_b64 s[42:43], s[38:39], exec
	s_or_b64 s[42:43], s[10:11], s[42:43]
	s_andn2_b64 s[10:11], s[34:35], exec
	s_and_b64 s[34:35], s[8:9], exec
	s_or_b64 s[34:35], s[10:11], s[34:35]
	s_andn2_b64 exec, exec, s[30:31]
	s_cbranch_execz .LBB751_551
.LBB751_549:                            ; =>This Inner Loop Header: Depth=1
	global_load_dwordx2 v[10:11], v[4:5], off
	global_load_dwordx2 v[26:27], v[6:7], off
	s_andn2_b64 s[44:45], s[8:9], exec
	s_andn2_b64 s[38:39], s[38:39], exec
	s_or_b64 s[36:37], s[36:37], exec
	s_waitcnt vmcnt(0)
	v_cmp_ngt_f64_e64 s[8:9], v[10:11], v[26:27]
	v_cmp_lt_f64_e32 vcc, v[10:11], v[26:27]
	s_and_b64 s[8:9], s[8:9], s[42:43]
	s_or_b64 s[46:47], vcc, s[8:9]
	s_and_b64 s[8:9], s[46:47], exec
	v_cmp_nlg_f64_e64 s[10:11], v[10:11], v[26:27]
	s_or_b64 s[8:9], s[44:45], s[8:9]
	s_and_saveexec_b64 s[44:45], s[10:11]
	s_cbranch_execz .LBB751_548
; %bb.550:                              ;   in Loop: Header=BB751_549 Depth=1
	s_add_u32 s40, s40, -1
	s_addc_u32 s41, s41, -1
	v_add_co_u32_e32 v4, vcc, 8, v4
	s_cmp_eq_u64 s[40:41], 0
	v_addc_co_u32_e32 v5, vcc, 0, v5, vcc
	s_cselect_b64 s[10:11], -1, 0
	v_add_co_u32_e32 v6, vcc, 8, v6
	s_andn2_b64 s[38:39], s[38:39], exec
	s_and_b64 s[42:43], s[46:47], exec
	s_andn2_b64 s[36:37], s[36:37], exec
	s_and_b64 s[10:11], s[10:11], exec
	v_addc_co_u32_e32 v7, vcc, 0, v7, vcc
	s_or_b64 s[38:39], s[38:39], s[42:43]
	s_andn2_b64 s[8:9], s[8:9], exec
	s_or_b64 s[36:37], s[36:37], s[10:11]
                                        ; implicit-def: $sgpr42_sgpr43
	s_branch .LBB751_548
.LBB751_551:
	s_or_b64 exec, exec, s[30:31]
	s_xor_b64 s[8:9], s[34:35], -1
	s_andn2_b64 s[10:11], s[26:27], exec
	s_and_b64 s[8:9], s[8:9], exec
	s_or_b64 s[26:27], s[10:11], s[8:9]
.LBB751_552:
	s_or_b64 exec, exec, s[28:29]
	v_cndmask_b32_e64 v4, v9, v8, s[26:27]
	v_cndmask_b32_e64 v5, v25, v24, s[26:27]
	v_add_u32_e32 v6, 1, v4
	v_add_u32_e32 v4, -1, v5
	v_min_u32_e32 v4, v6, v4
	v_lshl_add_u32 v4, v4, 3, v18
	ds_read_b64 v[4:5], v4
	v_cndmask_b32_e64 v9, v6, v9, s[26:27]
	v_cndmask_b32_e64 v8, v8, v6, s[26:27]
	v_cmp_lt_u32_e32 vcc, v9, v25
	s_mov_b64 s[28:29], -1
	s_waitcnt lgkmcnt(0)
	v_cndmask_b32_e64 v10, v5, v3, s[26:27]
	v_cndmask_b32_e64 v11, v4, v2, s[26:27]
	;; [unrolled: 1-line block ×4, first 2 shown]
	s_mov_b64 s[30:31], -1
	s_and_saveexec_b64 s[34:35], vcc
	s_cbranch_execz .LBB751_560
; %bb.553:
	v_cmp_lt_u32_e64 s[30:31], v8, v24
	s_and_b64 s[8:9], s[30:31], s[20:21]
	s_and_saveexec_b64 s[36:37], s[8:9]
	s_cbranch_execz .LBB751_559
; %bb.554:
	v_mul_lo_u32 v6, v10, s12
	v_mul_lo_u32 v7, v11, s13
	v_mad_u64_u32 v[4:5], s[8:9], v11, s12, 0
	v_add3_u32 v5, v5, v7, v6
	v_lshlrev_b64 v[4:5], 3, v[4:5]
	v_mov_b32_e32 v6, s15
	v_add_co_u32_e32 v4, vcc, s14, v4
	v_addc_co_u32_e32 v5, vcc, v6, v5, vcc
	v_mul_lo_u32 v28, v26, s12
	v_mul_lo_u32 v29, v27, s13
	v_mad_u64_u32 v[6:7], s[8:9], v27, s12, 0
	v_add3_u32 v7, v7, v29, v28
	v_lshlrev_b64 v[6:7], 3, v[6:7]
	v_mov_b32_e32 v28, s15
	v_add_co_u32_e32 v6, vcc, s14, v6
	v_addc_co_u32_e32 v7, vcc, v28, v7, vcc
	s_mov_b64 s[38:39], 0
	s_mov_b64 s[46:47], s[12:13]
                                        ; implicit-def: $sgpr40_sgpr41
                                        ; implicit-def: $sgpr42_sgpr43
                                        ; implicit-def: $sgpr8_sgpr9
                                        ; implicit-def: $sgpr44_sgpr45
                                        ; implicit-def: $sgpr48_sgpr49
	s_branch .LBB751_556
.LBB751_555:                            ;   in Loop: Header=BB751_556 Depth=1
	s_or_b64 exec, exec, s[50:51]
	s_and_b64 s[10:11], exec, s[42:43]
	s_or_b64 s[38:39], s[10:11], s[38:39]
	s_andn2_b64 s[10:11], s[48:49], exec
	s_and_b64 s[48:49], s[44:45], exec
	s_or_b64 s[48:49], s[10:11], s[48:49]
	s_andn2_b64 s[10:11], s[40:41], exec
	s_and_b64 s[40:41], s[8:9], exec
	s_or_b64 s[40:41], s[10:11], s[40:41]
	s_andn2_b64 exec, exec, s[38:39]
	s_cbranch_execz .LBB751_558
.LBB751_556:                            ; =>This Inner Loop Header: Depth=1
	global_load_dwordx2 v[28:29], v[4:5], off
	global_load_dwordx2 v[30:31], v[6:7], off
	s_andn2_b64 s[50:51], s[8:9], exec
	s_andn2_b64 s[44:45], s[44:45], exec
	s_or_b64 s[42:43], s[42:43], exec
	s_waitcnt vmcnt(0)
	v_cmp_ngt_f64_e64 s[8:9], v[28:29], v[30:31]
	v_cmp_lt_f64_e32 vcc, v[28:29], v[30:31]
	s_and_b64 s[8:9], s[8:9], s[48:49]
	s_or_b64 s[52:53], vcc, s[8:9]
	s_and_b64 s[8:9], s[52:53], exec
	v_cmp_nlg_f64_e64 s[10:11], v[28:29], v[30:31]
	s_or_b64 s[8:9], s[50:51], s[8:9]
	s_and_saveexec_b64 s[50:51], s[10:11]
	s_cbranch_execz .LBB751_555
; %bb.557:                              ;   in Loop: Header=BB751_556 Depth=1
	s_add_u32 s46, s46, -1
	s_addc_u32 s47, s47, -1
	v_add_co_u32_e32 v4, vcc, 8, v4
	s_cmp_eq_u64 s[46:47], 0
	v_addc_co_u32_e32 v5, vcc, 0, v5, vcc
	s_cselect_b64 s[10:11], -1, 0
	v_add_co_u32_e32 v6, vcc, 8, v6
	s_andn2_b64 s[44:45], s[44:45], exec
	s_and_b64 s[48:49], s[52:53], exec
	s_andn2_b64 s[42:43], s[42:43], exec
	s_and_b64 s[10:11], s[10:11], exec
	v_addc_co_u32_e32 v7, vcc, 0, v7, vcc
	s_or_b64 s[44:45], s[44:45], s[48:49]
	s_andn2_b64 s[8:9], s[8:9], exec
	s_or_b64 s[42:43], s[42:43], s[10:11]
                                        ; implicit-def: $sgpr48_sgpr49
	s_branch .LBB751_555
.LBB751_558:
	s_or_b64 exec, exec, s[38:39]
	s_xor_b64 s[8:9], s[40:41], -1
	s_andn2_b64 s[10:11], s[30:31], exec
	s_and_b64 s[8:9], s[8:9], exec
	s_or_b64 s[30:31], s[10:11], s[8:9]
.LBB751_559:
	s_or_b64 exec, exec, s[36:37]
	s_orn2_b64 s[30:31], s[30:31], exec
.LBB751_560:
	s_or_b64 exec, exec, s[34:35]
	v_cndmask_b32_e64 v4, v9, v8, s[30:31]
	v_cndmask_b32_e64 v5, v25, v24, s[30:31]
	v_add_u32_e32 v6, 1, v4
	v_add_u32_e32 v4, -1, v5
	v_min_u32_e32 v4, v6, v4
	v_lshl_add_u32 v4, v4, 3, v18
	ds_read_b64 v[4:5], v4
	v_cndmask_b32_e64 v9, v6, v9, s[30:31]
	v_cndmask_b32_e64 v8, v8, v6, s[30:31]
	v_cmp_lt_u32_e32 vcc, v9, v25
	s_waitcnt lgkmcnt(0)
	v_cndmask_b32_e64 v28, v5, v10, s[30:31]
	v_cndmask_b32_e64 v29, v4, v11, s[30:31]
	;; [unrolled: 1-line block ×4, first 2 shown]
	s_and_saveexec_b64 s[34:35], vcc
	s_cbranch_execz .LBB751_568
; %bb.561:
	v_cmp_lt_u32_e64 s[28:29], v8, v24
	s_and_b64 s[8:9], s[28:29], s[20:21]
	s_and_saveexec_b64 s[36:37], s[8:9]
	s_cbranch_execz .LBB751_567
; %bb.562:
	v_mul_lo_u32 v6, v28, s12
	v_mul_lo_u32 v7, v29, s13
	v_mad_u64_u32 v[4:5], s[8:9], v29, s12, 0
	v_add3_u32 v5, v5, v7, v6
	v_lshlrev_b64 v[4:5], 3, v[4:5]
	v_mov_b32_e32 v6, s15
	v_add_co_u32_e32 v4, vcc, s14, v4
	v_addc_co_u32_e32 v5, vcc, v6, v5, vcc
	v_mul_lo_u32 v32, v30, s12
	v_mul_lo_u32 v33, v31, s13
	v_mad_u64_u32 v[6:7], s[8:9], v31, s12, 0
	v_add3_u32 v7, v7, v33, v32
	v_lshlrev_b64 v[6:7], 3, v[6:7]
	v_mov_b32_e32 v32, s15
	v_add_co_u32_e32 v6, vcc, s14, v6
	v_addc_co_u32_e32 v7, vcc, v32, v7, vcc
	s_mov_b64 s[38:39], 0
	s_mov_b64 s[46:47], s[12:13]
                                        ; implicit-def: $sgpr40_sgpr41
                                        ; implicit-def: $sgpr42_sgpr43
                                        ; implicit-def: $sgpr8_sgpr9
                                        ; implicit-def: $sgpr44_sgpr45
                                        ; implicit-def: $sgpr48_sgpr49
	s_branch .LBB751_564
.LBB751_563:                            ;   in Loop: Header=BB751_564 Depth=1
	s_or_b64 exec, exec, s[50:51]
	s_and_b64 s[10:11], exec, s[42:43]
	s_or_b64 s[38:39], s[10:11], s[38:39]
	s_andn2_b64 s[10:11], s[48:49], exec
	s_and_b64 s[48:49], s[44:45], exec
	s_or_b64 s[48:49], s[10:11], s[48:49]
	s_andn2_b64 s[10:11], s[40:41], exec
	s_and_b64 s[40:41], s[8:9], exec
	s_or_b64 s[40:41], s[10:11], s[40:41]
	s_andn2_b64 exec, exec, s[38:39]
	s_cbranch_execz .LBB751_566
.LBB751_564:                            ; =>This Inner Loop Header: Depth=1
	global_load_dwordx2 v[32:33], v[4:5], off
	global_load_dwordx2 v[34:35], v[6:7], off
	s_andn2_b64 s[50:51], s[8:9], exec
	s_andn2_b64 s[44:45], s[44:45], exec
	s_or_b64 s[42:43], s[42:43], exec
	s_waitcnt vmcnt(0)
	v_cmp_ngt_f64_e64 s[8:9], v[32:33], v[34:35]
	v_cmp_lt_f64_e32 vcc, v[32:33], v[34:35]
	s_and_b64 s[8:9], s[8:9], s[48:49]
	s_or_b64 s[52:53], vcc, s[8:9]
	s_and_b64 s[8:9], s[52:53], exec
	v_cmp_nlg_f64_e64 s[10:11], v[32:33], v[34:35]
	s_or_b64 s[8:9], s[50:51], s[8:9]
	s_and_saveexec_b64 s[50:51], s[10:11]
	s_cbranch_execz .LBB751_563
; %bb.565:                              ;   in Loop: Header=BB751_564 Depth=1
	s_add_u32 s46, s46, -1
	s_addc_u32 s47, s47, -1
	v_add_co_u32_e32 v4, vcc, 8, v4
	s_cmp_eq_u64 s[46:47], 0
	v_addc_co_u32_e32 v5, vcc, 0, v5, vcc
	s_cselect_b64 s[10:11], -1, 0
	v_add_co_u32_e32 v6, vcc, 8, v6
	s_andn2_b64 s[44:45], s[44:45], exec
	s_and_b64 s[48:49], s[52:53], exec
	s_andn2_b64 s[42:43], s[42:43], exec
	s_and_b64 s[10:11], s[10:11], exec
	v_addc_co_u32_e32 v7, vcc, 0, v7, vcc
	s_or_b64 s[44:45], s[44:45], s[48:49]
	s_andn2_b64 s[8:9], s[8:9], exec
	s_or_b64 s[42:43], s[42:43], s[10:11]
                                        ; implicit-def: $sgpr48_sgpr49
	s_branch .LBB751_563
.LBB751_566:
	s_or_b64 exec, exec, s[38:39]
	s_xor_b64 s[8:9], s[40:41], -1
	s_andn2_b64 s[10:11], s[28:29], exec
	s_and_b64 s[8:9], s[8:9], exec
	s_or_b64 s[28:29], s[10:11], s[8:9]
.LBB751_567:
	s_or_b64 exec, exec, s[36:37]
	s_orn2_b64 s[28:29], s[28:29], exec
.LBB751_568:
	s_or_b64 exec, exec, s[34:35]
	v_cndmask_b32_e64 v4, v9, v8, s[28:29]
	v_cndmask_b32_e64 v5, v25, v24, s[28:29]
	v_add_u32_e32 v33, 1, v4
	v_add_u32_e32 v4, -1, v5
	v_min_u32_e32 v4, v33, v4
	v_lshl_add_u32 v4, v4, 3, v18
	ds_read_b64 v[4:5], v4
	v_cndmask_b32_e64 v9, v33, v9, s[28:29]
	v_cmp_lt_u32_e32 vcc, v9, v25
	s_waitcnt lgkmcnt(0)
	v_cndmask_b32_e64 v7, v30, v5, s[28:29]
	v_cndmask_b32_e64 v6, v31, v4, s[28:29]
	s_and_saveexec_b64 s[34:35], vcc
	s_cbranch_execz .LBB751_576
; %bb.569:
	v_cndmask_b32_e64 v32, v4, v29, s[28:29]
	v_cndmask_b32_e64 v4, v8, v33, s[28:29]
	v_cmp_ge_u32_e32 vcc, v4, v24
	v_cndmask_b32_e64 v25, v5, v28, s[28:29]
	s_or_b64 s[8:9], vcc, s[18:19]
	v_cndmask_b32_e32 v5, v7, v25, vcc
	s_xor_b64 s[8:9], s[8:9], -1
	v_cndmask_b32_e32 v4, v6, v32, vcc
	s_and_saveexec_b64 s[36:37], s[8:9]
	s_cbranch_execz .LBB751_575
; %bb.570:
	v_mul_lo_u32 v8, v25, s12
	v_mul_lo_u32 v9, v32, s13
	v_mad_u64_u32 v[4:5], s[8:9], v32, s12, 0
	v_add3_u32 v5, v5, v9, v8
	v_lshlrev_b64 v[4:5], 3, v[4:5]
	v_mov_b32_e32 v8, s15
	v_add_co_u32_e32 v4, vcc, s14, v4
	v_addc_co_u32_e32 v5, vcc, v8, v5, vcc
	v_mul_lo_u32 v24, v7, s12
	v_mul_lo_u32 v33, v6, s13
	v_mad_u64_u32 v[8:9], s[8:9], v6, s12, 0
	v_add3_u32 v9, v9, v33, v24
	v_lshlrev_b64 v[8:9], 3, v[8:9]
	v_mov_b32_e32 v24, s15
	v_add_co_u32_e32 v8, vcc, s14, v8
	v_addc_co_u32_e32 v9, vcc, v24, v9, vcc
	s_mov_b64 s[38:39], 0
	s_mov_b64 s[46:47], s[12:13]
                                        ; implicit-def: $sgpr40_sgpr41
                                        ; implicit-def: $sgpr42_sgpr43
                                        ; implicit-def: $sgpr8_sgpr9
                                        ; implicit-def: $sgpr44_sgpr45
                                        ; implicit-def: $sgpr48_sgpr49
	s_branch .LBB751_572
.LBB751_571:                            ;   in Loop: Header=BB751_572 Depth=1
	s_or_b64 exec, exec, s[50:51]
	s_and_b64 s[10:11], exec, s[42:43]
	s_or_b64 s[38:39], s[10:11], s[38:39]
	s_andn2_b64 s[10:11], s[48:49], exec
	s_and_b64 s[48:49], s[44:45], exec
	s_or_b64 s[48:49], s[10:11], s[48:49]
	s_andn2_b64 s[10:11], s[40:41], exec
	s_and_b64 s[40:41], s[8:9], exec
	s_or_b64 s[40:41], s[10:11], s[40:41]
	s_andn2_b64 exec, exec, s[38:39]
	s_cbranch_execz .LBB751_574
.LBB751_572:                            ; =>This Inner Loop Header: Depth=1
	global_load_dwordx2 v[34:35], v[4:5], off
	global_load_dwordx2 v[36:37], v[8:9], off
	s_andn2_b64 s[50:51], s[8:9], exec
	s_andn2_b64 s[44:45], s[44:45], exec
	s_or_b64 s[42:43], s[42:43], exec
	s_waitcnt vmcnt(0)
	v_cmp_ngt_f64_e64 s[8:9], v[34:35], v[36:37]
	v_cmp_lt_f64_e32 vcc, v[34:35], v[36:37]
	s_and_b64 s[8:9], s[8:9], s[48:49]
	s_or_b64 s[52:53], vcc, s[8:9]
	s_and_b64 s[8:9], s[52:53], exec
	v_cmp_nlg_f64_e64 s[10:11], v[34:35], v[36:37]
	s_or_b64 s[8:9], s[50:51], s[8:9]
	s_and_saveexec_b64 s[50:51], s[10:11]
	s_cbranch_execz .LBB751_571
; %bb.573:                              ;   in Loop: Header=BB751_572 Depth=1
	s_add_u32 s46, s46, -1
	s_addc_u32 s47, s47, -1
	v_add_co_u32_e32 v4, vcc, 8, v4
	s_cmp_eq_u64 s[46:47], 0
	v_addc_co_u32_e32 v5, vcc, 0, v5, vcc
	s_cselect_b64 s[10:11], -1, 0
	v_add_co_u32_e32 v8, vcc, 8, v8
	s_andn2_b64 s[44:45], s[44:45], exec
	s_and_b64 s[48:49], s[52:53], exec
	s_andn2_b64 s[42:43], s[42:43], exec
	s_and_b64 s[10:11], s[10:11], exec
	v_addc_co_u32_e32 v9, vcc, 0, v9, vcc
	s_or_b64 s[44:45], s[44:45], s[48:49]
	s_andn2_b64 s[8:9], s[8:9], exec
	s_or_b64 s[42:43], s[42:43], s[10:11]
                                        ; implicit-def: $sgpr48_sgpr49
	s_branch .LBB751_571
.LBB751_574:
	s_or_b64 exec, exec, s[38:39]
	v_cndmask_b32_e64 v5, v7, v25, s[40:41]
	v_cndmask_b32_e64 v4, v6, v32, s[40:41]
.LBB751_575:
	s_or_b64 exec, exec, s[36:37]
	v_pk_mov_b32 v[6:7], v[4:5], v[4:5] op_sel:[0,1]
.LBB751_576:
	s_or_b64 exec, exec, s[34:35]
	v_cndmask_b32_e64 v1, v3, v1, s[26:27]
	v_cndmask_b32_e64 v0, v2, v0, s[26:27]
	;; [unrolled: 1-line block ×6, first 2 shown]
.LBB751_577:
	s_or_b64 exec, exec, s[22:23]
	v_and_b32_e32 v28, 0x1e0, v20
	v_or_b32_e32 v8, 16, v28
	v_min_u32_e32 v24, v19, v8
	v_add_u32_e32 v8, 16, v24
	v_min_u32_e32 v25, v19, v8
	v_and_b32_e32 v8, 28, v20
	v_min_u32_e32 v29, v19, v8
	v_sub_u32_e32 v8, v24, v28
	v_sub_u32_e32 v9, v25, v24
	v_sub_u32_e64 v27, v29, v9 clamp
	v_min_u32_e32 v30, v29, v8
	v_lshl_add_u32 v26, v28, 3, v18
	v_cmp_lt_u32_e32 vcc, v27, v30
	; wave barrier
	ds_write_b128 v21, v[0:3]
	ds_write_b128 v21, v[4:7] offset:16
	; wave barrier
	s_and_saveexec_b64 s[22:23], vcc
	s_cbranch_execz .LBB751_587
; %bb.578:
	v_lshlrev_b32_e32 v8, 3, v24
	v_lshlrev_b32_e32 v9, 3, v29
	v_add3_u32 v31, v18, v8, v9
	s_lshl_b64 s[28:29], s[12:13], 3
	s_mov_b64 s[26:27], 0
	s_branch .LBB751_581
.LBB751_579:                            ;   in Loop: Header=BB751_581 Depth=1
	s_or_b64 exec, exec, s[34:35]
.LBB751_580:                            ;   in Loop: Header=BB751_581 Depth=1
	v_add_u32_e32 v8, 1, v32
	v_cndmask_b32_e64 v30, v30, v32, s[30:31]
	v_cndmask_b32_e64 v27, v8, v27, s[30:31]
	v_cmp_ge_u32_e32 vcc, v27, v30
	s_or_b64 s[26:27], vcc, s[26:27]
	s_andn2_b64 exec, exec, s[26:27]
	s_cbranch_execz .LBB751_586
.LBB751_581:                            ; =>This Loop Header: Depth=1
                                        ;     Child Loop BB751_584 Depth 2
	v_add_u32_e32 v8, v30, v27
	v_lshrrev_b32_e32 v32, 1, v8
	s_and_b64 vcc, exec, s[6:7]
	s_mov_b64 s[30:31], 0
	s_cbranch_vccnz .LBB751_580
; %bb.582:                              ;   in Loop: Header=BB751_581 Depth=1
	v_not_b32_e32 v8, v32
	v_lshl_add_u32 v8, v8, 3, v31
	ds_read_b64 v[8:9], v8
	v_lshl_add_u32 v33, v32, 3, v26
	ds_read_b64 v[34:35], v33
	v_pk_mov_b32 v[10:11], s[14:15], s[14:15] op_sel:[0,1]
	s_mov_b64 s[34:35], 0
	s_waitcnt lgkmcnt(1)
	v_mul_lo_u32 v33, s28, v9
	v_mul_lo_u32 v36, s29, v8
	v_mad_u64_u32 v[8:9], s[8:9], s28, v8, v[10:11]
	v_add3_u32 v9, v36, v9, v33
	s_waitcnt lgkmcnt(0)
	v_mul_lo_u32 v33, s28, v35
	v_mul_lo_u32 v35, s29, v34
	v_mad_u64_u32 v[10:11], s[8:9], s28, v34, v[10:11]
	v_add3_u32 v11, v35, v11, v33
	s_mov_b64 s[40:41], s[12:13]
                                        ; implicit-def: $sgpr30_sgpr31
                                        ; implicit-def: $sgpr36_sgpr37
                                        ; implicit-def: $sgpr38_sgpr39
                                        ; implicit-def: $sgpr8_sgpr9
                                        ; implicit-def: $sgpr42_sgpr43
	s_branch .LBB751_584
.LBB751_583:                            ;   in Loop: Header=BB751_584 Depth=2
	s_or_b64 exec, exec, s[44:45]
	s_and_b64 s[10:11], exec, s[36:37]
	s_or_b64 s[34:35], s[10:11], s[34:35]
	s_andn2_b64 s[10:11], s[42:43], exec
	s_and_b64 s[42:43], s[38:39], exec
	s_or_b64 s[42:43], s[10:11], s[42:43]
	s_andn2_b64 s[10:11], s[30:31], exec
	s_and_b64 s[30:31], s[8:9], exec
	s_or_b64 s[30:31], s[10:11], s[30:31]
	s_andn2_b64 exec, exec, s[34:35]
	s_cbranch_execz .LBB751_579
.LBB751_584:                            ;   Parent Loop BB751_581 Depth=1
                                        ; =>  This Inner Loop Header: Depth=2
	global_load_dwordx2 v[34:35], v[8:9], off
	global_load_dwordx2 v[36:37], v[10:11], off
	s_andn2_b64 s[44:45], s[8:9], exec
	s_andn2_b64 s[38:39], s[38:39], exec
	s_or_b64 s[36:37], s[36:37], exec
	s_waitcnt vmcnt(0)
	v_cmp_ngt_f64_e64 s[8:9], v[34:35], v[36:37]
	v_cmp_lt_f64_e32 vcc, v[34:35], v[36:37]
	s_and_b64 s[8:9], s[8:9], s[42:43]
	s_or_b64 s[46:47], vcc, s[8:9]
	s_and_b64 s[8:9], s[46:47], exec
	v_cmp_nlg_f64_e64 s[10:11], v[34:35], v[36:37]
	s_or_b64 s[8:9], s[44:45], s[8:9]
	s_and_saveexec_b64 s[44:45], s[10:11]
	s_cbranch_execz .LBB751_583
; %bb.585:                              ;   in Loop: Header=BB751_584 Depth=2
	s_add_u32 s40, s40, -1
	s_addc_u32 s41, s41, -1
	v_add_co_u32_e32 v8, vcc, 8, v8
	s_cmp_eq_u64 s[40:41], 0
	v_addc_co_u32_e32 v9, vcc, 0, v9, vcc
	s_cselect_b64 s[10:11], -1, 0
	v_add_co_u32_e32 v10, vcc, 8, v10
	s_andn2_b64 s[38:39], s[38:39], exec
	s_and_b64 s[42:43], s[46:47], exec
	s_andn2_b64 s[36:37], s[36:37], exec
	s_and_b64 s[10:11], s[10:11], exec
	v_addc_co_u32_e32 v11, vcc, 0, v11, vcc
	s_andn2_b64 s[8:9], s[8:9], exec
	s_or_b64 s[38:39], s[38:39], s[42:43]
	s_or_b64 s[36:37], s[36:37], s[10:11]
                                        ; implicit-def: $sgpr42_sgpr43
	s_branch .LBB751_583
.LBB751_586:
	s_or_b64 exec, exec, s[26:27]
.LBB751_587:
	s_or_b64 exec, exec, s[22:23]
	v_add_u32_e32 v9, v24, v29
	v_add_u32_e32 v8, v27, v28
	v_sub_u32_e32 v9, v9, v27
	v_cmp_le_u32_e32 vcc, v8, v24
	v_cmp_le_u32_e64 s[8:9], v9, v25
	s_or_b64 s[8:9], vcc, s[8:9]
	s_and_saveexec_b64 s[22:23], s[8:9]
	s_cbranch_execz .LBB751_623
; %bb.588:
	v_cmp_ge_u32_e32 vcc, v8, v24
	v_cmp_lt_u32_e64 s[8:9], v8, v24
                                        ; implicit-def: $vgpr0_vgpr1
	s_and_saveexec_b64 s[10:11], s[8:9]
	s_cbranch_execz .LBB751_590
; %bb.589:
	v_lshl_add_u32 v0, v27, 3, v26
	ds_read_b64 v[0:1], v0
.LBB751_590:
	s_or_b64 exec, exec, s[10:11]
	v_cmp_ge_u32_e64 s[8:9], v9, v25
	v_cmp_lt_u32_e64 s[10:11], v9, v25
                                        ; implicit-def: $vgpr2_vgpr3
	s_and_saveexec_b64 s[26:27], s[10:11]
	s_cbranch_execz .LBB751_592
; %bb.591:
	v_lshl_add_u32 v2, v9, 3, v18
	ds_read_b64 v[2:3], v2
.LBB751_592:
	s_or_b64 exec, exec, s[26:27]
	s_or_b64 s[10:11], vcc, s[8:9]
	s_or_b64 s[10:11], s[10:11], s[18:19]
	s_xor_b64 s[26:27], vcc, -1
	s_xor_b64 s[10:11], s[10:11], -1
	s_or_b64 s[26:27], s[8:9], s[26:27]
	s_and_saveexec_b64 s[28:29], s[10:11]
	s_cbranch_execz .LBB751_598
; %bb.593:
	s_waitcnt lgkmcnt(0)
	v_mul_lo_u32 v6, v3, s12
	v_mul_lo_u32 v7, v2, s13
	v_mad_u64_u32 v[4:5], s[8:9], v2, s12, 0
	v_add3_u32 v5, v5, v7, v6
	v_lshlrev_b64 v[4:5], 3, v[4:5]
	v_mov_b32_e32 v6, s15
	v_add_co_u32_e32 v4, vcc, s14, v4
	v_addc_co_u32_e32 v5, vcc, v6, v5, vcc
	v_mul_lo_u32 v10, v1, s12
	v_mul_lo_u32 v11, v0, s13
	v_mad_u64_u32 v[6:7], s[8:9], v0, s12, 0
	v_add3_u32 v7, v7, v11, v10
	v_lshlrev_b64 v[6:7], 3, v[6:7]
	v_mov_b32_e32 v10, s15
	v_add_co_u32_e32 v6, vcc, s14, v6
	v_addc_co_u32_e32 v7, vcc, v10, v7, vcc
	s_mov_b64 s[30:31], 0
	s_mov_b64 s[40:41], s[12:13]
                                        ; implicit-def: $sgpr34_sgpr35
                                        ; implicit-def: $sgpr36_sgpr37
                                        ; implicit-def: $sgpr8_sgpr9
                                        ; implicit-def: $sgpr38_sgpr39
                                        ; implicit-def: $sgpr42_sgpr43
	s_branch .LBB751_595
.LBB751_594:                            ;   in Loop: Header=BB751_595 Depth=1
	s_or_b64 exec, exec, s[44:45]
	s_and_b64 s[10:11], exec, s[36:37]
	s_or_b64 s[30:31], s[10:11], s[30:31]
	s_andn2_b64 s[10:11], s[42:43], exec
	s_and_b64 s[42:43], s[38:39], exec
	s_or_b64 s[42:43], s[10:11], s[42:43]
	s_andn2_b64 s[10:11], s[34:35], exec
	s_and_b64 s[34:35], s[8:9], exec
	s_or_b64 s[34:35], s[10:11], s[34:35]
	s_andn2_b64 exec, exec, s[30:31]
	s_cbranch_execz .LBB751_597
.LBB751_595:                            ; =>This Inner Loop Header: Depth=1
	global_load_dwordx2 v[10:11], v[4:5], off
	global_load_dwordx2 v[26:27], v[6:7], off
	s_andn2_b64 s[44:45], s[8:9], exec
	s_andn2_b64 s[38:39], s[38:39], exec
	s_or_b64 s[36:37], s[36:37], exec
	s_waitcnt vmcnt(0)
	v_cmp_ngt_f64_e64 s[8:9], v[10:11], v[26:27]
	v_cmp_lt_f64_e32 vcc, v[10:11], v[26:27]
	s_and_b64 s[8:9], s[8:9], s[42:43]
	s_or_b64 s[46:47], vcc, s[8:9]
	s_and_b64 s[8:9], s[46:47], exec
	v_cmp_nlg_f64_e64 s[10:11], v[10:11], v[26:27]
	s_or_b64 s[8:9], s[44:45], s[8:9]
	s_and_saveexec_b64 s[44:45], s[10:11]
	s_cbranch_execz .LBB751_594
; %bb.596:                              ;   in Loop: Header=BB751_595 Depth=1
	s_add_u32 s40, s40, -1
	s_addc_u32 s41, s41, -1
	v_add_co_u32_e32 v4, vcc, 8, v4
	s_cmp_eq_u64 s[40:41], 0
	v_addc_co_u32_e32 v5, vcc, 0, v5, vcc
	s_cselect_b64 s[10:11], -1, 0
	v_add_co_u32_e32 v6, vcc, 8, v6
	s_andn2_b64 s[38:39], s[38:39], exec
	s_and_b64 s[42:43], s[46:47], exec
	s_andn2_b64 s[36:37], s[36:37], exec
	s_and_b64 s[10:11], s[10:11], exec
	v_addc_co_u32_e32 v7, vcc, 0, v7, vcc
	s_or_b64 s[38:39], s[38:39], s[42:43]
	s_andn2_b64 s[8:9], s[8:9], exec
	s_or_b64 s[36:37], s[36:37], s[10:11]
                                        ; implicit-def: $sgpr42_sgpr43
	s_branch .LBB751_594
.LBB751_597:
	s_or_b64 exec, exec, s[30:31]
	s_xor_b64 s[8:9], s[34:35], -1
	s_andn2_b64 s[10:11], s[26:27], exec
	s_and_b64 s[8:9], s[8:9], exec
	s_or_b64 s[26:27], s[10:11], s[8:9]
.LBB751_598:
	s_or_b64 exec, exec, s[28:29]
	v_cndmask_b32_e64 v4, v9, v8, s[26:27]
	v_cndmask_b32_e64 v5, v25, v24, s[26:27]
	v_add_u32_e32 v6, 1, v4
	v_add_u32_e32 v4, -1, v5
	v_min_u32_e32 v4, v6, v4
	v_lshl_add_u32 v4, v4, 3, v18
	ds_read_b64 v[4:5], v4
	v_cndmask_b32_e64 v9, v6, v9, s[26:27]
	v_cndmask_b32_e64 v8, v8, v6, s[26:27]
	v_cmp_lt_u32_e32 vcc, v9, v25
	s_mov_b64 s[28:29], -1
	s_waitcnt lgkmcnt(0)
	v_cndmask_b32_e64 v10, v5, v3, s[26:27]
	v_cndmask_b32_e64 v11, v4, v2, s[26:27]
	;; [unrolled: 1-line block ×4, first 2 shown]
	s_mov_b64 s[30:31], -1
	s_and_saveexec_b64 s[34:35], vcc
	s_cbranch_execz .LBB751_606
; %bb.599:
	v_cmp_lt_u32_e64 s[30:31], v8, v24
	s_and_b64 s[8:9], s[30:31], s[20:21]
	s_and_saveexec_b64 s[36:37], s[8:9]
	s_cbranch_execz .LBB751_605
; %bb.600:
	v_mul_lo_u32 v6, v10, s12
	v_mul_lo_u32 v7, v11, s13
	v_mad_u64_u32 v[4:5], s[8:9], v11, s12, 0
	v_add3_u32 v5, v5, v7, v6
	v_lshlrev_b64 v[4:5], 3, v[4:5]
	v_mov_b32_e32 v6, s15
	v_add_co_u32_e32 v4, vcc, s14, v4
	v_addc_co_u32_e32 v5, vcc, v6, v5, vcc
	v_mul_lo_u32 v28, v26, s12
	v_mul_lo_u32 v29, v27, s13
	v_mad_u64_u32 v[6:7], s[8:9], v27, s12, 0
	v_add3_u32 v7, v7, v29, v28
	v_lshlrev_b64 v[6:7], 3, v[6:7]
	v_mov_b32_e32 v28, s15
	v_add_co_u32_e32 v6, vcc, s14, v6
	v_addc_co_u32_e32 v7, vcc, v28, v7, vcc
	s_mov_b64 s[38:39], 0
	s_mov_b64 s[46:47], s[12:13]
                                        ; implicit-def: $sgpr40_sgpr41
                                        ; implicit-def: $sgpr42_sgpr43
                                        ; implicit-def: $sgpr8_sgpr9
                                        ; implicit-def: $sgpr44_sgpr45
                                        ; implicit-def: $sgpr48_sgpr49
	s_branch .LBB751_602
.LBB751_601:                            ;   in Loop: Header=BB751_602 Depth=1
	s_or_b64 exec, exec, s[50:51]
	s_and_b64 s[10:11], exec, s[42:43]
	s_or_b64 s[38:39], s[10:11], s[38:39]
	s_andn2_b64 s[10:11], s[48:49], exec
	s_and_b64 s[48:49], s[44:45], exec
	s_or_b64 s[48:49], s[10:11], s[48:49]
	s_andn2_b64 s[10:11], s[40:41], exec
	s_and_b64 s[40:41], s[8:9], exec
	s_or_b64 s[40:41], s[10:11], s[40:41]
	s_andn2_b64 exec, exec, s[38:39]
	s_cbranch_execz .LBB751_604
.LBB751_602:                            ; =>This Inner Loop Header: Depth=1
	global_load_dwordx2 v[28:29], v[4:5], off
	global_load_dwordx2 v[30:31], v[6:7], off
	s_andn2_b64 s[50:51], s[8:9], exec
	s_andn2_b64 s[44:45], s[44:45], exec
	s_or_b64 s[42:43], s[42:43], exec
	s_waitcnt vmcnt(0)
	v_cmp_ngt_f64_e64 s[8:9], v[28:29], v[30:31]
	v_cmp_lt_f64_e32 vcc, v[28:29], v[30:31]
	s_and_b64 s[8:9], s[8:9], s[48:49]
	s_or_b64 s[52:53], vcc, s[8:9]
	s_and_b64 s[8:9], s[52:53], exec
	v_cmp_nlg_f64_e64 s[10:11], v[28:29], v[30:31]
	s_or_b64 s[8:9], s[50:51], s[8:9]
	s_and_saveexec_b64 s[50:51], s[10:11]
	s_cbranch_execz .LBB751_601
; %bb.603:                              ;   in Loop: Header=BB751_602 Depth=1
	s_add_u32 s46, s46, -1
	s_addc_u32 s47, s47, -1
	v_add_co_u32_e32 v4, vcc, 8, v4
	s_cmp_eq_u64 s[46:47], 0
	v_addc_co_u32_e32 v5, vcc, 0, v5, vcc
	s_cselect_b64 s[10:11], -1, 0
	v_add_co_u32_e32 v6, vcc, 8, v6
	s_andn2_b64 s[44:45], s[44:45], exec
	s_and_b64 s[48:49], s[52:53], exec
	s_andn2_b64 s[42:43], s[42:43], exec
	s_and_b64 s[10:11], s[10:11], exec
	v_addc_co_u32_e32 v7, vcc, 0, v7, vcc
	s_or_b64 s[44:45], s[44:45], s[48:49]
	s_andn2_b64 s[8:9], s[8:9], exec
	s_or_b64 s[42:43], s[42:43], s[10:11]
                                        ; implicit-def: $sgpr48_sgpr49
	s_branch .LBB751_601
.LBB751_604:
	s_or_b64 exec, exec, s[38:39]
	s_xor_b64 s[8:9], s[40:41], -1
	s_andn2_b64 s[10:11], s[30:31], exec
	s_and_b64 s[8:9], s[8:9], exec
	s_or_b64 s[30:31], s[10:11], s[8:9]
.LBB751_605:
	s_or_b64 exec, exec, s[36:37]
	s_orn2_b64 s[30:31], s[30:31], exec
.LBB751_606:
	s_or_b64 exec, exec, s[34:35]
	v_cndmask_b32_e64 v4, v9, v8, s[30:31]
	v_cndmask_b32_e64 v5, v25, v24, s[30:31]
	v_add_u32_e32 v6, 1, v4
	v_add_u32_e32 v4, -1, v5
	v_min_u32_e32 v4, v6, v4
	v_lshl_add_u32 v4, v4, 3, v18
	ds_read_b64 v[4:5], v4
	v_cndmask_b32_e64 v9, v6, v9, s[30:31]
	v_cndmask_b32_e64 v8, v8, v6, s[30:31]
	v_cmp_lt_u32_e32 vcc, v9, v25
	s_waitcnt lgkmcnt(0)
	v_cndmask_b32_e64 v28, v5, v10, s[30:31]
	v_cndmask_b32_e64 v29, v4, v11, s[30:31]
	;; [unrolled: 1-line block ×4, first 2 shown]
	s_and_saveexec_b64 s[34:35], vcc
	s_cbranch_execz .LBB751_614
; %bb.607:
	v_cmp_lt_u32_e64 s[28:29], v8, v24
	s_and_b64 s[8:9], s[28:29], s[20:21]
	s_and_saveexec_b64 s[36:37], s[8:9]
	s_cbranch_execz .LBB751_613
; %bb.608:
	v_mul_lo_u32 v6, v28, s12
	v_mul_lo_u32 v7, v29, s13
	v_mad_u64_u32 v[4:5], s[8:9], v29, s12, 0
	v_add3_u32 v5, v5, v7, v6
	v_lshlrev_b64 v[4:5], 3, v[4:5]
	v_mov_b32_e32 v6, s15
	v_add_co_u32_e32 v4, vcc, s14, v4
	v_addc_co_u32_e32 v5, vcc, v6, v5, vcc
	v_mul_lo_u32 v32, v30, s12
	v_mul_lo_u32 v33, v31, s13
	v_mad_u64_u32 v[6:7], s[8:9], v31, s12, 0
	v_add3_u32 v7, v7, v33, v32
	v_lshlrev_b64 v[6:7], 3, v[6:7]
	v_mov_b32_e32 v32, s15
	v_add_co_u32_e32 v6, vcc, s14, v6
	v_addc_co_u32_e32 v7, vcc, v32, v7, vcc
	s_mov_b64 s[38:39], 0
	s_mov_b64 s[46:47], s[12:13]
                                        ; implicit-def: $sgpr40_sgpr41
                                        ; implicit-def: $sgpr42_sgpr43
                                        ; implicit-def: $sgpr8_sgpr9
                                        ; implicit-def: $sgpr44_sgpr45
                                        ; implicit-def: $sgpr48_sgpr49
	s_branch .LBB751_610
.LBB751_609:                            ;   in Loop: Header=BB751_610 Depth=1
	s_or_b64 exec, exec, s[50:51]
	s_and_b64 s[10:11], exec, s[42:43]
	s_or_b64 s[38:39], s[10:11], s[38:39]
	s_andn2_b64 s[10:11], s[48:49], exec
	s_and_b64 s[48:49], s[44:45], exec
	s_or_b64 s[48:49], s[10:11], s[48:49]
	s_andn2_b64 s[10:11], s[40:41], exec
	s_and_b64 s[40:41], s[8:9], exec
	s_or_b64 s[40:41], s[10:11], s[40:41]
	s_andn2_b64 exec, exec, s[38:39]
	s_cbranch_execz .LBB751_612
.LBB751_610:                            ; =>This Inner Loop Header: Depth=1
	global_load_dwordx2 v[32:33], v[4:5], off
	global_load_dwordx2 v[34:35], v[6:7], off
	s_andn2_b64 s[50:51], s[8:9], exec
	s_andn2_b64 s[44:45], s[44:45], exec
	s_or_b64 s[42:43], s[42:43], exec
	s_waitcnt vmcnt(0)
	v_cmp_ngt_f64_e64 s[8:9], v[32:33], v[34:35]
	v_cmp_lt_f64_e32 vcc, v[32:33], v[34:35]
	s_and_b64 s[8:9], s[8:9], s[48:49]
	s_or_b64 s[52:53], vcc, s[8:9]
	s_and_b64 s[8:9], s[52:53], exec
	v_cmp_nlg_f64_e64 s[10:11], v[32:33], v[34:35]
	s_or_b64 s[8:9], s[50:51], s[8:9]
	s_and_saveexec_b64 s[50:51], s[10:11]
	s_cbranch_execz .LBB751_609
; %bb.611:                              ;   in Loop: Header=BB751_610 Depth=1
	s_add_u32 s46, s46, -1
	s_addc_u32 s47, s47, -1
	v_add_co_u32_e32 v4, vcc, 8, v4
	s_cmp_eq_u64 s[46:47], 0
	v_addc_co_u32_e32 v5, vcc, 0, v5, vcc
	s_cselect_b64 s[10:11], -1, 0
	v_add_co_u32_e32 v6, vcc, 8, v6
	s_andn2_b64 s[44:45], s[44:45], exec
	s_and_b64 s[48:49], s[52:53], exec
	s_andn2_b64 s[42:43], s[42:43], exec
	s_and_b64 s[10:11], s[10:11], exec
	v_addc_co_u32_e32 v7, vcc, 0, v7, vcc
	s_or_b64 s[44:45], s[44:45], s[48:49]
	s_andn2_b64 s[8:9], s[8:9], exec
	s_or_b64 s[42:43], s[42:43], s[10:11]
                                        ; implicit-def: $sgpr48_sgpr49
	s_branch .LBB751_609
.LBB751_612:
	s_or_b64 exec, exec, s[38:39]
	s_xor_b64 s[8:9], s[40:41], -1
	s_andn2_b64 s[10:11], s[28:29], exec
	s_and_b64 s[8:9], s[8:9], exec
	s_or_b64 s[28:29], s[10:11], s[8:9]
.LBB751_613:
	s_or_b64 exec, exec, s[36:37]
	s_orn2_b64 s[28:29], s[28:29], exec
.LBB751_614:
	s_or_b64 exec, exec, s[34:35]
	v_cndmask_b32_e64 v4, v9, v8, s[28:29]
	v_cndmask_b32_e64 v5, v25, v24, s[28:29]
	v_add_u32_e32 v33, 1, v4
	v_add_u32_e32 v4, -1, v5
	v_min_u32_e32 v4, v33, v4
	v_lshl_add_u32 v4, v4, 3, v18
	ds_read_b64 v[4:5], v4
	v_cndmask_b32_e64 v9, v33, v9, s[28:29]
	v_cmp_lt_u32_e32 vcc, v9, v25
	s_waitcnt lgkmcnt(0)
	v_cndmask_b32_e64 v7, v30, v5, s[28:29]
	v_cndmask_b32_e64 v6, v31, v4, s[28:29]
	s_and_saveexec_b64 s[34:35], vcc
	s_cbranch_execz .LBB751_622
; %bb.615:
	v_cndmask_b32_e64 v32, v4, v29, s[28:29]
	v_cndmask_b32_e64 v4, v8, v33, s[28:29]
	v_cmp_ge_u32_e32 vcc, v4, v24
	v_cndmask_b32_e64 v25, v5, v28, s[28:29]
	s_or_b64 s[8:9], vcc, s[18:19]
	v_cndmask_b32_e32 v5, v7, v25, vcc
	s_xor_b64 s[8:9], s[8:9], -1
	v_cndmask_b32_e32 v4, v6, v32, vcc
	s_and_saveexec_b64 s[36:37], s[8:9]
	s_cbranch_execz .LBB751_621
; %bb.616:
	v_mul_lo_u32 v8, v25, s12
	v_mul_lo_u32 v9, v32, s13
	v_mad_u64_u32 v[4:5], s[8:9], v32, s12, 0
	v_add3_u32 v5, v5, v9, v8
	v_lshlrev_b64 v[4:5], 3, v[4:5]
	v_mov_b32_e32 v8, s15
	v_add_co_u32_e32 v4, vcc, s14, v4
	v_addc_co_u32_e32 v5, vcc, v8, v5, vcc
	v_mul_lo_u32 v24, v7, s12
	v_mul_lo_u32 v33, v6, s13
	v_mad_u64_u32 v[8:9], s[8:9], v6, s12, 0
	v_add3_u32 v9, v9, v33, v24
	v_lshlrev_b64 v[8:9], 3, v[8:9]
	v_mov_b32_e32 v24, s15
	v_add_co_u32_e32 v8, vcc, s14, v8
	v_addc_co_u32_e32 v9, vcc, v24, v9, vcc
	s_mov_b64 s[38:39], 0
	s_mov_b64 s[46:47], s[12:13]
                                        ; implicit-def: $sgpr40_sgpr41
                                        ; implicit-def: $sgpr42_sgpr43
                                        ; implicit-def: $sgpr8_sgpr9
                                        ; implicit-def: $sgpr44_sgpr45
                                        ; implicit-def: $sgpr48_sgpr49
	s_branch .LBB751_618
.LBB751_617:                            ;   in Loop: Header=BB751_618 Depth=1
	s_or_b64 exec, exec, s[50:51]
	s_and_b64 s[10:11], exec, s[42:43]
	s_or_b64 s[38:39], s[10:11], s[38:39]
	s_andn2_b64 s[10:11], s[48:49], exec
	s_and_b64 s[48:49], s[44:45], exec
	s_or_b64 s[48:49], s[10:11], s[48:49]
	s_andn2_b64 s[10:11], s[40:41], exec
	s_and_b64 s[40:41], s[8:9], exec
	s_or_b64 s[40:41], s[10:11], s[40:41]
	s_andn2_b64 exec, exec, s[38:39]
	s_cbranch_execz .LBB751_620
.LBB751_618:                            ; =>This Inner Loop Header: Depth=1
	global_load_dwordx2 v[34:35], v[4:5], off
	global_load_dwordx2 v[36:37], v[8:9], off
	s_andn2_b64 s[50:51], s[8:9], exec
	s_andn2_b64 s[44:45], s[44:45], exec
	s_or_b64 s[42:43], s[42:43], exec
	s_waitcnt vmcnt(0)
	v_cmp_ngt_f64_e64 s[8:9], v[34:35], v[36:37]
	v_cmp_lt_f64_e32 vcc, v[34:35], v[36:37]
	s_and_b64 s[8:9], s[8:9], s[48:49]
	s_or_b64 s[52:53], vcc, s[8:9]
	s_and_b64 s[8:9], s[52:53], exec
	v_cmp_nlg_f64_e64 s[10:11], v[34:35], v[36:37]
	s_or_b64 s[8:9], s[50:51], s[8:9]
	s_and_saveexec_b64 s[50:51], s[10:11]
	s_cbranch_execz .LBB751_617
; %bb.619:                              ;   in Loop: Header=BB751_618 Depth=1
	s_add_u32 s46, s46, -1
	s_addc_u32 s47, s47, -1
	v_add_co_u32_e32 v4, vcc, 8, v4
	s_cmp_eq_u64 s[46:47], 0
	v_addc_co_u32_e32 v5, vcc, 0, v5, vcc
	s_cselect_b64 s[10:11], -1, 0
	v_add_co_u32_e32 v8, vcc, 8, v8
	s_andn2_b64 s[44:45], s[44:45], exec
	s_and_b64 s[48:49], s[52:53], exec
	s_andn2_b64 s[42:43], s[42:43], exec
	s_and_b64 s[10:11], s[10:11], exec
	v_addc_co_u32_e32 v9, vcc, 0, v9, vcc
	s_or_b64 s[44:45], s[44:45], s[48:49]
	s_andn2_b64 s[8:9], s[8:9], exec
	s_or_b64 s[42:43], s[42:43], s[10:11]
                                        ; implicit-def: $sgpr48_sgpr49
	s_branch .LBB751_617
.LBB751_620:
	s_or_b64 exec, exec, s[38:39]
	v_cndmask_b32_e64 v5, v7, v25, s[40:41]
	v_cndmask_b32_e64 v4, v6, v32, s[40:41]
.LBB751_621:
	s_or_b64 exec, exec, s[36:37]
	v_pk_mov_b32 v[6:7], v[4:5], v[4:5] op_sel:[0,1]
.LBB751_622:
	s_or_b64 exec, exec, s[34:35]
	v_cndmask_b32_e64 v1, v3, v1, s[26:27]
	v_cndmask_b32_e64 v0, v2, v0, s[26:27]
	v_cndmask_b32_e64 v3, v10, v26, s[30:31]
	v_cndmask_b32_e64 v2, v11, v27, s[30:31]
	v_cndmask_b32_e64 v5, v28, v30, s[28:29]
	v_cndmask_b32_e64 v4, v29, v31, s[28:29]
.LBB751_623:
	s_or_b64 exec, exec, s[22:23]
	v_and_b32_e32 v25, 0x1c0, v20
	v_or_b32_e32 v8, 32, v25
	; wave barrier
	ds_write_b128 v21, v[0:3]
	ds_write_b128 v21, v[4:7] offset:16
	v_min_u32_e32 v21, v19, v8
	v_add_u32_e32 v8, 32, v21
	v_min_u32_e32 v24, v19, v8
	v_and_b32_e32 v8, 60, v20
	v_min_u32_e32 v26, v19, v8
	v_sub_u32_e32 v8, v21, v25
	v_sub_u32_e32 v9, v24, v21
	v_sub_u32_e64 v20, v26, v9 clamp
	v_min_u32_e32 v27, v26, v8
	v_lshl_add_u32 v19, v25, 3, v18
	v_cmp_lt_u32_e32 vcc, v20, v27
	; wave barrier
	s_and_saveexec_b64 s[22:23], vcc
	s_cbranch_execz .LBB751_633
; %bb.624:
	v_lshlrev_b32_e32 v8, 3, v21
	v_lshlrev_b32_e32 v9, 3, v26
	v_add3_u32 v28, v18, v8, v9
	s_lshl_b64 s[28:29], s[12:13], 3
	s_mov_b64 s[26:27], 0
	s_branch .LBB751_627
.LBB751_625:                            ;   in Loop: Header=BB751_627 Depth=1
	s_or_b64 exec, exec, s[34:35]
.LBB751_626:                            ;   in Loop: Header=BB751_627 Depth=1
	v_add_u32_e32 v8, 1, v29
	v_cndmask_b32_e64 v27, v27, v29, s[30:31]
	v_cndmask_b32_e64 v20, v8, v20, s[30:31]
	v_cmp_ge_u32_e32 vcc, v20, v27
	s_or_b64 s[26:27], vcc, s[26:27]
	s_andn2_b64 exec, exec, s[26:27]
	s_cbranch_execz .LBB751_632
.LBB751_627:                            ; =>This Loop Header: Depth=1
                                        ;     Child Loop BB751_630 Depth 2
	v_add_u32_e32 v8, v27, v20
	v_lshrrev_b32_e32 v29, 1, v8
	s_and_b64 vcc, exec, s[6:7]
	s_mov_b64 s[30:31], 0
	s_cbranch_vccnz .LBB751_626
; %bb.628:                              ;   in Loop: Header=BB751_627 Depth=1
	v_not_b32_e32 v8, v29
	v_lshl_add_u32 v8, v8, 3, v28
	ds_read_b64 v[8:9], v8
	v_lshl_add_u32 v30, v29, 3, v19
	ds_read_b64 v[30:31], v30
	v_pk_mov_b32 v[10:11], s[14:15], s[14:15] op_sel:[0,1]
	s_mov_b64 s[34:35], 0
	s_waitcnt lgkmcnt(1)
	v_mul_lo_u32 v32, s28, v9
	v_mul_lo_u32 v33, s29, v8
	v_mad_u64_u32 v[8:9], s[8:9], s28, v8, v[10:11]
	v_add3_u32 v9, v33, v9, v32
	s_waitcnt lgkmcnt(0)
	v_mul_lo_u32 v31, s28, v31
	v_mul_lo_u32 v32, s29, v30
	v_mad_u64_u32 v[10:11], s[8:9], s28, v30, v[10:11]
	v_add3_u32 v11, v32, v11, v31
	s_mov_b64 s[40:41], s[12:13]
                                        ; implicit-def: $sgpr30_sgpr31
                                        ; implicit-def: $sgpr36_sgpr37
                                        ; implicit-def: $sgpr38_sgpr39
                                        ; implicit-def: $sgpr8_sgpr9
                                        ; implicit-def: $sgpr42_sgpr43
	s_branch .LBB751_630
.LBB751_629:                            ;   in Loop: Header=BB751_630 Depth=2
	s_or_b64 exec, exec, s[44:45]
	s_and_b64 s[10:11], exec, s[36:37]
	s_or_b64 s[34:35], s[10:11], s[34:35]
	s_andn2_b64 s[10:11], s[42:43], exec
	s_and_b64 s[42:43], s[38:39], exec
	s_or_b64 s[42:43], s[10:11], s[42:43]
	s_andn2_b64 s[10:11], s[30:31], exec
	s_and_b64 s[30:31], s[8:9], exec
	s_or_b64 s[30:31], s[10:11], s[30:31]
	s_andn2_b64 exec, exec, s[34:35]
	s_cbranch_execz .LBB751_625
.LBB751_630:                            ;   Parent Loop BB751_627 Depth=1
                                        ; =>  This Inner Loop Header: Depth=2
	global_load_dwordx2 v[30:31], v[8:9], off
	global_load_dwordx2 v[32:33], v[10:11], off
	s_andn2_b64 s[44:45], s[8:9], exec
	s_andn2_b64 s[38:39], s[38:39], exec
	s_or_b64 s[36:37], s[36:37], exec
	s_waitcnt vmcnt(0)
	v_cmp_ngt_f64_e64 s[8:9], v[30:31], v[32:33]
	v_cmp_lt_f64_e32 vcc, v[30:31], v[32:33]
	s_and_b64 s[8:9], s[8:9], s[42:43]
	s_or_b64 s[46:47], vcc, s[8:9]
	s_and_b64 s[8:9], s[46:47], exec
	v_cmp_nlg_f64_e64 s[10:11], v[30:31], v[32:33]
	s_or_b64 s[8:9], s[44:45], s[8:9]
	s_and_saveexec_b64 s[44:45], s[10:11]
	s_cbranch_execz .LBB751_629
; %bb.631:                              ;   in Loop: Header=BB751_630 Depth=2
	s_add_u32 s40, s40, -1
	s_addc_u32 s41, s41, -1
	v_add_co_u32_e32 v8, vcc, 8, v8
	s_cmp_eq_u64 s[40:41], 0
	v_addc_co_u32_e32 v9, vcc, 0, v9, vcc
	s_cselect_b64 s[10:11], -1, 0
	v_add_co_u32_e32 v10, vcc, 8, v10
	s_andn2_b64 s[38:39], s[38:39], exec
	s_and_b64 s[42:43], s[46:47], exec
	s_andn2_b64 s[36:37], s[36:37], exec
	s_and_b64 s[10:11], s[10:11], exec
	v_addc_co_u32_e32 v11, vcc, 0, v11, vcc
	s_andn2_b64 s[8:9], s[8:9], exec
	s_or_b64 s[38:39], s[38:39], s[42:43]
	s_or_b64 s[36:37], s[36:37], s[10:11]
                                        ; implicit-def: $sgpr42_sgpr43
	s_branch .LBB751_629
.LBB751_632:
	s_or_b64 exec, exec, s[26:27]
.LBB751_633:
	s_or_b64 exec, exec, s[22:23]
	v_add_u32_e32 v9, v21, v26
	v_add_u32_e32 v8, v20, v25
	v_sub_u32_e32 v9, v9, v20
	v_cmp_le_u32_e32 vcc, v8, v21
	v_cmp_le_u32_e64 s[8:9], v9, v24
	s_or_b64 s[8:9], vcc, s[8:9]
	s_and_saveexec_b64 s[22:23], s[8:9]
	s_cbranch_execz .LBB751_669
; %bb.634:
	v_cmp_ge_u32_e32 vcc, v8, v21
	v_cmp_lt_u32_e64 s[8:9], v8, v21
                                        ; implicit-def: $vgpr0_vgpr1
	s_and_saveexec_b64 s[10:11], s[8:9]
	s_cbranch_execz .LBB751_636
; %bb.635:
	v_lshl_add_u32 v0, v20, 3, v19
	ds_read_b64 v[0:1], v0
.LBB751_636:
	s_or_b64 exec, exec, s[10:11]
	v_cmp_ge_u32_e64 s[8:9], v9, v24
	v_cmp_lt_u32_e64 s[10:11], v9, v24
                                        ; implicit-def: $vgpr2_vgpr3
	s_and_saveexec_b64 s[26:27], s[10:11]
	s_cbranch_execz .LBB751_638
; %bb.637:
	v_lshl_add_u32 v2, v9, 3, v18
	ds_read_b64 v[2:3], v2
.LBB751_638:
	s_or_b64 exec, exec, s[26:27]
	s_or_b64 s[10:11], vcc, s[8:9]
	s_or_b64 s[10:11], s[10:11], s[18:19]
	s_xor_b64 s[26:27], vcc, -1
	s_xor_b64 s[10:11], s[10:11], -1
	s_or_b64 s[26:27], s[8:9], s[26:27]
	s_and_saveexec_b64 s[28:29], s[10:11]
	s_cbranch_execz .LBB751_644
; %bb.639:
	s_waitcnt lgkmcnt(0)
	v_mul_lo_u32 v6, v3, s12
	v_mul_lo_u32 v7, v2, s13
	v_mad_u64_u32 v[4:5], s[8:9], v2, s12, 0
	v_add3_u32 v5, v5, v7, v6
	v_lshlrev_b64 v[4:5], 3, v[4:5]
	v_mov_b32_e32 v6, s15
	v_add_co_u32_e32 v4, vcc, s14, v4
	v_addc_co_u32_e32 v5, vcc, v6, v5, vcc
	v_mul_lo_u32 v10, v1, s12
	v_mul_lo_u32 v11, v0, s13
	v_mad_u64_u32 v[6:7], s[8:9], v0, s12, 0
	v_add3_u32 v7, v7, v11, v10
	v_lshlrev_b64 v[6:7], 3, v[6:7]
	v_mov_b32_e32 v10, s15
	v_add_co_u32_e32 v6, vcc, s14, v6
	v_addc_co_u32_e32 v7, vcc, v10, v7, vcc
	s_mov_b64 s[30:31], 0
	s_mov_b64 s[40:41], s[12:13]
                                        ; implicit-def: $sgpr34_sgpr35
                                        ; implicit-def: $sgpr36_sgpr37
                                        ; implicit-def: $sgpr8_sgpr9
                                        ; implicit-def: $sgpr38_sgpr39
                                        ; implicit-def: $sgpr42_sgpr43
	s_branch .LBB751_641
.LBB751_640:                            ;   in Loop: Header=BB751_641 Depth=1
	s_or_b64 exec, exec, s[44:45]
	s_and_b64 s[10:11], exec, s[36:37]
	s_or_b64 s[30:31], s[10:11], s[30:31]
	s_andn2_b64 s[10:11], s[42:43], exec
	s_and_b64 s[42:43], s[38:39], exec
	s_or_b64 s[42:43], s[10:11], s[42:43]
	s_andn2_b64 s[10:11], s[34:35], exec
	s_and_b64 s[34:35], s[8:9], exec
	s_or_b64 s[34:35], s[10:11], s[34:35]
	s_andn2_b64 exec, exec, s[30:31]
	s_cbranch_execz .LBB751_643
.LBB751_641:                            ; =>This Inner Loop Header: Depth=1
	global_load_dwordx2 v[10:11], v[4:5], off
	global_load_dwordx2 v[26:27], v[6:7], off
	s_andn2_b64 s[44:45], s[8:9], exec
	s_andn2_b64 s[38:39], s[38:39], exec
	s_or_b64 s[36:37], s[36:37], exec
	s_waitcnt vmcnt(0)
	v_cmp_ngt_f64_e64 s[8:9], v[10:11], v[26:27]
	v_cmp_lt_f64_e32 vcc, v[10:11], v[26:27]
	s_and_b64 s[8:9], s[8:9], s[42:43]
	s_or_b64 s[46:47], vcc, s[8:9]
	s_and_b64 s[8:9], s[46:47], exec
	v_cmp_nlg_f64_e64 s[10:11], v[10:11], v[26:27]
	s_or_b64 s[8:9], s[44:45], s[8:9]
	s_and_saveexec_b64 s[44:45], s[10:11]
	s_cbranch_execz .LBB751_640
; %bb.642:                              ;   in Loop: Header=BB751_641 Depth=1
	s_add_u32 s40, s40, -1
	s_addc_u32 s41, s41, -1
	v_add_co_u32_e32 v4, vcc, 8, v4
	s_cmp_eq_u64 s[40:41], 0
	v_addc_co_u32_e32 v5, vcc, 0, v5, vcc
	s_cselect_b64 s[10:11], -1, 0
	v_add_co_u32_e32 v6, vcc, 8, v6
	s_andn2_b64 s[38:39], s[38:39], exec
	s_and_b64 s[42:43], s[46:47], exec
	s_andn2_b64 s[36:37], s[36:37], exec
	s_and_b64 s[10:11], s[10:11], exec
	v_addc_co_u32_e32 v7, vcc, 0, v7, vcc
	s_or_b64 s[38:39], s[38:39], s[42:43]
	s_andn2_b64 s[8:9], s[8:9], exec
	s_or_b64 s[36:37], s[36:37], s[10:11]
                                        ; implicit-def: $sgpr42_sgpr43
	s_branch .LBB751_640
.LBB751_643:
	s_or_b64 exec, exec, s[30:31]
	s_xor_b64 s[8:9], s[34:35], -1
	s_andn2_b64 s[10:11], s[26:27], exec
	s_and_b64 s[8:9], s[8:9], exec
	s_or_b64 s[26:27], s[10:11], s[8:9]
.LBB751_644:
	s_or_b64 exec, exec, s[28:29]
	v_cndmask_b32_e64 v4, v9, v8, s[26:27]
	v_cndmask_b32_e64 v5, v24, v21, s[26:27]
	v_add_u32_e32 v6, 1, v4
	v_add_u32_e32 v4, -1, v5
	v_min_u32_e32 v4, v6, v4
	v_lshl_add_u32 v4, v4, 3, v18
	ds_read_b64 v[4:5], v4
	v_cndmask_b32_e64 v9, v6, v9, s[26:27]
	v_cndmask_b32_e64 v8, v8, v6, s[26:27]
	v_cmp_lt_u32_e32 vcc, v9, v24
	s_mov_b64 s[28:29], -1
	s_waitcnt lgkmcnt(0)
	v_cndmask_b32_e64 v10, v5, v3, s[26:27]
	v_cndmask_b32_e64 v11, v4, v2, s[26:27]
	;; [unrolled: 1-line block ×4, first 2 shown]
	s_mov_b64 s[30:31], -1
	s_and_saveexec_b64 s[34:35], vcc
	s_cbranch_execz .LBB751_652
; %bb.645:
	v_cmp_lt_u32_e64 s[30:31], v8, v21
	s_and_b64 s[8:9], s[30:31], s[20:21]
	s_and_saveexec_b64 s[36:37], s[8:9]
	s_cbranch_execz .LBB751_651
; %bb.646:
	v_mul_lo_u32 v6, v10, s12
	v_mul_lo_u32 v7, v11, s13
	v_mad_u64_u32 v[4:5], s[8:9], v11, s12, 0
	v_add3_u32 v5, v5, v7, v6
	v_lshlrev_b64 v[4:5], 3, v[4:5]
	v_mov_b32_e32 v6, s15
	v_add_co_u32_e32 v4, vcc, s14, v4
	v_addc_co_u32_e32 v5, vcc, v6, v5, vcc
	v_mul_lo_u32 v25, v19, s12
	v_mul_lo_u32 v26, v20, s13
	v_mad_u64_u32 v[6:7], s[8:9], v20, s12, 0
	v_add3_u32 v7, v7, v26, v25
	v_lshlrev_b64 v[6:7], 3, v[6:7]
	v_mov_b32_e32 v25, s15
	v_add_co_u32_e32 v6, vcc, s14, v6
	v_addc_co_u32_e32 v7, vcc, v25, v7, vcc
	s_mov_b64 s[38:39], 0
	s_mov_b64 s[46:47], s[12:13]
                                        ; implicit-def: $sgpr40_sgpr41
                                        ; implicit-def: $sgpr42_sgpr43
                                        ; implicit-def: $sgpr8_sgpr9
                                        ; implicit-def: $sgpr44_sgpr45
                                        ; implicit-def: $sgpr48_sgpr49
	s_branch .LBB751_648
.LBB751_647:                            ;   in Loop: Header=BB751_648 Depth=1
	s_or_b64 exec, exec, s[50:51]
	s_and_b64 s[10:11], exec, s[42:43]
	s_or_b64 s[38:39], s[10:11], s[38:39]
	s_andn2_b64 s[10:11], s[48:49], exec
	s_and_b64 s[48:49], s[44:45], exec
	s_or_b64 s[48:49], s[10:11], s[48:49]
	s_andn2_b64 s[10:11], s[40:41], exec
	s_and_b64 s[40:41], s[8:9], exec
	s_or_b64 s[40:41], s[10:11], s[40:41]
	s_andn2_b64 exec, exec, s[38:39]
	s_cbranch_execz .LBB751_650
.LBB751_648:                            ; =>This Inner Loop Header: Depth=1
	global_load_dwordx2 v[26:27], v[4:5], off
	global_load_dwordx2 v[28:29], v[6:7], off
	s_andn2_b64 s[50:51], s[8:9], exec
	s_andn2_b64 s[44:45], s[44:45], exec
	s_or_b64 s[42:43], s[42:43], exec
	s_waitcnt vmcnt(0)
	v_cmp_ngt_f64_e64 s[8:9], v[26:27], v[28:29]
	v_cmp_lt_f64_e32 vcc, v[26:27], v[28:29]
	s_and_b64 s[8:9], s[8:9], s[48:49]
	s_or_b64 s[52:53], vcc, s[8:9]
	s_and_b64 s[8:9], s[52:53], exec
	v_cmp_nlg_f64_e64 s[10:11], v[26:27], v[28:29]
	s_or_b64 s[8:9], s[50:51], s[8:9]
	s_and_saveexec_b64 s[50:51], s[10:11]
	s_cbranch_execz .LBB751_647
; %bb.649:                              ;   in Loop: Header=BB751_648 Depth=1
	s_add_u32 s46, s46, -1
	s_addc_u32 s47, s47, -1
	v_add_co_u32_e32 v4, vcc, 8, v4
	s_cmp_eq_u64 s[46:47], 0
	v_addc_co_u32_e32 v5, vcc, 0, v5, vcc
	s_cselect_b64 s[10:11], -1, 0
	v_add_co_u32_e32 v6, vcc, 8, v6
	s_andn2_b64 s[44:45], s[44:45], exec
	s_and_b64 s[48:49], s[52:53], exec
	s_andn2_b64 s[42:43], s[42:43], exec
	s_and_b64 s[10:11], s[10:11], exec
	v_addc_co_u32_e32 v7, vcc, 0, v7, vcc
	s_or_b64 s[44:45], s[44:45], s[48:49]
	s_andn2_b64 s[8:9], s[8:9], exec
	s_or_b64 s[42:43], s[42:43], s[10:11]
                                        ; implicit-def: $sgpr48_sgpr49
	s_branch .LBB751_647
.LBB751_650:
	s_or_b64 exec, exec, s[38:39]
	s_xor_b64 s[8:9], s[40:41], -1
	s_andn2_b64 s[10:11], s[30:31], exec
	s_and_b64 s[8:9], s[8:9], exec
	s_or_b64 s[30:31], s[10:11], s[8:9]
.LBB751_651:
	s_or_b64 exec, exec, s[36:37]
	s_orn2_b64 s[30:31], s[30:31], exec
.LBB751_652:
	s_or_b64 exec, exec, s[34:35]
	v_cndmask_b32_e64 v4, v9, v8, s[30:31]
	v_cndmask_b32_e64 v5, v24, v21, s[30:31]
	v_add_u32_e32 v6, 1, v4
	v_add_u32_e32 v4, -1, v5
	v_min_u32_e32 v4, v6, v4
	v_lshl_add_u32 v4, v4, 3, v18
	ds_read_b64 v[4:5], v4
	v_cndmask_b32_e64 v9, v6, v9, s[30:31]
	v_cndmask_b32_e64 v8, v8, v6, s[30:31]
	v_cmp_lt_u32_e32 vcc, v9, v24
	s_waitcnt lgkmcnt(0)
	v_cndmask_b32_e64 v25, v5, v10, s[30:31]
	v_cndmask_b32_e64 v26, v4, v11, s[30:31]
	;; [unrolled: 1-line block ×4, first 2 shown]
	s_and_saveexec_b64 s[34:35], vcc
	s_cbranch_execz .LBB751_660
; %bb.653:
	v_cmp_lt_u32_e64 s[28:29], v8, v21
	s_and_b64 s[8:9], s[28:29], s[20:21]
	s_and_saveexec_b64 s[36:37], s[8:9]
	s_cbranch_execz .LBB751_659
; %bb.654:
	v_mul_lo_u32 v6, v25, s12
	v_mul_lo_u32 v7, v26, s13
	v_mad_u64_u32 v[4:5], s[8:9], v26, s12, 0
	v_add3_u32 v5, v5, v7, v6
	v_lshlrev_b64 v[4:5], 3, v[4:5]
	v_mov_b32_e32 v6, s15
	v_add_co_u32_e32 v4, vcc, s14, v4
	v_addc_co_u32_e32 v5, vcc, v6, v5, vcc
	v_mul_lo_u32 v29, v27, s12
	v_mul_lo_u32 v30, v28, s13
	v_mad_u64_u32 v[6:7], s[8:9], v28, s12, 0
	v_add3_u32 v7, v7, v30, v29
	v_lshlrev_b64 v[6:7], 3, v[6:7]
	v_mov_b32_e32 v29, s15
	v_add_co_u32_e32 v6, vcc, s14, v6
	v_addc_co_u32_e32 v7, vcc, v29, v7, vcc
	s_mov_b64 s[38:39], 0
	s_mov_b64 s[46:47], s[12:13]
                                        ; implicit-def: $sgpr40_sgpr41
                                        ; implicit-def: $sgpr42_sgpr43
                                        ; implicit-def: $sgpr8_sgpr9
                                        ; implicit-def: $sgpr44_sgpr45
                                        ; implicit-def: $sgpr48_sgpr49
	s_branch .LBB751_656
.LBB751_655:                            ;   in Loop: Header=BB751_656 Depth=1
	s_or_b64 exec, exec, s[50:51]
	s_and_b64 s[10:11], exec, s[42:43]
	s_or_b64 s[38:39], s[10:11], s[38:39]
	s_andn2_b64 s[10:11], s[48:49], exec
	s_and_b64 s[48:49], s[44:45], exec
	s_or_b64 s[48:49], s[10:11], s[48:49]
	s_andn2_b64 s[10:11], s[40:41], exec
	s_and_b64 s[40:41], s[8:9], exec
	s_or_b64 s[40:41], s[10:11], s[40:41]
	s_andn2_b64 exec, exec, s[38:39]
	s_cbranch_execz .LBB751_658
.LBB751_656:                            ; =>This Inner Loop Header: Depth=1
	global_load_dwordx2 v[30:31], v[4:5], off
	global_load_dwordx2 v[32:33], v[6:7], off
	s_andn2_b64 s[50:51], s[8:9], exec
	s_andn2_b64 s[44:45], s[44:45], exec
	s_or_b64 s[42:43], s[42:43], exec
	s_waitcnt vmcnt(0)
	v_cmp_ngt_f64_e64 s[8:9], v[30:31], v[32:33]
	v_cmp_lt_f64_e32 vcc, v[30:31], v[32:33]
	s_and_b64 s[8:9], s[8:9], s[48:49]
	s_or_b64 s[52:53], vcc, s[8:9]
	s_and_b64 s[8:9], s[52:53], exec
	v_cmp_nlg_f64_e64 s[10:11], v[30:31], v[32:33]
	s_or_b64 s[8:9], s[50:51], s[8:9]
	s_and_saveexec_b64 s[50:51], s[10:11]
	s_cbranch_execz .LBB751_655
; %bb.657:                              ;   in Loop: Header=BB751_656 Depth=1
	s_add_u32 s46, s46, -1
	s_addc_u32 s47, s47, -1
	v_add_co_u32_e32 v4, vcc, 8, v4
	s_cmp_eq_u64 s[46:47], 0
	v_addc_co_u32_e32 v5, vcc, 0, v5, vcc
	s_cselect_b64 s[10:11], -1, 0
	v_add_co_u32_e32 v6, vcc, 8, v6
	s_andn2_b64 s[44:45], s[44:45], exec
	s_and_b64 s[48:49], s[52:53], exec
	s_andn2_b64 s[42:43], s[42:43], exec
	s_and_b64 s[10:11], s[10:11], exec
	v_addc_co_u32_e32 v7, vcc, 0, v7, vcc
	s_or_b64 s[44:45], s[44:45], s[48:49]
	s_andn2_b64 s[8:9], s[8:9], exec
	s_or_b64 s[42:43], s[42:43], s[10:11]
                                        ; implicit-def: $sgpr48_sgpr49
	s_branch .LBB751_655
.LBB751_658:
	s_or_b64 exec, exec, s[38:39]
	s_xor_b64 s[8:9], s[40:41], -1
	s_andn2_b64 s[10:11], s[28:29], exec
	s_and_b64 s[8:9], s[8:9], exec
	s_or_b64 s[28:29], s[10:11], s[8:9]
.LBB751_659:
	s_or_b64 exec, exec, s[36:37]
	s_orn2_b64 s[28:29], s[28:29], exec
.LBB751_660:
	s_or_b64 exec, exec, s[34:35]
	v_cndmask_b32_e64 v4, v9, v8, s[28:29]
	v_cndmask_b32_e64 v5, v24, v21, s[28:29]
	v_add_u32_e32 v29, 1, v4
	v_add_u32_e32 v4, -1, v5
	v_min_u32_e32 v4, v29, v4
	v_lshl_add_u32 v4, v4, 3, v18
	ds_read_b64 v[4:5], v4
	v_cndmask_b32_e64 v9, v29, v9, s[28:29]
	v_cmp_lt_u32_e32 vcc, v9, v24
	s_waitcnt lgkmcnt(0)
	v_cndmask_b32_e64 v7, v27, v5, s[28:29]
	v_cndmask_b32_e64 v6, v28, v4, s[28:29]
	s_and_saveexec_b64 s[34:35], vcc
	s_cbranch_execz .LBB751_668
; %bb.661:
	v_cndmask_b32_e64 v24, v4, v26, s[28:29]
	v_cndmask_b32_e64 v4, v8, v29, s[28:29]
	v_cmp_ge_u32_e32 vcc, v4, v21
	v_cndmask_b32_e64 v18, v5, v25, s[28:29]
	s_or_b64 s[8:9], vcc, s[18:19]
	v_cndmask_b32_e32 v5, v7, v18, vcc
	s_xor_b64 s[8:9], s[8:9], -1
	v_cndmask_b32_e32 v4, v6, v24, vcc
	s_and_saveexec_b64 s[36:37], s[8:9]
	s_cbranch_execz .LBB751_667
; %bb.662:
	v_mul_lo_u32 v8, v18, s12
	v_mul_lo_u32 v9, v24, s13
	v_mad_u64_u32 v[4:5], s[8:9], v24, s12, 0
	v_add3_u32 v5, v5, v9, v8
	v_lshlrev_b64 v[4:5], 3, v[4:5]
	v_mov_b32_e32 v8, s15
	v_add_co_u32_e32 v4, vcc, s14, v4
	v_addc_co_u32_e32 v5, vcc, v8, v5, vcc
	v_mul_lo_u32 v21, v7, s12
	v_mul_lo_u32 v29, v6, s13
	v_mad_u64_u32 v[8:9], s[8:9], v6, s12, 0
	v_add3_u32 v9, v9, v29, v21
	v_lshlrev_b64 v[8:9], 3, v[8:9]
	v_mov_b32_e32 v21, s15
	v_add_co_u32_e32 v8, vcc, s14, v8
	v_addc_co_u32_e32 v9, vcc, v21, v9, vcc
	s_mov_b64 s[38:39], 0
	s_mov_b64 s[46:47], s[12:13]
                                        ; implicit-def: $sgpr40_sgpr41
                                        ; implicit-def: $sgpr42_sgpr43
                                        ; implicit-def: $sgpr8_sgpr9
                                        ; implicit-def: $sgpr44_sgpr45
                                        ; implicit-def: $sgpr48_sgpr49
	s_branch .LBB751_664
.LBB751_663:                            ;   in Loop: Header=BB751_664 Depth=1
	s_or_b64 exec, exec, s[50:51]
	s_and_b64 s[10:11], exec, s[42:43]
	s_or_b64 s[38:39], s[10:11], s[38:39]
	s_andn2_b64 s[10:11], s[48:49], exec
	s_and_b64 s[48:49], s[44:45], exec
	s_or_b64 s[48:49], s[10:11], s[48:49]
	s_andn2_b64 s[10:11], s[40:41], exec
	s_and_b64 s[40:41], s[8:9], exec
	s_or_b64 s[40:41], s[10:11], s[40:41]
	s_andn2_b64 exec, exec, s[38:39]
	s_cbranch_execz .LBB751_666
.LBB751_664:                            ; =>This Inner Loop Header: Depth=1
	global_load_dwordx2 v[30:31], v[4:5], off
	global_load_dwordx2 v[32:33], v[8:9], off
	s_andn2_b64 s[50:51], s[8:9], exec
	s_andn2_b64 s[44:45], s[44:45], exec
	s_or_b64 s[42:43], s[42:43], exec
	s_waitcnt vmcnt(0)
	v_cmp_ngt_f64_e64 s[8:9], v[30:31], v[32:33]
	v_cmp_lt_f64_e32 vcc, v[30:31], v[32:33]
	s_and_b64 s[8:9], s[8:9], s[48:49]
	s_or_b64 s[52:53], vcc, s[8:9]
	s_and_b64 s[8:9], s[52:53], exec
	v_cmp_nlg_f64_e64 s[10:11], v[30:31], v[32:33]
	s_or_b64 s[8:9], s[50:51], s[8:9]
	s_and_saveexec_b64 s[50:51], s[10:11]
	s_cbranch_execz .LBB751_663
; %bb.665:                              ;   in Loop: Header=BB751_664 Depth=1
	s_add_u32 s46, s46, -1
	s_addc_u32 s47, s47, -1
	v_add_co_u32_e32 v4, vcc, 8, v4
	s_cmp_eq_u64 s[46:47], 0
	v_addc_co_u32_e32 v5, vcc, 0, v5, vcc
	s_cselect_b64 s[10:11], -1, 0
	v_add_co_u32_e32 v8, vcc, 8, v8
	s_andn2_b64 s[44:45], s[44:45], exec
	s_and_b64 s[48:49], s[52:53], exec
	s_andn2_b64 s[42:43], s[42:43], exec
	s_and_b64 s[10:11], s[10:11], exec
	v_addc_co_u32_e32 v9, vcc, 0, v9, vcc
	s_or_b64 s[44:45], s[44:45], s[48:49]
	s_andn2_b64 s[8:9], s[8:9], exec
	s_or_b64 s[42:43], s[42:43], s[10:11]
                                        ; implicit-def: $sgpr48_sgpr49
	s_branch .LBB751_663
.LBB751_666:
	s_or_b64 exec, exec, s[38:39]
	v_cndmask_b32_e64 v5, v7, v18, s[40:41]
	v_cndmask_b32_e64 v4, v6, v24, s[40:41]
.LBB751_667:
	s_or_b64 exec, exec, s[36:37]
	v_pk_mov_b32 v[6:7], v[4:5], v[4:5] op_sel:[0,1]
.LBB751_668:
	s_or_b64 exec, exec, s[34:35]
	v_cndmask_b32_e64 v1, v3, v1, s[26:27]
	v_cndmask_b32_e64 v0, v2, v0, s[26:27]
	;; [unrolled: 1-line block ×6, first 2 shown]
.LBB751_669:
	s_or_b64 exec, exec, s[22:23]
	s_cmpk_lt_u32 s33, 0x41
	; wave barrier
	s_waitcnt lgkmcnt(0)
	s_barrier
	s_cbranch_scc1 .LBB751_718
; %bb.670:
	v_lshlrev_b32_e32 v18, 3, v23
	s_lshl_b64 s[22:23], s[12:13], 3
	s_mov_b32 s56, 64
	s_branch .LBB751_675
.LBB751_671:                            ;   in Loop: Header=BB751_675 Depth=1
	s_or_b64 exec, exec, s[40:41]
	v_cndmask_b32_e64 v5, v7, v20, s[42:43]
	v_cndmask_b32_e64 v4, v6, v29, s[42:43]
.LBB751_672:                            ;   in Loop: Header=BB751_675 Depth=1
	s_or_b64 exec, exec, s[38:39]
	v_pk_mov_b32 v[6:7], v[4:5], v[4:5] op_sel:[0,1]
.LBB751_673:                            ;   in Loop: Header=BB751_675 Depth=1
	s_or_b64 exec, exec, s[36:37]
	v_cndmask_b32_e64 v1, v3, v1, s[28:29]
	v_cndmask_b32_e64 v0, v2, v0, s[28:29]
	;; [unrolled: 1-line block ×6, first 2 shown]
.LBB751_674:                            ;   in Loop: Header=BB751_675 Depth=1
	s_or_b64 exec, exec, s[26:27]
	s_cmp_lt_u32 s56, s33
	s_barrier
	s_cbranch_scc0 .LBB751_718
.LBB751_675:                            ; =>This Loop Header: Depth=1
                                        ;     Child Loop BB751_679 Depth 2
                                        ;       Child Loop BB751_682 Depth 3
                                        ;     Child Loop BB751_693 Depth 2
                                        ;     Child Loop BB751_700 Depth 2
	;; [unrolled: 1-line block ×4, first 2 shown]
	s_mov_b32 s8, s56
	s_lshl_b32 s56, s56, 1
	s_sub_i32 s10, 0, s56
	v_and_b32_e32 v25, s10, v23
	v_add_u32_e32 v8, s8, v25
	v_min_u32_e32 v19, s33, v8
	s_add_i32 s9, s56, -1
	v_add_u32_e32 v8, s8, v19
	v_min_u32_e32 v20, s33, v8
	v_and_b32_e32 v8, s9, v23
	v_min_u32_e32 v26, s33, v8
	v_sub_u32_e32 v8, v19, v25
	v_sub_u32_e32 v9, v20, v19
	v_sub_u32_e64 v24, v26, v9 clamp
	v_min_u32_e32 v27, v26, v8
	v_lshlrev_b32_e32 v21, 3, v25
	v_cmp_lt_u32_e32 vcc, v24, v27
	ds_write_b128 v18, v[0:3]
	ds_write_b128 v18, v[4:7] offset:16
	s_waitcnt lgkmcnt(0)
	s_barrier
	s_and_saveexec_b64 s[26:27], vcc
	s_cbranch_execz .LBB751_685
; %bb.676:                              ;   in Loop: Header=BB751_675 Depth=1
	v_lshlrev_b32_e32 v8, 3, v26
	v_lshl_add_u32 v28, v19, 3, v8
	s_mov_b64 s[28:29], 0
	s_branch .LBB751_679
.LBB751_677:                            ;   in Loop: Header=BB751_679 Depth=2
	s_or_b64 exec, exec, s[34:35]
.LBB751_678:                            ;   in Loop: Header=BB751_679 Depth=2
	v_add_u32_e32 v8, 1, v29
	v_cndmask_b32_e64 v27, v27, v29, s[30:31]
	v_cndmask_b32_e64 v24, v8, v24, s[30:31]
	v_cmp_ge_u32_e32 vcc, v24, v27
	s_or_b64 s[28:29], vcc, s[28:29]
	s_andn2_b64 exec, exec, s[28:29]
	s_cbranch_execz .LBB751_684
.LBB751_679:                            ;   Parent Loop BB751_675 Depth=1
                                        ; =>  This Loop Header: Depth=2
                                        ;       Child Loop BB751_682 Depth 3
	v_add_u32_e32 v8, v27, v24
	v_lshrrev_b32_e32 v29, 1, v8
	s_and_b64 vcc, exec, s[6:7]
	s_mov_b64 s[30:31], 0
	s_cbranch_vccnz .LBB751_678
; %bb.680:                              ;   in Loop: Header=BB751_679 Depth=2
	v_not_b32_e32 v8, v29
	v_lshl_add_u32 v8, v8, 3, v28
	ds_read_b64 v[8:9], v8
	v_lshl_add_u32 v30, v29, 3, v21
	ds_read_b64 v[30:31], v30
	v_pk_mov_b32 v[10:11], s[14:15], s[14:15] op_sel:[0,1]
	s_mov_b64 s[34:35], 0
	s_waitcnt lgkmcnt(1)
	v_mul_lo_u32 v32, s22, v9
	v_mul_lo_u32 v33, s23, v8
	v_mad_u64_u32 v[8:9], s[8:9], s22, v8, v[10:11]
	v_add3_u32 v9, v33, v9, v32
	s_waitcnt lgkmcnt(0)
	v_mul_lo_u32 v31, s22, v31
	v_mul_lo_u32 v32, s23, v30
	v_mad_u64_u32 v[10:11], s[8:9], s22, v30, v[10:11]
	v_add3_u32 v11, v32, v11, v31
	s_mov_b64 s[40:41], s[12:13]
                                        ; implicit-def: $sgpr30_sgpr31
                                        ; implicit-def: $sgpr36_sgpr37
                                        ; implicit-def: $sgpr38_sgpr39
                                        ; implicit-def: $sgpr8_sgpr9
                                        ; implicit-def: $sgpr42_sgpr43
	s_branch .LBB751_682
.LBB751_681:                            ;   in Loop: Header=BB751_682 Depth=3
	s_or_b64 exec, exec, s[44:45]
	s_and_b64 s[10:11], exec, s[36:37]
	s_or_b64 s[34:35], s[10:11], s[34:35]
	s_andn2_b64 s[10:11], s[42:43], exec
	s_and_b64 s[42:43], s[38:39], exec
	s_or_b64 s[42:43], s[10:11], s[42:43]
	s_andn2_b64 s[10:11], s[30:31], exec
	s_and_b64 s[30:31], s[8:9], exec
	s_or_b64 s[30:31], s[10:11], s[30:31]
	s_andn2_b64 exec, exec, s[34:35]
	s_cbranch_execz .LBB751_677
.LBB751_682:                            ;   Parent Loop BB751_675 Depth=1
                                        ;     Parent Loop BB751_679 Depth=2
                                        ; =>    This Inner Loop Header: Depth=3
	global_load_dwordx2 v[30:31], v[8:9], off
	global_load_dwordx2 v[32:33], v[10:11], off
	s_andn2_b64 s[44:45], s[8:9], exec
	s_andn2_b64 s[38:39], s[38:39], exec
	s_or_b64 s[36:37], s[36:37], exec
	s_waitcnt vmcnt(0)
	v_cmp_ngt_f64_e64 s[8:9], v[30:31], v[32:33]
	v_cmp_lt_f64_e32 vcc, v[30:31], v[32:33]
	s_and_b64 s[8:9], s[8:9], s[42:43]
	s_or_b64 s[46:47], vcc, s[8:9]
	s_and_b64 s[8:9], s[46:47], exec
	v_cmp_nlg_f64_e64 s[10:11], v[30:31], v[32:33]
	s_or_b64 s[8:9], s[44:45], s[8:9]
	s_and_saveexec_b64 s[44:45], s[10:11]
	s_cbranch_execz .LBB751_681
; %bb.683:                              ;   in Loop: Header=BB751_682 Depth=3
	s_add_u32 s40, s40, -1
	s_addc_u32 s41, s41, -1
	v_add_co_u32_e32 v8, vcc, 8, v8
	s_cmp_eq_u64 s[40:41], 0
	v_addc_co_u32_e32 v9, vcc, 0, v9, vcc
	s_cselect_b64 s[10:11], -1, 0
	v_add_co_u32_e32 v10, vcc, 8, v10
	s_andn2_b64 s[38:39], s[38:39], exec
	s_and_b64 s[42:43], s[46:47], exec
	s_andn2_b64 s[36:37], s[36:37], exec
	s_and_b64 s[10:11], s[10:11], exec
	v_addc_co_u32_e32 v11, vcc, 0, v11, vcc
	s_andn2_b64 s[8:9], s[8:9], exec
	s_or_b64 s[38:39], s[38:39], s[42:43]
	s_or_b64 s[36:37], s[36:37], s[10:11]
                                        ; implicit-def: $sgpr42_sgpr43
	s_branch .LBB751_681
.LBB751_684:                            ;   in Loop: Header=BB751_675 Depth=1
	s_or_b64 exec, exec, s[28:29]
.LBB751_685:                            ;   in Loop: Header=BB751_675 Depth=1
	s_or_b64 exec, exec, s[26:27]
	v_sub_u32_e32 v9, v26, v24
	v_add_u32_e32 v8, v24, v25
	v_add_u32_e32 v9, v9, v19
	v_cmp_le_u32_e32 vcc, v8, v19
	v_cmp_le_u32_e64 s[8:9], v9, v20
	s_or_b64 s[8:9], vcc, s[8:9]
	s_and_saveexec_b64 s[26:27], s[8:9]
	s_cbranch_execz .LBB751_674
; %bb.686:                              ;   in Loop: Header=BB751_675 Depth=1
	v_cmp_ge_u32_e32 vcc, v8, v19
	v_cmp_lt_u32_e64 s[8:9], v8, v19
                                        ; implicit-def: $vgpr0_vgpr1
	s_and_saveexec_b64 s[10:11], s[8:9]
	s_cbranch_execz .LBB751_688
; %bb.687:                              ;   in Loop: Header=BB751_675 Depth=1
	v_lshl_add_u32 v0, v24, 3, v21
	ds_read_b64 v[0:1], v0
.LBB751_688:                            ;   in Loop: Header=BB751_675 Depth=1
	s_or_b64 exec, exec, s[10:11]
	v_cmp_ge_u32_e64 s[8:9], v9, v20
	v_cmp_lt_u32_e64 s[10:11], v9, v20
                                        ; implicit-def: $vgpr2_vgpr3
	s_and_saveexec_b64 s[28:29], s[10:11]
	s_cbranch_execz .LBB751_690
; %bb.689:                              ;   in Loop: Header=BB751_675 Depth=1
	v_lshlrev_b32_e32 v2, 3, v9
	ds_read_b64 v[2:3], v2
.LBB751_690:                            ;   in Loop: Header=BB751_675 Depth=1
	s_or_b64 exec, exec, s[28:29]
	s_or_b64 s[10:11], vcc, s[8:9]
	s_or_b64 s[10:11], s[10:11], s[18:19]
	s_xor_b64 s[28:29], vcc, -1
	s_xor_b64 s[10:11], s[10:11], -1
	s_or_b64 s[28:29], s[8:9], s[28:29]
	s_and_saveexec_b64 s[30:31], s[10:11]
	s_cbranch_execz .LBB751_696
; %bb.691:                              ;   in Loop: Header=BB751_675 Depth=1
	v_pk_mov_b32 v[6:7], s[14:15], s[14:15] op_sel:[0,1]
	s_waitcnt lgkmcnt(0)
	v_mad_u64_u32 v[4:5], s[8:9], s22, v2, v[6:7]
	v_mul_lo_u32 v10, s22, v3
	v_mul_lo_u32 v11, s23, v2
	v_add3_u32 v5, v11, v5, v10
	v_mad_u64_u32 v[6:7], s[8:9], s22, v0, v[6:7]
	v_mul_lo_u32 v10, s22, v1
	v_mul_lo_u32 v11, s23, v0
	v_add3_u32 v7, v11, v7, v10
	s_mov_b64 s[34:35], 0
	s_mov_b64 s[42:43], s[12:13]
                                        ; implicit-def: $sgpr36_sgpr37
                                        ; implicit-def: $sgpr38_sgpr39
                                        ; implicit-def: $sgpr8_sgpr9
                                        ; implicit-def: $sgpr40_sgpr41
                                        ; implicit-def: $sgpr44_sgpr45
	s_branch .LBB751_693
.LBB751_692:                            ;   in Loop: Header=BB751_693 Depth=2
	s_or_b64 exec, exec, s[46:47]
	s_and_b64 s[10:11], exec, s[38:39]
	s_or_b64 s[34:35], s[10:11], s[34:35]
	s_andn2_b64 s[10:11], s[44:45], exec
	s_and_b64 s[44:45], s[40:41], exec
	s_or_b64 s[44:45], s[10:11], s[44:45]
	s_andn2_b64 s[10:11], s[36:37], exec
	s_and_b64 s[36:37], s[8:9], exec
	s_or_b64 s[36:37], s[10:11], s[36:37]
	s_andn2_b64 exec, exec, s[34:35]
	s_cbranch_execz .LBB751_695
.LBB751_693:                            ;   Parent Loop BB751_675 Depth=1
                                        ; =>  This Inner Loop Header: Depth=2
	global_load_dwordx2 v[10:11], v[4:5], off
	global_load_dwordx2 v[24:25], v[6:7], off
	s_andn2_b64 s[46:47], s[8:9], exec
	s_andn2_b64 s[40:41], s[40:41], exec
	s_or_b64 s[38:39], s[38:39], exec
	s_waitcnt vmcnt(0)
	v_cmp_ngt_f64_e64 s[8:9], v[10:11], v[24:25]
	v_cmp_lt_f64_e32 vcc, v[10:11], v[24:25]
	s_and_b64 s[8:9], s[8:9], s[44:45]
	s_or_b64 s[48:49], vcc, s[8:9]
	s_and_b64 s[8:9], s[48:49], exec
	v_cmp_nlg_f64_e64 s[10:11], v[10:11], v[24:25]
	s_or_b64 s[8:9], s[46:47], s[8:9]
	s_and_saveexec_b64 s[46:47], s[10:11]
	s_cbranch_execz .LBB751_692
; %bb.694:                              ;   in Loop: Header=BB751_693 Depth=2
	s_add_u32 s42, s42, -1
	s_addc_u32 s43, s43, -1
	v_add_co_u32_e32 v4, vcc, 8, v4
	s_cmp_eq_u64 s[42:43], 0
	v_addc_co_u32_e32 v5, vcc, 0, v5, vcc
	s_cselect_b64 s[10:11], -1, 0
	v_add_co_u32_e32 v6, vcc, 8, v6
	s_andn2_b64 s[40:41], s[40:41], exec
	s_and_b64 s[44:45], s[48:49], exec
	s_andn2_b64 s[38:39], s[38:39], exec
	s_and_b64 s[10:11], s[10:11], exec
	v_addc_co_u32_e32 v7, vcc, 0, v7, vcc
	s_or_b64 s[40:41], s[40:41], s[44:45]
	s_andn2_b64 s[8:9], s[8:9], exec
	s_or_b64 s[38:39], s[38:39], s[10:11]
                                        ; implicit-def: $sgpr44_sgpr45
	s_branch .LBB751_692
.LBB751_695:                            ;   in Loop: Header=BB751_675 Depth=1
	s_or_b64 exec, exec, s[34:35]
	s_xor_b64 s[8:9], s[36:37], -1
	s_andn2_b64 s[10:11], s[28:29], exec
	s_and_b64 s[8:9], s[8:9], exec
	s_or_b64 s[28:29], s[10:11], s[8:9]
.LBB751_696:                            ;   in Loop: Header=BB751_675 Depth=1
	s_or_b64 exec, exec, s[30:31]
	v_cndmask_b32_e64 v4, v9, v8, s[28:29]
	v_cndmask_b32_e64 v5, v20, v19, s[28:29]
	v_add_u32_e32 v6, 1, v4
	v_add_u32_e32 v4, -1, v5
	v_min_u32_e32 v4, v6, v4
	v_lshlrev_b32_e32 v4, 3, v4
	ds_read_b64 v[4:5], v4
	v_cndmask_b32_e64 v9, v6, v9, s[28:29]
	v_cndmask_b32_e64 v8, v8, v6, s[28:29]
	v_cmp_lt_u32_e32 vcc, v9, v20
	s_mov_b64 s[30:31], -1
	s_waitcnt lgkmcnt(0)
	v_cndmask_b32_e64 v10, v5, v3, s[28:29]
	v_cndmask_b32_e64 v11, v4, v2, s[28:29]
	;; [unrolled: 1-line block ×4, first 2 shown]
	s_mov_b64 s[34:35], -1
	s_and_saveexec_b64 s[36:37], vcc
	s_cbranch_execz .LBB751_704
; %bb.697:                              ;   in Loop: Header=BB751_675 Depth=1
	v_cmp_lt_u32_e64 s[34:35], v8, v19
	s_and_b64 s[8:9], s[34:35], s[20:21]
	s_and_saveexec_b64 s[38:39], s[8:9]
	s_cbranch_execz .LBB751_703
; %bb.698:                              ;   in Loop: Header=BB751_675 Depth=1
	v_pk_mov_b32 v[6:7], s[14:15], s[14:15] op_sel:[0,1]
	v_mad_u64_u32 v[4:5], s[8:9], s22, v11, v[6:7]
	v_mul_lo_u32 v25, s22, v10
	v_mul_lo_u32 v26, s23, v11
	v_add3_u32 v5, v26, v5, v25
	v_mad_u64_u32 v[6:7], s[8:9], s22, v24, v[6:7]
	v_mul_lo_u32 v25, s22, v21
	v_mul_lo_u32 v26, s23, v24
	v_add3_u32 v7, v26, v7, v25
	s_mov_b64 s[40:41], 0
	s_mov_b64 s[48:49], s[12:13]
                                        ; implicit-def: $sgpr42_sgpr43
                                        ; implicit-def: $sgpr44_sgpr45
                                        ; implicit-def: $sgpr8_sgpr9
                                        ; implicit-def: $sgpr46_sgpr47
                                        ; implicit-def: $sgpr50_sgpr51
	s_branch .LBB751_700
.LBB751_699:                            ;   in Loop: Header=BB751_700 Depth=2
	s_or_b64 exec, exec, s[52:53]
	s_and_b64 s[10:11], exec, s[44:45]
	s_or_b64 s[40:41], s[10:11], s[40:41]
	s_andn2_b64 s[10:11], s[50:51], exec
	s_and_b64 s[50:51], s[46:47], exec
	s_or_b64 s[50:51], s[10:11], s[50:51]
	s_andn2_b64 s[10:11], s[42:43], exec
	s_and_b64 s[42:43], s[8:9], exec
	s_or_b64 s[42:43], s[10:11], s[42:43]
	s_andn2_b64 exec, exec, s[40:41]
	s_cbranch_execz .LBB751_702
.LBB751_700:                            ;   Parent Loop BB751_675 Depth=1
                                        ; =>  This Inner Loop Header: Depth=2
	global_load_dwordx2 v[26:27], v[4:5], off
	global_load_dwordx2 v[28:29], v[6:7], off
	s_andn2_b64 s[52:53], s[8:9], exec
	s_andn2_b64 s[46:47], s[46:47], exec
	s_or_b64 s[44:45], s[44:45], exec
	s_waitcnt vmcnt(0)
	v_cmp_ngt_f64_e64 s[8:9], v[26:27], v[28:29]
	v_cmp_lt_f64_e32 vcc, v[26:27], v[28:29]
	s_and_b64 s[8:9], s[8:9], s[50:51]
	s_or_b64 s[54:55], vcc, s[8:9]
	s_and_b64 s[8:9], s[54:55], exec
	v_cmp_nlg_f64_e64 s[10:11], v[26:27], v[28:29]
	s_or_b64 s[8:9], s[52:53], s[8:9]
	s_and_saveexec_b64 s[52:53], s[10:11]
	s_cbranch_execz .LBB751_699
; %bb.701:                              ;   in Loop: Header=BB751_700 Depth=2
	s_add_u32 s48, s48, -1
	s_addc_u32 s49, s49, -1
	v_add_co_u32_e32 v4, vcc, 8, v4
	s_cmp_eq_u64 s[48:49], 0
	v_addc_co_u32_e32 v5, vcc, 0, v5, vcc
	s_cselect_b64 s[10:11], -1, 0
	v_add_co_u32_e32 v6, vcc, 8, v6
	s_andn2_b64 s[46:47], s[46:47], exec
	s_and_b64 s[50:51], s[54:55], exec
	s_andn2_b64 s[44:45], s[44:45], exec
	s_and_b64 s[10:11], s[10:11], exec
	v_addc_co_u32_e32 v7, vcc, 0, v7, vcc
	s_or_b64 s[46:47], s[46:47], s[50:51]
	s_andn2_b64 s[8:9], s[8:9], exec
	s_or_b64 s[44:45], s[44:45], s[10:11]
                                        ; implicit-def: $sgpr50_sgpr51
	s_branch .LBB751_699
.LBB751_702:                            ;   in Loop: Header=BB751_675 Depth=1
	s_or_b64 exec, exec, s[40:41]
	s_xor_b64 s[8:9], s[42:43], -1
	s_andn2_b64 s[10:11], s[34:35], exec
	s_and_b64 s[8:9], s[8:9], exec
	s_or_b64 s[34:35], s[10:11], s[8:9]
.LBB751_703:                            ;   in Loop: Header=BB751_675 Depth=1
	s_or_b64 exec, exec, s[38:39]
	s_orn2_b64 s[34:35], s[34:35], exec
.LBB751_704:                            ;   in Loop: Header=BB751_675 Depth=1
	s_or_b64 exec, exec, s[36:37]
	v_cndmask_b32_e64 v4, v9, v8, s[34:35]
	v_cndmask_b32_e64 v5, v20, v19, s[34:35]
	v_add_u32_e32 v6, 1, v4
	v_add_u32_e32 v4, -1, v5
	v_min_u32_e32 v4, v6, v4
	v_lshlrev_b32_e32 v4, 3, v4
	ds_read_b64 v[4:5], v4
	v_cndmask_b32_e64 v9, v6, v9, s[34:35]
	v_cndmask_b32_e64 v8, v8, v6, s[34:35]
	v_cmp_lt_u32_e32 vcc, v9, v20
	s_waitcnt lgkmcnt(0)
	v_cndmask_b32_e64 v25, v5, v10, s[34:35]
	v_cndmask_b32_e64 v26, v4, v11, s[34:35]
	;; [unrolled: 1-line block ×4, first 2 shown]
	s_and_saveexec_b64 s[36:37], vcc
	s_cbranch_execz .LBB751_712
; %bb.705:                              ;   in Loop: Header=BB751_675 Depth=1
	v_cmp_lt_u32_e64 s[30:31], v8, v19
	s_and_b64 s[8:9], s[30:31], s[20:21]
	s_and_saveexec_b64 s[38:39], s[8:9]
	s_cbranch_execz .LBB751_711
; %bb.706:                              ;   in Loop: Header=BB751_675 Depth=1
	v_pk_mov_b32 v[6:7], s[14:15], s[14:15] op_sel:[0,1]
	v_mad_u64_u32 v[4:5], s[8:9], s22, v26, v[6:7]
	v_mul_lo_u32 v29, s22, v25
	v_mul_lo_u32 v30, s23, v26
	v_add3_u32 v5, v30, v5, v29
	v_mad_u64_u32 v[6:7], s[8:9], s22, v28, v[6:7]
	v_mul_lo_u32 v29, s22, v27
	v_mul_lo_u32 v30, s23, v28
	v_add3_u32 v7, v30, v7, v29
	s_mov_b64 s[40:41], 0
	s_mov_b64 s[48:49], s[12:13]
                                        ; implicit-def: $sgpr42_sgpr43
                                        ; implicit-def: $sgpr44_sgpr45
                                        ; implicit-def: $sgpr8_sgpr9
                                        ; implicit-def: $sgpr46_sgpr47
                                        ; implicit-def: $sgpr50_sgpr51
	s_branch .LBB751_708
.LBB751_707:                            ;   in Loop: Header=BB751_708 Depth=2
	s_or_b64 exec, exec, s[52:53]
	s_and_b64 s[10:11], exec, s[44:45]
	s_or_b64 s[40:41], s[10:11], s[40:41]
	s_andn2_b64 s[10:11], s[50:51], exec
	s_and_b64 s[50:51], s[46:47], exec
	s_or_b64 s[50:51], s[10:11], s[50:51]
	s_andn2_b64 s[10:11], s[42:43], exec
	s_and_b64 s[42:43], s[8:9], exec
	s_or_b64 s[42:43], s[10:11], s[42:43]
	s_andn2_b64 exec, exec, s[40:41]
	s_cbranch_execz .LBB751_710
.LBB751_708:                            ;   Parent Loop BB751_675 Depth=1
                                        ; =>  This Inner Loop Header: Depth=2
	global_load_dwordx2 v[30:31], v[4:5], off
	global_load_dwordx2 v[32:33], v[6:7], off
	s_andn2_b64 s[52:53], s[8:9], exec
	s_andn2_b64 s[46:47], s[46:47], exec
	s_or_b64 s[44:45], s[44:45], exec
	s_waitcnt vmcnt(0)
	v_cmp_ngt_f64_e64 s[8:9], v[30:31], v[32:33]
	v_cmp_lt_f64_e32 vcc, v[30:31], v[32:33]
	s_and_b64 s[8:9], s[8:9], s[50:51]
	s_or_b64 s[54:55], vcc, s[8:9]
	s_and_b64 s[8:9], s[54:55], exec
	v_cmp_nlg_f64_e64 s[10:11], v[30:31], v[32:33]
	s_or_b64 s[8:9], s[52:53], s[8:9]
	s_and_saveexec_b64 s[52:53], s[10:11]
	s_cbranch_execz .LBB751_707
; %bb.709:                              ;   in Loop: Header=BB751_708 Depth=2
	s_add_u32 s48, s48, -1
	s_addc_u32 s49, s49, -1
	v_add_co_u32_e32 v4, vcc, 8, v4
	s_cmp_eq_u64 s[48:49], 0
	v_addc_co_u32_e32 v5, vcc, 0, v5, vcc
	s_cselect_b64 s[10:11], -1, 0
	v_add_co_u32_e32 v6, vcc, 8, v6
	s_andn2_b64 s[46:47], s[46:47], exec
	s_and_b64 s[50:51], s[54:55], exec
	s_andn2_b64 s[44:45], s[44:45], exec
	s_and_b64 s[10:11], s[10:11], exec
	v_addc_co_u32_e32 v7, vcc, 0, v7, vcc
	s_or_b64 s[46:47], s[46:47], s[50:51]
	s_andn2_b64 s[8:9], s[8:9], exec
	s_or_b64 s[44:45], s[44:45], s[10:11]
                                        ; implicit-def: $sgpr50_sgpr51
	s_branch .LBB751_707
.LBB751_710:                            ;   in Loop: Header=BB751_675 Depth=1
	s_or_b64 exec, exec, s[40:41]
	s_xor_b64 s[8:9], s[42:43], -1
	s_andn2_b64 s[10:11], s[30:31], exec
	s_and_b64 s[8:9], s[8:9], exec
	s_or_b64 s[30:31], s[10:11], s[8:9]
.LBB751_711:                            ;   in Loop: Header=BB751_675 Depth=1
	s_or_b64 exec, exec, s[38:39]
	s_orn2_b64 s[30:31], s[30:31], exec
.LBB751_712:                            ;   in Loop: Header=BB751_675 Depth=1
	s_or_b64 exec, exec, s[36:37]
	v_cndmask_b32_e64 v4, v9, v8, s[30:31]
	v_cndmask_b32_e64 v5, v20, v19, s[30:31]
	v_add_u32_e32 v30, 1, v4
	v_add_u32_e32 v4, -1, v5
	v_min_u32_e32 v4, v30, v4
	v_lshlrev_b32_e32 v4, 3, v4
	ds_read_b64 v[4:5], v4
	v_cndmask_b32_e64 v9, v30, v9, s[30:31]
	v_cmp_lt_u32_e32 vcc, v9, v20
	s_waitcnt lgkmcnt(0)
	v_cndmask_b32_e64 v7, v27, v5, s[30:31]
	v_cndmask_b32_e64 v6, v28, v4, s[30:31]
	s_and_saveexec_b64 s[36:37], vcc
	s_cbranch_execz .LBB751_673
; %bb.713:                              ;   in Loop: Header=BB751_675 Depth=1
	v_cndmask_b32_e64 v29, v4, v26, s[30:31]
	v_cndmask_b32_e64 v4, v8, v30, s[30:31]
	v_cmp_ge_u32_e32 vcc, v4, v19
	v_cndmask_b32_e64 v20, v5, v25, s[30:31]
	s_or_b64 s[8:9], vcc, s[18:19]
	v_cndmask_b32_e32 v5, v7, v20, vcc
	s_xor_b64 s[8:9], s[8:9], -1
	v_cndmask_b32_e32 v4, v6, v29, vcc
	s_and_saveexec_b64 s[38:39], s[8:9]
	s_cbranch_execz .LBB751_672
; %bb.714:                              ;   in Loop: Header=BB751_675 Depth=1
	v_pk_mov_b32 v[8:9], s[14:15], s[14:15] op_sel:[0,1]
	v_mad_u64_u32 v[4:5], s[8:9], s22, v29, v[8:9]
	v_mul_lo_u32 v19, s22, v20
	v_mul_lo_u32 v30, s23, v29
	v_add3_u32 v5, v30, v5, v19
	v_mad_u64_u32 v[8:9], s[8:9], s22, v6, v[8:9]
	v_mul_lo_u32 v19, s22, v7
	v_mul_lo_u32 v30, s23, v6
	v_add3_u32 v9, v30, v9, v19
	s_mov_b64 s[40:41], 0
	s_mov_b64 s[48:49], s[12:13]
                                        ; implicit-def: $sgpr42_sgpr43
                                        ; implicit-def: $sgpr44_sgpr45
                                        ; implicit-def: $sgpr8_sgpr9
                                        ; implicit-def: $sgpr46_sgpr47
                                        ; implicit-def: $sgpr50_sgpr51
	s_branch .LBB751_716
.LBB751_715:                            ;   in Loop: Header=BB751_716 Depth=2
	s_or_b64 exec, exec, s[52:53]
	s_and_b64 s[10:11], exec, s[44:45]
	s_or_b64 s[40:41], s[10:11], s[40:41]
	s_andn2_b64 s[10:11], s[50:51], exec
	s_and_b64 s[50:51], s[46:47], exec
	s_or_b64 s[50:51], s[10:11], s[50:51]
	s_andn2_b64 s[10:11], s[42:43], exec
	s_and_b64 s[42:43], s[8:9], exec
	s_or_b64 s[42:43], s[10:11], s[42:43]
	s_andn2_b64 exec, exec, s[40:41]
	s_cbranch_execz .LBB751_671
.LBB751_716:                            ;   Parent Loop BB751_675 Depth=1
                                        ; =>  This Inner Loop Header: Depth=2
	global_load_dwordx2 v[30:31], v[4:5], off
	global_load_dwordx2 v[32:33], v[8:9], off
	s_andn2_b64 s[52:53], s[8:9], exec
	s_andn2_b64 s[46:47], s[46:47], exec
	s_or_b64 s[44:45], s[44:45], exec
	s_waitcnt vmcnt(0)
	v_cmp_ngt_f64_e64 s[8:9], v[30:31], v[32:33]
	v_cmp_lt_f64_e32 vcc, v[30:31], v[32:33]
	s_and_b64 s[8:9], s[8:9], s[50:51]
	s_or_b64 s[54:55], vcc, s[8:9]
	s_and_b64 s[8:9], s[54:55], exec
	v_cmp_nlg_f64_e64 s[10:11], v[30:31], v[32:33]
	s_or_b64 s[8:9], s[52:53], s[8:9]
	s_and_saveexec_b64 s[52:53], s[10:11]
	s_cbranch_execz .LBB751_715
; %bb.717:                              ;   in Loop: Header=BB751_716 Depth=2
	s_add_u32 s48, s48, -1
	s_addc_u32 s49, s49, -1
	v_add_co_u32_e32 v4, vcc, 8, v4
	s_cmp_eq_u64 s[48:49], 0
	v_addc_co_u32_e32 v5, vcc, 0, v5, vcc
	s_cselect_b64 s[10:11], -1, 0
	v_add_co_u32_e32 v8, vcc, 8, v8
	s_andn2_b64 s[46:47], s[46:47], exec
	s_and_b64 s[50:51], s[54:55], exec
	s_andn2_b64 s[44:45], s[44:45], exec
	s_and_b64 s[10:11], s[10:11], exec
	v_addc_co_u32_e32 v9, vcc, 0, v9, vcc
	s_or_b64 s[46:47], s[46:47], s[50:51]
	s_andn2_b64 s[8:9], s[8:9], exec
	s_or_b64 s[44:45], s[44:45], s[10:11]
                                        ; implicit-def: $sgpr50_sgpr51
	s_branch .LBB751_715
.LBB751_718:
	s_barrier
	ds_write2_b64 v17, v[0:1], v[2:3] offset1:1
	ds_write2_b64 v17, v[4:5], v[6:7] offset0:2 offset1:3
	s_waitcnt lgkmcnt(0)
	s_barrier
	ds_read_b64 v[6:7], v13 offset:2048
	ds_read_b64 v[2:3], v15 offset:4096
	;; [unrolled: 1-line block ×3, first 2 shown]
	v_mov_b32_e32 v5, s17
	v_add_co_u32_e32 v4, vcc, s16, v22
	v_mov_b32_e32 v13, 0
	v_addc_co_u32_e32 v5, vcc, 0, v5, vcc
	s_and_saveexec_b64 s[6:7], s[0:1]
	s_cbranch_execnz .LBB751_726
; %bb.719:
	s_or_b64 exec, exec, s[6:7]
	s_and_saveexec_b64 s[0:1], s[2:3]
	s_cbranch_execnz .LBB751_727
.LBB751_720:
	s_or_b64 exec, exec, s[0:1]
	s_and_saveexec_b64 s[0:1], s[4:5]
	s_cbranch_execz .LBB751_722
.LBB751_721:
	v_add_co_u32_e32 v4, vcc, 0x1000, v4
	v_addc_co_u32_e32 v5, vcc, 0, v5, vcc
	s_waitcnt lgkmcnt(1)
	global_store_dwordx2 v[4:5], v[2:3], off
.LBB751_722:
	s_or_b64 exec, exec, s[0:1]
.LBB751_723:
	s_and_saveexec_b64 s[0:1], s[24:25]
	s_cbranch_execz .LBB751_725
; %bb.724:
	s_waitcnt lgkmcnt(1)
	v_lshlrev_b64 v[2:3], 3, v[12:13]
	v_mov_b32_e32 v4, s17
	v_add_co_u32_e32 v2, vcc, s16, v2
	v_addc_co_u32_e32 v3, vcc, v4, v3, vcc
	v_add_co_u32_e32 v2, vcc, 0x1000, v2
	v_addc_co_u32_e32 v3, vcc, 0, v3, vcc
	s_waitcnt lgkmcnt(0)
	global_store_dwordx2 v[2:3], v[0:1], off offset:2048
.LBB751_725:
	s_endpgm
.LBB751_726:
	ds_read_b64 v[8:9], v14
	s_waitcnt lgkmcnt(0)
	global_store_dwordx2 v[4:5], v[8:9], off
	s_or_b64 exec, exec, s[6:7]
	s_and_saveexec_b64 s[0:1], s[2:3]
	s_cbranch_execz .LBB751_720
.LBB751_727:
	s_waitcnt lgkmcnt(2)
	global_store_dwordx2 v[4:5], v[6:7], off offset:2048
	s_or_b64 exec, exec, s[0:1]
	s_and_saveexec_b64 s[0:1], s[4:5]
	s_cbranch_execnz .LBB751_721
	s_branch .LBB751_722
	.section	.rodata,"a",@progbits
	.p2align	6, 0x0
	.amdhsa_kernel _ZN7rocprim17ROCPRIM_400000_NS6detail17trampoline_kernelINS0_14default_configENS1_37merge_sort_block_sort_config_selectorIlNS0_10empty_typeEEEZNS1_21merge_sort_block_sortIS3_PlS8_PS5_S9_ZN2at6native12_GLOBAL__N_124unique_dim_cuda_templateIdEESt5tupleIJNSA_6TensorESF_SF_EERKSF_lbbbEUlllE_EE10hipError_tT0_T1_T2_T3_mRjT4_P12ihipStream_tbNS1_7vsmem_tEEUlT_E_NS1_11comp_targetILNS1_3genE4ELNS1_11target_archE910ELNS1_3gpuE8ELNS1_3repE0EEENS1_30default_config_static_selectorELNS0_4arch9wavefront6targetE1EEEvSM_
		.amdhsa_group_segment_fixed_size 8448
		.amdhsa_private_segment_fixed_size 0
		.amdhsa_kernarg_size 328
		.amdhsa_user_sgpr_count 6
		.amdhsa_user_sgpr_private_segment_buffer 1
		.amdhsa_user_sgpr_dispatch_ptr 0
		.amdhsa_user_sgpr_queue_ptr 0
		.amdhsa_user_sgpr_kernarg_segment_ptr 1
		.amdhsa_user_sgpr_dispatch_id 0
		.amdhsa_user_sgpr_flat_scratch_init 0
		.amdhsa_user_sgpr_kernarg_preload_length 0
		.amdhsa_user_sgpr_kernarg_preload_offset 0
		.amdhsa_user_sgpr_private_segment_size 0
		.amdhsa_uses_dynamic_stack 0
		.amdhsa_system_sgpr_private_segment_wavefront_offset 0
		.amdhsa_system_sgpr_workgroup_id_x 1
		.amdhsa_system_sgpr_workgroup_id_y 1
		.amdhsa_system_sgpr_workgroup_id_z 1
		.amdhsa_system_sgpr_workgroup_info 0
		.amdhsa_system_vgpr_workitem_id 2
		.amdhsa_next_free_vgpr 42
		.amdhsa_next_free_sgpr 57
		.amdhsa_accum_offset 44
		.amdhsa_reserve_vcc 1
		.amdhsa_reserve_flat_scratch 0
		.amdhsa_float_round_mode_32 0
		.amdhsa_float_round_mode_16_64 0
		.amdhsa_float_denorm_mode_32 3
		.amdhsa_float_denorm_mode_16_64 3
		.amdhsa_dx10_clamp 1
		.amdhsa_ieee_mode 1
		.amdhsa_fp16_overflow 0
		.amdhsa_tg_split 0
		.amdhsa_exception_fp_ieee_invalid_op 0
		.amdhsa_exception_fp_denorm_src 0
		.amdhsa_exception_fp_ieee_div_zero 0
		.amdhsa_exception_fp_ieee_overflow 0
		.amdhsa_exception_fp_ieee_underflow 0
		.amdhsa_exception_fp_ieee_inexact 0
		.amdhsa_exception_int_div_zero 0
	.end_amdhsa_kernel
	.section	.text._ZN7rocprim17ROCPRIM_400000_NS6detail17trampoline_kernelINS0_14default_configENS1_37merge_sort_block_sort_config_selectorIlNS0_10empty_typeEEEZNS1_21merge_sort_block_sortIS3_PlS8_PS5_S9_ZN2at6native12_GLOBAL__N_124unique_dim_cuda_templateIdEESt5tupleIJNSA_6TensorESF_SF_EERKSF_lbbbEUlllE_EE10hipError_tT0_T1_T2_T3_mRjT4_P12ihipStream_tbNS1_7vsmem_tEEUlT_E_NS1_11comp_targetILNS1_3genE4ELNS1_11target_archE910ELNS1_3gpuE8ELNS1_3repE0EEENS1_30default_config_static_selectorELNS0_4arch9wavefront6targetE1EEEvSM_,"axG",@progbits,_ZN7rocprim17ROCPRIM_400000_NS6detail17trampoline_kernelINS0_14default_configENS1_37merge_sort_block_sort_config_selectorIlNS0_10empty_typeEEEZNS1_21merge_sort_block_sortIS3_PlS8_PS5_S9_ZN2at6native12_GLOBAL__N_124unique_dim_cuda_templateIdEESt5tupleIJNSA_6TensorESF_SF_EERKSF_lbbbEUlllE_EE10hipError_tT0_T1_T2_T3_mRjT4_P12ihipStream_tbNS1_7vsmem_tEEUlT_E_NS1_11comp_targetILNS1_3genE4ELNS1_11target_archE910ELNS1_3gpuE8ELNS1_3repE0EEENS1_30default_config_static_selectorELNS0_4arch9wavefront6targetE1EEEvSM_,comdat
.Lfunc_end751:
	.size	_ZN7rocprim17ROCPRIM_400000_NS6detail17trampoline_kernelINS0_14default_configENS1_37merge_sort_block_sort_config_selectorIlNS0_10empty_typeEEEZNS1_21merge_sort_block_sortIS3_PlS8_PS5_S9_ZN2at6native12_GLOBAL__N_124unique_dim_cuda_templateIdEESt5tupleIJNSA_6TensorESF_SF_EERKSF_lbbbEUlllE_EE10hipError_tT0_T1_T2_T3_mRjT4_P12ihipStream_tbNS1_7vsmem_tEEUlT_E_NS1_11comp_targetILNS1_3genE4ELNS1_11target_archE910ELNS1_3gpuE8ELNS1_3repE0EEENS1_30default_config_static_selectorELNS0_4arch9wavefront6targetE1EEEvSM_, .Lfunc_end751-_ZN7rocprim17ROCPRIM_400000_NS6detail17trampoline_kernelINS0_14default_configENS1_37merge_sort_block_sort_config_selectorIlNS0_10empty_typeEEEZNS1_21merge_sort_block_sortIS3_PlS8_PS5_S9_ZN2at6native12_GLOBAL__N_124unique_dim_cuda_templateIdEESt5tupleIJNSA_6TensorESF_SF_EERKSF_lbbbEUlllE_EE10hipError_tT0_T1_T2_T3_mRjT4_P12ihipStream_tbNS1_7vsmem_tEEUlT_E_NS1_11comp_targetILNS1_3genE4ELNS1_11target_archE910ELNS1_3gpuE8ELNS1_3repE0EEENS1_30default_config_static_selectorELNS0_4arch9wavefront6targetE1EEEvSM_
                                        ; -- End function
	.section	.AMDGPU.csdata,"",@progbits
; Kernel info:
; codeLenInByte = 37688
; NumSgprs: 61
; NumVgprs: 42
; NumAgprs: 0
; TotalNumVgprs: 42
; ScratchSize: 0
; MemoryBound: 0
; FloatMode: 240
; IeeeMode: 1
; LDSByteSize: 8448 bytes/workgroup (compile time only)
; SGPRBlocks: 7
; VGPRBlocks: 5
; NumSGPRsForWavesPerEU: 61
; NumVGPRsForWavesPerEU: 42
; AccumOffset: 44
; Occupancy: 7
; WaveLimiterHint : 1
; COMPUTE_PGM_RSRC2:SCRATCH_EN: 0
; COMPUTE_PGM_RSRC2:USER_SGPR: 6
; COMPUTE_PGM_RSRC2:TRAP_HANDLER: 0
; COMPUTE_PGM_RSRC2:TGID_X_EN: 1
; COMPUTE_PGM_RSRC2:TGID_Y_EN: 1
; COMPUTE_PGM_RSRC2:TGID_Z_EN: 1
; COMPUTE_PGM_RSRC2:TIDIG_COMP_CNT: 2
; COMPUTE_PGM_RSRC3_GFX90A:ACCUM_OFFSET: 10
; COMPUTE_PGM_RSRC3_GFX90A:TG_SPLIT: 0
	.section	.text._ZN7rocprim17ROCPRIM_400000_NS6detail17trampoline_kernelINS0_14default_configENS1_37merge_sort_block_sort_config_selectorIlNS0_10empty_typeEEEZNS1_21merge_sort_block_sortIS3_PlS8_PS5_S9_ZN2at6native12_GLOBAL__N_124unique_dim_cuda_templateIdEESt5tupleIJNSA_6TensorESF_SF_EERKSF_lbbbEUlllE_EE10hipError_tT0_T1_T2_T3_mRjT4_P12ihipStream_tbNS1_7vsmem_tEEUlT_E_NS1_11comp_targetILNS1_3genE3ELNS1_11target_archE908ELNS1_3gpuE7ELNS1_3repE0EEENS1_30default_config_static_selectorELNS0_4arch9wavefront6targetE1EEEvSM_,"axG",@progbits,_ZN7rocprim17ROCPRIM_400000_NS6detail17trampoline_kernelINS0_14default_configENS1_37merge_sort_block_sort_config_selectorIlNS0_10empty_typeEEEZNS1_21merge_sort_block_sortIS3_PlS8_PS5_S9_ZN2at6native12_GLOBAL__N_124unique_dim_cuda_templateIdEESt5tupleIJNSA_6TensorESF_SF_EERKSF_lbbbEUlllE_EE10hipError_tT0_T1_T2_T3_mRjT4_P12ihipStream_tbNS1_7vsmem_tEEUlT_E_NS1_11comp_targetILNS1_3genE3ELNS1_11target_archE908ELNS1_3gpuE7ELNS1_3repE0EEENS1_30default_config_static_selectorELNS0_4arch9wavefront6targetE1EEEvSM_,comdat
	.globl	_ZN7rocprim17ROCPRIM_400000_NS6detail17trampoline_kernelINS0_14default_configENS1_37merge_sort_block_sort_config_selectorIlNS0_10empty_typeEEEZNS1_21merge_sort_block_sortIS3_PlS8_PS5_S9_ZN2at6native12_GLOBAL__N_124unique_dim_cuda_templateIdEESt5tupleIJNSA_6TensorESF_SF_EERKSF_lbbbEUlllE_EE10hipError_tT0_T1_T2_T3_mRjT4_P12ihipStream_tbNS1_7vsmem_tEEUlT_E_NS1_11comp_targetILNS1_3genE3ELNS1_11target_archE908ELNS1_3gpuE7ELNS1_3repE0EEENS1_30default_config_static_selectorELNS0_4arch9wavefront6targetE1EEEvSM_ ; -- Begin function _ZN7rocprim17ROCPRIM_400000_NS6detail17trampoline_kernelINS0_14default_configENS1_37merge_sort_block_sort_config_selectorIlNS0_10empty_typeEEEZNS1_21merge_sort_block_sortIS3_PlS8_PS5_S9_ZN2at6native12_GLOBAL__N_124unique_dim_cuda_templateIdEESt5tupleIJNSA_6TensorESF_SF_EERKSF_lbbbEUlllE_EE10hipError_tT0_T1_T2_T3_mRjT4_P12ihipStream_tbNS1_7vsmem_tEEUlT_E_NS1_11comp_targetILNS1_3genE3ELNS1_11target_archE908ELNS1_3gpuE7ELNS1_3repE0EEENS1_30default_config_static_selectorELNS0_4arch9wavefront6targetE1EEEvSM_
	.p2align	8
	.type	_ZN7rocprim17ROCPRIM_400000_NS6detail17trampoline_kernelINS0_14default_configENS1_37merge_sort_block_sort_config_selectorIlNS0_10empty_typeEEEZNS1_21merge_sort_block_sortIS3_PlS8_PS5_S9_ZN2at6native12_GLOBAL__N_124unique_dim_cuda_templateIdEESt5tupleIJNSA_6TensorESF_SF_EERKSF_lbbbEUlllE_EE10hipError_tT0_T1_T2_T3_mRjT4_P12ihipStream_tbNS1_7vsmem_tEEUlT_E_NS1_11comp_targetILNS1_3genE3ELNS1_11target_archE908ELNS1_3gpuE7ELNS1_3repE0EEENS1_30default_config_static_selectorELNS0_4arch9wavefront6targetE1EEEvSM_,@function
_ZN7rocprim17ROCPRIM_400000_NS6detail17trampoline_kernelINS0_14default_configENS1_37merge_sort_block_sort_config_selectorIlNS0_10empty_typeEEEZNS1_21merge_sort_block_sortIS3_PlS8_PS5_S9_ZN2at6native12_GLOBAL__N_124unique_dim_cuda_templateIdEESt5tupleIJNSA_6TensorESF_SF_EERKSF_lbbbEUlllE_EE10hipError_tT0_T1_T2_T3_mRjT4_P12ihipStream_tbNS1_7vsmem_tEEUlT_E_NS1_11comp_targetILNS1_3genE3ELNS1_11target_archE908ELNS1_3gpuE7ELNS1_3repE0EEENS1_30default_config_static_selectorELNS0_4arch9wavefront6targetE1EEEvSM_: ; @_ZN7rocprim17ROCPRIM_400000_NS6detail17trampoline_kernelINS0_14default_configENS1_37merge_sort_block_sort_config_selectorIlNS0_10empty_typeEEEZNS1_21merge_sort_block_sortIS3_PlS8_PS5_S9_ZN2at6native12_GLOBAL__N_124unique_dim_cuda_templateIdEESt5tupleIJNSA_6TensorESF_SF_EERKSF_lbbbEUlllE_EE10hipError_tT0_T1_T2_T3_mRjT4_P12ihipStream_tbNS1_7vsmem_tEEUlT_E_NS1_11comp_targetILNS1_3genE3ELNS1_11target_archE908ELNS1_3gpuE7ELNS1_3repE0EEENS1_30default_config_static_selectorELNS0_4arch9wavefront6targetE1EEEvSM_
; %bb.0:
	.section	.rodata,"a",@progbits
	.p2align	6, 0x0
	.amdhsa_kernel _ZN7rocprim17ROCPRIM_400000_NS6detail17trampoline_kernelINS0_14default_configENS1_37merge_sort_block_sort_config_selectorIlNS0_10empty_typeEEEZNS1_21merge_sort_block_sortIS3_PlS8_PS5_S9_ZN2at6native12_GLOBAL__N_124unique_dim_cuda_templateIdEESt5tupleIJNSA_6TensorESF_SF_EERKSF_lbbbEUlllE_EE10hipError_tT0_T1_T2_T3_mRjT4_P12ihipStream_tbNS1_7vsmem_tEEUlT_E_NS1_11comp_targetILNS1_3genE3ELNS1_11target_archE908ELNS1_3gpuE7ELNS1_3repE0EEENS1_30default_config_static_selectorELNS0_4arch9wavefront6targetE1EEEvSM_
		.amdhsa_group_segment_fixed_size 0
		.amdhsa_private_segment_fixed_size 0
		.amdhsa_kernarg_size 72
		.amdhsa_user_sgpr_count 6
		.amdhsa_user_sgpr_private_segment_buffer 1
		.amdhsa_user_sgpr_dispatch_ptr 0
		.amdhsa_user_sgpr_queue_ptr 0
		.amdhsa_user_sgpr_kernarg_segment_ptr 1
		.amdhsa_user_sgpr_dispatch_id 0
		.amdhsa_user_sgpr_flat_scratch_init 0
		.amdhsa_user_sgpr_kernarg_preload_length 0
		.amdhsa_user_sgpr_kernarg_preload_offset 0
		.amdhsa_user_sgpr_private_segment_size 0
		.amdhsa_uses_dynamic_stack 0
		.amdhsa_system_sgpr_private_segment_wavefront_offset 0
		.amdhsa_system_sgpr_workgroup_id_x 1
		.amdhsa_system_sgpr_workgroup_id_y 0
		.amdhsa_system_sgpr_workgroup_id_z 0
		.amdhsa_system_sgpr_workgroup_info 0
		.amdhsa_system_vgpr_workitem_id 0
		.amdhsa_next_free_vgpr 1
		.amdhsa_next_free_sgpr 0
		.amdhsa_accum_offset 4
		.amdhsa_reserve_vcc 0
		.amdhsa_reserve_flat_scratch 0
		.amdhsa_float_round_mode_32 0
		.amdhsa_float_round_mode_16_64 0
		.amdhsa_float_denorm_mode_32 3
		.amdhsa_float_denorm_mode_16_64 3
		.amdhsa_dx10_clamp 1
		.amdhsa_ieee_mode 1
		.amdhsa_fp16_overflow 0
		.amdhsa_tg_split 0
		.amdhsa_exception_fp_ieee_invalid_op 0
		.amdhsa_exception_fp_denorm_src 0
		.amdhsa_exception_fp_ieee_div_zero 0
		.amdhsa_exception_fp_ieee_overflow 0
		.amdhsa_exception_fp_ieee_underflow 0
		.amdhsa_exception_fp_ieee_inexact 0
		.amdhsa_exception_int_div_zero 0
	.end_amdhsa_kernel
	.section	.text._ZN7rocprim17ROCPRIM_400000_NS6detail17trampoline_kernelINS0_14default_configENS1_37merge_sort_block_sort_config_selectorIlNS0_10empty_typeEEEZNS1_21merge_sort_block_sortIS3_PlS8_PS5_S9_ZN2at6native12_GLOBAL__N_124unique_dim_cuda_templateIdEESt5tupleIJNSA_6TensorESF_SF_EERKSF_lbbbEUlllE_EE10hipError_tT0_T1_T2_T3_mRjT4_P12ihipStream_tbNS1_7vsmem_tEEUlT_E_NS1_11comp_targetILNS1_3genE3ELNS1_11target_archE908ELNS1_3gpuE7ELNS1_3repE0EEENS1_30default_config_static_selectorELNS0_4arch9wavefront6targetE1EEEvSM_,"axG",@progbits,_ZN7rocprim17ROCPRIM_400000_NS6detail17trampoline_kernelINS0_14default_configENS1_37merge_sort_block_sort_config_selectorIlNS0_10empty_typeEEEZNS1_21merge_sort_block_sortIS3_PlS8_PS5_S9_ZN2at6native12_GLOBAL__N_124unique_dim_cuda_templateIdEESt5tupleIJNSA_6TensorESF_SF_EERKSF_lbbbEUlllE_EE10hipError_tT0_T1_T2_T3_mRjT4_P12ihipStream_tbNS1_7vsmem_tEEUlT_E_NS1_11comp_targetILNS1_3genE3ELNS1_11target_archE908ELNS1_3gpuE7ELNS1_3repE0EEENS1_30default_config_static_selectorELNS0_4arch9wavefront6targetE1EEEvSM_,comdat
.Lfunc_end752:
	.size	_ZN7rocprim17ROCPRIM_400000_NS6detail17trampoline_kernelINS0_14default_configENS1_37merge_sort_block_sort_config_selectorIlNS0_10empty_typeEEEZNS1_21merge_sort_block_sortIS3_PlS8_PS5_S9_ZN2at6native12_GLOBAL__N_124unique_dim_cuda_templateIdEESt5tupleIJNSA_6TensorESF_SF_EERKSF_lbbbEUlllE_EE10hipError_tT0_T1_T2_T3_mRjT4_P12ihipStream_tbNS1_7vsmem_tEEUlT_E_NS1_11comp_targetILNS1_3genE3ELNS1_11target_archE908ELNS1_3gpuE7ELNS1_3repE0EEENS1_30default_config_static_selectorELNS0_4arch9wavefront6targetE1EEEvSM_, .Lfunc_end752-_ZN7rocprim17ROCPRIM_400000_NS6detail17trampoline_kernelINS0_14default_configENS1_37merge_sort_block_sort_config_selectorIlNS0_10empty_typeEEEZNS1_21merge_sort_block_sortIS3_PlS8_PS5_S9_ZN2at6native12_GLOBAL__N_124unique_dim_cuda_templateIdEESt5tupleIJNSA_6TensorESF_SF_EERKSF_lbbbEUlllE_EE10hipError_tT0_T1_T2_T3_mRjT4_P12ihipStream_tbNS1_7vsmem_tEEUlT_E_NS1_11comp_targetILNS1_3genE3ELNS1_11target_archE908ELNS1_3gpuE7ELNS1_3repE0EEENS1_30default_config_static_selectorELNS0_4arch9wavefront6targetE1EEEvSM_
                                        ; -- End function
	.section	.AMDGPU.csdata,"",@progbits
; Kernel info:
; codeLenInByte = 0
; NumSgprs: 4
; NumVgprs: 0
; NumAgprs: 0
; TotalNumVgprs: 0
; ScratchSize: 0
; MemoryBound: 0
; FloatMode: 240
; IeeeMode: 1
; LDSByteSize: 0 bytes/workgroup (compile time only)
; SGPRBlocks: 0
; VGPRBlocks: 0
; NumSGPRsForWavesPerEU: 4
; NumVGPRsForWavesPerEU: 1
; AccumOffset: 4
; Occupancy: 8
; WaveLimiterHint : 0
; COMPUTE_PGM_RSRC2:SCRATCH_EN: 0
; COMPUTE_PGM_RSRC2:USER_SGPR: 6
; COMPUTE_PGM_RSRC2:TRAP_HANDLER: 0
; COMPUTE_PGM_RSRC2:TGID_X_EN: 1
; COMPUTE_PGM_RSRC2:TGID_Y_EN: 0
; COMPUTE_PGM_RSRC2:TGID_Z_EN: 0
; COMPUTE_PGM_RSRC2:TIDIG_COMP_CNT: 0
; COMPUTE_PGM_RSRC3_GFX90A:ACCUM_OFFSET: 0
; COMPUTE_PGM_RSRC3_GFX90A:TG_SPLIT: 0
	.section	.text._ZN7rocprim17ROCPRIM_400000_NS6detail17trampoline_kernelINS0_14default_configENS1_37merge_sort_block_sort_config_selectorIlNS0_10empty_typeEEEZNS1_21merge_sort_block_sortIS3_PlS8_PS5_S9_ZN2at6native12_GLOBAL__N_124unique_dim_cuda_templateIdEESt5tupleIJNSA_6TensorESF_SF_EERKSF_lbbbEUlllE_EE10hipError_tT0_T1_T2_T3_mRjT4_P12ihipStream_tbNS1_7vsmem_tEEUlT_E_NS1_11comp_targetILNS1_3genE2ELNS1_11target_archE906ELNS1_3gpuE6ELNS1_3repE0EEENS1_30default_config_static_selectorELNS0_4arch9wavefront6targetE1EEEvSM_,"axG",@progbits,_ZN7rocprim17ROCPRIM_400000_NS6detail17trampoline_kernelINS0_14default_configENS1_37merge_sort_block_sort_config_selectorIlNS0_10empty_typeEEEZNS1_21merge_sort_block_sortIS3_PlS8_PS5_S9_ZN2at6native12_GLOBAL__N_124unique_dim_cuda_templateIdEESt5tupleIJNSA_6TensorESF_SF_EERKSF_lbbbEUlllE_EE10hipError_tT0_T1_T2_T3_mRjT4_P12ihipStream_tbNS1_7vsmem_tEEUlT_E_NS1_11comp_targetILNS1_3genE2ELNS1_11target_archE906ELNS1_3gpuE6ELNS1_3repE0EEENS1_30default_config_static_selectorELNS0_4arch9wavefront6targetE1EEEvSM_,comdat
	.globl	_ZN7rocprim17ROCPRIM_400000_NS6detail17trampoline_kernelINS0_14default_configENS1_37merge_sort_block_sort_config_selectorIlNS0_10empty_typeEEEZNS1_21merge_sort_block_sortIS3_PlS8_PS5_S9_ZN2at6native12_GLOBAL__N_124unique_dim_cuda_templateIdEESt5tupleIJNSA_6TensorESF_SF_EERKSF_lbbbEUlllE_EE10hipError_tT0_T1_T2_T3_mRjT4_P12ihipStream_tbNS1_7vsmem_tEEUlT_E_NS1_11comp_targetILNS1_3genE2ELNS1_11target_archE906ELNS1_3gpuE6ELNS1_3repE0EEENS1_30default_config_static_selectorELNS0_4arch9wavefront6targetE1EEEvSM_ ; -- Begin function _ZN7rocprim17ROCPRIM_400000_NS6detail17trampoline_kernelINS0_14default_configENS1_37merge_sort_block_sort_config_selectorIlNS0_10empty_typeEEEZNS1_21merge_sort_block_sortIS3_PlS8_PS5_S9_ZN2at6native12_GLOBAL__N_124unique_dim_cuda_templateIdEESt5tupleIJNSA_6TensorESF_SF_EERKSF_lbbbEUlllE_EE10hipError_tT0_T1_T2_T3_mRjT4_P12ihipStream_tbNS1_7vsmem_tEEUlT_E_NS1_11comp_targetILNS1_3genE2ELNS1_11target_archE906ELNS1_3gpuE6ELNS1_3repE0EEENS1_30default_config_static_selectorELNS0_4arch9wavefront6targetE1EEEvSM_
	.p2align	8
	.type	_ZN7rocprim17ROCPRIM_400000_NS6detail17trampoline_kernelINS0_14default_configENS1_37merge_sort_block_sort_config_selectorIlNS0_10empty_typeEEEZNS1_21merge_sort_block_sortIS3_PlS8_PS5_S9_ZN2at6native12_GLOBAL__N_124unique_dim_cuda_templateIdEESt5tupleIJNSA_6TensorESF_SF_EERKSF_lbbbEUlllE_EE10hipError_tT0_T1_T2_T3_mRjT4_P12ihipStream_tbNS1_7vsmem_tEEUlT_E_NS1_11comp_targetILNS1_3genE2ELNS1_11target_archE906ELNS1_3gpuE6ELNS1_3repE0EEENS1_30default_config_static_selectorELNS0_4arch9wavefront6targetE1EEEvSM_,@function
_ZN7rocprim17ROCPRIM_400000_NS6detail17trampoline_kernelINS0_14default_configENS1_37merge_sort_block_sort_config_selectorIlNS0_10empty_typeEEEZNS1_21merge_sort_block_sortIS3_PlS8_PS5_S9_ZN2at6native12_GLOBAL__N_124unique_dim_cuda_templateIdEESt5tupleIJNSA_6TensorESF_SF_EERKSF_lbbbEUlllE_EE10hipError_tT0_T1_T2_T3_mRjT4_P12ihipStream_tbNS1_7vsmem_tEEUlT_E_NS1_11comp_targetILNS1_3genE2ELNS1_11target_archE906ELNS1_3gpuE6ELNS1_3repE0EEENS1_30default_config_static_selectorELNS0_4arch9wavefront6targetE1EEEvSM_: ; @_ZN7rocprim17ROCPRIM_400000_NS6detail17trampoline_kernelINS0_14default_configENS1_37merge_sort_block_sort_config_selectorIlNS0_10empty_typeEEEZNS1_21merge_sort_block_sortIS3_PlS8_PS5_S9_ZN2at6native12_GLOBAL__N_124unique_dim_cuda_templateIdEESt5tupleIJNSA_6TensorESF_SF_EERKSF_lbbbEUlllE_EE10hipError_tT0_T1_T2_T3_mRjT4_P12ihipStream_tbNS1_7vsmem_tEEUlT_E_NS1_11comp_targetILNS1_3genE2ELNS1_11target_archE906ELNS1_3gpuE6ELNS1_3repE0EEENS1_30default_config_static_selectorELNS0_4arch9wavefront6targetE1EEEvSM_
; %bb.0:
	.section	.rodata,"a",@progbits
	.p2align	6, 0x0
	.amdhsa_kernel _ZN7rocprim17ROCPRIM_400000_NS6detail17trampoline_kernelINS0_14default_configENS1_37merge_sort_block_sort_config_selectorIlNS0_10empty_typeEEEZNS1_21merge_sort_block_sortIS3_PlS8_PS5_S9_ZN2at6native12_GLOBAL__N_124unique_dim_cuda_templateIdEESt5tupleIJNSA_6TensorESF_SF_EERKSF_lbbbEUlllE_EE10hipError_tT0_T1_T2_T3_mRjT4_P12ihipStream_tbNS1_7vsmem_tEEUlT_E_NS1_11comp_targetILNS1_3genE2ELNS1_11target_archE906ELNS1_3gpuE6ELNS1_3repE0EEENS1_30default_config_static_selectorELNS0_4arch9wavefront6targetE1EEEvSM_
		.amdhsa_group_segment_fixed_size 0
		.amdhsa_private_segment_fixed_size 0
		.amdhsa_kernarg_size 72
		.amdhsa_user_sgpr_count 6
		.amdhsa_user_sgpr_private_segment_buffer 1
		.amdhsa_user_sgpr_dispatch_ptr 0
		.amdhsa_user_sgpr_queue_ptr 0
		.amdhsa_user_sgpr_kernarg_segment_ptr 1
		.amdhsa_user_sgpr_dispatch_id 0
		.amdhsa_user_sgpr_flat_scratch_init 0
		.amdhsa_user_sgpr_kernarg_preload_length 0
		.amdhsa_user_sgpr_kernarg_preload_offset 0
		.amdhsa_user_sgpr_private_segment_size 0
		.amdhsa_uses_dynamic_stack 0
		.amdhsa_system_sgpr_private_segment_wavefront_offset 0
		.amdhsa_system_sgpr_workgroup_id_x 1
		.amdhsa_system_sgpr_workgroup_id_y 0
		.amdhsa_system_sgpr_workgroup_id_z 0
		.amdhsa_system_sgpr_workgroup_info 0
		.amdhsa_system_vgpr_workitem_id 0
		.amdhsa_next_free_vgpr 1
		.amdhsa_next_free_sgpr 0
		.amdhsa_accum_offset 4
		.amdhsa_reserve_vcc 0
		.amdhsa_reserve_flat_scratch 0
		.amdhsa_float_round_mode_32 0
		.amdhsa_float_round_mode_16_64 0
		.amdhsa_float_denorm_mode_32 3
		.amdhsa_float_denorm_mode_16_64 3
		.amdhsa_dx10_clamp 1
		.amdhsa_ieee_mode 1
		.amdhsa_fp16_overflow 0
		.amdhsa_tg_split 0
		.amdhsa_exception_fp_ieee_invalid_op 0
		.amdhsa_exception_fp_denorm_src 0
		.amdhsa_exception_fp_ieee_div_zero 0
		.amdhsa_exception_fp_ieee_overflow 0
		.amdhsa_exception_fp_ieee_underflow 0
		.amdhsa_exception_fp_ieee_inexact 0
		.amdhsa_exception_int_div_zero 0
	.end_amdhsa_kernel
	.section	.text._ZN7rocprim17ROCPRIM_400000_NS6detail17trampoline_kernelINS0_14default_configENS1_37merge_sort_block_sort_config_selectorIlNS0_10empty_typeEEEZNS1_21merge_sort_block_sortIS3_PlS8_PS5_S9_ZN2at6native12_GLOBAL__N_124unique_dim_cuda_templateIdEESt5tupleIJNSA_6TensorESF_SF_EERKSF_lbbbEUlllE_EE10hipError_tT0_T1_T2_T3_mRjT4_P12ihipStream_tbNS1_7vsmem_tEEUlT_E_NS1_11comp_targetILNS1_3genE2ELNS1_11target_archE906ELNS1_3gpuE6ELNS1_3repE0EEENS1_30default_config_static_selectorELNS0_4arch9wavefront6targetE1EEEvSM_,"axG",@progbits,_ZN7rocprim17ROCPRIM_400000_NS6detail17trampoline_kernelINS0_14default_configENS1_37merge_sort_block_sort_config_selectorIlNS0_10empty_typeEEEZNS1_21merge_sort_block_sortIS3_PlS8_PS5_S9_ZN2at6native12_GLOBAL__N_124unique_dim_cuda_templateIdEESt5tupleIJNSA_6TensorESF_SF_EERKSF_lbbbEUlllE_EE10hipError_tT0_T1_T2_T3_mRjT4_P12ihipStream_tbNS1_7vsmem_tEEUlT_E_NS1_11comp_targetILNS1_3genE2ELNS1_11target_archE906ELNS1_3gpuE6ELNS1_3repE0EEENS1_30default_config_static_selectorELNS0_4arch9wavefront6targetE1EEEvSM_,comdat
.Lfunc_end753:
	.size	_ZN7rocprim17ROCPRIM_400000_NS6detail17trampoline_kernelINS0_14default_configENS1_37merge_sort_block_sort_config_selectorIlNS0_10empty_typeEEEZNS1_21merge_sort_block_sortIS3_PlS8_PS5_S9_ZN2at6native12_GLOBAL__N_124unique_dim_cuda_templateIdEESt5tupleIJNSA_6TensorESF_SF_EERKSF_lbbbEUlllE_EE10hipError_tT0_T1_T2_T3_mRjT4_P12ihipStream_tbNS1_7vsmem_tEEUlT_E_NS1_11comp_targetILNS1_3genE2ELNS1_11target_archE906ELNS1_3gpuE6ELNS1_3repE0EEENS1_30default_config_static_selectorELNS0_4arch9wavefront6targetE1EEEvSM_, .Lfunc_end753-_ZN7rocprim17ROCPRIM_400000_NS6detail17trampoline_kernelINS0_14default_configENS1_37merge_sort_block_sort_config_selectorIlNS0_10empty_typeEEEZNS1_21merge_sort_block_sortIS3_PlS8_PS5_S9_ZN2at6native12_GLOBAL__N_124unique_dim_cuda_templateIdEESt5tupleIJNSA_6TensorESF_SF_EERKSF_lbbbEUlllE_EE10hipError_tT0_T1_T2_T3_mRjT4_P12ihipStream_tbNS1_7vsmem_tEEUlT_E_NS1_11comp_targetILNS1_3genE2ELNS1_11target_archE906ELNS1_3gpuE6ELNS1_3repE0EEENS1_30default_config_static_selectorELNS0_4arch9wavefront6targetE1EEEvSM_
                                        ; -- End function
	.section	.AMDGPU.csdata,"",@progbits
; Kernel info:
; codeLenInByte = 0
; NumSgprs: 4
; NumVgprs: 0
; NumAgprs: 0
; TotalNumVgprs: 0
; ScratchSize: 0
; MemoryBound: 0
; FloatMode: 240
; IeeeMode: 1
; LDSByteSize: 0 bytes/workgroup (compile time only)
; SGPRBlocks: 0
; VGPRBlocks: 0
; NumSGPRsForWavesPerEU: 4
; NumVGPRsForWavesPerEU: 1
; AccumOffset: 4
; Occupancy: 8
; WaveLimiterHint : 0
; COMPUTE_PGM_RSRC2:SCRATCH_EN: 0
; COMPUTE_PGM_RSRC2:USER_SGPR: 6
; COMPUTE_PGM_RSRC2:TRAP_HANDLER: 0
; COMPUTE_PGM_RSRC2:TGID_X_EN: 1
; COMPUTE_PGM_RSRC2:TGID_Y_EN: 0
; COMPUTE_PGM_RSRC2:TGID_Z_EN: 0
; COMPUTE_PGM_RSRC2:TIDIG_COMP_CNT: 0
; COMPUTE_PGM_RSRC3_GFX90A:ACCUM_OFFSET: 0
; COMPUTE_PGM_RSRC3_GFX90A:TG_SPLIT: 0
	.section	.text._ZN7rocprim17ROCPRIM_400000_NS6detail17trampoline_kernelINS0_14default_configENS1_37merge_sort_block_sort_config_selectorIlNS0_10empty_typeEEEZNS1_21merge_sort_block_sortIS3_PlS8_PS5_S9_ZN2at6native12_GLOBAL__N_124unique_dim_cuda_templateIdEESt5tupleIJNSA_6TensorESF_SF_EERKSF_lbbbEUlllE_EE10hipError_tT0_T1_T2_T3_mRjT4_P12ihipStream_tbNS1_7vsmem_tEEUlT_E_NS1_11comp_targetILNS1_3genE10ELNS1_11target_archE1201ELNS1_3gpuE5ELNS1_3repE0EEENS1_30default_config_static_selectorELNS0_4arch9wavefront6targetE1EEEvSM_,"axG",@progbits,_ZN7rocprim17ROCPRIM_400000_NS6detail17trampoline_kernelINS0_14default_configENS1_37merge_sort_block_sort_config_selectorIlNS0_10empty_typeEEEZNS1_21merge_sort_block_sortIS3_PlS8_PS5_S9_ZN2at6native12_GLOBAL__N_124unique_dim_cuda_templateIdEESt5tupleIJNSA_6TensorESF_SF_EERKSF_lbbbEUlllE_EE10hipError_tT0_T1_T2_T3_mRjT4_P12ihipStream_tbNS1_7vsmem_tEEUlT_E_NS1_11comp_targetILNS1_3genE10ELNS1_11target_archE1201ELNS1_3gpuE5ELNS1_3repE0EEENS1_30default_config_static_selectorELNS0_4arch9wavefront6targetE1EEEvSM_,comdat
	.globl	_ZN7rocprim17ROCPRIM_400000_NS6detail17trampoline_kernelINS0_14default_configENS1_37merge_sort_block_sort_config_selectorIlNS0_10empty_typeEEEZNS1_21merge_sort_block_sortIS3_PlS8_PS5_S9_ZN2at6native12_GLOBAL__N_124unique_dim_cuda_templateIdEESt5tupleIJNSA_6TensorESF_SF_EERKSF_lbbbEUlllE_EE10hipError_tT0_T1_T2_T3_mRjT4_P12ihipStream_tbNS1_7vsmem_tEEUlT_E_NS1_11comp_targetILNS1_3genE10ELNS1_11target_archE1201ELNS1_3gpuE5ELNS1_3repE0EEENS1_30default_config_static_selectorELNS0_4arch9wavefront6targetE1EEEvSM_ ; -- Begin function _ZN7rocprim17ROCPRIM_400000_NS6detail17trampoline_kernelINS0_14default_configENS1_37merge_sort_block_sort_config_selectorIlNS0_10empty_typeEEEZNS1_21merge_sort_block_sortIS3_PlS8_PS5_S9_ZN2at6native12_GLOBAL__N_124unique_dim_cuda_templateIdEESt5tupleIJNSA_6TensorESF_SF_EERKSF_lbbbEUlllE_EE10hipError_tT0_T1_T2_T3_mRjT4_P12ihipStream_tbNS1_7vsmem_tEEUlT_E_NS1_11comp_targetILNS1_3genE10ELNS1_11target_archE1201ELNS1_3gpuE5ELNS1_3repE0EEENS1_30default_config_static_selectorELNS0_4arch9wavefront6targetE1EEEvSM_
	.p2align	8
	.type	_ZN7rocprim17ROCPRIM_400000_NS6detail17trampoline_kernelINS0_14default_configENS1_37merge_sort_block_sort_config_selectorIlNS0_10empty_typeEEEZNS1_21merge_sort_block_sortIS3_PlS8_PS5_S9_ZN2at6native12_GLOBAL__N_124unique_dim_cuda_templateIdEESt5tupleIJNSA_6TensorESF_SF_EERKSF_lbbbEUlllE_EE10hipError_tT0_T1_T2_T3_mRjT4_P12ihipStream_tbNS1_7vsmem_tEEUlT_E_NS1_11comp_targetILNS1_3genE10ELNS1_11target_archE1201ELNS1_3gpuE5ELNS1_3repE0EEENS1_30default_config_static_selectorELNS0_4arch9wavefront6targetE1EEEvSM_,@function
_ZN7rocprim17ROCPRIM_400000_NS6detail17trampoline_kernelINS0_14default_configENS1_37merge_sort_block_sort_config_selectorIlNS0_10empty_typeEEEZNS1_21merge_sort_block_sortIS3_PlS8_PS5_S9_ZN2at6native12_GLOBAL__N_124unique_dim_cuda_templateIdEESt5tupleIJNSA_6TensorESF_SF_EERKSF_lbbbEUlllE_EE10hipError_tT0_T1_T2_T3_mRjT4_P12ihipStream_tbNS1_7vsmem_tEEUlT_E_NS1_11comp_targetILNS1_3genE10ELNS1_11target_archE1201ELNS1_3gpuE5ELNS1_3repE0EEENS1_30default_config_static_selectorELNS0_4arch9wavefront6targetE1EEEvSM_: ; @_ZN7rocprim17ROCPRIM_400000_NS6detail17trampoline_kernelINS0_14default_configENS1_37merge_sort_block_sort_config_selectorIlNS0_10empty_typeEEEZNS1_21merge_sort_block_sortIS3_PlS8_PS5_S9_ZN2at6native12_GLOBAL__N_124unique_dim_cuda_templateIdEESt5tupleIJNSA_6TensorESF_SF_EERKSF_lbbbEUlllE_EE10hipError_tT0_T1_T2_T3_mRjT4_P12ihipStream_tbNS1_7vsmem_tEEUlT_E_NS1_11comp_targetILNS1_3genE10ELNS1_11target_archE1201ELNS1_3gpuE5ELNS1_3repE0EEENS1_30default_config_static_selectorELNS0_4arch9wavefront6targetE1EEEvSM_
; %bb.0:
	.section	.rodata,"a",@progbits
	.p2align	6, 0x0
	.amdhsa_kernel _ZN7rocprim17ROCPRIM_400000_NS6detail17trampoline_kernelINS0_14default_configENS1_37merge_sort_block_sort_config_selectorIlNS0_10empty_typeEEEZNS1_21merge_sort_block_sortIS3_PlS8_PS5_S9_ZN2at6native12_GLOBAL__N_124unique_dim_cuda_templateIdEESt5tupleIJNSA_6TensorESF_SF_EERKSF_lbbbEUlllE_EE10hipError_tT0_T1_T2_T3_mRjT4_P12ihipStream_tbNS1_7vsmem_tEEUlT_E_NS1_11comp_targetILNS1_3genE10ELNS1_11target_archE1201ELNS1_3gpuE5ELNS1_3repE0EEENS1_30default_config_static_selectorELNS0_4arch9wavefront6targetE1EEEvSM_
		.amdhsa_group_segment_fixed_size 0
		.amdhsa_private_segment_fixed_size 0
		.amdhsa_kernarg_size 72
		.amdhsa_user_sgpr_count 6
		.amdhsa_user_sgpr_private_segment_buffer 1
		.amdhsa_user_sgpr_dispatch_ptr 0
		.amdhsa_user_sgpr_queue_ptr 0
		.amdhsa_user_sgpr_kernarg_segment_ptr 1
		.amdhsa_user_sgpr_dispatch_id 0
		.amdhsa_user_sgpr_flat_scratch_init 0
		.amdhsa_user_sgpr_kernarg_preload_length 0
		.amdhsa_user_sgpr_kernarg_preload_offset 0
		.amdhsa_user_sgpr_private_segment_size 0
		.amdhsa_uses_dynamic_stack 0
		.amdhsa_system_sgpr_private_segment_wavefront_offset 0
		.amdhsa_system_sgpr_workgroup_id_x 1
		.amdhsa_system_sgpr_workgroup_id_y 0
		.amdhsa_system_sgpr_workgroup_id_z 0
		.amdhsa_system_sgpr_workgroup_info 0
		.amdhsa_system_vgpr_workitem_id 0
		.amdhsa_next_free_vgpr 1
		.amdhsa_next_free_sgpr 0
		.amdhsa_accum_offset 4
		.amdhsa_reserve_vcc 0
		.amdhsa_reserve_flat_scratch 0
		.amdhsa_float_round_mode_32 0
		.amdhsa_float_round_mode_16_64 0
		.amdhsa_float_denorm_mode_32 3
		.amdhsa_float_denorm_mode_16_64 3
		.amdhsa_dx10_clamp 1
		.amdhsa_ieee_mode 1
		.amdhsa_fp16_overflow 0
		.amdhsa_tg_split 0
		.amdhsa_exception_fp_ieee_invalid_op 0
		.amdhsa_exception_fp_denorm_src 0
		.amdhsa_exception_fp_ieee_div_zero 0
		.amdhsa_exception_fp_ieee_overflow 0
		.amdhsa_exception_fp_ieee_underflow 0
		.amdhsa_exception_fp_ieee_inexact 0
		.amdhsa_exception_int_div_zero 0
	.end_amdhsa_kernel
	.section	.text._ZN7rocprim17ROCPRIM_400000_NS6detail17trampoline_kernelINS0_14default_configENS1_37merge_sort_block_sort_config_selectorIlNS0_10empty_typeEEEZNS1_21merge_sort_block_sortIS3_PlS8_PS5_S9_ZN2at6native12_GLOBAL__N_124unique_dim_cuda_templateIdEESt5tupleIJNSA_6TensorESF_SF_EERKSF_lbbbEUlllE_EE10hipError_tT0_T1_T2_T3_mRjT4_P12ihipStream_tbNS1_7vsmem_tEEUlT_E_NS1_11comp_targetILNS1_3genE10ELNS1_11target_archE1201ELNS1_3gpuE5ELNS1_3repE0EEENS1_30default_config_static_selectorELNS0_4arch9wavefront6targetE1EEEvSM_,"axG",@progbits,_ZN7rocprim17ROCPRIM_400000_NS6detail17trampoline_kernelINS0_14default_configENS1_37merge_sort_block_sort_config_selectorIlNS0_10empty_typeEEEZNS1_21merge_sort_block_sortIS3_PlS8_PS5_S9_ZN2at6native12_GLOBAL__N_124unique_dim_cuda_templateIdEESt5tupleIJNSA_6TensorESF_SF_EERKSF_lbbbEUlllE_EE10hipError_tT0_T1_T2_T3_mRjT4_P12ihipStream_tbNS1_7vsmem_tEEUlT_E_NS1_11comp_targetILNS1_3genE10ELNS1_11target_archE1201ELNS1_3gpuE5ELNS1_3repE0EEENS1_30default_config_static_selectorELNS0_4arch9wavefront6targetE1EEEvSM_,comdat
.Lfunc_end754:
	.size	_ZN7rocprim17ROCPRIM_400000_NS6detail17trampoline_kernelINS0_14default_configENS1_37merge_sort_block_sort_config_selectorIlNS0_10empty_typeEEEZNS1_21merge_sort_block_sortIS3_PlS8_PS5_S9_ZN2at6native12_GLOBAL__N_124unique_dim_cuda_templateIdEESt5tupleIJNSA_6TensorESF_SF_EERKSF_lbbbEUlllE_EE10hipError_tT0_T1_T2_T3_mRjT4_P12ihipStream_tbNS1_7vsmem_tEEUlT_E_NS1_11comp_targetILNS1_3genE10ELNS1_11target_archE1201ELNS1_3gpuE5ELNS1_3repE0EEENS1_30default_config_static_selectorELNS0_4arch9wavefront6targetE1EEEvSM_, .Lfunc_end754-_ZN7rocprim17ROCPRIM_400000_NS6detail17trampoline_kernelINS0_14default_configENS1_37merge_sort_block_sort_config_selectorIlNS0_10empty_typeEEEZNS1_21merge_sort_block_sortIS3_PlS8_PS5_S9_ZN2at6native12_GLOBAL__N_124unique_dim_cuda_templateIdEESt5tupleIJNSA_6TensorESF_SF_EERKSF_lbbbEUlllE_EE10hipError_tT0_T1_T2_T3_mRjT4_P12ihipStream_tbNS1_7vsmem_tEEUlT_E_NS1_11comp_targetILNS1_3genE10ELNS1_11target_archE1201ELNS1_3gpuE5ELNS1_3repE0EEENS1_30default_config_static_selectorELNS0_4arch9wavefront6targetE1EEEvSM_
                                        ; -- End function
	.section	.AMDGPU.csdata,"",@progbits
; Kernel info:
; codeLenInByte = 0
; NumSgprs: 4
; NumVgprs: 0
; NumAgprs: 0
; TotalNumVgprs: 0
; ScratchSize: 0
; MemoryBound: 0
; FloatMode: 240
; IeeeMode: 1
; LDSByteSize: 0 bytes/workgroup (compile time only)
; SGPRBlocks: 0
; VGPRBlocks: 0
; NumSGPRsForWavesPerEU: 4
; NumVGPRsForWavesPerEU: 1
; AccumOffset: 4
; Occupancy: 8
; WaveLimiterHint : 0
; COMPUTE_PGM_RSRC2:SCRATCH_EN: 0
; COMPUTE_PGM_RSRC2:USER_SGPR: 6
; COMPUTE_PGM_RSRC2:TRAP_HANDLER: 0
; COMPUTE_PGM_RSRC2:TGID_X_EN: 1
; COMPUTE_PGM_RSRC2:TGID_Y_EN: 0
; COMPUTE_PGM_RSRC2:TGID_Z_EN: 0
; COMPUTE_PGM_RSRC2:TIDIG_COMP_CNT: 0
; COMPUTE_PGM_RSRC3_GFX90A:ACCUM_OFFSET: 0
; COMPUTE_PGM_RSRC3_GFX90A:TG_SPLIT: 0
	.section	.text._ZN7rocprim17ROCPRIM_400000_NS6detail17trampoline_kernelINS0_14default_configENS1_37merge_sort_block_sort_config_selectorIlNS0_10empty_typeEEEZNS1_21merge_sort_block_sortIS3_PlS8_PS5_S9_ZN2at6native12_GLOBAL__N_124unique_dim_cuda_templateIdEESt5tupleIJNSA_6TensorESF_SF_EERKSF_lbbbEUlllE_EE10hipError_tT0_T1_T2_T3_mRjT4_P12ihipStream_tbNS1_7vsmem_tEEUlT_E_NS1_11comp_targetILNS1_3genE10ELNS1_11target_archE1200ELNS1_3gpuE4ELNS1_3repE0EEENS1_30default_config_static_selectorELNS0_4arch9wavefront6targetE1EEEvSM_,"axG",@progbits,_ZN7rocprim17ROCPRIM_400000_NS6detail17trampoline_kernelINS0_14default_configENS1_37merge_sort_block_sort_config_selectorIlNS0_10empty_typeEEEZNS1_21merge_sort_block_sortIS3_PlS8_PS5_S9_ZN2at6native12_GLOBAL__N_124unique_dim_cuda_templateIdEESt5tupleIJNSA_6TensorESF_SF_EERKSF_lbbbEUlllE_EE10hipError_tT0_T1_T2_T3_mRjT4_P12ihipStream_tbNS1_7vsmem_tEEUlT_E_NS1_11comp_targetILNS1_3genE10ELNS1_11target_archE1200ELNS1_3gpuE4ELNS1_3repE0EEENS1_30default_config_static_selectorELNS0_4arch9wavefront6targetE1EEEvSM_,comdat
	.globl	_ZN7rocprim17ROCPRIM_400000_NS6detail17trampoline_kernelINS0_14default_configENS1_37merge_sort_block_sort_config_selectorIlNS0_10empty_typeEEEZNS1_21merge_sort_block_sortIS3_PlS8_PS5_S9_ZN2at6native12_GLOBAL__N_124unique_dim_cuda_templateIdEESt5tupleIJNSA_6TensorESF_SF_EERKSF_lbbbEUlllE_EE10hipError_tT0_T1_T2_T3_mRjT4_P12ihipStream_tbNS1_7vsmem_tEEUlT_E_NS1_11comp_targetILNS1_3genE10ELNS1_11target_archE1200ELNS1_3gpuE4ELNS1_3repE0EEENS1_30default_config_static_selectorELNS0_4arch9wavefront6targetE1EEEvSM_ ; -- Begin function _ZN7rocprim17ROCPRIM_400000_NS6detail17trampoline_kernelINS0_14default_configENS1_37merge_sort_block_sort_config_selectorIlNS0_10empty_typeEEEZNS1_21merge_sort_block_sortIS3_PlS8_PS5_S9_ZN2at6native12_GLOBAL__N_124unique_dim_cuda_templateIdEESt5tupleIJNSA_6TensorESF_SF_EERKSF_lbbbEUlllE_EE10hipError_tT0_T1_T2_T3_mRjT4_P12ihipStream_tbNS1_7vsmem_tEEUlT_E_NS1_11comp_targetILNS1_3genE10ELNS1_11target_archE1200ELNS1_3gpuE4ELNS1_3repE0EEENS1_30default_config_static_selectorELNS0_4arch9wavefront6targetE1EEEvSM_
	.p2align	8
	.type	_ZN7rocprim17ROCPRIM_400000_NS6detail17trampoline_kernelINS0_14default_configENS1_37merge_sort_block_sort_config_selectorIlNS0_10empty_typeEEEZNS1_21merge_sort_block_sortIS3_PlS8_PS5_S9_ZN2at6native12_GLOBAL__N_124unique_dim_cuda_templateIdEESt5tupleIJNSA_6TensorESF_SF_EERKSF_lbbbEUlllE_EE10hipError_tT0_T1_T2_T3_mRjT4_P12ihipStream_tbNS1_7vsmem_tEEUlT_E_NS1_11comp_targetILNS1_3genE10ELNS1_11target_archE1200ELNS1_3gpuE4ELNS1_3repE0EEENS1_30default_config_static_selectorELNS0_4arch9wavefront6targetE1EEEvSM_,@function
_ZN7rocprim17ROCPRIM_400000_NS6detail17trampoline_kernelINS0_14default_configENS1_37merge_sort_block_sort_config_selectorIlNS0_10empty_typeEEEZNS1_21merge_sort_block_sortIS3_PlS8_PS5_S9_ZN2at6native12_GLOBAL__N_124unique_dim_cuda_templateIdEESt5tupleIJNSA_6TensorESF_SF_EERKSF_lbbbEUlllE_EE10hipError_tT0_T1_T2_T3_mRjT4_P12ihipStream_tbNS1_7vsmem_tEEUlT_E_NS1_11comp_targetILNS1_3genE10ELNS1_11target_archE1200ELNS1_3gpuE4ELNS1_3repE0EEENS1_30default_config_static_selectorELNS0_4arch9wavefront6targetE1EEEvSM_: ; @_ZN7rocprim17ROCPRIM_400000_NS6detail17trampoline_kernelINS0_14default_configENS1_37merge_sort_block_sort_config_selectorIlNS0_10empty_typeEEEZNS1_21merge_sort_block_sortIS3_PlS8_PS5_S9_ZN2at6native12_GLOBAL__N_124unique_dim_cuda_templateIdEESt5tupleIJNSA_6TensorESF_SF_EERKSF_lbbbEUlllE_EE10hipError_tT0_T1_T2_T3_mRjT4_P12ihipStream_tbNS1_7vsmem_tEEUlT_E_NS1_11comp_targetILNS1_3genE10ELNS1_11target_archE1200ELNS1_3gpuE4ELNS1_3repE0EEENS1_30default_config_static_selectorELNS0_4arch9wavefront6targetE1EEEvSM_
; %bb.0:
	.section	.rodata,"a",@progbits
	.p2align	6, 0x0
	.amdhsa_kernel _ZN7rocprim17ROCPRIM_400000_NS6detail17trampoline_kernelINS0_14default_configENS1_37merge_sort_block_sort_config_selectorIlNS0_10empty_typeEEEZNS1_21merge_sort_block_sortIS3_PlS8_PS5_S9_ZN2at6native12_GLOBAL__N_124unique_dim_cuda_templateIdEESt5tupleIJNSA_6TensorESF_SF_EERKSF_lbbbEUlllE_EE10hipError_tT0_T1_T2_T3_mRjT4_P12ihipStream_tbNS1_7vsmem_tEEUlT_E_NS1_11comp_targetILNS1_3genE10ELNS1_11target_archE1200ELNS1_3gpuE4ELNS1_3repE0EEENS1_30default_config_static_selectorELNS0_4arch9wavefront6targetE1EEEvSM_
		.amdhsa_group_segment_fixed_size 0
		.amdhsa_private_segment_fixed_size 0
		.amdhsa_kernarg_size 72
		.amdhsa_user_sgpr_count 6
		.amdhsa_user_sgpr_private_segment_buffer 1
		.amdhsa_user_sgpr_dispatch_ptr 0
		.amdhsa_user_sgpr_queue_ptr 0
		.amdhsa_user_sgpr_kernarg_segment_ptr 1
		.amdhsa_user_sgpr_dispatch_id 0
		.amdhsa_user_sgpr_flat_scratch_init 0
		.amdhsa_user_sgpr_kernarg_preload_length 0
		.amdhsa_user_sgpr_kernarg_preload_offset 0
		.amdhsa_user_sgpr_private_segment_size 0
		.amdhsa_uses_dynamic_stack 0
		.amdhsa_system_sgpr_private_segment_wavefront_offset 0
		.amdhsa_system_sgpr_workgroup_id_x 1
		.amdhsa_system_sgpr_workgroup_id_y 0
		.amdhsa_system_sgpr_workgroup_id_z 0
		.amdhsa_system_sgpr_workgroup_info 0
		.amdhsa_system_vgpr_workitem_id 0
		.amdhsa_next_free_vgpr 1
		.amdhsa_next_free_sgpr 0
		.amdhsa_accum_offset 4
		.amdhsa_reserve_vcc 0
		.amdhsa_reserve_flat_scratch 0
		.amdhsa_float_round_mode_32 0
		.amdhsa_float_round_mode_16_64 0
		.amdhsa_float_denorm_mode_32 3
		.amdhsa_float_denorm_mode_16_64 3
		.amdhsa_dx10_clamp 1
		.amdhsa_ieee_mode 1
		.amdhsa_fp16_overflow 0
		.amdhsa_tg_split 0
		.amdhsa_exception_fp_ieee_invalid_op 0
		.amdhsa_exception_fp_denorm_src 0
		.amdhsa_exception_fp_ieee_div_zero 0
		.amdhsa_exception_fp_ieee_overflow 0
		.amdhsa_exception_fp_ieee_underflow 0
		.amdhsa_exception_fp_ieee_inexact 0
		.amdhsa_exception_int_div_zero 0
	.end_amdhsa_kernel
	.section	.text._ZN7rocprim17ROCPRIM_400000_NS6detail17trampoline_kernelINS0_14default_configENS1_37merge_sort_block_sort_config_selectorIlNS0_10empty_typeEEEZNS1_21merge_sort_block_sortIS3_PlS8_PS5_S9_ZN2at6native12_GLOBAL__N_124unique_dim_cuda_templateIdEESt5tupleIJNSA_6TensorESF_SF_EERKSF_lbbbEUlllE_EE10hipError_tT0_T1_T2_T3_mRjT4_P12ihipStream_tbNS1_7vsmem_tEEUlT_E_NS1_11comp_targetILNS1_3genE10ELNS1_11target_archE1200ELNS1_3gpuE4ELNS1_3repE0EEENS1_30default_config_static_selectorELNS0_4arch9wavefront6targetE1EEEvSM_,"axG",@progbits,_ZN7rocprim17ROCPRIM_400000_NS6detail17trampoline_kernelINS0_14default_configENS1_37merge_sort_block_sort_config_selectorIlNS0_10empty_typeEEEZNS1_21merge_sort_block_sortIS3_PlS8_PS5_S9_ZN2at6native12_GLOBAL__N_124unique_dim_cuda_templateIdEESt5tupleIJNSA_6TensorESF_SF_EERKSF_lbbbEUlllE_EE10hipError_tT0_T1_T2_T3_mRjT4_P12ihipStream_tbNS1_7vsmem_tEEUlT_E_NS1_11comp_targetILNS1_3genE10ELNS1_11target_archE1200ELNS1_3gpuE4ELNS1_3repE0EEENS1_30default_config_static_selectorELNS0_4arch9wavefront6targetE1EEEvSM_,comdat
.Lfunc_end755:
	.size	_ZN7rocprim17ROCPRIM_400000_NS6detail17trampoline_kernelINS0_14default_configENS1_37merge_sort_block_sort_config_selectorIlNS0_10empty_typeEEEZNS1_21merge_sort_block_sortIS3_PlS8_PS5_S9_ZN2at6native12_GLOBAL__N_124unique_dim_cuda_templateIdEESt5tupleIJNSA_6TensorESF_SF_EERKSF_lbbbEUlllE_EE10hipError_tT0_T1_T2_T3_mRjT4_P12ihipStream_tbNS1_7vsmem_tEEUlT_E_NS1_11comp_targetILNS1_3genE10ELNS1_11target_archE1200ELNS1_3gpuE4ELNS1_3repE0EEENS1_30default_config_static_selectorELNS0_4arch9wavefront6targetE1EEEvSM_, .Lfunc_end755-_ZN7rocprim17ROCPRIM_400000_NS6detail17trampoline_kernelINS0_14default_configENS1_37merge_sort_block_sort_config_selectorIlNS0_10empty_typeEEEZNS1_21merge_sort_block_sortIS3_PlS8_PS5_S9_ZN2at6native12_GLOBAL__N_124unique_dim_cuda_templateIdEESt5tupleIJNSA_6TensorESF_SF_EERKSF_lbbbEUlllE_EE10hipError_tT0_T1_T2_T3_mRjT4_P12ihipStream_tbNS1_7vsmem_tEEUlT_E_NS1_11comp_targetILNS1_3genE10ELNS1_11target_archE1200ELNS1_3gpuE4ELNS1_3repE0EEENS1_30default_config_static_selectorELNS0_4arch9wavefront6targetE1EEEvSM_
                                        ; -- End function
	.section	.AMDGPU.csdata,"",@progbits
; Kernel info:
; codeLenInByte = 0
; NumSgprs: 4
; NumVgprs: 0
; NumAgprs: 0
; TotalNumVgprs: 0
; ScratchSize: 0
; MemoryBound: 0
; FloatMode: 240
; IeeeMode: 1
; LDSByteSize: 0 bytes/workgroup (compile time only)
; SGPRBlocks: 0
; VGPRBlocks: 0
; NumSGPRsForWavesPerEU: 4
; NumVGPRsForWavesPerEU: 1
; AccumOffset: 4
; Occupancy: 8
; WaveLimiterHint : 0
; COMPUTE_PGM_RSRC2:SCRATCH_EN: 0
; COMPUTE_PGM_RSRC2:USER_SGPR: 6
; COMPUTE_PGM_RSRC2:TRAP_HANDLER: 0
; COMPUTE_PGM_RSRC2:TGID_X_EN: 1
; COMPUTE_PGM_RSRC2:TGID_Y_EN: 0
; COMPUTE_PGM_RSRC2:TGID_Z_EN: 0
; COMPUTE_PGM_RSRC2:TIDIG_COMP_CNT: 0
; COMPUTE_PGM_RSRC3_GFX90A:ACCUM_OFFSET: 0
; COMPUTE_PGM_RSRC3_GFX90A:TG_SPLIT: 0
	.section	.text._ZN7rocprim17ROCPRIM_400000_NS6detail17trampoline_kernelINS0_14default_configENS1_37merge_sort_block_sort_config_selectorIlNS0_10empty_typeEEEZNS1_21merge_sort_block_sortIS3_PlS8_PS5_S9_ZN2at6native12_GLOBAL__N_124unique_dim_cuda_templateIdEESt5tupleIJNSA_6TensorESF_SF_EERKSF_lbbbEUlllE_EE10hipError_tT0_T1_T2_T3_mRjT4_P12ihipStream_tbNS1_7vsmem_tEEUlT_E_NS1_11comp_targetILNS1_3genE9ELNS1_11target_archE1100ELNS1_3gpuE3ELNS1_3repE0EEENS1_30default_config_static_selectorELNS0_4arch9wavefront6targetE1EEEvSM_,"axG",@progbits,_ZN7rocprim17ROCPRIM_400000_NS6detail17trampoline_kernelINS0_14default_configENS1_37merge_sort_block_sort_config_selectorIlNS0_10empty_typeEEEZNS1_21merge_sort_block_sortIS3_PlS8_PS5_S9_ZN2at6native12_GLOBAL__N_124unique_dim_cuda_templateIdEESt5tupleIJNSA_6TensorESF_SF_EERKSF_lbbbEUlllE_EE10hipError_tT0_T1_T2_T3_mRjT4_P12ihipStream_tbNS1_7vsmem_tEEUlT_E_NS1_11comp_targetILNS1_3genE9ELNS1_11target_archE1100ELNS1_3gpuE3ELNS1_3repE0EEENS1_30default_config_static_selectorELNS0_4arch9wavefront6targetE1EEEvSM_,comdat
	.globl	_ZN7rocprim17ROCPRIM_400000_NS6detail17trampoline_kernelINS0_14default_configENS1_37merge_sort_block_sort_config_selectorIlNS0_10empty_typeEEEZNS1_21merge_sort_block_sortIS3_PlS8_PS5_S9_ZN2at6native12_GLOBAL__N_124unique_dim_cuda_templateIdEESt5tupleIJNSA_6TensorESF_SF_EERKSF_lbbbEUlllE_EE10hipError_tT0_T1_T2_T3_mRjT4_P12ihipStream_tbNS1_7vsmem_tEEUlT_E_NS1_11comp_targetILNS1_3genE9ELNS1_11target_archE1100ELNS1_3gpuE3ELNS1_3repE0EEENS1_30default_config_static_selectorELNS0_4arch9wavefront6targetE1EEEvSM_ ; -- Begin function _ZN7rocprim17ROCPRIM_400000_NS6detail17trampoline_kernelINS0_14default_configENS1_37merge_sort_block_sort_config_selectorIlNS0_10empty_typeEEEZNS1_21merge_sort_block_sortIS3_PlS8_PS5_S9_ZN2at6native12_GLOBAL__N_124unique_dim_cuda_templateIdEESt5tupleIJNSA_6TensorESF_SF_EERKSF_lbbbEUlllE_EE10hipError_tT0_T1_T2_T3_mRjT4_P12ihipStream_tbNS1_7vsmem_tEEUlT_E_NS1_11comp_targetILNS1_3genE9ELNS1_11target_archE1100ELNS1_3gpuE3ELNS1_3repE0EEENS1_30default_config_static_selectorELNS0_4arch9wavefront6targetE1EEEvSM_
	.p2align	8
	.type	_ZN7rocprim17ROCPRIM_400000_NS6detail17trampoline_kernelINS0_14default_configENS1_37merge_sort_block_sort_config_selectorIlNS0_10empty_typeEEEZNS1_21merge_sort_block_sortIS3_PlS8_PS5_S9_ZN2at6native12_GLOBAL__N_124unique_dim_cuda_templateIdEESt5tupleIJNSA_6TensorESF_SF_EERKSF_lbbbEUlllE_EE10hipError_tT0_T1_T2_T3_mRjT4_P12ihipStream_tbNS1_7vsmem_tEEUlT_E_NS1_11comp_targetILNS1_3genE9ELNS1_11target_archE1100ELNS1_3gpuE3ELNS1_3repE0EEENS1_30default_config_static_selectorELNS0_4arch9wavefront6targetE1EEEvSM_,@function
_ZN7rocprim17ROCPRIM_400000_NS6detail17trampoline_kernelINS0_14default_configENS1_37merge_sort_block_sort_config_selectorIlNS0_10empty_typeEEEZNS1_21merge_sort_block_sortIS3_PlS8_PS5_S9_ZN2at6native12_GLOBAL__N_124unique_dim_cuda_templateIdEESt5tupleIJNSA_6TensorESF_SF_EERKSF_lbbbEUlllE_EE10hipError_tT0_T1_T2_T3_mRjT4_P12ihipStream_tbNS1_7vsmem_tEEUlT_E_NS1_11comp_targetILNS1_3genE9ELNS1_11target_archE1100ELNS1_3gpuE3ELNS1_3repE0EEENS1_30default_config_static_selectorELNS0_4arch9wavefront6targetE1EEEvSM_: ; @_ZN7rocprim17ROCPRIM_400000_NS6detail17trampoline_kernelINS0_14default_configENS1_37merge_sort_block_sort_config_selectorIlNS0_10empty_typeEEEZNS1_21merge_sort_block_sortIS3_PlS8_PS5_S9_ZN2at6native12_GLOBAL__N_124unique_dim_cuda_templateIdEESt5tupleIJNSA_6TensorESF_SF_EERKSF_lbbbEUlllE_EE10hipError_tT0_T1_T2_T3_mRjT4_P12ihipStream_tbNS1_7vsmem_tEEUlT_E_NS1_11comp_targetILNS1_3genE9ELNS1_11target_archE1100ELNS1_3gpuE3ELNS1_3repE0EEENS1_30default_config_static_selectorELNS0_4arch9wavefront6targetE1EEEvSM_
; %bb.0:
	.section	.rodata,"a",@progbits
	.p2align	6, 0x0
	.amdhsa_kernel _ZN7rocprim17ROCPRIM_400000_NS6detail17trampoline_kernelINS0_14default_configENS1_37merge_sort_block_sort_config_selectorIlNS0_10empty_typeEEEZNS1_21merge_sort_block_sortIS3_PlS8_PS5_S9_ZN2at6native12_GLOBAL__N_124unique_dim_cuda_templateIdEESt5tupleIJNSA_6TensorESF_SF_EERKSF_lbbbEUlllE_EE10hipError_tT0_T1_T2_T3_mRjT4_P12ihipStream_tbNS1_7vsmem_tEEUlT_E_NS1_11comp_targetILNS1_3genE9ELNS1_11target_archE1100ELNS1_3gpuE3ELNS1_3repE0EEENS1_30default_config_static_selectorELNS0_4arch9wavefront6targetE1EEEvSM_
		.amdhsa_group_segment_fixed_size 0
		.amdhsa_private_segment_fixed_size 0
		.amdhsa_kernarg_size 72
		.amdhsa_user_sgpr_count 6
		.amdhsa_user_sgpr_private_segment_buffer 1
		.amdhsa_user_sgpr_dispatch_ptr 0
		.amdhsa_user_sgpr_queue_ptr 0
		.amdhsa_user_sgpr_kernarg_segment_ptr 1
		.amdhsa_user_sgpr_dispatch_id 0
		.amdhsa_user_sgpr_flat_scratch_init 0
		.amdhsa_user_sgpr_kernarg_preload_length 0
		.amdhsa_user_sgpr_kernarg_preload_offset 0
		.amdhsa_user_sgpr_private_segment_size 0
		.amdhsa_uses_dynamic_stack 0
		.amdhsa_system_sgpr_private_segment_wavefront_offset 0
		.amdhsa_system_sgpr_workgroup_id_x 1
		.amdhsa_system_sgpr_workgroup_id_y 0
		.amdhsa_system_sgpr_workgroup_id_z 0
		.amdhsa_system_sgpr_workgroup_info 0
		.amdhsa_system_vgpr_workitem_id 0
		.amdhsa_next_free_vgpr 1
		.amdhsa_next_free_sgpr 0
		.amdhsa_accum_offset 4
		.amdhsa_reserve_vcc 0
		.amdhsa_reserve_flat_scratch 0
		.amdhsa_float_round_mode_32 0
		.amdhsa_float_round_mode_16_64 0
		.amdhsa_float_denorm_mode_32 3
		.amdhsa_float_denorm_mode_16_64 3
		.amdhsa_dx10_clamp 1
		.amdhsa_ieee_mode 1
		.amdhsa_fp16_overflow 0
		.amdhsa_tg_split 0
		.amdhsa_exception_fp_ieee_invalid_op 0
		.amdhsa_exception_fp_denorm_src 0
		.amdhsa_exception_fp_ieee_div_zero 0
		.amdhsa_exception_fp_ieee_overflow 0
		.amdhsa_exception_fp_ieee_underflow 0
		.amdhsa_exception_fp_ieee_inexact 0
		.amdhsa_exception_int_div_zero 0
	.end_amdhsa_kernel
	.section	.text._ZN7rocprim17ROCPRIM_400000_NS6detail17trampoline_kernelINS0_14default_configENS1_37merge_sort_block_sort_config_selectorIlNS0_10empty_typeEEEZNS1_21merge_sort_block_sortIS3_PlS8_PS5_S9_ZN2at6native12_GLOBAL__N_124unique_dim_cuda_templateIdEESt5tupleIJNSA_6TensorESF_SF_EERKSF_lbbbEUlllE_EE10hipError_tT0_T1_T2_T3_mRjT4_P12ihipStream_tbNS1_7vsmem_tEEUlT_E_NS1_11comp_targetILNS1_3genE9ELNS1_11target_archE1100ELNS1_3gpuE3ELNS1_3repE0EEENS1_30default_config_static_selectorELNS0_4arch9wavefront6targetE1EEEvSM_,"axG",@progbits,_ZN7rocprim17ROCPRIM_400000_NS6detail17trampoline_kernelINS0_14default_configENS1_37merge_sort_block_sort_config_selectorIlNS0_10empty_typeEEEZNS1_21merge_sort_block_sortIS3_PlS8_PS5_S9_ZN2at6native12_GLOBAL__N_124unique_dim_cuda_templateIdEESt5tupleIJNSA_6TensorESF_SF_EERKSF_lbbbEUlllE_EE10hipError_tT0_T1_T2_T3_mRjT4_P12ihipStream_tbNS1_7vsmem_tEEUlT_E_NS1_11comp_targetILNS1_3genE9ELNS1_11target_archE1100ELNS1_3gpuE3ELNS1_3repE0EEENS1_30default_config_static_selectorELNS0_4arch9wavefront6targetE1EEEvSM_,comdat
.Lfunc_end756:
	.size	_ZN7rocprim17ROCPRIM_400000_NS6detail17trampoline_kernelINS0_14default_configENS1_37merge_sort_block_sort_config_selectorIlNS0_10empty_typeEEEZNS1_21merge_sort_block_sortIS3_PlS8_PS5_S9_ZN2at6native12_GLOBAL__N_124unique_dim_cuda_templateIdEESt5tupleIJNSA_6TensorESF_SF_EERKSF_lbbbEUlllE_EE10hipError_tT0_T1_T2_T3_mRjT4_P12ihipStream_tbNS1_7vsmem_tEEUlT_E_NS1_11comp_targetILNS1_3genE9ELNS1_11target_archE1100ELNS1_3gpuE3ELNS1_3repE0EEENS1_30default_config_static_selectorELNS0_4arch9wavefront6targetE1EEEvSM_, .Lfunc_end756-_ZN7rocprim17ROCPRIM_400000_NS6detail17trampoline_kernelINS0_14default_configENS1_37merge_sort_block_sort_config_selectorIlNS0_10empty_typeEEEZNS1_21merge_sort_block_sortIS3_PlS8_PS5_S9_ZN2at6native12_GLOBAL__N_124unique_dim_cuda_templateIdEESt5tupleIJNSA_6TensorESF_SF_EERKSF_lbbbEUlllE_EE10hipError_tT0_T1_T2_T3_mRjT4_P12ihipStream_tbNS1_7vsmem_tEEUlT_E_NS1_11comp_targetILNS1_3genE9ELNS1_11target_archE1100ELNS1_3gpuE3ELNS1_3repE0EEENS1_30default_config_static_selectorELNS0_4arch9wavefront6targetE1EEEvSM_
                                        ; -- End function
	.section	.AMDGPU.csdata,"",@progbits
; Kernel info:
; codeLenInByte = 0
; NumSgprs: 4
; NumVgprs: 0
; NumAgprs: 0
; TotalNumVgprs: 0
; ScratchSize: 0
; MemoryBound: 0
; FloatMode: 240
; IeeeMode: 1
; LDSByteSize: 0 bytes/workgroup (compile time only)
; SGPRBlocks: 0
; VGPRBlocks: 0
; NumSGPRsForWavesPerEU: 4
; NumVGPRsForWavesPerEU: 1
; AccumOffset: 4
; Occupancy: 8
; WaveLimiterHint : 0
; COMPUTE_PGM_RSRC2:SCRATCH_EN: 0
; COMPUTE_PGM_RSRC2:USER_SGPR: 6
; COMPUTE_PGM_RSRC2:TRAP_HANDLER: 0
; COMPUTE_PGM_RSRC2:TGID_X_EN: 1
; COMPUTE_PGM_RSRC2:TGID_Y_EN: 0
; COMPUTE_PGM_RSRC2:TGID_Z_EN: 0
; COMPUTE_PGM_RSRC2:TIDIG_COMP_CNT: 0
; COMPUTE_PGM_RSRC3_GFX90A:ACCUM_OFFSET: 0
; COMPUTE_PGM_RSRC3_GFX90A:TG_SPLIT: 0
	.section	.text._ZN7rocprim17ROCPRIM_400000_NS6detail17trampoline_kernelINS0_14default_configENS1_37merge_sort_block_sort_config_selectorIlNS0_10empty_typeEEEZNS1_21merge_sort_block_sortIS3_PlS8_PS5_S9_ZN2at6native12_GLOBAL__N_124unique_dim_cuda_templateIdEESt5tupleIJNSA_6TensorESF_SF_EERKSF_lbbbEUlllE_EE10hipError_tT0_T1_T2_T3_mRjT4_P12ihipStream_tbNS1_7vsmem_tEEUlT_E_NS1_11comp_targetILNS1_3genE8ELNS1_11target_archE1030ELNS1_3gpuE2ELNS1_3repE0EEENS1_30default_config_static_selectorELNS0_4arch9wavefront6targetE1EEEvSM_,"axG",@progbits,_ZN7rocprim17ROCPRIM_400000_NS6detail17trampoline_kernelINS0_14default_configENS1_37merge_sort_block_sort_config_selectorIlNS0_10empty_typeEEEZNS1_21merge_sort_block_sortIS3_PlS8_PS5_S9_ZN2at6native12_GLOBAL__N_124unique_dim_cuda_templateIdEESt5tupleIJNSA_6TensorESF_SF_EERKSF_lbbbEUlllE_EE10hipError_tT0_T1_T2_T3_mRjT4_P12ihipStream_tbNS1_7vsmem_tEEUlT_E_NS1_11comp_targetILNS1_3genE8ELNS1_11target_archE1030ELNS1_3gpuE2ELNS1_3repE0EEENS1_30default_config_static_selectorELNS0_4arch9wavefront6targetE1EEEvSM_,comdat
	.globl	_ZN7rocprim17ROCPRIM_400000_NS6detail17trampoline_kernelINS0_14default_configENS1_37merge_sort_block_sort_config_selectorIlNS0_10empty_typeEEEZNS1_21merge_sort_block_sortIS3_PlS8_PS5_S9_ZN2at6native12_GLOBAL__N_124unique_dim_cuda_templateIdEESt5tupleIJNSA_6TensorESF_SF_EERKSF_lbbbEUlllE_EE10hipError_tT0_T1_T2_T3_mRjT4_P12ihipStream_tbNS1_7vsmem_tEEUlT_E_NS1_11comp_targetILNS1_3genE8ELNS1_11target_archE1030ELNS1_3gpuE2ELNS1_3repE0EEENS1_30default_config_static_selectorELNS0_4arch9wavefront6targetE1EEEvSM_ ; -- Begin function _ZN7rocprim17ROCPRIM_400000_NS6detail17trampoline_kernelINS0_14default_configENS1_37merge_sort_block_sort_config_selectorIlNS0_10empty_typeEEEZNS1_21merge_sort_block_sortIS3_PlS8_PS5_S9_ZN2at6native12_GLOBAL__N_124unique_dim_cuda_templateIdEESt5tupleIJNSA_6TensorESF_SF_EERKSF_lbbbEUlllE_EE10hipError_tT0_T1_T2_T3_mRjT4_P12ihipStream_tbNS1_7vsmem_tEEUlT_E_NS1_11comp_targetILNS1_3genE8ELNS1_11target_archE1030ELNS1_3gpuE2ELNS1_3repE0EEENS1_30default_config_static_selectorELNS0_4arch9wavefront6targetE1EEEvSM_
	.p2align	8
	.type	_ZN7rocprim17ROCPRIM_400000_NS6detail17trampoline_kernelINS0_14default_configENS1_37merge_sort_block_sort_config_selectorIlNS0_10empty_typeEEEZNS1_21merge_sort_block_sortIS3_PlS8_PS5_S9_ZN2at6native12_GLOBAL__N_124unique_dim_cuda_templateIdEESt5tupleIJNSA_6TensorESF_SF_EERKSF_lbbbEUlllE_EE10hipError_tT0_T1_T2_T3_mRjT4_P12ihipStream_tbNS1_7vsmem_tEEUlT_E_NS1_11comp_targetILNS1_3genE8ELNS1_11target_archE1030ELNS1_3gpuE2ELNS1_3repE0EEENS1_30default_config_static_selectorELNS0_4arch9wavefront6targetE1EEEvSM_,@function
_ZN7rocprim17ROCPRIM_400000_NS6detail17trampoline_kernelINS0_14default_configENS1_37merge_sort_block_sort_config_selectorIlNS0_10empty_typeEEEZNS1_21merge_sort_block_sortIS3_PlS8_PS5_S9_ZN2at6native12_GLOBAL__N_124unique_dim_cuda_templateIdEESt5tupleIJNSA_6TensorESF_SF_EERKSF_lbbbEUlllE_EE10hipError_tT0_T1_T2_T3_mRjT4_P12ihipStream_tbNS1_7vsmem_tEEUlT_E_NS1_11comp_targetILNS1_3genE8ELNS1_11target_archE1030ELNS1_3gpuE2ELNS1_3repE0EEENS1_30default_config_static_selectorELNS0_4arch9wavefront6targetE1EEEvSM_: ; @_ZN7rocprim17ROCPRIM_400000_NS6detail17trampoline_kernelINS0_14default_configENS1_37merge_sort_block_sort_config_selectorIlNS0_10empty_typeEEEZNS1_21merge_sort_block_sortIS3_PlS8_PS5_S9_ZN2at6native12_GLOBAL__N_124unique_dim_cuda_templateIdEESt5tupleIJNSA_6TensorESF_SF_EERKSF_lbbbEUlllE_EE10hipError_tT0_T1_T2_T3_mRjT4_P12ihipStream_tbNS1_7vsmem_tEEUlT_E_NS1_11comp_targetILNS1_3genE8ELNS1_11target_archE1030ELNS1_3gpuE2ELNS1_3repE0EEENS1_30default_config_static_selectorELNS0_4arch9wavefront6targetE1EEEvSM_
; %bb.0:
	.section	.rodata,"a",@progbits
	.p2align	6, 0x0
	.amdhsa_kernel _ZN7rocprim17ROCPRIM_400000_NS6detail17trampoline_kernelINS0_14default_configENS1_37merge_sort_block_sort_config_selectorIlNS0_10empty_typeEEEZNS1_21merge_sort_block_sortIS3_PlS8_PS5_S9_ZN2at6native12_GLOBAL__N_124unique_dim_cuda_templateIdEESt5tupleIJNSA_6TensorESF_SF_EERKSF_lbbbEUlllE_EE10hipError_tT0_T1_T2_T3_mRjT4_P12ihipStream_tbNS1_7vsmem_tEEUlT_E_NS1_11comp_targetILNS1_3genE8ELNS1_11target_archE1030ELNS1_3gpuE2ELNS1_3repE0EEENS1_30default_config_static_selectorELNS0_4arch9wavefront6targetE1EEEvSM_
		.amdhsa_group_segment_fixed_size 0
		.amdhsa_private_segment_fixed_size 0
		.amdhsa_kernarg_size 72
		.amdhsa_user_sgpr_count 6
		.amdhsa_user_sgpr_private_segment_buffer 1
		.amdhsa_user_sgpr_dispatch_ptr 0
		.amdhsa_user_sgpr_queue_ptr 0
		.amdhsa_user_sgpr_kernarg_segment_ptr 1
		.amdhsa_user_sgpr_dispatch_id 0
		.amdhsa_user_sgpr_flat_scratch_init 0
		.amdhsa_user_sgpr_kernarg_preload_length 0
		.amdhsa_user_sgpr_kernarg_preload_offset 0
		.amdhsa_user_sgpr_private_segment_size 0
		.amdhsa_uses_dynamic_stack 0
		.amdhsa_system_sgpr_private_segment_wavefront_offset 0
		.amdhsa_system_sgpr_workgroup_id_x 1
		.amdhsa_system_sgpr_workgroup_id_y 0
		.amdhsa_system_sgpr_workgroup_id_z 0
		.amdhsa_system_sgpr_workgroup_info 0
		.amdhsa_system_vgpr_workitem_id 0
		.amdhsa_next_free_vgpr 1
		.amdhsa_next_free_sgpr 0
		.amdhsa_accum_offset 4
		.amdhsa_reserve_vcc 0
		.amdhsa_reserve_flat_scratch 0
		.amdhsa_float_round_mode_32 0
		.amdhsa_float_round_mode_16_64 0
		.amdhsa_float_denorm_mode_32 3
		.amdhsa_float_denorm_mode_16_64 3
		.amdhsa_dx10_clamp 1
		.amdhsa_ieee_mode 1
		.amdhsa_fp16_overflow 0
		.amdhsa_tg_split 0
		.amdhsa_exception_fp_ieee_invalid_op 0
		.amdhsa_exception_fp_denorm_src 0
		.amdhsa_exception_fp_ieee_div_zero 0
		.amdhsa_exception_fp_ieee_overflow 0
		.amdhsa_exception_fp_ieee_underflow 0
		.amdhsa_exception_fp_ieee_inexact 0
		.amdhsa_exception_int_div_zero 0
	.end_amdhsa_kernel
	.section	.text._ZN7rocprim17ROCPRIM_400000_NS6detail17trampoline_kernelINS0_14default_configENS1_37merge_sort_block_sort_config_selectorIlNS0_10empty_typeEEEZNS1_21merge_sort_block_sortIS3_PlS8_PS5_S9_ZN2at6native12_GLOBAL__N_124unique_dim_cuda_templateIdEESt5tupleIJNSA_6TensorESF_SF_EERKSF_lbbbEUlllE_EE10hipError_tT0_T1_T2_T3_mRjT4_P12ihipStream_tbNS1_7vsmem_tEEUlT_E_NS1_11comp_targetILNS1_3genE8ELNS1_11target_archE1030ELNS1_3gpuE2ELNS1_3repE0EEENS1_30default_config_static_selectorELNS0_4arch9wavefront6targetE1EEEvSM_,"axG",@progbits,_ZN7rocprim17ROCPRIM_400000_NS6detail17trampoline_kernelINS0_14default_configENS1_37merge_sort_block_sort_config_selectorIlNS0_10empty_typeEEEZNS1_21merge_sort_block_sortIS3_PlS8_PS5_S9_ZN2at6native12_GLOBAL__N_124unique_dim_cuda_templateIdEESt5tupleIJNSA_6TensorESF_SF_EERKSF_lbbbEUlllE_EE10hipError_tT0_T1_T2_T3_mRjT4_P12ihipStream_tbNS1_7vsmem_tEEUlT_E_NS1_11comp_targetILNS1_3genE8ELNS1_11target_archE1030ELNS1_3gpuE2ELNS1_3repE0EEENS1_30default_config_static_selectorELNS0_4arch9wavefront6targetE1EEEvSM_,comdat
.Lfunc_end757:
	.size	_ZN7rocprim17ROCPRIM_400000_NS6detail17trampoline_kernelINS0_14default_configENS1_37merge_sort_block_sort_config_selectorIlNS0_10empty_typeEEEZNS1_21merge_sort_block_sortIS3_PlS8_PS5_S9_ZN2at6native12_GLOBAL__N_124unique_dim_cuda_templateIdEESt5tupleIJNSA_6TensorESF_SF_EERKSF_lbbbEUlllE_EE10hipError_tT0_T1_T2_T3_mRjT4_P12ihipStream_tbNS1_7vsmem_tEEUlT_E_NS1_11comp_targetILNS1_3genE8ELNS1_11target_archE1030ELNS1_3gpuE2ELNS1_3repE0EEENS1_30default_config_static_selectorELNS0_4arch9wavefront6targetE1EEEvSM_, .Lfunc_end757-_ZN7rocprim17ROCPRIM_400000_NS6detail17trampoline_kernelINS0_14default_configENS1_37merge_sort_block_sort_config_selectorIlNS0_10empty_typeEEEZNS1_21merge_sort_block_sortIS3_PlS8_PS5_S9_ZN2at6native12_GLOBAL__N_124unique_dim_cuda_templateIdEESt5tupleIJNSA_6TensorESF_SF_EERKSF_lbbbEUlllE_EE10hipError_tT0_T1_T2_T3_mRjT4_P12ihipStream_tbNS1_7vsmem_tEEUlT_E_NS1_11comp_targetILNS1_3genE8ELNS1_11target_archE1030ELNS1_3gpuE2ELNS1_3repE0EEENS1_30default_config_static_selectorELNS0_4arch9wavefront6targetE1EEEvSM_
                                        ; -- End function
	.section	.AMDGPU.csdata,"",@progbits
; Kernel info:
; codeLenInByte = 0
; NumSgprs: 4
; NumVgprs: 0
; NumAgprs: 0
; TotalNumVgprs: 0
; ScratchSize: 0
; MemoryBound: 0
; FloatMode: 240
; IeeeMode: 1
; LDSByteSize: 0 bytes/workgroup (compile time only)
; SGPRBlocks: 0
; VGPRBlocks: 0
; NumSGPRsForWavesPerEU: 4
; NumVGPRsForWavesPerEU: 1
; AccumOffset: 4
; Occupancy: 8
; WaveLimiterHint : 0
; COMPUTE_PGM_RSRC2:SCRATCH_EN: 0
; COMPUTE_PGM_RSRC2:USER_SGPR: 6
; COMPUTE_PGM_RSRC2:TRAP_HANDLER: 0
; COMPUTE_PGM_RSRC2:TGID_X_EN: 1
; COMPUTE_PGM_RSRC2:TGID_Y_EN: 0
; COMPUTE_PGM_RSRC2:TGID_Z_EN: 0
; COMPUTE_PGM_RSRC2:TIDIG_COMP_CNT: 0
; COMPUTE_PGM_RSRC3_GFX90A:ACCUM_OFFSET: 0
; COMPUTE_PGM_RSRC3_GFX90A:TG_SPLIT: 0
	.section	.text._ZN7rocprim17ROCPRIM_400000_NS6detail17trampoline_kernelINS0_14default_configENS1_38merge_sort_block_merge_config_selectorIlNS0_10empty_typeEEEZZNS1_27merge_sort_block_merge_implIS3_PlPS5_mZN2at6native12_GLOBAL__N_124unique_dim_cuda_templateIdEESt5tupleIJNSA_6TensorESF_SF_EERKSF_lbbbEUlllE_EE10hipError_tT0_T1_T2_jT3_P12ihipStream_tbPNSt15iterator_traitsISL_E10value_typeEPNSR_ISM_E10value_typeEPSN_NS1_7vsmem_tEENKUlT_SL_SM_SN_E_clIS8_S8_S9_S9_EESK_S10_SL_SM_SN_EUlS10_E_NS1_11comp_targetILNS1_3genE0ELNS1_11target_archE4294967295ELNS1_3gpuE0ELNS1_3repE0EEENS1_48merge_mergepath_partition_config_static_selectorELNS0_4arch9wavefront6targetE1EEEvSM_,"axG",@progbits,_ZN7rocprim17ROCPRIM_400000_NS6detail17trampoline_kernelINS0_14default_configENS1_38merge_sort_block_merge_config_selectorIlNS0_10empty_typeEEEZZNS1_27merge_sort_block_merge_implIS3_PlPS5_mZN2at6native12_GLOBAL__N_124unique_dim_cuda_templateIdEESt5tupleIJNSA_6TensorESF_SF_EERKSF_lbbbEUlllE_EE10hipError_tT0_T1_T2_jT3_P12ihipStream_tbPNSt15iterator_traitsISL_E10value_typeEPNSR_ISM_E10value_typeEPSN_NS1_7vsmem_tEENKUlT_SL_SM_SN_E_clIS8_S8_S9_S9_EESK_S10_SL_SM_SN_EUlS10_E_NS1_11comp_targetILNS1_3genE0ELNS1_11target_archE4294967295ELNS1_3gpuE0ELNS1_3repE0EEENS1_48merge_mergepath_partition_config_static_selectorELNS0_4arch9wavefront6targetE1EEEvSM_,comdat
	.globl	_ZN7rocprim17ROCPRIM_400000_NS6detail17trampoline_kernelINS0_14default_configENS1_38merge_sort_block_merge_config_selectorIlNS0_10empty_typeEEEZZNS1_27merge_sort_block_merge_implIS3_PlPS5_mZN2at6native12_GLOBAL__N_124unique_dim_cuda_templateIdEESt5tupleIJNSA_6TensorESF_SF_EERKSF_lbbbEUlllE_EE10hipError_tT0_T1_T2_jT3_P12ihipStream_tbPNSt15iterator_traitsISL_E10value_typeEPNSR_ISM_E10value_typeEPSN_NS1_7vsmem_tEENKUlT_SL_SM_SN_E_clIS8_S8_S9_S9_EESK_S10_SL_SM_SN_EUlS10_E_NS1_11comp_targetILNS1_3genE0ELNS1_11target_archE4294967295ELNS1_3gpuE0ELNS1_3repE0EEENS1_48merge_mergepath_partition_config_static_selectorELNS0_4arch9wavefront6targetE1EEEvSM_ ; -- Begin function _ZN7rocprim17ROCPRIM_400000_NS6detail17trampoline_kernelINS0_14default_configENS1_38merge_sort_block_merge_config_selectorIlNS0_10empty_typeEEEZZNS1_27merge_sort_block_merge_implIS3_PlPS5_mZN2at6native12_GLOBAL__N_124unique_dim_cuda_templateIdEESt5tupleIJNSA_6TensorESF_SF_EERKSF_lbbbEUlllE_EE10hipError_tT0_T1_T2_jT3_P12ihipStream_tbPNSt15iterator_traitsISL_E10value_typeEPNSR_ISM_E10value_typeEPSN_NS1_7vsmem_tEENKUlT_SL_SM_SN_E_clIS8_S8_S9_S9_EESK_S10_SL_SM_SN_EUlS10_E_NS1_11comp_targetILNS1_3genE0ELNS1_11target_archE4294967295ELNS1_3gpuE0ELNS1_3repE0EEENS1_48merge_mergepath_partition_config_static_selectorELNS0_4arch9wavefront6targetE1EEEvSM_
	.p2align	8
	.type	_ZN7rocprim17ROCPRIM_400000_NS6detail17trampoline_kernelINS0_14default_configENS1_38merge_sort_block_merge_config_selectorIlNS0_10empty_typeEEEZZNS1_27merge_sort_block_merge_implIS3_PlPS5_mZN2at6native12_GLOBAL__N_124unique_dim_cuda_templateIdEESt5tupleIJNSA_6TensorESF_SF_EERKSF_lbbbEUlllE_EE10hipError_tT0_T1_T2_jT3_P12ihipStream_tbPNSt15iterator_traitsISL_E10value_typeEPNSR_ISM_E10value_typeEPSN_NS1_7vsmem_tEENKUlT_SL_SM_SN_E_clIS8_S8_S9_S9_EESK_S10_SL_SM_SN_EUlS10_E_NS1_11comp_targetILNS1_3genE0ELNS1_11target_archE4294967295ELNS1_3gpuE0ELNS1_3repE0EEENS1_48merge_mergepath_partition_config_static_selectorELNS0_4arch9wavefront6targetE1EEEvSM_,@function
_ZN7rocprim17ROCPRIM_400000_NS6detail17trampoline_kernelINS0_14default_configENS1_38merge_sort_block_merge_config_selectorIlNS0_10empty_typeEEEZZNS1_27merge_sort_block_merge_implIS3_PlPS5_mZN2at6native12_GLOBAL__N_124unique_dim_cuda_templateIdEESt5tupleIJNSA_6TensorESF_SF_EERKSF_lbbbEUlllE_EE10hipError_tT0_T1_T2_jT3_P12ihipStream_tbPNSt15iterator_traitsISL_E10value_typeEPNSR_ISM_E10value_typeEPSN_NS1_7vsmem_tEENKUlT_SL_SM_SN_E_clIS8_S8_S9_S9_EESK_S10_SL_SM_SN_EUlS10_E_NS1_11comp_targetILNS1_3genE0ELNS1_11target_archE4294967295ELNS1_3gpuE0ELNS1_3repE0EEENS1_48merge_mergepath_partition_config_static_selectorELNS0_4arch9wavefront6targetE1EEEvSM_: ; @_ZN7rocprim17ROCPRIM_400000_NS6detail17trampoline_kernelINS0_14default_configENS1_38merge_sort_block_merge_config_selectorIlNS0_10empty_typeEEEZZNS1_27merge_sort_block_merge_implIS3_PlPS5_mZN2at6native12_GLOBAL__N_124unique_dim_cuda_templateIdEESt5tupleIJNSA_6TensorESF_SF_EERKSF_lbbbEUlllE_EE10hipError_tT0_T1_T2_jT3_P12ihipStream_tbPNSt15iterator_traitsISL_E10value_typeEPNSR_ISM_E10value_typeEPSN_NS1_7vsmem_tEENKUlT_SL_SM_SN_E_clIS8_S8_S9_S9_EESK_S10_SL_SM_SN_EUlS10_E_NS1_11comp_targetILNS1_3genE0ELNS1_11target_archE4294967295ELNS1_3gpuE0ELNS1_3repE0EEENS1_48merge_mergepath_partition_config_static_selectorELNS0_4arch9wavefront6targetE1EEEvSM_
; %bb.0:
	.section	.rodata,"a",@progbits
	.p2align	6, 0x0
	.amdhsa_kernel _ZN7rocprim17ROCPRIM_400000_NS6detail17trampoline_kernelINS0_14default_configENS1_38merge_sort_block_merge_config_selectorIlNS0_10empty_typeEEEZZNS1_27merge_sort_block_merge_implIS3_PlPS5_mZN2at6native12_GLOBAL__N_124unique_dim_cuda_templateIdEESt5tupleIJNSA_6TensorESF_SF_EERKSF_lbbbEUlllE_EE10hipError_tT0_T1_T2_jT3_P12ihipStream_tbPNSt15iterator_traitsISL_E10value_typeEPNSR_ISM_E10value_typeEPSN_NS1_7vsmem_tEENKUlT_SL_SM_SN_E_clIS8_S8_S9_S9_EESK_S10_SL_SM_SN_EUlS10_E_NS1_11comp_targetILNS1_3genE0ELNS1_11target_archE4294967295ELNS1_3gpuE0ELNS1_3repE0EEENS1_48merge_mergepath_partition_config_static_selectorELNS0_4arch9wavefront6targetE1EEEvSM_
		.amdhsa_group_segment_fixed_size 0
		.amdhsa_private_segment_fixed_size 0
		.amdhsa_kernarg_size 56
		.amdhsa_user_sgpr_count 6
		.amdhsa_user_sgpr_private_segment_buffer 1
		.amdhsa_user_sgpr_dispatch_ptr 0
		.amdhsa_user_sgpr_queue_ptr 0
		.amdhsa_user_sgpr_kernarg_segment_ptr 1
		.amdhsa_user_sgpr_dispatch_id 0
		.amdhsa_user_sgpr_flat_scratch_init 0
		.amdhsa_user_sgpr_kernarg_preload_length 0
		.amdhsa_user_sgpr_kernarg_preload_offset 0
		.amdhsa_user_sgpr_private_segment_size 0
		.amdhsa_uses_dynamic_stack 0
		.amdhsa_system_sgpr_private_segment_wavefront_offset 0
		.amdhsa_system_sgpr_workgroup_id_x 1
		.amdhsa_system_sgpr_workgroup_id_y 0
		.amdhsa_system_sgpr_workgroup_id_z 0
		.amdhsa_system_sgpr_workgroup_info 0
		.amdhsa_system_vgpr_workitem_id 0
		.amdhsa_next_free_vgpr 1
		.amdhsa_next_free_sgpr 0
		.amdhsa_accum_offset 4
		.amdhsa_reserve_vcc 0
		.amdhsa_reserve_flat_scratch 0
		.amdhsa_float_round_mode_32 0
		.amdhsa_float_round_mode_16_64 0
		.amdhsa_float_denorm_mode_32 3
		.amdhsa_float_denorm_mode_16_64 3
		.amdhsa_dx10_clamp 1
		.amdhsa_ieee_mode 1
		.amdhsa_fp16_overflow 0
		.amdhsa_tg_split 0
		.amdhsa_exception_fp_ieee_invalid_op 0
		.amdhsa_exception_fp_denorm_src 0
		.amdhsa_exception_fp_ieee_div_zero 0
		.amdhsa_exception_fp_ieee_overflow 0
		.amdhsa_exception_fp_ieee_underflow 0
		.amdhsa_exception_fp_ieee_inexact 0
		.amdhsa_exception_int_div_zero 0
	.end_amdhsa_kernel
	.section	.text._ZN7rocprim17ROCPRIM_400000_NS6detail17trampoline_kernelINS0_14default_configENS1_38merge_sort_block_merge_config_selectorIlNS0_10empty_typeEEEZZNS1_27merge_sort_block_merge_implIS3_PlPS5_mZN2at6native12_GLOBAL__N_124unique_dim_cuda_templateIdEESt5tupleIJNSA_6TensorESF_SF_EERKSF_lbbbEUlllE_EE10hipError_tT0_T1_T2_jT3_P12ihipStream_tbPNSt15iterator_traitsISL_E10value_typeEPNSR_ISM_E10value_typeEPSN_NS1_7vsmem_tEENKUlT_SL_SM_SN_E_clIS8_S8_S9_S9_EESK_S10_SL_SM_SN_EUlS10_E_NS1_11comp_targetILNS1_3genE0ELNS1_11target_archE4294967295ELNS1_3gpuE0ELNS1_3repE0EEENS1_48merge_mergepath_partition_config_static_selectorELNS0_4arch9wavefront6targetE1EEEvSM_,"axG",@progbits,_ZN7rocprim17ROCPRIM_400000_NS6detail17trampoline_kernelINS0_14default_configENS1_38merge_sort_block_merge_config_selectorIlNS0_10empty_typeEEEZZNS1_27merge_sort_block_merge_implIS3_PlPS5_mZN2at6native12_GLOBAL__N_124unique_dim_cuda_templateIdEESt5tupleIJNSA_6TensorESF_SF_EERKSF_lbbbEUlllE_EE10hipError_tT0_T1_T2_jT3_P12ihipStream_tbPNSt15iterator_traitsISL_E10value_typeEPNSR_ISM_E10value_typeEPSN_NS1_7vsmem_tEENKUlT_SL_SM_SN_E_clIS8_S8_S9_S9_EESK_S10_SL_SM_SN_EUlS10_E_NS1_11comp_targetILNS1_3genE0ELNS1_11target_archE4294967295ELNS1_3gpuE0ELNS1_3repE0EEENS1_48merge_mergepath_partition_config_static_selectorELNS0_4arch9wavefront6targetE1EEEvSM_,comdat
.Lfunc_end758:
	.size	_ZN7rocprim17ROCPRIM_400000_NS6detail17trampoline_kernelINS0_14default_configENS1_38merge_sort_block_merge_config_selectorIlNS0_10empty_typeEEEZZNS1_27merge_sort_block_merge_implIS3_PlPS5_mZN2at6native12_GLOBAL__N_124unique_dim_cuda_templateIdEESt5tupleIJNSA_6TensorESF_SF_EERKSF_lbbbEUlllE_EE10hipError_tT0_T1_T2_jT3_P12ihipStream_tbPNSt15iterator_traitsISL_E10value_typeEPNSR_ISM_E10value_typeEPSN_NS1_7vsmem_tEENKUlT_SL_SM_SN_E_clIS8_S8_S9_S9_EESK_S10_SL_SM_SN_EUlS10_E_NS1_11comp_targetILNS1_3genE0ELNS1_11target_archE4294967295ELNS1_3gpuE0ELNS1_3repE0EEENS1_48merge_mergepath_partition_config_static_selectorELNS0_4arch9wavefront6targetE1EEEvSM_, .Lfunc_end758-_ZN7rocprim17ROCPRIM_400000_NS6detail17trampoline_kernelINS0_14default_configENS1_38merge_sort_block_merge_config_selectorIlNS0_10empty_typeEEEZZNS1_27merge_sort_block_merge_implIS3_PlPS5_mZN2at6native12_GLOBAL__N_124unique_dim_cuda_templateIdEESt5tupleIJNSA_6TensorESF_SF_EERKSF_lbbbEUlllE_EE10hipError_tT0_T1_T2_jT3_P12ihipStream_tbPNSt15iterator_traitsISL_E10value_typeEPNSR_ISM_E10value_typeEPSN_NS1_7vsmem_tEENKUlT_SL_SM_SN_E_clIS8_S8_S9_S9_EESK_S10_SL_SM_SN_EUlS10_E_NS1_11comp_targetILNS1_3genE0ELNS1_11target_archE4294967295ELNS1_3gpuE0ELNS1_3repE0EEENS1_48merge_mergepath_partition_config_static_selectorELNS0_4arch9wavefront6targetE1EEEvSM_
                                        ; -- End function
	.section	.AMDGPU.csdata,"",@progbits
; Kernel info:
; codeLenInByte = 0
; NumSgprs: 4
; NumVgprs: 0
; NumAgprs: 0
; TotalNumVgprs: 0
; ScratchSize: 0
; MemoryBound: 0
; FloatMode: 240
; IeeeMode: 1
; LDSByteSize: 0 bytes/workgroup (compile time only)
; SGPRBlocks: 0
; VGPRBlocks: 0
; NumSGPRsForWavesPerEU: 4
; NumVGPRsForWavesPerEU: 1
; AccumOffset: 4
; Occupancy: 8
; WaveLimiterHint : 0
; COMPUTE_PGM_RSRC2:SCRATCH_EN: 0
; COMPUTE_PGM_RSRC2:USER_SGPR: 6
; COMPUTE_PGM_RSRC2:TRAP_HANDLER: 0
; COMPUTE_PGM_RSRC2:TGID_X_EN: 1
; COMPUTE_PGM_RSRC2:TGID_Y_EN: 0
; COMPUTE_PGM_RSRC2:TGID_Z_EN: 0
; COMPUTE_PGM_RSRC2:TIDIG_COMP_CNT: 0
; COMPUTE_PGM_RSRC3_GFX90A:ACCUM_OFFSET: 0
; COMPUTE_PGM_RSRC3_GFX90A:TG_SPLIT: 0
	.section	.text._ZN7rocprim17ROCPRIM_400000_NS6detail17trampoline_kernelINS0_14default_configENS1_38merge_sort_block_merge_config_selectorIlNS0_10empty_typeEEEZZNS1_27merge_sort_block_merge_implIS3_PlPS5_mZN2at6native12_GLOBAL__N_124unique_dim_cuda_templateIdEESt5tupleIJNSA_6TensorESF_SF_EERKSF_lbbbEUlllE_EE10hipError_tT0_T1_T2_jT3_P12ihipStream_tbPNSt15iterator_traitsISL_E10value_typeEPNSR_ISM_E10value_typeEPSN_NS1_7vsmem_tEENKUlT_SL_SM_SN_E_clIS8_S8_S9_S9_EESK_S10_SL_SM_SN_EUlS10_E_NS1_11comp_targetILNS1_3genE10ELNS1_11target_archE1201ELNS1_3gpuE5ELNS1_3repE0EEENS1_48merge_mergepath_partition_config_static_selectorELNS0_4arch9wavefront6targetE1EEEvSM_,"axG",@progbits,_ZN7rocprim17ROCPRIM_400000_NS6detail17trampoline_kernelINS0_14default_configENS1_38merge_sort_block_merge_config_selectorIlNS0_10empty_typeEEEZZNS1_27merge_sort_block_merge_implIS3_PlPS5_mZN2at6native12_GLOBAL__N_124unique_dim_cuda_templateIdEESt5tupleIJNSA_6TensorESF_SF_EERKSF_lbbbEUlllE_EE10hipError_tT0_T1_T2_jT3_P12ihipStream_tbPNSt15iterator_traitsISL_E10value_typeEPNSR_ISM_E10value_typeEPSN_NS1_7vsmem_tEENKUlT_SL_SM_SN_E_clIS8_S8_S9_S9_EESK_S10_SL_SM_SN_EUlS10_E_NS1_11comp_targetILNS1_3genE10ELNS1_11target_archE1201ELNS1_3gpuE5ELNS1_3repE0EEENS1_48merge_mergepath_partition_config_static_selectorELNS0_4arch9wavefront6targetE1EEEvSM_,comdat
	.globl	_ZN7rocprim17ROCPRIM_400000_NS6detail17trampoline_kernelINS0_14default_configENS1_38merge_sort_block_merge_config_selectorIlNS0_10empty_typeEEEZZNS1_27merge_sort_block_merge_implIS3_PlPS5_mZN2at6native12_GLOBAL__N_124unique_dim_cuda_templateIdEESt5tupleIJNSA_6TensorESF_SF_EERKSF_lbbbEUlllE_EE10hipError_tT0_T1_T2_jT3_P12ihipStream_tbPNSt15iterator_traitsISL_E10value_typeEPNSR_ISM_E10value_typeEPSN_NS1_7vsmem_tEENKUlT_SL_SM_SN_E_clIS8_S8_S9_S9_EESK_S10_SL_SM_SN_EUlS10_E_NS1_11comp_targetILNS1_3genE10ELNS1_11target_archE1201ELNS1_3gpuE5ELNS1_3repE0EEENS1_48merge_mergepath_partition_config_static_selectorELNS0_4arch9wavefront6targetE1EEEvSM_ ; -- Begin function _ZN7rocprim17ROCPRIM_400000_NS6detail17trampoline_kernelINS0_14default_configENS1_38merge_sort_block_merge_config_selectorIlNS0_10empty_typeEEEZZNS1_27merge_sort_block_merge_implIS3_PlPS5_mZN2at6native12_GLOBAL__N_124unique_dim_cuda_templateIdEESt5tupleIJNSA_6TensorESF_SF_EERKSF_lbbbEUlllE_EE10hipError_tT0_T1_T2_jT3_P12ihipStream_tbPNSt15iterator_traitsISL_E10value_typeEPNSR_ISM_E10value_typeEPSN_NS1_7vsmem_tEENKUlT_SL_SM_SN_E_clIS8_S8_S9_S9_EESK_S10_SL_SM_SN_EUlS10_E_NS1_11comp_targetILNS1_3genE10ELNS1_11target_archE1201ELNS1_3gpuE5ELNS1_3repE0EEENS1_48merge_mergepath_partition_config_static_selectorELNS0_4arch9wavefront6targetE1EEEvSM_
	.p2align	8
	.type	_ZN7rocprim17ROCPRIM_400000_NS6detail17trampoline_kernelINS0_14default_configENS1_38merge_sort_block_merge_config_selectorIlNS0_10empty_typeEEEZZNS1_27merge_sort_block_merge_implIS3_PlPS5_mZN2at6native12_GLOBAL__N_124unique_dim_cuda_templateIdEESt5tupleIJNSA_6TensorESF_SF_EERKSF_lbbbEUlllE_EE10hipError_tT0_T1_T2_jT3_P12ihipStream_tbPNSt15iterator_traitsISL_E10value_typeEPNSR_ISM_E10value_typeEPSN_NS1_7vsmem_tEENKUlT_SL_SM_SN_E_clIS8_S8_S9_S9_EESK_S10_SL_SM_SN_EUlS10_E_NS1_11comp_targetILNS1_3genE10ELNS1_11target_archE1201ELNS1_3gpuE5ELNS1_3repE0EEENS1_48merge_mergepath_partition_config_static_selectorELNS0_4arch9wavefront6targetE1EEEvSM_,@function
_ZN7rocprim17ROCPRIM_400000_NS6detail17trampoline_kernelINS0_14default_configENS1_38merge_sort_block_merge_config_selectorIlNS0_10empty_typeEEEZZNS1_27merge_sort_block_merge_implIS3_PlPS5_mZN2at6native12_GLOBAL__N_124unique_dim_cuda_templateIdEESt5tupleIJNSA_6TensorESF_SF_EERKSF_lbbbEUlllE_EE10hipError_tT0_T1_T2_jT3_P12ihipStream_tbPNSt15iterator_traitsISL_E10value_typeEPNSR_ISM_E10value_typeEPSN_NS1_7vsmem_tEENKUlT_SL_SM_SN_E_clIS8_S8_S9_S9_EESK_S10_SL_SM_SN_EUlS10_E_NS1_11comp_targetILNS1_3genE10ELNS1_11target_archE1201ELNS1_3gpuE5ELNS1_3repE0EEENS1_48merge_mergepath_partition_config_static_selectorELNS0_4arch9wavefront6targetE1EEEvSM_: ; @_ZN7rocprim17ROCPRIM_400000_NS6detail17trampoline_kernelINS0_14default_configENS1_38merge_sort_block_merge_config_selectorIlNS0_10empty_typeEEEZZNS1_27merge_sort_block_merge_implIS3_PlPS5_mZN2at6native12_GLOBAL__N_124unique_dim_cuda_templateIdEESt5tupleIJNSA_6TensorESF_SF_EERKSF_lbbbEUlllE_EE10hipError_tT0_T1_T2_jT3_P12ihipStream_tbPNSt15iterator_traitsISL_E10value_typeEPNSR_ISM_E10value_typeEPSN_NS1_7vsmem_tEENKUlT_SL_SM_SN_E_clIS8_S8_S9_S9_EESK_S10_SL_SM_SN_EUlS10_E_NS1_11comp_targetILNS1_3genE10ELNS1_11target_archE1201ELNS1_3gpuE5ELNS1_3repE0EEENS1_48merge_mergepath_partition_config_static_selectorELNS0_4arch9wavefront6targetE1EEEvSM_
; %bb.0:
	.section	.rodata,"a",@progbits
	.p2align	6, 0x0
	.amdhsa_kernel _ZN7rocprim17ROCPRIM_400000_NS6detail17trampoline_kernelINS0_14default_configENS1_38merge_sort_block_merge_config_selectorIlNS0_10empty_typeEEEZZNS1_27merge_sort_block_merge_implIS3_PlPS5_mZN2at6native12_GLOBAL__N_124unique_dim_cuda_templateIdEESt5tupleIJNSA_6TensorESF_SF_EERKSF_lbbbEUlllE_EE10hipError_tT0_T1_T2_jT3_P12ihipStream_tbPNSt15iterator_traitsISL_E10value_typeEPNSR_ISM_E10value_typeEPSN_NS1_7vsmem_tEENKUlT_SL_SM_SN_E_clIS8_S8_S9_S9_EESK_S10_SL_SM_SN_EUlS10_E_NS1_11comp_targetILNS1_3genE10ELNS1_11target_archE1201ELNS1_3gpuE5ELNS1_3repE0EEENS1_48merge_mergepath_partition_config_static_selectorELNS0_4arch9wavefront6targetE1EEEvSM_
		.amdhsa_group_segment_fixed_size 0
		.amdhsa_private_segment_fixed_size 0
		.amdhsa_kernarg_size 56
		.amdhsa_user_sgpr_count 6
		.amdhsa_user_sgpr_private_segment_buffer 1
		.amdhsa_user_sgpr_dispatch_ptr 0
		.amdhsa_user_sgpr_queue_ptr 0
		.amdhsa_user_sgpr_kernarg_segment_ptr 1
		.amdhsa_user_sgpr_dispatch_id 0
		.amdhsa_user_sgpr_flat_scratch_init 0
		.amdhsa_user_sgpr_kernarg_preload_length 0
		.amdhsa_user_sgpr_kernarg_preload_offset 0
		.amdhsa_user_sgpr_private_segment_size 0
		.amdhsa_uses_dynamic_stack 0
		.amdhsa_system_sgpr_private_segment_wavefront_offset 0
		.amdhsa_system_sgpr_workgroup_id_x 1
		.amdhsa_system_sgpr_workgroup_id_y 0
		.amdhsa_system_sgpr_workgroup_id_z 0
		.amdhsa_system_sgpr_workgroup_info 0
		.amdhsa_system_vgpr_workitem_id 0
		.amdhsa_next_free_vgpr 1
		.amdhsa_next_free_sgpr 0
		.amdhsa_accum_offset 4
		.amdhsa_reserve_vcc 0
		.amdhsa_reserve_flat_scratch 0
		.amdhsa_float_round_mode_32 0
		.amdhsa_float_round_mode_16_64 0
		.amdhsa_float_denorm_mode_32 3
		.amdhsa_float_denorm_mode_16_64 3
		.amdhsa_dx10_clamp 1
		.amdhsa_ieee_mode 1
		.amdhsa_fp16_overflow 0
		.amdhsa_tg_split 0
		.amdhsa_exception_fp_ieee_invalid_op 0
		.amdhsa_exception_fp_denorm_src 0
		.amdhsa_exception_fp_ieee_div_zero 0
		.amdhsa_exception_fp_ieee_overflow 0
		.amdhsa_exception_fp_ieee_underflow 0
		.amdhsa_exception_fp_ieee_inexact 0
		.amdhsa_exception_int_div_zero 0
	.end_amdhsa_kernel
	.section	.text._ZN7rocprim17ROCPRIM_400000_NS6detail17trampoline_kernelINS0_14default_configENS1_38merge_sort_block_merge_config_selectorIlNS0_10empty_typeEEEZZNS1_27merge_sort_block_merge_implIS3_PlPS5_mZN2at6native12_GLOBAL__N_124unique_dim_cuda_templateIdEESt5tupleIJNSA_6TensorESF_SF_EERKSF_lbbbEUlllE_EE10hipError_tT0_T1_T2_jT3_P12ihipStream_tbPNSt15iterator_traitsISL_E10value_typeEPNSR_ISM_E10value_typeEPSN_NS1_7vsmem_tEENKUlT_SL_SM_SN_E_clIS8_S8_S9_S9_EESK_S10_SL_SM_SN_EUlS10_E_NS1_11comp_targetILNS1_3genE10ELNS1_11target_archE1201ELNS1_3gpuE5ELNS1_3repE0EEENS1_48merge_mergepath_partition_config_static_selectorELNS0_4arch9wavefront6targetE1EEEvSM_,"axG",@progbits,_ZN7rocprim17ROCPRIM_400000_NS6detail17trampoline_kernelINS0_14default_configENS1_38merge_sort_block_merge_config_selectorIlNS0_10empty_typeEEEZZNS1_27merge_sort_block_merge_implIS3_PlPS5_mZN2at6native12_GLOBAL__N_124unique_dim_cuda_templateIdEESt5tupleIJNSA_6TensorESF_SF_EERKSF_lbbbEUlllE_EE10hipError_tT0_T1_T2_jT3_P12ihipStream_tbPNSt15iterator_traitsISL_E10value_typeEPNSR_ISM_E10value_typeEPSN_NS1_7vsmem_tEENKUlT_SL_SM_SN_E_clIS8_S8_S9_S9_EESK_S10_SL_SM_SN_EUlS10_E_NS1_11comp_targetILNS1_3genE10ELNS1_11target_archE1201ELNS1_3gpuE5ELNS1_3repE0EEENS1_48merge_mergepath_partition_config_static_selectorELNS0_4arch9wavefront6targetE1EEEvSM_,comdat
.Lfunc_end759:
	.size	_ZN7rocprim17ROCPRIM_400000_NS6detail17trampoline_kernelINS0_14default_configENS1_38merge_sort_block_merge_config_selectorIlNS0_10empty_typeEEEZZNS1_27merge_sort_block_merge_implIS3_PlPS5_mZN2at6native12_GLOBAL__N_124unique_dim_cuda_templateIdEESt5tupleIJNSA_6TensorESF_SF_EERKSF_lbbbEUlllE_EE10hipError_tT0_T1_T2_jT3_P12ihipStream_tbPNSt15iterator_traitsISL_E10value_typeEPNSR_ISM_E10value_typeEPSN_NS1_7vsmem_tEENKUlT_SL_SM_SN_E_clIS8_S8_S9_S9_EESK_S10_SL_SM_SN_EUlS10_E_NS1_11comp_targetILNS1_3genE10ELNS1_11target_archE1201ELNS1_3gpuE5ELNS1_3repE0EEENS1_48merge_mergepath_partition_config_static_selectorELNS0_4arch9wavefront6targetE1EEEvSM_, .Lfunc_end759-_ZN7rocprim17ROCPRIM_400000_NS6detail17trampoline_kernelINS0_14default_configENS1_38merge_sort_block_merge_config_selectorIlNS0_10empty_typeEEEZZNS1_27merge_sort_block_merge_implIS3_PlPS5_mZN2at6native12_GLOBAL__N_124unique_dim_cuda_templateIdEESt5tupleIJNSA_6TensorESF_SF_EERKSF_lbbbEUlllE_EE10hipError_tT0_T1_T2_jT3_P12ihipStream_tbPNSt15iterator_traitsISL_E10value_typeEPNSR_ISM_E10value_typeEPSN_NS1_7vsmem_tEENKUlT_SL_SM_SN_E_clIS8_S8_S9_S9_EESK_S10_SL_SM_SN_EUlS10_E_NS1_11comp_targetILNS1_3genE10ELNS1_11target_archE1201ELNS1_3gpuE5ELNS1_3repE0EEENS1_48merge_mergepath_partition_config_static_selectorELNS0_4arch9wavefront6targetE1EEEvSM_
                                        ; -- End function
	.section	.AMDGPU.csdata,"",@progbits
; Kernel info:
; codeLenInByte = 0
; NumSgprs: 4
; NumVgprs: 0
; NumAgprs: 0
; TotalNumVgprs: 0
; ScratchSize: 0
; MemoryBound: 0
; FloatMode: 240
; IeeeMode: 1
; LDSByteSize: 0 bytes/workgroup (compile time only)
; SGPRBlocks: 0
; VGPRBlocks: 0
; NumSGPRsForWavesPerEU: 4
; NumVGPRsForWavesPerEU: 1
; AccumOffset: 4
; Occupancy: 8
; WaveLimiterHint : 0
; COMPUTE_PGM_RSRC2:SCRATCH_EN: 0
; COMPUTE_PGM_RSRC2:USER_SGPR: 6
; COMPUTE_PGM_RSRC2:TRAP_HANDLER: 0
; COMPUTE_PGM_RSRC2:TGID_X_EN: 1
; COMPUTE_PGM_RSRC2:TGID_Y_EN: 0
; COMPUTE_PGM_RSRC2:TGID_Z_EN: 0
; COMPUTE_PGM_RSRC2:TIDIG_COMP_CNT: 0
; COMPUTE_PGM_RSRC3_GFX90A:ACCUM_OFFSET: 0
; COMPUTE_PGM_RSRC3_GFX90A:TG_SPLIT: 0
	.section	.text._ZN7rocprim17ROCPRIM_400000_NS6detail17trampoline_kernelINS0_14default_configENS1_38merge_sort_block_merge_config_selectorIlNS0_10empty_typeEEEZZNS1_27merge_sort_block_merge_implIS3_PlPS5_mZN2at6native12_GLOBAL__N_124unique_dim_cuda_templateIdEESt5tupleIJNSA_6TensorESF_SF_EERKSF_lbbbEUlllE_EE10hipError_tT0_T1_T2_jT3_P12ihipStream_tbPNSt15iterator_traitsISL_E10value_typeEPNSR_ISM_E10value_typeEPSN_NS1_7vsmem_tEENKUlT_SL_SM_SN_E_clIS8_S8_S9_S9_EESK_S10_SL_SM_SN_EUlS10_E_NS1_11comp_targetILNS1_3genE5ELNS1_11target_archE942ELNS1_3gpuE9ELNS1_3repE0EEENS1_48merge_mergepath_partition_config_static_selectorELNS0_4arch9wavefront6targetE1EEEvSM_,"axG",@progbits,_ZN7rocprim17ROCPRIM_400000_NS6detail17trampoline_kernelINS0_14default_configENS1_38merge_sort_block_merge_config_selectorIlNS0_10empty_typeEEEZZNS1_27merge_sort_block_merge_implIS3_PlPS5_mZN2at6native12_GLOBAL__N_124unique_dim_cuda_templateIdEESt5tupleIJNSA_6TensorESF_SF_EERKSF_lbbbEUlllE_EE10hipError_tT0_T1_T2_jT3_P12ihipStream_tbPNSt15iterator_traitsISL_E10value_typeEPNSR_ISM_E10value_typeEPSN_NS1_7vsmem_tEENKUlT_SL_SM_SN_E_clIS8_S8_S9_S9_EESK_S10_SL_SM_SN_EUlS10_E_NS1_11comp_targetILNS1_3genE5ELNS1_11target_archE942ELNS1_3gpuE9ELNS1_3repE0EEENS1_48merge_mergepath_partition_config_static_selectorELNS0_4arch9wavefront6targetE1EEEvSM_,comdat
	.globl	_ZN7rocprim17ROCPRIM_400000_NS6detail17trampoline_kernelINS0_14default_configENS1_38merge_sort_block_merge_config_selectorIlNS0_10empty_typeEEEZZNS1_27merge_sort_block_merge_implIS3_PlPS5_mZN2at6native12_GLOBAL__N_124unique_dim_cuda_templateIdEESt5tupleIJNSA_6TensorESF_SF_EERKSF_lbbbEUlllE_EE10hipError_tT0_T1_T2_jT3_P12ihipStream_tbPNSt15iterator_traitsISL_E10value_typeEPNSR_ISM_E10value_typeEPSN_NS1_7vsmem_tEENKUlT_SL_SM_SN_E_clIS8_S8_S9_S9_EESK_S10_SL_SM_SN_EUlS10_E_NS1_11comp_targetILNS1_3genE5ELNS1_11target_archE942ELNS1_3gpuE9ELNS1_3repE0EEENS1_48merge_mergepath_partition_config_static_selectorELNS0_4arch9wavefront6targetE1EEEvSM_ ; -- Begin function _ZN7rocprim17ROCPRIM_400000_NS6detail17trampoline_kernelINS0_14default_configENS1_38merge_sort_block_merge_config_selectorIlNS0_10empty_typeEEEZZNS1_27merge_sort_block_merge_implIS3_PlPS5_mZN2at6native12_GLOBAL__N_124unique_dim_cuda_templateIdEESt5tupleIJNSA_6TensorESF_SF_EERKSF_lbbbEUlllE_EE10hipError_tT0_T1_T2_jT3_P12ihipStream_tbPNSt15iterator_traitsISL_E10value_typeEPNSR_ISM_E10value_typeEPSN_NS1_7vsmem_tEENKUlT_SL_SM_SN_E_clIS8_S8_S9_S9_EESK_S10_SL_SM_SN_EUlS10_E_NS1_11comp_targetILNS1_3genE5ELNS1_11target_archE942ELNS1_3gpuE9ELNS1_3repE0EEENS1_48merge_mergepath_partition_config_static_selectorELNS0_4arch9wavefront6targetE1EEEvSM_
	.p2align	8
	.type	_ZN7rocprim17ROCPRIM_400000_NS6detail17trampoline_kernelINS0_14default_configENS1_38merge_sort_block_merge_config_selectorIlNS0_10empty_typeEEEZZNS1_27merge_sort_block_merge_implIS3_PlPS5_mZN2at6native12_GLOBAL__N_124unique_dim_cuda_templateIdEESt5tupleIJNSA_6TensorESF_SF_EERKSF_lbbbEUlllE_EE10hipError_tT0_T1_T2_jT3_P12ihipStream_tbPNSt15iterator_traitsISL_E10value_typeEPNSR_ISM_E10value_typeEPSN_NS1_7vsmem_tEENKUlT_SL_SM_SN_E_clIS8_S8_S9_S9_EESK_S10_SL_SM_SN_EUlS10_E_NS1_11comp_targetILNS1_3genE5ELNS1_11target_archE942ELNS1_3gpuE9ELNS1_3repE0EEENS1_48merge_mergepath_partition_config_static_selectorELNS0_4arch9wavefront6targetE1EEEvSM_,@function
_ZN7rocprim17ROCPRIM_400000_NS6detail17trampoline_kernelINS0_14default_configENS1_38merge_sort_block_merge_config_selectorIlNS0_10empty_typeEEEZZNS1_27merge_sort_block_merge_implIS3_PlPS5_mZN2at6native12_GLOBAL__N_124unique_dim_cuda_templateIdEESt5tupleIJNSA_6TensorESF_SF_EERKSF_lbbbEUlllE_EE10hipError_tT0_T1_T2_jT3_P12ihipStream_tbPNSt15iterator_traitsISL_E10value_typeEPNSR_ISM_E10value_typeEPSN_NS1_7vsmem_tEENKUlT_SL_SM_SN_E_clIS8_S8_S9_S9_EESK_S10_SL_SM_SN_EUlS10_E_NS1_11comp_targetILNS1_3genE5ELNS1_11target_archE942ELNS1_3gpuE9ELNS1_3repE0EEENS1_48merge_mergepath_partition_config_static_selectorELNS0_4arch9wavefront6targetE1EEEvSM_: ; @_ZN7rocprim17ROCPRIM_400000_NS6detail17trampoline_kernelINS0_14default_configENS1_38merge_sort_block_merge_config_selectorIlNS0_10empty_typeEEEZZNS1_27merge_sort_block_merge_implIS3_PlPS5_mZN2at6native12_GLOBAL__N_124unique_dim_cuda_templateIdEESt5tupleIJNSA_6TensorESF_SF_EERKSF_lbbbEUlllE_EE10hipError_tT0_T1_T2_jT3_P12ihipStream_tbPNSt15iterator_traitsISL_E10value_typeEPNSR_ISM_E10value_typeEPSN_NS1_7vsmem_tEENKUlT_SL_SM_SN_E_clIS8_S8_S9_S9_EESK_S10_SL_SM_SN_EUlS10_E_NS1_11comp_targetILNS1_3genE5ELNS1_11target_archE942ELNS1_3gpuE9ELNS1_3repE0EEENS1_48merge_mergepath_partition_config_static_selectorELNS0_4arch9wavefront6targetE1EEEvSM_
; %bb.0:
	.section	.rodata,"a",@progbits
	.p2align	6, 0x0
	.amdhsa_kernel _ZN7rocprim17ROCPRIM_400000_NS6detail17trampoline_kernelINS0_14default_configENS1_38merge_sort_block_merge_config_selectorIlNS0_10empty_typeEEEZZNS1_27merge_sort_block_merge_implIS3_PlPS5_mZN2at6native12_GLOBAL__N_124unique_dim_cuda_templateIdEESt5tupleIJNSA_6TensorESF_SF_EERKSF_lbbbEUlllE_EE10hipError_tT0_T1_T2_jT3_P12ihipStream_tbPNSt15iterator_traitsISL_E10value_typeEPNSR_ISM_E10value_typeEPSN_NS1_7vsmem_tEENKUlT_SL_SM_SN_E_clIS8_S8_S9_S9_EESK_S10_SL_SM_SN_EUlS10_E_NS1_11comp_targetILNS1_3genE5ELNS1_11target_archE942ELNS1_3gpuE9ELNS1_3repE0EEENS1_48merge_mergepath_partition_config_static_selectorELNS0_4arch9wavefront6targetE1EEEvSM_
		.amdhsa_group_segment_fixed_size 0
		.amdhsa_private_segment_fixed_size 0
		.amdhsa_kernarg_size 56
		.amdhsa_user_sgpr_count 6
		.amdhsa_user_sgpr_private_segment_buffer 1
		.amdhsa_user_sgpr_dispatch_ptr 0
		.amdhsa_user_sgpr_queue_ptr 0
		.amdhsa_user_sgpr_kernarg_segment_ptr 1
		.amdhsa_user_sgpr_dispatch_id 0
		.amdhsa_user_sgpr_flat_scratch_init 0
		.amdhsa_user_sgpr_kernarg_preload_length 0
		.amdhsa_user_sgpr_kernarg_preload_offset 0
		.amdhsa_user_sgpr_private_segment_size 0
		.amdhsa_uses_dynamic_stack 0
		.amdhsa_system_sgpr_private_segment_wavefront_offset 0
		.amdhsa_system_sgpr_workgroup_id_x 1
		.amdhsa_system_sgpr_workgroup_id_y 0
		.amdhsa_system_sgpr_workgroup_id_z 0
		.amdhsa_system_sgpr_workgroup_info 0
		.amdhsa_system_vgpr_workitem_id 0
		.amdhsa_next_free_vgpr 1
		.amdhsa_next_free_sgpr 0
		.amdhsa_accum_offset 4
		.amdhsa_reserve_vcc 0
		.amdhsa_reserve_flat_scratch 0
		.amdhsa_float_round_mode_32 0
		.amdhsa_float_round_mode_16_64 0
		.amdhsa_float_denorm_mode_32 3
		.amdhsa_float_denorm_mode_16_64 3
		.amdhsa_dx10_clamp 1
		.amdhsa_ieee_mode 1
		.amdhsa_fp16_overflow 0
		.amdhsa_tg_split 0
		.amdhsa_exception_fp_ieee_invalid_op 0
		.amdhsa_exception_fp_denorm_src 0
		.amdhsa_exception_fp_ieee_div_zero 0
		.amdhsa_exception_fp_ieee_overflow 0
		.amdhsa_exception_fp_ieee_underflow 0
		.amdhsa_exception_fp_ieee_inexact 0
		.amdhsa_exception_int_div_zero 0
	.end_amdhsa_kernel
	.section	.text._ZN7rocprim17ROCPRIM_400000_NS6detail17trampoline_kernelINS0_14default_configENS1_38merge_sort_block_merge_config_selectorIlNS0_10empty_typeEEEZZNS1_27merge_sort_block_merge_implIS3_PlPS5_mZN2at6native12_GLOBAL__N_124unique_dim_cuda_templateIdEESt5tupleIJNSA_6TensorESF_SF_EERKSF_lbbbEUlllE_EE10hipError_tT0_T1_T2_jT3_P12ihipStream_tbPNSt15iterator_traitsISL_E10value_typeEPNSR_ISM_E10value_typeEPSN_NS1_7vsmem_tEENKUlT_SL_SM_SN_E_clIS8_S8_S9_S9_EESK_S10_SL_SM_SN_EUlS10_E_NS1_11comp_targetILNS1_3genE5ELNS1_11target_archE942ELNS1_3gpuE9ELNS1_3repE0EEENS1_48merge_mergepath_partition_config_static_selectorELNS0_4arch9wavefront6targetE1EEEvSM_,"axG",@progbits,_ZN7rocprim17ROCPRIM_400000_NS6detail17trampoline_kernelINS0_14default_configENS1_38merge_sort_block_merge_config_selectorIlNS0_10empty_typeEEEZZNS1_27merge_sort_block_merge_implIS3_PlPS5_mZN2at6native12_GLOBAL__N_124unique_dim_cuda_templateIdEESt5tupleIJNSA_6TensorESF_SF_EERKSF_lbbbEUlllE_EE10hipError_tT0_T1_T2_jT3_P12ihipStream_tbPNSt15iterator_traitsISL_E10value_typeEPNSR_ISM_E10value_typeEPSN_NS1_7vsmem_tEENKUlT_SL_SM_SN_E_clIS8_S8_S9_S9_EESK_S10_SL_SM_SN_EUlS10_E_NS1_11comp_targetILNS1_3genE5ELNS1_11target_archE942ELNS1_3gpuE9ELNS1_3repE0EEENS1_48merge_mergepath_partition_config_static_selectorELNS0_4arch9wavefront6targetE1EEEvSM_,comdat
.Lfunc_end760:
	.size	_ZN7rocprim17ROCPRIM_400000_NS6detail17trampoline_kernelINS0_14default_configENS1_38merge_sort_block_merge_config_selectorIlNS0_10empty_typeEEEZZNS1_27merge_sort_block_merge_implIS3_PlPS5_mZN2at6native12_GLOBAL__N_124unique_dim_cuda_templateIdEESt5tupleIJNSA_6TensorESF_SF_EERKSF_lbbbEUlllE_EE10hipError_tT0_T1_T2_jT3_P12ihipStream_tbPNSt15iterator_traitsISL_E10value_typeEPNSR_ISM_E10value_typeEPSN_NS1_7vsmem_tEENKUlT_SL_SM_SN_E_clIS8_S8_S9_S9_EESK_S10_SL_SM_SN_EUlS10_E_NS1_11comp_targetILNS1_3genE5ELNS1_11target_archE942ELNS1_3gpuE9ELNS1_3repE0EEENS1_48merge_mergepath_partition_config_static_selectorELNS0_4arch9wavefront6targetE1EEEvSM_, .Lfunc_end760-_ZN7rocprim17ROCPRIM_400000_NS6detail17trampoline_kernelINS0_14default_configENS1_38merge_sort_block_merge_config_selectorIlNS0_10empty_typeEEEZZNS1_27merge_sort_block_merge_implIS3_PlPS5_mZN2at6native12_GLOBAL__N_124unique_dim_cuda_templateIdEESt5tupleIJNSA_6TensorESF_SF_EERKSF_lbbbEUlllE_EE10hipError_tT0_T1_T2_jT3_P12ihipStream_tbPNSt15iterator_traitsISL_E10value_typeEPNSR_ISM_E10value_typeEPSN_NS1_7vsmem_tEENKUlT_SL_SM_SN_E_clIS8_S8_S9_S9_EESK_S10_SL_SM_SN_EUlS10_E_NS1_11comp_targetILNS1_3genE5ELNS1_11target_archE942ELNS1_3gpuE9ELNS1_3repE0EEENS1_48merge_mergepath_partition_config_static_selectorELNS0_4arch9wavefront6targetE1EEEvSM_
                                        ; -- End function
	.section	.AMDGPU.csdata,"",@progbits
; Kernel info:
; codeLenInByte = 0
; NumSgprs: 4
; NumVgprs: 0
; NumAgprs: 0
; TotalNumVgprs: 0
; ScratchSize: 0
; MemoryBound: 0
; FloatMode: 240
; IeeeMode: 1
; LDSByteSize: 0 bytes/workgroup (compile time only)
; SGPRBlocks: 0
; VGPRBlocks: 0
; NumSGPRsForWavesPerEU: 4
; NumVGPRsForWavesPerEU: 1
; AccumOffset: 4
; Occupancy: 8
; WaveLimiterHint : 0
; COMPUTE_PGM_RSRC2:SCRATCH_EN: 0
; COMPUTE_PGM_RSRC2:USER_SGPR: 6
; COMPUTE_PGM_RSRC2:TRAP_HANDLER: 0
; COMPUTE_PGM_RSRC2:TGID_X_EN: 1
; COMPUTE_PGM_RSRC2:TGID_Y_EN: 0
; COMPUTE_PGM_RSRC2:TGID_Z_EN: 0
; COMPUTE_PGM_RSRC2:TIDIG_COMP_CNT: 0
; COMPUTE_PGM_RSRC3_GFX90A:ACCUM_OFFSET: 0
; COMPUTE_PGM_RSRC3_GFX90A:TG_SPLIT: 0
	.section	.text._ZN7rocprim17ROCPRIM_400000_NS6detail17trampoline_kernelINS0_14default_configENS1_38merge_sort_block_merge_config_selectorIlNS0_10empty_typeEEEZZNS1_27merge_sort_block_merge_implIS3_PlPS5_mZN2at6native12_GLOBAL__N_124unique_dim_cuda_templateIdEESt5tupleIJNSA_6TensorESF_SF_EERKSF_lbbbEUlllE_EE10hipError_tT0_T1_T2_jT3_P12ihipStream_tbPNSt15iterator_traitsISL_E10value_typeEPNSR_ISM_E10value_typeEPSN_NS1_7vsmem_tEENKUlT_SL_SM_SN_E_clIS8_S8_S9_S9_EESK_S10_SL_SM_SN_EUlS10_E_NS1_11comp_targetILNS1_3genE4ELNS1_11target_archE910ELNS1_3gpuE8ELNS1_3repE0EEENS1_48merge_mergepath_partition_config_static_selectorELNS0_4arch9wavefront6targetE1EEEvSM_,"axG",@progbits,_ZN7rocprim17ROCPRIM_400000_NS6detail17trampoline_kernelINS0_14default_configENS1_38merge_sort_block_merge_config_selectorIlNS0_10empty_typeEEEZZNS1_27merge_sort_block_merge_implIS3_PlPS5_mZN2at6native12_GLOBAL__N_124unique_dim_cuda_templateIdEESt5tupleIJNSA_6TensorESF_SF_EERKSF_lbbbEUlllE_EE10hipError_tT0_T1_T2_jT3_P12ihipStream_tbPNSt15iterator_traitsISL_E10value_typeEPNSR_ISM_E10value_typeEPSN_NS1_7vsmem_tEENKUlT_SL_SM_SN_E_clIS8_S8_S9_S9_EESK_S10_SL_SM_SN_EUlS10_E_NS1_11comp_targetILNS1_3genE4ELNS1_11target_archE910ELNS1_3gpuE8ELNS1_3repE0EEENS1_48merge_mergepath_partition_config_static_selectorELNS0_4arch9wavefront6targetE1EEEvSM_,comdat
	.globl	_ZN7rocprim17ROCPRIM_400000_NS6detail17trampoline_kernelINS0_14default_configENS1_38merge_sort_block_merge_config_selectorIlNS0_10empty_typeEEEZZNS1_27merge_sort_block_merge_implIS3_PlPS5_mZN2at6native12_GLOBAL__N_124unique_dim_cuda_templateIdEESt5tupleIJNSA_6TensorESF_SF_EERKSF_lbbbEUlllE_EE10hipError_tT0_T1_T2_jT3_P12ihipStream_tbPNSt15iterator_traitsISL_E10value_typeEPNSR_ISM_E10value_typeEPSN_NS1_7vsmem_tEENKUlT_SL_SM_SN_E_clIS8_S8_S9_S9_EESK_S10_SL_SM_SN_EUlS10_E_NS1_11comp_targetILNS1_3genE4ELNS1_11target_archE910ELNS1_3gpuE8ELNS1_3repE0EEENS1_48merge_mergepath_partition_config_static_selectorELNS0_4arch9wavefront6targetE1EEEvSM_ ; -- Begin function _ZN7rocprim17ROCPRIM_400000_NS6detail17trampoline_kernelINS0_14default_configENS1_38merge_sort_block_merge_config_selectorIlNS0_10empty_typeEEEZZNS1_27merge_sort_block_merge_implIS3_PlPS5_mZN2at6native12_GLOBAL__N_124unique_dim_cuda_templateIdEESt5tupleIJNSA_6TensorESF_SF_EERKSF_lbbbEUlllE_EE10hipError_tT0_T1_T2_jT3_P12ihipStream_tbPNSt15iterator_traitsISL_E10value_typeEPNSR_ISM_E10value_typeEPSN_NS1_7vsmem_tEENKUlT_SL_SM_SN_E_clIS8_S8_S9_S9_EESK_S10_SL_SM_SN_EUlS10_E_NS1_11comp_targetILNS1_3genE4ELNS1_11target_archE910ELNS1_3gpuE8ELNS1_3repE0EEENS1_48merge_mergepath_partition_config_static_selectorELNS0_4arch9wavefront6targetE1EEEvSM_
	.p2align	8
	.type	_ZN7rocprim17ROCPRIM_400000_NS6detail17trampoline_kernelINS0_14default_configENS1_38merge_sort_block_merge_config_selectorIlNS0_10empty_typeEEEZZNS1_27merge_sort_block_merge_implIS3_PlPS5_mZN2at6native12_GLOBAL__N_124unique_dim_cuda_templateIdEESt5tupleIJNSA_6TensorESF_SF_EERKSF_lbbbEUlllE_EE10hipError_tT0_T1_T2_jT3_P12ihipStream_tbPNSt15iterator_traitsISL_E10value_typeEPNSR_ISM_E10value_typeEPSN_NS1_7vsmem_tEENKUlT_SL_SM_SN_E_clIS8_S8_S9_S9_EESK_S10_SL_SM_SN_EUlS10_E_NS1_11comp_targetILNS1_3genE4ELNS1_11target_archE910ELNS1_3gpuE8ELNS1_3repE0EEENS1_48merge_mergepath_partition_config_static_selectorELNS0_4arch9wavefront6targetE1EEEvSM_,@function
_ZN7rocprim17ROCPRIM_400000_NS6detail17trampoline_kernelINS0_14default_configENS1_38merge_sort_block_merge_config_selectorIlNS0_10empty_typeEEEZZNS1_27merge_sort_block_merge_implIS3_PlPS5_mZN2at6native12_GLOBAL__N_124unique_dim_cuda_templateIdEESt5tupleIJNSA_6TensorESF_SF_EERKSF_lbbbEUlllE_EE10hipError_tT0_T1_T2_jT3_P12ihipStream_tbPNSt15iterator_traitsISL_E10value_typeEPNSR_ISM_E10value_typeEPSN_NS1_7vsmem_tEENKUlT_SL_SM_SN_E_clIS8_S8_S9_S9_EESK_S10_SL_SM_SN_EUlS10_E_NS1_11comp_targetILNS1_3genE4ELNS1_11target_archE910ELNS1_3gpuE8ELNS1_3repE0EEENS1_48merge_mergepath_partition_config_static_selectorELNS0_4arch9wavefront6targetE1EEEvSM_: ; @_ZN7rocprim17ROCPRIM_400000_NS6detail17trampoline_kernelINS0_14default_configENS1_38merge_sort_block_merge_config_selectorIlNS0_10empty_typeEEEZZNS1_27merge_sort_block_merge_implIS3_PlPS5_mZN2at6native12_GLOBAL__N_124unique_dim_cuda_templateIdEESt5tupleIJNSA_6TensorESF_SF_EERKSF_lbbbEUlllE_EE10hipError_tT0_T1_T2_jT3_P12ihipStream_tbPNSt15iterator_traitsISL_E10value_typeEPNSR_ISM_E10value_typeEPSN_NS1_7vsmem_tEENKUlT_SL_SM_SN_E_clIS8_S8_S9_S9_EESK_S10_SL_SM_SN_EUlS10_E_NS1_11comp_targetILNS1_3genE4ELNS1_11target_archE910ELNS1_3gpuE8ELNS1_3repE0EEENS1_48merge_mergepath_partition_config_static_selectorELNS0_4arch9wavefront6targetE1EEEvSM_
; %bb.0:
	s_load_dword s0, s[4:5], 0x0
	v_lshl_or_b32 v0, s6, 7, v0
	s_waitcnt lgkmcnt(0)
	v_cmp_gt_u32_e32 vcc, s0, v0
	s_and_saveexec_b64 s[0:1], vcc
	s_cbranch_execz .LBB761_12
; %bb.1:
	s_load_dwordx4 s[0:3], s[4:5], 0x8
	s_load_dwordx8 s[8:15], s[4:5], 0x18
	v_mov_b32_e32 v5, 0
	s_waitcnt lgkmcnt(0)
	v_mov_b32_e32 v1, s0
	v_alignbit_b32 v1, s1, v1, 9
	v_and_b32_e32 v1, -2, v1
	v_add_u32_e32 v2, -1, v1
	v_sub_u32_e32 v1, 0, v1
	v_and_b32_e32 v4, v0, v1
	v_lshlrev_b64 v[8:9], 10, v[4:5]
	v_mov_b32_e32 v1, s3
	v_cmp_lt_u64_e32 vcc, s[2:3], v[8:9]
	v_mov_b32_e32 v4, s2
	v_and_b32_e32 v6, v2, v0
	v_cndmask_b32_e32 v3, v9, v1, vcc
	v_cndmask_b32_e32 v2, v8, v4, vcc
	v_mov_b32_e32 v7, s1
	v_add_co_u32_e32 v8, vcc, s0, v8
	v_addc_co_u32_e32 v9, vcc, v9, v7, vcc
	v_cmp_lt_u64_e32 vcc, s[2:3], v[8:9]
	v_cndmask_b32_e32 v8, v8, v4, vcc
	v_cndmask_b32_e32 v9, v9, v1, vcc
	v_add_co_u32_e32 v10, vcc, s0, v8
	v_addc_co_u32_e32 v11, vcc, v9, v7, vcc
	v_cmp_lt_u64_e32 vcc, s[2:3], v[10:11]
	v_cndmask_b32_e32 v12, v10, v4, vcc
	v_cndmask_b32_e32 v1, v11, v1, vcc
	v_sub_co_u32_e32 v10, vcc, v12, v2
	v_mov_b32_e32 v7, v5
	v_subb_co_u32_e32 v11, vcc, v1, v3, vcc
	v_lshlrev_b64 v[4:5], 10, v[6:7]
	v_cmp_lt_u64_e32 vcc, v[10:11], v[4:5]
	v_cndmask_b32_e32 v11, v5, v11, vcc
	v_cndmask_b32_e32 v10, v4, v10, vcc
	v_sub_co_u32_e32 v6, vcc, v8, v2
	v_subb_co_u32_e32 v7, vcc, v9, v3, vcc
	v_sub_co_u32_e32 v4, vcc, v8, v12
	v_subb_co_u32_e32 v1, vcc, v9, v1, vcc
	v_add_co_u32_e32 v4, vcc, v10, v4
	v_addc_co_u32_e32 v5, vcc, v11, v1, vcc
	v_cmp_gt_u64_e32 vcc, v[4:5], v[10:11]
	v_cndmask_b32_e64 v5, v5, 0, vcc
	v_cndmask_b32_e64 v4, v4, 0, vcc
	v_cmp_lt_u64_e32 vcc, v[10:11], v[6:7]
	v_cndmask_b32_e32 v7, v7, v11, vcc
	v_cndmask_b32_e32 v6, v6, v10, vcc
	v_cmp_lt_u64_e32 vcc, v[4:5], v[6:7]
	s_and_saveexec_b64 s[6:7], vcc
	s_cbranch_execz .LBB761_11
; %bb.2:
	v_lshlrev_b64 v[12:13], 3, v[2:3]
	v_mov_b32_e32 v14, s9
	v_add_co_u32_e32 v1, vcc, s8, v12
	v_addc_co_u32_e32 v14, vcc, v14, v13, vcc
	v_lshlrev_b64 v[8:9], 3, v[8:9]
	v_mov_b32_e32 v12, s9
	v_add_co_u32_e32 v13, vcc, s8, v8
	v_addc_co_u32_e32 v12, vcc, v12, v9, vcc
	v_lshlrev_b64 v[8:9], 3, v[10:11]
	v_cmp_gt_i64_e64 s[0:1], s[10:11], 0
	v_add_co_u32_e32 v15, vcc, v13, v8
	v_cndmask_b32_e64 v8, 0, 1, s[0:1]
	s_mov_b64 s[8:9], 0
	v_addc_co_u32_e32 v16, vcc, v12, v9, vcc
	s_lshl_b64 s[16:17], s[10:11], 3
	v_cmp_ne_u32_e64 s[0:1], 1, v8
	s_branch .LBB761_5
.LBB761_3:                              ;   in Loop: Header=BB761_5 Depth=1
	s_or_b64 exec, exec, s[20:21]
.LBB761_4:                              ;   in Loop: Header=BB761_5 Depth=1
	v_add_co_u32_e32 v10, vcc, 1, v8
	v_addc_co_u32_e32 v11, vcc, 0, v9, vcc
	v_cndmask_b32_e64 v7, v7, v9, s[18:19]
	v_cndmask_b32_e64 v6, v6, v8, s[18:19]
	;; [unrolled: 1-line block ×4, first 2 shown]
	v_cmp_ge_u64_e32 vcc, v[4:5], v[6:7]
	s_or_b64 s[8:9], vcc, s[8:9]
	s_andn2_b64 exec, exec, s[8:9]
	s_cbranch_execz .LBB761_10
.LBB761_5:                              ; =>This Loop Header: Depth=1
                                        ;     Child Loop BB761_8 Depth 2
	v_add_co_u32_e32 v8, vcc, v6, v4
	v_addc_co_u32_e32 v9, vcc, v7, v5, vcc
	v_lshrrev_b64 v[8:9], 1, v[8:9]
	s_and_b64 vcc, exec, s[0:1]
	s_mov_b64 s[18:19], 0
	s_cbranch_vccnz .LBB761_4
; %bb.6:                                ;   in Loop: Header=BB761_5 Depth=1
	v_not_b32_e32 v11, v9
	v_not_b32_e32 v10, v8
	v_lshlrev_b64 v[10:11], 3, v[10:11]
	v_add_co_u32_e32 v10, vcc, v15, v10
	v_addc_co_u32_e32 v11, vcc, v16, v11, vcc
	v_lshlrev_b64 v[12:13], 3, v[8:9]
	v_add_co_u32_e32 v12, vcc, v1, v12
	v_addc_co_u32_e32 v13, vcc, v14, v13, vcc
	global_load_dwordx2 v[10:11], v[10:11], off
	v_pk_mov_b32 v[18:19], s[12:13], s[12:13] op_sel:[0,1]
	global_load_dwordx2 v[12:13], v[12:13], off
	s_mov_b64 s[20:21], 0
	s_mov_b64 s[26:27], s[10:11]
                                        ; implicit-def: $sgpr18_sgpr19
                                        ; implicit-def: $sgpr22_sgpr23
                                        ; implicit-def: $sgpr24_sgpr25
                                        ; implicit-def: $sgpr2_sgpr3
                                        ; implicit-def: $sgpr28_sgpr29
	s_waitcnt vmcnt(1)
	v_mul_lo_u32 v17, s16, v11
	v_mul_lo_u32 v20, s17, v10
	v_mad_u64_u32 v[10:11], s[4:5], s16, v10, v[18:19]
	s_waitcnt vmcnt(0)
	v_mul_lo_u32 v21, s16, v13
	v_mul_lo_u32 v22, s17, v12
	v_mad_u64_u32 v[12:13], s[4:5], s16, v12, v[18:19]
	v_add3_u32 v11, v20, v11, v17
	v_add3_u32 v13, v22, v13, v21
	s_branch .LBB761_8
.LBB761_7:                              ;   in Loop: Header=BB761_8 Depth=2
	s_or_b64 exec, exec, s[30:31]
	s_and_b64 s[4:5], exec, s[22:23]
	s_or_b64 s[20:21], s[4:5], s[20:21]
	s_andn2_b64 s[4:5], s[28:29], exec
	s_and_b64 s[28:29], s[24:25], exec
	s_or_b64 s[28:29], s[4:5], s[28:29]
	s_andn2_b64 s[4:5], s[18:19], exec
	s_and_b64 s[18:19], s[2:3], exec
	s_or_b64 s[18:19], s[4:5], s[18:19]
	s_andn2_b64 exec, exec, s[20:21]
	s_cbranch_execz .LBB761_3
.LBB761_8:                              ;   Parent Loop BB761_5 Depth=1
                                        ; =>  This Inner Loop Header: Depth=2
	global_load_dwordx2 v[18:19], v[10:11], off
	global_load_dwordx2 v[20:21], v[12:13], off
	s_andn2_b64 s[30:31], s[2:3], exec
	s_andn2_b64 s[24:25], s[24:25], exec
	s_or_b64 s[22:23], s[22:23], exec
	s_waitcnt vmcnt(0)
	v_cmp_ngt_f64_e64 s[2:3], v[18:19], v[20:21]
	v_cmp_lt_f64_e32 vcc, v[18:19], v[20:21]
	s_and_b64 s[2:3], s[2:3], s[28:29]
	s_or_b64 s[34:35], vcc, s[2:3]
	s_and_b64 s[2:3], s[34:35], exec
	v_cmp_nlg_f64_e64 s[4:5], v[18:19], v[20:21]
	s_or_b64 s[2:3], s[30:31], s[2:3]
	s_and_saveexec_b64 s[30:31], s[4:5]
	s_cbranch_execz .LBB761_7
; %bb.9:                                ;   in Loop: Header=BB761_8 Depth=2
	s_add_u32 s26, s26, -1
	s_addc_u32 s27, s27, -1
	v_add_co_u32_e32 v10, vcc, 8, v10
	s_cmp_eq_u64 s[26:27], 0
	v_addc_co_u32_e32 v11, vcc, 0, v11, vcc
	s_cselect_b64 s[4:5], -1, 0
	v_add_co_u32_e32 v12, vcc, 8, v12
	s_andn2_b64 s[24:25], s[24:25], exec
	s_and_b64 s[28:29], s[34:35], exec
	s_andn2_b64 s[22:23], s[22:23], exec
	s_and_b64 s[4:5], s[4:5], exec
	v_addc_co_u32_e32 v13, vcc, 0, v13, vcc
	s_andn2_b64 s[2:3], s[2:3], exec
	s_or_b64 s[24:25], s[24:25], s[28:29]
	s_or_b64 s[22:23], s[22:23], s[4:5]
                                        ; implicit-def: $sgpr28_sgpr29
	s_branch .LBB761_7
.LBB761_10:
	s_or_b64 exec, exec, s[8:9]
.LBB761_11:
	s_or_b64 exec, exec, s[6:7]
	v_add_co_u32_e32 v2, vcc, v4, v2
	v_mov_b32_e32 v1, 0
	v_addc_co_u32_e32 v3, vcc, v5, v3, vcc
	v_lshlrev_b64 v[0:1], 3, v[0:1]
	v_mov_b32_e32 v4, s15
	v_add_co_u32_e32 v0, vcc, s14, v0
	v_addc_co_u32_e32 v1, vcc, v4, v1, vcc
	global_store_dwordx2 v[0:1], v[2:3], off
.LBB761_12:
	s_endpgm
	.section	.rodata,"a",@progbits
	.p2align	6, 0x0
	.amdhsa_kernel _ZN7rocprim17ROCPRIM_400000_NS6detail17trampoline_kernelINS0_14default_configENS1_38merge_sort_block_merge_config_selectorIlNS0_10empty_typeEEEZZNS1_27merge_sort_block_merge_implIS3_PlPS5_mZN2at6native12_GLOBAL__N_124unique_dim_cuda_templateIdEESt5tupleIJNSA_6TensorESF_SF_EERKSF_lbbbEUlllE_EE10hipError_tT0_T1_T2_jT3_P12ihipStream_tbPNSt15iterator_traitsISL_E10value_typeEPNSR_ISM_E10value_typeEPSN_NS1_7vsmem_tEENKUlT_SL_SM_SN_E_clIS8_S8_S9_S9_EESK_S10_SL_SM_SN_EUlS10_E_NS1_11comp_targetILNS1_3genE4ELNS1_11target_archE910ELNS1_3gpuE8ELNS1_3repE0EEENS1_48merge_mergepath_partition_config_static_selectorELNS0_4arch9wavefront6targetE1EEEvSM_
		.amdhsa_group_segment_fixed_size 0
		.amdhsa_private_segment_fixed_size 0
		.amdhsa_kernarg_size 56
		.amdhsa_user_sgpr_count 6
		.amdhsa_user_sgpr_private_segment_buffer 1
		.amdhsa_user_sgpr_dispatch_ptr 0
		.amdhsa_user_sgpr_queue_ptr 0
		.amdhsa_user_sgpr_kernarg_segment_ptr 1
		.amdhsa_user_sgpr_dispatch_id 0
		.amdhsa_user_sgpr_flat_scratch_init 0
		.amdhsa_user_sgpr_kernarg_preload_length 0
		.amdhsa_user_sgpr_kernarg_preload_offset 0
		.amdhsa_user_sgpr_private_segment_size 0
		.amdhsa_uses_dynamic_stack 0
		.amdhsa_system_sgpr_private_segment_wavefront_offset 0
		.amdhsa_system_sgpr_workgroup_id_x 1
		.amdhsa_system_sgpr_workgroup_id_y 0
		.amdhsa_system_sgpr_workgroup_id_z 0
		.amdhsa_system_sgpr_workgroup_info 0
		.amdhsa_system_vgpr_workitem_id 0
		.amdhsa_next_free_vgpr 23
		.amdhsa_next_free_sgpr 36
		.amdhsa_accum_offset 24
		.amdhsa_reserve_vcc 1
		.amdhsa_reserve_flat_scratch 0
		.amdhsa_float_round_mode_32 0
		.amdhsa_float_round_mode_16_64 0
		.amdhsa_float_denorm_mode_32 3
		.amdhsa_float_denorm_mode_16_64 3
		.amdhsa_dx10_clamp 1
		.amdhsa_ieee_mode 1
		.amdhsa_fp16_overflow 0
		.amdhsa_tg_split 0
		.amdhsa_exception_fp_ieee_invalid_op 0
		.amdhsa_exception_fp_denorm_src 0
		.amdhsa_exception_fp_ieee_div_zero 0
		.amdhsa_exception_fp_ieee_overflow 0
		.amdhsa_exception_fp_ieee_underflow 0
		.amdhsa_exception_fp_ieee_inexact 0
		.amdhsa_exception_int_div_zero 0
	.end_amdhsa_kernel
	.section	.text._ZN7rocprim17ROCPRIM_400000_NS6detail17trampoline_kernelINS0_14default_configENS1_38merge_sort_block_merge_config_selectorIlNS0_10empty_typeEEEZZNS1_27merge_sort_block_merge_implIS3_PlPS5_mZN2at6native12_GLOBAL__N_124unique_dim_cuda_templateIdEESt5tupleIJNSA_6TensorESF_SF_EERKSF_lbbbEUlllE_EE10hipError_tT0_T1_T2_jT3_P12ihipStream_tbPNSt15iterator_traitsISL_E10value_typeEPNSR_ISM_E10value_typeEPSN_NS1_7vsmem_tEENKUlT_SL_SM_SN_E_clIS8_S8_S9_S9_EESK_S10_SL_SM_SN_EUlS10_E_NS1_11comp_targetILNS1_3genE4ELNS1_11target_archE910ELNS1_3gpuE8ELNS1_3repE0EEENS1_48merge_mergepath_partition_config_static_selectorELNS0_4arch9wavefront6targetE1EEEvSM_,"axG",@progbits,_ZN7rocprim17ROCPRIM_400000_NS6detail17trampoline_kernelINS0_14default_configENS1_38merge_sort_block_merge_config_selectorIlNS0_10empty_typeEEEZZNS1_27merge_sort_block_merge_implIS3_PlPS5_mZN2at6native12_GLOBAL__N_124unique_dim_cuda_templateIdEESt5tupleIJNSA_6TensorESF_SF_EERKSF_lbbbEUlllE_EE10hipError_tT0_T1_T2_jT3_P12ihipStream_tbPNSt15iterator_traitsISL_E10value_typeEPNSR_ISM_E10value_typeEPSN_NS1_7vsmem_tEENKUlT_SL_SM_SN_E_clIS8_S8_S9_S9_EESK_S10_SL_SM_SN_EUlS10_E_NS1_11comp_targetILNS1_3genE4ELNS1_11target_archE910ELNS1_3gpuE8ELNS1_3repE0EEENS1_48merge_mergepath_partition_config_static_selectorELNS0_4arch9wavefront6targetE1EEEvSM_,comdat
.Lfunc_end761:
	.size	_ZN7rocprim17ROCPRIM_400000_NS6detail17trampoline_kernelINS0_14default_configENS1_38merge_sort_block_merge_config_selectorIlNS0_10empty_typeEEEZZNS1_27merge_sort_block_merge_implIS3_PlPS5_mZN2at6native12_GLOBAL__N_124unique_dim_cuda_templateIdEESt5tupleIJNSA_6TensorESF_SF_EERKSF_lbbbEUlllE_EE10hipError_tT0_T1_T2_jT3_P12ihipStream_tbPNSt15iterator_traitsISL_E10value_typeEPNSR_ISM_E10value_typeEPSN_NS1_7vsmem_tEENKUlT_SL_SM_SN_E_clIS8_S8_S9_S9_EESK_S10_SL_SM_SN_EUlS10_E_NS1_11comp_targetILNS1_3genE4ELNS1_11target_archE910ELNS1_3gpuE8ELNS1_3repE0EEENS1_48merge_mergepath_partition_config_static_selectorELNS0_4arch9wavefront6targetE1EEEvSM_, .Lfunc_end761-_ZN7rocprim17ROCPRIM_400000_NS6detail17trampoline_kernelINS0_14default_configENS1_38merge_sort_block_merge_config_selectorIlNS0_10empty_typeEEEZZNS1_27merge_sort_block_merge_implIS3_PlPS5_mZN2at6native12_GLOBAL__N_124unique_dim_cuda_templateIdEESt5tupleIJNSA_6TensorESF_SF_EERKSF_lbbbEUlllE_EE10hipError_tT0_T1_T2_jT3_P12ihipStream_tbPNSt15iterator_traitsISL_E10value_typeEPNSR_ISM_E10value_typeEPSN_NS1_7vsmem_tEENKUlT_SL_SM_SN_E_clIS8_S8_S9_S9_EESK_S10_SL_SM_SN_EUlS10_E_NS1_11comp_targetILNS1_3genE4ELNS1_11target_archE910ELNS1_3gpuE8ELNS1_3repE0EEENS1_48merge_mergepath_partition_config_static_selectorELNS0_4arch9wavefront6targetE1EEEvSM_
                                        ; -- End function
	.section	.AMDGPU.csdata,"",@progbits
; Kernel info:
; codeLenInByte = 824
; NumSgprs: 40
; NumVgprs: 23
; NumAgprs: 0
; TotalNumVgprs: 23
; ScratchSize: 0
; MemoryBound: 0
; FloatMode: 240
; IeeeMode: 1
; LDSByteSize: 0 bytes/workgroup (compile time only)
; SGPRBlocks: 4
; VGPRBlocks: 2
; NumSGPRsForWavesPerEU: 40
; NumVGPRsForWavesPerEU: 23
; AccumOffset: 24
; Occupancy: 8
; WaveLimiterHint : 0
; COMPUTE_PGM_RSRC2:SCRATCH_EN: 0
; COMPUTE_PGM_RSRC2:USER_SGPR: 6
; COMPUTE_PGM_RSRC2:TRAP_HANDLER: 0
; COMPUTE_PGM_RSRC2:TGID_X_EN: 1
; COMPUTE_PGM_RSRC2:TGID_Y_EN: 0
; COMPUTE_PGM_RSRC2:TGID_Z_EN: 0
; COMPUTE_PGM_RSRC2:TIDIG_COMP_CNT: 0
; COMPUTE_PGM_RSRC3_GFX90A:ACCUM_OFFSET: 5
; COMPUTE_PGM_RSRC3_GFX90A:TG_SPLIT: 0
	.section	.text._ZN7rocprim17ROCPRIM_400000_NS6detail17trampoline_kernelINS0_14default_configENS1_38merge_sort_block_merge_config_selectorIlNS0_10empty_typeEEEZZNS1_27merge_sort_block_merge_implIS3_PlPS5_mZN2at6native12_GLOBAL__N_124unique_dim_cuda_templateIdEESt5tupleIJNSA_6TensorESF_SF_EERKSF_lbbbEUlllE_EE10hipError_tT0_T1_T2_jT3_P12ihipStream_tbPNSt15iterator_traitsISL_E10value_typeEPNSR_ISM_E10value_typeEPSN_NS1_7vsmem_tEENKUlT_SL_SM_SN_E_clIS8_S8_S9_S9_EESK_S10_SL_SM_SN_EUlS10_E_NS1_11comp_targetILNS1_3genE3ELNS1_11target_archE908ELNS1_3gpuE7ELNS1_3repE0EEENS1_48merge_mergepath_partition_config_static_selectorELNS0_4arch9wavefront6targetE1EEEvSM_,"axG",@progbits,_ZN7rocprim17ROCPRIM_400000_NS6detail17trampoline_kernelINS0_14default_configENS1_38merge_sort_block_merge_config_selectorIlNS0_10empty_typeEEEZZNS1_27merge_sort_block_merge_implIS3_PlPS5_mZN2at6native12_GLOBAL__N_124unique_dim_cuda_templateIdEESt5tupleIJNSA_6TensorESF_SF_EERKSF_lbbbEUlllE_EE10hipError_tT0_T1_T2_jT3_P12ihipStream_tbPNSt15iterator_traitsISL_E10value_typeEPNSR_ISM_E10value_typeEPSN_NS1_7vsmem_tEENKUlT_SL_SM_SN_E_clIS8_S8_S9_S9_EESK_S10_SL_SM_SN_EUlS10_E_NS1_11comp_targetILNS1_3genE3ELNS1_11target_archE908ELNS1_3gpuE7ELNS1_3repE0EEENS1_48merge_mergepath_partition_config_static_selectorELNS0_4arch9wavefront6targetE1EEEvSM_,comdat
	.globl	_ZN7rocprim17ROCPRIM_400000_NS6detail17trampoline_kernelINS0_14default_configENS1_38merge_sort_block_merge_config_selectorIlNS0_10empty_typeEEEZZNS1_27merge_sort_block_merge_implIS3_PlPS5_mZN2at6native12_GLOBAL__N_124unique_dim_cuda_templateIdEESt5tupleIJNSA_6TensorESF_SF_EERKSF_lbbbEUlllE_EE10hipError_tT0_T1_T2_jT3_P12ihipStream_tbPNSt15iterator_traitsISL_E10value_typeEPNSR_ISM_E10value_typeEPSN_NS1_7vsmem_tEENKUlT_SL_SM_SN_E_clIS8_S8_S9_S9_EESK_S10_SL_SM_SN_EUlS10_E_NS1_11comp_targetILNS1_3genE3ELNS1_11target_archE908ELNS1_3gpuE7ELNS1_3repE0EEENS1_48merge_mergepath_partition_config_static_selectorELNS0_4arch9wavefront6targetE1EEEvSM_ ; -- Begin function _ZN7rocprim17ROCPRIM_400000_NS6detail17trampoline_kernelINS0_14default_configENS1_38merge_sort_block_merge_config_selectorIlNS0_10empty_typeEEEZZNS1_27merge_sort_block_merge_implIS3_PlPS5_mZN2at6native12_GLOBAL__N_124unique_dim_cuda_templateIdEESt5tupleIJNSA_6TensorESF_SF_EERKSF_lbbbEUlllE_EE10hipError_tT0_T1_T2_jT3_P12ihipStream_tbPNSt15iterator_traitsISL_E10value_typeEPNSR_ISM_E10value_typeEPSN_NS1_7vsmem_tEENKUlT_SL_SM_SN_E_clIS8_S8_S9_S9_EESK_S10_SL_SM_SN_EUlS10_E_NS1_11comp_targetILNS1_3genE3ELNS1_11target_archE908ELNS1_3gpuE7ELNS1_3repE0EEENS1_48merge_mergepath_partition_config_static_selectorELNS0_4arch9wavefront6targetE1EEEvSM_
	.p2align	8
	.type	_ZN7rocprim17ROCPRIM_400000_NS6detail17trampoline_kernelINS0_14default_configENS1_38merge_sort_block_merge_config_selectorIlNS0_10empty_typeEEEZZNS1_27merge_sort_block_merge_implIS3_PlPS5_mZN2at6native12_GLOBAL__N_124unique_dim_cuda_templateIdEESt5tupleIJNSA_6TensorESF_SF_EERKSF_lbbbEUlllE_EE10hipError_tT0_T1_T2_jT3_P12ihipStream_tbPNSt15iterator_traitsISL_E10value_typeEPNSR_ISM_E10value_typeEPSN_NS1_7vsmem_tEENKUlT_SL_SM_SN_E_clIS8_S8_S9_S9_EESK_S10_SL_SM_SN_EUlS10_E_NS1_11comp_targetILNS1_3genE3ELNS1_11target_archE908ELNS1_3gpuE7ELNS1_3repE0EEENS1_48merge_mergepath_partition_config_static_selectorELNS0_4arch9wavefront6targetE1EEEvSM_,@function
_ZN7rocprim17ROCPRIM_400000_NS6detail17trampoline_kernelINS0_14default_configENS1_38merge_sort_block_merge_config_selectorIlNS0_10empty_typeEEEZZNS1_27merge_sort_block_merge_implIS3_PlPS5_mZN2at6native12_GLOBAL__N_124unique_dim_cuda_templateIdEESt5tupleIJNSA_6TensorESF_SF_EERKSF_lbbbEUlllE_EE10hipError_tT0_T1_T2_jT3_P12ihipStream_tbPNSt15iterator_traitsISL_E10value_typeEPNSR_ISM_E10value_typeEPSN_NS1_7vsmem_tEENKUlT_SL_SM_SN_E_clIS8_S8_S9_S9_EESK_S10_SL_SM_SN_EUlS10_E_NS1_11comp_targetILNS1_3genE3ELNS1_11target_archE908ELNS1_3gpuE7ELNS1_3repE0EEENS1_48merge_mergepath_partition_config_static_selectorELNS0_4arch9wavefront6targetE1EEEvSM_: ; @_ZN7rocprim17ROCPRIM_400000_NS6detail17trampoline_kernelINS0_14default_configENS1_38merge_sort_block_merge_config_selectorIlNS0_10empty_typeEEEZZNS1_27merge_sort_block_merge_implIS3_PlPS5_mZN2at6native12_GLOBAL__N_124unique_dim_cuda_templateIdEESt5tupleIJNSA_6TensorESF_SF_EERKSF_lbbbEUlllE_EE10hipError_tT0_T1_T2_jT3_P12ihipStream_tbPNSt15iterator_traitsISL_E10value_typeEPNSR_ISM_E10value_typeEPSN_NS1_7vsmem_tEENKUlT_SL_SM_SN_E_clIS8_S8_S9_S9_EESK_S10_SL_SM_SN_EUlS10_E_NS1_11comp_targetILNS1_3genE3ELNS1_11target_archE908ELNS1_3gpuE7ELNS1_3repE0EEENS1_48merge_mergepath_partition_config_static_selectorELNS0_4arch9wavefront6targetE1EEEvSM_
; %bb.0:
	.section	.rodata,"a",@progbits
	.p2align	6, 0x0
	.amdhsa_kernel _ZN7rocprim17ROCPRIM_400000_NS6detail17trampoline_kernelINS0_14default_configENS1_38merge_sort_block_merge_config_selectorIlNS0_10empty_typeEEEZZNS1_27merge_sort_block_merge_implIS3_PlPS5_mZN2at6native12_GLOBAL__N_124unique_dim_cuda_templateIdEESt5tupleIJNSA_6TensorESF_SF_EERKSF_lbbbEUlllE_EE10hipError_tT0_T1_T2_jT3_P12ihipStream_tbPNSt15iterator_traitsISL_E10value_typeEPNSR_ISM_E10value_typeEPSN_NS1_7vsmem_tEENKUlT_SL_SM_SN_E_clIS8_S8_S9_S9_EESK_S10_SL_SM_SN_EUlS10_E_NS1_11comp_targetILNS1_3genE3ELNS1_11target_archE908ELNS1_3gpuE7ELNS1_3repE0EEENS1_48merge_mergepath_partition_config_static_selectorELNS0_4arch9wavefront6targetE1EEEvSM_
		.amdhsa_group_segment_fixed_size 0
		.amdhsa_private_segment_fixed_size 0
		.amdhsa_kernarg_size 56
		.amdhsa_user_sgpr_count 6
		.amdhsa_user_sgpr_private_segment_buffer 1
		.amdhsa_user_sgpr_dispatch_ptr 0
		.amdhsa_user_sgpr_queue_ptr 0
		.amdhsa_user_sgpr_kernarg_segment_ptr 1
		.amdhsa_user_sgpr_dispatch_id 0
		.amdhsa_user_sgpr_flat_scratch_init 0
		.amdhsa_user_sgpr_kernarg_preload_length 0
		.amdhsa_user_sgpr_kernarg_preload_offset 0
		.amdhsa_user_sgpr_private_segment_size 0
		.amdhsa_uses_dynamic_stack 0
		.amdhsa_system_sgpr_private_segment_wavefront_offset 0
		.amdhsa_system_sgpr_workgroup_id_x 1
		.amdhsa_system_sgpr_workgroup_id_y 0
		.amdhsa_system_sgpr_workgroup_id_z 0
		.amdhsa_system_sgpr_workgroup_info 0
		.amdhsa_system_vgpr_workitem_id 0
		.amdhsa_next_free_vgpr 1
		.amdhsa_next_free_sgpr 0
		.amdhsa_accum_offset 4
		.amdhsa_reserve_vcc 0
		.amdhsa_reserve_flat_scratch 0
		.amdhsa_float_round_mode_32 0
		.amdhsa_float_round_mode_16_64 0
		.amdhsa_float_denorm_mode_32 3
		.amdhsa_float_denorm_mode_16_64 3
		.amdhsa_dx10_clamp 1
		.amdhsa_ieee_mode 1
		.amdhsa_fp16_overflow 0
		.amdhsa_tg_split 0
		.amdhsa_exception_fp_ieee_invalid_op 0
		.amdhsa_exception_fp_denorm_src 0
		.amdhsa_exception_fp_ieee_div_zero 0
		.amdhsa_exception_fp_ieee_overflow 0
		.amdhsa_exception_fp_ieee_underflow 0
		.amdhsa_exception_fp_ieee_inexact 0
		.amdhsa_exception_int_div_zero 0
	.end_amdhsa_kernel
	.section	.text._ZN7rocprim17ROCPRIM_400000_NS6detail17trampoline_kernelINS0_14default_configENS1_38merge_sort_block_merge_config_selectorIlNS0_10empty_typeEEEZZNS1_27merge_sort_block_merge_implIS3_PlPS5_mZN2at6native12_GLOBAL__N_124unique_dim_cuda_templateIdEESt5tupleIJNSA_6TensorESF_SF_EERKSF_lbbbEUlllE_EE10hipError_tT0_T1_T2_jT3_P12ihipStream_tbPNSt15iterator_traitsISL_E10value_typeEPNSR_ISM_E10value_typeEPSN_NS1_7vsmem_tEENKUlT_SL_SM_SN_E_clIS8_S8_S9_S9_EESK_S10_SL_SM_SN_EUlS10_E_NS1_11comp_targetILNS1_3genE3ELNS1_11target_archE908ELNS1_3gpuE7ELNS1_3repE0EEENS1_48merge_mergepath_partition_config_static_selectorELNS0_4arch9wavefront6targetE1EEEvSM_,"axG",@progbits,_ZN7rocprim17ROCPRIM_400000_NS6detail17trampoline_kernelINS0_14default_configENS1_38merge_sort_block_merge_config_selectorIlNS0_10empty_typeEEEZZNS1_27merge_sort_block_merge_implIS3_PlPS5_mZN2at6native12_GLOBAL__N_124unique_dim_cuda_templateIdEESt5tupleIJNSA_6TensorESF_SF_EERKSF_lbbbEUlllE_EE10hipError_tT0_T1_T2_jT3_P12ihipStream_tbPNSt15iterator_traitsISL_E10value_typeEPNSR_ISM_E10value_typeEPSN_NS1_7vsmem_tEENKUlT_SL_SM_SN_E_clIS8_S8_S9_S9_EESK_S10_SL_SM_SN_EUlS10_E_NS1_11comp_targetILNS1_3genE3ELNS1_11target_archE908ELNS1_3gpuE7ELNS1_3repE0EEENS1_48merge_mergepath_partition_config_static_selectorELNS0_4arch9wavefront6targetE1EEEvSM_,comdat
.Lfunc_end762:
	.size	_ZN7rocprim17ROCPRIM_400000_NS6detail17trampoline_kernelINS0_14default_configENS1_38merge_sort_block_merge_config_selectorIlNS0_10empty_typeEEEZZNS1_27merge_sort_block_merge_implIS3_PlPS5_mZN2at6native12_GLOBAL__N_124unique_dim_cuda_templateIdEESt5tupleIJNSA_6TensorESF_SF_EERKSF_lbbbEUlllE_EE10hipError_tT0_T1_T2_jT3_P12ihipStream_tbPNSt15iterator_traitsISL_E10value_typeEPNSR_ISM_E10value_typeEPSN_NS1_7vsmem_tEENKUlT_SL_SM_SN_E_clIS8_S8_S9_S9_EESK_S10_SL_SM_SN_EUlS10_E_NS1_11comp_targetILNS1_3genE3ELNS1_11target_archE908ELNS1_3gpuE7ELNS1_3repE0EEENS1_48merge_mergepath_partition_config_static_selectorELNS0_4arch9wavefront6targetE1EEEvSM_, .Lfunc_end762-_ZN7rocprim17ROCPRIM_400000_NS6detail17trampoline_kernelINS0_14default_configENS1_38merge_sort_block_merge_config_selectorIlNS0_10empty_typeEEEZZNS1_27merge_sort_block_merge_implIS3_PlPS5_mZN2at6native12_GLOBAL__N_124unique_dim_cuda_templateIdEESt5tupleIJNSA_6TensorESF_SF_EERKSF_lbbbEUlllE_EE10hipError_tT0_T1_T2_jT3_P12ihipStream_tbPNSt15iterator_traitsISL_E10value_typeEPNSR_ISM_E10value_typeEPSN_NS1_7vsmem_tEENKUlT_SL_SM_SN_E_clIS8_S8_S9_S9_EESK_S10_SL_SM_SN_EUlS10_E_NS1_11comp_targetILNS1_3genE3ELNS1_11target_archE908ELNS1_3gpuE7ELNS1_3repE0EEENS1_48merge_mergepath_partition_config_static_selectorELNS0_4arch9wavefront6targetE1EEEvSM_
                                        ; -- End function
	.section	.AMDGPU.csdata,"",@progbits
; Kernel info:
; codeLenInByte = 0
; NumSgprs: 4
; NumVgprs: 0
; NumAgprs: 0
; TotalNumVgprs: 0
; ScratchSize: 0
; MemoryBound: 0
; FloatMode: 240
; IeeeMode: 1
; LDSByteSize: 0 bytes/workgroup (compile time only)
; SGPRBlocks: 0
; VGPRBlocks: 0
; NumSGPRsForWavesPerEU: 4
; NumVGPRsForWavesPerEU: 1
; AccumOffset: 4
; Occupancy: 8
; WaveLimiterHint : 0
; COMPUTE_PGM_RSRC2:SCRATCH_EN: 0
; COMPUTE_PGM_RSRC2:USER_SGPR: 6
; COMPUTE_PGM_RSRC2:TRAP_HANDLER: 0
; COMPUTE_PGM_RSRC2:TGID_X_EN: 1
; COMPUTE_PGM_RSRC2:TGID_Y_EN: 0
; COMPUTE_PGM_RSRC2:TGID_Z_EN: 0
; COMPUTE_PGM_RSRC2:TIDIG_COMP_CNT: 0
; COMPUTE_PGM_RSRC3_GFX90A:ACCUM_OFFSET: 0
; COMPUTE_PGM_RSRC3_GFX90A:TG_SPLIT: 0
	.section	.text._ZN7rocprim17ROCPRIM_400000_NS6detail17trampoline_kernelINS0_14default_configENS1_38merge_sort_block_merge_config_selectorIlNS0_10empty_typeEEEZZNS1_27merge_sort_block_merge_implIS3_PlPS5_mZN2at6native12_GLOBAL__N_124unique_dim_cuda_templateIdEESt5tupleIJNSA_6TensorESF_SF_EERKSF_lbbbEUlllE_EE10hipError_tT0_T1_T2_jT3_P12ihipStream_tbPNSt15iterator_traitsISL_E10value_typeEPNSR_ISM_E10value_typeEPSN_NS1_7vsmem_tEENKUlT_SL_SM_SN_E_clIS8_S8_S9_S9_EESK_S10_SL_SM_SN_EUlS10_E_NS1_11comp_targetILNS1_3genE2ELNS1_11target_archE906ELNS1_3gpuE6ELNS1_3repE0EEENS1_48merge_mergepath_partition_config_static_selectorELNS0_4arch9wavefront6targetE1EEEvSM_,"axG",@progbits,_ZN7rocprim17ROCPRIM_400000_NS6detail17trampoline_kernelINS0_14default_configENS1_38merge_sort_block_merge_config_selectorIlNS0_10empty_typeEEEZZNS1_27merge_sort_block_merge_implIS3_PlPS5_mZN2at6native12_GLOBAL__N_124unique_dim_cuda_templateIdEESt5tupleIJNSA_6TensorESF_SF_EERKSF_lbbbEUlllE_EE10hipError_tT0_T1_T2_jT3_P12ihipStream_tbPNSt15iterator_traitsISL_E10value_typeEPNSR_ISM_E10value_typeEPSN_NS1_7vsmem_tEENKUlT_SL_SM_SN_E_clIS8_S8_S9_S9_EESK_S10_SL_SM_SN_EUlS10_E_NS1_11comp_targetILNS1_3genE2ELNS1_11target_archE906ELNS1_3gpuE6ELNS1_3repE0EEENS1_48merge_mergepath_partition_config_static_selectorELNS0_4arch9wavefront6targetE1EEEvSM_,comdat
	.globl	_ZN7rocprim17ROCPRIM_400000_NS6detail17trampoline_kernelINS0_14default_configENS1_38merge_sort_block_merge_config_selectorIlNS0_10empty_typeEEEZZNS1_27merge_sort_block_merge_implIS3_PlPS5_mZN2at6native12_GLOBAL__N_124unique_dim_cuda_templateIdEESt5tupleIJNSA_6TensorESF_SF_EERKSF_lbbbEUlllE_EE10hipError_tT0_T1_T2_jT3_P12ihipStream_tbPNSt15iterator_traitsISL_E10value_typeEPNSR_ISM_E10value_typeEPSN_NS1_7vsmem_tEENKUlT_SL_SM_SN_E_clIS8_S8_S9_S9_EESK_S10_SL_SM_SN_EUlS10_E_NS1_11comp_targetILNS1_3genE2ELNS1_11target_archE906ELNS1_3gpuE6ELNS1_3repE0EEENS1_48merge_mergepath_partition_config_static_selectorELNS0_4arch9wavefront6targetE1EEEvSM_ ; -- Begin function _ZN7rocprim17ROCPRIM_400000_NS6detail17trampoline_kernelINS0_14default_configENS1_38merge_sort_block_merge_config_selectorIlNS0_10empty_typeEEEZZNS1_27merge_sort_block_merge_implIS3_PlPS5_mZN2at6native12_GLOBAL__N_124unique_dim_cuda_templateIdEESt5tupleIJNSA_6TensorESF_SF_EERKSF_lbbbEUlllE_EE10hipError_tT0_T1_T2_jT3_P12ihipStream_tbPNSt15iterator_traitsISL_E10value_typeEPNSR_ISM_E10value_typeEPSN_NS1_7vsmem_tEENKUlT_SL_SM_SN_E_clIS8_S8_S9_S9_EESK_S10_SL_SM_SN_EUlS10_E_NS1_11comp_targetILNS1_3genE2ELNS1_11target_archE906ELNS1_3gpuE6ELNS1_3repE0EEENS1_48merge_mergepath_partition_config_static_selectorELNS0_4arch9wavefront6targetE1EEEvSM_
	.p2align	8
	.type	_ZN7rocprim17ROCPRIM_400000_NS6detail17trampoline_kernelINS0_14default_configENS1_38merge_sort_block_merge_config_selectorIlNS0_10empty_typeEEEZZNS1_27merge_sort_block_merge_implIS3_PlPS5_mZN2at6native12_GLOBAL__N_124unique_dim_cuda_templateIdEESt5tupleIJNSA_6TensorESF_SF_EERKSF_lbbbEUlllE_EE10hipError_tT0_T1_T2_jT3_P12ihipStream_tbPNSt15iterator_traitsISL_E10value_typeEPNSR_ISM_E10value_typeEPSN_NS1_7vsmem_tEENKUlT_SL_SM_SN_E_clIS8_S8_S9_S9_EESK_S10_SL_SM_SN_EUlS10_E_NS1_11comp_targetILNS1_3genE2ELNS1_11target_archE906ELNS1_3gpuE6ELNS1_3repE0EEENS1_48merge_mergepath_partition_config_static_selectorELNS0_4arch9wavefront6targetE1EEEvSM_,@function
_ZN7rocprim17ROCPRIM_400000_NS6detail17trampoline_kernelINS0_14default_configENS1_38merge_sort_block_merge_config_selectorIlNS0_10empty_typeEEEZZNS1_27merge_sort_block_merge_implIS3_PlPS5_mZN2at6native12_GLOBAL__N_124unique_dim_cuda_templateIdEESt5tupleIJNSA_6TensorESF_SF_EERKSF_lbbbEUlllE_EE10hipError_tT0_T1_T2_jT3_P12ihipStream_tbPNSt15iterator_traitsISL_E10value_typeEPNSR_ISM_E10value_typeEPSN_NS1_7vsmem_tEENKUlT_SL_SM_SN_E_clIS8_S8_S9_S9_EESK_S10_SL_SM_SN_EUlS10_E_NS1_11comp_targetILNS1_3genE2ELNS1_11target_archE906ELNS1_3gpuE6ELNS1_3repE0EEENS1_48merge_mergepath_partition_config_static_selectorELNS0_4arch9wavefront6targetE1EEEvSM_: ; @_ZN7rocprim17ROCPRIM_400000_NS6detail17trampoline_kernelINS0_14default_configENS1_38merge_sort_block_merge_config_selectorIlNS0_10empty_typeEEEZZNS1_27merge_sort_block_merge_implIS3_PlPS5_mZN2at6native12_GLOBAL__N_124unique_dim_cuda_templateIdEESt5tupleIJNSA_6TensorESF_SF_EERKSF_lbbbEUlllE_EE10hipError_tT0_T1_T2_jT3_P12ihipStream_tbPNSt15iterator_traitsISL_E10value_typeEPNSR_ISM_E10value_typeEPSN_NS1_7vsmem_tEENKUlT_SL_SM_SN_E_clIS8_S8_S9_S9_EESK_S10_SL_SM_SN_EUlS10_E_NS1_11comp_targetILNS1_3genE2ELNS1_11target_archE906ELNS1_3gpuE6ELNS1_3repE0EEENS1_48merge_mergepath_partition_config_static_selectorELNS0_4arch9wavefront6targetE1EEEvSM_
; %bb.0:
	.section	.rodata,"a",@progbits
	.p2align	6, 0x0
	.amdhsa_kernel _ZN7rocprim17ROCPRIM_400000_NS6detail17trampoline_kernelINS0_14default_configENS1_38merge_sort_block_merge_config_selectorIlNS0_10empty_typeEEEZZNS1_27merge_sort_block_merge_implIS3_PlPS5_mZN2at6native12_GLOBAL__N_124unique_dim_cuda_templateIdEESt5tupleIJNSA_6TensorESF_SF_EERKSF_lbbbEUlllE_EE10hipError_tT0_T1_T2_jT3_P12ihipStream_tbPNSt15iterator_traitsISL_E10value_typeEPNSR_ISM_E10value_typeEPSN_NS1_7vsmem_tEENKUlT_SL_SM_SN_E_clIS8_S8_S9_S9_EESK_S10_SL_SM_SN_EUlS10_E_NS1_11comp_targetILNS1_3genE2ELNS1_11target_archE906ELNS1_3gpuE6ELNS1_3repE0EEENS1_48merge_mergepath_partition_config_static_selectorELNS0_4arch9wavefront6targetE1EEEvSM_
		.amdhsa_group_segment_fixed_size 0
		.amdhsa_private_segment_fixed_size 0
		.amdhsa_kernarg_size 56
		.amdhsa_user_sgpr_count 6
		.amdhsa_user_sgpr_private_segment_buffer 1
		.amdhsa_user_sgpr_dispatch_ptr 0
		.amdhsa_user_sgpr_queue_ptr 0
		.amdhsa_user_sgpr_kernarg_segment_ptr 1
		.amdhsa_user_sgpr_dispatch_id 0
		.amdhsa_user_sgpr_flat_scratch_init 0
		.amdhsa_user_sgpr_kernarg_preload_length 0
		.amdhsa_user_sgpr_kernarg_preload_offset 0
		.amdhsa_user_sgpr_private_segment_size 0
		.amdhsa_uses_dynamic_stack 0
		.amdhsa_system_sgpr_private_segment_wavefront_offset 0
		.amdhsa_system_sgpr_workgroup_id_x 1
		.amdhsa_system_sgpr_workgroup_id_y 0
		.amdhsa_system_sgpr_workgroup_id_z 0
		.amdhsa_system_sgpr_workgroup_info 0
		.amdhsa_system_vgpr_workitem_id 0
		.amdhsa_next_free_vgpr 1
		.amdhsa_next_free_sgpr 0
		.amdhsa_accum_offset 4
		.amdhsa_reserve_vcc 0
		.amdhsa_reserve_flat_scratch 0
		.amdhsa_float_round_mode_32 0
		.amdhsa_float_round_mode_16_64 0
		.amdhsa_float_denorm_mode_32 3
		.amdhsa_float_denorm_mode_16_64 3
		.amdhsa_dx10_clamp 1
		.amdhsa_ieee_mode 1
		.amdhsa_fp16_overflow 0
		.amdhsa_tg_split 0
		.amdhsa_exception_fp_ieee_invalid_op 0
		.amdhsa_exception_fp_denorm_src 0
		.amdhsa_exception_fp_ieee_div_zero 0
		.amdhsa_exception_fp_ieee_overflow 0
		.amdhsa_exception_fp_ieee_underflow 0
		.amdhsa_exception_fp_ieee_inexact 0
		.amdhsa_exception_int_div_zero 0
	.end_amdhsa_kernel
	.section	.text._ZN7rocprim17ROCPRIM_400000_NS6detail17trampoline_kernelINS0_14default_configENS1_38merge_sort_block_merge_config_selectorIlNS0_10empty_typeEEEZZNS1_27merge_sort_block_merge_implIS3_PlPS5_mZN2at6native12_GLOBAL__N_124unique_dim_cuda_templateIdEESt5tupleIJNSA_6TensorESF_SF_EERKSF_lbbbEUlllE_EE10hipError_tT0_T1_T2_jT3_P12ihipStream_tbPNSt15iterator_traitsISL_E10value_typeEPNSR_ISM_E10value_typeEPSN_NS1_7vsmem_tEENKUlT_SL_SM_SN_E_clIS8_S8_S9_S9_EESK_S10_SL_SM_SN_EUlS10_E_NS1_11comp_targetILNS1_3genE2ELNS1_11target_archE906ELNS1_3gpuE6ELNS1_3repE0EEENS1_48merge_mergepath_partition_config_static_selectorELNS0_4arch9wavefront6targetE1EEEvSM_,"axG",@progbits,_ZN7rocprim17ROCPRIM_400000_NS6detail17trampoline_kernelINS0_14default_configENS1_38merge_sort_block_merge_config_selectorIlNS0_10empty_typeEEEZZNS1_27merge_sort_block_merge_implIS3_PlPS5_mZN2at6native12_GLOBAL__N_124unique_dim_cuda_templateIdEESt5tupleIJNSA_6TensorESF_SF_EERKSF_lbbbEUlllE_EE10hipError_tT0_T1_T2_jT3_P12ihipStream_tbPNSt15iterator_traitsISL_E10value_typeEPNSR_ISM_E10value_typeEPSN_NS1_7vsmem_tEENKUlT_SL_SM_SN_E_clIS8_S8_S9_S9_EESK_S10_SL_SM_SN_EUlS10_E_NS1_11comp_targetILNS1_3genE2ELNS1_11target_archE906ELNS1_3gpuE6ELNS1_3repE0EEENS1_48merge_mergepath_partition_config_static_selectorELNS0_4arch9wavefront6targetE1EEEvSM_,comdat
.Lfunc_end763:
	.size	_ZN7rocprim17ROCPRIM_400000_NS6detail17trampoline_kernelINS0_14default_configENS1_38merge_sort_block_merge_config_selectorIlNS0_10empty_typeEEEZZNS1_27merge_sort_block_merge_implIS3_PlPS5_mZN2at6native12_GLOBAL__N_124unique_dim_cuda_templateIdEESt5tupleIJNSA_6TensorESF_SF_EERKSF_lbbbEUlllE_EE10hipError_tT0_T1_T2_jT3_P12ihipStream_tbPNSt15iterator_traitsISL_E10value_typeEPNSR_ISM_E10value_typeEPSN_NS1_7vsmem_tEENKUlT_SL_SM_SN_E_clIS8_S8_S9_S9_EESK_S10_SL_SM_SN_EUlS10_E_NS1_11comp_targetILNS1_3genE2ELNS1_11target_archE906ELNS1_3gpuE6ELNS1_3repE0EEENS1_48merge_mergepath_partition_config_static_selectorELNS0_4arch9wavefront6targetE1EEEvSM_, .Lfunc_end763-_ZN7rocprim17ROCPRIM_400000_NS6detail17trampoline_kernelINS0_14default_configENS1_38merge_sort_block_merge_config_selectorIlNS0_10empty_typeEEEZZNS1_27merge_sort_block_merge_implIS3_PlPS5_mZN2at6native12_GLOBAL__N_124unique_dim_cuda_templateIdEESt5tupleIJNSA_6TensorESF_SF_EERKSF_lbbbEUlllE_EE10hipError_tT0_T1_T2_jT3_P12ihipStream_tbPNSt15iterator_traitsISL_E10value_typeEPNSR_ISM_E10value_typeEPSN_NS1_7vsmem_tEENKUlT_SL_SM_SN_E_clIS8_S8_S9_S9_EESK_S10_SL_SM_SN_EUlS10_E_NS1_11comp_targetILNS1_3genE2ELNS1_11target_archE906ELNS1_3gpuE6ELNS1_3repE0EEENS1_48merge_mergepath_partition_config_static_selectorELNS0_4arch9wavefront6targetE1EEEvSM_
                                        ; -- End function
	.section	.AMDGPU.csdata,"",@progbits
; Kernel info:
; codeLenInByte = 0
; NumSgprs: 4
; NumVgprs: 0
; NumAgprs: 0
; TotalNumVgprs: 0
; ScratchSize: 0
; MemoryBound: 0
; FloatMode: 240
; IeeeMode: 1
; LDSByteSize: 0 bytes/workgroup (compile time only)
; SGPRBlocks: 0
; VGPRBlocks: 0
; NumSGPRsForWavesPerEU: 4
; NumVGPRsForWavesPerEU: 1
; AccumOffset: 4
; Occupancy: 8
; WaveLimiterHint : 0
; COMPUTE_PGM_RSRC2:SCRATCH_EN: 0
; COMPUTE_PGM_RSRC2:USER_SGPR: 6
; COMPUTE_PGM_RSRC2:TRAP_HANDLER: 0
; COMPUTE_PGM_RSRC2:TGID_X_EN: 1
; COMPUTE_PGM_RSRC2:TGID_Y_EN: 0
; COMPUTE_PGM_RSRC2:TGID_Z_EN: 0
; COMPUTE_PGM_RSRC2:TIDIG_COMP_CNT: 0
; COMPUTE_PGM_RSRC3_GFX90A:ACCUM_OFFSET: 0
; COMPUTE_PGM_RSRC3_GFX90A:TG_SPLIT: 0
	.section	.text._ZN7rocprim17ROCPRIM_400000_NS6detail17trampoline_kernelINS0_14default_configENS1_38merge_sort_block_merge_config_selectorIlNS0_10empty_typeEEEZZNS1_27merge_sort_block_merge_implIS3_PlPS5_mZN2at6native12_GLOBAL__N_124unique_dim_cuda_templateIdEESt5tupleIJNSA_6TensorESF_SF_EERKSF_lbbbEUlllE_EE10hipError_tT0_T1_T2_jT3_P12ihipStream_tbPNSt15iterator_traitsISL_E10value_typeEPNSR_ISM_E10value_typeEPSN_NS1_7vsmem_tEENKUlT_SL_SM_SN_E_clIS8_S8_S9_S9_EESK_S10_SL_SM_SN_EUlS10_E_NS1_11comp_targetILNS1_3genE9ELNS1_11target_archE1100ELNS1_3gpuE3ELNS1_3repE0EEENS1_48merge_mergepath_partition_config_static_selectorELNS0_4arch9wavefront6targetE1EEEvSM_,"axG",@progbits,_ZN7rocprim17ROCPRIM_400000_NS6detail17trampoline_kernelINS0_14default_configENS1_38merge_sort_block_merge_config_selectorIlNS0_10empty_typeEEEZZNS1_27merge_sort_block_merge_implIS3_PlPS5_mZN2at6native12_GLOBAL__N_124unique_dim_cuda_templateIdEESt5tupleIJNSA_6TensorESF_SF_EERKSF_lbbbEUlllE_EE10hipError_tT0_T1_T2_jT3_P12ihipStream_tbPNSt15iterator_traitsISL_E10value_typeEPNSR_ISM_E10value_typeEPSN_NS1_7vsmem_tEENKUlT_SL_SM_SN_E_clIS8_S8_S9_S9_EESK_S10_SL_SM_SN_EUlS10_E_NS1_11comp_targetILNS1_3genE9ELNS1_11target_archE1100ELNS1_3gpuE3ELNS1_3repE0EEENS1_48merge_mergepath_partition_config_static_selectorELNS0_4arch9wavefront6targetE1EEEvSM_,comdat
	.globl	_ZN7rocprim17ROCPRIM_400000_NS6detail17trampoline_kernelINS0_14default_configENS1_38merge_sort_block_merge_config_selectorIlNS0_10empty_typeEEEZZNS1_27merge_sort_block_merge_implIS3_PlPS5_mZN2at6native12_GLOBAL__N_124unique_dim_cuda_templateIdEESt5tupleIJNSA_6TensorESF_SF_EERKSF_lbbbEUlllE_EE10hipError_tT0_T1_T2_jT3_P12ihipStream_tbPNSt15iterator_traitsISL_E10value_typeEPNSR_ISM_E10value_typeEPSN_NS1_7vsmem_tEENKUlT_SL_SM_SN_E_clIS8_S8_S9_S9_EESK_S10_SL_SM_SN_EUlS10_E_NS1_11comp_targetILNS1_3genE9ELNS1_11target_archE1100ELNS1_3gpuE3ELNS1_3repE0EEENS1_48merge_mergepath_partition_config_static_selectorELNS0_4arch9wavefront6targetE1EEEvSM_ ; -- Begin function _ZN7rocprim17ROCPRIM_400000_NS6detail17trampoline_kernelINS0_14default_configENS1_38merge_sort_block_merge_config_selectorIlNS0_10empty_typeEEEZZNS1_27merge_sort_block_merge_implIS3_PlPS5_mZN2at6native12_GLOBAL__N_124unique_dim_cuda_templateIdEESt5tupleIJNSA_6TensorESF_SF_EERKSF_lbbbEUlllE_EE10hipError_tT0_T1_T2_jT3_P12ihipStream_tbPNSt15iterator_traitsISL_E10value_typeEPNSR_ISM_E10value_typeEPSN_NS1_7vsmem_tEENKUlT_SL_SM_SN_E_clIS8_S8_S9_S9_EESK_S10_SL_SM_SN_EUlS10_E_NS1_11comp_targetILNS1_3genE9ELNS1_11target_archE1100ELNS1_3gpuE3ELNS1_3repE0EEENS1_48merge_mergepath_partition_config_static_selectorELNS0_4arch9wavefront6targetE1EEEvSM_
	.p2align	8
	.type	_ZN7rocprim17ROCPRIM_400000_NS6detail17trampoline_kernelINS0_14default_configENS1_38merge_sort_block_merge_config_selectorIlNS0_10empty_typeEEEZZNS1_27merge_sort_block_merge_implIS3_PlPS5_mZN2at6native12_GLOBAL__N_124unique_dim_cuda_templateIdEESt5tupleIJNSA_6TensorESF_SF_EERKSF_lbbbEUlllE_EE10hipError_tT0_T1_T2_jT3_P12ihipStream_tbPNSt15iterator_traitsISL_E10value_typeEPNSR_ISM_E10value_typeEPSN_NS1_7vsmem_tEENKUlT_SL_SM_SN_E_clIS8_S8_S9_S9_EESK_S10_SL_SM_SN_EUlS10_E_NS1_11comp_targetILNS1_3genE9ELNS1_11target_archE1100ELNS1_3gpuE3ELNS1_3repE0EEENS1_48merge_mergepath_partition_config_static_selectorELNS0_4arch9wavefront6targetE1EEEvSM_,@function
_ZN7rocprim17ROCPRIM_400000_NS6detail17trampoline_kernelINS0_14default_configENS1_38merge_sort_block_merge_config_selectorIlNS0_10empty_typeEEEZZNS1_27merge_sort_block_merge_implIS3_PlPS5_mZN2at6native12_GLOBAL__N_124unique_dim_cuda_templateIdEESt5tupleIJNSA_6TensorESF_SF_EERKSF_lbbbEUlllE_EE10hipError_tT0_T1_T2_jT3_P12ihipStream_tbPNSt15iterator_traitsISL_E10value_typeEPNSR_ISM_E10value_typeEPSN_NS1_7vsmem_tEENKUlT_SL_SM_SN_E_clIS8_S8_S9_S9_EESK_S10_SL_SM_SN_EUlS10_E_NS1_11comp_targetILNS1_3genE9ELNS1_11target_archE1100ELNS1_3gpuE3ELNS1_3repE0EEENS1_48merge_mergepath_partition_config_static_selectorELNS0_4arch9wavefront6targetE1EEEvSM_: ; @_ZN7rocprim17ROCPRIM_400000_NS6detail17trampoline_kernelINS0_14default_configENS1_38merge_sort_block_merge_config_selectorIlNS0_10empty_typeEEEZZNS1_27merge_sort_block_merge_implIS3_PlPS5_mZN2at6native12_GLOBAL__N_124unique_dim_cuda_templateIdEESt5tupleIJNSA_6TensorESF_SF_EERKSF_lbbbEUlllE_EE10hipError_tT0_T1_T2_jT3_P12ihipStream_tbPNSt15iterator_traitsISL_E10value_typeEPNSR_ISM_E10value_typeEPSN_NS1_7vsmem_tEENKUlT_SL_SM_SN_E_clIS8_S8_S9_S9_EESK_S10_SL_SM_SN_EUlS10_E_NS1_11comp_targetILNS1_3genE9ELNS1_11target_archE1100ELNS1_3gpuE3ELNS1_3repE0EEENS1_48merge_mergepath_partition_config_static_selectorELNS0_4arch9wavefront6targetE1EEEvSM_
; %bb.0:
	.section	.rodata,"a",@progbits
	.p2align	6, 0x0
	.amdhsa_kernel _ZN7rocprim17ROCPRIM_400000_NS6detail17trampoline_kernelINS0_14default_configENS1_38merge_sort_block_merge_config_selectorIlNS0_10empty_typeEEEZZNS1_27merge_sort_block_merge_implIS3_PlPS5_mZN2at6native12_GLOBAL__N_124unique_dim_cuda_templateIdEESt5tupleIJNSA_6TensorESF_SF_EERKSF_lbbbEUlllE_EE10hipError_tT0_T1_T2_jT3_P12ihipStream_tbPNSt15iterator_traitsISL_E10value_typeEPNSR_ISM_E10value_typeEPSN_NS1_7vsmem_tEENKUlT_SL_SM_SN_E_clIS8_S8_S9_S9_EESK_S10_SL_SM_SN_EUlS10_E_NS1_11comp_targetILNS1_3genE9ELNS1_11target_archE1100ELNS1_3gpuE3ELNS1_3repE0EEENS1_48merge_mergepath_partition_config_static_selectorELNS0_4arch9wavefront6targetE1EEEvSM_
		.amdhsa_group_segment_fixed_size 0
		.amdhsa_private_segment_fixed_size 0
		.amdhsa_kernarg_size 56
		.amdhsa_user_sgpr_count 6
		.amdhsa_user_sgpr_private_segment_buffer 1
		.amdhsa_user_sgpr_dispatch_ptr 0
		.amdhsa_user_sgpr_queue_ptr 0
		.amdhsa_user_sgpr_kernarg_segment_ptr 1
		.amdhsa_user_sgpr_dispatch_id 0
		.amdhsa_user_sgpr_flat_scratch_init 0
		.amdhsa_user_sgpr_kernarg_preload_length 0
		.amdhsa_user_sgpr_kernarg_preload_offset 0
		.amdhsa_user_sgpr_private_segment_size 0
		.amdhsa_uses_dynamic_stack 0
		.amdhsa_system_sgpr_private_segment_wavefront_offset 0
		.amdhsa_system_sgpr_workgroup_id_x 1
		.amdhsa_system_sgpr_workgroup_id_y 0
		.amdhsa_system_sgpr_workgroup_id_z 0
		.amdhsa_system_sgpr_workgroup_info 0
		.amdhsa_system_vgpr_workitem_id 0
		.amdhsa_next_free_vgpr 1
		.amdhsa_next_free_sgpr 0
		.amdhsa_accum_offset 4
		.amdhsa_reserve_vcc 0
		.amdhsa_reserve_flat_scratch 0
		.amdhsa_float_round_mode_32 0
		.amdhsa_float_round_mode_16_64 0
		.amdhsa_float_denorm_mode_32 3
		.amdhsa_float_denorm_mode_16_64 3
		.amdhsa_dx10_clamp 1
		.amdhsa_ieee_mode 1
		.amdhsa_fp16_overflow 0
		.amdhsa_tg_split 0
		.amdhsa_exception_fp_ieee_invalid_op 0
		.amdhsa_exception_fp_denorm_src 0
		.amdhsa_exception_fp_ieee_div_zero 0
		.amdhsa_exception_fp_ieee_overflow 0
		.amdhsa_exception_fp_ieee_underflow 0
		.amdhsa_exception_fp_ieee_inexact 0
		.amdhsa_exception_int_div_zero 0
	.end_amdhsa_kernel
	.section	.text._ZN7rocprim17ROCPRIM_400000_NS6detail17trampoline_kernelINS0_14default_configENS1_38merge_sort_block_merge_config_selectorIlNS0_10empty_typeEEEZZNS1_27merge_sort_block_merge_implIS3_PlPS5_mZN2at6native12_GLOBAL__N_124unique_dim_cuda_templateIdEESt5tupleIJNSA_6TensorESF_SF_EERKSF_lbbbEUlllE_EE10hipError_tT0_T1_T2_jT3_P12ihipStream_tbPNSt15iterator_traitsISL_E10value_typeEPNSR_ISM_E10value_typeEPSN_NS1_7vsmem_tEENKUlT_SL_SM_SN_E_clIS8_S8_S9_S9_EESK_S10_SL_SM_SN_EUlS10_E_NS1_11comp_targetILNS1_3genE9ELNS1_11target_archE1100ELNS1_3gpuE3ELNS1_3repE0EEENS1_48merge_mergepath_partition_config_static_selectorELNS0_4arch9wavefront6targetE1EEEvSM_,"axG",@progbits,_ZN7rocprim17ROCPRIM_400000_NS6detail17trampoline_kernelINS0_14default_configENS1_38merge_sort_block_merge_config_selectorIlNS0_10empty_typeEEEZZNS1_27merge_sort_block_merge_implIS3_PlPS5_mZN2at6native12_GLOBAL__N_124unique_dim_cuda_templateIdEESt5tupleIJNSA_6TensorESF_SF_EERKSF_lbbbEUlllE_EE10hipError_tT0_T1_T2_jT3_P12ihipStream_tbPNSt15iterator_traitsISL_E10value_typeEPNSR_ISM_E10value_typeEPSN_NS1_7vsmem_tEENKUlT_SL_SM_SN_E_clIS8_S8_S9_S9_EESK_S10_SL_SM_SN_EUlS10_E_NS1_11comp_targetILNS1_3genE9ELNS1_11target_archE1100ELNS1_3gpuE3ELNS1_3repE0EEENS1_48merge_mergepath_partition_config_static_selectorELNS0_4arch9wavefront6targetE1EEEvSM_,comdat
.Lfunc_end764:
	.size	_ZN7rocprim17ROCPRIM_400000_NS6detail17trampoline_kernelINS0_14default_configENS1_38merge_sort_block_merge_config_selectorIlNS0_10empty_typeEEEZZNS1_27merge_sort_block_merge_implIS3_PlPS5_mZN2at6native12_GLOBAL__N_124unique_dim_cuda_templateIdEESt5tupleIJNSA_6TensorESF_SF_EERKSF_lbbbEUlllE_EE10hipError_tT0_T1_T2_jT3_P12ihipStream_tbPNSt15iterator_traitsISL_E10value_typeEPNSR_ISM_E10value_typeEPSN_NS1_7vsmem_tEENKUlT_SL_SM_SN_E_clIS8_S8_S9_S9_EESK_S10_SL_SM_SN_EUlS10_E_NS1_11comp_targetILNS1_3genE9ELNS1_11target_archE1100ELNS1_3gpuE3ELNS1_3repE0EEENS1_48merge_mergepath_partition_config_static_selectorELNS0_4arch9wavefront6targetE1EEEvSM_, .Lfunc_end764-_ZN7rocprim17ROCPRIM_400000_NS6detail17trampoline_kernelINS0_14default_configENS1_38merge_sort_block_merge_config_selectorIlNS0_10empty_typeEEEZZNS1_27merge_sort_block_merge_implIS3_PlPS5_mZN2at6native12_GLOBAL__N_124unique_dim_cuda_templateIdEESt5tupleIJNSA_6TensorESF_SF_EERKSF_lbbbEUlllE_EE10hipError_tT0_T1_T2_jT3_P12ihipStream_tbPNSt15iterator_traitsISL_E10value_typeEPNSR_ISM_E10value_typeEPSN_NS1_7vsmem_tEENKUlT_SL_SM_SN_E_clIS8_S8_S9_S9_EESK_S10_SL_SM_SN_EUlS10_E_NS1_11comp_targetILNS1_3genE9ELNS1_11target_archE1100ELNS1_3gpuE3ELNS1_3repE0EEENS1_48merge_mergepath_partition_config_static_selectorELNS0_4arch9wavefront6targetE1EEEvSM_
                                        ; -- End function
	.section	.AMDGPU.csdata,"",@progbits
; Kernel info:
; codeLenInByte = 0
; NumSgprs: 4
; NumVgprs: 0
; NumAgprs: 0
; TotalNumVgprs: 0
; ScratchSize: 0
; MemoryBound: 0
; FloatMode: 240
; IeeeMode: 1
; LDSByteSize: 0 bytes/workgroup (compile time only)
; SGPRBlocks: 0
; VGPRBlocks: 0
; NumSGPRsForWavesPerEU: 4
; NumVGPRsForWavesPerEU: 1
; AccumOffset: 4
; Occupancy: 8
; WaveLimiterHint : 0
; COMPUTE_PGM_RSRC2:SCRATCH_EN: 0
; COMPUTE_PGM_RSRC2:USER_SGPR: 6
; COMPUTE_PGM_RSRC2:TRAP_HANDLER: 0
; COMPUTE_PGM_RSRC2:TGID_X_EN: 1
; COMPUTE_PGM_RSRC2:TGID_Y_EN: 0
; COMPUTE_PGM_RSRC2:TGID_Z_EN: 0
; COMPUTE_PGM_RSRC2:TIDIG_COMP_CNT: 0
; COMPUTE_PGM_RSRC3_GFX90A:ACCUM_OFFSET: 0
; COMPUTE_PGM_RSRC3_GFX90A:TG_SPLIT: 0
	.section	.text._ZN7rocprim17ROCPRIM_400000_NS6detail17trampoline_kernelINS0_14default_configENS1_38merge_sort_block_merge_config_selectorIlNS0_10empty_typeEEEZZNS1_27merge_sort_block_merge_implIS3_PlPS5_mZN2at6native12_GLOBAL__N_124unique_dim_cuda_templateIdEESt5tupleIJNSA_6TensorESF_SF_EERKSF_lbbbEUlllE_EE10hipError_tT0_T1_T2_jT3_P12ihipStream_tbPNSt15iterator_traitsISL_E10value_typeEPNSR_ISM_E10value_typeEPSN_NS1_7vsmem_tEENKUlT_SL_SM_SN_E_clIS8_S8_S9_S9_EESK_S10_SL_SM_SN_EUlS10_E_NS1_11comp_targetILNS1_3genE8ELNS1_11target_archE1030ELNS1_3gpuE2ELNS1_3repE0EEENS1_48merge_mergepath_partition_config_static_selectorELNS0_4arch9wavefront6targetE1EEEvSM_,"axG",@progbits,_ZN7rocprim17ROCPRIM_400000_NS6detail17trampoline_kernelINS0_14default_configENS1_38merge_sort_block_merge_config_selectorIlNS0_10empty_typeEEEZZNS1_27merge_sort_block_merge_implIS3_PlPS5_mZN2at6native12_GLOBAL__N_124unique_dim_cuda_templateIdEESt5tupleIJNSA_6TensorESF_SF_EERKSF_lbbbEUlllE_EE10hipError_tT0_T1_T2_jT3_P12ihipStream_tbPNSt15iterator_traitsISL_E10value_typeEPNSR_ISM_E10value_typeEPSN_NS1_7vsmem_tEENKUlT_SL_SM_SN_E_clIS8_S8_S9_S9_EESK_S10_SL_SM_SN_EUlS10_E_NS1_11comp_targetILNS1_3genE8ELNS1_11target_archE1030ELNS1_3gpuE2ELNS1_3repE0EEENS1_48merge_mergepath_partition_config_static_selectorELNS0_4arch9wavefront6targetE1EEEvSM_,comdat
	.globl	_ZN7rocprim17ROCPRIM_400000_NS6detail17trampoline_kernelINS0_14default_configENS1_38merge_sort_block_merge_config_selectorIlNS0_10empty_typeEEEZZNS1_27merge_sort_block_merge_implIS3_PlPS5_mZN2at6native12_GLOBAL__N_124unique_dim_cuda_templateIdEESt5tupleIJNSA_6TensorESF_SF_EERKSF_lbbbEUlllE_EE10hipError_tT0_T1_T2_jT3_P12ihipStream_tbPNSt15iterator_traitsISL_E10value_typeEPNSR_ISM_E10value_typeEPSN_NS1_7vsmem_tEENKUlT_SL_SM_SN_E_clIS8_S8_S9_S9_EESK_S10_SL_SM_SN_EUlS10_E_NS1_11comp_targetILNS1_3genE8ELNS1_11target_archE1030ELNS1_3gpuE2ELNS1_3repE0EEENS1_48merge_mergepath_partition_config_static_selectorELNS0_4arch9wavefront6targetE1EEEvSM_ ; -- Begin function _ZN7rocprim17ROCPRIM_400000_NS6detail17trampoline_kernelINS0_14default_configENS1_38merge_sort_block_merge_config_selectorIlNS0_10empty_typeEEEZZNS1_27merge_sort_block_merge_implIS3_PlPS5_mZN2at6native12_GLOBAL__N_124unique_dim_cuda_templateIdEESt5tupleIJNSA_6TensorESF_SF_EERKSF_lbbbEUlllE_EE10hipError_tT0_T1_T2_jT3_P12ihipStream_tbPNSt15iterator_traitsISL_E10value_typeEPNSR_ISM_E10value_typeEPSN_NS1_7vsmem_tEENKUlT_SL_SM_SN_E_clIS8_S8_S9_S9_EESK_S10_SL_SM_SN_EUlS10_E_NS1_11comp_targetILNS1_3genE8ELNS1_11target_archE1030ELNS1_3gpuE2ELNS1_3repE0EEENS1_48merge_mergepath_partition_config_static_selectorELNS0_4arch9wavefront6targetE1EEEvSM_
	.p2align	8
	.type	_ZN7rocprim17ROCPRIM_400000_NS6detail17trampoline_kernelINS0_14default_configENS1_38merge_sort_block_merge_config_selectorIlNS0_10empty_typeEEEZZNS1_27merge_sort_block_merge_implIS3_PlPS5_mZN2at6native12_GLOBAL__N_124unique_dim_cuda_templateIdEESt5tupleIJNSA_6TensorESF_SF_EERKSF_lbbbEUlllE_EE10hipError_tT0_T1_T2_jT3_P12ihipStream_tbPNSt15iterator_traitsISL_E10value_typeEPNSR_ISM_E10value_typeEPSN_NS1_7vsmem_tEENKUlT_SL_SM_SN_E_clIS8_S8_S9_S9_EESK_S10_SL_SM_SN_EUlS10_E_NS1_11comp_targetILNS1_3genE8ELNS1_11target_archE1030ELNS1_3gpuE2ELNS1_3repE0EEENS1_48merge_mergepath_partition_config_static_selectorELNS0_4arch9wavefront6targetE1EEEvSM_,@function
_ZN7rocprim17ROCPRIM_400000_NS6detail17trampoline_kernelINS0_14default_configENS1_38merge_sort_block_merge_config_selectorIlNS0_10empty_typeEEEZZNS1_27merge_sort_block_merge_implIS3_PlPS5_mZN2at6native12_GLOBAL__N_124unique_dim_cuda_templateIdEESt5tupleIJNSA_6TensorESF_SF_EERKSF_lbbbEUlllE_EE10hipError_tT0_T1_T2_jT3_P12ihipStream_tbPNSt15iterator_traitsISL_E10value_typeEPNSR_ISM_E10value_typeEPSN_NS1_7vsmem_tEENKUlT_SL_SM_SN_E_clIS8_S8_S9_S9_EESK_S10_SL_SM_SN_EUlS10_E_NS1_11comp_targetILNS1_3genE8ELNS1_11target_archE1030ELNS1_3gpuE2ELNS1_3repE0EEENS1_48merge_mergepath_partition_config_static_selectorELNS0_4arch9wavefront6targetE1EEEvSM_: ; @_ZN7rocprim17ROCPRIM_400000_NS6detail17trampoline_kernelINS0_14default_configENS1_38merge_sort_block_merge_config_selectorIlNS0_10empty_typeEEEZZNS1_27merge_sort_block_merge_implIS3_PlPS5_mZN2at6native12_GLOBAL__N_124unique_dim_cuda_templateIdEESt5tupleIJNSA_6TensorESF_SF_EERKSF_lbbbEUlllE_EE10hipError_tT0_T1_T2_jT3_P12ihipStream_tbPNSt15iterator_traitsISL_E10value_typeEPNSR_ISM_E10value_typeEPSN_NS1_7vsmem_tEENKUlT_SL_SM_SN_E_clIS8_S8_S9_S9_EESK_S10_SL_SM_SN_EUlS10_E_NS1_11comp_targetILNS1_3genE8ELNS1_11target_archE1030ELNS1_3gpuE2ELNS1_3repE0EEENS1_48merge_mergepath_partition_config_static_selectorELNS0_4arch9wavefront6targetE1EEEvSM_
; %bb.0:
	.section	.rodata,"a",@progbits
	.p2align	6, 0x0
	.amdhsa_kernel _ZN7rocprim17ROCPRIM_400000_NS6detail17trampoline_kernelINS0_14default_configENS1_38merge_sort_block_merge_config_selectorIlNS0_10empty_typeEEEZZNS1_27merge_sort_block_merge_implIS3_PlPS5_mZN2at6native12_GLOBAL__N_124unique_dim_cuda_templateIdEESt5tupleIJNSA_6TensorESF_SF_EERKSF_lbbbEUlllE_EE10hipError_tT0_T1_T2_jT3_P12ihipStream_tbPNSt15iterator_traitsISL_E10value_typeEPNSR_ISM_E10value_typeEPSN_NS1_7vsmem_tEENKUlT_SL_SM_SN_E_clIS8_S8_S9_S9_EESK_S10_SL_SM_SN_EUlS10_E_NS1_11comp_targetILNS1_3genE8ELNS1_11target_archE1030ELNS1_3gpuE2ELNS1_3repE0EEENS1_48merge_mergepath_partition_config_static_selectorELNS0_4arch9wavefront6targetE1EEEvSM_
		.amdhsa_group_segment_fixed_size 0
		.amdhsa_private_segment_fixed_size 0
		.amdhsa_kernarg_size 56
		.amdhsa_user_sgpr_count 6
		.amdhsa_user_sgpr_private_segment_buffer 1
		.amdhsa_user_sgpr_dispatch_ptr 0
		.amdhsa_user_sgpr_queue_ptr 0
		.amdhsa_user_sgpr_kernarg_segment_ptr 1
		.amdhsa_user_sgpr_dispatch_id 0
		.amdhsa_user_sgpr_flat_scratch_init 0
		.amdhsa_user_sgpr_kernarg_preload_length 0
		.amdhsa_user_sgpr_kernarg_preload_offset 0
		.amdhsa_user_sgpr_private_segment_size 0
		.amdhsa_uses_dynamic_stack 0
		.amdhsa_system_sgpr_private_segment_wavefront_offset 0
		.amdhsa_system_sgpr_workgroup_id_x 1
		.amdhsa_system_sgpr_workgroup_id_y 0
		.amdhsa_system_sgpr_workgroup_id_z 0
		.amdhsa_system_sgpr_workgroup_info 0
		.amdhsa_system_vgpr_workitem_id 0
		.amdhsa_next_free_vgpr 1
		.amdhsa_next_free_sgpr 0
		.amdhsa_accum_offset 4
		.amdhsa_reserve_vcc 0
		.amdhsa_reserve_flat_scratch 0
		.amdhsa_float_round_mode_32 0
		.amdhsa_float_round_mode_16_64 0
		.amdhsa_float_denorm_mode_32 3
		.amdhsa_float_denorm_mode_16_64 3
		.amdhsa_dx10_clamp 1
		.amdhsa_ieee_mode 1
		.amdhsa_fp16_overflow 0
		.amdhsa_tg_split 0
		.amdhsa_exception_fp_ieee_invalid_op 0
		.amdhsa_exception_fp_denorm_src 0
		.amdhsa_exception_fp_ieee_div_zero 0
		.amdhsa_exception_fp_ieee_overflow 0
		.amdhsa_exception_fp_ieee_underflow 0
		.amdhsa_exception_fp_ieee_inexact 0
		.amdhsa_exception_int_div_zero 0
	.end_amdhsa_kernel
	.section	.text._ZN7rocprim17ROCPRIM_400000_NS6detail17trampoline_kernelINS0_14default_configENS1_38merge_sort_block_merge_config_selectorIlNS0_10empty_typeEEEZZNS1_27merge_sort_block_merge_implIS3_PlPS5_mZN2at6native12_GLOBAL__N_124unique_dim_cuda_templateIdEESt5tupleIJNSA_6TensorESF_SF_EERKSF_lbbbEUlllE_EE10hipError_tT0_T1_T2_jT3_P12ihipStream_tbPNSt15iterator_traitsISL_E10value_typeEPNSR_ISM_E10value_typeEPSN_NS1_7vsmem_tEENKUlT_SL_SM_SN_E_clIS8_S8_S9_S9_EESK_S10_SL_SM_SN_EUlS10_E_NS1_11comp_targetILNS1_3genE8ELNS1_11target_archE1030ELNS1_3gpuE2ELNS1_3repE0EEENS1_48merge_mergepath_partition_config_static_selectorELNS0_4arch9wavefront6targetE1EEEvSM_,"axG",@progbits,_ZN7rocprim17ROCPRIM_400000_NS6detail17trampoline_kernelINS0_14default_configENS1_38merge_sort_block_merge_config_selectorIlNS0_10empty_typeEEEZZNS1_27merge_sort_block_merge_implIS3_PlPS5_mZN2at6native12_GLOBAL__N_124unique_dim_cuda_templateIdEESt5tupleIJNSA_6TensorESF_SF_EERKSF_lbbbEUlllE_EE10hipError_tT0_T1_T2_jT3_P12ihipStream_tbPNSt15iterator_traitsISL_E10value_typeEPNSR_ISM_E10value_typeEPSN_NS1_7vsmem_tEENKUlT_SL_SM_SN_E_clIS8_S8_S9_S9_EESK_S10_SL_SM_SN_EUlS10_E_NS1_11comp_targetILNS1_3genE8ELNS1_11target_archE1030ELNS1_3gpuE2ELNS1_3repE0EEENS1_48merge_mergepath_partition_config_static_selectorELNS0_4arch9wavefront6targetE1EEEvSM_,comdat
.Lfunc_end765:
	.size	_ZN7rocprim17ROCPRIM_400000_NS6detail17trampoline_kernelINS0_14default_configENS1_38merge_sort_block_merge_config_selectorIlNS0_10empty_typeEEEZZNS1_27merge_sort_block_merge_implIS3_PlPS5_mZN2at6native12_GLOBAL__N_124unique_dim_cuda_templateIdEESt5tupleIJNSA_6TensorESF_SF_EERKSF_lbbbEUlllE_EE10hipError_tT0_T1_T2_jT3_P12ihipStream_tbPNSt15iterator_traitsISL_E10value_typeEPNSR_ISM_E10value_typeEPSN_NS1_7vsmem_tEENKUlT_SL_SM_SN_E_clIS8_S8_S9_S9_EESK_S10_SL_SM_SN_EUlS10_E_NS1_11comp_targetILNS1_3genE8ELNS1_11target_archE1030ELNS1_3gpuE2ELNS1_3repE0EEENS1_48merge_mergepath_partition_config_static_selectorELNS0_4arch9wavefront6targetE1EEEvSM_, .Lfunc_end765-_ZN7rocprim17ROCPRIM_400000_NS6detail17trampoline_kernelINS0_14default_configENS1_38merge_sort_block_merge_config_selectorIlNS0_10empty_typeEEEZZNS1_27merge_sort_block_merge_implIS3_PlPS5_mZN2at6native12_GLOBAL__N_124unique_dim_cuda_templateIdEESt5tupleIJNSA_6TensorESF_SF_EERKSF_lbbbEUlllE_EE10hipError_tT0_T1_T2_jT3_P12ihipStream_tbPNSt15iterator_traitsISL_E10value_typeEPNSR_ISM_E10value_typeEPSN_NS1_7vsmem_tEENKUlT_SL_SM_SN_E_clIS8_S8_S9_S9_EESK_S10_SL_SM_SN_EUlS10_E_NS1_11comp_targetILNS1_3genE8ELNS1_11target_archE1030ELNS1_3gpuE2ELNS1_3repE0EEENS1_48merge_mergepath_partition_config_static_selectorELNS0_4arch9wavefront6targetE1EEEvSM_
                                        ; -- End function
	.section	.AMDGPU.csdata,"",@progbits
; Kernel info:
; codeLenInByte = 0
; NumSgprs: 4
; NumVgprs: 0
; NumAgprs: 0
; TotalNumVgprs: 0
; ScratchSize: 0
; MemoryBound: 0
; FloatMode: 240
; IeeeMode: 1
; LDSByteSize: 0 bytes/workgroup (compile time only)
; SGPRBlocks: 0
; VGPRBlocks: 0
; NumSGPRsForWavesPerEU: 4
; NumVGPRsForWavesPerEU: 1
; AccumOffset: 4
; Occupancy: 8
; WaveLimiterHint : 0
; COMPUTE_PGM_RSRC2:SCRATCH_EN: 0
; COMPUTE_PGM_RSRC2:USER_SGPR: 6
; COMPUTE_PGM_RSRC2:TRAP_HANDLER: 0
; COMPUTE_PGM_RSRC2:TGID_X_EN: 1
; COMPUTE_PGM_RSRC2:TGID_Y_EN: 0
; COMPUTE_PGM_RSRC2:TGID_Z_EN: 0
; COMPUTE_PGM_RSRC2:TIDIG_COMP_CNT: 0
; COMPUTE_PGM_RSRC3_GFX90A:ACCUM_OFFSET: 0
; COMPUTE_PGM_RSRC3_GFX90A:TG_SPLIT: 0
	.section	.text._ZN7rocprim17ROCPRIM_400000_NS6detail17trampoline_kernelINS0_14default_configENS1_38merge_sort_block_merge_config_selectorIlNS0_10empty_typeEEEZZNS1_27merge_sort_block_merge_implIS3_PlPS5_mZN2at6native12_GLOBAL__N_124unique_dim_cuda_templateIdEESt5tupleIJNSA_6TensorESF_SF_EERKSF_lbbbEUlllE_EE10hipError_tT0_T1_T2_jT3_P12ihipStream_tbPNSt15iterator_traitsISL_E10value_typeEPNSR_ISM_E10value_typeEPSN_NS1_7vsmem_tEENKUlT_SL_SM_SN_E_clIS8_S8_S9_S9_EESK_S10_SL_SM_SN_EUlS10_E0_NS1_11comp_targetILNS1_3genE0ELNS1_11target_archE4294967295ELNS1_3gpuE0ELNS1_3repE0EEENS1_38merge_mergepath_config_static_selectorELNS0_4arch9wavefront6targetE1EEEvSM_,"axG",@progbits,_ZN7rocprim17ROCPRIM_400000_NS6detail17trampoline_kernelINS0_14default_configENS1_38merge_sort_block_merge_config_selectorIlNS0_10empty_typeEEEZZNS1_27merge_sort_block_merge_implIS3_PlPS5_mZN2at6native12_GLOBAL__N_124unique_dim_cuda_templateIdEESt5tupleIJNSA_6TensorESF_SF_EERKSF_lbbbEUlllE_EE10hipError_tT0_T1_T2_jT3_P12ihipStream_tbPNSt15iterator_traitsISL_E10value_typeEPNSR_ISM_E10value_typeEPSN_NS1_7vsmem_tEENKUlT_SL_SM_SN_E_clIS8_S8_S9_S9_EESK_S10_SL_SM_SN_EUlS10_E0_NS1_11comp_targetILNS1_3genE0ELNS1_11target_archE4294967295ELNS1_3gpuE0ELNS1_3repE0EEENS1_38merge_mergepath_config_static_selectorELNS0_4arch9wavefront6targetE1EEEvSM_,comdat
	.globl	_ZN7rocprim17ROCPRIM_400000_NS6detail17trampoline_kernelINS0_14default_configENS1_38merge_sort_block_merge_config_selectorIlNS0_10empty_typeEEEZZNS1_27merge_sort_block_merge_implIS3_PlPS5_mZN2at6native12_GLOBAL__N_124unique_dim_cuda_templateIdEESt5tupleIJNSA_6TensorESF_SF_EERKSF_lbbbEUlllE_EE10hipError_tT0_T1_T2_jT3_P12ihipStream_tbPNSt15iterator_traitsISL_E10value_typeEPNSR_ISM_E10value_typeEPSN_NS1_7vsmem_tEENKUlT_SL_SM_SN_E_clIS8_S8_S9_S9_EESK_S10_SL_SM_SN_EUlS10_E0_NS1_11comp_targetILNS1_3genE0ELNS1_11target_archE4294967295ELNS1_3gpuE0ELNS1_3repE0EEENS1_38merge_mergepath_config_static_selectorELNS0_4arch9wavefront6targetE1EEEvSM_ ; -- Begin function _ZN7rocprim17ROCPRIM_400000_NS6detail17trampoline_kernelINS0_14default_configENS1_38merge_sort_block_merge_config_selectorIlNS0_10empty_typeEEEZZNS1_27merge_sort_block_merge_implIS3_PlPS5_mZN2at6native12_GLOBAL__N_124unique_dim_cuda_templateIdEESt5tupleIJNSA_6TensorESF_SF_EERKSF_lbbbEUlllE_EE10hipError_tT0_T1_T2_jT3_P12ihipStream_tbPNSt15iterator_traitsISL_E10value_typeEPNSR_ISM_E10value_typeEPSN_NS1_7vsmem_tEENKUlT_SL_SM_SN_E_clIS8_S8_S9_S9_EESK_S10_SL_SM_SN_EUlS10_E0_NS1_11comp_targetILNS1_3genE0ELNS1_11target_archE4294967295ELNS1_3gpuE0ELNS1_3repE0EEENS1_38merge_mergepath_config_static_selectorELNS0_4arch9wavefront6targetE1EEEvSM_
	.p2align	8
	.type	_ZN7rocprim17ROCPRIM_400000_NS6detail17trampoline_kernelINS0_14default_configENS1_38merge_sort_block_merge_config_selectorIlNS0_10empty_typeEEEZZNS1_27merge_sort_block_merge_implIS3_PlPS5_mZN2at6native12_GLOBAL__N_124unique_dim_cuda_templateIdEESt5tupleIJNSA_6TensorESF_SF_EERKSF_lbbbEUlllE_EE10hipError_tT0_T1_T2_jT3_P12ihipStream_tbPNSt15iterator_traitsISL_E10value_typeEPNSR_ISM_E10value_typeEPSN_NS1_7vsmem_tEENKUlT_SL_SM_SN_E_clIS8_S8_S9_S9_EESK_S10_SL_SM_SN_EUlS10_E0_NS1_11comp_targetILNS1_3genE0ELNS1_11target_archE4294967295ELNS1_3gpuE0ELNS1_3repE0EEENS1_38merge_mergepath_config_static_selectorELNS0_4arch9wavefront6targetE1EEEvSM_,@function
_ZN7rocprim17ROCPRIM_400000_NS6detail17trampoline_kernelINS0_14default_configENS1_38merge_sort_block_merge_config_selectorIlNS0_10empty_typeEEEZZNS1_27merge_sort_block_merge_implIS3_PlPS5_mZN2at6native12_GLOBAL__N_124unique_dim_cuda_templateIdEESt5tupleIJNSA_6TensorESF_SF_EERKSF_lbbbEUlllE_EE10hipError_tT0_T1_T2_jT3_P12ihipStream_tbPNSt15iterator_traitsISL_E10value_typeEPNSR_ISM_E10value_typeEPSN_NS1_7vsmem_tEENKUlT_SL_SM_SN_E_clIS8_S8_S9_S9_EESK_S10_SL_SM_SN_EUlS10_E0_NS1_11comp_targetILNS1_3genE0ELNS1_11target_archE4294967295ELNS1_3gpuE0ELNS1_3repE0EEENS1_38merge_mergepath_config_static_selectorELNS0_4arch9wavefront6targetE1EEEvSM_: ; @_ZN7rocprim17ROCPRIM_400000_NS6detail17trampoline_kernelINS0_14default_configENS1_38merge_sort_block_merge_config_selectorIlNS0_10empty_typeEEEZZNS1_27merge_sort_block_merge_implIS3_PlPS5_mZN2at6native12_GLOBAL__N_124unique_dim_cuda_templateIdEESt5tupleIJNSA_6TensorESF_SF_EERKSF_lbbbEUlllE_EE10hipError_tT0_T1_T2_jT3_P12ihipStream_tbPNSt15iterator_traitsISL_E10value_typeEPNSR_ISM_E10value_typeEPSN_NS1_7vsmem_tEENKUlT_SL_SM_SN_E_clIS8_S8_S9_S9_EESK_S10_SL_SM_SN_EUlS10_E0_NS1_11comp_targetILNS1_3genE0ELNS1_11target_archE4294967295ELNS1_3gpuE0ELNS1_3repE0EEENS1_38merge_mergepath_config_static_selectorELNS0_4arch9wavefront6targetE1EEEvSM_
; %bb.0:
	.section	.rodata,"a",@progbits
	.p2align	6, 0x0
	.amdhsa_kernel _ZN7rocprim17ROCPRIM_400000_NS6detail17trampoline_kernelINS0_14default_configENS1_38merge_sort_block_merge_config_selectorIlNS0_10empty_typeEEEZZNS1_27merge_sort_block_merge_implIS3_PlPS5_mZN2at6native12_GLOBAL__N_124unique_dim_cuda_templateIdEESt5tupleIJNSA_6TensorESF_SF_EERKSF_lbbbEUlllE_EE10hipError_tT0_T1_T2_jT3_P12ihipStream_tbPNSt15iterator_traitsISL_E10value_typeEPNSR_ISM_E10value_typeEPSN_NS1_7vsmem_tEENKUlT_SL_SM_SN_E_clIS8_S8_S9_S9_EESK_S10_SL_SM_SN_EUlS10_E0_NS1_11comp_targetILNS1_3genE0ELNS1_11target_archE4294967295ELNS1_3gpuE0ELNS1_3repE0EEENS1_38merge_mergepath_config_static_selectorELNS0_4arch9wavefront6targetE1EEEvSM_
		.amdhsa_group_segment_fixed_size 0
		.amdhsa_private_segment_fixed_size 0
		.amdhsa_kernarg_size 88
		.amdhsa_user_sgpr_count 6
		.amdhsa_user_sgpr_private_segment_buffer 1
		.amdhsa_user_sgpr_dispatch_ptr 0
		.amdhsa_user_sgpr_queue_ptr 0
		.amdhsa_user_sgpr_kernarg_segment_ptr 1
		.amdhsa_user_sgpr_dispatch_id 0
		.amdhsa_user_sgpr_flat_scratch_init 0
		.amdhsa_user_sgpr_kernarg_preload_length 0
		.amdhsa_user_sgpr_kernarg_preload_offset 0
		.amdhsa_user_sgpr_private_segment_size 0
		.amdhsa_uses_dynamic_stack 0
		.amdhsa_system_sgpr_private_segment_wavefront_offset 0
		.amdhsa_system_sgpr_workgroup_id_x 1
		.amdhsa_system_sgpr_workgroup_id_y 0
		.amdhsa_system_sgpr_workgroup_id_z 0
		.amdhsa_system_sgpr_workgroup_info 0
		.amdhsa_system_vgpr_workitem_id 0
		.amdhsa_next_free_vgpr 1
		.amdhsa_next_free_sgpr 0
		.amdhsa_accum_offset 4
		.amdhsa_reserve_vcc 0
		.amdhsa_reserve_flat_scratch 0
		.amdhsa_float_round_mode_32 0
		.amdhsa_float_round_mode_16_64 0
		.amdhsa_float_denorm_mode_32 3
		.amdhsa_float_denorm_mode_16_64 3
		.amdhsa_dx10_clamp 1
		.amdhsa_ieee_mode 1
		.amdhsa_fp16_overflow 0
		.amdhsa_tg_split 0
		.amdhsa_exception_fp_ieee_invalid_op 0
		.amdhsa_exception_fp_denorm_src 0
		.amdhsa_exception_fp_ieee_div_zero 0
		.amdhsa_exception_fp_ieee_overflow 0
		.amdhsa_exception_fp_ieee_underflow 0
		.amdhsa_exception_fp_ieee_inexact 0
		.amdhsa_exception_int_div_zero 0
	.end_amdhsa_kernel
	.section	.text._ZN7rocprim17ROCPRIM_400000_NS6detail17trampoline_kernelINS0_14default_configENS1_38merge_sort_block_merge_config_selectorIlNS0_10empty_typeEEEZZNS1_27merge_sort_block_merge_implIS3_PlPS5_mZN2at6native12_GLOBAL__N_124unique_dim_cuda_templateIdEESt5tupleIJNSA_6TensorESF_SF_EERKSF_lbbbEUlllE_EE10hipError_tT0_T1_T2_jT3_P12ihipStream_tbPNSt15iterator_traitsISL_E10value_typeEPNSR_ISM_E10value_typeEPSN_NS1_7vsmem_tEENKUlT_SL_SM_SN_E_clIS8_S8_S9_S9_EESK_S10_SL_SM_SN_EUlS10_E0_NS1_11comp_targetILNS1_3genE0ELNS1_11target_archE4294967295ELNS1_3gpuE0ELNS1_3repE0EEENS1_38merge_mergepath_config_static_selectorELNS0_4arch9wavefront6targetE1EEEvSM_,"axG",@progbits,_ZN7rocprim17ROCPRIM_400000_NS6detail17trampoline_kernelINS0_14default_configENS1_38merge_sort_block_merge_config_selectorIlNS0_10empty_typeEEEZZNS1_27merge_sort_block_merge_implIS3_PlPS5_mZN2at6native12_GLOBAL__N_124unique_dim_cuda_templateIdEESt5tupleIJNSA_6TensorESF_SF_EERKSF_lbbbEUlllE_EE10hipError_tT0_T1_T2_jT3_P12ihipStream_tbPNSt15iterator_traitsISL_E10value_typeEPNSR_ISM_E10value_typeEPSN_NS1_7vsmem_tEENKUlT_SL_SM_SN_E_clIS8_S8_S9_S9_EESK_S10_SL_SM_SN_EUlS10_E0_NS1_11comp_targetILNS1_3genE0ELNS1_11target_archE4294967295ELNS1_3gpuE0ELNS1_3repE0EEENS1_38merge_mergepath_config_static_selectorELNS0_4arch9wavefront6targetE1EEEvSM_,comdat
.Lfunc_end766:
	.size	_ZN7rocprim17ROCPRIM_400000_NS6detail17trampoline_kernelINS0_14default_configENS1_38merge_sort_block_merge_config_selectorIlNS0_10empty_typeEEEZZNS1_27merge_sort_block_merge_implIS3_PlPS5_mZN2at6native12_GLOBAL__N_124unique_dim_cuda_templateIdEESt5tupleIJNSA_6TensorESF_SF_EERKSF_lbbbEUlllE_EE10hipError_tT0_T1_T2_jT3_P12ihipStream_tbPNSt15iterator_traitsISL_E10value_typeEPNSR_ISM_E10value_typeEPSN_NS1_7vsmem_tEENKUlT_SL_SM_SN_E_clIS8_S8_S9_S9_EESK_S10_SL_SM_SN_EUlS10_E0_NS1_11comp_targetILNS1_3genE0ELNS1_11target_archE4294967295ELNS1_3gpuE0ELNS1_3repE0EEENS1_38merge_mergepath_config_static_selectorELNS0_4arch9wavefront6targetE1EEEvSM_, .Lfunc_end766-_ZN7rocprim17ROCPRIM_400000_NS6detail17trampoline_kernelINS0_14default_configENS1_38merge_sort_block_merge_config_selectorIlNS0_10empty_typeEEEZZNS1_27merge_sort_block_merge_implIS3_PlPS5_mZN2at6native12_GLOBAL__N_124unique_dim_cuda_templateIdEESt5tupleIJNSA_6TensorESF_SF_EERKSF_lbbbEUlllE_EE10hipError_tT0_T1_T2_jT3_P12ihipStream_tbPNSt15iterator_traitsISL_E10value_typeEPNSR_ISM_E10value_typeEPSN_NS1_7vsmem_tEENKUlT_SL_SM_SN_E_clIS8_S8_S9_S9_EESK_S10_SL_SM_SN_EUlS10_E0_NS1_11comp_targetILNS1_3genE0ELNS1_11target_archE4294967295ELNS1_3gpuE0ELNS1_3repE0EEENS1_38merge_mergepath_config_static_selectorELNS0_4arch9wavefront6targetE1EEEvSM_
                                        ; -- End function
	.section	.AMDGPU.csdata,"",@progbits
; Kernel info:
; codeLenInByte = 0
; NumSgprs: 4
; NumVgprs: 0
; NumAgprs: 0
; TotalNumVgprs: 0
; ScratchSize: 0
; MemoryBound: 0
; FloatMode: 240
; IeeeMode: 1
; LDSByteSize: 0 bytes/workgroup (compile time only)
; SGPRBlocks: 0
; VGPRBlocks: 0
; NumSGPRsForWavesPerEU: 4
; NumVGPRsForWavesPerEU: 1
; AccumOffset: 4
; Occupancy: 8
; WaveLimiterHint : 0
; COMPUTE_PGM_RSRC2:SCRATCH_EN: 0
; COMPUTE_PGM_RSRC2:USER_SGPR: 6
; COMPUTE_PGM_RSRC2:TRAP_HANDLER: 0
; COMPUTE_PGM_RSRC2:TGID_X_EN: 1
; COMPUTE_PGM_RSRC2:TGID_Y_EN: 0
; COMPUTE_PGM_RSRC2:TGID_Z_EN: 0
; COMPUTE_PGM_RSRC2:TIDIG_COMP_CNT: 0
; COMPUTE_PGM_RSRC3_GFX90A:ACCUM_OFFSET: 0
; COMPUTE_PGM_RSRC3_GFX90A:TG_SPLIT: 0
	.section	.text._ZN7rocprim17ROCPRIM_400000_NS6detail17trampoline_kernelINS0_14default_configENS1_38merge_sort_block_merge_config_selectorIlNS0_10empty_typeEEEZZNS1_27merge_sort_block_merge_implIS3_PlPS5_mZN2at6native12_GLOBAL__N_124unique_dim_cuda_templateIdEESt5tupleIJNSA_6TensorESF_SF_EERKSF_lbbbEUlllE_EE10hipError_tT0_T1_T2_jT3_P12ihipStream_tbPNSt15iterator_traitsISL_E10value_typeEPNSR_ISM_E10value_typeEPSN_NS1_7vsmem_tEENKUlT_SL_SM_SN_E_clIS8_S8_S9_S9_EESK_S10_SL_SM_SN_EUlS10_E0_NS1_11comp_targetILNS1_3genE10ELNS1_11target_archE1201ELNS1_3gpuE5ELNS1_3repE0EEENS1_38merge_mergepath_config_static_selectorELNS0_4arch9wavefront6targetE1EEEvSM_,"axG",@progbits,_ZN7rocprim17ROCPRIM_400000_NS6detail17trampoline_kernelINS0_14default_configENS1_38merge_sort_block_merge_config_selectorIlNS0_10empty_typeEEEZZNS1_27merge_sort_block_merge_implIS3_PlPS5_mZN2at6native12_GLOBAL__N_124unique_dim_cuda_templateIdEESt5tupleIJNSA_6TensorESF_SF_EERKSF_lbbbEUlllE_EE10hipError_tT0_T1_T2_jT3_P12ihipStream_tbPNSt15iterator_traitsISL_E10value_typeEPNSR_ISM_E10value_typeEPSN_NS1_7vsmem_tEENKUlT_SL_SM_SN_E_clIS8_S8_S9_S9_EESK_S10_SL_SM_SN_EUlS10_E0_NS1_11comp_targetILNS1_3genE10ELNS1_11target_archE1201ELNS1_3gpuE5ELNS1_3repE0EEENS1_38merge_mergepath_config_static_selectorELNS0_4arch9wavefront6targetE1EEEvSM_,comdat
	.globl	_ZN7rocprim17ROCPRIM_400000_NS6detail17trampoline_kernelINS0_14default_configENS1_38merge_sort_block_merge_config_selectorIlNS0_10empty_typeEEEZZNS1_27merge_sort_block_merge_implIS3_PlPS5_mZN2at6native12_GLOBAL__N_124unique_dim_cuda_templateIdEESt5tupleIJNSA_6TensorESF_SF_EERKSF_lbbbEUlllE_EE10hipError_tT0_T1_T2_jT3_P12ihipStream_tbPNSt15iterator_traitsISL_E10value_typeEPNSR_ISM_E10value_typeEPSN_NS1_7vsmem_tEENKUlT_SL_SM_SN_E_clIS8_S8_S9_S9_EESK_S10_SL_SM_SN_EUlS10_E0_NS1_11comp_targetILNS1_3genE10ELNS1_11target_archE1201ELNS1_3gpuE5ELNS1_3repE0EEENS1_38merge_mergepath_config_static_selectorELNS0_4arch9wavefront6targetE1EEEvSM_ ; -- Begin function _ZN7rocprim17ROCPRIM_400000_NS6detail17trampoline_kernelINS0_14default_configENS1_38merge_sort_block_merge_config_selectorIlNS0_10empty_typeEEEZZNS1_27merge_sort_block_merge_implIS3_PlPS5_mZN2at6native12_GLOBAL__N_124unique_dim_cuda_templateIdEESt5tupleIJNSA_6TensorESF_SF_EERKSF_lbbbEUlllE_EE10hipError_tT0_T1_T2_jT3_P12ihipStream_tbPNSt15iterator_traitsISL_E10value_typeEPNSR_ISM_E10value_typeEPSN_NS1_7vsmem_tEENKUlT_SL_SM_SN_E_clIS8_S8_S9_S9_EESK_S10_SL_SM_SN_EUlS10_E0_NS1_11comp_targetILNS1_3genE10ELNS1_11target_archE1201ELNS1_3gpuE5ELNS1_3repE0EEENS1_38merge_mergepath_config_static_selectorELNS0_4arch9wavefront6targetE1EEEvSM_
	.p2align	8
	.type	_ZN7rocprim17ROCPRIM_400000_NS6detail17trampoline_kernelINS0_14default_configENS1_38merge_sort_block_merge_config_selectorIlNS0_10empty_typeEEEZZNS1_27merge_sort_block_merge_implIS3_PlPS5_mZN2at6native12_GLOBAL__N_124unique_dim_cuda_templateIdEESt5tupleIJNSA_6TensorESF_SF_EERKSF_lbbbEUlllE_EE10hipError_tT0_T1_T2_jT3_P12ihipStream_tbPNSt15iterator_traitsISL_E10value_typeEPNSR_ISM_E10value_typeEPSN_NS1_7vsmem_tEENKUlT_SL_SM_SN_E_clIS8_S8_S9_S9_EESK_S10_SL_SM_SN_EUlS10_E0_NS1_11comp_targetILNS1_3genE10ELNS1_11target_archE1201ELNS1_3gpuE5ELNS1_3repE0EEENS1_38merge_mergepath_config_static_selectorELNS0_4arch9wavefront6targetE1EEEvSM_,@function
_ZN7rocprim17ROCPRIM_400000_NS6detail17trampoline_kernelINS0_14default_configENS1_38merge_sort_block_merge_config_selectorIlNS0_10empty_typeEEEZZNS1_27merge_sort_block_merge_implIS3_PlPS5_mZN2at6native12_GLOBAL__N_124unique_dim_cuda_templateIdEESt5tupleIJNSA_6TensorESF_SF_EERKSF_lbbbEUlllE_EE10hipError_tT0_T1_T2_jT3_P12ihipStream_tbPNSt15iterator_traitsISL_E10value_typeEPNSR_ISM_E10value_typeEPSN_NS1_7vsmem_tEENKUlT_SL_SM_SN_E_clIS8_S8_S9_S9_EESK_S10_SL_SM_SN_EUlS10_E0_NS1_11comp_targetILNS1_3genE10ELNS1_11target_archE1201ELNS1_3gpuE5ELNS1_3repE0EEENS1_38merge_mergepath_config_static_selectorELNS0_4arch9wavefront6targetE1EEEvSM_: ; @_ZN7rocprim17ROCPRIM_400000_NS6detail17trampoline_kernelINS0_14default_configENS1_38merge_sort_block_merge_config_selectorIlNS0_10empty_typeEEEZZNS1_27merge_sort_block_merge_implIS3_PlPS5_mZN2at6native12_GLOBAL__N_124unique_dim_cuda_templateIdEESt5tupleIJNSA_6TensorESF_SF_EERKSF_lbbbEUlllE_EE10hipError_tT0_T1_T2_jT3_P12ihipStream_tbPNSt15iterator_traitsISL_E10value_typeEPNSR_ISM_E10value_typeEPSN_NS1_7vsmem_tEENKUlT_SL_SM_SN_E_clIS8_S8_S9_S9_EESK_S10_SL_SM_SN_EUlS10_E0_NS1_11comp_targetILNS1_3genE10ELNS1_11target_archE1201ELNS1_3gpuE5ELNS1_3repE0EEENS1_38merge_mergepath_config_static_selectorELNS0_4arch9wavefront6targetE1EEEvSM_
; %bb.0:
	.section	.rodata,"a",@progbits
	.p2align	6, 0x0
	.amdhsa_kernel _ZN7rocprim17ROCPRIM_400000_NS6detail17trampoline_kernelINS0_14default_configENS1_38merge_sort_block_merge_config_selectorIlNS0_10empty_typeEEEZZNS1_27merge_sort_block_merge_implIS3_PlPS5_mZN2at6native12_GLOBAL__N_124unique_dim_cuda_templateIdEESt5tupleIJNSA_6TensorESF_SF_EERKSF_lbbbEUlllE_EE10hipError_tT0_T1_T2_jT3_P12ihipStream_tbPNSt15iterator_traitsISL_E10value_typeEPNSR_ISM_E10value_typeEPSN_NS1_7vsmem_tEENKUlT_SL_SM_SN_E_clIS8_S8_S9_S9_EESK_S10_SL_SM_SN_EUlS10_E0_NS1_11comp_targetILNS1_3genE10ELNS1_11target_archE1201ELNS1_3gpuE5ELNS1_3repE0EEENS1_38merge_mergepath_config_static_selectorELNS0_4arch9wavefront6targetE1EEEvSM_
		.amdhsa_group_segment_fixed_size 0
		.amdhsa_private_segment_fixed_size 0
		.amdhsa_kernarg_size 88
		.amdhsa_user_sgpr_count 6
		.amdhsa_user_sgpr_private_segment_buffer 1
		.amdhsa_user_sgpr_dispatch_ptr 0
		.amdhsa_user_sgpr_queue_ptr 0
		.amdhsa_user_sgpr_kernarg_segment_ptr 1
		.amdhsa_user_sgpr_dispatch_id 0
		.amdhsa_user_sgpr_flat_scratch_init 0
		.amdhsa_user_sgpr_kernarg_preload_length 0
		.amdhsa_user_sgpr_kernarg_preload_offset 0
		.amdhsa_user_sgpr_private_segment_size 0
		.amdhsa_uses_dynamic_stack 0
		.amdhsa_system_sgpr_private_segment_wavefront_offset 0
		.amdhsa_system_sgpr_workgroup_id_x 1
		.amdhsa_system_sgpr_workgroup_id_y 0
		.amdhsa_system_sgpr_workgroup_id_z 0
		.amdhsa_system_sgpr_workgroup_info 0
		.amdhsa_system_vgpr_workitem_id 0
		.amdhsa_next_free_vgpr 1
		.amdhsa_next_free_sgpr 0
		.amdhsa_accum_offset 4
		.amdhsa_reserve_vcc 0
		.amdhsa_reserve_flat_scratch 0
		.amdhsa_float_round_mode_32 0
		.amdhsa_float_round_mode_16_64 0
		.amdhsa_float_denorm_mode_32 3
		.amdhsa_float_denorm_mode_16_64 3
		.amdhsa_dx10_clamp 1
		.amdhsa_ieee_mode 1
		.amdhsa_fp16_overflow 0
		.amdhsa_tg_split 0
		.amdhsa_exception_fp_ieee_invalid_op 0
		.amdhsa_exception_fp_denorm_src 0
		.amdhsa_exception_fp_ieee_div_zero 0
		.amdhsa_exception_fp_ieee_overflow 0
		.amdhsa_exception_fp_ieee_underflow 0
		.amdhsa_exception_fp_ieee_inexact 0
		.amdhsa_exception_int_div_zero 0
	.end_amdhsa_kernel
	.section	.text._ZN7rocprim17ROCPRIM_400000_NS6detail17trampoline_kernelINS0_14default_configENS1_38merge_sort_block_merge_config_selectorIlNS0_10empty_typeEEEZZNS1_27merge_sort_block_merge_implIS3_PlPS5_mZN2at6native12_GLOBAL__N_124unique_dim_cuda_templateIdEESt5tupleIJNSA_6TensorESF_SF_EERKSF_lbbbEUlllE_EE10hipError_tT0_T1_T2_jT3_P12ihipStream_tbPNSt15iterator_traitsISL_E10value_typeEPNSR_ISM_E10value_typeEPSN_NS1_7vsmem_tEENKUlT_SL_SM_SN_E_clIS8_S8_S9_S9_EESK_S10_SL_SM_SN_EUlS10_E0_NS1_11comp_targetILNS1_3genE10ELNS1_11target_archE1201ELNS1_3gpuE5ELNS1_3repE0EEENS1_38merge_mergepath_config_static_selectorELNS0_4arch9wavefront6targetE1EEEvSM_,"axG",@progbits,_ZN7rocprim17ROCPRIM_400000_NS6detail17trampoline_kernelINS0_14default_configENS1_38merge_sort_block_merge_config_selectorIlNS0_10empty_typeEEEZZNS1_27merge_sort_block_merge_implIS3_PlPS5_mZN2at6native12_GLOBAL__N_124unique_dim_cuda_templateIdEESt5tupleIJNSA_6TensorESF_SF_EERKSF_lbbbEUlllE_EE10hipError_tT0_T1_T2_jT3_P12ihipStream_tbPNSt15iterator_traitsISL_E10value_typeEPNSR_ISM_E10value_typeEPSN_NS1_7vsmem_tEENKUlT_SL_SM_SN_E_clIS8_S8_S9_S9_EESK_S10_SL_SM_SN_EUlS10_E0_NS1_11comp_targetILNS1_3genE10ELNS1_11target_archE1201ELNS1_3gpuE5ELNS1_3repE0EEENS1_38merge_mergepath_config_static_selectorELNS0_4arch9wavefront6targetE1EEEvSM_,comdat
.Lfunc_end767:
	.size	_ZN7rocprim17ROCPRIM_400000_NS6detail17trampoline_kernelINS0_14default_configENS1_38merge_sort_block_merge_config_selectorIlNS0_10empty_typeEEEZZNS1_27merge_sort_block_merge_implIS3_PlPS5_mZN2at6native12_GLOBAL__N_124unique_dim_cuda_templateIdEESt5tupleIJNSA_6TensorESF_SF_EERKSF_lbbbEUlllE_EE10hipError_tT0_T1_T2_jT3_P12ihipStream_tbPNSt15iterator_traitsISL_E10value_typeEPNSR_ISM_E10value_typeEPSN_NS1_7vsmem_tEENKUlT_SL_SM_SN_E_clIS8_S8_S9_S9_EESK_S10_SL_SM_SN_EUlS10_E0_NS1_11comp_targetILNS1_3genE10ELNS1_11target_archE1201ELNS1_3gpuE5ELNS1_3repE0EEENS1_38merge_mergepath_config_static_selectorELNS0_4arch9wavefront6targetE1EEEvSM_, .Lfunc_end767-_ZN7rocprim17ROCPRIM_400000_NS6detail17trampoline_kernelINS0_14default_configENS1_38merge_sort_block_merge_config_selectorIlNS0_10empty_typeEEEZZNS1_27merge_sort_block_merge_implIS3_PlPS5_mZN2at6native12_GLOBAL__N_124unique_dim_cuda_templateIdEESt5tupleIJNSA_6TensorESF_SF_EERKSF_lbbbEUlllE_EE10hipError_tT0_T1_T2_jT3_P12ihipStream_tbPNSt15iterator_traitsISL_E10value_typeEPNSR_ISM_E10value_typeEPSN_NS1_7vsmem_tEENKUlT_SL_SM_SN_E_clIS8_S8_S9_S9_EESK_S10_SL_SM_SN_EUlS10_E0_NS1_11comp_targetILNS1_3genE10ELNS1_11target_archE1201ELNS1_3gpuE5ELNS1_3repE0EEENS1_38merge_mergepath_config_static_selectorELNS0_4arch9wavefront6targetE1EEEvSM_
                                        ; -- End function
	.section	.AMDGPU.csdata,"",@progbits
; Kernel info:
; codeLenInByte = 0
; NumSgprs: 4
; NumVgprs: 0
; NumAgprs: 0
; TotalNumVgprs: 0
; ScratchSize: 0
; MemoryBound: 0
; FloatMode: 240
; IeeeMode: 1
; LDSByteSize: 0 bytes/workgroup (compile time only)
; SGPRBlocks: 0
; VGPRBlocks: 0
; NumSGPRsForWavesPerEU: 4
; NumVGPRsForWavesPerEU: 1
; AccumOffset: 4
; Occupancy: 8
; WaveLimiterHint : 0
; COMPUTE_PGM_RSRC2:SCRATCH_EN: 0
; COMPUTE_PGM_RSRC2:USER_SGPR: 6
; COMPUTE_PGM_RSRC2:TRAP_HANDLER: 0
; COMPUTE_PGM_RSRC2:TGID_X_EN: 1
; COMPUTE_PGM_RSRC2:TGID_Y_EN: 0
; COMPUTE_PGM_RSRC2:TGID_Z_EN: 0
; COMPUTE_PGM_RSRC2:TIDIG_COMP_CNT: 0
; COMPUTE_PGM_RSRC3_GFX90A:ACCUM_OFFSET: 0
; COMPUTE_PGM_RSRC3_GFX90A:TG_SPLIT: 0
	.section	.text._ZN7rocprim17ROCPRIM_400000_NS6detail17trampoline_kernelINS0_14default_configENS1_38merge_sort_block_merge_config_selectorIlNS0_10empty_typeEEEZZNS1_27merge_sort_block_merge_implIS3_PlPS5_mZN2at6native12_GLOBAL__N_124unique_dim_cuda_templateIdEESt5tupleIJNSA_6TensorESF_SF_EERKSF_lbbbEUlllE_EE10hipError_tT0_T1_T2_jT3_P12ihipStream_tbPNSt15iterator_traitsISL_E10value_typeEPNSR_ISM_E10value_typeEPSN_NS1_7vsmem_tEENKUlT_SL_SM_SN_E_clIS8_S8_S9_S9_EESK_S10_SL_SM_SN_EUlS10_E0_NS1_11comp_targetILNS1_3genE5ELNS1_11target_archE942ELNS1_3gpuE9ELNS1_3repE0EEENS1_38merge_mergepath_config_static_selectorELNS0_4arch9wavefront6targetE1EEEvSM_,"axG",@progbits,_ZN7rocprim17ROCPRIM_400000_NS6detail17trampoline_kernelINS0_14default_configENS1_38merge_sort_block_merge_config_selectorIlNS0_10empty_typeEEEZZNS1_27merge_sort_block_merge_implIS3_PlPS5_mZN2at6native12_GLOBAL__N_124unique_dim_cuda_templateIdEESt5tupleIJNSA_6TensorESF_SF_EERKSF_lbbbEUlllE_EE10hipError_tT0_T1_T2_jT3_P12ihipStream_tbPNSt15iterator_traitsISL_E10value_typeEPNSR_ISM_E10value_typeEPSN_NS1_7vsmem_tEENKUlT_SL_SM_SN_E_clIS8_S8_S9_S9_EESK_S10_SL_SM_SN_EUlS10_E0_NS1_11comp_targetILNS1_3genE5ELNS1_11target_archE942ELNS1_3gpuE9ELNS1_3repE0EEENS1_38merge_mergepath_config_static_selectorELNS0_4arch9wavefront6targetE1EEEvSM_,comdat
	.globl	_ZN7rocprim17ROCPRIM_400000_NS6detail17trampoline_kernelINS0_14default_configENS1_38merge_sort_block_merge_config_selectorIlNS0_10empty_typeEEEZZNS1_27merge_sort_block_merge_implIS3_PlPS5_mZN2at6native12_GLOBAL__N_124unique_dim_cuda_templateIdEESt5tupleIJNSA_6TensorESF_SF_EERKSF_lbbbEUlllE_EE10hipError_tT0_T1_T2_jT3_P12ihipStream_tbPNSt15iterator_traitsISL_E10value_typeEPNSR_ISM_E10value_typeEPSN_NS1_7vsmem_tEENKUlT_SL_SM_SN_E_clIS8_S8_S9_S9_EESK_S10_SL_SM_SN_EUlS10_E0_NS1_11comp_targetILNS1_3genE5ELNS1_11target_archE942ELNS1_3gpuE9ELNS1_3repE0EEENS1_38merge_mergepath_config_static_selectorELNS0_4arch9wavefront6targetE1EEEvSM_ ; -- Begin function _ZN7rocprim17ROCPRIM_400000_NS6detail17trampoline_kernelINS0_14default_configENS1_38merge_sort_block_merge_config_selectorIlNS0_10empty_typeEEEZZNS1_27merge_sort_block_merge_implIS3_PlPS5_mZN2at6native12_GLOBAL__N_124unique_dim_cuda_templateIdEESt5tupleIJNSA_6TensorESF_SF_EERKSF_lbbbEUlllE_EE10hipError_tT0_T1_T2_jT3_P12ihipStream_tbPNSt15iterator_traitsISL_E10value_typeEPNSR_ISM_E10value_typeEPSN_NS1_7vsmem_tEENKUlT_SL_SM_SN_E_clIS8_S8_S9_S9_EESK_S10_SL_SM_SN_EUlS10_E0_NS1_11comp_targetILNS1_3genE5ELNS1_11target_archE942ELNS1_3gpuE9ELNS1_3repE0EEENS1_38merge_mergepath_config_static_selectorELNS0_4arch9wavefront6targetE1EEEvSM_
	.p2align	8
	.type	_ZN7rocprim17ROCPRIM_400000_NS6detail17trampoline_kernelINS0_14default_configENS1_38merge_sort_block_merge_config_selectorIlNS0_10empty_typeEEEZZNS1_27merge_sort_block_merge_implIS3_PlPS5_mZN2at6native12_GLOBAL__N_124unique_dim_cuda_templateIdEESt5tupleIJNSA_6TensorESF_SF_EERKSF_lbbbEUlllE_EE10hipError_tT0_T1_T2_jT3_P12ihipStream_tbPNSt15iterator_traitsISL_E10value_typeEPNSR_ISM_E10value_typeEPSN_NS1_7vsmem_tEENKUlT_SL_SM_SN_E_clIS8_S8_S9_S9_EESK_S10_SL_SM_SN_EUlS10_E0_NS1_11comp_targetILNS1_3genE5ELNS1_11target_archE942ELNS1_3gpuE9ELNS1_3repE0EEENS1_38merge_mergepath_config_static_selectorELNS0_4arch9wavefront6targetE1EEEvSM_,@function
_ZN7rocprim17ROCPRIM_400000_NS6detail17trampoline_kernelINS0_14default_configENS1_38merge_sort_block_merge_config_selectorIlNS0_10empty_typeEEEZZNS1_27merge_sort_block_merge_implIS3_PlPS5_mZN2at6native12_GLOBAL__N_124unique_dim_cuda_templateIdEESt5tupleIJNSA_6TensorESF_SF_EERKSF_lbbbEUlllE_EE10hipError_tT0_T1_T2_jT3_P12ihipStream_tbPNSt15iterator_traitsISL_E10value_typeEPNSR_ISM_E10value_typeEPSN_NS1_7vsmem_tEENKUlT_SL_SM_SN_E_clIS8_S8_S9_S9_EESK_S10_SL_SM_SN_EUlS10_E0_NS1_11comp_targetILNS1_3genE5ELNS1_11target_archE942ELNS1_3gpuE9ELNS1_3repE0EEENS1_38merge_mergepath_config_static_selectorELNS0_4arch9wavefront6targetE1EEEvSM_: ; @_ZN7rocprim17ROCPRIM_400000_NS6detail17trampoline_kernelINS0_14default_configENS1_38merge_sort_block_merge_config_selectorIlNS0_10empty_typeEEEZZNS1_27merge_sort_block_merge_implIS3_PlPS5_mZN2at6native12_GLOBAL__N_124unique_dim_cuda_templateIdEESt5tupleIJNSA_6TensorESF_SF_EERKSF_lbbbEUlllE_EE10hipError_tT0_T1_T2_jT3_P12ihipStream_tbPNSt15iterator_traitsISL_E10value_typeEPNSR_ISM_E10value_typeEPSN_NS1_7vsmem_tEENKUlT_SL_SM_SN_E_clIS8_S8_S9_S9_EESK_S10_SL_SM_SN_EUlS10_E0_NS1_11comp_targetILNS1_3genE5ELNS1_11target_archE942ELNS1_3gpuE9ELNS1_3repE0EEENS1_38merge_mergepath_config_static_selectorELNS0_4arch9wavefront6targetE1EEEvSM_
; %bb.0:
	.section	.rodata,"a",@progbits
	.p2align	6, 0x0
	.amdhsa_kernel _ZN7rocprim17ROCPRIM_400000_NS6detail17trampoline_kernelINS0_14default_configENS1_38merge_sort_block_merge_config_selectorIlNS0_10empty_typeEEEZZNS1_27merge_sort_block_merge_implIS3_PlPS5_mZN2at6native12_GLOBAL__N_124unique_dim_cuda_templateIdEESt5tupleIJNSA_6TensorESF_SF_EERKSF_lbbbEUlllE_EE10hipError_tT0_T1_T2_jT3_P12ihipStream_tbPNSt15iterator_traitsISL_E10value_typeEPNSR_ISM_E10value_typeEPSN_NS1_7vsmem_tEENKUlT_SL_SM_SN_E_clIS8_S8_S9_S9_EESK_S10_SL_SM_SN_EUlS10_E0_NS1_11comp_targetILNS1_3genE5ELNS1_11target_archE942ELNS1_3gpuE9ELNS1_3repE0EEENS1_38merge_mergepath_config_static_selectorELNS0_4arch9wavefront6targetE1EEEvSM_
		.amdhsa_group_segment_fixed_size 0
		.amdhsa_private_segment_fixed_size 0
		.amdhsa_kernarg_size 88
		.amdhsa_user_sgpr_count 6
		.amdhsa_user_sgpr_private_segment_buffer 1
		.amdhsa_user_sgpr_dispatch_ptr 0
		.amdhsa_user_sgpr_queue_ptr 0
		.amdhsa_user_sgpr_kernarg_segment_ptr 1
		.amdhsa_user_sgpr_dispatch_id 0
		.amdhsa_user_sgpr_flat_scratch_init 0
		.amdhsa_user_sgpr_kernarg_preload_length 0
		.amdhsa_user_sgpr_kernarg_preload_offset 0
		.amdhsa_user_sgpr_private_segment_size 0
		.amdhsa_uses_dynamic_stack 0
		.amdhsa_system_sgpr_private_segment_wavefront_offset 0
		.amdhsa_system_sgpr_workgroup_id_x 1
		.amdhsa_system_sgpr_workgroup_id_y 0
		.amdhsa_system_sgpr_workgroup_id_z 0
		.amdhsa_system_sgpr_workgroup_info 0
		.amdhsa_system_vgpr_workitem_id 0
		.amdhsa_next_free_vgpr 1
		.amdhsa_next_free_sgpr 0
		.amdhsa_accum_offset 4
		.amdhsa_reserve_vcc 0
		.amdhsa_reserve_flat_scratch 0
		.amdhsa_float_round_mode_32 0
		.amdhsa_float_round_mode_16_64 0
		.amdhsa_float_denorm_mode_32 3
		.amdhsa_float_denorm_mode_16_64 3
		.amdhsa_dx10_clamp 1
		.amdhsa_ieee_mode 1
		.amdhsa_fp16_overflow 0
		.amdhsa_tg_split 0
		.amdhsa_exception_fp_ieee_invalid_op 0
		.amdhsa_exception_fp_denorm_src 0
		.amdhsa_exception_fp_ieee_div_zero 0
		.amdhsa_exception_fp_ieee_overflow 0
		.amdhsa_exception_fp_ieee_underflow 0
		.amdhsa_exception_fp_ieee_inexact 0
		.amdhsa_exception_int_div_zero 0
	.end_amdhsa_kernel
	.section	.text._ZN7rocprim17ROCPRIM_400000_NS6detail17trampoline_kernelINS0_14default_configENS1_38merge_sort_block_merge_config_selectorIlNS0_10empty_typeEEEZZNS1_27merge_sort_block_merge_implIS3_PlPS5_mZN2at6native12_GLOBAL__N_124unique_dim_cuda_templateIdEESt5tupleIJNSA_6TensorESF_SF_EERKSF_lbbbEUlllE_EE10hipError_tT0_T1_T2_jT3_P12ihipStream_tbPNSt15iterator_traitsISL_E10value_typeEPNSR_ISM_E10value_typeEPSN_NS1_7vsmem_tEENKUlT_SL_SM_SN_E_clIS8_S8_S9_S9_EESK_S10_SL_SM_SN_EUlS10_E0_NS1_11comp_targetILNS1_3genE5ELNS1_11target_archE942ELNS1_3gpuE9ELNS1_3repE0EEENS1_38merge_mergepath_config_static_selectorELNS0_4arch9wavefront6targetE1EEEvSM_,"axG",@progbits,_ZN7rocprim17ROCPRIM_400000_NS6detail17trampoline_kernelINS0_14default_configENS1_38merge_sort_block_merge_config_selectorIlNS0_10empty_typeEEEZZNS1_27merge_sort_block_merge_implIS3_PlPS5_mZN2at6native12_GLOBAL__N_124unique_dim_cuda_templateIdEESt5tupleIJNSA_6TensorESF_SF_EERKSF_lbbbEUlllE_EE10hipError_tT0_T1_T2_jT3_P12ihipStream_tbPNSt15iterator_traitsISL_E10value_typeEPNSR_ISM_E10value_typeEPSN_NS1_7vsmem_tEENKUlT_SL_SM_SN_E_clIS8_S8_S9_S9_EESK_S10_SL_SM_SN_EUlS10_E0_NS1_11comp_targetILNS1_3genE5ELNS1_11target_archE942ELNS1_3gpuE9ELNS1_3repE0EEENS1_38merge_mergepath_config_static_selectorELNS0_4arch9wavefront6targetE1EEEvSM_,comdat
.Lfunc_end768:
	.size	_ZN7rocprim17ROCPRIM_400000_NS6detail17trampoline_kernelINS0_14default_configENS1_38merge_sort_block_merge_config_selectorIlNS0_10empty_typeEEEZZNS1_27merge_sort_block_merge_implIS3_PlPS5_mZN2at6native12_GLOBAL__N_124unique_dim_cuda_templateIdEESt5tupleIJNSA_6TensorESF_SF_EERKSF_lbbbEUlllE_EE10hipError_tT0_T1_T2_jT3_P12ihipStream_tbPNSt15iterator_traitsISL_E10value_typeEPNSR_ISM_E10value_typeEPSN_NS1_7vsmem_tEENKUlT_SL_SM_SN_E_clIS8_S8_S9_S9_EESK_S10_SL_SM_SN_EUlS10_E0_NS1_11comp_targetILNS1_3genE5ELNS1_11target_archE942ELNS1_3gpuE9ELNS1_3repE0EEENS1_38merge_mergepath_config_static_selectorELNS0_4arch9wavefront6targetE1EEEvSM_, .Lfunc_end768-_ZN7rocprim17ROCPRIM_400000_NS6detail17trampoline_kernelINS0_14default_configENS1_38merge_sort_block_merge_config_selectorIlNS0_10empty_typeEEEZZNS1_27merge_sort_block_merge_implIS3_PlPS5_mZN2at6native12_GLOBAL__N_124unique_dim_cuda_templateIdEESt5tupleIJNSA_6TensorESF_SF_EERKSF_lbbbEUlllE_EE10hipError_tT0_T1_T2_jT3_P12ihipStream_tbPNSt15iterator_traitsISL_E10value_typeEPNSR_ISM_E10value_typeEPSN_NS1_7vsmem_tEENKUlT_SL_SM_SN_E_clIS8_S8_S9_S9_EESK_S10_SL_SM_SN_EUlS10_E0_NS1_11comp_targetILNS1_3genE5ELNS1_11target_archE942ELNS1_3gpuE9ELNS1_3repE0EEENS1_38merge_mergepath_config_static_selectorELNS0_4arch9wavefront6targetE1EEEvSM_
                                        ; -- End function
	.section	.AMDGPU.csdata,"",@progbits
; Kernel info:
; codeLenInByte = 0
; NumSgprs: 4
; NumVgprs: 0
; NumAgprs: 0
; TotalNumVgprs: 0
; ScratchSize: 0
; MemoryBound: 0
; FloatMode: 240
; IeeeMode: 1
; LDSByteSize: 0 bytes/workgroup (compile time only)
; SGPRBlocks: 0
; VGPRBlocks: 0
; NumSGPRsForWavesPerEU: 4
; NumVGPRsForWavesPerEU: 1
; AccumOffset: 4
; Occupancy: 8
; WaveLimiterHint : 0
; COMPUTE_PGM_RSRC2:SCRATCH_EN: 0
; COMPUTE_PGM_RSRC2:USER_SGPR: 6
; COMPUTE_PGM_RSRC2:TRAP_HANDLER: 0
; COMPUTE_PGM_RSRC2:TGID_X_EN: 1
; COMPUTE_PGM_RSRC2:TGID_Y_EN: 0
; COMPUTE_PGM_RSRC2:TGID_Z_EN: 0
; COMPUTE_PGM_RSRC2:TIDIG_COMP_CNT: 0
; COMPUTE_PGM_RSRC3_GFX90A:ACCUM_OFFSET: 0
; COMPUTE_PGM_RSRC3_GFX90A:TG_SPLIT: 0
	.section	.text._ZN7rocprim17ROCPRIM_400000_NS6detail17trampoline_kernelINS0_14default_configENS1_38merge_sort_block_merge_config_selectorIlNS0_10empty_typeEEEZZNS1_27merge_sort_block_merge_implIS3_PlPS5_mZN2at6native12_GLOBAL__N_124unique_dim_cuda_templateIdEESt5tupleIJNSA_6TensorESF_SF_EERKSF_lbbbEUlllE_EE10hipError_tT0_T1_T2_jT3_P12ihipStream_tbPNSt15iterator_traitsISL_E10value_typeEPNSR_ISM_E10value_typeEPSN_NS1_7vsmem_tEENKUlT_SL_SM_SN_E_clIS8_S8_S9_S9_EESK_S10_SL_SM_SN_EUlS10_E0_NS1_11comp_targetILNS1_3genE4ELNS1_11target_archE910ELNS1_3gpuE8ELNS1_3repE0EEENS1_38merge_mergepath_config_static_selectorELNS0_4arch9wavefront6targetE1EEEvSM_,"axG",@progbits,_ZN7rocprim17ROCPRIM_400000_NS6detail17trampoline_kernelINS0_14default_configENS1_38merge_sort_block_merge_config_selectorIlNS0_10empty_typeEEEZZNS1_27merge_sort_block_merge_implIS3_PlPS5_mZN2at6native12_GLOBAL__N_124unique_dim_cuda_templateIdEESt5tupleIJNSA_6TensorESF_SF_EERKSF_lbbbEUlllE_EE10hipError_tT0_T1_T2_jT3_P12ihipStream_tbPNSt15iterator_traitsISL_E10value_typeEPNSR_ISM_E10value_typeEPSN_NS1_7vsmem_tEENKUlT_SL_SM_SN_E_clIS8_S8_S9_S9_EESK_S10_SL_SM_SN_EUlS10_E0_NS1_11comp_targetILNS1_3genE4ELNS1_11target_archE910ELNS1_3gpuE8ELNS1_3repE0EEENS1_38merge_mergepath_config_static_selectorELNS0_4arch9wavefront6targetE1EEEvSM_,comdat
	.globl	_ZN7rocprim17ROCPRIM_400000_NS6detail17trampoline_kernelINS0_14default_configENS1_38merge_sort_block_merge_config_selectorIlNS0_10empty_typeEEEZZNS1_27merge_sort_block_merge_implIS3_PlPS5_mZN2at6native12_GLOBAL__N_124unique_dim_cuda_templateIdEESt5tupleIJNSA_6TensorESF_SF_EERKSF_lbbbEUlllE_EE10hipError_tT0_T1_T2_jT3_P12ihipStream_tbPNSt15iterator_traitsISL_E10value_typeEPNSR_ISM_E10value_typeEPSN_NS1_7vsmem_tEENKUlT_SL_SM_SN_E_clIS8_S8_S9_S9_EESK_S10_SL_SM_SN_EUlS10_E0_NS1_11comp_targetILNS1_3genE4ELNS1_11target_archE910ELNS1_3gpuE8ELNS1_3repE0EEENS1_38merge_mergepath_config_static_selectorELNS0_4arch9wavefront6targetE1EEEvSM_ ; -- Begin function _ZN7rocprim17ROCPRIM_400000_NS6detail17trampoline_kernelINS0_14default_configENS1_38merge_sort_block_merge_config_selectorIlNS0_10empty_typeEEEZZNS1_27merge_sort_block_merge_implIS3_PlPS5_mZN2at6native12_GLOBAL__N_124unique_dim_cuda_templateIdEESt5tupleIJNSA_6TensorESF_SF_EERKSF_lbbbEUlllE_EE10hipError_tT0_T1_T2_jT3_P12ihipStream_tbPNSt15iterator_traitsISL_E10value_typeEPNSR_ISM_E10value_typeEPSN_NS1_7vsmem_tEENKUlT_SL_SM_SN_E_clIS8_S8_S9_S9_EESK_S10_SL_SM_SN_EUlS10_E0_NS1_11comp_targetILNS1_3genE4ELNS1_11target_archE910ELNS1_3gpuE8ELNS1_3repE0EEENS1_38merge_mergepath_config_static_selectorELNS0_4arch9wavefront6targetE1EEEvSM_
	.p2align	8
	.type	_ZN7rocprim17ROCPRIM_400000_NS6detail17trampoline_kernelINS0_14default_configENS1_38merge_sort_block_merge_config_selectorIlNS0_10empty_typeEEEZZNS1_27merge_sort_block_merge_implIS3_PlPS5_mZN2at6native12_GLOBAL__N_124unique_dim_cuda_templateIdEESt5tupleIJNSA_6TensorESF_SF_EERKSF_lbbbEUlllE_EE10hipError_tT0_T1_T2_jT3_P12ihipStream_tbPNSt15iterator_traitsISL_E10value_typeEPNSR_ISM_E10value_typeEPSN_NS1_7vsmem_tEENKUlT_SL_SM_SN_E_clIS8_S8_S9_S9_EESK_S10_SL_SM_SN_EUlS10_E0_NS1_11comp_targetILNS1_3genE4ELNS1_11target_archE910ELNS1_3gpuE8ELNS1_3repE0EEENS1_38merge_mergepath_config_static_selectorELNS0_4arch9wavefront6targetE1EEEvSM_,@function
_ZN7rocprim17ROCPRIM_400000_NS6detail17trampoline_kernelINS0_14default_configENS1_38merge_sort_block_merge_config_selectorIlNS0_10empty_typeEEEZZNS1_27merge_sort_block_merge_implIS3_PlPS5_mZN2at6native12_GLOBAL__N_124unique_dim_cuda_templateIdEESt5tupleIJNSA_6TensorESF_SF_EERKSF_lbbbEUlllE_EE10hipError_tT0_T1_T2_jT3_P12ihipStream_tbPNSt15iterator_traitsISL_E10value_typeEPNSR_ISM_E10value_typeEPSN_NS1_7vsmem_tEENKUlT_SL_SM_SN_E_clIS8_S8_S9_S9_EESK_S10_SL_SM_SN_EUlS10_E0_NS1_11comp_targetILNS1_3genE4ELNS1_11target_archE910ELNS1_3gpuE8ELNS1_3repE0EEENS1_38merge_mergepath_config_static_selectorELNS0_4arch9wavefront6targetE1EEEvSM_: ; @_ZN7rocprim17ROCPRIM_400000_NS6detail17trampoline_kernelINS0_14default_configENS1_38merge_sort_block_merge_config_selectorIlNS0_10empty_typeEEEZZNS1_27merge_sort_block_merge_implIS3_PlPS5_mZN2at6native12_GLOBAL__N_124unique_dim_cuda_templateIdEESt5tupleIJNSA_6TensorESF_SF_EERKSF_lbbbEUlllE_EE10hipError_tT0_T1_T2_jT3_P12ihipStream_tbPNSt15iterator_traitsISL_E10value_typeEPNSR_ISM_E10value_typeEPSN_NS1_7vsmem_tEENKUlT_SL_SM_SN_E_clIS8_S8_S9_S9_EESK_S10_SL_SM_SN_EUlS10_E0_NS1_11comp_targetILNS1_3genE4ELNS1_11target_archE910ELNS1_3gpuE8ELNS1_3repE0EEENS1_38merge_mergepath_config_static_selectorELNS0_4arch9wavefront6targetE1EEEvSM_
; %bb.0:
	s_load_dwordx2 s[22:23], s[4:5], 0x58
	s_load_dword s0, s[4:5], 0x38
	s_add_u32 s16, s4, 0x58
	s_addc_u32 s17, s5, 0
	s_waitcnt lgkmcnt(0)
	s_mul_i32 s1, s23, s8
	s_add_i32 s1, s1, s7
	s_mul_i32 s1, s1, s22
	s_add_i32 s18, s1, s6
	s_cmp_ge_u32 s18, s0
	s_cbranch_scc1 .LBB769_71
; %bb.1:
	s_load_dwordx2 s[0:1], s[4:5], 0x50
	s_load_dwordx4 s[12:15], s[4:5], 0x8
	s_load_dwordx4 s[8:11], s[4:5], 0x28
	s_mov_b32 s19, 0
	s_lshl_b64 s[2:3], s[18:19], 3
	s_waitcnt lgkmcnt(0)
	s_add_u32 s0, s0, s2
	s_addc_u32 s1, s1, s3
	v_mov_b32_e32 v1, s10
	v_alignbit_b32 v1, s11, v1, 9
	v_readfirstlane_b32 s7, v1
	s_and_b32 s7, s7, -2
	s_sub_i32 s33, 0, s7
	s_and_b32 s26, s18, s33
	s_mov_b32 s27, s19
	s_lshl_b64 s[24:25], s[26:27], 10
	s_lshl_b64 s[20:21], s[18:19], 10
	s_sub_u32 s7, s20, s24
	s_load_dwordx4 s[0:3], s[0:1], 0x0
	s_subb_u32 s23, s21, s25
	s_lshl_b64 s[26:27], s[26:27], 11
	s_add_u32 s26, s26, s10
	s_addc_u32 s27, s27, s11
	s_add_u32 s7, s26, s7
	s_addc_u32 s23, s27, s23
	s_waitcnt lgkmcnt(0)
	s_sub_u32 s28, s7, s2
	s_subb_u32 s3, s23, s3
	s_add_u32 s28, s28, 0x400
	s_addc_u32 s29, s3, 0
	v_pk_mov_b32 v[2:3], s[28:29], s[28:29] op_sel:[0,1]
	v_cmp_lt_u64_e32 vcc, s[8:9], v[2:3]
	s_and_b64 s[30:31], vcc, exec
	s_cselect_b32 s3, s8, s28
	s_or_b32 s28, s18, s33
	s_cmp_lg_u32 s28, -1
	s_cbranch_scc1 .LBB769_3
; %bb.2:
	s_sub_u32 s24, s26, s24
	s_subb_u32 s25, s27, s25
	v_pk_mov_b32 v[2:3], s[24:25], s[24:25] op_sel:[0,1]
	v_cmp_lt_u64_e32 vcc, s[8:9], v[2:3]
	s_and_b64 s[2:3], vcc, exec
	s_cselect_b32 s2, s8, s24
	s_add_u32 s10, s24, s10
	s_addc_u32 s11, s25, s11
	v_pk_mov_b32 v[2:3], s[10:11], s[10:11] op_sel:[0,1]
	v_cmp_lt_u64_e32 vcc, s[8:9], v[2:3]
	s_and_b64 s[24:25], vcc, exec
	s_cselect_b32 s3, s8, s10
.LBB769_3:
	s_lshr_b64 s[26:27], s[8:9], 10
	s_cmp_lg_u64 s[26:27], s[18:19]
	s_cselect_b64 s[10:11], -1, 0
	s_sub_u32 s24, s7, s0
	s_subb_u32 s25, s23, s1
	v_pk_mov_b32 v[2:3], s[24:25], s[24:25] op_sel:[0,1]
	v_cmp_lt_u64_e32 vcc, s[8:9], v[2:3]
	s_and_b64 s[28:29], vcc, exec
	s_cselect_b32 s28, s8, s24
	s_cselect_b32 s29, s9, s25
	s_sub_i32 s9, s2, s0
	s_sub_i32 s7, s3, s28
	s_lshl_b64 s[0:1], s[0:1], 3
	s_add_u32 s23, s12, s0
	s_addc_u32 s24, s13, s1
	s_lshl_b64 s[0:1], s[28:29], 3
	s_add_u32 s12, s12, s0
	s_addc_u32 s13, s13, s1
	s_cmp_lt_u32 s6, s22
	v_mov_b32_e32 v9, 0
	s_cselect_b32 s0, 12, 18
	global_load_dword v1, v9, s[16:17] offset:14
	s_add_u32 s0, s16, s0
	s_addc_u32 s1, s17, 0
	global_load_ushort v2, v9, s[0:1]
	s_cmp_eq_u64 s[26:27], s[18:19]
	s_waitcnt vmcnt(1)
	v_lshrrev_b32_e32 v3, 16, v1
	v_and_b32_e32 v1, 0xffff, v1
	v_mul_lo_u32 v1, v1, v3
	s_waitcnt vmcnt(0)
	v_mul_lo_u32 v12, v1, v2
	v_lshlrev_b32_e32 v1, 3, v0
	s_cbranch_scc1 .LBB769_5
; %bb.4:
	v_mov_b32_e32 v2, s24
	v_add_co_u32_e32 v4, vcc, s23, v1
	v_subrev_u32_e32 v8, s9, v0
	v_addc_co_u32_e32 v5, vcc, 0, v2, vcc
	v_lshlrev_b64 v[2:3], 3, v[8:9]
	v_mov_b32_e32 v6, s13
	v_add_co_u32_e32 v2, vcc, s12, v2
	v_addc_co_u32_e32 v3, vcc, v6, v3, vcc
	v_cmp_gt_u32_e32 vcc, s9, v0
	v_add_u32_e32 v8, v12, v0
	v_cndmask_b32_e32 v3, v3, v5, vcc
	v_cndmask_b32_e32 v2, v2, v4, vcc
	v_lshlrev_b64 v[4:5], 3, v[8:9]
	v_mov_b32_e32 v6, s24
	v_add_co_u32_e32 v7, vcc, s23, v4
	v_addc_co_u32_e32 v6, vcc, v6, v5, vcc
	v_subrev_u32_e32 v4, s9, v8
	v_mov_b32_e32 v5, v9
	v_lshlrev_b64 v[4:5], 3, v[4:5]
	v_mov_b32_e32 v10, s13
	v_add_co_u32_e32 v4, vcc, s12, v4
	v_addc_co_u32_e32 v5, vcc, v10, v5, vcc
	v_cmp_gt_u32_e32 vcc, s9, v8
	v_add_u32_e32 v8, v8, v12
	v_cndmask_b32_e32 v5, v5, v6, vcc
	v_cndmask_b32_e32 v4, v4, v7, vcc
	v_lshlrev_b64 v[6:7], 3, v[8:9]
	v_mov_b32_e32 v10, s24
	v_add_co_u32_e32 v11, vcc, s23, v6
	v_addc_co_u32_e32 v10, vcc, v10, v7, vcc
	v_subrev_u32_e32 v6, s9, v8
	v_mov_b32_e32 v7, v9
	v_lshlrev_b64 v[6:7], 3, v[6:7]
	v_mov_b32_e32 v13, s13
	v_add_co_u32_e32 v6, vcc, s12, v6
	v_addc_co_u32_e32 v7, vcc, v13, v7, vcc
	v_cmp_gt_u32_e32 vcc, s9, v8
	v_add_u32_e32 v8, v8, v12
	v_cndmask_b32_e32 v7, v7, v10, vcc
	v_cndmask_b32_e32 v6, v6, v11, vcc
	v_lshlrev_b64 v[10:11], 3, v[8:9]
	v_mov_b32_e32 v13, s24
	v_add_co_u32_e32 v10, vcc, s23, v10
	v_addc_co_u32_e32 v11, vcc, v13, v11, vcc
	v_cmp_gt_u32_e32 vcc, s9, v8
	v_subrev_u32_e32 v8, s9, v8
	v_lshlrev_b64 v[8:9], 3, v[8:9]
	v_mov_b32_e32 v13, s13
	v_add_co_u32_e64 v8, s[0:1], s12, v8
	v_addc_co_u32_e64 v9, s[0:1], v13, v9, s[0:1]
	v_cndmask_b32_e32 v9, v9, v11, vcc
	v_cndmask_b32_e32 v8, v8, v10, vcc
	global_load_dwordx2 v[2:3], v[2:3], off
	s_add_i32 s33, s9, s7
	global_load_dwordx2 v[4:5], v[4:5], off
	s_nop 0
	global_load_dwordx2 v[6:7], v[6:7], off
	s_nop 0
	global_load_dwordx2 v[8:9], v[8:9], off
	s_cbranch_execz .LBB769_6
	s_branch .LBB769_15
.LBB769_5:
                                        ; implicit-def: $vgpr2_vgpr3_vgpr4_vgpr5_vgpr6_vgpr7_vgpr8_vgpr9
                                        ; implicit-def: $sgpr33
.LBB769_6:
	s_add_i32 s33, s9, s7
	v_cmp_gt_u32_e32 vcc, s33, v0
                                        ; implicit-def: $vgpr2_vgpr3_vgpr4_vgpr5_vgpr6_vgpr7_vgpr8_vgpr9
	s_and_saveexec_b64 s[0:1], vcc
	s_cbranch_execz .LBB769_8
; %bb.7:
	s_waitcnt vmcnt(3)
	v_mov_b32_e32 v2, s24
	s_waitcnt vmcnt(2)
	v_add_co_u32_e32 v4, vcc, s23, v1
	v_mov_b32_e32 v3, 0
	v_addc_co_u32_e32 v5, vcc, 0, v2, vcc
	v_subrev_u32_e32 v2, s9, v0
	v_lshlrev_b64 v[2:3], 3, v[2:3]
	s_waitcnt vmcnt(1)
	v_mov_b32_e32 v6, s13
	v_add_co_u32_e32 v2, vcc, s12, v2
	v_addc_co_u32_e32 v3, vcc, v6, v3, vcc
	v_cmp_gt_u32_e32 vcc, s9, v0
	v_cndmask_b32_e32 v3, v3, v5, vcc
	v_cndmask_b32_e32 v2, v2, v4, vcc
	global_load_dwordx2 v[2:3], v[2:3], off
.LBB769_8:
	s_or_b64 exec, exec, s[0:1]
	v_add_u32_e32 v10, v12, v0
	v_cmp_gt_u32_e32 vcc, s33, v10
	s_and_saveexec_b64 s[0:1], vcc
	s_cbranch_execz .LBB769_10
; %bb.9:
	v_mov_b32_e32 v11, 0
	s_waitcnt vmcnt(2)
	v_lshlrev_b64 v[4:5], 3, v[10:11]
	v_mov_b32_e32 v13, s24
	v_add_co_u32_e32 v14, vcc, s23, v4
	v_addc_co_u32_e32 v13, vcc, v13, v5, vcc
	v_subrev_u32_e32 v4, s9, v10
	v_mov_b32_e32 v5, v11
	v_lshlrev_b64 v[4:5], 3, v[4:5]
	v_mov_b32_e32 v11, s13
	v_add_co_u32_e32 v4, vcc, s12, v4
	v_addc_co_u32_e32 v5, vcc, v11, v5, vcc
	v_cmp_gt_u32_e32 vcc, s9, v10
	v_cndmask_b32_e32 v5, v5, v13, vcc
	v_cndmask_b32_e32 v4, v4, v14, vcc
	global_load_dwordx2 v[4:5], v[4:5], off
.LBB769_10:
	s_or_b64 exec, exec, s[0:1]
	v_add_u32_e32 v10, v10, v12
	v_cmp_gt_u32_e32 vcc, s33, v10
	s_and_saveexec_b64 s[0:1], vcc
	s_cbranch_execz .LBB769_12
; %bb.11:
	v_mov_b32_e32 v11, 0
	s_waitcnt vmcnt(1)
	v_lshlrev_b64 v[6:7], 3, v[10:11]
	v_mov_b32_e32 v13, s24
	v_add_co_u32_e32 v14, vcc, s23, v6
	v_addc_co_u32_e32 v13, vcc, v13, v7, vcc
	v_subrev_u32_e32 v6, s9, v10
	v_mov_b32_e32 v7, v11
	v_lshlrev_b64 v[6:7], 3, v[6:7]
	v_mov_b32_e32 v11, s13
	v_add_co_u32_e32 v6, vcc, s12, v6
	v_addc_co_u32_e32 v7, vcc, v11, v7, vcc
	v_cmp_gt_u32_e32 vcc, s9, v10
	v_cndmask_b32_e32 v7, v7, v13, vcc
	v_cndmask_b32_e32 v6, v6, v14, vcc
	global_load_dwordx2 v[6:7], v[6:7], off
.LBB769_12:
	s_or_b64 exec, exec, s[0:1]
	v_add_u32_e32 v10, v10, v12
	v_cmp_gt_u32_e32 vcc, s33, v10
	s_and_saveexec_b64 s[2:3], vcc
	s_cbranch_execz .LBB769_14
; %bb.13:
	v_mov_b32_e32 v11, 0
	s_waitcnt vmcnt(0)
	v_lshlrev_b64 v[8:9], 3, v[10:11]
	v_mov_b32_e32 v12, s24
	v_add_co_u32_e32 v13, vcc, s23, v8
	v_addc_co_u32_e32 v12, vcc, v12, v9, vcc
	v_cmp_gt_u32_e32 vcc, s9, v10
	v_subrev_u32_e32 v10, s9, v10
	v_lshlrev_b64 v[8:9], 3, v[10:11]
	v_mov_b32_e32 v10, s13
	v_add_co_u32_e64 v8, s[0:1], s12, v8
	v_addc_co_u32_e64 v9, s[0:1], v10, v9, s[0:1]
	v_cndmask_b32_e32 v9, v9, v12, vcc
	v_cndmask_b32_e32 v8, v8, v13, vcc
	global_load_dwordx2 v[8:9], v[8:9], off
.LBB769_14:
	s_or_b64 exec, exec, s[2:3]
.LBB769_15:
	s_load_dwordx4 s[16:19], s[4:5], 0x40
	v_lshlrev_b32_e32 v14, 2, v0
	v_min_u32_e32 v16, s33, v14
	v_sub_u32_e64 v15, v16, s7 clamp
	v_min_u32_e32 v17, s9, v16
	v_cmp_lt_u32_e32 vcc, v15, v17
	s_waitcnt vmcnt(0)
	ds_write2st64_b64 v1, v[2:3], v[4:5] offset1:4
	ds_write2st64_b64 v1, v[6:7], v[8:9] offset0:8 offset1:12
	s_waitcnt lgkmcnt(0)
	s_barrier
	s_and_saveexec_b64 s[6:7], vcc
	s_cbranch_execz .LBB769_25
; %bb.16:
	v_lshlrev_b32_e32 v10, 3, v16
	v_cmp_gt_i64_e64 s[0:1], s[16:17], 0
	v_lshl_add_u32 v18, s9, 3, v10
	v_cndmask_b32_e64 v10, 0, 1, s[0:1]
	s_mov_b64 s[12:13], 0
	s_lshl_b64 s[22:23], s[16:17], 3
	v_cmp_ne_u32_e64 s[0:1], 1, v10
	s_branch .LBB769_19
.LBB769_17:                             ;   in Loop: Header=BB769_19 Depth=1
	s_or_b64 exec, exec, s[26:27]
.LBB769_18:                             ;   in Loop: Header=BB769_19 Depth=1
	v_add_u32_e32 v10, 1, v19
	v_cndmask_b32_e64 v17, v17, v19, s[24:25]
	v_cndmask_b32_e64 v15, v10, v15, s[24:25]
	v_cmp_ge_u32_e32 vcc, v15, v17
	s_or_b64 s[12:13], vcc, s[12:13]
	s_andn2_b64 exec, exec, s[12:13]
	s_cbranch_execz .LBB769_24
.LBB769_19:                             ; =>This Loop Header: Depth=1
                                        ;     Child Loop BB769_22 Depth 2
	v_add_u32_e32 v10, v17, v15
	v_lshrrev_b32_e32 v19, 1, v10
	s_and_b64 vcc, exec, s[0:1]
	s_mov_b64 s[24:25], 0
	s_cbranch_vccnz .LBB769_18
; %bb.20:                               ;   in Loop: Header=BB769_19 Depth=1
	v_not_b32_e32 v10, v19
	v_lshl_add_u32 v10, v10, 3, v18
	ds_read_b64 v[10:11], v10
	v_lshlrev_b32_e32 v20, 3, v19
	ds_read_b64 v[20:21], v20
	v_pk_mov_b32 v[12:13], s[18:19], s[18:19] op_sel:[0,1]
	s_mov_b64 s[26:27], 0
	s_waitcnt lgkmcnt(1)
	v_mul_lo_u32 v22, s22, v11
	v_mul_lo_u32 v23, s23, v10
	v_mad_u64_u32 v[10:11], s[2:3], s22, v10, v[12:13]
	v_add3_u32 v11, v23, v11, v22
	s_waitcnt lgkmcnt(0)
	v_mul_lo_u32 v21, s22, v21
	v_mul_lo_u32 v22, s23, v20
	v_mad_u64_u32 v[12:13], s[2:3], s22, v20, v[12:13]
	v_add3_u32 v13, v22, v13, v21
	s_mov_b64 s[34:35], s[16:17]
                                        ; implicit-def: $sgpr24_sgpr25
                                        ; implicit-def: $sgpr28_sgpr29
                                        ; implicit-def: $sgpr30_sgpr31
                                        ; implicit-def: $sgpr2_sgpr3
                                        ; implicit-def: $sgpr36_sgpr37
	s_branch .LBB769_22
.LBB769_21:                             ;   in Loop: Header=BB769_22 Depth=2
	s_or_b64 exec, exec, s[38:39]
	s_and_b64 s[4:5], exec, s[28:29]
	s_or_b64 s[26:27], s[4:5], s[26:27]
	s_andn2_b64 s[4:5], s[36:37], exec
	s_and_b64 s[36:37], s[30:31], exec
	s_or_b64 s[36:37], s[4:5], s[36:37]
	s_andn2_b64 s[4:5], s[24:25], exec
	s_and_b64 s[24:25], s[2:3], exec
	s_or_b64 s[24:25], s[4:5], s[24:25]
	s_andn2_b64 exec, exec, s[26:27]
	s_cbranch_execz .LBB769_17
.LBB769_22:                             ;   Parent Loop BB769_19 Depth=1
                                        ; =>  This Inner Loop Header: Depth=2
	global_load_dwordx2 v[20:21], v[10:11], off
	global_load_dwordx2 v[22:23], v[12:13], off
	s_andn2_b64 s[38:39], s[2:3], exec
	s_andn2_b64 s[30:31], s[30:31], exec
	s_or_b64 s[28:29], s[28:29], exec
	s_waitcnt vmcnt(0)
	v_cmp_ngt_f64_e64 s[2:3], v[20:21], v[22:23]
	v_cmp_lt_f64_e32 vcc, v[20:21], v[22:23]
	s_and_b64 s[2:3], s[2:3], s[36:37]
	s_or_b64 s[40:41], vcc, s[2:3]
	s_and_b64 s[2:3], s[40:41], exec
	v_cmp_nlg_f64_e64 s[4:5], v[20:21], v[22:23]
	s_or_b64 s[2:3], s[38:39], s[2:3]
	s_and_saveexec_b64 s[38:39], s[4:5]
	s_cbranch_execz .LBB769_21
; %bb.23:                               ;   in Loop: Header=BB769_22 Depth=2
	s_add_u32 s34, s34, -1
	s_addc_u32 s35, s35, -1
	v_add_co_u32_e32 v10, vcc, 8, v10
	s_cmp_eq_u64 s[34:35], 0
	v_addc_co_u32_e32 v11, vcc, 0, v11, vcc
	s_cselect_b64 s[4:5], -1, 0
	v_add_co_u32_e32 v12, vcc, 8, v12
	s_andn2_b64 s[30:31], s[30:31], exec
	s_and_b64 s[36:37], s[40:41], exec
	s_andn2_b64 s[28:29], s[28:29], exec
	s_and_b64 s[4:5], s[4:5], exec
	v_addc_co_u32_e32 v13, vcc, 0, v13, vcc
	s_andn2_b64 s[2:3], s[2:3], exec
	s_or_b64 s[30:31], s[30:31], s[36:37]
	s_or_b64 s[28:29], s[28:29], s[4:5]
                                        ; implicit-def: $sgpr36_sgpr37
	s_branch .LBB769_21
.LBB769_24:
	s_or_b64 exec, exec, s[12:13]
.LBB769_25:
	s_or_b64 exec, exec, s[6:7]
	v_sub_u32_e32 v10, v16, v15
	v_add_u32_e32 v16, s9, v10
	v_cmp_ge_u32_e32 vcc, s9, v15
	v_cmp_ge_u32_e64 s[0:1], s33, v16
	s_or_b64 s[0:1], vcc, s[0:1]
	s_and_saveexec_b64 s[4:5], s[0:1]
	s_cbranch_execz .LBB769_61
; %bb.26:
	v_cmp_le_u32_e32 vcc, s9, v15
	v_cmp_gt_u32_e64 s[0:1], s9, v15
                                        ; implicit-def: $vgpr2_vgpr3
	s_and_saveexec_b64 s[2:3], s[0:1]
	s_cbranch_execz .LBB769_28
; %bb.27:
	v_lshlrev_b32_e32 v2, 3, v15
	ds_read_b64 v[2:3], v2
.LBB769_28:
	s_or_b64 exec, exec, s[2:3]
	v_cmp_le_u32_e64 s[0:1], s33, v16
	v_cmp_gt_u32_e64 s[2:3], s33, v16
                                        ; implicit-def: $vgpr8_vgpr9
	s_and_saveexec_b64 s[6:7], s[2:3]
	s_cbranch_execz .LBB769_30
; %bb.29:
	v_lshlrev_b32_e32 v4, 3, v16
	ds_read_b64 v[8:9], v4
.LBB769_30:
	s_or_b64 exec, exec, s[6:7]
	v_cmp_lt_i64_e64 s[12:13], s[16:17], 1
	s_or_b64 s[2:3], vcc, s[0:1]
	s_or_b64 s[2:3], s[2:3], s[12:13]
	s_xor_b64 s[6:7], vcc, -1
	s_xor_b64 s[2:3], s[2:3], -1
	s_or_b64 s[6:7], s[0:1], s[6:7]
	s_and_saveexec_b64 s[22:23], s[2:3]
	s_cbranch_execz .LBB769_36
; %bb.31:
	s_waitcnt lgkmcnt(0)
	v_mul_lo_u32 v6, v9, s16
	v_mul_lo_u32 v7, v8, s17
	v_mad_u64_u32 v[4:5], s[0:1], v8, s16, 0
	v_add3_u32 v5, v5, v7, v6
	v_lshlrev_b64 v[4:5], 3, v[4:5]
	v_mov_b32_e32 v6, s19
	v_add_co_u32_e32 v4, vcc, s18, v4
	v_addc_co_u32_e32 v5, vcc, v6, v5, vcc
	v_mul_lo_u32 v10, v3, s16
	v_mul_lo_u32 v11, v2, s17
	v_mad_u64_u32 v[6:7], s[0:1], v2, s16, 0
	v_add3_u32 v7, v7, v11, v10
	v_lshlrev_b64 v[6:7], 3, v[6:7]
	v_mov_b32_e32 v10, s19
	v_add_co_u32_e32 v6, vcc, s18, v6
	v_addc_co_u32_e32 v7, vcc, v10, v7, vcc
	s_mov_b64 s[24:25], 0
	s_mov_b64 s[34:35], s[16:17]
                                        ; implicit-def: $sgpr26_sgpr27
                                        ; implicit-def: $sgpr28_sgpr29
                                        ; implicit-def: $sgpr0_sgpr1
                                        ; implicit-def: $sgpr30_sgpr31
                                        ; implicit-def: $sgpr36_sgpr37
	s_branch .LBB769_33
.LBB769_32:                             ;   in Loop: Header=BB769_33 Depth=1
	s_or_b64 exec, exec, s[38:39]
	s_and_b64 s[2:3], exec, s[28:29]
	s_or_b64 s[24:25], s[2:3], s[24:25]
	s_andn2_b64 s[2:3], s[36:37], exec
	s_and_b64 s[36:37], s[30:31], exec
	s_or_b64 s[36:37], s[2:3], s[36:37]
	s_andn2_b64 s[2:3], s[26:27], exec
	s_and_b64 s[26:27], s[0:1], exec
	s_or_b64 s[26:27], s[2:3], s[26:27]
	s_andn2_b64 exec, exec, s[24:25]
	s_cbranch_execz .LBB769_35
.LBB769_33:                             ; =>This Inner Loop Header: Depth=1
	global_load_dwordx2 v[10:11], v[4:5], off
	global_load_dwordx2 v[12:13], v[6:7], off
	s_andn2_b64 s[38:39], s[0:1], exec
	s_andn2_b64 s[30:31], s[30:31], exec
	s_or_b64 s[28:29], s[28:29], exec
	s_waitcnt vmcnt(0)
	v_cmp_ngt_f64_e64 s[0:1], v[10:11], v[12:13]
	v_cmp_lt_f64_e32 vcc, v[10:11], v[12:13]
	s_and_b64 s[0:1], s[0:1], s[36:37]
	s_or_b64 s[40:41], vcc, s[0:1]
	s_and_b64 s[0:1], s[40:41], exec
	v_cmp_nlg_f64_e64 s[2:3], v[10:11], v[12:13]
	s_or_b64 s[0:1], s[38:39], s[0:1]
	s_and_saveexec_b64 s[38:39], s[2:3]
	s_cbranch_execz .LBB769_32
; %bb.34:                               ;   in Loop: Header=BB769_33 Depth=1
	s_add_u32 s34, s34, -1
	s_addc_u32 s35, s35, -1
	v_add_co_u32_e32 v4, vcc, 8, v4
	s_cmp_eq_u64 s[34:35], 0
	v_addc_co_u32_e32 v5, vcc, 0, v5, vcc
	s_cselect_b64 s[2:3], -1, 0
	v_add_co_u32_e32 v6, vcc, 8, v6
	s_andn2_b64 s[30:31], s[30:31], exec
	s_and_b64 s[36:37], s[40:41], exec
	s_andn2_b64 s[28:29], s[28:29], exec
	s_and_b64 s[2:3], s[2:3], exec
	v_addc_co_u32_e32 v7, vcc, 0, v7, vcc
	s_or_b64 s[30:31], s[30:31], s[36:37]
	s_andn2_b64 s[0:1], s[0:1], exec
	s_or_b64 s[28:29], s[28:29], s[2:3]
                                        ; implicit-def: $sgpr36_sgpr37
	s_branch .LBB769_32
.LBB769_35:
	s_or_b64 exec, exec, s[24:25]
	s_xor_b64 s[0:1], s[26:27], -1
	s_andn2_b64 s[2:3], s[6:7], exec
	s_and_b64 s[0:1], s[0:1], exec
	s_or_b64 s[6:7], s[2:3], s[0:1]
.LBB769_36:
	s_or_b64 exec, exec, s[22:23]
	v_mov_b32_e32 v5, s33
	v_mov_b32_e32 v6, s9
	v_cndmask_b32_e64 v4, v16, v15, s[6:7]
	v_cndmask_b32_e64 v5, v5, v6, s[6:7]
	v_add_u32_e32 v6, 1, v4
	v_add_u32_e32 v4, -1, v5
	v_min_u32_e32 v4, v6, v4
	v_lshlrev_b32_e32 v4, 3, v4
	ds_read_b64 v[4:5], v4
	v_cndmask_b32_e64 v19, v6, v16, s[6:7]
	v_cndmask_b32_e64 v20, v15, v6, s[6:7]
	v_cmp_gt_u32_e32 vcc, s33, v19
	s_mov_b64 s[24:25], -1
	s_waitcnt lgkmcnt(0)
	v_cndmask_b32_e64 v10, v5, v9, s[6:7]
	v_cndmask_b32_e64 v11, v4, v8, s[6:7]
	;; [unrolled: 1-line block ×4, first 2 shown]
	s_mov_b64 s[22:23], -1
	s_and_saveexec_b64 s[26:27], vcc
	s_cbranch_execz .LBB769_44
; %bb.37:
	v_cmp_gt_u32_e64 s[22:23], s9, v20
	s_xor_b64 s[0:1], s[12:13], -1
	s_and_b64 s[0:1], s[22:23], s[0:1]
	s_and_saveexec_b64 s[28:29], s[0:1]
	s_cbranch_execz .LBB769_43
; %bb.38:
	v_mul_lo_u32 v6, v10, s16
	v_mul_lo_u32 v7, v11, s17
	v_mad_u64_u32 v[4:5], s[0:1], v11, s16, 0
	v_add3_u32 v5, v5, v7, v6
	v_lshlrev_b64 v[4:5], 3, v[4:5]
	v_mov_b32_e32 v6, s19
	v_add_co_u32_e32 v4, vcc, s18, v4
	v_addc_co_u32_e32 v5, vcc, v6, v5, vcc
	v_mul_lo_u32 v15, v12, s16
	v_mul_lo_u32 v16, v13, s17
	v_mad_u64_u32 v[6:7], s[0:1], v13, s16, 0
	v_add3_u32 v7, v7, v16, v15
	v_lshlrev_b64 v[6:7], 3, v[6:7]
	v_mov_b32_e32 v15, s19
	v_add_co_u32_e32 v6, vcc, s18, v6
	v_addc_co_u32_e32 v7, vcc, v15, v7, vcc
	s_mov_b64 s[30:31], 0
	s_mov_b64 s[40:41], s[16:17]
                                        ; implicit-def: $sgpr34_sgpr35
                                        ; implicit-def: $sgpr36_sgpr37
                                        ; implicit-def: $sgpr0_sgpr1
                                        ; implicit-def: $sgpr38_sgpr39
                                        ; implicit-def: $sgpr42_sgpr43
	s_branch .LBB769_40
.LBB769_39:                             ;   in Loop: Header=BB769_40 Depth=1
	s_or_b64 exec, exec, s[44:45]
	s_and_b64 s[2:3], exec, s[36:37]
	s_or_b64 s[30:31], s[2:3], s[30:31]
	s_andn2_b64 s[2:3], s[42:43], exec
	s_and_b64 s[42:43], s[38:39], exec
	s_or_b64 s[42:43], s[2:3], s[42:43]
	s_andn2_b64 s[2:3], s[34:35], exec
	s_and_b64 s[34:35], s[0:1], exec
	s_or_b64 s[34:35], s[2:3], s[34:35]
	s_andn2_b64 exec, exec, s[30:31]
	s_cbranch_execz .LBB769_42
.LBB769_40:                             ; =>This Inner Loop Header: Depth=1
	global_load_dwordx2 v[16:17], v[4:5], off
	global_load_dwordx2 v[22:23], v[6:7], off
	s_andn2_b64 s[44:45], s[0:1], exec
	s_andn2_b64 s[38:39], s[38:39], exec
	s_or_b64 s[36:37], s[36:37], exec
	s_waitcnt vmcnt(0)
	v_cmp_ngt_f64_e64 s[0:1], v[16:17], v[22:23]
	v_cmp_lt_f64_e32 vcc, v[16:17], v[22:23]
	s_and_b64 s[0:1], s[0:1], s[42:43]
	s_or_b64 s[46:47], vcc, s[0:1]
	s_and_b64 s[0:1], s[46:47], exec
	v_cmp_nlg_f64_e64 s[2:3], v[16:17], v[22:23]
	s_or_b64 s[0:1], s[44:45], s[0:1]
	s_and_saveexec_b64 s[44:45], s[2:3]
	s_cbranch_execz .LBB769_39
; %bb.41:                               ;   in Loop: Header=BB769_40 Depth=1
	s_add_u32 s40, s40, -1
	s_addc_u32 s41, s41, -1
	v_add_co_u32_e32 v4, vcc, 8, v4
	s_cmp_eq_u64 s[40:41], 0
	v_addc_co_u32_e32 v5, vcc, 0, v5, vcc
	s_cselect_b64 s[2:3], -1, 0
	v_add_co_u32_e32 v6, vcc, 8, v6
	s_andn2_b64 s[38:39], s[38:39], exec
	s_and_b64 s[42:43], s[46:47], exec
	s_andn2_b64 s[36:37], s[36:37], exec
	s_and_b64 s[2:3], s[2:3], exec
	v_addc_co_u32_e32 v7, vcc, 0, v7, vcc
	s_or_b64 s[38:39], s[38:39], s[42:43]
	s_andn2_b64 s[0:1], s[0:1], exec
	s_or_b64 s[36:37], s[36:37], s[2:3]
                                        ; implicit-def: $sgpr42_sgpr43
	s_branch .LBB769_39
.LBB769_42:
	s_or_b64 exec, exec, s[30:31]
	s_xor_b64 s[0:1], s[34:35], -1
	s_andn2_b64 s[2:3], s[22:23], exec
	s_and_b64 s[0:1], s[0:1], exec
	s_or_b64 s[22:23], s[2:3], s[0:1]
.LBB769_43:
	s_or_b64 exec, exec, s[28:29]
	s_orn2_b64 s[22:23], s[22:23], exec
.LBB769_44:
	s_or_b64 exec, exec, s[26:27]
	v_mov_b32_e32 v5, s33
	v_mov_b32_e32 v6, s9
	v_cndmask_b32_e64 v4, v19, v20, s[22:23]
	v_cndmask_b32_e64 v5, v5, v6, s[22:23]
	v_add_u32_e32 v6, 1, v4
	v_add_u32_e32 v4, -1, v5
	v_min_u32_e32 v4, v6, v4
	v_lshlrev_b32_e32 v4, 3, v4
	ds_read_b64 v[4:5], v4
	v_cndmask_b32_e64 v24, v6, v19, s[22:23]
	v_cndmask_b32_e64 v19, v20, v6, s[22:23]
	v_cmp_gt_u32_e32 vcc, s33, v24
	s_waitcnt lgkmcnt(0)
	v_cndmask_b32_e64 v15, v5, v10, s[22:23]
	v_cndmask_b32_e64 v16, v4, v11, s[22:23]
	;; [unrolled: 1-line block ×4, first 2 shown]
	s_and_saveexec_b64 s[26:27], vcc
	s_cbranch_execz .LBB769_52
; %bb.45:
	v_cmp_gt_u32_e64 s[24:25], s9, v19
	s_xor_b64 s[0:1], s[12:13], -1
	s_and_b64 s[0:1], s[24:25], s[0:1]
	s_and_saveexec_b64 s[28:29], s[0:1]
	s_cbranch_execz .LBB769_51
; %bb.46:
	v_mul_lo_u32 v6, v15, s16
	v_mul_lo_u32 v7, v16, s17
	v_mad_u64_u32 v[4:5], s[0:1], v16, s16, 0
	v_add3_u32 v5, v5, v7, v6
	v_lshlrev_b64 v[4:5], 3, v[4:5]
	v_mov_b32_e32 v6, s19
	v_add_co_u32_e32 v4, vcc, s18, v4
	v_addc_co_u32_e32 v5, vcc, v6, v5, vcc
	v_mul_lo_u32 v20, v17, s16
	v_mul_lo_u32 v21, v18, s17
	v_mad_u64_u32 v[6:7], s[0:1], v18, s16, 0
	v_add3_u32 v7, v7, v21, v20
	v_lshlrev_b64 v[6:7], 3, v[6:7]
	v_mov_b32_e32 v20, s19
	v_add_co_u32_e32 v6, vcc, s18, v6
	v_addc_co_u32_e32 v7, vcc, v20, v7, vcc
	s_mov_b64 s[30:31], 0
	s_mov_b64 s[40:41], s[16:17]
                                        ; implicit-def: $sgpr34_sgpr35
                                        ; implicit-def: $sgpr36_sgpr37
                                        ; implicit-def: $sgpr0_sgpr1
                                        ; implicit-def: $sgpr38_sgpr39
                                        ; implicit-def: $sgpr42_sgpr43
	s_branch .LBB769_48
.LBB769_47:                             ;   in Loop: Header=BB769_48 Depth=1
	s_or_b64 exec, exec, s[44:45]
	s_and_b64 s[2:3], exec, s[36:37]
	s_or_b64 s[30:31], s[2:3], s[30:31]
	s_andn2_b64 s[2:3], s[42:43], exec
	s_and_b64 s[42:43], s[38:39], exec
	s_or_b64 s[42:43], s[2:3], s[42:43]
	s_andn2_b64 s[2:3], s[34:35], exec
	s_and_b64 s[34:35], s[0:1], exec
	s_or_b64 s[34:35], s[2:3], s[34:35]
	s_andn2_b64 exec, exec, s[30:31]
	s_cbranch_execz .LBB769_50
.LBB769_48:                             ; =>This Inner Loop Header: Depth=1
	global_load_dwordx2 v[20:21], v[4:5], off
	global_load_dwordx2 v[22:23], v[6:7], off
	s_andn2_b64 s[44:45], s[0:1], exec
	s_andn2_b64 s[38:39], s[38:39], exec
	s_or_b64 s[36:37], s[36:37], exec
	s_waitcnt vmcnt(0)
	v_cmp_ngt_f64_e64 s[0:1], v[20:21], v[22:23]
	v_cmp_lt_f64_e32 vcc, v[20:21], v[22:23]
	s_and_b64 s[0:1], s[0:1], s[42:43]
	s_or_b64 s[46:47], vcc, s[0:1]
	s_and_b64 s[0:1], s[46:47], exec
	v_cmp_nlg_f64_e64 s[2:3], v[20:21], v[22:23]
	s_or_b64 s[0:1], s[44:45], s[0:1]
	s_and_saveexec_b64 s[44:45], s[2:3]
	s_cbranch_execz .LBB769_47
; %bb.49:                               ;   in Loop: Header=BB769_48 Depth=1
	s_add_u32 s40, s40, -1
	s_addc_u32 s41, s41, -1
	v_add_co_u32_e32 v4, vcc, 8, v4
	s_cmp_eq_u64 s[40:41], 0
	v_addc_co_u32_e32 v5, vcc, 0, v5, vcc
	s_cselect_b64 s[2:3], -1, 0
	v_add_co_u32_e32 v6, vcc, 8, v6
	s_andn2_b64 s[38:39], s[38:39], exec
	s_and_b64 s[42:43], s[46:47], exec
	s_andn2_b64 s[36:37], s[36:37], exec
	s_and_b64 s[2:3], s[2:3], exec
	v_addc_co_u32_e32 v7, vcc, 0, v7, vcc
	s_or_b64 s[38:39], s[38:39], s[42:43]
	s_andn2_b64 s[0:1], s[0:1], exec
	s_or_b64 s[36:37], s[36:37], s[2:3]
                                        ; implicit-def: $sgpr42_sgpr43
	s_branch .LBB769_47
.LBB769_50:
	s_or_b64 exec, exec, s[30:31]
	s_xor_b64 s[0:1], s[34:35], -1
	s_andn2_b64 s[2:3], s[24:25], exec
	s_and_b64 s[0:1], s[0:1], exec
	s_or_b64 s[24:25], s[2:3], s[0:1]
.LBB769_51:
	s_or_b64 exec, exec, s[28:29]
	s_orn2_b64 s[24:25], s[24:25], exec
.LBB769_52:
	s_or_b64 exec, exec, s[26:27]
	v_mov_b32_e32 v5, s33
	v_mov_b32_e32 v6, s9
	v_cndmask_b32_e64 v4, v24, v19, s[24:25]
	v_cndmask_b32_e64 v5, v5, v6, s[24:25]
	v_add_u32_e32 v4, 1, v4
	v_add_u32_e32 v5, -1, v5
	v_min_u32_e32 v5, v4, v5
	v_lshlrev_b32_e32 v5, 3, v5
	ds_read_b64 v[6:7], v5
	v_cndmask_b32_e64 v5, v4, v24, s[24:25]
	v_cmp_gt_u32_e32 vcc, s33, v5
	s_mov_b64 s[0:1], -1
	s_waitcnt lgkmcnt(0)
	v_cndmask_b32_e64 v20, v7, v15, s[24:25]
	v_cndmask_b32_e64 v21, v6, v16, s[24:25]
	;; [unrolled: 1-line block ×4, first 2 shown]
	s_and_saveexec_b64 s[26:27], vcc
	s_cbranch_execz .LBB769_60
; %bb.53:
	v_cndmask_b32_e64 v4, v19, v4, s[24:25]
	v_cmp_gt_u32_e64 s[28:29], s9, v4
	s_xor_b64 s[0:1], s[12:13], -1
	s_and_b64 s[0:1], s[28:29], s[0:1]
	s_and_saveexec_b64 s[12:13], s[0:1]
	s_cbranch_execz .LBB769_59
; %bb.54:
	v_mul_lo_u32 v6, v20, s16
	v_mul_lo_u32 v7, v21, s17
	v_mad_u64_u32 v[4:5], s[0:1], v21, s16, 0
	v_add3_u32 v5, v5, v7, v6
	v_lshlrev_b64 v[4:5], 3, v[4:5]
	v_mov_b32_e32 v6, s19
	v_add_co_u32_e32 v4, vcc, s18, v4
	v_addc_co_u32_e32 v5, vcc, v6, v5, vcc
	v_mul_lo_u32 v19, v22, s16
	v_mul_lo_u32 v24, v23, s17
	v_mad_u64_u32 v[6:7], s[0:1], v23, s16, 0
	v_add3_u32 v7, v7, v24, v19
	v_lshlrev_b64 v[6:7], 3, v[6:7]
	v_mov_b32_e32 v19, s19
	v_add_co_u32_e32 v6, vcc, s18, v6
	v_addc_co_u32_e32 v7, vcc, v19, v7, vcc
	s_mov_b64 s[18:19], 0
                                        ; implicit-def: $sgpr30_sgpr31
                                        ; implicit-def: $sgpr34_sgpr35
                                        ; implicit-def: $sgpr0_sgpr1
                                        ; implicit-def: $sgpr36_sgpr37
                                        ; implicit-def: $sgpr38_sgpr39
	s_branch .LBB769_56
.LBB769_55:                             ;   in Loop: Header=BB769_56 Depth=1
	s_or_b64 exec, exec, s[40:41]
	s_and_b64 s[2:3], exec, s[34:35]
	s_or_b64 s[18:19], s[2:3], s[18:19]
	s_andn2_b64 s[2:3], s[38:39], exec
	s_and_b64 s[38:39], s[36:37], exec
	s_or_b64 s[38:39], s[2:3], s[38:39]
	s_andn2_b64 s[2:3], s[30:31], exec
	s_and_b64 s[30:31], s[0:1], exec
	s_or_b64 s[30:31], s[2:3], s[30:31]
	s_andn2_b64 exec, exec, s[18:19]
	s_cbranch_execz .LBB769_58
.LBB769_56:                             ; =>This Inner Loop Header: Depth=1
	global_load_dwordx2 v[24:25], v[4:5], off
	global_load_dwordx2 v[26:27], v[6:7], off
	s_andn2_b64 s[40:41], s[0:1], exec
	s_andn2_b64 s[36:37], s[36:37], exec
	s_or_b64 s[34:35], s[34:35], exec
	s_waitcnt vmcnt(0)
	v_cmp_ngt_f64_e64 s[0:1], v[24:25], v[26:27]
	v_cmp_lt_f64_e32 vcc, v[24:25], v[26:27]
	s_and_b64 s[0:1], s[0:1], s[38:39]
	s_or_b64 s[42:43], vcc, s[0:1]
	s_and_b64 s[0:1], s[42:43], exec
	v_cmp_nlg_f64_e64 s[2:3], v[24:25], v[26:27]
	s_or_b64 s[0:1], s[40:41], s[0:1]
	s_and_saveexec_b64 s[40:41], s[2:3]
	s_cbranch_execz .LBB769_55
; %bb.57:                               ;   in Loop: Header=BB769_56 Depth=1
	s_add_u32 s16, s16, -1
	s_addc_u32 s17, s17, -1
	v_add_co_u32_e32 v4, vcc, 8, v4
	s_cmp_eq_u64 s[16:17], 0
	v_addc_co_u32_e32 v5, vcc, 0, v5, vcc
	s_cselect_b64 s[2:3], -1, 0
	v_add_co_u32_e32 v6, vcc, 8, v6
	s_andn2_b64 s[36:37], s[36:37], exec
	s_and_b64 s[38:39], s[42:43], exec
	s_andn2_b64 s[34:35], s[34:35], exec
	s_and_b64 s[2:3], s[2:3], exec
	v_addc_co_u32_e32 v7, vcc, 0, v7, vcc
	s_or_b64 s[36:37], s[36:37], s[38:39]
	s_andn2_b64 s[0:1], s[0:1], exec
	s_or_b64 s[34:35], s[34:35], s[2:3]
                                        ; implicit-def: $sgpr38_sgpr39
	s_branch .LBB769_55
.LBB769_58:
	s_or_b64 exec, exec, s[18:19]
	s_xor_b64 s[0:1], s[30:31], -1
	s_andn2_b64 s[2:3], s[28:29], exec
	s_and_b64 s[0:1], s[0:1], exec
	s_or_b64 s[28:29], s[2:3], s[0:1]
.LBB769_59:
	s_or_b64 exec, exec, s[12:13]
	s_orn2_b64 s[0:1], s[28:29], exec
.LBB769_60:
	s_or_b64 exec, exec, s[26:27]
	v_cndmask_b32_e64 v7, v15, v17, s[24:25]
	v_cndmask_b32_e64 v6, v16, v18, s[24:25]
	;; [unrolled: 1-line block ×8, first 2 shown]
.LBB769_61:
	s_or_b64 exec, exec, s[4:5]
	v_and_b32_e32 v10, 0xf8, v0
	v_lshl_add_u32 v10, v14, 3, v10
	s_barrier
	s_barrier
	ds_write2_b64 v10, v[2:3], v[4:5] offset1:1
	ds_write2_b64 v10, v[6:7], v[8:9] offset0:2 offset1:3
	v_lshrrev_b32_e32 v2, 2, v0
	v_and_b32_e32 v2, 56, v2
	v_or_b32_e32 v12, 0x100, v0
	v_add_u32_e32 v13, v1, v2
	v_lshrrev_b32_e32 v2, 2, v12
	v_and_b32_e32 v2, 0x78, v2
	v_or_b32_e32 v11, 0x200, v0
	v_add_u32_e32 v6, v1, v2
	v_lshrrev_b32_e32 v2, 2, v11
	s_lshl_b64 s[0:1], s[20:21], 3
	v_and_b32_e32 v2, 0xb8, v2
	v_or_b32_e32 v10, 0x300, v0
	s_add_u32 s0, s14, s0
	v_add_u32_e32 v7, v1, v2
	v_lshrrev_b32_e32 v2, 2, v10
	s_addc_u32 s1, s15, s1
	v_and_b32_e32 v2, 0xf8, v2
	v_add_u32_e32 v14, v1, v2
	v_mov_b32_e32 v3, s1
	v_add_co_u32_e32 v2, vcc, s0, v1
	v_addc_co_u32_e32 v3, vcc, 0, v3, vcc
	s_and_b64 vcc, exec, s[10:11]
	s_waitcnt lgkmcnt(0)
	s_cbranch_vccz .LBB769_63
; %bb.62:
	s_barrier
	ds_read_b64 v[8:9], v13
	ds_read_b64 v[16:17], v6 offset:2048
	ds_read_b64 v[18:19], v7 offset:4096
	;; [unrolled: 1-line block ×3, first 2 shown]
	s_waitcnt lgkmcnt(3)
	global_store_dwordx2 v[2:3], v[8:9], off
	s_waitcnt lgkmcnt(2)
	global_store_dwordx2 v[2:3], v[16:17], off offset:2048
	v_add_co_u32_e32 v8, vcc, 0x1000, v2
	v_addc_co_u32_e32 v9, vcc, 0, v3, vcc
	s_waitcnt lgkmcnt(1)
	global_store_dwordx2 v[8:9], v[18:19], off
	s_mov_b64 s[0:1], -1
	s_cbranch_execz .LBB769_64
	s_branch .LBB769_69
.LBB769_63:
	s_mov_b64 s[0:1], 0
                                        ; implicit-def: $vgpr4_vgpr5
.LBB769_64:
	s_barrier
	s_waitcnt lgkmcnt(0)
	ds_read_b64 v[8:9], v6 offset:2048
	ds_read_b64 v[6:7], v7 offset:4096
	;; [unrolled: 1-line block ×3, first 2 shown]
	s_sub_i32 s2, s8, s20
	v_cmp_gt_u32_e32 vcc, s2, v0
	s_and_saveexec_b64 s[0:1], vcc
	s_cbranch_execnz .LBB769_72
; %bb.65:
	s_or_b64 exec, exec, s[0:1]
	v_cmp_gt_u32_e32 vcc, s2, v12
	s_and_saveexec_b64 s[0:1], vcc
	s_cbranch_execnz .LBB769_73
.LBB769_66:
	s_or_b64 exec, exec, s[0:1]
	v_cmp_gt_u32_e32 vcc, s2, v11
	s_and_saveexec_b64 s[0:1], vcc
	s_cbranch_execz .LBB769_68
.LBB769_67:
	v_add_co_u32_e32 v0, vcc, 0x1000, v2
	v_addc_co_u32_e32 v1, vcc, 0, v3, vcc
	s_waitcnt lgkmcnt(1)
	global_store_dwordx2 v[0:1], v[6:7], off
.LBB769_68:
	s_or_b64 exec, exec, s[0:1]
	v_cmp_gt_u32_e64 s[0:1], s2, v10
.LBB769_69:
	s_and_saveexec_b64 s[2:3], s[0:1]
	s_cbranch_execz .LBB769_71
; %bb.70:
	v_add_co_u32_e32 v0, vcc, 0x1000, v2
	v_addc_co_u32_e32 v1, vcc, 0, v3, vcc
	s_waitcnt lgkmcnt(0)
	global_store_dwordx2 v[0:1], v[4:5], off offset:2048
.LBB769_71:
	s_endpgm
.LBB769_72:
	ds_read_b64 v[0:1], v13
	s_waitcnt lgkmcnt(0)
	global_store_dwordx2 v[2:3], v[0:1], off
	s_or_b64 exec, exec, s[0:1]
	v_cmp_gt_u32_e32 vcc, s2, v12
	s_and_saveexec_b64 s[0:1], vcc
	s_cbranch_execz .LBB769_66
.LBB769_73:
	s_waitcnt lgkmcnt(2)
	global_store_dwordx2 v[2:3], v[8:9], off offset:2048
	s_or_b64 exec, exec, s[0:1]
	v_cmp_gt_u32_e32 vcc, s2, v11
	s_and_saveexec_b64 s[0:1], vcc
	s_cbranch_execnz .LBB769_67
	s_branch .LBB769_68
	.section	.rodata,"a",@progbits
	.p2align	6, 0x0
	.amdhsa_kernel _ZN7rocprim17ROCPRIM_400000_NS6detail17trampoline_kernelINS0_14default_configENS1_38merge_sort_block_merge_config_selectorIlNS0_10empty_typeEEEZZNS1_27merge_sort_block_merge_implIS3_PlPS5_mZN2at6native12_GLOBAL__N_124unique_dim_cuda_templateIdEESt5tupleIJNSA_6TensorESF_SF_EERKSF_lbbbEUlllE_EE10hipError_tT0_T1_T2_jT3_P12ihipStream_tbPNSt15iterator_traitsISL_E10value_typeEPNSR_ISM_E10value_typeEPSN_NS1_7vsmem_tEENKUlT_SL_SM_SN_E_clIS8_S8_S9_S9_EESK_S10_SL_SM_SN_EUlS10_E0_NS1_11comp_targetILNS1_3genE4ELNS1_11target_archE910ELNS1_3gpuE8ELNS1_3repE0EEENS1_38merge_mergepath_config_static_selectorELNS0_4arch9wavefront6targetE1EEEvSM_
		.amdhsa_group_segment_fixed_size 8448
		.amdhsa_private_segment_fixed_size 0
		.amdhsa_kernarg_size 344
		.amdhsa_user_sgpr_count 6
		.amdhsa_user_sgpr_private_segment_buffer 1
		.amdhsa_user_sgpr_dispatch_ptr 0
		.amdhsa_user_sgpr_queue_ptr 0
		.amdhsa_user_sgpr_kernarg_segment_ptr 1
		.amdhsa_user_sgpr_dispatch_id 0
		.amdhsa_user_sgpr_flat_scratch_init 0
		.amdhsa_user_sgpr_kernarg_preload_length 0
		.amdhsa_user_sgpr_kernarg_preload_offset 0
		.amdhsa_user_sgpr_private_segment_size 0
		.amdhsa_uses_dynamic_stack 0
		.amdhsa_system_sgpr_private_segment_wavefront_offset 0
		.amdhsa_system_sgpr_workgroup_id_x 1
		.amdhsa_system_sgpr_workgroup_id_y 1
		.amdhsa_system_sgpr_workgroup_id_z 1
		.amdhsa_system_sgpr_workgroup_info 0
		.amdhsa_system_vgpr_workitem_id 0
		.amdhsa_next_free_vgpr 28
		.amdhsa_next_free_sgpr 48
		.amdhsa_accum_offset 28
		.amdhsa_reserve_vcc 1
		.amdhsa_reserve_flat_scratch 0
		.amdhsa_float_round_mode_32 0
		.amdhsa_float_round_mode_16_64 0
		.amdhsa_float_denorm_mode_32 3
		.amdhsa_float_denorm_mode_16_64 3
		.amdhsa_dx10_clamp 1
		.amdhsa_ieee_mode 1
		.amdhsa_fp16_overflow 0
		.amdhsa_tg_split 0
		.amdhsa_exception_fp_ieee_invalid_op 0
		.amdhsa_exception_fp_denorm_src 0
		.amdhsa_exception_fp_ieee_div_zero 0
		.amdhsa_exception_fp_ieee_overflow 0
		.amdhsa_exception_fp_ieee_underflow 0
		.amdhsa_exception_fp_ieee_inexact 0
		.amdhsa_exception_int_div_zero 0
	.end_amdhsa_kernel
	.section	.text._ZN7rocprim17ROCPRIM_400000_NS6detail17trampoline_kernelINS0_14default_configENS1_38merge_sort_block_merge_config_selectorIlNS0_10empty_typeEEEZZNS1_27merge_sort_block_merge_implIS3_PlPS5_mZN2at6native12_GLOBAL__N_124unique_dim_cuda_templateIdEESt5tupleIJNSA_6TensorESF_SF_EERKSF_lbbbEUlllE_EE10hipError_tT0_T1_T2_jT3_P12ihipStream_tbPNSt15iterator_traitsISL_E10value_typeEPNSR_ISM_E10value_typeEPSN_NS1_7vsmem_tEENKUlT_SL_SM_SN_E_clIS8_S8_S9_S9_EESK_S10_SL_SM_SN_EUlS10_E0_NS1_11comp_targetILNS1_3genE4ELNS1_11target_archE910ELNS1_3gpuE8ELNS1_3repE0EEENS1_38merge_mergepath_config_static_selectorELNS0_4arch9wavefront6targetE1EEEvSM_,"axG",@progbits,_ZN7rocprim17ROCPRIM_400000_NS6detail17trampoline_kernelINS0_14default_configENS1_38merge_sort_block_merge_config_selectorIlNS0_10empty_typeEEEZZNS1_27merge_sort_block_merge_implIS3_PlPS5_mZN2at6native12_GLOBAL__N_124unique_dim_cuda_templateIdEESt5tupleIJNSA_6TensorESF_SF_EERKSF_lbbbEUlllE_EE10hipError_tT0_T1_T2_jT3_P12ihipStream_tbPNSt15iterator_traitsISL_E10value_typeEPNSR_ISM_E10value_typeEPSN_NS1_7vsmem_tEENKUlT_SL_SM_SN_E_clIS8_S8_S9_S9_EESK_S10_SL_SM_SN_EUlS10_E0_NS1_11comp_targetILNS1_3genE4ELNS1_11target_archE910ELNS1_3gpuE8ELNS1_3repE0EEENS1_38merge_mergepath_config_static_selectorELNS0_4arch9wavefront6targetE1EEEvSM_,comdat
.Lfunc_end769:
	.size	_ZN7rocprim17ROCPRIM_400000_NS6detail17trampoline_kernelINS0_14default_configENS1_38merge_sort_block_merge_config_selectorIlNS0_10empty_typeEEEZZNS1_27merge_sort_block_merge_implIS3_PlPS5_mZN2at6native12_GLOBAL__N_124unique_dim_cuda_templateIdEESt5tupleIJNSA_6TensorESF_SF_EERKSF_lbbbEUlllE_EE10hipError_tT0_T1_T2_jT3_P12ihipStream_tbPNSt15iterator_traitsISL_E10value_typeEPNSR_ISM_E10value_typeEPSN_NS1_7vsmem_tEENKUlT_SL_SM_SN_E_clIS8_S8_S9_S9_EESK_S10_SL_SM_SN_EUlS10_E0_NS1_11comp_targetILNS1_3genE4ELNS1_11target_archE910ELNS1_3gpuE8ELNS1_3repE0EEENS1_38merge_mergepath_config_static_selectorELNS0_4arch9wavefront6targetE1EEEvSM_, .Lfunc_end769-_ZN7rocprim17ROCPRIM_400000_NS6detail17trampoline_kernelINS0_14default_configENS1_38merge_sort_block_merge_config_selectorIlNS0_10empty_typeEEEZZNS1_27merge_sort_block_merge_implIS3_PlPS5_mZN2at6native12_GLOBAL__N_124unique_dim_cuda_templateIdEESt5tupleIJNSA_6TensorESF_SF_EERKSF_lbbbEUlllE_EE10hipError_tT0_T1_T2_jT3_P12ihipStream_tbPNSt15iterator_traitsISL_E10value_typeEPNSR_ISM_E10value_typeEPSN_NS1_7vsmem_tEENKUlT_SL_SM_SN_E_clIS8_S8_S9_S9_EESK_S10_SL_SM_SN_EUlS10_E0_NS1_11comp_targetILNS1_3genE4ELNS1_11target_archE910ELNS1_3gpuE8ELNS1_3repE0EEENS1_38merge_mergepath_config_static_selectorELNS0_4arch9wavefront6targetE1EEEvSM_
                                        ; -- End function
	.section	.AMDGPU.csdata,"",@progbits
; Kernel info:
; codeLenInByte = 4052
; NumSgprs: 52
; NumVgprs: 28
; NumAgprs: 0
; TotalNumVgprs: 28
; ScratchSize: 0
; MemoryBound: 0
; FloatMode: 240
; IeeeMode: 1
; LDSByteSize: 8448 bytes/workgroup (compile time only)
; SGPRBlocks: 6
; VGPRBlocks: 3
; NumSGPRsForWavesPerEU: 52
; NumVGPRsForWavesPerEU: 28
; AccumOffset: 28
; Occupancy: 7
; WaveLimiterHint : 1
; COMPUTE_PGM_RSRC2:SCRATCH_EN: 0
; COMPUTE_PGM_RSRC2:USER_SGPR: 6
; COMPUTE_PGM_RSRC2:TRAP_HANDLER: 0
; COMPUTE_PGM_RSRC2:TGID_X_EN: 1
; COMPUTE_PGM_RSRC2:TGID_Y_EN: 1
; COMPUTE_PGM_RSRC2:TGID_Z_EN: 1
; COMPUTE_PGM_RSRC2:TIDIG_COMP_CNT: 0
; COMPUTE_PGM_RSRC3_GFX90A:ACCUM_OFFSET: 6
; COMPUTE_PGM_RSRC3_GFX90A:TG_SPLIT: 0
	.section	.text._ZN7rocprim17ROCPRIM_400000_NS6detail17trampoline_kernelINS0_14default_configENS1_38merge_sort_block_merge_config_selectorIlNS0_10empty_typeEEEZZNS1_27merge_sort_block_merge_implIS3_PlPS5_mZN2at6native12_GLOBAL__N_124unique_dim_cuda_templateIdEESt5tupleIJNSA_6TensorESF_SF_EERKSF_lbbbEUlllE_EE10hipError_tT0_T1_T2_jT3_P12ihipStream_tbPNSt15iterator_traitsISL_E10value_typeEPNSR_ISM_E10value_typeEPSN_NS1_7vsmem_tEENKUlT_SL_SM_SN_E_clIS8_S8_S9_S9_EESK_S10_SL_SM_SN_EUlS10_E0_NS1_11comp_targetILNS1_3genE3ELNS1_11target_archE908ELNS1_3gpuE7ELNS1_3repE0EEENS1_38merge_mergepath_config_static_selectorELNS0_4arch9wavefront6targetE1EEEvSM_,"axG",@progbits,_ZN7rocprim17ROCPRIM_400000_NS6detail17trampoline_kernelINS0_14default_configENS1_38merge_sort_block_merge_config_selectorIlNS0_10empty_typeEEEZZNS1_27merge_sort_block_merge_implIS3_PlPS5_mZN2at6native12_GLOBAL__N_124unique_dim_cuda_templateIdEESt5tupleIJNSA_6TensorESF_SF_EERKSF_lbbbEUlllE_EE10hipError_tT0_T1_T2_jT3_P12ihipStream_tbPNSt15iterator_traitsISL_E10value_typeEPNSR_ISM_E10value_typeEPSN_NS1_7vsmem_tEENKUlT_SL_SM_SN_E_clIS8_S8_S9_S9_EESK_S10_SL_SM_SN_EUlS10_E0_NS1_11comp_targetILNS1_3genE3ELNS1_11target_archE908ELNS1_3gpuE7ELNS1_3repE0EEENS1_38merge_mergepath_config_static_selectorELNS0_4arch9wavefront6targetE1EEEvSM_,comdat
	.globl	_ZN7rocprim17ROCPRIM_400000_NS6detail17trampoline_kernelINS0_14default_configENS1_38merge_sort_block_merge_config_selectorIlNS0_10empty_typeEEEZZNS1_27merge_sort_block_merge_implIS3_PlPS5_mZN2at6native12_GLOBAL__N_124unique_dim_cuda_templateIdEESt5tupleIJNSA_6TensorESF_SF_EERKSF_lbbbEUlllE_EE10hipError_tT0_T1_T2_jT3_P12ihipStream_tbPNSt15iterator_traitsISL_E10value_typeEPNSR_ISM_E10value_typeEPSN_NS1_7vsmem_tEENKUlT_SL_SM_SN_E_clIS8_S8_S9_S9_EESK_S10_SL_SM_SN_EUlS10_E0_NS1_11comp_targetILNS1_3genE3ELNS1_11target_archE908ELNS1_3gpuE7ELNS1_3repE0EEENS1_38merge_mergepath_config_static_selectorELNS0_4arch9wavefront6targetE1EEEvSM_ ; -- Begin function _ZN7rocprim17ROCPRIM_400000_NS6detail17trampoline_kernelINS0_14default_configENS1_38merge_sort_block_merge_config_selectorIlNS0_10empty_typeEEEZZNS1_27merge_sort_block_merge_implIS3_PlPS5_mZN2at6native12_GLOBAL__N_124unique_dim_cuda_templateIdEESt5tupleIJNSA_6TensorESF_SF_EERKSF_lbbbEUlllE_EE10hipError_tT0_T1_T2_jT3_P12ihipStream_tbPNSt15iterator_traitsISL_E10value_typeEPNSR_ISM_E10value_typeEPSN_NS1_7vsmem_tEENKUlT_SL_SM_SN_E_clIS8_S8_S9_S9_EESK_S10_SL_SM_SN_EUlS10_E0_NS1_11comp_targetILNS1_3genE3ELNS1_11target_archE908ELNS1_3gpuE7ELNS1_3repE0EEENS1_38merge_mergepath_config_static_selectorELNS0_4arch9wavefront6targetE1EEEvSM_
	.p2align	8
	.type	_ZN7rocprim17ROCPRIM_400000_NS6detail17trampoline_kernelINS0_14default_configENS1_38merge_sort_block_merge_config_selectorIlNS0_10empty_typeEEEZZNS1_27merge_sort_block_merge_implIS3_PlPS5_mZN2at6native12_GLOBAL__N_124unique_dim_cuda_templateIdEESt5tupleIJNSA_6TensorESF_SF_EERKSF_lbbbEUlllE_EE10hipError_tT0_T1_T2_jT3_P12ihipStream_tbPNSt15iterator_traitsISL_E10value_typeEPNSR_ISM_E10value_typeEPSN_NS1_7vsmem_tEENKUlT_SL_SM_SN_E_clIS8_S8_S9_S9_EESK_S10_SL_SM_SN_EUlS10_E0_NS1_11comp_targetILNS1_3genE3ELNS1_11target_archE908ELNS1_3gpuE7ELNS1_3repE0EEENS1_38merge_mergepath_config_static_selectorELNS0_4arch9wavefront6targetE1EEEvSM_,@function
_ZN7rocprim17ROCPRIM_400000_NS6detail17trampoline_kernelINS0_14default_configENS1_38merge_sort_block_merge_config_selectorIlNS0_10empty_typeEEEZZNS1_27merge_sort_block_merge_implIS3_PlPS5_mZN2at6native12_GLOBAL__N_124unique_dim_cuda_templateIdEESt5tupleIJNSA_6TensorESF_SF_EERKSF_lbbbEUlllE_EE10hipError_tT0_T1_T2_jT3_P12ihipStream_tbPNSt15iterator_traitsISL_E10value_typeEPNSR_ISM_E10value_typeEPSN_NS1_7vsmem_tEENKUlT_SL_SM_SN_E_clIS8_S8_S9_S9_EESK_S10_SL_SM_SN_EUlS10_E0_NS1_11comp_targetILNS1_3genE3ELNS1_11target_archE908ELNS1_3gpuE7ELNS1_3repE0EEENS1_38merge_mergepath_config_static_selectorELNS0_4arch9wavefront6targetE1EEEvSM_: ; @_ZN7rocprim17ROCPRIM_400000_NS6detail17trampoline_kernelINS0_14default_configENS1_38merge_sort_block_merge_config_selectorIlNS0_10empty_typeEEEZZNS1_27merge_sort_block_merge_implIS3_PlPS5_mZN2at6native12_GLOBAL__N_124unique_dim_cuda_templateIdEESt5tupleIJNSA_6TensorESF_SF_EERKSF_lbbbEUlllE_EE10hipError_tT0_T1_T2_jT3_P12ihipStream_tbPNSt15iterator_traitsISL_E10value_typeEPNSR_ISM_E10value_typeEPSN_NS1_7vsmem_tEENKUlT_SL_SM_SN_E_clIS8_S8_S9_S9_EESK_S10_SL_SM_SN_EUlS10_E0_NS1_11comp_targetILNS1_3genE3ELNS1_11target_archE908ELNS1_3gpuE7ELNS1_3repE0EEENS1_38merge_mergepath_config_static_selectorELNS0_4arch9wavefront6targetE1EEEvSM_
; %bb.0:
	.section	.rodata,"a",@progbits
	.p2align	6, 0x0
	.amdhsa_kernel _ZN7rocprim17ROCPRIM_400000_NS6detail17trampoline_kernelINS0_14default_configENS1_38merge_sort_block_merge_config_selectorIlNS0_10empty_typeEEEZZNS1_27merge_sort_block_merge_implIS3_PlPS5_mZN2at6native12_GLOBAL__N_124unique_dim_cuda_templateIdEESt5tupleIJNSA_6TensorESF_SF_EERKSF_lbbbEUlllE_EE10hipError_tT0_T1_T2_jT3_P12ihipStream_tbPNSt15iterator_traitsISL_E10value_typeEPNSR_ISM_E10value_typeEPSN_NS1_7vsmem_tEENKUlT_SL_SM_SN_E_clIS8_S8_S9_S9_EESK_S10_SL_SM_SN_EUlS10_E0_NS1_11comp_targetILNS1_3genE3ELNS1_11target_archE908ELNS1_3gpuE7ELNS1_3repE0EEENS1_38merge_mergepath_config_static_selectorELNS0_4arch9wavefront6targetE1EEEvSM_
		.amdhsa_group_segment_fixed_size 0
		.amdhsa_private_segment_fixed_size 0
		.amdhsa_kernarg_size 88
		.amdhsa_user_sgpr_count 6
		.amdhsa_user_sgpr_private_segment_buffer 1
		.amdhsa_user_sgpr_dispatch_ptr 0
		.amdhsa_user_sgpr_queue_ptr 0
		.amdhsa_user_sgpr_kernarg_segment_ptr 1
		.amdhsa_user_sgpr_dispatch_id 0
		.amdhsa_user_sgpr_flat_scratch_init 0
		.amdhsa_user_sgpr_kernarg_preload_length 0
		.amdhsa_user_sgpr_kernarg_preload_offset 0
		.amdhsa_user_sgpr_private_segment_size 0
		.amdhsa_uses_dynamic_stack 0
		.amdhsa_system_sgpr_private_segment_wavefront_offset 0
		.amdhsa_system_sgpr_workgroup_id_x 1
		.amdhsa_system_sgpr_workgroup_id_y 0
		.amdhsa_system_sgpr_workgroup_id_z 0
		.amdhsa_system_sgpr_workgroup_info 0
		.amdhsa_system_vgpr_workitem_id 0
		.amdhsa_next_free_vgpr 1
		.amdhsa_next_free_sgpr 0
		.amdhsa_accum_offset 4
		.amdhsa_reserve_vcc 0
		.amdhsa_reserve_flat_scratch 0
		.amdhsa_float_round_mode_32 0
		.amdhsa_float_round_mode_16_64 0
		.amdhsa_float_denorm_mode_32 3
		.amdhsa_float_denorm_mode_16_64 3
		.amdhsa_dx10_clamp 1
		.amdhsa_ieee_mode 1
		.amdhsa_fp16_overflow 0
		.amdhsa_tg_split 0
		.amdhsa_exception_fp_ieee_invalid_op 0
		.amdhsa_exception_fp_denorm_src 0
		.amdhsa_exception_fp_ieee_div_zero 0
		.amdhsa_exception_fp_ieee_overflow 0
		.amdhsa_exception_fp_ieee_underflow 0
		.amdhsa_exception_fp_ieee_inexact 0
		.amdhsa_exception_int_div_zero 0
	.end_amdhsa_kernel
	.section	.text._ZN7rocprim17ROCPRIM_400000_NS6detail17trampoline_kernelINS0_14default_configENS1_38merge_sort_block_merge_config_selectorIlNS0_10empty_typeEEEZZNS1_27merge_sort_block_merge_implIS3_PlPS5_mZN2at6native12_GLOBAL__N_124unique_dim_cuda_templateIdEESt5tupleIJNSA_6TensorESF_SF_EERKSF_lbbbEUlllE_EE10hipError_tT0_T1_T2_jT3_P12ihipStream_tbPNSt15iterator_traitsISL_E10value_typeEPNSR_ISM_E10value_typeEPSN_NS1_7vsmem_tEENKUlT_SL_SM_SN_E_clIS8_S8_S9_S9_EESK_S10_SL_SM_SN_EUlS10_E0_NS1_11comp_targetILNS1_3genE3ELNS1_11target_archE908ELNS1_3gpuE7ELNS1_3repE0EEENS1_38merge_mergepath_config_static_selectorELNS0_4arch9wavefront6targetE1EEEvSM_,"axG",@progbits,_ZN7rocprim17ROCPRIM_400000_NS6detail17trampoline_kernelINS0_14default_configENS1_38merge_sort_block_merge_config_selectorIlNS0_10empty_typeEEEZZNS1_27merge_sort_block_merge_implIS3_PlPS5_mZN2at6native12_GLOBAL__N_124unique_dim_cuda_templateIdEESt5tupleIJNSA_6TensorESF_SF_EERKSF_lbbbEUlllE_EE10hipError_tT0_T1_T2_jT3_P12ihipStream_tbPNSt15iterator_traitsISL_E10value_typeEPNSR_ISM_E10value_typeEPSN_NS1_7vsmem_tEENKUlT_SL_SM_SN_E_clIS8_S8_S9_S9_EESK_S10_SL_SM_SN_EUlS10_E0_NS1_11comp_targetILNS1_3genE3ELNS1_11target_archE908ELNS1_3gpuE7ELNS1_3repE0EEENS1_38merge_mergepath_config_static_selectorELNS0_4arch9wavefront6targetE1EEEvSM_,comdat
.Lfunc_end770:
	.size	_ZN7rocprim17ROCPRIM_400000_NS6detail17trampoline_kernelINS0_14default_configENS1_38merge_sort_block_merge_config_selectorIlNS0_10empty_typeEEEZZNS1_27merge_sort_block_merge_implIS3_PlPS5_mZN2at6native12_GLOBAL__N_124unique_dim_cuda_templateIdEESt5tupleIJNSA_6TensorESF_SF_EERKSF_lbbbEUlllE_EE10hipError_tT0_T1_T2_jT3_P12ihipStream_tbPNSt15iterator_traitsISL_E10value_typeEPNSR_ISM_E10value_typeEPSN_NS1_7vsmem_tEENKUlT_SL_SM_SN_E_clIS8_S8_S9_S9_EESK_S10_SL_SM_SN_EUlS10_E0_NS1_11comp_targetILNS1_3genE3ELNS1_11target_archE908ELNS1_3gpuE7ELNS1_3repE0EEENS1_38merge_mergepath_config_static_selectorELNS0_4arch9wavefront6targetE1EEEvSM_, .Lfunc_end770-_ZN7rocprim17ROCPRIM_400000_NS6detail17trampoline_kernelINS0_14default_configENS1_38merge_sort_block_merge_config_selectorIlNS0_10empty_typeEEEZZNS1_27merge_sort_block_merge_implIS3_PlPS5_mZN2at6native12_GLOBAL__N_124unique_dim_cuda_templateIdEESt5tupleIJNSA_6TensorESF_SF_EERKSF_lbbbEUlllE_EE10hipError_tT0_T1_T2_jT3_P12ihipStream_tbPNSt15iterator_traitsISL_E10value_typeEPNSR_ISM_E10value_typeEPSN_NS1_7vsmem_tEENKUlT_SL_SM_SN_E_clIS8_S8_S9_S9_EESK_S10_SL_SM_SN_EUlS10_E0_NS1_11comp_targetILNS1_3genE3ELNS1_11target_archE908ELNS1_3gpuE7ELNS1_3repE0EEENS1_38merge_mergepath_config_static_selectorELNS0_4arch9wavefront6targetE1EEEvSM_
                                        ; -- End function
	.section	.AMDGPU.csdata,"",@progbits
; Kernel info:
; codeLenInByte = 0
; NumSgprs: 4
; NumVgprs: 0
; NumAgprs: 0
; TotalNumVgprs: 0
; ScratchSize: 0
; MemoryBound: 0
; FloatMode: 240
; IeeeMode: 1
; LDSByteSize: 0 bytes/workgroup (compile time only)
; SGPRBlocks: 0
; VGPRBlocks: 0
; NumSGPRsForWavesPerEU: 4
; NumVGPRsForWavesPerEU: 1
; AccumOffset: 4
; Occupancy: 8
; WaveLimiterHint : 0
; COMPUTE_PGM_RSRC2:SCRATCH_EN: 0
; COMPUTE_PGM_RSRC2:USER_SGPR: 6
; COMPUTE_PGM_RSRC2:TRAP_HANDLER: 0
; COMPUTE_PGM_RSRC2:TGID_X_EN: 1
; COMPUTE_PGM_RSRC2:TGID_Y_EN: 0
; COMPUTE_PGM_RSRC2:TGID_Z_EN: 0
; COMPUTE_PGM_RSRC2:TIDIG_COMP_CNT: 0
; COMPUTE_PGM_RSRC3_GFX90A:ACCUM_OFFSET: 0
; COMPUTE_PGM_RSRC3_GFX90A:TG_SPLIT: 0
	.section	.text._ZN7rocprim17ROCPRIM_400000_NS6detail17trampoline_kernelINS0_14default_configENS1_38merge_sort_block_merge_config_selectorIlNS0_10empty_typeEEEZZNS1_27merge_sort_block_merge_implIS3_PlPS5_mZN2at6native12_GLOBAL__N_124unique_dim_cuda_templateIdEESt5tupleIJNSA_6TensorESF_SF_EERKSF_lbbbEUlllE_EE10hipError_tT0_T1_T2_jT3_P12ihipStream_tbPNSt15iterator_traitsISL_E10value_typeEPNSR_ISM_E10value_typeEPSN_NS1_7vsmem_tEENKUlT_SL_SM_SN_E_clIS8_S8_S9_S9_EESK_S10_SL_SM_SN_EUlS10_E0_NS1_11comp_targetILNS1_3genE2ELNS1_11target_archE906ELNS1_3gpuE6ELNS1_3repE0EEENS1_38merge_mergepath_config_static_selectorELNS0_4arch9wavefront6targetE1EEEvSM_,"axG",@progbits,_ZN7rocprim17ROCPRIM_400000_NS6detail17trampoline_kernelINS0_14default_configENS1_38merge_sort_block_merge_config_selectorIlNS0_10empty_typeEEEZZNS1_27merge_sort_block_merge_implIS3_PlPS5_mZN2at6native12_GLOBAL__N_124unique_dim_cuda_templateIdEESt5tupleIJNSA_6TensorESF_SF_EERKSF_lbbbEUlllE_EE10hipError_tT0_T1_T2_jT3_P12ihipStream_tbPNSt15iterator_traitsISL_E10value_typeEPNSR_ISM_E10value_typeEPSN_NS1_7vsmem_tEENKUlT_SL_SM_SN_E_clIS8_S8_S9_S9_EESK_S10_SL_SM_SN_EUlS10_E0_NS1_11comp_targetILNS1_3genE2ELNS1_11target_archE906ELNS1_3gpuE6ELNS1_3repE0EEENS1_38merge_mergepath_config_static_selectorELNS0_4arch9wavefront6targetE1EEEvSM_,comdat
	.globl	_ZN7rocprim17ROCPRIM_400000_NS6detail17trampoline_kernelINS0_14default_configENS1_38merge_sort_block_merge_config_selectorIlNS0_10empty_typeEEEZZNS1_27merge_sort_block_merge_implIS3_PlPS5_mZN2at6native12_GLOBAL__N_124unique_dim_cuda_templateIdEESt5tupleIJNSA_6TensorESF_SF_EERKSF_lbbbEUlllE_EE10hipError_tT0_T1_T2_jT3_P12ihipStream_tbPNSt15iterator_traitsISL_E10value_typeEPNSR_ISM_E10value_typeEPSN_NS1_7vsmem_tEENKUlT_SL_SM_SN_E_clIS8_S8_S9_S9_EESK_S10_SL_SM_SN_EUlS10_E0_NS1_11comp_targetILNS1_3genE2ELNS1_11target_archE906ELNS1_3gpuE6ELNS1_3repE0EEENS1_38merge_mergepath_config_static_selectorELNS0_4arch9wavefront6targetE1EEEvSM_ ; -- Begin function _ZN7rocprim17ROCPRIM_400000_NS6detail17trampoline_kernelINS0_14default_configENS1_38merge_sort_block_merge_config_selectorIlNS0_10empty_typeEEEZZNS1_27merge_sort_block_merge_implIS3_PlPS5_mZN2at6native12_GLOBAL__N_124unique_dim_cuda_templateIdEESt5tupleIJNSA_6TensorESF_SF_EERKSF_lbbbEUlllE_EE10hipError_tT0_T1_T2_jT3_P12ihipStream_tbPNSt15iterator_traitsISL_E10value_typeEPNSR_ISM_E10value_typeEPSN_NS1_7vsmem_tEENKUlT_SL_SM_SN_E_clIS8_S8_S9_S9_EESK_S10_SL_SM_SN_EUlS10_E0_NS1_11comp_targetILNS1_3genE2ELNS1_11target_archE906ELNS1_3gpuE6ELNS1_3repE0EEENS1_38merge_mergepath_config_static_selectorELNS0_4arch9wavefront6targetE1EEEvSM_
	.p2align	8
	.type	_ZN7rocprim17ROCPRIM_400000_NS6detail17trampoline_kernelINS0_14default_configENS1_38merge_sort_block_merge_config_selectorIlNS0_10empty_typeEEEZZNS1_27merge_sort_block_merge_implIS3_PlPS5_mZN2at6native12_GLOBAL__N_124unique_dim_cuda_templateIdEESt5tupleIJNSA_6TensorESF_SF_EERKSF_lbbbEUlllE_EE10hipError_tT0_T1_T2_jT3_P12ihipStream_tbPNSt15iterator_traitsISL_E10value_typeEPNSR_ISM_E10value_typeEPSN_NS1_7vsmem_tEENKUlT_SL_SM_SN_E_clIS8_S8_S9_S9_EESK_S10_SL_SM_SN_EUlS10_E0_NS1_11comp_targetILNS1_3genE2ELNS1_11target_archE906ELNS1_3gpuE6ELNS1_3repE0EEENS1_38merge_mergepath_config_static_selectorELNS0_4arch9wavefront6targetE1EEEvSM_,@function
_ZN7rocprim17ROCPRIM_400000_NS6detail17trampoline_kernelINS0_14default_configENS1_38merge_sort_block_merge_config_selectorIlNS0_10empty_typeEEEZZNS1_27merge_sort_block_merge_implIS3_PlPS5_mZN2at6native12_GLOBAL__N_124unique_dim_cuda_templateIdEESt5tupleIJNSA_6TensorESF_SF_EERKSF_lbbbEUlllE_EE10hipError_tT0_T1_T2_jT3_P12ihipStream_tbPNSt15iterator_traitsISL_E10value_typeEPNSR_ISM_E10value_typeEPSN_NS1_7vsmem_tEENKUlT_SL_SM_SN_E_clIS8_S8_S9_S9_EESK_S10_SL_SM_SN_EUlS10_E0_NS1_11comp_targetILNS1_3genE2ELNS1_11target_archE906ELNS1_3gpuE6ELNS1_3repE0EEENS1_38merge_mergepath_config_static_selectorELNS0_4arch9wavefront6targetE1EEEvSM_: ; @_ZN7rocprim17ROCPRIM_400000_NS6detail17trampoline_kernelINS0_14default_configENS1_38merge_sort_block_merge_config_selectorIlNS0_10empty_typeEEEZZNS1_27merge_sort_block_merge_implIS3_PlPS5_mZN2at6native12_GLOBAL__N_124unique_dim_cuda_templateIdEESt5tupleIJNSA_6TensorESF_SF_EERKSF_lbbbEUlllE_EE10hipError_tT0_T1_T2_jT3_P12ihipStream_tbPNSt15iterator_traitsISL_E10value_typeEPNSR_ISM_E10value_typeEPSN_NS1_7vsmem_tEENKUlT_SL_SM_SN_E_clIS8_S8_S9_S9_EESK_S10_SL_SM_SN_EUlS10_E0_NS1_11comp_targetILNS1_3genE2ELNS1_11target_archE906ELNS1_3gpuE6ELNS1_3repE0EEENS1_38merge_mergepath_config_static_selectorELNS0_4arch9wavefront6targetE1EEEvSM_
; %bb.0:
	.section	.rodata,"a",@progbits
	.p2align	6, 0x0
	.amdhsa_kernel _ZN7rocprim17ROCPRIM_400000_NS6detail17trampoline_kernelINS0_14default_configENS1_38merge_sort_block_merge_config_selectorIlNS0_10empty_typeEEEZZNS1_27merge_sort_block_merge_implIS3_PlPS5_mZN2at6native12_GLOBAL__N_124unique_dim_cuda_templateIdEESt5tupleIJNSA_6TensorESF_SF_EERKSF_lbbbEUlllE_EE10hipError_tT0_T1_T2_jT3_P12ihipStream_tbPNSt15iterator_traitsISL_E10value_typeEPNSR_ISM_E10value_typeEPSN_NS1_7vsmem_tEENKUlT_SL_SM_SN_E_clIS8_S8_S9_S9_EESK_S10_SL_SM_SN_EUlS10_E0_NS1_11comp_targetILNS1_3genE2ELNS1_11target_archE906ELNS1_3gpuE6ELNS1_3repE0EEENS1_38merge_mergepath_config_static_selectorELNS0_4arch9wavefront6targetE1EEEvSM_
		.amdhsa_group_segment_fixed_size 0
		.amdhsa_private_segment_fixed_size 0
		.amdhsa_kernarg_size 88
		.amdhsa_user_sgpr_count 6
		.amdhsa_user_sgpr_private_segment_buffer 1
		.amdhsa_user_sgpr_dispatch_ptr 0
		.amdhsa_user_sgpr_queue_ptr 0
		.amdhsa_user_sgpr_kernarg_segment_ptr 1
		.amdhsa_user_sgpr_dispatch_id 0
		.amdhsa_user_sgpr_flat_scratch_init 0
		.amdhsa_user_sgpr_kernarg_preload_length 0
		.amdhsa_user_sgpr_kernarg_preload_offset 0
		.amdhsa_user_sgpr_private_segment_size 0
		.amdhsa_uses_dynamic_stack 0
		.amdhsa_system_sgpr_private_segment_wavefront_offset 0
		.amdhsa_system_sgpr_workgroup_id_x 1
		.amdhsa_system_sgpr_workgroup_id_y 0
		.amdhsa_system_sgpr_workgroup_id_z 0
		.amdhsa_system_sgpr_workgroup_info 0
		.amdhsa_system_vgpr_workitem_id 0
		.amdhsa_next_free_vgpr 1
		.amdhsa_next_free_sgpr 0
		.amdhsa_accum_offset 4
		.amdhsa_reserve_vcc 0
		.amdhsa_reserve_flat_scratch 0
		.amdhsa_float_round_mode_32 0
		.amdhsa_float_round_mode_16_64 0
		.amdhsa_float_denorm_mode_32 3
		.amdhsa_float_denorm_mode_16_64 3
		.amdhsa_dx10_clamp 1
		.amdhsa_ieee_mode 1
		.amdhsa_fp16_overflow 0
		.amdhsa_tg_split 0
		.amdhsa_exception_fp_ieee_invalid_op 0
		.amdhsa_exception_fp_denorm_src 0
		.amdhsa_exception_fp_ieee_div_zero 0
		.amdhsa_exception_fp_ieee_overflow 0
		.amdhsa_exception_fp_ieee_underflow 0
		.amdhsa_exception_fp_ieee_inexact 0
		.amdhsa_exception_int_div_zero 0
	.end_amdhsa_kernel
	.section	.text._ZN7rocprim17ROCPRIM_400000_NS6detail17trampoline_kernelINS0_14default_configENS1_38merge_sort_block_merge_config_selectorIlNS0_10empty_typeEEEZZNS1_27merge_sort_block_merge_implIS3_PlPS5_mZN2at6native12_GLOBAL__N_124unique_dim_cuda_templateIdEESt5tupleIJNSA_6TensorESF_SF_EERKSF_lbbbEUlllE_EE10hipError_tT0_T1_T2_jT3_P12ihipStream_tbPNSt15iterator_traitsISL_E10value_typeEPNSR_ISM_E10value_typeEPSN_NS1_7vsmem_tEENKUlT_SL_SM_SN_E_clIS8_S8_S9_S9_EESK_S10_SL_SM_SN_EUlS10_E0_NS1_11comp_targetILNS1_3genE2ELNS1_11target_archE906ELNS1_3gpuE6ELNS1_3repE0EEENS1_38merge_mergepath_config_static_selectorELNS0_4arch9wavefront6targetE1EEEvSM_,"axG",@progbits,_ZN7rocprim17ROCPRIM_400000_NS6detail17trampoline_kernelINS0_14default_configENS1_38merge_sort_block_merge_config_selectorIlNS0_10empty_typeEEEZZNS1_27merge_sort_block_merge_implIS3_PlPS5_mZN2at6native12_GLOBAL__N_124unique_dim_cuda_templateIdEESt5tupleIJNSA_6TensorESF_SF_EERKSF_lbbbEUlllE_EE10hipError_tT0_T1_T2_jT3_P12ihipStream_tbPNSt15iterator_traitsISL_E10value_typeEPNSR_ISM_E10value_typeEPSN_NS1_7vsmem_tEENKUlT_SL_SM_SN_E_clIS8_S8_S9_S9_EESK_S10_SL_SM_SN_EUlS10_E0_NS1_11comp_targetILNS1_3genE2ELNS1_11target_archE906ELNS1_3gpuE6ELNS1_3repE0EEENS1_38merge_mergepath_config_static_selectorELNS0_4arch9wavefront6targetE1EEEvSM_,comdat
.Lfunc_end771:
	.size	_ZN7rocprim17ROCPRIM_400000_NS6detail17trampoline_kernelINS0_14default_configENS1_38merge_sort_block_merge_config_selectorIlNS0_10empty_typeEEEZZNS1_27merge_sort_block_merge_implIS3_PlPS5_mZN2at6native12_GLOBAL__N_124unique_dim_cuda_templateIdEESt5tupleIJNSA_6TensorESF_SF_EERKSF_lbbbEUlllE_EE10hipError_tT0_T1_T2_jT3_P12ihipStream_tbPNSt15iterator_traitsISL_E10value_typeEPNSR_ISM_E10value_typeEPSN_NS1_7vsmem_tEENKUlT_SL_SM_SN_E_clIS8_S8_S9_S9_EESK_S10_SL_SM_SN_EUlS10_E0_NS1_11comp_targetILNS1_3genE2ELNS1_11target_archE906ELNS1_3gpuE6ELNS1_3repE0EEENS1_38merge_mergepath_config_static_selectorELNS0_4arch9wavefront6targetE1EEEvSM_, .Lfunc_end771-_ZN7rocprim17ROCPRIM_400000_NS6detail17trampoline_kernelINS0_14default_configENS1_38merge_sort_block_merge_config_selectorIlNS0_10empty_typeEEEZZNS1_27merge_sort_block_merge_implIS3_PlPS5_mZN2at6native12_GLOBAL__N_124unique_dim_cuda_templateIdEESt5tupleIJNSA_6TensorESF_SF_EERKSF_lbbbEUlllE_EE10hipError_tT0_T1_T2_jT3_P12ihipStream_tbPNSt15iterator_traitsISL_E10value_typeEPNSR_ISM_E10value_typeEPSN_NS1_7vsmem_tEENKUlT_SL_SM_SN_E_clIS8_S8_S9_S9_EESK_S10_SL_SM_SN_EUlS10_E0_NS1_11comp_targetILNS1_3genE2ELNS1_11target_archE906ELNS1_3gpuE6ELNS1_3repE0EEENS1_38merge_mergepath_config_static_selectorELNS0_4arch9wavefront6targetE1EEEvSM_
                                        ; -- End function
	.section	.AMDGPU.csdata,"",@progbits
; Kernel info:
; codeLenInByte = 0
; NumSgprs: 4
; NumVgprs: 0
; NumAgprs: 0
; TotalNumVgprs: 0
; ScratchSize: 0
; MemoryBound: 0
; FloatMode: 240
; IeeeMode: 1
; LDSByteSize: 0 bytes/workgroup (compile time only)
; SGPRBlocks: 0
; VGPRBlocks: 0
; NumSGPRsForWavesPerEU: 4
; NumVGPRsForWavesPerEU: 1
; AccumOffset: 4
; Occupancy: 8
; WaveLimiterHint : 0
; COMPUTE_PGM_RSRC2:SCRATCH_EN: 0
; COMPUTE_PGM_RSRC2:USER_SGPR: 6
; COMPUTE_PGM_RSRC2:TRAP_HANDLER: 0
; COMPUTE_PGM_RSRC2:TGID_X_EN: 1
; COMPUTE_PGM_RSRC2:TGID_Y_EN: 0
; COMPUTE_PGM_RSRC2:TGID_Z_EN: 0
; COMPUTE_PGM_RSRC2:TIDIG_COMP_CNT: 0
; COMPUTE_PGM_RSRC3_GFX90A:ACCUM_OFFSET: 0
; COMPUTE_PGM_RSRC3_GFX90A:TG_SPLIT: 0
	.section	.text._ZN7rocprim17ROCPRIM_400000_NS6detail17trampoline_kernelINS0_14default_configENS1_38merge_sort_block_merge_config_selectorIlNS0_10empty_typeEEEZZNS1_27merge_sort_block_merge_implIS3_PlPS5_mZN2at6native12_GLOBAL__N_124unique_dim_cuda_templateIdEESt5tupleIJNSA_6TensorESF_SF_EERKSF_lbbbEUlllE_EE10hipError_tT0_T1_T2_jT3_P12ihipStream_tbPNSt15iterator_traitsISL_E10value_typeEPNSR_ISM_E10value_typeEPSN_NS1_7vsmem_tEENKUlT_SL_SM_SN_E_clIS8_S8_S9_S9_EESK_S10_SL_SM_SN_EUlS10_E0_NS1_11comp_targetILNS1_3genE9ELNS1_11target_archE1100ELNS1_3gpuE3ELNS1_3repE0EEENS1_38merge_mergepath_config_static_selectorELNS0_4arch9wavefront6targetE1EEEvSM_,"axG",@progbits,_ZN7rocprim17ROCPRIM_400000_NS6detail17trampoline_kernelINS0_14default_configENS1_38merge_sort_block_merge_config_selectorIlNS0_10empty_typeEEEZZNS1_27merge_sort_block_merge_implIS3_PlPS5_mZN2at6native12_GLOBAL__N_124unique_dim_cuda_templateIdEESt5tupleIJNSA_6TensorESF_SF_EERKSF_lbbbEUlllE_EE10hipError_tT0_T1_T2_jT3_P12ihipStream_tbPNSt15iterator_traitsISL_E10value_typeEPNSR_ISM_E10value_typeEPSN_NS1_7vsmem_tEENKUlT_SL_SM_SN_E_clIS8_S8_S9_S9_EESK_S10_SL_SM_SN_EUlS10_E0_NS1_11comp_targetILNS1_3genE9ELNS1_11target_archE1100ELNS1_3gpuE3ELNS1_3repE0EEENS1_38merge_mergepath_config_static_selectorELNS0_4arch9wavefront6targetE1EEEvSM_,comdat
	.globl	_ZN7rocprim17ROCPRIM_400000_NS6detail17trampoline_kernelINS0_14default_configENS1_38merge_sort_block_merge_config_selectorIlNS0_10empty_typeEEEZZNS1_27merge_sort_block_merge_implIS3_PlPS5_mZN2at6native12_GLOBAL__N_124unique_dim_cuda_templateIdEESt5tupleIJNSA_6TensorESF_SF_EERKSF_lbbbEUlllE_EE10hipError_tT0_T1_T2_jT3_P12ihipStream_tbPNSt15iterator_traitsISL_E10value_typeEPNSR_ISM_E10value_typeEPSN_NS1_7vsmem_tEENKUlT_SL_SM_SN_E_clIS8_S8_S9_S9_EESK_S10_SL_SM_SN_EUlS10_E0_NS1_11comp_targetILNS1_3genE9ELNS1_11target_archE1100ELNS1_3gpuE3ELNS1_3repE0EEENS1_38merge_mergepath_config_static_selectorELNS0_4arch9wavefront6targetE1EEEvSM_ ; -- Begin function _ZN7rocprim17ROCPRIM_400000_NS6detail17trampoline_kernelINS0_14default_configENS1_38merge_sort_block_merge_config_selectorIlNS0_10empty_typeEEEZZNS1_27merge_sort_block_merge_implIS3_PlPS5_mZN2at6native12_GLOBAL__N_124unique_dim_cuda_templateIdEESt5tupleIJNSA_6TensorESF_SF_EERKSF_lbbbEUlllE_EE10hipError_tT0_T1_T2_jT3_P12ihipStream_tbPNSt15iterator_traitsISL_E10value_typeEPNSR_ISM_E10value_typeEPSN_NS1_7vsmem_tEENKUlT_SL_SM_SN_E_clIS8_S8_S9_S9_EESK_S10_SL_SM_SN_EUlS10_E0_NS1_11comp_targetILNS1_3genE9ELNS1_11target_archE1100ELNS1_3gpuE3ELNS1_3repE0EEENS1_38merge_mergepath_config_static_selectorELNS0_4arch9wavefront6targetE1EEEvSM_
	.p2align	8
	.type	_ZN7rocprim17ROCPRIM_400000_NS6detail17trampoline_kernelINS0_14default_configENS1_38merge_sort_block_merge_config_selectorIlNS0_10empty_typeEEEZZNS1_27merge_sort_block_merge_implIS3_PlPS5_mZN2at6native12_GLOBAL__N_124unique_dim_cuda_templateIdEESt5tupleIJNSA_6TensorESF_SF_EERKSF_lbbbEUlllE_EE10hipError_tT0_T1_T2_jT3_P12ihipStream_tbPNSt15iterator_traitsISL_E10value_typeEPNSR_ISM_E10value_typeEPSN_NS1_7vsmem_tEENKUlT_SL_SM_SN_E_clIS8_S8_S9_S9_EESK_S10_SL_SM_SN_EUlS10_E0_NS1_11comp_targetILNS1_3genE9ELNS1_11target_archE1100ELNS1_3gpuE3ELNS1_3repE0EEENS1_38merge_mergepath_config_static_selectorELNS0_4arch9wavefront6targetE1EEEvSM_,@function
_ZN7rocprim17ROCPRIM_400000_NS6detail17trampoline_kernelINS0_14default_configENS1_38merge_sort_block_merge_config_selectorIlNS0_10empty_typeEEEZZNS1_27merge_sort_block_merge_implIS3_PlPS5_mZN2at6native12_GLOBAL__N_124unique_dim_cuda_templateIdEESt5tupleIJNSA_6TensorESF_SF_EERKSF_lbbbEUlllE_EE10hipError_tT0_T1_T2_jT3_P12ihipStream_tbPNSt15iterator_traitsISL_E10value_typeEPNSR_ISM_E10value_typeEPSN_NS1_7vsmem_tEENKUlT_SL_SM_SN_E_clIS8_S8_S9_S9_EESK_S10_SL_SM_SN_EUlS10_E0_NS1_11comp_targetILNS1_3genE9ELNS1_11target_archE1100ELNS1_3gpuE3ELNS1_3repE0EEENS1_38merge_mergepath_config_static_selectorELNS0_4arch9wavefront6targetE1EEEvSM_: ; @_ZN7rocprim17ROCPRIM_400000_NS6detail17trampoline_kernelINS0_14default_configENS1_38merge_sort_block_merge_config_selectorIlNS0_10empty_typeEEEZZNS1_27merge_sort_block_merge_implIS3_PlPS5_mZN2at6native12_GLOBAL__N_124unique_dim_cuda_templateIdEESt5tupleIJNSA_6TensorESF_SF_EERKSF_lbbbEUlllE_EE10hipError_tT0_T1_T2_jT3_P12ihipStream_tbPNSt15iterator_traitsISL_E10value_typeEPNSR_ISM_E10value_typeEPSN_NS1_7vsmem_tEENKUlT_SL_SM_SN_E_clIS8_S8_S9_S9_EESK_S10_SL_SM_SN_EUlS10_E0_NS1_11comp_targetILNS1_3genE9ELNS1_11target_archE1100ELNS1_3gpuE3ELNS1_3repE0EEENS1_38merge_mergepath_config_static_selectorELNS0_4arch9wavefront6targetE1EEEvSM_
; %bb.0:
	.section	.rodata,"a",@progbits
	.p2align	6, 0x0
	.amdhsa_kernel _ZN7rocprim17ROCPRIM_400000_NS6detail17trampoline_kernelINS0_14default_configENS1_38merge_sort_block_merge_config_selectorIlNS0_10empty_typeEEEZZNS1_27merge_sort_block_merge_implIS3_PlPS5_mZN2at6native12_GLOBAL__N_124unique_dim_cuda_templateIdEESt5tupleIJNSA_6TensorESF_SF_EERKSF_lbbbEUlllE_EE10hipError_tT0_T1_T2_jT3_P12ihipStream_tbPNSt15iterator_traitsISL_E10value_typeEPNSR_ISM_E10value_typeEPSN_NS1_7vsmem_tEENKUlT_SL_SM_SN_E_clIS8_S8_S9_S9_EESK_S10_SL_SM_SN_EUlS10_E0_NS1_11comp_targetILNS1_3genE9ELNS1_11target_archE1100ELNS1_3gpuE3ELNS1_3repE0EEENS1_38merge_mergepath_config_static_selectorELNS0_4arch9wavefront6targetE1EEEvSM_
		.amdhsa_group_segment_fixed_size 0
		.amdhsa_private_segment_fixed_size 0
		.amdhsa_kernarg_size 88
		.amdhsa_user_sgpr_count 6
		.amdhsa_user_sgpr_private_segment_buffer 1
		.amdhsa_user_sgpr_dispatch_ptr 0
		.amdhsa_user_sgpr_queue_ptr 0
		.amdhsa_user_sgpr_kernarg_segment_ptr 1
		.amdhsa_user_sgpr_dispatch_id 0
		.amdhsa_user_sgpr_flat_scratch_init 0
		.amdhsa_user_sgpr_kernarg_preload_length 0
		.amdhsa_user_sgpr_kernarg_preload_offset 0
		.amdhsa_user_sgpr_private_segment_size 0
		.amdhsa_uses_dynamic_stack 0
		.amdhsa_system_sgpr_private_segment_wavefront_offset 0
		.amdhsa_system_sgpr_workgroup_id_x 1
		.amdhsa_system_sgpr_workgroup_id_y 0
		.amdhsa_system_sgpr_workgroup_id_z 0
		.amdhsa_system_sgpr_workgroup_info 0
		.amdhsa_system_vgpr_workitem_id 0
		.amdhsa_next_free_vgpr 1
		.amdhsa_next_free_sgpr 0
		.amdhsa_accum_offset 4
		.amdhsa_reserve_vcc 0
		.amdhsa_reserve_flat_scratch 0
		.amdhsa_float_round_mode_32 0
		.amdhsa_float_round_mode_16_64 0
		.amdhsa_float_denorm_mode_32 3
		.amdhsa_float_denorm_mode_16_64 3
		.amdhsa_dx10_clamp 1
		.amdhsa_ieee_mode 1
		.amdhsa_fp16_overflow 0
		.amdhsa_tg_split 0
		.amdhsa_exception_fp_ieee_invalid_op 0
		.amdhsa_exception_fp_denorm_src 0
		.amdhsa_exception_fp_ieee_div_zero 0
		.amdhsa_exception_fp_ieee_overflow 0
		.amdhsa_exception_fp_ieee_underflow 0
		.amdhsa_exception_fp_ieee_inexact 0
		.amdhsa_exception_int_div_zero 0
	.end_amdhsa_kernel
	.section	.text._ZN7rocprim17ROCPRIM_400000_NS6detail17trampoline_kernelINS0_14default_configENS1_38merge_sort_block_merge_config_selectorIlNS0_10empty_typeEEEZZNS1_27merge_sort_block_merge_implIS3_PlPS5_mZN2at6native12_GLOBAL__N_124unique_dim_cuda_templateIdEESt5tupleIJNSA_6TensorESF_SF_EERKSF_lbbbEUlllE_EE10hipError_tT0_T1_T2_jT3_P12ihipStream_tbPNSt15iterator_traitsISL_E10value_typeEPNSR_ISM_E10value_typeEPSN_NS1_7vsmem_tEENKUlT_SL_SM_SN_E_clIS8_S8_S9_S9_EESK_S10_SL_SM_SN_EUlS10_E0_NS1_11comp_targetILNS1_3genE9ELNS1_11target_archE1100ELNS1_3gpuE3ELNS1_3repE0EEENS1_38merge_mergepath_config_static_selectorELNS0_4arch9wavefront6targetE1EEEvSM_,"axG",@progbits,_ZN7rocprim17ROCPRIM_400000_NS6detail17trampoline_kernelINS0_14default_configENS1_38merge_sort_block_merge_config_selectorIlNS0_10empty_typeEEEZZNS1_27merge_sort_block_merge_implIS3_PlPS5_mZN2at6native12_GLOBAL__N_124unique_dim_cuda_templateIdEESt5tupleIJNSA_6TensorESF_SF_EERKSF_lbbbEUlllE_EE10hipError_tT0_T1_T2_jT3_P12ihipStream_tbPNSt15iterator_traitsISL_E10value_typeEPNSR_ISM_E10value_typeEPSN_NS1_7vsmem_tEENKUlT_SL_SM_SN_E_clIS8_S8_S9_S9_EESK_S10_SL_SM_SN_EUlS10_E0_NS1_11comp_targetILNS1_3genE9ELNS1_11target_archE1100ELNS1_3gpuE3ELNS1_3repE0EEENS1_38merge_mergepath_config_static_selectorELNS0_4arch9wavefront6targetE1EEEvSM_,comdat
.Lfunc_end772:
	.size	_ZN7rocprim17ROCPRIM_400000_NS6detail17trampoline_kernelINS0_14default_configENS1_38merge_sort_block_merge_config_selectorIlNS0_10empty_typeEEEZZNS1_27merge_sort_block_merge_implIS3_PlPS5_mZN2at6native12_GLOBAL__N_124unique_dim_cuda_templateIdEESt5tupleIJNSA_6TensorESF_SF_EERKSF_lbbbEUlllE_EE10hipError_tT0_T1_T2_jT3_P12ihipStream_tbPNSt15iterator_traitsISL_E10value_typeEPNSR_ISM_E10value_typeEPSN_NS1_7vsmem_tEENKUlT_SL_SM_SN_E_clIS8_S8_S9_S9_EESK_S10_SL_SM_SN_EUlS10_E0_NS1_11comp_targetILNS1_3genE9ELNS1_11target_archE1100ELNS1_3gpuE3ELNS1_3repE0EEENS1_38merge_mergepath_config_static_selectorELNS0_4arch9wavefront6targetE1EEEvSM_, .Lfunc_end772-_ZN7rocprim17ROCPRIM_400000_NS6detail17trampoline_kernelINS0_14default_configENS1_38merge_sort_block_merge_config_selectorIlNS0_10empty_typeEEEZZNS1_27merge_sort_block_merge_implIS3_PlPS5_mZN2at6native12_GLOBAL__N_124unique_dim_cuda_templateIdEESt5tupleIJNSA_6TensorESF_SF_EERKSF_lbbbEUlllE_EE10hipError_tT0_T1_T2_jT3_P12ihipStream_tbPNSt15iterator_traitsISL_E10value_typeEPNSR_ISM_E10value_typeEPSN_NS1_7vsmem_tEENKUlT_SL_SM_SN_E_clIS8_S8_S9_S9_EESK_S10_SL_SM_SN_EUlS10_E0_NS1_11comp_targetILNS1_3genE9ELNS1_11target_archE1100ELNS1_3gpuE3ELNS1_3repE0EEENS1_38merge_mergepath_config_static_selectorELNS0_4arch9wavefront6targetE1EEEvSM_
                                        ; -- End function
	.section	.AMDGPU.csdata,"",@progbits
; Kernel info:
; codeLenInByte = 0
; NumSgprs: 4
; NumVgprs: 0
; NumAgprs: 0
; TotalNumVgprs: 0
; ScratchSize: 0
; MemoryBound: 0
; FloatMode: 240
; IeeeMode: 1
; LDSByteSize: 0 bytes/workgroup (compile time only)
; SGPRBlocks: 0
; VGPRBlocks: 0
; NumSGPRsForWavesPerEU: 4
; NumVGPRsForWavesPerEU: 1
; AccumOffset: 4
; Occupancy: 8
; WaveLimiterHint : 0
; COMPUTE_PGM_RSRC2:SCRATCH_EN: 0
; COMPUTE_PGM_RSRC2:USER_SGPR: 6
; COMPUTE_PGM_RSRC2:TRAP_HANDLER: 0
; COMPUTE_PGM_RSRC2:TGID_X_EN: 1
; COMPUTE_PGM_RSRC2:TGID_Y_EN: 0
; COMPUTE_PGM_RSRC2:TGID_Z_EN: 0
; COMPUTE_PGM_RSRC2:TIDIG_COMP_CNT: 0
; COMPUTE_PGM_RSRC3_GFX90A:ACCUM_OFFSET: 0
; COMPUTE_PGM_RSRC3_GFX90A:TG_SPLIT: 0
	.section	.text._ZN7rocprim17ROCPRIM_400000_NS6detail17trampoline_kernelINS0_14default_configENS1_38merge_sort_block_merge_config_selectorIlNS0_10empty_typeEEEZZNS1_27merge_sort_block_merge_implIS3_PlPS5_mZN2at6native12_GLOBAL__N_124unique_dim_cuda_templateIdEESt5tupleIJNSA_6TensorESF_SF_EERKSF_lbbbEUlllE_EE10hipError_tT0_T1_T2_jT3_P12ihipStream_tbPNSt15iterator_traitsISL_E10value_typeEPNSR_ISM_E10value_typeEPSN_NS1_7vsmem_tEENKUlT_SL_SM_SN_E_clIS8_S8_S9_S9_EESK_S10_SL_SM_SN_EUlS10_E0_NS1_11comp_targetILNS1_3genE8ELNS1_11target_archE1030ELNS1_3gpuE2ELNS1_3repE0EEENS1_38merge_mergepath_config_static_selectorELNS0_4arch9wavefront6targetE1EEEvSM_,"axG",@progbits,_ZN7rocprim17ROCPRIM_400000_NS6detail17trampoline_kernelINS0_14default_configENS1_38merge_sort_block_merge_config_selectorIlNS0_10empty_typeEEEZZNS1_27merge_sort_block_merge_implIS3_PlPS5_mZN2at6native12_GLOBAL__N_124unique_dim_cuda_templateIdEESt5tupleIJNSA_6TensorESF_SF_EERKSF_lbbbEUlllE_EE10hipError_tT0_T1_T2_jT3_P12ihipStream_tbPNSt15iterator_traitsISL_E10value_typeEPNSR_ISM_E10value_typeEPSN_NS1_7vsmem_tEENKUlT_SL_SM_SN_E_clIS8_S8_S9_S9_EESK_S10_SL_SM_SN_EUlS10_E0_NS1_11comp_targetILNS1_3genE8ELNS1_11target_archE1030ELNS1_3gpuE2ELNS1_3repE0EEENS1_38merge_mergepath_config_static_selectorELNS0_4arch9wavefront6targetE1EEEvSM_,comdat
	.globl	_ZN7rocprim17ROCPRIM_400000_NS6detail17trampoline_kernelINS0_14default_configENS1_38merge_sort_block_merge_config_selectorIlNS0_10empty_typeEEEZZNS1_27merge_sort_block_merge_implIS3_PlPS5_mZN2at6native12_GLOBAL__N_124unique_dim_cuda_templateIdEESt5tupleIJNSA_6TensorESF_SF_EERKSF_lbbbEUlllE_EE10hipError_tT0_T1_T2_jT3_P12ihipStream_tbPNSt15iterator_traitsISL_E10value_typeEPNSR_ISM_E10value_typeEPSN_NS1_7vsmem_tEENKUlT_SL_SM_SN_E_clIS8_S8_S9_S9_EESK_S10_SL_SM_SN_EUlS10_E0_NS1_11comp_targetILNS1_3genE8ELNS1_11target_archE1030ELNS1_3gpuE2ELNS1_3repE0EEENS1_38merge_mergepath_config_static_selectorELNS0_4arch9wavefront6targetE1EEEvSM_ ; -- Begin function _ZN7rocprim17ROCPRIM_400000_NS6detail17trampoline_kernelINS0_14default_configENS1_38merge_sort_block_merge_config_selectorIlNS0_10empty_typeEEEZZNS1_27merge_sort_block_merge_implIS3_PlPS5_mZN2at6native12_GLOBAL__N_124unique_dim_cuda_templateIdEESt5tupleIJNSA_6TensorESF_SF_EERKSF_lbbbEUlllE_EE10hipError_tT0_T1_T2_jT3_P12ihipStream_tbPNSt15iterator_traitsISL_E10value_typeEPNSR_ISM_E10value_typeEPSN_NS1_7vsmem_tEENKUlT_SL_SM_SN_E_clIS8_S8_S9_S9_EESK_S10_SL_SM_SN_EUlS10_E0_NS1_11comp_targetILNS1_3genE8ELNS1_11target_archE1030ELNS1_3gpuE2ELNS1_3repE0EEENS1_38merge_mergepath_config_static_selectorELNS0_4arch9wavefront6targetE1EEEvSM_
	.p2align	8
	.type	_ZN7rocprim17ROCPRIM_400000_NS6detail17trampoline_kernelINS0_14default_configENS1_38merge_sort_block_merge_config_selectorIlNS0_10empty_typeEEEZZNS1_27merge_sort_block_merge_implIS3_PlPS5_mZN2at6native12_GLOBAL__N_124unique_dim_cuda_templateIdEESt5tupleIJNSA_6TensorESF_SF_EERKSF_lbbbEUlllE_EE10hipError_tT0_T1_T2_jT3_P12ihipStream_tbPNSt15iterator_traitsISL_E10value_typeEPNSR_ISM_E10value_typeEPSN_NS1_7vsmem_tEENKUlT_SL_SM_SN_E_clIS8_S8_S9_S9_EESK_S10_SL_SM_SN_EUlS10_E0_NS1_11comp_targetILNS1_3genE8ELNS1_11target_archE1030ELNS1_3gpuE2ELNS1_3repE0EEENS1_38merge_mergepath_config_static_selectorELNS0_4arch9wavefront6targetE1EEEvSM_,@function
_ZN7rocprim17ROCPRIM_400000_NS6detail17trampoline_kernelINS0_14default_configENS1_38merge_sort_block_merge_config_selectorIlNS0_10empty_typeEEEZZNS1_27merge_sort_block_merge_implIS3_PlPS5_mZN2at6native12_GLOBAL__N_124unique_dim_cuda_templateIdEESt5tupleIJNSA_6TensorESF_SF_EERKSF_lbbbEUlllE_EE10hipError_tT0_T1_T2_jT3_P12ihipStream_tbPNSt15iterator_traitsISL_E10value_typeEPNSR_ISM_E10value_typeEPSN_NS1_7vsmem_tEENKUlT_SL_SM_SN_E_clIS8_S8_S9_S9_EESK_S10_SL_SM_SN_EUlS10_E0_NS1_11comp_targetILNS1_3genE8ELNS1_11target_archE1030ELNS1_3gpuE2ELNS1_3repE0EEENS1_38merge_mergepath_config_static_selectorELNS0_4arch9wavefront6targetE1EEEvSM_: ; @_ZN7rocprim17ROCPRIM_400000_NS6detail17trampoline_kernelINS0_14default_configENS1_38merge_sort_block_merge_config_selectorIlNS0_10empty_typeEEEZZNS1_27merge_sort_block_merge_implIS3_PlPS5_mZN2at6native12_GLOBAL__N_124unique_dim_cuda_templateIdEESt5tupleIJNSA_6TensorESF_SF_EERKSF_lbbbEUlllE_EE10hipError_tT0_T1_T2_jT3_P12ihipStream_tbPNSt15iterator_traitsISL_E10value_typeEPNSR_ISM_E10value_typeEPSN_NS1_7vsmem_tEENKUlT_SL_SM_SN_E_clIS8_S8_S9_S9_EESK_S10_SL_SM_SN_EUlS10_E0_NS1_11comp_targetILNS1_3genE8ELNS1_11target_archE1030ELNS1_3gpuE2ELNS1_3repE0EEENS1_38merge_mergepath_config_static_selectorELNS0_4arch9wavefront6targetE1EEEvSM_
; %bb.0:
	.section	.rodata,"a",@progbits
	.p2align	6, 0x0
	.amdhsa_kernel _ZN7rocprim17ROCPRIM_400000_NS6detail17trampoline_kernelINS0_14default_configENS1_38merge_sort_block_merge_config_selectorIlNS0_10empty_typeEEEZZNS1_27merge_sort_block_merge_implIS3_PlPS5_mZN2at6native12_GLOBAL__N_124unique_dim_cuda_templateIdEESt5tupleIJNSA_6TensorESF_SF_EERKSF_lbbbEUlllE_EE10hipError_tT0_T1_T2_jT3_P12ihipStream_tbPNSt15iterator_traitsISL_E10value_typeEPNSR_ISM_E10value_typeEPSN_NS1_7vsmem_tEENKUlT_SL_SM_SN_E_clIS8_S8_S9_S9_EESK_S10_SL_SM_SN_EUlS10_E0_NS1_11comp_targetILNS1_3genE8ELNS1_11target_archE1030ELNS1_3gpuE2ELNS1_3repE0EEENS1_38merge_mergepath_config_static_selectorELNS0_4arch9wavefront6targetE1EEEvSM_
		.amdhsa_group_segment_fixed_size 0
		.amdhsa_private_segment_fixed_size 0
		.amdhsa_kernarg_size 88
		.amdhsa_user_sgpr_count 6
		.amdhsa_user_sgpr_private_segment_buffer 1
		.amdhsa_user_sgpr_dispatch_ptr 0
		.amdhsa_user_sgpr_queue_ptr 0
		.amdhsa_user_sgpr_kernarg_segment_ptr 1
		.amdhsa_user_sgpr_dispatch_id 0
		.amdhsa_user_sgpr_flat_scratch_init 0
		.amdhsa_user_sgpr_kernarg_preload_length 0
		.amdhsa_user_sgpr_kernarg_preload_offset 0
		.amdhsa_user_sgpr_private_segment_size 0
		.amdhsa_uses_dynamic_stack 0
		.amdhsa_system_sgpr_private_segment_wavefront_offset 0
		.amdhsa_system_sgpr_workgroup_id_x 1
		.amdhsa_system_sgpr_workgroup_id_y 0
		.amdhsa_system_sgpr_workgroup_id_z 0
		.amdhsa_system_sgpr_workgroup_info 0
		.amdhsa_system_vgpr_workitem_id 0
		.amdhsa_next_free_vgpr 1
		.amdhsa_next_free_sgpr 0
		.amdhsa_accum_offset 4
		.amdhsa_reserve_vcc 0
		.amdhsa_reserve_flat_scratch 0
		.amdhsa_float_round_mode_32 0
		.amdhsa_float_round_mode_16_64 0
		.amdhsa_float_denorm_mode_32 3
		.amdhsa_float_denorm_mode_16_64 3
		.amdhsa_dx10_clamp 1
		.amdhsa_ieee_mode 1
		.amdhsa_fp16_overflow 0
		.amdhsa_tg_split 0
		.amdhsa_exception_fp_ieee_invalid_op 0
		.amdhsa_exception_fp_denorm_src 0
		.amdhsa_exception_fp_ieee_div_zero 0
		.amdhsa_exception_fp_ieee_overflow 0
		.amdhsa_exception_fp_ieee_underflow 0
		.amdhsa_exception_fp_ieee_inexact 0
		.amdhsa_exception_int_div_zero 0
	.end_amdhsa_kernel
	.section	.text._ZN7rocprim17ROCPRIM_400000_NS6detail17trampoline_kernelINS0_14default_configENS1_38merge_sort_block_merge_config_selectorIlNS0_10empty_typeEEEZZNS1_27merge_sort_block_merge_implIS3_PlPS5_mZN2at6native12_GLOBAL__N_124unique_dim_cuda_templateIdEESt5tupleIJNSA_6TensorESF_SF_EERKSF_lbbbEUlllE_EE10hipError_tT0_T1_T2_jT3_P12ihipStream_tbPNSt15iterator_traitsISL_E10value_typeEPNSR_ISM_E10value_typeEPSN_NS1_7vsmem_tEENKUlT_SL_SM_SN_E_clIS8_S8_S9_S9_EESK_S10_SL_SM_SN_EUlS10_E0_NS1_11comp_targetILNS1_3genE8ELNS1_11target_archE1030ELNS1_3gpuE2ELNS1_3repE0EEENS1_38merge_mergepath_config_static_selectorELNS0_4arch9wavefront6targetE1EEEvSM_,"axG",@progbits,_ZN7rocprim17ROCPRIM_400000_NS6detail17trampoline_kernelINS0_14default_configENS1_38merge_sort_block_merge_config_selectorIlNS0_10empty_typeEEEZZNS1_27merge_sort_block_merge_implIS3_PlPS5_mZN2at6native12_GLOBAL__N_124unique_dim_cuda_templateIdEESt5tupleIJNSA_6TensorESF_SF_EERKSF_lbbbEUlllE_EE10hipError_tT0_T1_T2_jT3_P12ihipStream_tbPNSt15iterator_traitsISL_E10value_typeEPNSR_ISM_E10value_typeEPSN_NS1_7vsmem_tEENKUlT_SL_SM_SN_E_clIS8_S8_S9_S9_EESK_S10_SL_SM_SN_EUlS10_E0_NS1_11comp_targetILNS1_3genE8ELNS1_11target_archE1030ELNS1_3gpuE2ELNS1_3repE0EEENS1_38merge_mergepath_config_static_selectorELNS0_4arch9wavefront6targetE1EEEvSM_,comdat
.Lfunc_end773:
	.size	_ZN7rocprim17ROCPRIM_400000_NS6detail17trampoline_kernelINS0_14default_configENS1_38merge_sort_block_merge_config_selectorIlNS0_10empty_typeEEEZZNS1_27merge_sort_block_merge_implIS3_PlPS5_mZN2at6native12_GLOBAL__N_124unique_dim_cuda_templateIdEESt5tupleIJNSA_6TensorESF_SF_EERKSF_lbbbEUlllE_EE10hipError_tT0_T1_T2_jT3_P12ihipStream_tbPNSt15iterator_traitsISL_E10value_typeEPNSR_ISM_E10value_typeEPSN_NS1_7vsmem_tEENKUlT_SL_SM_SN_E_clIS8_S8_S9_S9_EESK_S10_SL_SM_SN_EUlS10_E0_NS1_11comp_targetILNS1_3genE8ELNS1_11target_archE1030ELNS1_3gpuE2ELNS1_3repE0EEENS1_38merge_mergepath_config_static_selectorELNS0_4arch9wavefront6targetE1EEEvSM_, .Lfunc_end773-_ZN7rocprim17ROCPRIM_400000_NS6detail17trampoline_kernelINS0_14default_configENS1_38merge_sort_block_merge_config_selectorIlNS0_10empty_typeEEEZZNS1_27merge_sort_block_merge_implIS3_PlPS5_mZN2at6native12_GLOBAL__N_124unique_dim_cuda_templateIdEESt5tupleIJNSA_6TensorESF_SF_EERKSF_lbbbEUlllE_EE10hipError_tT0_T1_T2_jT3_P12ihipStream_tbPNSt15iterator_traitsISL_E10value_typeEPNSR_ISM_E10value_typeEPSN_NS1_7vsmem_tEENKUlT_SL_SM_SN_E_clIS8_S8_S9_S9_EESK_S10_SL_SM_SN_EUlS10_E0_NS1_11comp_targetILNS1_3genE8ELNS1_11target_archE1030ELNS1_3gpuE2ELNS1_3repE0EEENS1_38merge_mergepath_config_static_selectorELNS0_4arch9wavefront6targetE1EEEvSM_
                                        ; -- End function
	.section	.AMDGPU.csdata,"",@progbits
; Kernel info:
; codeLenInByte = 0
; NumSgprs: 4
; NumVgprs: 0
; NumAgprs: 0
; TotalNumVgprs: 0
; ScratchSize: 0
; MemoryBound: 0
; FloatMode: 240
; IeeeMode: 1
; LDSByteSize: 0 bytes/workgroup (compile time only)
; SGPRBlocks: 0
; VGPRBlocks: 0
; NumSGPRsForWavesPerEU: 4
; NumVGPRsForWavesPerEU: 1
; AccumOffset: 4
; Occupancy: 8
; WaveLimiterHint : 0
; COMPUTE_PGM_RSRC2:SCRATCH_EN: 0
; COMPUTE_PGM_RSRC2:USER_SGPR: 6
; COMPUTE_PGM_RSRC2:TRAP_HANDLER: 0
; COMPUTE_PGM_RSRC2:TGID_X_EN: 1
; COMPUTE_PGM_RSRC2:TGID_Y_EN: 0
; COMPUTE_PGM_RSRC2:TGID_Z_EN: 0
; COMPUTE_PGM_RSRC2:TIDIG_COMP_CNT: 0
; COMPUTE_PGM_RSRC3_GFX90A:ACCUM_OFFSET: 0
; COMPUTE_PGM_RSRC3_GFX90A:TG_SPLIT: 0
	.section	.text._ZN7rocprim17ROCPRIM_400000_NS6detail17trampoline_kernelINS0_14default_configENS1_38merge_sort_block_merge_config_selectorIlNS0_10empty_typeEEEZZNS1_27merge_sort_block_merge_implIS3_PlPS5_mZN2at6native12_GLOBAL__N_124unique_dim_cuda_templateIdEESt5tupleIJNSA_6TensorESF_SF_EERKSF_lbbbEUlllE_EE10hipError_tT0_T1_T2_jT3_P12ihipStream_tbPNSt15iterator_traitsISL_E10value_typeEPNSR_ISM_E10value_typeEPSN_NS1_7vsmem_tEENKUlT_SL_SM_SN_E_clIS8_S8_S9_S9_EESK_S10_SL_SM_SN_EUlS10_E1_NS1_11comp_targetILNS1_3genE0ELNS1_11target_archE4294967295ELNS1_3gpuE0ELNS1_3repE0EEENS1_36merge_oddeven_config_static_selectorELNS0_4arch9wavefront6targetE1EEEvSM_,"axG",@progbits,_ZN7rocprim17ROCPRIM_400000_NS6detail17trampoline_kernelINS0_14default_configENS1_38merge_sort_block_merge_config_selectorIlNS0_10empty_typeEEEZZNS1_27merge_sort_block_merge_implIS3_PlPS5_mZN2at6native12_GLOBAL__N_124unique_dim_cuda_templateIdEESt5tupleIJNSA_6TensorESF_SF_EERKSF_lbbbEUlllE_EE10hipError_tT0_T1_T2_jT3_P12ihipStream_tbPNSt15iterator_traitsISL_E10value_typeEPNSR_ISM_E10value_typeEPSN_NS1_7vsmem_tEENKUlT_SL_SM_SN_E_clIS8_S8_S9_S9_EESK_S10_SL_SM_SN_EUlS10_E1_NS1_11comp_targetILNS1_3genE0ELNS1_11target_archE4294967295ELNS1_3gpuE0ELNS1_3repE0EEENS1_36merge_oddeven_config_static_selectorELNS0_4arch9wavefront6targetE1EEEvSM_,comdat
	.globl	_ZN7rocprim17ROCPRIM_400000_NS6detail17trampoline_kernelINS0_14default_configENS1_38merge_sort_block_merge_config_selectorIlNS0_10empty_typeEEEZZNS1_27merge_sort_block_merge_implIS3_PlPS5_mZN2at6native12_GLOBAL__N_124unique_dim_cuda_templateIdEESt5tupleIJNSA_6TensorESF_SF_EERKSF_lbbbEUlllE_EE10hipError_tT0_T1_T2_jT3_P12ihipStream_tbPNSt15iterator_traitsISL_E10value_typeEPNSR_ISM_E10value_typeEPSN_NS1_7vsmem_tEENKUlT_SL_SM_SN_E_clIS8_S8_S9_S9_EESK_S10_SL_SM_SN_EUlS10_E1_NS1_11comp_targetILNS1_3genE0ELNS1_11target_archE4294967295ELNS1_3gpuE0ELNS1_3repE0EEENS1_36merge_oddeven_config_static_selectorELNS0_4arch9wavefront6targetE1EEEvSM_ ; -- Begin function _ZN7rocprim17ROCPRIM_400000_NS6detail17trampoline_kernelINS0_14default_configENS1_38merge_sort_block_merge_config_selectorIlNS0_10empty_typeEEEZZNS1_27merge_sort_block_merge_implIS3_PlPS5_mZN2at6native12_GLOBAL__N_124unique_dim_cuda_templateIdEESt5tupleIJNSA_6TensorESF_SF_EERKSF_lbbbEUlllE_EE10hipError_tT0_T1_T2_jT3_P12ihipStream_tbPNSt15iterator_traitsISL_E10value_typeEPNSR_ISM_E10value_typeEPSN_NS1_7vsmem_tEENKUlT_SL_SM_SN_E_clIS8_S8_S9_S9_EESK_S10_SL_SM_SN_EUlS10_E1_NS1_11comp_targetILNS1_3genE0ELNS1_11target_archE4294967295ELNS1_3gpuE0ELNS1_3repE0EEENS1_36merge_oddeven_config_static_selectorELNS0_4arch9wavefront6targetE1EEEvSM_
	.p2align	8
	.type	_ZN7rocprim17ROCPRIM_400000_NS6detail17trampoline_kernelINS0_14default_configENS1_38merge_sort_block_merge_config_selectorIlNS0_10empty_typeEEEZZNS1_27merge_sort_block_merge_implIS3_PlPS5_mZN2at6native12_GLOBAL__N_124unique_dim_cuda_templateIdEESt5tupleIJNSA_6TensorESF_SF_EERKSF_lbbbEUlllE_EE10hipError_tT0_T1_T2_jT3_P12ihipStream_tbPNSt15iterator_traitsISL_E10value_typeEPNSR_ISM_E10value_typeEPSN_NS1_7vsmem_tEENKUlT_SL_SM_SN_E_clIS8_S8_S9_S9_EESK_S10_SL_SM_SN_EUlS10_E1_NS1_11comp_targetILNS1_3genE0ELNS1_11target_archE4294967295ELNS1_3gpuE0ELNS1_3repE0EEENS1_36merge_oddeven_config_static_selectorELNS0_4arch9wavefront6targetE1EEEvSM_,@function
_ZN7rocprim17ROCPRIM_400000_NS6detail17trampoline_kernelINS0_14default_configENS1_38merge_sort_block_merge_config_selectorIlNS0_10empty_typeEEEZZNS1_27merge_sort_block_merge_implIS3_PlPS5_mZN2at6native12_GLOBAL__N_124unique_dim_cuda_templateIdEESt5tupleIJNSA_6TensorESF_SF_EERKSF_lbbbEUlllE_EE10hipError_tT0_T1_T2_jT3_P12ihipStream_tbPNSt15iterator_traitsISL_E10value_typeEPNSR_ISM_E10value_typeEPSN_NS1_7vsmem_tEENKUlT_SL_SM_SN_E_clIS8_S8_S9_S9_EESK_S10_SL_SM_SN_EUlS10_E1_NS1_11comp_targetILNS1_3genE0ELNS1_11target_archE4294967295ELNS1_3gpuE0ELNS1_3repE0EEENS1_36merge_oddeven_config_static_selectorELNS0_4arch9wavefront6targetE1EEEvSM_: ; @_ZN7rocprim17ROCPRIM_400000_NS6detail17trampoline_kernelINS0_14default_configENS1_38merge_sort_block_merge_config_selectorIlNS0_10empty_typeEEEZZNS1_27merge_sort_block_merge_implIS3_PlPS5_mZN2at6native12_GLOBAL__N_124unique_dim_cuda_templateIdEESt5tupleIJNSA_6TensorESF_SF_EERKSF_lbbbEUlllE_EE10hipError_tT0_T1_T2_jT3_P12ihipStream_tbPNSt15iterator_traitsISL_E10value_typeEPNSR_ISM_E10value_typeEPSN_NS1_7vsmem_tEENKUlT_SL_SM_SN_E_clIS8_S8_S9_S9_EESK_S10_SL_SM_SN_EUlS10_E1_NS1_11comp_targetILNS1_3genE0ELNS1_11target_archE4294967295ELNS1_3gpuE0ELNS1_3repE0EEENS1_36merge_oddeven_config_static_selectorELNS0_4arch9wavefront6targetE1EEEvSM_
; %bb.0:
	.section	.rodata,"a",@progbits
	.p2align	6, 0x0
	.amdhsa_kernel _ZN7rocprim17ROCPRIM_400000_NS6detail17trampoline_kernelINS0_14default_configENS1_38merge_sort_block_merge_config_selectorIlNS0_10empty_typeEEEZZNS1_27merge_sort_block_merge_implIS3_PlPS5_mZN2at6native12_GLOBAL__N_124unique_dim_cuda_templateIdEESt5tupleIJNSA_6TensorESF_SF_EERKSF_lbbbEUlllE_EE10hipError_tT0_T1_T2_jT3_P12ihipStream_tbPNSt15iterator_traitsISL_E10value_typeEPNSR_ISM_E10value_typeEPSN_NS1_7vsmem_tEENKUlT_SL_SM_SN_E_clIS8_S8_S9_S9_EESK_S10_SL_SM_SN_EUlS10_E1_NS1_11comp_targetILNS1_3genE0ELNS1_11target_archE4294967295ELNS1_3gpuE0ELNS1_3repE0EEENS1_36merge_oddeven_config_static_selectorELNS0_4arch9wavefront6targetE1EEEvSM_
		.amdhsa_group_segment_fixed_size 0
		.amdhsa_private_segment_fixed_size 0
		.amdhsa_kernarg_size 64
		.amdhsa_user_sgpr_count 6
		.amdhsa_user_sgpr_private_segment_buffer 1
		.amdhsa_user_sgpr_dispatch_ptr 0
		.amdhsa_user_sgpr_queue_ptr 0
		.amdhsa_user_sgpr_kernarg_segment_ptr 1
		.amdhsa_user_sgpr_dispatch_id 0
		.amdhsa_user_sgpr_flat_scratch_init 0
		.amdhsa_user_sgpr_kernarg_preload_length 0
		.amdhsa_user_sgpr_kernarg_preload_offset 0
		.amdhsa_user_sgpr_private_segment_size 0
		.amdhsa_uses_dynamic_stack 0
		.amdhsa_system_sgpr_private_segment_wavefront_offset 0
		.amdhsa_system_sgpr_workgroup_id_x 1
		.amdhsa_system_sgpr_workgroup_id_y 0
		.amdhsa_system_sgpr_workgroup_id_z 0
		.amdhsa_system_sgpr_workgroup_info 0
		.amdhsa_system_vgpr_workitem_id 0
		.amdhsa_next_free_vgpr 1
		.amdhsa_next_free_sgpr 0
		.amdhsa_accum_offset 4
		.amdhsa_reserve_vcc 0
		.amdhsa_reserve_flat_scratch 0
		.amdhsa_float_round_mode_32 0
		.amdhsa_float_round_mode_16_64 0
		.amdhsa_float_denorm_mode_32 3
		.amdhsa_float_denorm_mode_16_64 3
		.amdhsa_dx10_clamp 1
		.amdhsa_ieee_mode 1
		.amdhsa_fp16_overflow 0
		.amdhsa_tg_split 0
		.amdhsa_exception_fp_ieee_invalid_op 0
		.amdhsa_exception_fp_denorm_src 0
		.amdhsa_exception_fp_ieee_div_zero 0
		.amdhsa_exception_fp_ieee_overflow 0
		.amdhsa_exception_fp_ieee_underflow 0
		.amdhsa_exception_fp_ieee_inexact 0
		.amdhsa_exception_int_div_zero 0
	.end_amdhsa_kernel
	.section	.text._ZN7rocprim17ROCPRIM_400000_NS6detail17trampoline_kernelINS0_14default_configENS1_38merge_sort_block_merge_config_selectorIlNS0_10empty_typeEEEZZNS1_27merge_sort_block_merge_implIS3_PlPS5_mZN2at6native12_GLOBAL__N_124unique_dim_cuda_templateIdEESt5tupleIJNSA_6TensorESF_SF_EERKSF_lbbbEUlllE_EE10hipError_tT0_T1_T2_jT3_P12ihipStream_tbPNSt15iterator_traitsISL_E10value_typeEPNSR_ISM_E10value_typeEPSN_NS1_7vsmem_tEENKUlT_SL_SM_SN_E_clIS8_S8_S9_S9_EESK_S10_SL_SM_SN_EUlS10_E1_NS1_11comp_targetILNS1_3genE0ELNS1_11target_archE4294967295ELNS1_3gpuE0ELNS1_3repE0EEENS1_36merge_oddeven_config_static_selectorELNS0_4arch9wavefront6targetE1EEEvSM_,"axG",@progbits,_ZN7rocprim17ROCPRIM_400000_NS6detail17trampoline_kernelINS0_14default_configENS1_38merge_sort_block_merge_config_selectorIlNS0_10empty_typeEEEZZNS1_27merge_sort_block_merge_implIS3_PlPS5_mZN2at6native12_GLOBAL__N_124unique_dim_cuda_templateIdEESt5tupleIJNSA_6TensorESF_SF_EERKSF_lbbbEUlllE_EE10hipError_tT0_T1_T2_jT3_P12ihipStream_tbPNSt15iterator_traitsISL_E10value_typeEPNSR_ISM_E10value_typeEPSN_NS1_7vsmem_tEENKUlT_SL_SM_SN_E_clIS8_S8_S9_S9_EESK_S10_SL_SM_SN_EUlS10_E1_NS1_11comp_targetILNS1_3genE0ELNS1_11target_archE4294967295ELNS1_3gpuE0ELNS1_3repE0EEENS1_36merge_oddeven_config_static_selectorELNS0_4arch9wavefront6targetE1EEEvSM_,comdat
.Lfunc_end774:
	.size	_ZN7rocprim17ROCPRIM_400000_NS6detail17trampoline_kernelINS0_14default_configENS1_38merge_sort_block_merge_config_selectorIlNS0_10empty_typeEEEZZNS1_27merge_sort_block_merge_implIS3_PlPS5_mZN2at6native12_GLOBAL__N_124unique_dim_cuda_templateIdEESt5tupleIJNSA_6TensorESF_SF_EERKSF_lbbbEUlllE_EE10hipError_tT0_T1_T2_jT3_P12ihipStream_tbPNSt15iterator_traitsISL_E10value_typeEPNSR_ISM_E10value_typeEPSN_NS1_7vsmem_tEENKUlT_SL_SM_SN_E_clIS8_S8_S9_S9_EESK_S10_SL_SM_SN_EUlS10_E1_NS1_11comp_targetILNS1_3genE0ELNS1_11target_archE4294967295ELNS1_3gpuE0ELNS1_3repE0EEENS1_36merge_oddeven_config_static_selectorELNS0_4arch9wavefront6targetE1EEEvSM_, .Lfunc_end774-_ZN7rocprim17ROCPRIM_400000_NS6detail17trampoline_kernelINS0_14default_configENS1_38merge_sort_block_merge_config_selectorIlNS0_10empty_typeEEEZZNS1_27merge_sort_block_merge_implIS3_PlPS5_mZN2at6native12_GLOBAL__N_124unique_dim_cuda_templateIdEESt5tupleIJNSA_6TensorESF_SF_EERKSF_lbbbEUlllE_EE10hipError_tT0_T1_T2_jT3_P12ihipStream_tbPNSt15iterator_traitsISL_E10value_typeEPNSR_ISM_E10value_typeEPSN_NS1_7vsmem_tEENKUlT_SL_SM_SN_E_clIS8_S8_S9_S9_EESK_S10_SL_SM_SN_EUlS10_E1_NS1_11comp_targetILNS1_3genE0ELNS1_11target_archE4294967295ELNS1_3gpuE0ELNS1_3repE0EEENS1_36merge_oddeven_config_static_selectorELNS0_4arch9wavefront6targetE1EEEvSM_
                                        ; -- End function
	.section	.AMDGPU.csdata,"",@progbits
; Kernel info:
; codeLenInByte = 0
; NumSgprs: 4
; NumVgprs: 0
; NumAgprs: 0
; TotalNumVgprs: 0
; ScratchSize: 0
; MemoryBound: 0
; FloatMode: 240
; IeeeMode: 1
; LDSByteSize: 0 bytes/workgroup (compile time only)
; SGPRBlocks: 0
; VGPRBlocks: 0
; NumSGPRsForWavesPerEU: 4
; NumVGPRsForWavesPerEU: 1
; AccumOffset: 4
; Occupancy: 8
; WaveLimiterHint : 0
; COMPUTE_PGM_RSRC2:SCRATCH_EN: 0
; COMPUTE_PGM_RSRC2:USER_SGPR: 6
; COMPUTE_PGM_RSRC2:TRAP_HANDLER: 0
; COMPUTE_PGM_RSRC2:TGID_X_EN: 1
; COMPUTE_PGM_RSRC2:TGID_Y_EN: 0
; COMPUTE_PGM_RSRC2:TGID_Z_EN: 0
; COMPUTE_PGM_RSRC2:TIDIG_COMP_CNT: 0
; COMPUTE_PGM_RSRC3_GFX90A:ACCUM_OFFSET: 0
; COMPUTE_PGM_RSRC3_GFX90A:TG_SPLIT: 0
	.section	.text._ZN7rocprim17ROCPRIM_400000_NS6detail17trampoline_kernelINS0_14default_configENS1_38merge_sort_block_merge_config_selectorIlNS0_10empty_typeEEEZZNS1_27merge_sort_block_merge_implIS3_PlPS5_mZN2at6native12_GLOBAL__N_124unique_dim_cuda_templateIdEESt5tupleIJNSA_6TensorESF_SF_EERKSF_lbbbEUlllE_EE10hipError_tT0_T1_T2_jT3_P12ihipStream_tbPNSt15iterator_traitsISL_E10value_typeEPNSR_ISM_E10value_typeEPSN_NS1_7vsmem_tEENKUlT_SL_SM_SN_E_clIS8_S8_S9_S9_EESK_S10_SL_SM_SN_EUlS10_E1_NS1_11comp_targetILNS1_3genE10ELNS1_11target_archE1201ELNS1_3gpuE5ELNS1_3repE0EEENS1_36merge_oddeven_config_static_selectorELNS0_4arch9wavefront6targetE1EEEvSM_,"axG",@progbits,_ZN7rocprim17ROCPRIM_400000_NS6detail17trampoline_kernelINS0_14default_configENS1_38merge_sort_block_merge_config_selectorIlNS0_10empty_typeEEEZZNS1_27merge_sort_block_merge_implIS3_PlPS5_mZN2at6native12_GLOBAL__N_124unique_dim_cuda_templateIdEESt5tupleIJNSA_6TensorESF_SF_EERKSF_lbbbEUlllE_EE10hipError_tT0_T1_T2_jT3_P12ihipStream_tbPNSt15iterator_traitsISL_E10value_typeEPNSR_ISM_E10value_typeEPSN_NS1_7vsmem_tEENKUlT_SL_SM_SN_E_clIS8_S8_S9_S9_EESK_S10_SL_SM_SN_EUlS10_E1_NS1_11comp_targetILNS1_3genE10ELNS1_11target_archE1201ELNS1_3gpuE5ELNS1_3repE0EEENS1_36merge_oddeven_config_static_selectorELNS0_4arch9wavefront6targetE1EEEvSM_,comdat
	.globl	_ZN7rocprim17ROCPRIM_400000_NS6detail17trampoline_kernelINS0_14default_configENS1_38merge_sort_block_merge_config_selectorIlNS0_10empty_typeEEEZZNS1_27merge_sort_block_merge_implIS3_PlPS5_mZN2at6native12_GLOBAL__N_124unique_dim_cuda_templateIdEESt5tupleIJNSA_6TensorESF_SF_EERKSF_lbbbEUlllE_EE10hipError_tT0_T1_T2_jT3_P12ihipStream_tbPNSt15iterator_traitsISL_E10value_typeEPNSR_ISM_E10value_typeEPSN_NS1_7vsmem_tEENKUlT_SL_SM_SN_E_clIS8_S8_S9_S9_EESK_S10_SL_SM_SN_EUlS10_E1_NS1_11comp_targetILNS1_3genE10ELNS1_11target_archE1201ELNS1_3gpuE5ELNS1_3repE0EEENS1_36merge_oddeven_config_static_selectorELNS0_4arch9wavefront6targetE1EEEvSM_ ; -- Begin function _ZN7rocprim17ROCPRIM_400000_NS6detail17trampoline_kernelINS0_14default_configENS1_38merge_sort_block_merge_config_selectorIlNS0_10empty_typeEEEZZNS1_27merge_sort_block_merge_implIS3_PlPS5_mZN2at6native12_GLOBAL__N_124unique_dim_cuda_templateIdEESt5tupleIJNSA_6TensorESF_SF_EERKSF_lbbbEUlllE_EE10hipError_tT0_T1_T2_jT3_P12ihipStream_tbPNSt15iterator_traitsISL_E10value_typeEPNSR_ISM_E10value_typeEPSN_NS1_7vsmem_tEENKUlT_SL_SM_SN_E_clIS8_S8_S9_S9_EESK_S10_SL_SM_SN_EUlS10_E1_NS1_11comp_targetILNS1_3genE10ELNS1_11target_archE1201ELNS1_3gpuE5ELNS1_3repE0EEENS1_36merge_oddeven_config_static_selectorELNS0_4arch9wavefront6targetE1EEEvSM_
	.p2align	8
	.type	_ZN7rocprim17ROCPRIM_400000_NS6detail17trampoline_kernelINS0_14default_configENS1_38merge_sort_block_merge_config_selectorIlNS0_10empty_typeEEEZZNS1_27merge_sort_block_merge_implIS3_PlPS5_mZN2at6native12_GLOBAL__N_124unique_dim_cuda_templateIdEESt5tupleIJNSA_6TensorESF_SF_EERKSF_lbbbEUlllE_EE10hipError_tT0_T1_T2_jT3_P12ihipStream_tbPNSt15iterator_traitsISL_E10value_typeEPNSR_ISM_E10value_typeEPSN_NS1_7vsmem_tEENKUlT_SL_SM_SN_E_clIS8_S8_S9_S9_EESK_S10_SL_SM_SN_EUlS10_E1_NS1_11comp_targetILNS1_3genE10ELNS1_11target_archE1201ELNS1_3gpuE5ELNS1_3repE0EEENS1_36merge_oddeven_config_static_selectorELNS0_4arch9wavefront6targetE1EEEvSM_,@function
_ZN7rocprim17ROCPRIM_400000_NS6detail17trampoline_kernelINS0_14default_configENS1_38merge_sort_block_merge_config_selectorIlNS0_10empty_typeEEEZZNS1_27merge_sort_block_merge_implIS3_PlPS5_mZN2at6native12_GLOBAL__N_124unique_dim_cuda_templateIdEESt5tupleIJNSA_6TensorESF_SF_EERKSF_lbbbEUlllE_EE10hipError_tT0_T1_T2_jT3_P12ihipStream_tbPNSt15iterator_traitsISL_E10value_typeEPNSR_ISM_E10value_typeEPSN_NS1_7vsmem_tEENKUlT_SL_SM_SN_E_clIS8_S8_S9_S9_EESK_S10_SL_SM_SN_EUlS10_E1_NS1_11comp_targetILNS1_3genE10ELNS1_11target_archE1201ELNS1_3gpuE5ELNS1_3repE0EEENS1_36merge_oddeven_config_static_selectorELNS0_4arch9wavefront6targetE1EEEvSM_: ; @_ZN7rocprim17ROCPRIM_400000_NS6detail17trampoline_kernelINS0_14default_configENS1_38merge_sort_block_merge_config_selectorIlNS0_10empty_typeEEEZZNS1_27merge_sort_block_merge_implIS3_PlPS5_mZN2at6native12_GLOBAL__N_124unique_dim_cuda_templateIdEESt5tupleIJNSA_6TensorESF_SF_EERKSF_lbbbEUlllE_EE10hipError_tT0_T1_T2_jT3_P12ihipStream_tbPNSt15iterator_traitsISL_E10value_typeEPNSR_ISM_E10value_typeEPSN_NS1_7vsmem_tEENKUlT_SL_SM_SN_E_clIS8_S8_S9_S9_EESK_S10_SL_SM_SN_EUlS10_E1_NS1_11comp_targetILNS1_3genE10ELNS1_11target_archE1201ELNS1_3gpuE5ELNS1_3repE0EEENS1_36merge_oddeven_config_static_selectorELNS0_4arch9wavefront6targetE1EEEvSM_
; %bb.0:
	.section	.rodata,"a",@progbits
	.p2align	6, 0x0
	.amdhsa_kernel _ZN7rocprim17ROCPRIM_400000_NS6detail17trampoline_kernelINS0_14default_configENS1_38merge_sort_block_merge_config_selectorIlNS0_10empty_typeEEEZZNS1_27merge_sort_block_merge_implIS3_PlPS5_mZN2at6native12_GLOBAL__N_124unique_dim_cuda_templateIdEESt5tupleIJNSA_6TensorESF_SF_EERKSF_lbbbEUlllE_EE10hipError_tT0_T1_T2_jT3_P12ihipStream_tbPNSt15iterator_traitsISL_E10value_typeEPNSR_ISM_E10value_typeEPSN_NS1_7vsmem_tEENKUlT_SL_SM_SN_E_clIS8_S8_S9_S9_EESK_S10_SL_SM_SN_EUlS10_E1_NS1_11comp_targetILNS1_3genE10ELNS1_11target_archE1201ELNS1_3gpuE5ELNS1_3repE0EEENS1_36merge_oddeven_config_static_selectorELNS0_4arch9wavefront6targetE1EEEvSM_
		.amdhsa_group_segment_fixed_size 0
		.amdhsa_private_segment_fixed_size 0
		.amdhsa_kernarg_size 64
		.amdhsa_user_sgpr_count 6
		.amdhsa_user_sgpr_private_segment_buffer 1
		.amdhsa_user_sgpr_dispatch_ptr 0
		.amdhsa_user_sgpr_queue_ptr 0
		.amdhsa_user_sgpr_kernarg_segment_ptr 1
		.amdhsa_user_sgpr_dispatch_id 0
		.amdhsa_user_sgpr_flat_scratch_init 0
		.amdhsa_user_sgpr_kernarg_preload_length 0
		.amdhsa_user_sgpr_kernarg_preload_offset 0
		.amdhsa_user_sgpr_private_segment_size 0
		.amdhsa_uses_dynamic_stack 0
		.amdhsa_system_sgpr_private_segment_wavefront_offset 0
		.amdhsa_system_sgpr_workgroup_id_x 1
		.amdhsa_system_sgpr_workgroup_id_y 0
		.amdhsa_system_sgpr_workgroup_id_z 0
		.amdhsa_system_sgpr_workgroup_info 0
		.amdhsa_system_vgpr_workitem_id 0
		.amdhsa_next_free_vgpr 1
		.amdhsa_next_free_sgpr 0
		.amdhsa_accum_offset 4
		.amdhsa_reserve_vcc 0
		.amdhsa_reserve_flat_scratch 0
		.amdhsa_float_round_mode_32 0
		.amdhsa_float_round_mode_16_64 0
		.amdhsa_float_denorm_mode_32 3
		.amdhsa_float_denorm_mode_16_64 3
		.amdhsa_dx10_clamp 1
		.amdhsa_ieee_mode 1
		.amdhsa_fp16_overflow 0
		.amdhsa_tg_split 0
		.amdhsa_exception_fp_ieee_invalid_op 0
		.amdhsa_exception_fp_denorm_src 0
		.amdhsa_exception_fp_ieee_div_zero 0
		.amdhsa_exception_fp_ieee_overflow 0
		.amdhsa_exception_fp_ieee_underflow 0
		.amdhsa_exception_fp_ieee_inexact 0
		.amdhsa_exception_int_div_zero 0
	.end_amdhsa_kernel
	.section	.text._ZN7rocprim17ROCPRIM_400000_NS6detail17trampoline_kernelINS0_14default_configENS1_38merge_sort_block_merge_config_selectorIlNS0_10empty_typeEEEZZNS1_27merge_sort_block_merge_implIS3_PlPS5_mZN2at6native12_GLOBAL__N_124unique_dim_cuda_templateIdEESt5tupleIJNSA_6TensorESF_SF_EERKSF_lbbbEUlllE_EE10hipError_tT0_T1_T2_jT3_P12ihipStream_tbPNSt15iterator_traitsISL_E10value_typeEPNSR_ISM_E10value_typeEPSN_NS1_7vsmem_tEENKUlT_SL_SM_SN_E_clIS8_S8_S9_S9_EESK_S10_SL_SM_SN_EUlS10_E1_NS1_11comp_targetILNS1_3genE10ELNS1_11target_archE1201ELNS1_3gpuE5ELNS1_3repE0EEENS1_36merge_oddeven_config_static_selectorELNS0_4arch9wavefront6targetE1EEEvSM_,"axG",@progbits,_ZN7rocprim17ROCPRIM_400000_NS6detail17trampoline_kernelINS0_14default_configENS1_38merge_sort_block_merge_config_selectorIlNS0_10empty_typeEEEZZNS1_27merge_sort_block_merge_implIS3_PlPS5_mZN2at6native12_GLOBAL__N_124unique_dim_cuda_templateIdEESt5tupleIJNSA_6TensorESF_SF_EERKSF_lbbbEUlllE_EE10hipError_tT0_T1_T2_jT3_P12ihipStream_tbPNSt15iterator_traitsISL_E10value_typeEPNSR_ISM_E10value_typeEPSN_NS1_7vsmem_tEENKUlT_SL_SM_SN_E_clIS8_S8_S9_S9_EESK_S10_SL_SM_SN_EUlS10_E1_NS1_11comp_targetILNS1_3genE10ELNS1_11target_archE1201ELNS1_3gpuE5ELNS1_3repE0EEENS1_36merge_oddeven_config_static_selectorELNS0_4arch9wavefront6targetE1EEEvSM_,comdat
.Lfunc_end775:
	.size	_ZN7rocprim17ROCPRIM_400000_NS6detail17trampoline_kernelINS0_14default_configENS1_38merge_sort_block_merge_config_selectorIlNS0_10empty_typeEEEZZNS1_27merge_sort_block_merge_implIS3_PlPS5_mZN2at6native12_GLOBAL__N_124unique_dim_cuda_templateIdEESt5tupleIJNSA_6TensorESF_SF_EERKSF_lbbbEUlllE_EE10hipError_tT0_T1_T2_jT3_P12ihipStream_tbPNSt15iterator_traitsISL_E10value_typeEPNSR_ISM_E10value_typeEPSN_NS1_7vsmem_tEENKUlT_SL_SM_SN_E_clIS8_S8_S9_S9_EESK_S10_SL_SM_SN_EUlS10_E1_NS1_11comp_targetILNS1_3genE10ELNS1_11target_archE1201ELNS1_3gpuE5ELNS1_3repE0EEENS1_36merge_oddeven_config_static_selectorELNS0_4arch9wavefront6targetE1EEEvSM_, .Lfunc_end775-_ZN7rocprim17ROCPRIM_400000_NS6detail17trampoline_kernelINS0_14default_configENS1_38merge_sort_block_merge_config_selectorIlNS0_10empty_typeEEEZZNS1_27merge_sort_block_merge_implIS3_PlPS5_mZN2at6native12_GLOBAL__N_124unique_dim_cuda_templateIdEESt5tupleIJNSA_6TensorESF_SF_EERKSF_lbbbEUlllE_EE10hipError_tT0_T1_T2_jT3_P12ihipStream_tbPNSt15iterator_traitsISL_E10value_typeEPNSR_ISM_E10value_typeEPSN_NS1_7vsmem_tEENKUlT_SL_SM_SN_E_clIS8_S8_S9_S9_EESK_S10_SL_SM_SN_EUlS10_E1_NS1_11comp_targetILNS1_3genE10ELNS1_11target_archE1201ELNS1_3gpuE5ELNS1_3repE0EEENS1_36merge_oddeven_config_static_selectorELNS0_4arch9wavefront6targetE1EEEvSM_
                                        ; -- End function
	.section	.AMDGPU.csdata,"",@progbits
; Kernel info:
; codeLenInByte = 0
; NumSgprs: 4
; NumVgprs: 0
; NumAgprs: 0
; TotalNumVgprs: 0
; ScratchSize: 0
; MemoryBound: 0
; FloatMode: 240
; IeeeMode: 1
; LDSByteSize: 0 bytes/workgroup (compile time only)
; SGPRBlocks: 0
; VGPRBlocks: 0
; NumSGPRsForWavesPerEU: 4
; NumVGPRsForWavesPerEU: 1
; AccumOffset: 4
; Occupancy: 8
; WaveLimiterHint : 0
; COMPUTE_PGM_RSRC2:SCRATCH_EN: 0
; COMPUTE_PGM_RSRC2:USER_SGPR: 6
; COMPUTE_PGM_RSRC2:TRAP_HANDLER: 0
; COMPUTE_PGM_RSRC2:TGID_X_EN: 1
; COMPUTE_PGM_RSRC2:TGID_Y_EN: 0
; COMPUTE_PGM_RSRC2:TGID_Z_EN: 0
; COMPUTE_PGM_RSRC2:TIDIG_COMP_CNT: 0
; COMPUTE_PGM_RSRC3_GFX90A:ACCUM_OFFSET: 0
; COMPUTE_PGM_RSRC3_GFX90A:TG_SPLIT: 0
	.section	.text._ZN7rocprim17ROCPRIM_400000_NS6detail17trampoline_kernelINS0_14default_configENS1_38merge_sort_block_merge_config_selectorIlNS0_10empty_typeEEEZZNS1_27merge_sort_block_merge_implIS3_PlPS5_mZN2at6native12_GLOBAL__N_124unique_dim_cuda_templateIdEESt5tupleIJNSA_6TensorESF_SF_EERKSF_lbbbEUlllE_EE10hipError_tT0_T1_T2_jT3_P12ihipStream_tbPNSt15iterator_traitsISL_E10value_typeEPNSR_ISM_E10value_typeEPSN_NS1_7vsmem_tEENKUlT_SL_SM_SN_E_clIS8_S8_S9_S9_EESK_S10_SL_SM_SN_EUlS10_E1_NS1_11comp_targetILNS1_3genE5ELNS1_11target_archE942ELNS1_3gpuE9ELNS1_3repE0EEENS1_36merge_oddeven_config_static_selectorELNS0_4arch9wavefront6targetE1EEEvSM_,"axG",@progbits,_ZN7rocprim17ROCPRIM_400000_NS6detail17trampoline_kernelINS0_14default_configENS1_38merge_sort_block_merge_config_selectorIlNS0_10empty_typeEEEZZNS1_27merge_sort_block_merge_implIS3_PlPS5_mZN2at6native12_GLOBAL__N_124unique_dim_cuda_templateIdEESt5tupleIJNSA_6TensorESF_SF_EERKSF_lbbbEUlllE_EE10hipError_tT0_T1_T2_jT3_P12ihipStream_tbPNSt15iterator_traitsISL_E10value_typeEPNSR_ISM_E10value_typeEPSN_NS1_7vsmem_tEENKUlT_SL_SM_SN_E_clIS8_S8_S9_S9_EESK_S10_SL_SM_SN_EUlS10_E1_NS1_11comp_targetILNS1_3genE5ELNS1_11target_archE942ELNS1_3gpuE9ELNS1_3repE0EEENS1_36merge_oddeven_config_static_selectorELNS0_4arch9wavefront6targetE1EEEvSM_,comdat
	.globl	_ZN7rocprim17ROCPRIM_400000_NS6detail17trampoline_kernelINS0_14default_configENS1_38merge_sort_block_merge_config_selectorIlNS0_10empty_typeEEEZZNS1_27merge_sort_block_merge_implIS3_PlPS5_mZN2at6native12_GLOBAL__N_124unique_dim_cuda_templateIdEESt5tupleIJNSA_6TensorESF_SF_EERKSF_lbbbEUlllE_EE10hipError_tT0_T1_T2_jT3_P12ihipStream_tbPNSt15iterator_traitsISL_E10value_typeEPNSR_ISM_E10value_typeEPSN_NS1_7vsmem_tEENKUlT_SL_SM_SN_E_clIS8_S8_S9_S9_EESK_S10_SL_SM_SN_EUlS10_E1_NS1_11comp_targetILNS1_3genE5ELNS1_11target_archE942ELNS1_3gpuE9ELNS1_3repE0EEENS1_36merge_oddeven_config_static_selectorELNS0_4arch9wavefront6targetE1EEEvSM_ ; -- Begin function _ZN7rocprim17ROCPRIM_400000_NS6detail17trampoline_kernelINS0_14default_configENS1_38merge_sort_block_merge_config_selectorIlNS0_10empty_typeEEEZZNS1_27merge_sort_block_merge_implIS3_PlPS5_mZN2at6native12_GLOBAL__N_124unique_dim_cuda_templateIdEESt5tupleIJNSA_6TensorESF_SF_EERKSF_lbbbEUlllE_EE10hipError_tT0_T1_T2_jT3_P12ihipStream_tbPNSt15iterator_traitsISL_E10value_typeEPNSR_ISM_E10value_typeEPSN_NS1_7vsmem_tEENKUlT_SL_SM_SN_E_clIS8_S8_S9_S9_EESK_S10_SL_SM_SN_EUlS10_E1_NS1_11comp_targetILNS1_3genE5ELNS1_11target_archE942ELNS1_3gpuE9ELNS1_3repE0EEENS1_36merge_oddeven_config_static_selectorELNS0_4arch9wavefront6targetE1EEEvSM_
	.p2align	8
	.type	_ZN7rocprim17ROCPRIM_400000_NS6detail17trampoline_kernelINS0_14default_configENS1_38merge_sort_block_merge_config_selectorIlNS0_10empty_typeEEEZZNS1_27merge_sort_block_merge_implIS3_PlPS5_mZN2at6native12_GLOBAL__N_124unique_dim_cuda_templateIdEESt5tupleIJNSA_6TensorESF_SF_EERKSF_lbbbEUlllE_EE10hipError_tT0_T1_T2_jT3_P12ihipStream_tbPNSt15iterator_traitsISL_E10value_typeEPNSR_ISM_E10value_typeEPSN_NS1_7vsmem_tEENKUlT_SL_SM_SN_E_clIS8_S8_S9_S9_EESK_S10_SL_SM_SN_EUlS10_E1_NS1_11comp_targetILNS1_3genE5ELNS1_11target_archE942ELNS1_3gpuE9ELNS1_3repE0EEENS1_36merge_oddeven_config_static_selectorELNS0_4arch9wavefront6targetE1EEEvSM_,@function
_ZN7rocprim17ROCPRIM_400000_NS6detail17trampoline_kernelINS0_14default_configENS1_38merge_sort_block_merge_config_selectorIlNS0_10empty_typeEEEZZNS1_27merge_sort_block_merge_implIS3_PlPS5_mZN2at6native12_GLOBAL__N_124unique_dim_cuda_templateIdEESt5tupleIJNSA_6TensorESF_SF_EERKSF_lbbbEUlllE_EE10hipError_tT0_T1_T2_jT3_P12ihipStream_tbPNSt15iterator_traitsISL_E10value_typeEPNSR_ISM_E10value_typeEPSN_NS1_7vsmem_tEENKUlT_SL_SM_SN_E_clIS8_S8_S9_S9_EESK_S10_SL_SM_SN_EUlS10_E1_NS1_11comp_targetILNS1_3genE5ELNS1_11target_archE942ELNS1_3gpuE9ELNS1_3repE0EEENS1_36merge_oddeven_config_static_selectorELNS0_4arch9wavefront6targetE1EEEvSM_: ; @_ZN7rocprim17ROCPRIM_400000_NS6detail17trampoline_kernelINS0_14default_configENS1_38merge_sort_block_merge_config_selectorIlNS0_10empty_typeEEEZZNS1_27merge_sort_block_merge_implIS3_PlPS5_mZN2at6native12_GLOBAL__N_124unique_dim_cuda_templateIdEESt5tupleIJNSA_6TensorESF_SF_EERKSF_lbbbEUlllE_EE10hipError_tT0_T1_T2_jT3_P12ihipStream_tbPNSt15iterator_traitsISL_E10value_typeEPNSR_ISM_E10value_typeEPSN_NS1_7vsmem_tEENKUlT_SL_SM_SN_E_clIS8_S8_S9_S9_EESK_S10_SL_SM_SN_EUlS10_E1_NS1_11comp_targetILNS1_3genE5ELNS1_11target_archE942ELNS1_3gpuE9ELNS1_3repE0EEENS1_36merge_oddeven_config_static_selectorELNS0_4arch9wavefront6targetE1EEEvSM_
; %bb.0:
	.section	.rodata,"a",@progbits
	.p2align	6, 0x0
	.amdhsa_kernel _ZN7rocprim17ROCPRIM_400000_NS6detail17trampoline_kernelINS0_14default_configENS1_38merge_sort_block_merge_config_selectorIlNS0_10empty_typeEEEZZNS1_27merge_sort_block_merge_implIS3_PlPS5_mZN2at6native12_GLOBAL__N_124unique_dim_cuda_templateIdEESt5tupleIJNSA_6TensorESF_SF_EERKSF_lbbbEUlllE_EE10hipError_tT0_T1_T2_jT3_P12ihipStream_tbPNSt15iterator_traitsISL_E10value_typeEPNSR_ISM_E10value_typeEPSN_NS1_7vsmem_tEENKUlT_SL_SM_SN_E_clIS8_S8_S9_S9_EESK_S10_SL_SM_SN_EUlS10_E1_NS1_11comp_targetILNS1_3genE5ELNS1_11target_archE942ELNS1_3gpuE9ELNS1_3repE0EEENS1_36merge_oddeven_config_static_selectorELNS0_4arch9wavefront6targetE1EEEvSM_
		.amdhsa_group_segment_fixed_size 0
		.amdhsa_private_segment_fixed_size 0
		.amdhsa_kernarg_size 64
		.amdhsa_user_sgpr_count 6
		.amdhsa_user_sgpr_private_segment_buffer 1
		.amdhsa_user_sgpr_dispatch_ptr 0
		.amdhsa_user_sgpr_queue_ptr 0
		.amdhsa_user_sgpr_kernarg_segment_ptr 1
		.amdhsa_user_sgpr_dispatch_id 0
		.amdhsa_user_sgpr_flat_scratch_init 0
		.amdhsa_user_sgpr_kernarg_preload_length 0
		.amdhsa_user_sgpr_kernarg_preload_offset 0
		.amdhsa_user_sgpr_private_segment_size 0
		.amdhsa_uses_dynamic_stack 0
		.amdhsa_system_sgpr_private_segment_wavefront_offset 0
		.amdhsa_system_sgpr_workgroup_id_x 1
		.amdhsa_system_sgpr_workgroup_id_y 0
		.amdhsa_system_sgpr_workgroup_id_z 0
		.amdhsa_system_sgpr_workgroup_info 0
		.amdhsa_system_vgpr_workitem_id 0
		.amdhsa_next_free_vgpr 1
		.amdhsa_next_free_sgpr 0
		.amdhsa_accum_offset 4
		.amdhsa_reserve_vcc 0
		.amdhsa_reserve_flat_scratch 0
		.amdhsa_float_round_mode_32 0
		.amdhsa_float_round_mode_16_64 0
		.amdhsa_float_denorm_mode_32 3
		.amdhsa_float_denorm_mode_16_64 3
		.amdhsa_dx10_clamp 1
		.amdhsa_ieee_mode 1
		.amdhsa_fp16_overflow 0
		.amdhsa_tg_split 0
		.amdhsa_exception_fp_ieee_invalid_op 0
		.amdhsa_exception_fp_denorm_src 0
		.amdhsa_exception_fp_ieee_div_zero 0
		.amdhsa_exception_fp_ieee_overflow 0
		.amdhsa_exception_fp_ieee_underflow 0
		.amdhsa_exception_fp_ieee_inexact 0
		.amdhsa_exception_int_div_zero 0
	.end_amdhsa_kernel
	.section	.text._ZN7rocprim17ROCPRIM_400000_NS6detail17trampoline_kernelINS0_14default_configENS1_38merge_sort_block_merge_config_selectorIlNS0_10empty_typeEEEZZNS1_27merge_sort_block_merge_implIS3_PlPS5_mZN2at6native12_GLOBAL__N_124unique_dim_cuda_templateIdEESt5tupleIJNSA_6TensorESF_SF_EERKSF_lbbbEUlllE_EE10hipError_tT0_T1_T2_jT3_P12ihipStream_tbPNSt15iterator_traitsISL_E10value_typeEPNSR_ISM_E10value_typeEPSN_NS1_7vsmem_tEENKUlT_SL_SM_SN_E_clIS8_S8_S9_S9_EESK_S10_SL_SM_SN_EUlS10_E1_NS1_11comp_targetILNS1_3genE5ELNS1_11target_archE942ELNS1_3gpuE9ELNS1_3repE0EEENS1_36merge_oddeven_config_static_selectorELNS0_4arch9wavefront6targetE1EEEvSM_,"axG",@progbits,_ZN7rocprim17ROCPRIM_400000_NS6detail17trampoline_kernelINS0_14default_configENS1_38merge_sort_block_merge_config_selectorIlNS0_10empty_typeEEEZZNS1_27merge_sort_block_merge_implIS3_PlPS5_mZN2at6native12_GLOBAL__N_124unique_dim_cuda_templateIdEESt5tupleIJNSA_6TensorESF_SF_EERKSF_lbbbEUlllE_EE10hipError_tT0_T1_T2_jT3_P12ihipStream_tbPNSt15iterator_traitsISL_E10value_typeEPNSR_ISM_E10value_typeEPSN_NS1_7vsmem_tEENKUlT_SL_SM_SN_E_clIS8_S8_S9_S9_EESK_S10_SL_SM_SN_EUlS10_E1_NS1_11comp_targetILNS1_3genE5ELNS1_11target_archE942ELNS1_3gpuE9ELNS1_3repE0EEENS1_36merge_oddeven_config_static_selectorELNS0_4arch9wavefront6targetE1EEEvSM_,comdat
.Lfunc_end776:
	.size	_ZN7rocprim17ROCPRIM_400000_NS6detail17trampoline_kernelINS0_14default_configENS1_38merge_sort_block_merge_config_selectorIlNS0_10empty_typeEEEZZNS1_27merge_sort_block_merge_implIS3_PlPS5_mZN2at6native12_GLOBAL__N_124unique_dim_cuda_templateIdEESt5tupleIJNSA_6TensorESF_SF_EERKSF_lbbbEUlllE_EE10hipError_tT0_T1_T2_jT3_P12ihipStream_tbPNSt15iterator_traitsISL_E10value_typeEPNSR_ISM_E10value_typeEPSN_NS1_7vsmem_tEENKUlT_SL_SM_SN_E_clIS8_S8_S9_S9_EESK_S10_SL_SM_SN_EUlS10_E1_NS1_11comp_targetILNS1_3genE5ELNS1_11target_archE942ELNS1_3gpuE9ELNS1_3repE0EEENS1_36merge_oddeven_config_static_selectorELNS0_4arch9wavefront6targetE1EEEvSM_, .Lfunc_end776-_ZN7rocprim17ROCPRIM_400000_NS6detail17trampoline_kernelINS0_14default_configENS1_38merge_sort_block_merge_config_selectorIlNS0_10empty_typeEEEZZNS1_27merge_sort_block_merge_implIS3_PlPS5_mZN2at6native12_GLOBAL__N_124unique_dim_cuda_templateIdEESt5tupleIJNSA_6TensorESF_SF_EERKSF_lbbbEUlllE_EE10hipError_tT0_T1_T2_jT3_P12ihipStream_tbPNSt15iterator_traitsISL_E10value_typeEPNSR_ISM_E10value_typeEPSN_NS1_7vsmem_tEENKUlT_SL_SM_SN_E_clIS8_S8_S9_S9_EESK_S10_SL_SM_SN_EUlS10_E1_NS1_11comp_targetILNS1_3genE5ELNS1_11target_archE942ELNS1_3gpuE9ELNS1_3repE0EEENS1_36merge_oddeven_config_static_selectorELNS0_4arch9wavefront6targetE1EEEvSM_
                                        ; -- End function
	.section	.AMDGPU.csdata,"",@progbits
; Kernel info:
; codeLenInByte = 0
; NumSgprs: 4
; NumVgprs: 0
; NumAgprs: 0
; TotalNumVgprs: 0
; ScratchSize: 0
; MemoryBound: 0
; FloatMode: 240
; IeeeMode: 1
; LDSByteSize: 0 bytes/workgroup (compile time only)
; SGPRBlocks: 0
; VGPRBlocks: 0
; NumSGPRsForWavesPerEU: 4
; NumVGPRsForWavesPerEU: 1
; AccumOffset: 4
; Occupancy: 8
; WaveLimiterHint : 0
; COMPUTE_PGM_RSRC2:SCRATCH_EN: 0
; COMPUTE_PGM_RSRC2:USER_SGPR: 6
; COMPUTE_PGM_RSRC2:TRAP_HANDLER: 0
; COMPUTE_PGM_RSRC2:TGID_X_EN: 1
; COMPUTE_PGM_RSRC2:TGID_Y_EN: 0
; COMPUTE_PGM_RSRC2:TGID_Z_EN: 0
; COMPUTE_PGM_RSRC2:TIDIG_COMP_CNT: 0
; COMPUTE_PGM_RSRC3_GFX90A:ACCUM_OFFSET: 0
; COMPUTE_PGM_RSRC3_GFX90A:TG_SPLIT: 0
	.section	.text._ZN7rocprim17ROCPRIM_400000_NS6detail17trampoline_kernelINS0_14default_configENS1_38merge_sort_block_merge_config_selectorIlNS0_10empty_typeEEEZZNS1_27merge_sort_block_merge_implIS3_PlPS5_mZN2at6native12_GLOBAL__N_124unique_dim_cuda_templateIdEESt5tupleIJNSA_6TensorESF_SF_EERKSF_lbbbEUlllE_EE10hipError_tT0_T1_T2_jT3_P12ihipStream_tbPNSt15iterator_traitsISL_E10value_typeEPNSR_ISM_E10value_typeEPSN_NS1_7vsmem_tEENKUlT_SL_SM_SN_E_clIS8_S8_S9_S9_EESK_S10_SL_SM_SN_EUlS10_E1_NS1_11comp_targetILNS1_3genE4ELNS1_11target_archE910ELNS1_3gpuE8ELNS1_3repE0EEENS1_36merge_oddeven_config_static_selectorELNS0_4arch9wavefront6targetE1EEEvSM_,"axG",@progbits,_ZN7rocprim17ROCPRIM_400000_NS6detail17trampoline_kernelINS0_14default_configENS1_38merge_sort_block_merge_config_selectorIlNS0_10empty_typeEEEZZNS1_27merge_sort_block_merge_implIS3_PlPS5_mZN2at6native12_GLOBAL__N_124unique_dim_cuda_templateIdEESt5tupleIJNSA_6TensorESF_SF_EERKSF_lbbbEUlllE_EE10hipError_tT0_T1_T2_jT3_P12ihipStream_tbPNSt15iterator_traitsISL_E10value_typeEPNSR_ISM_E10value_typeEPSN_NS1_7vsmem_tEENKUlT_SL_SM_SN_E_clIS8_S8_S9_S9_EESK_S10_SL_SM_SN_EUlS10_E1_NS1_11comp_targetILNS1_3genE4ELNS1_11target_archE910ELNS1_3gpuE8ELNS1_3repE0EEENS1_36merge_oddeven_config_static_selectorELNS0_4arch9wavefront6targetE1EEEvSM_,comdat
	.globl	_ZN7rocprim17ROCPRIM_400000_NS6detail17trampoline_kernelINS0_14default_configENS1_38merge_sort_block_merge_config_selectorIlNS0_10empty_typeEEEZZNS1_27merge_sort_block_merge_implIS3_PlPS5_mZN2at6native12_GLOBAL__N_124unique_dim_cuda_templateIdEESt5tupleIJNSA_6TensorESF_SF_EERKSF_lbbbEUlllE_EE10hipError_tT0_T1_T2_jT3_P12ihipStream_tbPNSt15iterator_traitsISL_E10value_typeEPNSR_ISM_E10value_typeEPSN_NS1_7vsmem_tEENKUlT_SL_SM_SN_E_clIS8_S8_S9_S9_EESK_S10_SL_SM_SN_EUlS10_E1_NS1_11comp_targetILNS1_3genE4ELNS1_11target_archE910ELNS1_3gpuE8ELNS1_3repE0EEENS1_36merge_oddeven_config_static_selectorELNS0_4arch9wavefront6targetE1EEEvSM_ ; -- Begin function _ZN7rocprim17ROCPRIM_400000_NS6detail17trampoline_kernelINS0_14default_configENS1_38merge_sort_block_merge_config_selectorIlNS0_10empty_typeEEEZZNS1_27merge_sort_block_merge_implIS3_PlPS5_mZN2at6native12_GLOBAL__N_124unique_dim_cuda_templateIdEESt5tupleIJNSA_6TensorESF_SF_EERKSF_lbbbEUlllE_EE10hipError_tT0_T1_T2_jT3_P12ihipStream_tbPNSt15iterator_traitsISL_E10value_typeEPNSR_ISM_E10value_typeEPSN_NS1_7vsmem_tEENKUlT_SL_SM_SN_E_clIS8_S8_S9_S9_EESK_S10_SL_SM_SN_EUlS10_E1_NS1_11comp_targetILNS1_3genE4ELNS1_11target_archE910ELNS1_3gpuE8ELNS1_3repE0EEENS1_36merge_oddeven_config_static_selectorELNS0_4arch9wavefront6targetE1EEEvSM_
	.p2align	8
	.type	_ZN7rocprim17ROCPRIM_400000_NS6detail17trampoline_kernelINS0_14default_configENS1_38merge_sort_block_merge_config_selectorIlNS0_10empty_typeEEEZZNS1_27merge_sort_block_merge_implIS3_PlPS5_mZN2at6native12_GLOBAL__N_124unique_dim_cuda_templateIdEESt5tupleIJNSA_6TensorESF_SF_EERKSF_lbbbEUlllE_EE10hipError_tT0_T1_T2_jT3_P12ihipStream_tbPNSt15iterator_traitsISL_E10value_typeEPNSR_ISM_E10value_typeEPSN_NS1_7vsmem_tEENKUlT_SL_SM_SN_E_clIS8_S8_S9_S9_EESK_S10_SL_SM_SN_EUlS10_E1_NS1_11comp_targetILNS1_3genE4ELNS1_11target_archE910ELNS1_3gpuE8ELNS1_3repE0EEENS1_36merge_oddeven_config_static_selectorELNS0_4arch9wavefront6targetE1EEEvSM_,@function
_ZN7rocprim17ROCPRIM_400000_NS6detail17trampoline_kernelINS0_14default_configENS1_38merge_sort_block_merge_config_selectorIlNS0_10empty_typeEEEZZNS1_27merge_sort_block_merge_implIS3_PlPS5_mZN2at6native12_GLOBAL__N_124unique_dim_cuda_templateIdEESt5tupleIJNSA_6TensorESF_SF_EERKSF_lbbbEUlllE_EE10hipError_tT0_T1_T2_jT3_P12ihipStream_tbPNSt15iterator_traitsISL_E10value_typeEPNSR_ISM_E10value_typeEPSN_NS1_7vsmem_tEENKUlT_SL_SM_SN_E_clIS8_S8_S9_S9_EESK_S10_SL_SM_SN_EUlS10_E1_NS1_11comp_targetILNS1_3genE4ELNS1_11target_archE910ELNS1_3gpuE8ELNS1_3repE0EEENS1_36merge_oddeven_config_static_selectorELNS0_4arch9wavefront6targetE1EEEvSM_: ; @_ZN7rocprim17ROCPRIM_400000_NS6detail17trampoline_kernelINS0_14default_configENS1_38merge_sort_block_merge_config_selectorIlNS0_10empty_typeEEEZZNS1_27merge_sort_block_merge_implIS3_PlPS5_mZN2at6native12_GLOBAL__N_124unique_dim_cuda_templateIdEESt5tupleIJNSA_6TensorESF_SF_EERKSF_lbbbEUlllE_EE10hipError_tT0_T1_T2_jT3_P12ihipStream_tbPNSt15iterator_traitsISL_E10value_typeEPNSR_ISM_E10value_typeEPSN_NS1_7vsmem_tEENKUlT_SL_SM_SN_E_clIS8_S8_S9_S9_EESK_S10_SL_SM_SN_EUlS10_E1_NS1_11comp_targetILNS1_3genE4ELNS1_11target_archE910ELNS1_3gpuE8ELNS1_3repE0EEENS1_36merge_oddeven_config_static_selectorELNS0_4arch9wavefront6targetE1EEEvSM_
; %bb.0:
	s_load_dword s22, s[4:5], 0x20
	s_waitcnt lgkmcnt(0)
	s_lshr_b32 s0, s22, 8
	s_cmp_lg_u32 s6, s0
	s_cselect_b64 s[12:13], -1, 0
	s_cmp_eq_u32 s6, s0
	s_cselect_b64 s[2:3], -1, 0
	s_lshl_b32 s20, s6, 8
	s_sub_i32 s0, s22, s20
	v_cmp_gt_u32_e64 s[0:1], s0, v0
	s_or_b64 s[8:9], s[12:13], s[0:1]
	s_and_saveexec_b64 s[10:11], s[8:9]
	s_cbranch_execz .LBB777_54
; %bb.1:
	s_load_dwordx4 s[8:11], s[4:5], 0x0
	s_load_dword s23, s[4:5], 0x28
	s_mov_b32 s21, 0
	s_lshl_b64 s[14:15], s[20:21], 3
	v_lshlrev_b32_e32 v1, 3, v0
	s_waitcnt lgkmcnt(0)
	s_add_u32 s14, s8, s14
	s_addc_u32 s15, s9, s15
	global_load_dwordx2 v[2:3], v1, s[14:15]
	s_lshr_b32 s7, s23, 8
	s_sub_i32 s14, 0, s7
	s_and_b32 s6, s6, s14
	s_and_b32 s7, s6, s7
	s_cmp_lg_u32 s7, 0
	s_cselect_b64 s[16:17], -1, 0
	s_lshl_b32 s21, s6, 8
	s_sub_i32 s6, 0, s23
	s_cmp_eq_u32 s7, 0
	s_cselect_b32 s33, s23, s6
	s_add_i32 s33, s33, s21
	s_cmp_lt_u32 s33, s22
	s_cbranch_scc1 .LBB777_3
; %bb.2:
	v_add_u32_e32 v4, s20, v0
	v_cmp_gt_u32_e32 vcc, s22, v4
	s_or_b64 s[12:13], vcc, s[12:13]
	s_and_b64 s[18:19], s[12:13], exec
	s_cbranch_execz .LBB777_4
	s_branch .LBB777_52
.LBB777_3:
	s_mov_b64 s[18:19], 0
                                        ; implicit-def: $vgpr4
.LBB777_4:
	s_load_dwordx4 s[12:15], s[4:5], 0x30
	s_min_u32 s44, s33, s22
	s_add_i32 s4, s44, s23
	s_min_u32 s45, s4, s22
	s_min_u32 s4, s21, s44
	v_add_u32_e32 v0, s20, v0
	s_add_i32 s21, s21, s44
	v_subrev_u32_e32 v0, s21, v0
	v_add_u32_e32 v12, s4, v0
	s_and_b64 vcc, exec, s[2:3]
	s_cbranch_vccz .LBB777_26
; %bb.5:
                                        ; implicit-def: $vgpr4
	s_and_saveexec_b64 s[20:21], s[0:1]
	s_cbranch_execz .LBB777_29
; %bb.6:
	s_cmp_ge_u32 s33, s45
	v_mov_b32_e32 v13, s44
	s_cbranch_scc1 .LBB777_28
; %bb.7:
	s_waitcnt vmcnt(0) lgkmcnt(0)
	v_mul_lo_u32 v4, v3, s12
	v_mul_lo_u32 v5, v2, s13
	v_mad_u64_u32 v[0:1], s[0:1], v2, s12, 0
	v_add3_u32 v1, v1, v5, v4
	v_lshlrev_b64 v[0:1], 3, v[0:1]
	v_mov_b32_e32 v4, s15
	v_add_co_u32_e32 v0, vcc, s14, v0
	v_addc_co_u32_e32 v1, vcc, v4, v1, vcc
	v_cndmask_b32_e64 v4, 0, 1, s[16:17]
	v_cmp_gt_i64_e64 s[2:3], s[12:13], 0
	v_cmp_ne_u32_e64 s[0:1], 1, v4
	v_cndmask_b32_e64 v4, 0, 1, s[2:3]
	s_mov_b64 s[22:23], 0
	s_lshl_b64 s[24:25], s[12:13], 3
	v_mov_b32_e32 v14, s45
	v_mov_b32_e32 v13, s44
	;; [unrolled: 1-line block ×4, first 2 shown]
	v_cmp_ne_u32_e64 s[2:3], 1, v4
	s_branch .LBB777_10
.LBB777_8:                              ;   in Loop: Header=BB777_10 Depth=1
	s_or_b64 exec, exec, s[28:29]
.LBB777_9:                              ;   in Loop: Header=BB777_10 Depth=1
	s_waitcnt vmcnt(0)
	v_add_u32_e32 v6, 1, v4
	v_cndmask_b32_e64 v14, v4, v14, s[26:27]
	v_cndmask_b32_e64 v13, v13, v6, s[26:27]
	v_cmp_ge_u32_e32 vcc, v13, v14
	s_or_b64 s[22:23], vcc, s[22:23]
	s_andn2_b64 exec, exec, s[22:23]
	s_cbranch_execz .LBB777_27
.LBB777_10:                             ; =>This Loop Header: Depth=1
                                        ;     Child Loop BB777_14 Depth 2
                                        ;     Child Loop BB777_23 Depth 2
	v_add_u32_e32 v4, v13, v14
	v_lshrrev_b32_e32 v4, 1, v4
	v_lshlrev_b64 v[6:7], 3, v[4:5]
	v_add_co_u32_e32 v6, vcc, s8, v6
	v_addc_co_u32_e32 v7, vcc, v15, v7, vcc
	global_load_dwordx2 v[6:7], v[6:7], off
	s_and_b64 vcc, exec, s[0:1]
	s_mov_b64 s[4:5], -1
                                        ; implicit-def: $sgpr26_sgpr27
	s_cbranch_vccnz .LBB777_19
; %bb.11:                               ;   in Loop: Header=BB777_10 Depth=1
	s_and_b64 vcc, exec, s[2:3]
	s_cbranch_vccnz .LBB777_17
; %bb.12:                               ;   in Loop: Header=BB777_10 Depth=1
	v_pk_mov_b32 v[8:9], s[14:15], s[14:15] op_sel:[0,1]
	s_waitcnt vmcnt(0)
	v_mad_u64_u32 v[8:9], s[4:5], s24, v6, v[8:9]
	v_mul_lo_u32 v10, s24, v7
	v_mul_lo_u32 v11, s25, v6
	v_add3_u32 v9, v11, v9, v10
	s_mov_b64 s[28:29], 0
	s_mov_b64 s[36:37], s[12:13]
	v_pk_mov_b32 v[10:11], v[0:1], v[0:1] op_sel:[0,1]
                                        ; implicit-def: $sgpr26_sgpr27
                                        ; implicit-def: $sgpr30_sgpr31
                                        ; implicit-def: $sgpr34_sgpr35
                                        ; implicit-def: $sgpr4_sgpr5
                                        ; implicit-def: $sgpr38_sgpr39
	s_branch .LBB777_14
.LBB777_13:                             ;   in Loop: Header=BB777_14 Depth=2
	s_or_b64 exec, exec, s[40:41]
	s_and_b64 s[6:7], exec, s[30:31]
	s_or_b64 s[28:29], s[6:7], s[28:29]
	s_andn2_b64 s[6:7], s[38:39], exec
	s_and_b64 s[38:39], s[34:35], exec
	s_or_b64 s[38:39], s[6:7], s[38:39]
	s_andn2_b64 s[6:7], s[26:27], exec
	s_and_b64 s[26:27], s[4:5], exec
	s_or_b64 s[26:27], s[6:7], s[26:27]
	s_andn2_b64 exec, exec, s[28:29]
	s_cbranch_execz .LBB777_16
.LBB777_14:                             ;   Parent Loop BB777_10 Depth=1
                                        ; =>  This Inner Loop Header: Depth=2
	global_load_dwordx2 v[16:17], v[10:11], off
	global_load_dwordx2 v[18:19], v[8:9], off
	s_andn2_b64 s[40:41], s[4:5], exec
	s_andn2_b64 s[34:35], s[34:35], exec
	s_or_b64 s[30:31], s[30:31], exec
	s_waitcnt vmcnt(0)
	v_cmp_ngt_f64_e64 s[4:5], v[16:17], v[18:19]
	v_cmp_lt_f64_e32 vcc, v[16:17], v[18:19]
	s_and_b64 s[4:5], s[4:5], s[38:39]
	s_or_b64 s[42:43], vcc, s[4:5]
	s_and_b64 s[4:5], s[42:43], exec
	v_cmp_nlg_f64_e64 s[6:7], v[16:17], v[18:19]
	s_or_b64 s[4:5], s[40:41], s[4:5]
	s_and_saveexec_b64 s[40:41], s[6:7]
	s_cbranch_execz .LBB777_13
; %bb.15:                               ;   in Loop: Header=BB777_14 Depth=2
	s_add_u32 s36, s36, -1
	s_addc_u32 s37, s37, -1
	v_add_co_u32_e32 v10, vcc, 8, v10
	s_cmp_eq_u64 s[36:37], 0
	v_addc_co_u32_e32 v11, vcc, 0, v11, vcc
	s_cselect_b64 s[6:7], -1, 0
	v_add_co_u32_e32 v8, vcc, 8, v8
	s_andn2_b64 s[34:35], s[34:35], exec
	s_and_b64 s[38:39], s[42:43], exec
	s_andn2_b64 s[30:31], s[30:31], exec
	s_and_b64 s[6:7], s[6:7], exec
	v_addc_co_u32_e32 v9, vcc, 0, v9, vcc
	s_andn2_b64 s[4:5], s[4:5], exec
	s_or_b64 s[34:35], s[34:35], s[38:39]
	s_or_b64 s[30:31], s[30:31], s[6:7]
                                        ; implicit-def: $sgpr38_sgpr39
	s_branch .LBB777_13
.LBB777_16:                             ;   in Loop: Header=BB777_10 Depth=1
	s_or_b64 exec, exec, s[28:29]
	s_branch .LBB777_18
.LBB777_17:                             ;   in Loop: Header=BB777_10 Depth=1
	s_mov_b64 s[26:27], 0
.LBB777_18:                             ;   in Loop: Header=BB777_10 Depth=1
	s_xor_b64 s[26:27], s[26:27], -1
	s_mov_b64 s[4:5], 0
.LBB777_19:                             ;   in Loop: Header=BB777_10 Depth=1
	s_and_b64 vcc, exec, s[4:5]
	s_cbranch_vccz .LBB777_9
; %bb.20:                               ;   in Loop: Header=BB777_10 Depth=1
	s_and_b64 vcc, exec, s[2:3]
	s_cbranch_vccnz .LBB777_25
; %bb.21:                               ;   in Loop: Header=BB777_10 Depth=1
	v_pk_mov_b32 v[8:9], s[14:15], s[14:15] op_sel:[0,1]
	s_waitcnt vmcnt(0)
	v_mad_u64_u32 v[8:9], s[4:5], s24, v6, v[8:9]
	v_mul_lo_u32 v7, s24, v7
	v_mul_lo_u32 v6, s25, v6
	v_add3_u32 v9, v6, v9, v7
	s_mov_b64 s[28:29], 0
	s_mov_b64 s[36:37], s[12:13]
	v_pk_mov_b32 v[6:7], v[0:1], v[0:1] op_sel:[0,1]
                                        ; implicit-def: $sgpr26_sgpr27
                                        ; implicit-def: $sgpr30_sgpr31
                                        ; implicit-def: $sgpr34_sgpr35
                                        ; implicit-def: $sgpr4_sgpr5
                                        ; implicit-def: $sgpr38_sgpr39
	s_branch .LBB777_23
.LBB777_22:                             ;   in Loop: Header=BB777_23 Depth=2
	s_or_b64 exec, exec, s[40:41]
	s_and_b64 s[6:7], exec, s[30:31]
	s_or_b64 s[28:29], s[6:7], s[28:29]
	s_andn2_b64 s[6:7], s[38:39], exec
	s_and_b64 s[38:39], s[34:35], exec
	s_or_b64 s[38:39], s[6:7], s[38:39]
	s_andn2_b64 s[6:7], s[26:27], exec
	s_and_b64 s[26:27], s[4:5], exec
	s_or_b64 s[26:27], s[6:7], s[26:27]
	s_andn2_b64 exec, exec, s[28:29]
	s_cbranch_execz .LBB777_8
.LBB777_23:                             ;   Parent Loop BB777_10 Depth=1
                                        ; =>  This Inner Loop Header: Depth=2
	global_load_dwordx2 v[10:11], v[8:9], off
	global_load_dwordx2 v[16:17], v[6:7], off
	s_andn2_b64 s[40:41], s[4:5], exec
	s_andn2_b64 s[34:35], s[34:35], exec
	s_or_b64 s[30:31], s[30:31], exec
	s_waitcnt vmcnt(0)
	v_cmp_ngt_f64_e64 s[4:5], v[10:11], v[16:17]
	v_cmp_lt_f64_e32 vcc, v[10:11], v[16:17]
	s_and_b64 s[4:5], s[4:5], s[38:39]
	s_or_b64 s[42:43], vcc, s[4:5]
	s_and_b64 s[4:5], s[42:43], exec
	v_cmp_nlg_f64_e64 s[6:7], v[10:11], v[16:17]
	s_or_b64 s[4:5], s[40:41], s[4:5]
	s_and_saveexec_b64 s[40:41], s[6:7]
	s_cbranch_execz .LBB777_22
; %bb.24:                               ;   in Loop: Header=BB777_23 Depth=2
	s_add_u32 s36, s36, -1
	s_addc_u32 s37, s37, -1
	v_add_co_u32_e32 v8, vcc, 8, v8
	s_cmp_eq_u64 s[36:37], 0
	v_addc_co_u32_e32 v9, vcc, 0, v9, vcc
	s_cselect_b64 s[6:7], -1, 0
	v_add_co_u32_e32 v6, vcc, 8, v6
	s_andn2_b64 s[34:35], s[34:35], exec
	s_and_b64 s[38:39], s[42:43], exec
	s_andn2_b64 s[30:31], s[30:31], exec
	s_and_b64 s[6:7], s[6:7], exec
	v_addc_co_u32_e32 v7, vcc, 0, v7, vcc
	s_andn2_b64 s[4:5], s[4:5], exec
	s_or_b64 s[34:35], s[34:35], s[38:39]
	s_or_b64 s[30:31], s[30:31], s[6:7]
                                        ; implicit-def: $sgpr38_sgpr39
	s_branch .LBB777_22
.LBB777_25:                             ;   in Loop: Header=BB777_10 Depth=1
	s_mov_b64 s[26:27], 0
	s_branch .LBB777_9
.LBB777_26:
                                        ; implicit-def: $vgpr4
	s_cbranch_execnz .LBB777_30
	s_branch .LBB777_52
.LBB777_27:
	s_or_b64 exec, exec, s[22:23]
.LBB777_28:
	v_add_u32_e32 v4, v13, v12
	s_or_b64 s[18:19], s[18:19], exec
.LBB777_29:
	s_or_b64 exec, exec, s[20:21]
	s_branch .LBB777_52
.LBB777_30:
	s_cmp_ge_u32 s33, s45
	v_mov_b32_e32 v13, s44
	s_cbranch_scc1 .LBB777_51
; %bb.31:
	s_waitcnt vmcnt(0) lgkmcnt(0)
	v_mul_lo_u32 v4, v3, s12
	v_mul_lo_u32 v5, v2, s13
	v_mad_u64_u32 v[0:1], s[0:1], v2, s12, 0
	v_add3_u32 v1, v1, v5, v4
	v_lshlrev_b64 v[0:1], 3, v[0:1]
	v_mov_b32_e32 v4, s15
	v_add_co_u32_e32 v0, vcc, s14, v0
	v_addc_co_u32_e32 v1, vcc, v4, v1, vcc
	v_cndmask_b32_e64 v4, 0, 1, s[16:17]
	v_cmp_gt_i64_e64 s[2:3], s[12:13], 0
	v_cmp_ne_u32_e64 s[0:1], 1, v4
	v_cndmask_b32_e64 v4, 0, 1, s[2:3]
	s_mov_b64 s[18:19], 0
	s_lshl_b64 s[20:21], s[12:13], 3
	v_mov_b32_e32 v14, s45
	v_mov_b32_e32 v13, s44
	;; [unrolled: 1-line block ×4, first 2 shown]
	v_cmp_ne_u32_e64 s[2:3], 1, v4
	s_branch .LBB777_34
.LBB777_32:                             ;   in Loop: Header=BB777_34 Depth=1
	s_or_b64 exec, exec, s[22:23]
.LBB777_33:                             ;   in Loop: Header=BB777_34 Depth=1
	s_waitcnt vmcnt(0)
	v_add_u32_e32 v6, 1, v4
	v_cndmask_b32_e64 v14, v4, v14, s[16:17]
	v_cndmask_b32_e64 v13, v13, v6, s[16:17]
	v_cmp_ge_u32_e32 vcc, v13, v14
	s_or_b64 s[18:19], vcc, s[18:19]
	s_andn2_b64 exec, exec, s[18:19]
	s_cbranch_execz .LBB777_50
.LBB777_34:                             ; =>This Loop Header: Depth=1
                                        ;     Child Loop BB777_38 Depth 2
                                        ;     Child Loop BB777_47 Depth 2
	v_add_u32_e32 v4, v13, v14
	v_lshrrev_b32_e32 v4, 1, v4
	v_lshlrev_b64 v[6:7], 3, v[4:5]
	v_add_co_u32_e32 v6, vcc, s8, v6
	v_addc_co_u32_e32 v7, vcc, v15, v7, vcc
	global_load_dwordx2 v[6:7], v[6:7], off
	s_and_b64 vcc, exec, s[0:1]
	s_mov_b64 s[4:5], -1
                                        ; implicit-def: $sgpr16_sgpr17
	s_cbranch_vccnz .LBB777_43
; %bb.35:                               ;   in Loop: Header=BB777_34 Depth=1
	s_and_b64 vcc, exec, s[2:3]
	s_cbranch_vccnz .LBB777_41
; %bb.36:                               ;   in Loop: Header=BB777_34 Depth=1
	v_pk_mov_b32 v[8:9], s[14:15], s[14:15] op_sel:[0,1]
	s_waitcnt vmcnt(0)
	v_mad_u64_u32 v[8:9], s[4:5], s20, v6, v[8:9]
	v_mul_lo_u32 v10, s20, v7
	v_mul_lo_u32 v11, s21, v6
	v_add3_u32 v9, v11, v9, v10
	s_mov_b64 s[22:23], 0
	s_mov_b64 s[28:29], s[12:13]
	v_pk_mov_b32 v[10:11], v[0:1], v[0:1] op_sel:[0,1]
                                        ; implicit-def: $sgpr16_sgpr17
                                        ; implicit-def: $sgpr24_sgpr25
                                        ; implicit-def: $sgpr26_sgpr27
                                        ; implicit-def: $sgpr4_sgpr5
                                        ; implicit-def: $sgpr30_sgpr31
	s_branch .LBB777_38
.LBB777_37:                             ;   in Loop: Header=BB777_38 Depth=2
	s_or_b64 exec, exec, s[34:35]
	s_and_b64 s[6:7], exec, s[24:25]
	s_or_b64 s[22:23], s[6:7], s[22:23]
	s_andn2_b64 s[6:7], s[30:31], exec
	s_and_b64 s[30:31], s[26:27], exec
	s_or_b64 s[30:31], s[6:7], s[30:31]
	s_andn2_b64 s[6:7], s[16:17], exec
	s_and_b64 s[16:17], s[4:5], exec
	s_or_b64 s[16:17], s[6:7], s[16:17]
	s_andn2_b64 exec, exec, s[22:23]
	s_cbranch_execz .LBB777_40
.LBB777_38:                             ;   Parent Loop BB777_34 Depth=1
                                        ; =>  This Inner Loop Header: Depth=2
	global_load_dwordx2 v[16:17], v[10:11], off
	global_load_dwordx2 v[18:19], v[8:9], off
	s_andn2_b64 s[34:35], s[4:5], exec
	s_andn2_b64 s[26:27], s[26:27], exec
	s_or_b64 s[24:25], s[24:25], exec
	s_waitcnt vmcnt(0)
	v_cmp_ngt_f64_e64 s[4:5], v[16:17], v[18:19]
	v_cmp_lt_f64_e32 vcc, v[16:17], v[18:19]
	s_and_b64 s[4:5], s[4:5], s[30:31]
	s_or_b64 s[36:37], vcc, s[4:5]
	s_and_b64 s[4:5], s[36:37], exec
	v_cmp_nlg_f64_e64 s[6:7], v[16:17], v[18:19]
	s_or_b64 s[4:5], s[34:35], s[4:5]
	s_and_saveexec_b64 s[34:35], s[6:7]
	s_cbranch_execz .LBB777_37
; %bb.39:                               ;   in Loop: Header=BB777_38 Depth=2
	s_add_u32 s28, s28, -1
	s_addc_u32 s29, s29, -1
	v_add_co_u32_e32 v10, vcc, 8, v10
	s_cmp_eq_u64 s[28:29], 0
	v_addc_co_u32_e32 v11, vcc, 0, v11, vcc
	s_cselect_b64 s[6:7], -1, 0
	v_add_co_u32_e32 v8, vcc, 8, v8
	s_andn2_b64 s[26:27], s[26:27], exec
	s_and_b64 s[30:31], s[36:37], exec
	s_andn2_b64 s[24:25], s[24:25], exec
	s_and_b64 s[6:7], s[6:7], exec
	v_addc_co_u32_e32 v9, vcc, 0, v9, vcc
	s_andn2_b64 s[4:5], s[4:5], exec
	s_or_b64 s[26:27], s[26:27], s[30:31]
	s_or_b64 s[24:25], s[24:25], s[6:7]
                                        ; implicit-def: $sgpr30_sgpr31
	s_branch .LBB777_37
.LBB777_40:                             ;   in Loop: Header=BB777_34 Depth=1
	s_or_b64 exec, exec, s[22:23]
	s_branch .LBB777_42
.LBB777_41:                             ;   in Loop: Header=BB777_34 Depth=1
	s_mov_b64 s[16:17], 0
.LBB777_42:                             ;   in Loop: Header=BB777_34 Depth=1
	s_xor_b64 s[16:17], s[16:17], -1
	s_mov_b64 s[4:5], 0
.LBB777_43:                             ;   in Loop: Header=BB777_34 Depth=1
	s_and_b64 vcc, exec, s[4:5]
	s_cbranch_vccz .LBB777_33
; %bb.44:                               ;   in Loop: Header=BB777_34 Depth=1
	s_and_b64 vcc, exec, s[2:3]
	s_cbranch_vccnz .LBB777_49
; %bb.45:                               ;   in Loop: Header=BB777_34 Depth=1
	v_pk_mov_b32 v[8:9], s[14:15], s[14:15] op_sel:[0,1]
	s_waitcnt vmcnt(0)
	v_mad_u64_u32 v[8:9], s[4:5], s20, v6, v[8:9]
	v_mul_lo_u32 v7, s20, v7
	v_mul_lo_u32 v6, s21, v6
	v_add3_u32 v9, v6, v9, v7
	s_mov_b64 s[22:23], 0
	s_mov_b64 s[28:29], s[12:13]
	v_pk_mov_b32 v[6:7], v[0:1], v[0:1] op_sel:[0,1]
                                        ; implicit-def: $sgpr16_sgpr17
                                        ; implicit-def: $sgpr24_sgpr25
                                        ; implicit-def: $sgpr26_sgpr27
                                        ; implicit-def: $sgpr4_sgpr5
                                        ; implicit-def: $sgpr30_sgpr31
	s_branch .LBB777_47
.LBB777_46:                             ;   in Loop: Header=BB777_47 Depth=2
	s_or_b64 exec, exec, s[34:35]
	s_and_b64 s[6:7], exec, s[24:25]
	s_or_b64 s[22:23], s[6:7], s[22:23]
	s_andn2_b64 s[6:7], s[30:31], exec
	s_and_b64 s[30:31], s[26:27], exec
	s_or_b64 s[30:31], s[6:7], s[30:31]
	s_andn2_b64 s[6:7], s[16:17], exec
	s_and_b64 s[16:17], s[4:5], exec
	s_or_b64 s[16:17], s[6:7], s[16:17]
	s_andn2_b64 exec, exec, s[22:23]
	s_cbranch_execz .LBB777_32
.LBB777_47:                             ;   Parent Loop BB777_34 Depth=1
                                        ; =>  This Inner Loop Header: Depth=2
	global_load_dwordx2 v[10:11], v[8:9], off
	global_load_dwordx2 v[16:17], v[6:7], off
	s_andn2_b64 s[34:35], s[4:5], exec
	s_andn2_b64 s[26:27], s[26:27], exec
	s_or_b64 s[24:25], s[24:25], exec
	s_waitcnt vmcnt(0)
	v_cmp_ngt_f64_e64 s[4:5], v[10:11], v[16:17]
	v_cmp_lt_f64_e32 vcc, v[10:11], v[16:17]
	s_and_b64 s[4:5], s[4:5], s[30:31]
	s_or_b64 s[36:37], vcc, s[4:5]
	s_and_b64 s[4:5], s[36:37], exec
	v_cmp_nlg_f64_e64 s[6:7], v[10:11], v[16:17]
	s_or_b64 s[4:5], s[34:35], s[4:5]
	s_and_saveexec_b64 s[34:35], s[6:7]
	s_cbranch_execz .LBB777_46
; %bb.48:                               ;   in Loop: Header=BB777_47 Depth=2
	s_add_u32 s28, s28, -1
	s_addc_u32 s29, s29, -1
	v_add_co_u32_e32 v8, vcc, 8, v8
	s_cmp_eq_u64 s[28:29], 0
	v_addc_co_u32_e32 v9, vcc, 0, v9, vcc
	s_cselect_b64 s[6:7], -1, 0
	v_add_co_u32_e32 v6, vcc, 8, v6
	s_andn2_b64 s[26:27], s[26:27], exec
	s_and_b64 s[30:31], s[36:37], exec
	s_andn2_b64 s[24:25], s[24:25], exec
	s_and_b64 s[6:7], s[6:7], exec
	v_addc_co_u32_e32 v7, vcc, 0, v7, vcc
	s_andn2_b64 s[4:5], s[4:5], exec
	s_or_b64 s[26:27], s[26:27], s[30:31]
	s_or_b64 s[24:25], s[24:25], s[6:7]
                                        ; implicit-def: $sgpr30_sgpr31
	s_branch .LBB777_46
.LBB777_49:                             ;   in Loop: Header=BB777_34 Depth=1
	s_mov_b64 s[16:17], 0
	s_branch .LBB777_33
.LBB777_50:
	s_or_b64 exec, exec, s[18:19]
.LBB777_51:
	v_add_u32_e32 v4, v13, v12
	s_mov_b64 s[18:19], -1
.LBB777_52:
	s_and_b64 exec, exec, s[18:19]
	s_cbranch_execz .LBB777_54
; %bb.53:
	v_mov_b32_e32 v5, 0
	v_lshlrev_b64 v[0:1], 3, v[4:5]
	v_mov_b32_e32 v4, s11
	v_add_co_u32_e32 v0, vcc, s10, v0
	v_addc_co_u32_e32 v1, vcc, v4, v1, vcc
	s_waitcnt vmcnt(0)
	global_store_dwordx2 v[0:1], v[2:3], off
.LBB777_54:
	s_endpgm
	.section	.rodata,"a",@progbits
	.p2align	6, 0x0
	.amdhsa_kernel _ZN7rocprim17ROCPRIM_400000_NS6detail17trampoline_kernelINS0_14default_configENS1_38merge_sort_block_merge_config_selectorIlNS0_10empty_typeEEEZZNS1_27merge_sort_block_merge_implIS3_PlPS5_mZN2at6native12_GLOBAL__N_124unique_dim_cuda_templateIdEESt5tupleIJNSA_6TensorESF_SF_EERKSF_lbbbEUlllE_EE10hipError_tT0_T1_T2_jT3_P12ihipStream_tbPNSt15iterator_traitsISL_E10value_typeEPNSR_ISM_E10value_typeEPSN_NS1_7vsmem_tEENKUlT_SL_SM_SN_E_clIS8_S8_S9_S9_EESK_S10_SL_SM_SN_EUlS10_E1_NS1_11comp_targetILNS1_3genE4ELNS1_11target_archE910ELNS1_3gpuE8ELNS1_3repE0EEENS1_36merge_oddeven_config_static_selectorELNS0_4arch9wavefront6targetE1EEEvSM_
		.amdhsa_group_segment_fixed_size 0
		.amdhsa_private_segment_fixed_size 0
		.amdhsa_kernarg_size 64
		.amdhsa_user_sgpr_count 6
		.amdhsa_user_sgpr_private_segment_buffer 1
		.amdhsa_user_sgpr_dispatch_ptr 0
		.amdhsa_user_sgpr_queue_ptr 0
		.amdhsa_user_sgpr_kernarg_segment_ptr 1
		.amdhsa_user_sgpr_dispatch_id 0
		.amdhsa_user_sgpr_flat_scratch_init 0
		.amdhsa_user_sgpr_kernarg_preload_length 0
		.amdhsa_user_sgpr_kernarg_preload_offset 0
		.amdhsa_user_sgpr_private_segment_size 0
		.amdhsa_uses_dynamic_stack 0
		.amdhsa_system_sgpr_private_segment_wavefront_offset 0
		.amdhsa_system_sgpr_workgroup_id_x 1
		.amdhsa_system_sgpr_workgroup_id_y 0
		.amdhsa_system_sgpr_workgroup_id_z 0
		.amdhsa_system_sgpr_workgroup_info 0
		.amdhsa_system_vgpr_workitem_id 0
		.amdhsa_next_free_vgpr 20
		.amdhsa_next_free_sgpr 46
		.amdhsa_accum_offset 20
		.amdhsa_reserve_vcc 1
		.amdhsa_reserve_flat_scratch 0
		.amdhsa_float_round_mode_32 0
		.amdhsa_float_round_mode_16_64 0
		.amdhsa_float_denorm_mode_32 3
		.amdhsa_float_denorm_mode_16_64 3
		.amdhsa_dx10_clamp 1
		.amdhsa_ieee_mode 1
		.amdhsa_fp16_overflow 0
		.amdhsa_tg_split 0
		.amdhsa_exception_fp_ieee_invalid_op 0
		.amdhsa_exception_fp_denorm_src 0
		.amdhsa_exception_fp_ieee_div_zero 0
		.amdhsa_exception_fp_ieee_overflow 0
		.amdhsa_exception_fp_ieee_underflow 0
		.amdhsa_exception_fp_ieee_inexact 0
		.amdhsa_exception_int_div_zero 0
	.end_amdhsa_kernel
	.section	.text._ZN7rocprim17ROCPRIM_400000_NS6detail17trampoline_kernelINS0_14default_configENS1_38merge_sort_block_merge_config_selectorIlNS0_10empty_typeEEEZZNS1_27merge_sort_block_merge_implIS3_PlPS5_mZN2at6native12_GLOBAL__N_124unique_dim_cuda_templateIdEESt5tupleIJNSA_6TensorESF_SF_EERKSF_lbbbEUlllE_EE10hipError_tT0_T1_T2_jT3_P12ihipStream_tbPNSt15iterator_traitsISL_E10value_typeEPNSR_ISM_E10value_typeEPSN_NS1_7vsmem_tEENKUlT_SL_SM_SN_E_clIS8_S8_S9_S9_EESK_S10_SL_SM_SN_EUlS10_E1_NS1_11comp_targetILNS1_3genE4ELNS1_11target_archE910ELNS1_3gpuE8ELNS1_3repE0EEENS1_36merge_oddeven_config_static_selectorELNS0_4arch9wavefront6targetE1EEEvSM_,"axG",@progbits,_ZN7rocprim17ROCPRIM_400000_NS6detail17trampoline_kernelINS0_14default_configENS1_38merge_sort_block_merge_config_selectorIlNS0_10empty_typeEEEZZNS1_27merge_sort_block_merge_implIS3_PlPS5_mZN2at6native12_GLOBAL__N_124unique_dim_cuda_templateIdEESt5tupleIJNSA_6TensorESF_SF_EERKSF_lbbbEUlllE_EE10hipError_tT0_T1_T2_jT3_P12ihipStream_tbPNSt15iterator_traitsISL_E10value_typeEPNSR_ISM_E10value_typeEPSN_NS1_7vsmem_tEENKUlT_SL_SM_SN_E_clIS8_S8_S9_S9_EESK_S10_SL_SM_SN_EUlS10_E1_NS1_11comp_targetILNS1_3genE4ELNS1_11target_archE910ELNS1_3gpuE8ELNS1_3repE0EEENS1_36merge_oddeven_config_static_selectorELNS0_4arch9wavefront6targetE1EEEvSM_,comdat
.Lfunc_end777:
	.size	_ZN7rocprim17ROCPRIM_400000_NS6detail17trampoline_kernelINS0_14default_configENS1_38merge_sort_block_merge_config_selectorIlNS0_10empty_typeEEEZZNS1_27merge_sort_block_merge_implIS3_PlPS5_mZN2at6native12_GLOBAL__N_124unique_dim_cuda_templateIdEESt5tupleIJNSA_6TensorESF_SF_EERKSF_lbbbEUlllE_EE10hipError_tT0_T1_T2_jT3_P12ihipStream_tbPNSt15iterator_traitsISL_E10value_typeEPNSR_ISM_E10value_typeEPSN_NS1_7vsmem_tEENKUlT_SL_SM_SN_E_clIS8_S8_S9_S9_EESK_S10_SL_SM_SN_EUlS10_E1_NS1_11comp_targetILNS1_3genE4ELNS1_11target_archE910ELNS1_3gpuE8ELNS1_3repE0EEENS1_36merge_oddeven_config_static_selectorELNS0_4arch9wavefront6targetE1EEEvSM_, .Lfunc_end777-_ZN7rocprim17ROCPRIM_400000_NS6detail17trampoline_kernelINS0_14default_configENS1_38merge_sort_block_merge_config_selectorIlNS0_10empty_typeEEEZZNS1_27merge_sort_block_merge_implIS3_PlPS5_mZN2at6native12_GLOBAL__N_124unique_dim_cuda_templateIdEESt5tupleIJNSA_6TensorESF_SF_EERKSF_lbbbEUlllE_EE10hipError_tT0_T1_T2_jT3_P12ihipStream_tbPNSt15iterator_traitsISL_E10value_typeEPNSR_ISM_E10value_typeEPSN_NS1_7vsmem_tEENKUlT_SL_SM_SN_E_clIS8_S8_S9_S9_EESK_S10_SL_SM_SN_EUlS10_E1_NS1_11comp_targetILNS1_3genE4ELNS1_11target_archE910ELNS1_3gpuE8ELNS1_3repE0EEENS1_36merge_oddeven_config_static_selectorELNS0_4arch9wavefront6targetE1EEEvSM_
                                        ; -- End function
	.section	.AMDGPU.csdata,"",@progbits
; Kernel info:
; codeLenInByte = 1876
; NumSgprs: 50
; NumVgprs: 20
; NumAgprs: 0
; TotalNumVgprs: 20
; ScratchSize: 0
; MemoryBound: 0
; FloatMode: 240
; IeeeMode: 1
; LDSByteSize: 0 bytes/workgroup (compile time only)
; SGPRBlocks: 6
; VGPRBlocks: 2
; NumSGPRsForWavesPerEU: 50
; NumVGPRsForWavesPerEU: 20
; AccumOffset: 20
; Occupancy: 8
; WaveLimiterHint : 0
; COMPUTE_PGM_RSRC2:SCRATCH_EN: 0
; COMPUTE_PGM_RSRC2:USER_SGPR: 6
; COMPUTE_PGM_RSRC2:TRAP_HANDLER: 0
; COMPUTE_PGM_RSRC2:TGID_X_EN: 1
; COMPUTE_PGM_RSRC2:TGID_Y_EN: 0
; COMPUTE_PGM_RSRC2:TGID_Z_EN: 0
; COMPUTE_PGM_RSRC2:TIDIG_COMP_CNT: 0
; COMPUTE_PGM_RSRC3_GFX90A:ACCUM_OFFSET: 4
; COMPUTE_PGM_RSRC3_GFX90A:TG_SPLIT: 0
	.section	.text._ZN7rocprim17ROCPRIM_400000_NS6detail17trampoline_kernelINS0_14default_configENS1_38merge_sort_block_merge_config_selectorIlNS0_10empty_typeEEEZZNS1_27merge_sort_block_merge_implIS3_PlPS5_mZN2at6native12_GLOBAL__N_124unique_dim_cuda_templateIdEESt5tupleIJNSA_6TensorESF_SF_EERKSF_lbbbEUlllE_EE10hipError_tT0_T1_T2_jT3_P12ihipStream_tbPNSt15iterator_traitsISL_E10value_typeEPNSR_ISM_E10value_typeEPSN_NS1_7vsmem_tEENKUlT_SL_SM_SN_E_clIS8_S8_S9_S9_EESK_S10_SL_SM_SN_EUlS10_E1_NS1_11comp_targetILNS1_3genE3ELNS1_11target_archE908ELNS1_3gpuE7ELNS1_3repE0EEENS1_36merge_oddeven_config_static_selectorELNS0_4arch9wavefront6targetE1EEEvSM_,"axG",@progbits,_ZN7rocprim17ROCPRIM_400000_NS6detail17trampoline_kernelINS0_14default_configENS1_38merge_sort_block_merge_config_selectorIlNS0_10empty_typeEEEZZNS1_27merge_sort_block_merge_implIS3_PlPS5_mZN2at6native12_GLOBAL__N_124unique_dim_cuda_templateIdEESt5tupleIJNSA_6TensorESF_SF_EERKSF_lbbbEUlllE_EE10hipError_tT0_T1_T2_jT3_P12ihipStream_tbPNSt15iterator_traitsISL_E10value_typeEPNSR_ISM_E10value_typeEPSN_NS1_7vsmem_tEENKUlT_SL_SM_SN_E_clIS8_S8_S9_S9_EESK_S10_SL_SM_SN_EUlS10_E1_NS1_11comp_targetILNS1_3genE3ELNS1_11target_archE908ELNS1_3gpuE7ELNS1_3repE0EEENS1_36merge_oddeven_config_static_selectorELNS0_4arch9wavefront6targetE1EEEvSM_,comdat
	.globl	_ZN7rocprim17ROCPRIM_400000_NS6detail17trampoline_kernelINS0_14default_configENS1_38merge_sort_block_merge_config_selectorIlNS0_10empty_typeEEEZZNS1_27merge_sort_block_merge_implIS3_PlPS5_mZN2at6native12_GLOBAL__N_124unique_dim_cuda_templateIdEESt5tupleIJNSA_6TensorESF_SF_EERKSF_lbbbEUlllE_EE10hipError_tT0_T1_T2_jT3_P12ihipStream_tbPNSt15iterator_traitsISL_E10value_typeEPNSR_ISM_E10value_typeEPSN_NS1_7vsmem_tEENKUlT_SL_SM_SN_E_clIS8_S8_S9_S9_EESK_S10_SL_SM_SN_EUlS10_E1_NS1_11comp_targetILNS1_3genE3ELNS1_11target_archE908ELNS1_3gpuE7ELNS1_3repE0EEENS1_36merge_oddeven_config_static_selectorELNS0_4arch9wavefront6targetE1EEEvSM_ ; -- Begin function _ZN7rocprim17ROCPRIM_400000_NS6detail17trampoline_kernelINS0_14default_configENS1_38merge_sort_block_merge_config_selectorIlNS0_10empty_typeEEEZZNS1_27merge_sort_block_merge_implIS3_PlPS5_mZN2at6native12_GLOBAL__N_124unique_dim_cuda_templateIdEESt5tupleIJNSA_6TensorESF_SF_EERKSF_lbbbEUlllE_EE10hipError_tT0_T1_T2_jT3_P12ihipStream_tbPNSt15iterator_traitsISL_E10value_typeEPNSR_ISM_E10value_typeEPSN_NS1_7vsmem_tEENKUlT_SL_SM_SN_E_clIS8_S8_S9_S9_EESK_S10_SL_SM_SN_EUlS10_E1_NS1_11comp_targetILNS1_3genE3ELNS1_11target_archE908ELNS1_3gpuE7ELNS1_3repE0EEENS1_36merge_oddeven_config_static_selectorELNS0_4arch9wavefront6targetE1EEEvSM_
	.p2align	8
	.type	_ZN7rocprim17ROCPRIM_400000_NS6detail17trampoline_kernelINS0_14default_configENS1_38merge_sort_block_merge_config_selectorIlNS0_10empty_typeEEEZZNS1_27merge_sort_block_merge_implIS3_PlPS5_mZN2at6native12_GLOBAL__N_124unique_dim_cuda_templateIdEESt5tupleIJNSA_6TensorESF_SF_EERKSF_lbbbEUlllE_EE10hipError_tT0_T1_T2_jT3_P12ihipStream_tbPNSt15iterator_traitsISL_E10value_typeEPNSR_ISM_E10value_typeEPSN_NS1_7vsmem_tEENKUlT_SL_SM_SN_E_clIS8_S8_S9_S9_EESK_S10_SL_SM_SN_EUlS10_E1_NS1_11comp_targetILNS1_3genE3ELNS1_11target_archE908ELNS1_3gpuE7ELNS1_3repE0EEENS1_36merge_oddeven_config_static_selectorELNS0_4arch9wavefront6targetE1EEEvSM_,@function
_ZN7rocprim17ROCPRIM_400000_NS6detail17trampoline_kernelINS0_14default_configENS1_38merge_sort_block_merge_config_selectorIlNS0_10empty_typeEEEZZNS1_27merge_sort_block_merge_implIS3_PlPS5_mZN2at6native12_GLOBAL__N_124unique_dim_cuda_templateIdEESt5tupleIJNSA_6TensorESF_SF_EERKSF_lbbbEUlllE_EE10hipError_tT0_T1_T2_jT3_P12ihipStream_tbPNSt15iterator_traitsISL_E10value_typeEPNSR_ISM_E10value_typeEPSN_NS1_7vsmem_tEENKUlT_SL_SM_SN_E_clIS8_S8_S9_S9_EESK_S10_SL_SM_SN_EUlS10_E1_NS1_11comp_targetILNS1_3genE3ELNS1_11target_archE908ELNS1_3gpuE7ELNS1_3repE0EEENS1_36merge_oddeven_config_static_selectorELNS0_4arch9wavefront6targetE1EEEvSM_: ; @_ZN7rocprim17ROCPRIM_400000_NS6detail17trampoline_kernelINS0_14default_configENS1_38merge_sort_block_merge_config_selectorIlNS0_10empty_typeEEEZZNS1_27merge_sort_block_merge_implIS3_PlPS5_mZN2at6native12_GLOBAL__N_124unique_dim_cuda_templateIdEESt5tupleIJNSA_6TensorESF_SF_EERKSF_lbbbEUlllE_EE10hipError_tT0_T1_T2_jT3_P12ihipStream_tbPNSt15iterator_traitsISL_E10value_typeEPNSR_ISM_E10value_typeEPSN_NS1_7vsmem_tEENKUlT_SL_SM_SN_E_clIS8_S8_S9_S9_EESK_S10_SL_SM_SN_EUlS10_E1_NS1_11comp_targetILNS1_3genE3ELNS1_11target_archE908ELNS1_3gpuE7ELNS1_3repE0EEENS1_36merge_oddeven_config_static_selectorELNS0_4arch9wavefront6targetE1EEEvSM_
; %bb.0:
	.section	.rodata,"a",@progbits
	.p2align	6, 0x0
	.amdhsa_kernel _ZN7rocprim17ROCPRIM_400000_NS6detail17trampoline_kernelINS0_14default_configENS1_38merge_sort_block_merge_config_selectorIlNS0_10empty_typeEEEZZNS1_27merge_sort_block_merge_implIS3_PlPS5_mZN2at6native12_GLOBAL__N_124unique_dim_cuda_templateIdEESt5tupleIJNSA_6TensorESF_SF_EERKSF_lbbbEUlllE_EE10hipError_tT0_T1_T2_jT3_P12ihipStream_tbPNSt15iterator_traitsISL_E10value_typeEPNSR_ISM_E10value_typeEPSN_NS1_7vsmem_tEENKUlT_SL_SM_SN_E_clIS8_S8_S9_S9_EESK_S10_SL_SM_SN_EUlS10_E1_NS1_11comp_targetILNS1_3genE3ELNS1_11target_archE908ELNS1_3gpuE7ELNS1_3repE0EEENS1_36merge_oddeven_config_static_selectorELNS0_4arch9wavefront6targetE1EEEvSM_
		.amdhsa_group_segment_fixed_size 0
		.amdhsa_private_segment_fixed_size 0
		.amdhsa_kernarg_size 64
		.amdhsa_user_sgpr_count 6
		.amdhsa_user_sgpr_private_segment_buffer 1
		.amdhsa_user_sgpr_dispatch_ptr 0
		.amdhsa_user_sgpr_queue_ptr 0
		.amdhsa_user_sgpr_kernarg_segment_ptr 1
		.amdhsa_user_sgpr_dispatch_id 0
		.amdhsa_user_sgpr_flat_scratch_init 0
		.amdhsa_user_sgpr_kernarg_preload_length 0
		.amdhsa_user_sgpr_kernarg_preload_offset 0
		.amdhsa_user_sgpr_private_segment_size 0
		.amdhsa_uses_dynamic_stack 0
		.amdhsa_system_sgpr_private_segment_wavefront_offset 0
		.amdhsa_system_sgpr_workgroup_id_x 1
		.amdhsa_system_sgpr_workgroup_id_y 0
		.amdhsa_system_sgpr_workgroup_id_z 0
		.amdhsa_system_sgpr_workgroup_info 0
		.amdhsa_system_vgpr_workitem_id 0
		.amdhsa_next_free_vgpr 1
		.amdhsa_next_free_sgpr 0
		.amdhsa_accum_offset 4
		.amdhsa_reserve_vcc 0
		.amdhsa_reserve_flat_scratch 0
		.amdhsa_float_round_mode_32 0
		.amdhsa_float_round_mode_16_64 0
		.amdhsa_float_denorm_mode_32 3
		.amdhsa_float_denorm_mode_16_64 3
		.amdhsa_dx10_clamp 1
		.amdhsa_ieee_mode 1
		.amdhsa_fp16_overflow 0
		.amdhsa_tg_split 0
		.amdhsa_exception_fp_ieee_invalid_op 0
		.amdhsa_exception_fp_denorm_src 0
		.amdhsa_exception_fp_ieee_div_zero 0
		.amdhsa_exception_fp_ieee_overflow 0
		.amdhsa_exception_fp_ieee_underflow 0
		.amdhsa_exception_fp_ieee_inexact 0
		.amdhsa_exception_int_div_zero 0
	.end_amdhsa_kernel
	.section	.text._ZN7rocprim17ROCPRIM_400000_NS6detail17trampoline_kernelINS0_14default_configENS1_38merge_sort_block_merge_config_selectorIlNS0_10empty_typeEEEZZNS1_27merge_sort_block_merge_implIS3_PlPS5_mZN2at6native12_GLOBAL__N_124unique_dim_cuda_templateIdEESt5tupleIJNSA_6TensorESF_SF_EERKSF_lbbbEUlllE_EE10hipError_tT0_T1_T2_jT3_P12ihipStream_tbPNSt15iterator_traitsISL_E10value_typeEPNSR_ISM_E10value_typeEPSN_NS1_7vsmem_tEENKUlT_SL_SM_SN_E_clIS8_S8_S9_S9_EESK_S10_SL_SM_SN_EUlS10_E1_NS1_11comp_targetILNS1_3genE3ELNS1_11target_archE908ELNS1_3gpuE7ELNS1_3repE0EEENS1_36merge_oddeven_config_static_selectorELNS0_4arch9wavefront6targetE1EEEvSM_,"axG",@progbits,_ZN7rocprim17ROCPRIM_400000_NS6detail17trampoline_kernelINS0_14default_configENS1_38merge_sort_block_merge_config_selectorIlNS0_10empty_typeEEEZZNS1_27merge_sort_block_merge_implIS3_PlPS5_mZN2at6native12_GLOBAL__N_124unique_dim_cuda_templateIdEESt5tupleIJNSA_6TensorESF_SF_EERKSF_lbbbEUlllE_EE10hipError_tT0_T1_T2_jT3_P12ihipStream_tbPNSt15iterator_traitsISL_E10value_typeEPNSR_ISM_E10value_typeEPSN_NS1_7vsmem_tEENKUlT_SL_SM_SN_E_clIS8_S8_S9_S9_EESK_S10_SL_SM_SN_EUlS10_E1_NS1_11comp_targetILNS1_3genE3ELNS1_11target_archE908ELNS1_3gpuE7ELNS1_3repE0EEENS1_36merge_oddeven_config_static_selectorELNS0_4arch9wavefront6targetE1EEEvSM_,comdat
.Lfunc_end778:
	.size	_ZN7rocprim17ROCPRIM_400000_NS6detail17trampoline_kernelINS0_14default_configENS1_38merge_sort_block_merge_config_selectorIlNS0_10empty_typeEEEZZNS1_27merge_sort_block_merge_implIS3_PlPS5_mZN2at6native12_GLOBAL__N_124unique_dim_cuda_templateIdEESt5tupleIJNSA_6TensorESF_SF_EERKSF_lbbbEUlllE_EE10hipError_tT0_T1_T2_jT3_P12ihipStream_tbPNSt15iterator_traitsISL_E10value_typeEPNSR_ISM_E10value_typeEPSN_NS1_7vsmem_tEENKUlT_SL_SM_SN_E_clIS8_S8_S9_S9_EESK_S10_SL_SM_SN_EUlS10_E1_NS1_11comp_targetILNS1_3genE3ELNS1_11target_archE908ELNS1_3gpuE7ELNS1_3repE0EEENS1_36merge_oddeven_config_static_selectorELNS0_4arch9wavefront6targetE1EEEvSM_, .Lfunc_end778-_ZN7rocprim17ROCPRIM_400000_NS6detail17trampoline_kernelINS0_14default_configENS1_38merge_sort_block_merge_config_selectorIlNS0_10empty_typeEEEZZNS1_27merge_sort_block_merge_implIS3_PlPS5_mZN2at6native12_GLOBAL__N_124unique_dim_cuda_templateIdEESt5tupleIJNSA_6TensorESF_SF_EERKSF_lbbbEUlllE_EE10hipError_tT0_T1_T2_jT3_P12ihipStream_tbPNSt15iterator_traitsISL_E10value_typeEPNSR_ISM_E10value_typeEPSN_NS1_7vsmem_tEENKUlT_SL_SM_SN_E_clIS8_S8_S9_S9_EESK_S10_SL_SM_SN_EUlS10_E1_NS1_11comp_targetILNS1_3genE3ELNS1_11target_archE908ELNS1_3gpuE7ELNS1_3repE0EEENS1_36merge_oddeven_config_static_selectorELNS0_4arch9wavefront6targetE1EEEvSM_
                                        ; -- End function
	.section	.AMDGPU.csdata,"",@progbits
; Kernel info:
; codeLenInByte = 0
; NumSgprs: 4
; NumVgprs: 0
; NumAgprs: 0
; TotalNumVgprs: 0
; ScratchSize: 0
; MemoryBound: 0
; FloatMode: 240
; IeeeMode: 1
; LDSByteSize: 0 bytes/workgroup (compile time only)
; SGPRBlocks: 0
; VGPRBlocks: 0
; NumSGPRsForWavesPerEU: 4
; NumVGPRsForWavesPerEU: 1
; AccumOffset: 4
; Occupancy: 8
; WaveLimiterHint : 0
; COMPUTE_PGM_RSRC2:SCRATCH_EN: 0
; COMPUTE_PGM_RSRC2:USER_SGPR: 6
; COMPUTE_PGM_RSRC2:TRAP_HANDLER: 0
; COMPUTE_PGM_RSRC2:TGID_X_EN: 1
; COMPUTE_PGM_RSRC2:TGID_Y_EN: 0
; COMPUTE_PGM_RSRC2:TGID_Z_EN: 0
; COMPUTE_PGM_RSRC2:TIDIG_COMP_CNT: 0
; COMPUTE_PGM_RSRC3_GFX90A:ACCUM_OFFSET: 0
; COMPUTE_PGM_RSRC3_GFX90A:TG_SPLIT: 0
	.section	.text._ZN7rocprim17ROCPRIM_400000_NS6detail17trampoline_kernelINS0_14default_configENS1_38merge_sort_block_merge_config_selectorIlNS0_10empty_typeEEEZZNS1_27merge_sort_block_merge_implIS3_PlPS5_mZN2at6native12_GLOBAL__N_124unique_dim_cuda_templateIdEESt5tupleIJNSA_6TensorESF_SF_EERKSF_lbbbEUlllE_EE10hipError_tT0_T1_T2_jT3_P12ihipStream_tbPNSt15iterator_traitsISL_E10value_typeEPNSR_ISM_E10value_typeEPSN_NS1_7vsmem_tEENKUlT_SL_SM_SN_E_clIS8_S8_S9_S9_EESK_S10_SL_SM_SN_EUlS10_E1_NS1_11comp_targetILNS1_3genE2ELNS1_11target_archE906ELNS1_3gpuE6ELNS1_3repE0EEENS1_36merge_oddeven_config_static_selectorELNS0_4arch9wavefront6targetE1EEEvSM_,"axG",@progbits,_ZN7rocprim17ROCPRIM_400000_NS6detail17trampoline_kernelINS0_14default_configENS1_38merge_sort_block_merge_config_selectorIlNS0_10empty_typeEEEZZNS1_27merge_sort_block_merge_implIS3_PlPS5_mZN2at6native12_GLOBAL__N_124unique_dim_cuda_templateIdEESt5tupleIJNSA_6TensorESF_SF_EERKSF_lbbbEUlllE_EE10hipError_tT0_T1_T2_jT3_P12ihipStream_tbPNSt15iterator_traitsISL_E10value_typeEPNSR_ISM_E10value_typeEPSN_NS1_7vsmem_tEENKUlT_SL_SM_SN_E_clIS8_S8_S9_S9_EESK_S10_SL_SM_SN_EUlS10_E1_NS1_11comp_targetILNS1_3genE2ELNS1_11target_archE906ELNS1_3gpuE6ELNS1_3repE0EEENS1_36merge_oddeven_config_static_selectorELNS0_4arch9wavefront6targetE1EEEvSM_,comdat
	.globl	_ZN7rocprim17ROCPRIM_400000_NS6detail17trampoline_kernelINS0_14default_configENS1_38merge_sort_block_merge_config_selectorIlNS0_10empty_typeEEEZZNS1_27merge_sort_block_merge_implIS3_PlPS5_mZN2at6native12_GLOBAL__N_124unique_dim_cuda_templateIdEESt5tupleIJNSA_6TensorESF_SF_EERKSF_lbbbEUlllE_EE10hipError_tT0_T1_T2_jT3_P12ihipStream_tbPNSt15iterator_traitsISL_E10value_typeEPNSR_ISM_E10value_typeEPSN_NS1_7vsmem_tEENKUlT_SL_SM_SN_E_clIS8_S8_S9_S9_EESK_S10_SL_SM_SN_EUlS10_E1_NS1_11comp_targetILNS1_3genE2ELNS1_11target_archE906ELNS1_3gpuE6ELNS1_3repE0EEENS1_36merge_oddeven_config_static_selectorELNS0_4arch9wavefront6targetE1EEEvSM_ ; -- Begin function _ZN7rocprim17ROCPRIM_400000_NS6detail17trampoline_kernelINS0_14default_configENS1_38merge_sort_block_merge_config_selectorIlNS0_10empty_typeEEEZZNS1_27merge_sort_block_merge_implIS3_PlPS5_mZN2at6native12_GLOBAL__N_124unique_dim_cuda_templateIdEESt5tupleIJNSA_6TensorESF_SF_EERKSF_lbbbEUlllE_EE10hipError_tT0_T1_T2_jT3_P12ihipStream_tbPNSt15iterator_traitsISL_E10value_typeEPNSR_ISM_E10value_typeEPSN_NS1_7vsmem_tEENKUlT_SL_SM_SN_E_clIS8_S8_S9_S9_EESK_S10_SL_SM_SN_EUlS10_E1_NS1_11comp_targetILNS1_3genE2ELNS1_11target_archE906ELNS1_3gpuE6ELNS1_3repE0EEENS1_36merge_oddeven_config_static_selectorELNS0_4arch9wavefront6targetE1EEEvSM_
	.p2align	8
	.type	_ZN7rocprim17ROCPRIM_400000_NS6detail17trampoline_kernelINS0_14default_configENS1_38merge_sort_block_merge_config_selectorIlNS0_10empty_typeEEEZZNS1_27merge_sort_block_merge_implIS3_PlPS5_mZN2at6native12_GLOBAL__N_124unique_dim_cuda_templateIdEESt5tupleIJNSA_6TensorESF_SF_EERKSF_lbbbEUlllE_EE10hipError_tT0_T1_T2_jT3_P12ihipStream_tbPNSt15iterator_traitsISL_E10value_typeEPNSR_ISM_E10value_typeEPSN_NS1_7vsmem_tEENKUlT_SL_SM_SN_E_clIS8_S8_S9_S9_EESK_S10_SL_SM_SN_EUlS10_E1_NS1_11comp_targetILNS1_3genE2ELNS1_11target_archE906ELNS1_3gpuE6ELNS1_3repE0EEENS1_36merge_oddeven_config_static_selectorELNS0_4arch9wavefront6targetE1EEEvSM_,@function
_ZN7rocprim17ROCPRIM_400000_NS6detail17trampoline_kernelINS0_14default_configENS1_38merge_sort_block_merge_config_selectorIlNS0_10empty_typeEEEZZNS1_27merge_sort_block_merge_implIS3_PlPS5_mZN2at6native12_GLOBAL__N_124unique_dim_cuda_templateIdEESt5tupleIJNSA_6TensorESF_SF_EERKSF_lbbbEUlllE_EE10hipError_tT0_T1_T2_jT3_P12ihipStream_tbPNSt15iterator_traitsISL_E10value_typeEPNSR_ISM_E10value_typeEPSN_NS1_7vsmem_tEENKUlT_SL_SM_SN_E_clIS8_S8_S9_S9_EESK_S10_SL_SM_SN_EUlS10_E1_NS1_11comp_targetILNS1_3genE2ELNS1_11target_archE906ELNS1_3gpuE6ELNS1_3repE0EEENS1_36merge_oddeven_config_static_selectorELNS0_4arch9wavefront6targetE1EEEvSM_: ; @_ZN7rocprim17ROCPRIM_400000_NS6detail17trampoline_kernelINS0_14default_configENS1_38merge_sort_block_merge_config_selectorIlNS0_10empty_typeEEEZZNS1_27merge_sort_block_merge_implIS3_PlPS5_mZN2at6native12_GLOBAL__N_124unique_dim_cuda_templateIdEESt5tupleIJNSA_6TensorESF_SF_EERKSF_lbbbEUlllE_EE10hipError_tT0_T1_T2_jT3_P12ihipStream_tbPNSt15iterator_traitsISL_E10value_typeEPNSR_ISM_E10value_typeEPSN_NS1_7vsmem_tEENKUlT_SL_SM_SN_E_clIS8_S8_S9_S9_EESK_S10_SL_SM_SN_EUlS10_E1_NS1_11comp_targetILNS1_3genE2ELNS1_11target_archE906ELNS1_3gpuE6ELNS1_3repE0EEENS1_36merge_oddeven_config_static_selectorELNS0_4arch9wavefront6targetE1EEEvSM_
; %bb.0:
	.section	.rodata,"a",@progbits
	.p2align	6, 0x0
	.amdhsa_kernel _ZN7rocprim17ROCPRIM_400000_NS6detail17trampoline_kernelINS0_14default_configENS1_38merge_sort_block_merge_config_selectorIlNS0_10empty_typeEEEZZNS1_27merge_sort_block_merge_implIS3_PlPS5_mZN2at6native12_GLOBAL__N_124unique_dim_cuda_templateIdEESt5tupleIJNSA_6TensorESF_SF_EERKSF_lbbbEUlllE_EE10hipError_tT0_T1_T2_jT3_P12ihipStream_tbPNSt15iterator_traitsISL_E10value_typeEPNSR_ISM_E10value_typeEPSN_NS1_7vsmem_tEENKUlT_SL_SM_SN_E_clIS8_S8_S9_S9_EESK_S10_SL_SM_SN_EUlS10_E1_NS1_11comp_targetILNS1_3genE2ELNS1_11target_archE906ELNS1_3gpuE6ELNS1_3repE0EEENS1_36merge_oddeven_config_static_selectorELNS0_4arch9wavefront6targetE1EEEvSM_
		.amdhsa_group_segment_fixed_size 0
		.amdhsa_private_segment_fixed_size 0
		.amdhsa_kernarg_size 64
		.amdhsa_user_sgpr_count 6
		.amdhsa_user_sgpr_private_segment_buffer 1
		.amdhsa_user_sgpr_dispatch_ptr 0
		.amdhsa_user_sgpr_queue_ptr 0
		.amdhsa_user_sgpr_kernarg_segment_ptr 1
		.amdhsa_user_sgpr_dispatch_id 0
		.amdhsa_user_sgpr_flat_scratch_init 0
		.amdhsa_user_sgpr_kernarg_preload_length 0
		.amdhsa_user_sgpr_kernarg_preload_offset 0
		.amdhsa_user_sgpr_private_segment_size 0
		.amdhsa_uses_dynamic_stack 0
		.amdhsa_system_sgpr_private_segment_wavefront_offset 0
		.amdhsa_system_sgpr_workgroup_id_x 1
		.amdhsa_system_sgpr_workgroup_id_y 0
		.amdhsa_system_sgpr_workgroup_id_z 0
		.amdhsa_system_sgpr_workgroup_info 0
		.amdhsa_system_vgpr_workitem_id 0
		.amdhsa_next_free_vgpr 1
		.amdhsa_next_free_sgpr 0
		.amdhsa_accum_offset 4
		.amdhsa_reserve_vcc 0
		.amdhsa_reserve_flat_scratch 0
		.amdhsa_float_round_mode_32 0
		.amdhsa_float_round_mode_16_64 0
		.amdhsa_float_denorm_mode_32 3
		.amdhsa_float_denorm_mode_16_64 3
		.amdhsa_dx10_clamp 1
		.amdhsa_ieee_mode 1
		.amdhsa_fp16_overflow 0
		.amdhsa_tg_split 0
		.amdhsa_exception_fp_ieee_invalid_op 0
		.amdhsa_exception_fp_denorm_src 0
		.amdhsa_exception_fp_ieee_div_zero 0
		.amdhsa_exception_fp_ieee_overflow 0
		.amdhsa_exception_fp_ieee_underflow 0
		.amdhsa_exception_fp_ieee_inexact 0
		.amdhsa_exception_int_div_zero 0
	.end_amdhsa_kernel
	.section	.text._ZN7rocprim17ROCPRIM_400000_NS6detail17trampoline_kernelINS0_14default_configENS1_38merge_sort_block_merge_config_selectorIlNS0_10empty_typeEEEZZNS1_27merge_sort_block_merge_implIS3_PlPS5_mZN2at6native12_GLOBAL__N_124unique_dim_cuda_templateIdEESt5tupleIJNSA_6TensorESF_SF_EERKSF_lbbbEUlllE_EE10hipError_tT0_T1_T2_jT3_P12ihipStream_tbPNSt15iterator_traitsISL_E10value_typeEPNSR_ISM_E10value_typeEPSN_NS1_7vsmem_tEENKUlT_SL_SM_SN_E_clIS8_S8_S9_S9_EESK_S10_SL_SM_SN_EUlS10_E1_NS1_11comp_targetILNS1_3genE2ELNS1_11target_archE906ELNS1_3gpuE6ELNS1_3repE0EEENS1_36merge_oddeven_config_static_selectorELNS0_4arch9wavefront6targetE1EEEvSM_,"axG",@progbits,_ZN7rocprim17ROCPRIM_400000_NS6detail17trampoline_kernelINS0_14default_configENS1_38merge_sort_block_merge_config_selectorIlNS0_10empty_typeEEEZZNS1_27merge_sort_block_merge_implIS3_PlPS5_mZN2at6native12_GLOBAL__N_124unique_dim_cuda_templateIdEESt5tupleIJNSA_6TensorESF_SF_EERKSF_lbbbEUlllE_EE10hipError_tT0_T1_T2_jT3_P12ihipStream_tbPNSt15iterator_traitsISL_E10value_typeEPNSR_ISM_E10value_typeEPSN_NS1_7vsmem_tEENKUlT_SL_SM_SN_E_clIS8_S8_S9_S9_EESK_S10_SL_SM_SN_EUlS10_E1_NS1_11comp_targetILNS1_3genE2ELNS1_11target_archE906ELNS1_3gpuE6ELNS1_3repE0EEENS1_36merge_oddeven_config_static_selectorELNS0_4arch9wavefront6targetE1EEEvSM_,comdat
.Lfunc_end779:
	.size	_ZN7rocprim17ROCPRIM_400000_NS6detail17trampoline_kernelINS0_14default_configENS1_38merge_sort_block_merge_config_selectorIlNS0_10empty_typeEEEZZNS1_27merge_sort_block_merge_implIS3_PlPS5_mZN2at6native12_GLOBAL__N_124unique_dim_cuda_templateIdEESt5tupleIJNSA_6TensorESF_SF_EERKSF_lbbbEUlllE_EE10hipError_tT0_T1_T2_jT3_P12ihipStream_tbPNSt15iterator_traitsISL_E10value_typeEPNSR_ISM_E10value_typeEPSN_NS1_7vsmem_tEENKUlT_SL_SM_SN_E_clIS8_S8_S9_S9_EESK_S10_SL_SM_SN_EUlS10_E1_NS1_11comp_targetILNS1_3genE2ELNS1_11target_archE906ELNS1_3gpuE6ELNS1_3repE0EEENS1_36merge_oddeven_config_static_selectorELNS0_4arch9wavefront6targetE1EEEvSM_, .Lfunc_end779-_ZN7rocprim17ROCPRIM_400000_NS6detail17trampoline_kernelINS0_14default_configENS1_38merge_sort_block_merge_config_selectorIlNS0_10empty_typeEEEZZNS1_27merge_sort_block_merge_implIS3_PlPS5_mZN2at6native12_GLOBAL__N_124unique_dim_cuda_templateIdEESt5tupleIJNSA_6TensorESF_SF_EERKSF_lbbbEUlllE_EE10hipError_tT0_T1_T2_jT3_P12ihipStream_tbPNSt15iterator_traitsISL_E10value_typeEPNSR_ISM_E10value_typeEPSN_NS1_7vsmem_tEENKUlT_SL_SM_SN_E_clIS8_S8_S9_S9_EESK_S10_SL_SM_SN_EUlS10_E1_NS1_11comp_targetILNS1_3genE2ELNS1_11target_archE906ELNS1_3gpuE6ELNS1_3repE0EEENS1_36merge_oddeven_config_static_selectorELNS0_4arch9wavefront6targetE1EEEvSM_
                                        ; -- End function
	.section	.AMDGPU.csdata,"",@progbits
; Kernel info:
; codeLenInByte = 0
; NumSgprs: 4
; NumVgprs: 0
; NumAgprs: 0
; TotalNumVgprs: 0
; ScratchSize: 0
; MemoryBound: 0
; FloatMode: 240
; IeeeMode: 1
; LDSByteSize: 0 bytes/workgroup (compile time only)
; SGPRBlocks: 0
; VGPRBlocks: 0
; NumSGPRsForWavesPerEU: 4
; NumVGPRsForWavesPerEU: 1
; AccumOffset: 4
; Occupancy: 8
; WaveLimiterHint : 0
; COMPUTE_PGM_RSRC2:SCRATCH_EN: 0
; COMPUTE_PGM_RSRC2:USER_SGPR: 6
; COMPUTE_PGM_RSRC2:TRAP_HANDLER: 0
; COMPUTE_PGM_RSRC2:TGID_X_EN: 1
; COMPUTE_PGM_RSRC2:TGID_Y_EN: 0
; COMPUTE_PGM_RSRC2:TGID_Z_EN: 0
; COMPUTE_PGM_RSRC2:TIDIG_COMP_CNT: 0
; COMPUTE_PGM_RSRC3_GFX90A:ACCUM_OFFSET: 0
; COMPUTE_PGM_RSRC3_GFX90A:TG_SPLIT: 0
	.section	.text._ZN7rocprim17ROCPRIM_400000_NS6detail17trampoline_kernelINS0_14default_configENS1_38merge_sort_block_merge_config_selectorIlNS0_10empty_typeEEEZZNS1_27merge_sort_block_merge_implIS3_PlPS5_mZN2at6native12_GLOBAL__N_124unique_dim_cuda_templateIdEESt5tupleIJNSA_6TensorESF_SF_EERKSF_lbbbEUlllE_EE10hipError_tT0_T1_T2_jT3_P12ihipStream_tbPNSt15iterator_traitsISL_E10value_typeEPNSR_ISM_E10value_typeEPSN_NS1_7vsmem_tEENKUlT_SL_SM_SN_E_clIS8_S8_S9_S9_EESK_S10_SL_SM_SN_EUlS10_E1_NS1_11comp_targetILNS1_3genE9ELNS1_11target_archE1100ELNS1_3gpuE3ELNS1_3repE0EEENS1_36merge_oddeven_config_static_selectorELNS0_4arch9wavefront6targetE1EEEvSM_,"axG",@progbits,_ZN7rocprim17ROCPRIM_400000_NS6detail17trampoline_kernelINS0_14default_configENS1_38merge_sort_block_merge_config_selectorIlNS0_10empty_typeEEEZZNS1_27merge_sort_block_merge_implIS3_PlPS5_mZN2at6native12_GLOBAL__N_124unique_dim_cuda_templateIdEESt5tupleIJNSA_6TensorESF_SF_EERKSF_lbbbEUlllE_EE10hipError_tT0_T1_T2_jT3_P12ihipStream_tbPNSt15iterator_traitsISL_E10value_typeEPNSR_ISM_E10value_typeEPSN_NS1_7vsmem_tEENKUlT_SL_SM_SN_E_clIS8_S8_S9_S9_EESK_S10_SL_SM_SN_EUlS10_E1_NS1_11comp_targetILNS1_3genE9ELNS1_11target_archE1100ELNS1_3gpuE3ELNS1_3repE0EEENS1_36merge_oddeven_config_static_selectorELNS0_4arch9wavefront6targetE1EEEvSM_,comdat
	.globl	_ZN7rocprim17ROCPRIM_400000_NS6detail17trampoline_kernelINS0_14default_configENS1_38merge_sort_block_merge_config_selectorIlNS0_10empty_typeEEEZZNS1_27merge_sort_block_merge_implIS3_PlPS5_mZN2at6native12_GLOBAL__N_124unique_dim_cuda_templateIdEESt5tupleIJNSA_6TensorESF_SF_EERKSF_lbbbEUlllE_EE10hipError_tT0_T1_T2_jT3_P12ihipStream_tbPNSt15iterator_traitsISL_E10value_typeEPNSR_ISM_E10value_typeEPSN_NS1_7vsmem_tEENKUlT_SL_SM_SN_E_clIS8_S8_S9_S9_EESK_S10_SL_SM_SN_EUlS10_E1_NS1_11comp_targetILNS1_3genE9ELNS1_11target_archE1100ELNS1_3gpuE3ELNS1_3repE0EEENS1_36merge_oddeven_config_static_selectorELNS0_4arch9wavefront6targetE1EEEvSM_ ; -- Begin function _ZN7rocprim17ROCPRIM_400000_NS6detail17trampoline_kernelINS0_14default_configENS1_38merge_sort_block_merge_config_selectorIlNS0_10empty_typeEEEZZNS1_27merge_sort_block_merge_implIS3_PlPS5_mZN2at6native12_GLOBAL__N_124unique_dim_cuda_templateIdEESt5tupleIJNSA_6TensorESF_SF_EERKSF_lbbbEUlllE_EE10hipError_tT0_T1_T2_jT3_P12ihipStream_tbPNSt15iterator_traitsISL_E10value_typeEPNSR_ISM_E10value_typeEPSN_NS1_7vsmem_tEENKUlT_SL_SM_SN_E_clIS8_S8_S9_S9_EESK_S10_SL_SM_SN_EUlS10_E1_NS1_11comp_targetILNS1_3genE9ELNS1_11target_archE1100ELNS1_3gpuE3ELNS1_3repE0EEENS1_36merge_oddeven_config_static_selectorELNS0_4arch9wavefront6targetE1EEEvSM_
	.p2align	8
	.type	_ZN7rocprim17ROCPRIM_400000_NS6detail17trampoline_kernelINS0_14default_configENS1_38merge_sort_block_merge_config_selectorIlNS0_10empty_typeEEEZZNS1_27merge_sort_block_merge_implIS3_PlPS5_mZN2at6native12_GLOBAL__N_124unique_dim_cuda_templateIdEESt5tupleIJNSA_6TensorESF_SF_EERKSF_lbbbEUlllE_EE10hipError_tT0_T1_T2_jT3_P12ihipStream_tbPNSt15iterator_traitsISL_E10value_typeEPNSR_ISM_E10value_typeEPSN_NS1_7vsmem_tEENKUlT_SL_SM_SN_E_clIS8_S8_S9_S9_EESK_S10_SL_SM_SN_EUlS10_E1_NS1_11comp_targetILNS1_3genE9ELNS1_11target_archE1100ELNS1_3gpuE3ELNS1_3repE0EEENS1_36merge_oddeven_config_static_selectorELNS0_4arch9wavefront6targetE1EEEvSM_,@function
_ZN7rocprim17ROCPRIM_400000_NS6detail17trampoline_kernelINS0_14default_configENS1_38merge_sort_block_merge_config_selectorIlNS0_10empty_typeEEEZZNS1_27merge_sort_block_merge_implIS3_PlPS5_mZN2at6native12_GLOBAL__N_124unique_dim_cuda_templateIdEESt5tupleIJNSA_6TensorESF_SF_EERKSF_lbbbEUlllE_EE10hipError_tT0_T1_T2_jT3_P12ihipStream_tbPNSt15iterator_traitsISL_E10value_typeEPNSR_ISM_E10value_typeEPSN_NS1_7vsmem_tEENKUlT_SL_SM_SN_E_clIS8_S8_S9_S9_EESK_S10_SL_SM_SN_EUlS10_E1_NS1_11comp_targetILNS1_3genE9ELNS1_11target_archE1100ELNS1_3gpuE3ELNS1_3repE0EEENS1_36merge_oddeven_config_static_selectorELNS0_4arch9wavefront6targetE1EEEvSM_: ; @_ZN7rocprim17ROCPRIM_400000_NS6detail17trampoline_kernelINS0_14default_configENS1_38merge_sort_block_merge_config_selectorIlNS0_10empty_typeEEEZZNS1_27merge_sort_block_merge_implIS3_PlPS5_mZN2at6native12_GLOBAL__N_124unique_dim_cuda_templateIdEESt5tupleIJNSA_6TensorESF_SF_EERKSF_lbbbEUlllE_EE10hipError_tT0_T1_T2_jT3_P12ihipStream_tbPNSt15iterator_traitsISL_E10value_typeEPNSR_ISM_E10value_typeEPSN_NS1_7vsmem_tEENKUlT_SL_SM_SN_E_clIS8_S8_S9_S9_EESK_S10_SL_SM_SN_EUlS10_E1_NS1_11comp_targetILNS1_3genE9ELNS1_11target_archE1100ELNS1_3gpuE3ELNS1_3repE0EEENS1_36merge_oddeven_config_static_selectorELNS0_4arch9wavefront6targetE1EEEvSM_
; %bb.0:
	.section	.rodata,"a",@progbits
	.p2align	6, 0x0
	.amdhsa_kernel _ZN7rocprim17ROCPRIM_400000_NS6detail17trampoline_kernelINS0_14default_configENS1_38merge_sort_block_merge_config_selectorIlNS0_10empty_typeEEEZZNS1_27merge_sort_block_merge_implIS3_PlPS5_mZN2at6native12_GLOBAL__N_124unique_dim_cuda_templateIdEESt5tupleIJNSA_6TensorESF_SF_EERKSF_lbbbEUlllE_EE10hipError_tT0_T1_T2_jT3_P12ihipStream_tbPNSt15iterator_traitsISL_E10value_typeEPNSR_ISM_E10value_typeEPSN_NS1_7vsmem_tEENKUlT_SL_SM_SN_E_clIS8_S8_S9_S9_EESK_S10_SL_SM_SN_EUlS10_E1_NS1_11comp_targetILNS1_3genE9ELNS1_11target_archE1100ELNS1_3gpuE3ELNS1_3repE0EEENS1_36merge_oddeven_config_static_selectorELNS0_4arch9wavefront6targetE1EEEvSM_
		.amdhsa_group_segment_fixed_size 0
		.amdhsa_private_segment_fixed_size 0
		.amdhsa_kernarg_size 64
		.amdhsa_user_sgpr_count 6
		.amdhsa_user_sgpr_private_segment_buffer 1
		.amdhsa_user_sgpr_dispatch_ptr 0
		.amdhsa_user_sgpr_queue_ptr 0
		.amdhsa_user_sgpr_kernarg_segment_ptr 1
		.amdhsa_user_sgpr_dispatch_id 0
		.amdhsa_user_sgpr_flat_scratch_init 0
		.amdhsa_user_sgpr_kernarg_preload_length 0
		.amdhsa_user_sgpr_kernarg_preload_offset 0
		.amdhsa_user_sgpr_private_segment_size 0
		.amdhsa_uses_dynamic_stack 0
		.amdhsa_system_sgpr_private_segment_wavefront_offset 0
		.amdhsa_system_sgpr_workgroup_id_x 1
		.amdhsa_system_sgpr_workgroup_id_y 0
		.amdhsa_system_sgpr_workgroup_id_z 0
		.amdhsa_system_sgpr_workgroup_info 0
		.amdhsa_system_vgpr_workitem_id 0
		.amdhsa_next_free_vgpr 1
		.amdhsa_next_free_sgpr 0
		.amdhsa_accum_offset 4
		.amdhsa_reserve_vcc 0
		.amdhsa_reserve_flat_scratch 0
		.amdhsa_float_round_mode_32 0
		.amdhsa_float_round_mode_16_64 0
		.amdhsa_float_denorm_mode_32 3
		.amdhsa_float_denorm_mode_16_64 3
		.amdhsa_dx10_clamp 1
		.amdhsa_ieee_mode 1
		.amdhsa_fp16_overflow 0
		.amdhsa_tg_split 0
		.amdhsa_exception_fp_ieee_invalid_op 0
		.amdhsa_exception_fp_denorm_src 0
		.amdhsa_exception_fp_ieee_div_zero 0
		.amdhsa_exception_fp_ieee_overflow 0
		.amdhsa_exception_fp_ieee_underflow 0
		.amdhsa_exception_fp_ieee_inexact 0
		.amdhsa_exception_int_div_zero 0
	.end_amdhsa_kernel
	.section	.text._ZN7rocprim17ROCPRIM_400000_NS6detail17trampoline_kernelINS0_14default_configENS1_38merge_sort_block_merge_config_selectorIlNS0_10empty_typeEEEZZNS1_27merge_sort_block_merge_implIS3_PlPS5_mZN2at6native12_GLOBAL__N_124unique_dim_cuda_templateIdEESt5tupleIJNSA_6TensorESF_SF_EERKSF_lbbbEUlllE_EE10hipError_tT0_T1_T2_jT3_P12ihipStream_tbPNSt15iterator_traitsISL_E10value_typeEPNSR_ISM_E10value_typeEPSN_NS1_7vsmem_tEENKUlT_SL_SM_SN_E_clIS8_S8_S9_S9_EESK_S10_SL_SM_SN_EUlS10_E1_NS1_11comp_targetILNS1_3genE9ELNS1_11target_archE1100ELNS1_3gpuE3ELNS1_3repE0EEENS1_36merge_oddeven_config_static_selectorELNS0_4arch9wavefront6targetE1EEEvSM_,"axG",@progbits,_ZN7rocprim17ROCPRIM_400000_NS6detail17trampoline_kernelINS0_14default_configENS1_38merge_sort_block_merge_config_selectorIlNS0_10empty_typeEEEZZNS1_27merge_sort_block_merge_implIS3_PlPS5_mZN2at6native12_GLOBAL__N_124unique_dim_cuda_templateIdEESt5tupleIJNSA_6TensorESF_SF_EERKSF_lbbbEUlllE_EE10hipError_tT0_T1_T2_jT3_P12ihipStream_tbPNSt15iterator_traitsISL_E10value_typeEPNSR_ISM_E10value_typeEPSN_NS1_7vsmem_tEENKUlT_SL_SM_SN_E_clIS8_S8_S9_S9_EESK_S10_SL_SM_SN_EUlS10_E1_NS1_11comp_targetILNS1_3genE9ELNS1_11target_archE1100ELNS1_3gpuE3ELNS1_3repE0EEENS1_36merge_oddeven_config_static_selectorELNS0_4arch9wavefront6targetE1EEEvSM_,comdat
.Lfunc_end780:
	.size	_ZN7rocprim17ROCPRIM_400000_NS6detail17trampoline_kernelINS0_14default_configENS1_38merge_sort_block_merge_config_selectorIlNS0_10empty_typeEEEZZNS1_27merge_sort_block_merge_implIS3_PlPS5_mZN2at6native12_GLOBAL__N_124unique_dim_cuda_templateIdEESt5tupleIJNSA_6TensorESF_SF_EERKSF_lbbbEUlllE_EE10hipError_tT0_T1_T2_jT3_P12ihipStream_tbPNSt15iterator_traitsISL_E10value_typeEPNSR_ISM_E10value_typeEPSN_NS1_7vsmem_tEENKUlT_SL_SM_SN_E_clIS8_S8_S9_S9_EESK_S10_SL_SM_SN_EUlS10_E1_NS1_11comp_targetILNS1_3genE9ELNS1_11target_archE1100ELNS1_3gpuE3ELNS1_3repE0EEENS1_36merge_oddeven_config_static_selectorELNS0_4arch9wavefront6targetE1EEEvSM_, .Lfunc_end780-_ZN7rocprim17ROCPRIM_400000_NS6detail17trampoline_kernelINS0_14default_configENS1_38merge_sort_block_merge_config_selectorIlNS0_10empty_typeEEEZZNS1_27merge_sort_block_merge_implIS3_PlPS5_mZN2at6native12_GLOBAL__N_124unique_dim_cuda_templateIdEESt5tupleIJNSA_6TensorESF_SF_EERKSF_lbbbEUlllE_EE10hipError_tT0_T1_T2_jT3_P12ihipStream_tbPNSt15iterator_traitsISL_E10value_typeEPNSR_ISM_E10value_typeEPSN_NS1_7vsmem_tEENKUlT_SL_SM_SN_E_clIS8_S8_S9_S9_EESK_S10_SL_SM_SN_EUlS10_E1_NS1_11comp_targetILNS1_3genE9ELNS1_11target_archE1100ELNS1_3gpuE3ELNS1_3repE0EEENS1_36merge_oddeven_config_static_selectorELNS0_4arch9wavefront6targetE1EEEvSM_
                                        ; -- End function
	.section	.AMDGPU.csdata,"",@progbits
; Kernel info:
; codeLenInByte = 0
; NumSgprs: 4
; NumVgprs: 0
; NumAgprs: 0
; TotalNumVgprs: 0
; ScratchSize: 0
; MemoryBound: 0
; FloatMode: 240
; IeeeMode: 1
; LDSByteSize: 0 bytes/workgroup (compile time only)
; SGPRBlocks: 0
; VGPRBlocks: 0
; NumSGPRsForWavesPerEU: 4
; NumVGPRsForWavesPerEU: 1
; AccumOffset: 4
; Occupancy: 8
; WaveLimiterHint : 0
; COMPUTE_PGM_RSRC2:SCRATCH_EN: 0
; COMPUTE_PGM_RSRC2:USER_SGPR: 6
; COMPUTE_PGM_RSRC2:TRAP_HANDLER: 0
; COMPUTE_PGM_RSRC2:TGID_X_EN: 1
; COMPUTE_PGM_RSRC2:TGID_Y_EN: 0
; COMPUTE_PGM_RSRC2:TGID_Z_EN: 0
; COMPUTE_PGM_RSRC2:TIDIG_COMP_CNT: 0
; COMPUTE_PGM_RSRC3_GFX90A:ACCUM_OFFSET: 0
; COMPUTE_PGM_RSRC3_GFX90A:TG_SPLIT: 0
	.section	.text._ZN7rocprim17ROCPRIM_400000_NS6detail17trampoline_kernelINS0_14default_configENS1_38merge_sort_block_merge_config_selectorIlNS0_10empty_typeEEEZZNS1_27merge_sort_block_merge_implIS3_PlPS5_mZN2at6native12_GLOBAL__N_124unique_dim_cuda_templateIdEESt5tupleIJNSA_6TensorESF_SF_EERKSF_lbbbEUlllE_EE10hipError_tT0_T1_T2_jT3_P12ihipStream_tbPNSt15iterator_traitsISL_E10value_typeEPNSR_ISM_E10value_typeEPSN_NS1_7vsmem_tEENKUlT_SL_SM_SN_E_clIS8_S8_S9_S9_EESK_S10_SL_SM_SN_EUlS10_E1_NS1_11comp_targetILNS1_3genE8ELNS1_11target_archE1030ELNS1_3gpuE2ELNS1_3repE0EEENS1_36merge_oddeven_config_static_selectorELNS0_4arch9wavefront6targetE1EEEvSM_,"axG",@progbits,_ZN7rocprim17ROCPRIM_400000_NS6detail17trampoline_kernelINS0_14default_configENS1_38merge_sort_block_merge_config_selectorIlNS0_10empty_typeEEEZZNS1_27merge_sort_block_merge_implIS3_PlPS5_mZN2at6native12_GLOBAL__N_124unique_dim_cuda_templateIdEESt5tupleIJNSA_6TensorESF_SF_EERKSF_lbbbEUlllE_EE10hipError_tT0_T1_T2_jT3_P12ihipStream_tbPNSt15iterator_traitsISL_E10value_typeEPNSR_ISM_E10value_typeEPSN_NS1_7vsmem_tEENKUlT_SL_SM_SN_E_clIS8_S8_S9_S9_EESK_S10_SL_SM_SN_EUlS10_E1_NS1_11comp_targetILNS1_3genE8ELNS1_11target_archE1030ELNS1_3gpuE2ELNS1_3repE0EEENS1_36merge_oddeven_config_static_selectorELNS0_4arch9wavefront6targetE1EEEvSM_,comdat
	.globl	_ZN7rocprim17ROCPRIM_400000_NS6detail17trampoline_kernelINS0_14default_configENS1_38merge_sort_block_merge_config_selectorIlNS0_10empty_typeEEEZZNS1_27merge_sort_block_merge_implIS3_PlPS5_mZN2at6native12_GLOBAL__N_124unique_dim_cuda_templateIdEESt5tupleIJNSA_6TensorESF_SF_EERKSF_lbbbEUlllE_EE10hipError_tT0_T1_T2_jT3_P12ihipStream_tbPNSt15iterator_traitsISL_E10value_typeEPNSR_ISM_E10value_typeEPSN_NS1_7vsmem_tEENKUlT_SL_SM_SN_E_clIS8_S8_S9_S9_EESK_S10_SL_SM_SN_EUlS10_E1_NS1_11comp_targetILNS1_3genE8ELNS1_11target_archE1030ELNS1_3gpuE2ELNS1_3repE0EEENS1_36merge_oddeven_config_static_selectorELNS0_4arch9wavefront6targetE1EEEvSM_ ; -- Begin function _ZN7rocprim17ROCPRIM_400000_NS6detail17trampoline_kernelINS0_14default_configENS1_38merge_sort_block_merge_config_selectorIlNS0_10empty_typeEEEZZNS1_27merge_sort_block_merge_implIS3_PlPS5_mZN2at6native12_GLOBAL__N_124unique_dim_cuda_templateIdEESt5tupleIJNSA_6TensorESF_SF_EERKSF_lbbbEUlllE_EE10hipError_tT0_T1_T2_jT3_P12ihipStream_tbPNSt15iterator_traitsISL_E10value_typeEPNSR_ISM_E10value_typeEPSN_NS1_7vsmem_tEENKUlT_SL_SM_SN_E_clIS8_S8_S9_S9_EESK_S10_SL_SM_SN_EUlS10_E1_NS1_11comp_targetILNS1_3genE8ELNS1_11target_archE1030ELNS1_3gpuE2ELNS1_3repE0EEENS1_36merge_oddeven_config_static_selectorELNS0_4arch9wavefront6targetE1EEEvSM_
	.p2align	8
	.type	_ZN7rocprim17ROCPRIM_400000_NS6detail17trampoline_kernelINS0_14default_configENS1_38merge_sort_block_merge_config_selectorIlNS0_10empty_typeEEEZZNS1_27merge_sort_block_merge_implIS3_PlPS5_mZN2at6native12_GLOBAL__N_124unique_dim_cuda_templateIdEESt5tupleIJNSA_6TensorESF_SF_EERKSF_lbbbEUlllE_EE10hipError_tT0_T1_T2_jT3_P12ihipStream_tbPNSt15iterator_traitsISL_E10value_typeEPNSR_ISM_E10value_typeEPSN_NS1_7vsmem_tEENKUlT_SL_SM_SN_E_clIS8_S8_S9_S9_EESK_S10_SL_SM_SN_EUlS10_E1_NS1_11comp_targetILNS1_3genE8ELNS1_11target_archE1030ELNS1_3gpuE2ELNS1_3repE0EEENS1_36merge_oddeven_config_static_selectorELNS0_4arch9wavefront6targetE1EEEvSM_,@function
_ZN7rocprim17ROCPRIM_400000_NS6detail17trampoline_kernelINS0_14default_configENS1_38merge_sort_block_merge_config_selectorIlNS0_10empty_typeEEEZZNS1_27merge_sort_block_merge_implIS3_PlPS5_mZN2at6native12_GLOBAL__N_124unique_dim_cuda_templateIdEESt5tupleIJNSA_6TensorESF_SF_EERKSF_lbbbEUlllE_EE10hipError_tT0_T1_T2_jT3_P12ihipStream_tbPNSt15iterator_traitsISL_E10value_typeEPNSR_ISM_E10value_typeEPSN_NS1_7vsmem_tEENKUlT_SL_SM_SN_E_clIS8_S8_S9_S9_EESK_S10_SL_SM_SN_EUlS10_E1_NS1_11comp_targetILNS1_3genE8ELNS1_11target_archE1030ELNS1_3gpuE2ELNS1_3repE0EEENS1_36merge_oddeven_config_static_selectorELNS0_4arch9wavefront6targetE1EEEvSM_: ; @_ZN7rocprim17ROCPRIM_400000_NS6detail17trampoline_kernelINS0_14default_configENS1_38merge_sort_block_merge_config_selectorIlNS0_10empty_typeEEEZZNS1_27merge_sort_block_merge_implIS3_PlPS5_mZN2at6native12_GLOBAL__N_124unique_dim_cuda_templateIdEESt5tupleIJNSA_6TensorESF_SF_EERKSF_lbbbEUlllE_EE10hipError_tT0_T1_T2_jT3_P12ihipStream_tbPNSt15iterator_traitsISL_E10value_typeEPNSR_ISM_E10value_typeEPSN_NS1_7vsmem_tEENKUlT_SL_SM_SN_E_clIS8_S8_S9_S9_EESK_S10_SL_SM_SN_EUlS10_E1_NS1_11comp_targetILNS1_3genE8ELNS1_11target_archE1030ELNS1_3gpuE2ELNS1_3repE0EEENS1_36merge_oddeven_config_static_selectorELNS0_4arch9wavefront6targetE1EEEvSM_
; %bb.0:
	.section	.rodata,"a",@progbits
	.p2align	6, 0x0
	.amdhsa_kernel _ZN7rocprim17ROCPRIM_400000_NS6detail17trampoline_kernelINS0_14default_configENS1_38merge_sort_block_merge_config_selectorIlNS0_10empty_typeEEEZZNS1_27merge_sort_block_merge_implIS3_PlPS5_mZN2at6native12_GLOBAL__N_124unique_dim_cuda_templateIdEESt5tupleIJNSA_6TensorESF_SF_EERKSF_lbbbEUlllE_EE10hipError_tT0_T1_T2_jT3_P12ihipStream_tbPNSt15iterator_traitsISL_E10value_typeEPNSR_ISM_E10value_typeEPSN_NS1_7vsmem_tEENKUlT_SL_SM_SN_E_clIS8_S8_S9_S9_EESK_S10_SL_SM_SN_EUlS10_E1_NS1_11comp_targetILNS1_3genE8ELNS1_11target_archE1030ELNS1_3gpuE2ELNS1_3repE0EEENS1_36merge_oddeven_config_static_selectorELNS0_4arch9wavefront6targetE1EEEvSM_
		.amdhsa_group_segment_fixed_size 0
		.amdhsa_private_segment_fixed_size 0
		.amdhsa_kernarg_size 64
		.amdhsa_user_sgpr_count 6
		.amdhsa_user_sgpr_private_segment_buffer 1
		.amdhsa_user_sgpr_dispatch_ptr 0
		.amdhsa_user_sgpr_queue_ptr 0
		.amdhsa_user_sgpr_kernarg_segment_ptr 1
		.amdhsa_user_sgpr_dispatch_id 0
		.amdhsa_user_sgpr_flat_scratch_init 0
		.amdhsa_user_sgpr_kernarg_preload_length 0
		.amdhsa_user_sgpr_kernarg_preload_offset 0
		.amdhsa_user_sgpr_private_segment_size 0
		.amdhsa_uses_dynamic_stack 0
		.amdhsa_system_sgpr_private_segment_wavefront_offset 0
		.amdhsa_system_sgpr_workgroup_id_x 1
		.amdhsa_system_sgpr_workgroup_id_y 0
		.amdhsa_system_sgpr_workgroup_id_z 0
		.amdhsa_system_sgpr_workgroup_info 0
		.amdhsa_system_vgpr_workitem_id 0
		.amdhsa_next_free_vgpr 1
		.amdhsa_next_free_sgpr 0
		.amdhsa_accum_offset 4
		.amdhsa_reserve_vcc 0
		.amdhsa_reserve_flat_scratch 0
		.amdhsa_float_round_mode_32 0
		.amdhsa_float_round_mode_16_64 0
		.amdhsa_float_denorm_mode_32 3
		.amdhsa_float_denorm_mode_16_64 3
		.amdhsa_dx10_clamp 1
		.amdhsa_ieee_mode 1
		.amdhsa_fp16_overflow 0
		.amdhsa_tg_split 0
		.amdhsa_exception_fp_ieee_invalid_op 0
		.amdhsa_exception_fp_denorm_src 0
		.amdhsa_exception_fp_ieee_div_zero 0
		.amdhsa_exception_fp_ieee_overflow 0
		.amdhsa_exception_fp_ieee_underflow 0
		.amdhsa_exception_fp_ieee_inexact 0
		.amdhsa_exception_int_div_zero 0
	.end_amdhsa_kernel
	.section	.text._ZN7rocprim17ROCPRIM_400000_NS6detail17trampoline_kernelINS0_14default_configENS1_38merge_sort_block_merge_config_selectorIlNS0_10empty_typeEEEZZNS1_27merge_sort_block_merge_implIS3_PlPS5_mZN2at6native12_GLOBAL__N_124unique_dim_cuda_templateIdEESt5tupleIJNSA_6TensorESF_SF_EERKSF_lbbbEUlllE_EE10hipError_tT0_T1_T2_jT3_P12ihipStream_tbPNSt15iterator_traitsISL_E10value_typeEPNSR_ISM_E10value_typeEPSN_NS1_7vsmem_tEENKUlT_SL_SM_SN_E_clIS8_S8_S9_S9_EESK_S10_SL_SM_SN_EUlS10_E1_NS1_11comp_targetILNS1_3genE8ELNS1_11target_archE1030ELNS1_3gpuE2ELNS1_3repE0EEENS1_36merge_oddeven_config_static_selectorELNS0_4arch9wavefront6targetE1EEEvSM_,"axG",@progbits,_ZN7rocprim17ROCPRIM_400000_NS6detail17trampoline_kernelINS0_14default_configENS1_38merge_sort_block_merge_config_selectorIlNS0_10empty_typeEEEZZNS1_27merge_sort_block_merge_implIS3_PlPS5_mZN2at6native12_GLOBAL__N_124unique_dim_cuda_templateIdEESt5tupleIJNSA_6TensorESF_SF_EERKSF_lbbbEUlllE_EE10hipError_tT0_T1_T2_jT3_P12ihipStream_tbPNSt15iterator_traitsISL_E10value_typeEPNSR_ISM_E10value_typeEPSN_NS1_7vsmem_tEENKUlT_SL_SM_SN_E_clIS8_S8_S9_S9_EESK_S10_SL_SM_SN_EUlS10_E1_NS1_11comp_targetILNS1_3genE8ELNS1_11target_archE1030ELNS1_3gpuE2ELNS1_3repE0EEENS1_36merge_oddeven_config_static_selectorELNS0_4arch9wavefront6targetE1EEEvSM_,comdat
.Lfunc_end781:
	.size	_ZN7rocprim17ROCPRIM_400000_NS6detail17trampoline_kernelINS0_14default_configENS1_38merge_sort_block_merge_config_selectorIlNS0_10empty_typeEEEZZNS1_27merge_sort_block_merge_implIS3_PlPS5_mZN2at6native12_GLOBAL__N_124unique_dim_cuda_templateIdEESt5tupleIJNSA_6TensorESF_SF_EERKSF_lbbbEUlllE_EE10hipError_tT0_T1_T2_jT3_P12ihipStream_tbPNSt15iterator_traitsISL_E10value_typeEPNSR_ISM_E10value_typeEPSN_NS1_7vsmem_tEENKUlT_SL_SM_SN_E_clIS8_S8_S9_S9_EESK_S10_SL_SM_SN_EUlS10_E1_NS1_11comp_targetILNS1_3genE8ELNS1_11target_archE1030ELNS1_3gpuE2ELNS1_3repE0EEENS1_36merge_oddeven_config_static_selectorELNS0_4arch9wavefront6targetE1EEEvSM_, .Lfunc_end781-_ZN7rocprim17ROCPRIM_400000_NS6detail17trampoline_kernelINS0_14default_configENS1_38merge_sort_block_merge_config_selectorIlNS0_10empty_typeEEEZZNS1_27merge_sort_block_merge_implIS3_PlPS5_mZN2at6native12_GLOBAL__N_124unique_dim_cuda_templateIdEESt5tupleIJNSA_6TensorESF_SF_EERKSF_lbbbEUlllE_EE10hipError_tT0_T1_T2_jT3_P12ihipStream_tbPNSt15iterator_traitsISL_E10value_typeEPNSR_ISM_E10value_typeEPSN_NS1_7vsmem_tEENKUlT_SL_SM_SN_E_clIS8_S8_S9_S9_EESK_S10_SL_SM_SN_EUlS10_E1_NS1_11comp_targetILNS1_3genE8ELNS1_11target_archE1030ELNS1_3gpuE2ELNS1_3repE0EEENS1_36merge_oddeven_config_static_selectorELNS0_4arch9wavefront6targetE1EEEvSM_
                                        ; -- End function
	.section	.AMDGPU.csdata,"",@progbits
; Kernel info:
; codeLenInByte = 0
; NumSgprs: 4
; NumVgprs: 0
; NumAgprs: 0
; TotalNumVgprs: 0
; ScratchSize: 0
; MemoryBound: 0
; FloatMode: 240
; IeeeMode: 1
; LDSByteSize: 0 bytes/workgroup (compile time only)
; SGPRBlocks: 0
; VGPRBlocks: 0
; NumSGPRsForWavesPerEU: 4
; NumVGPRsForWavesPerEU: 1
; AccumOffset: 4
; Occupancy: 8
; WaveLimiterHint : 0
; COMPUTE_PGM_RSRC2:SCRATCH_EN: 0
; COMPUTE_PGM_RSRC2:USER_SGPR: 6
; COMPUTE_PGM_RSRC2:TRAP_HANDLER: 0
; COMPUTE_PGM_RSRC2:TGID_X_EN: 1
; COMPUTE_PGM_RSRC2:TGID_Y_EN: 0
; COMPUTE_PGM_RSRC2:TGID_Z_EN: 0
; COMPUTE_PGM_RSRC2:TIDIG_COMP_CNT: 0
; COMPUTE_PGM_RSRC3_GFX90A:ACCUM_OFFSET: 0
; COMPUTE_PGM_RSRC3_GFX90A:TG_SPLIT: 0
	.section	.text._ZN7rocprim17ROCPRIM_400000_NS6detail17trampoline_kernelINS0_14default_configENS1_35adjacent_difference_config_selectorILb0ElEEZNS1_24adjacent_difference_implIS3_Lb0ELb0EPlS7_ZN2at6native12_GLOBAL__N_124unique_dim_cuda_templateIdEESt5tupleIJNS8_6TensorESD_SD_EERKSD_lbbbEUlllE1_EE10hipError_tPvRmT2_T3_mT4_P12ihipStream_tbEUlT_E_NS1_11comp_targetILNS1_3genE0ELNS1_11target_archE4294967295ELNS1_3gpuE0ELNS1_3repE0EEENS1_30default_config_static_selectorELNS0_4arch9wavefront6targetE1EEEvT1_,"axG",@progbits,_ZN7rocprim17ROCPRIM_400000_NS6detail17trampoline_kernelINS0_14default_configENS1_35adjacent_difference_config_selectorILb0ElEEZNS1_24adjacent_difference_implIS3_Lb0ELb0EPlS7_ZN2at6native12_GLOBAL__N_124unique_dim_cuda_templateIdEESt5tupleIJNS8_6TensorESD_SD_EERKSD_lbbbEUlllE1_EE10hipError_tPvRmT2_T3_mT4_P12ihipStream_tbEUlT_E_NS1_11comp_targetILNS1_3genE0ELNS1_11target_archE4294967295ELNS1_3gpuE0ELNS1_3repE0EEENS1_30default_config_static_selectorELNS0_4arch9wavefront6targetE1EEEvT1_,comdat
	.globl	_ZN7rocprim17ROCPRIM_400000_NS6detail17trampoline_kernelINS0_14default_configENS1_35adjacent_difference_config_selectorILb0ElEEZNS1_24adjacent_difference_implIS3_Lb0ELb0EPlS7_ZN2at6native12_GLOBAL__N_124unique_dim_cuda_templateIdEESt5tupleIJNS8_6TensorESD_SD_EERKSD_lbbbEUlllE1_EE10hipError_tPvRmT2_T3_mT4_P12ihipStream_tbEUlT_E_NS1_11comp_targetILNS1_3genE0ELNS1_11target_archE4294967295ELNS1_3gpuE0ELNS1_3repE0EEENS1_30default_config_static_selectorELNS0_4arch9wavefront6targetE1EEEvT1_ ; -- Begin function _ZN7rocprim17ROCPRIM_400000_NS6detail17trampoline_kernelINS0_14default_configENS1_35adjacent_difference_config_selectorILb0ElEEZNS1_24adjacent_difference_implIS3_Lb0ELb0EPlS7_ZN2at6native12_GLOBAL__N_124unique_dim_cuda_templateIdEESt5tupleIJNS8_6TensorESD_SD_EERKSD_lbbbEUlllE1_EE10hipError_tPvRmT2_T3_mT4_P12ihipStream_tbEUlT_E_NS1_11comp_targetILNS1_3genE0ELNS1_11target_archE4294967295ELNS1_3gpuE0ELNS1_3repE0EEENS1_30default_config_static_selectorELNS0_4arch9wavefront6targetE1EEEvT1_
	.p2align	8
	.type	_ZN7rocprim17ROCPRIM_400000_NS6detail17trampoline_kernelINS0_14default_configENS1_35adjacent_difference_config_selectorILb0ElEEZNS1_24adjacent_difference_implIS3_Lb0ELb0EPlS7_ZN2at6native12_GLOBAL__N_124unique_dim_cuda_templateIdEESt5tupleIJNS8_6TensorESD_SD_EERKSD_lbbbEUlllE1_EE10hipError_tPvRmT2_T3_mT4_P12ihipStream_tbEUlT_E_NS1_11comp_targetILNS1_3genE0ELNS1_11target_archE4294967295ELNS1_3gpuE0ELNS1_3repE0EEENS1_30default_config_static_selectorELNS0_4arch9wavefront6targetE1EEEvT1_,@function
_ZN7rocprim17ROCPRIM_400000_NS6detail17trampoline_kernelINS0_14default_configENS1_35adjacent_difference_config_selectorILb0ElEEZNS1_24adjacent_difference_implIS3_Lb0ELb0EPlS7_ZN2at6native12_GLOBAL__N_124unique_dim_cuda_templateIdEESt5tupleIJNS8_6TensorESD_SD_EERKSD_lbbbEUlllE1_EE10hipError_tPvRmT2_T3_mT4_P12ihipStream_tbEUlT_E_NS1_11comp_targetILNS1_3genE0ELNS1_11target_archE4294967295ELNS1_3gpuE0ELNS1_3repE0EEENS1_30default_config_static_selectorELNS0_4arch9wavefront6targetE1EEEvT1_: ; @_ZN7rocprim17ROCPRIM_400000_NS6detail17trampoline_kernelINS0_14default_configENS1_35adjacent_difference_config_selectorILb0ElEEZNS1_24adjacent_difference_implIS3_Lb0ELb0EPlS7_ZN2at6native12_GLOBAL__N_124unique_dim_cuda_templateIdEESt5tupleIJNS8_6TensorESD_SD_EERKSD_lbbbEUlllE1_EE10hipError_tPvRmT2_T3_mT4_P12ihipStream_tbEUlT_E_NS1_11comp_targetILNS1_3genE0ELNS1_11target_archE4294967295ELNS1_3gpuE0ELNS1_3repE0EEENS1_30default_config_static_selectorELNS0_4arch9wavefront6targetE1EEEvT1_
; %bb.0:
	.section	.rodata,"a",@progbits
	.p2align	6, 0x0
	.amdhsa_kernel _ZN7rocprim17ROCPRIM_400000_NS6detail17trampoline_kernelINS0_14default_configENS1_35adjacent_difference_config_selectorILb0ElEEZNS1_24adjacent_difference_implIS3_Lb0ELb0EPlS7_ZN2at6native12_GLOBAL__N_124unique_dim_cuda_templateIdEESt5tupleIJNS8_6TensorESD_SD_EERKSD_lbbbEUlllE1_EE10hipError_tPvRmT2_T3_mT4_P12ihipStream_tbEUlT_E_NS1_11comp_targetILNS1_3genE0ELNS1_11target_archE4294967295ELNS1_3gpuE0ELNS1_3repE0EEENS1_30default_config_static_selectorELNS0_4arch9wavefront6targetE1EEEvT1_
		.amdhsa_group_segment_fixed_size 0
		.amdhsa_private_segment_fixed_size 0
		.amdhsa_kernarg_size 64
		.amdhsa_user_sgpr_count 6
		.amdhsa_user_sgpr_private_segment_buffer 1
		.amdhsa_user_sgpr_dispatch_ptr 0
		.amdhsa_user_sgpr_queue_ptr 0
		.amdhsa_user_sgpr_kernarg_segment_ptr 1
		.amdhsa_user_sgpr_dispatch_id 0
		.amdhsa_user_sgpr_flat_scratch_init 0
		.amdhsa_user_sgpr_kernarg_preload_length 0
		.amdhsa_user_sgpr_kernarg_preload_offset 0
		.amdhsa_user_sgpr_private_segment_size 0
		.amdhsa_uses_dynamic_stack 0
		.amdhsa_system_sgpr_private_segment_wavefront_offset 0
		.amdhsa_system_sgpr_workgroup_id_x 1
		.amdhsa_system_sgpr_workgroup_id_y 0
		.amdhsa_system_sgpr_workgroup_id_z 0
		.amdhsa_system_sgpr_workgroup_info 0
		.amdhsa_system_vgpr_workitem_id 0
		.amdhsa_next_free_vgpr 1
		.amdhsa_next_free_sgpr 0
		.amdhsa_accum_offset 4
		.amdhsa_reserve_vcc 0
		.amdhsa_reserve_flat_scratch 0
		.amdhsa_float_round_mode_32 0
		.amdhsa_float_round_mode_16_64 0
		.amdhsa_float_denorm_mode_32 3
		.amdhsa_float_denorm_mode_16_64 3
		.amdhsa_dx10_clamp 1
		.amdhsa_ieee_mode 1
		.amdhsa_fp16_overflow 0
		.amdhsa_tg_split 0
		.amdhsa_exception_fp_ieee_invalid_op 0
		.amdhsa_exception_fp_denorm_src 0
		.amdhsa_exception_fp_ieee_div_zero 0
		.amdhsa_exception_fp_ieee_overflow 0
		.amdhsa_exception_fp_ieee_underflow 0
		.amdhsa_exception_fp_ieee_inexact 0
		.amdhsa_exception_int_div_zero 0
	.end_amdhsa_kernel
	.section	.text._ZN7rocprim17ROCPRIM_400000_NS6detail17trampoline_kernelINS0_14default_configENS1_35adjacent_difference_config_selectorILb0ElEEZNS1_24adjacent_difference_implIS3_Lb0ELb0EPlS7_ZN2at6native12_GLOBAL__N_124unique_dim_cuda_templateIdEESt5tupleIJNS8_6TensorESD_SD_EERKSD_lbbbEUlllE1_EE10hipError_tPvRmT2_T3_mT4_P12ihipStream_tbEUlT_E_NS1_11comp_targetILNS1_3genE0ELNS1_11target_archE4294967295ELNS1_3gpuE0ELNS1_3repE0EEENS1_30default_config_static_selectorELNS0_4arch9wavefront6targetE1EEEvT1_,"axG",@progbits,_ZN7rocprim17ROCPRIM_400000_NS6detail17trampoline_kernelINS0_14default_configENS1_35adjacent_difference_config_selectorILb0ElEEZNS1_24adjacent_difference_implIS3_Lb0ELb0EPlS7_ZN2at6native12_GLOBAL__N_124unique_dim_cuda_templateIdEESt5tupleIJNS8_6TensorESD_SD_EERKSD_lbbbEUlllE1_EE10hipError_tPvRmT2_T3_mT4_P12ihipStream_tbEUlT_E_NS1_11comp_targetILNS1_3genE0ELNS1_11target_archE4294967295ELNS1_3gpuE0ELNS1_3repE0EEENS1_30default_config_static_selectorELNS0_4arch9wavefront6targetE1EEEvT1_,comdat
.Lfunc_end782:
	.size	_ZN7rocprim17ROCPRIM_400000_NS6detail17trampoline_kernelINS0_14default_configENS1_35adjacent_difference_config_selectorILb0ElEEZNS1_24adjacent_difference_implIS3_Lb0ELb0EPlS7_ZN2at6native12_GLOBAL__N_124unique_dim_cuda_templateIdEESt5tupleIJNS8_6TensorESD_SD_EERKSD_lbbbEUlllE1_EE10hipError_tPvRmT2_T3_mT4_P12ihipStream_tbEUlT_E_NS1_11comp_targetILNS1_3genE0ELNS1_11target_archE4294967295ELNS1_3gpuE0ELNS1_3repE0EEENS1_30default_config_static_selectorELNS0_4arch9wavefront6targetE1EEEvT1_, .Lfunc_end782-_ZN7rocprim17ROCPRIM_400000_NS6detail17trampoline_kernelINS0_14default_configENS1_35adjacent_difference_config_selectorILb0ElEEZNS1_24adjacent_difference_implIS3_Lb0ELb0EPlS7_ZN2at6native12_GLOBAL__N_124unique_dim_cuda_templateIdEESt5tupleIJNS8_6TensorESD_SD_EERKSD_lbbbEUlllE1_EE10hipError_tPvRmT2_T3_mT4_P12ihipStream_tbEUlT_E_NS1_11comp_targetILNS1_3genE0ELNS1_11target_archE4294967295ELNS1_3gpuE0ELNS1_3repE0EEENS1_30default_config_static_selectorELNS0_4arch9wavefront6targetE1EEEvT1_
                                        ; -- End function
	.section	.AMDGPU.csdata,"",@progbits
; Kernel info:
; codeLenInByte = 0
; NumSgprs: 4
; NumVgprs: 0
; NumAgprs: 0
; TotalNumVgprs: 0
; ScratchSize: 0
; MemoryBound: 0
; FloatMode: 240
; IeeeMode: 1
; LDSByteSize: 0 bytes/workgroup (compile time only)
; SGPRBlocks: 0
; VGPRBlocks: 0
; NumSGPRsForWavesPerEU: 4
; NumVGPRsForWavesPerEU: 1
; AccumOffset: 4
; Occupancy: 8
; WaveLimiterHint : 0
; COMPUTE_PGM_RSRC2:SCRATCH_EN: 0
; COMPUTE_PGM_RSRC2:USER_SGPR: 6
; COMPUTE_PGM_RSRC2:TRAP_HANDLER: 0
; COMPUTE_PGM_RSRC2:TGID_X_EN: 1
; COMPUTE_PGM_RSRC2:TGID_Y_EN: 0
; COMPUTE_PGM_RSRC2:TGID_Z_EN: 0
; COMPUTE_PGM_RSRC2:TIDIG_COMP_CNT: 0
; COMPUTE_PGM_RSRC3_GFX90A:ACCUM_OFFSET: 0
; COMPUTE_PGM_RSRC3_GFX90A:TG_SPLIT: 0
	.section	.text._ZN7rocprim17ROCPRIM_400000_NS6detail17trampoline_kernelINS0_14default_configENS1_35adjacent_difference_config_selectorILb0ElEEZNS1_24adjacent_difference_implIS3_Lb0ELb0EPlS7_ZN2at6native12_GLOBAL__N_124unique_dim_cuda_templateIdEESt5tupleIJNS8_6TensorESD_SD_EERKSD_lbbbEUlllE1_EE10hipError_tPvRmT2_T3_mT4_P12ihipStream_tbEUlT_E_NS1_11comp_targetILNS1_3genE10ELNS1_11target_archE1201ELNS1_3gpuE5ELNS1_3repE0EEENS1_30default_config_static_selectorELNS0_4arch9wavefront6targetE1EEEvT1_,"axG",@progbits,_ZN7rocprim17ROCPRIM_400000_NS6detail17trampoline_kernelINS0_14default_configENS1_35adjacent_difference_config_selectorILb0ElEEZNS1_24adjacent_difference_implIS3_Lb0ELb0EPlS7_ZN2at6native12_GLOBAL__N_124unique_dim_cuda_templateIdEESt5tupleIJNS8_6TensorESD_SD_EERKSD_lbbbEUlllE1_EE10hipError_tPvRmT2_T3_mT4_P12ihipStream_tbEUlT_E_NS1_11comp_targetILNS1_3genE10ELNS1_11target_archE1201ELNS1_3gpuE5ELNS1_3repE0EEENS1_30default_config_static_selectorELNS0_4arch9wavefront6targetE1EEEvT1_,comdat
	.globl	_ZN7rocprim17ROCPRIM_400000_NS6detail17trampoline_kernelINS0_14default_configENS1_35adjacent_difference_config_selectorILb0ElEEZNS1_24adjacent_difference_implIS3_Lb0ELb0EPlS7_ZN2at6native12_GLOBAL__N_124unique_dim_cuda_templateIdEESt5tupleIJNS8_6TensorESD_SD_EERKSD_lbbbEUlllE1_EE10hipError_tPvRmT2_T3_mT4_P12ihipStream_tbEUlT_E_NS1_11comp_targetILNS1_3genE10ELNS1_11target_archE1201ELNS1_3gpuE5ELNS1_3repE0EEENS1_30default_config_static_selectorELNS0_4arch9wavefront6targetE1EEEvT1_ ; -- Begin function _ZN7rocprim17ROCPRIM_400000_NS6detail17trampoline_kernelINS0_14default_configENS1_35adjacent_difference_config_selectorILb0ElEEZNS1_24adjacent_difference_implIS3_Lb0ELb0EPlS7_ZN2at6native12_GLOBAL__N_124unique_dim_cuda_templateIdEESt5tupleIJNS8_6TensorESD_SD_EERKSD_lbbbEUlllE1_EE10hipError_tPvRmT2_T3_mT4_P12ihipStream_tbEUlT_E_NS1_11comp_targetILNS1_3genE10ELNS1_11target_archE1201ELNS1_3gpuE5ELNS1_3repE0EEENS1_30default_config_static_selectorELNS0_4arch9wavefront6targetE1EEEvT1_
	.p2align	8
	.type	_ZN7rocprim17ROCPRIM_400000_NS6detail17trampoline_kernelINS0_14default_configENS1_35adjacent_difference_config_selectorILb0ElEEZNS1_24adjacent_difference_implIS3_Lb0ELb0EPlS7_ZN2at6native12_GLOBAL__N_124unique_dim_cuda_templateIdEESt5tupleIJNS8_6TensorESD_SD_EERKSD_lbbbEUlllE1_EE10hipError_tPvRmT2_T3_mT4_P12ihipStream_tbEUlT_E_NS1_11comp_targetILNS1_3genE10ELNS1_11target_archE1201ELNS1_3gpuE5ELNS1_3repE0EEENS1_30default_config_static_selectorELNS0_4arch9wavefront6targetE1EEEvT1_,@function
_ZN7rocprim17ROCPRIM_400000_NS6detail17trampoline_kernelINS0_14default_configENS1_35adjacent_difference_config_selectorILb0ElEEZNS1_24adjacent_difference_implIS3_Lb0ELb0EPlS7_ZN2at6native12_GLOBAL__N_124unique_dim_cuda_templateIdEESt5tupleIJNS8_6TensorESD_SD_EERKSD_lbbbEUlllE1_EE10hipError_tPvRmT2_T3_mT4_P12ihipStream_tbEUlT_E_NS1_11comp_targetILNS1_3genE10ELNS1_11target_archE1201ELNS1_3gpuE5ELNS1_3repE0EEENS1_30default_config_static_selectorELNS0_4arch9wavefront6targetE1EEEvT1_: ; @_ZN7rocprim17ROCPRIM_400000_NS6detail17trampoline_kernelINS0_14default_configENS1_35adjacent_difference_config_selectorILb0ElEEZNS1_24adjacent_difference_implIS3_Lb0ELb0EPlS7_ZN2at6native12_GLOBAL__N_124unique_dim_cuda_templateIdEESt5tupleIJNS8_6TensorESD_SD_EERKSD_lbbbEUlllE1_EE10hipError_tPvRmT2_T3_mT4_P12ihipStream_tbEUlT_E_NS1_11comp_targetILNS1_3genE10ELNS1_11target_archE1201ELNS1_3gpuE5ELNS1_3repE0EEENS1_30default_config_static_selectorELNS0_4arch9wavefront6targetE1EEEvT1_
; %bb.0:
	.section	.rodata,"a",@progbits
	.p2align	6, 0x0
	.amdhsa_kernel _ZN7rocprim17ROCPRIM_400000_NS6detail17trampoline_kernelINS0_14default_configENS1_35adjacent_difference_config_selectorILb0ElEEZNS1_24adjacent_difference_implIS3_Lb0ELb0EPlS7_ZN2at6native12_GLOBAL__N_124unique_dim_cuda_templateIdEESt5tupleIJNS8_6TensorESD_SD_EERKSD_lbbbEUlllE1_EE10hipError_tPvRmT2_T3_mT4_P12ihipStream_tbEUlT_E_NS1_11comp_targetILNS1_3genE10ELNS1_11target_archE1201ELNS1_3gpuE5ELNS1_3repE0EEENS1_30default_config_static_selectorELNS0_4arch9wavefront6targetE1EEEvT1_
		.amdhsa_group_segment_fixed_size 0
		.amdhsa_private_segment_fixed_size 0
		.amdhsa_kernarg_size 64
		.amdhsa_user_sgpr_count 6
		.amdhsa_user_sgpr_private_segment_buffer 1
		.amdhsa_user_sgpr_dispatch_ptr 0
		.amdhsa_user_sgpr_queue_ptr 0
		.amdhsa_user_sgpr_kernarg_segment_ptr 1
		.amdhsa_user_sgpr_dispatch_id 0
		.amdhsa_user_sgpr_flat_scratch_init 0
		.amdhsa_user_sgpr_kernarg_preload_length 0
		.amdhsa_user_sgpr_kernarg_preload_offset 0
		.amdhsa_user_sgpr_private_segment_size 0
		.amdhsa_uses_dynamic_stack 0
		.amdhsa_system_sgpr_private_segment_wavefront_offset 0
		.amdhsa_system_sgpr_workgroup_id_x 1
		.amdhsa_system_sgpr_workgroup_id_y 0
		.amdhsa_system_sgpr_workgroup_id_z 0
		.amdhsa_system_sgpr_workgroup_info 0
		.amdhsa_system_vgpr_workitem_id 0
		.amdhsa_next_free_vgpr 1
		.amdhsa_next_free_sgpr 0
		.amdhsa_accum_offset 4
		.amdhsa_reserve_vcc 0
		.amdhsa_reserve_flat_scratch 0
		.amdhsa_float_round_mode_32 0
		.amdhsa_float_round_mode_16_64 0
		.amdhsa_float_denorm_mode_32 3
		.amdhsa_float_denorm_mode_16_64 3
		.amdhsa_dx10_clamp 1
		.amdhsa_ieee_mode 1
		.amdhsa_fp16_overflow 0
		.amdhsa_tg_split 0
		.amdhsa_exception_fp_ieee_invalid_op 0
		.amdhsa_exception_fp_denorm_src 0
		.amdhsa_exception_fp_ieee_div_zero 0
		.amdhsa_exception_fp_ieee_overflow 0
		.amdhsa_exception_fp_ieee_underflow 0
		.amdhsa_exception_fp_ieee_inexact 0
		.amdhsa_exception_int_div_zero 0
	.end_amdhsa_kernel
	.section	.text._ZN7rocprim17ROCPRIM_400000_NS6detail17trampoline_kernelINS0_14default_configENS1_35adjacent_difference_config_selectorILb0ElEEZNS1_24adjacent_difference_implIS3_Lb0ELb0EPlS7_ZN2at6native12_GLOBAL__N_124unique_dim_cuda_templateIdEESt5tupleIJNS8_6TensorESD_SD_EERKSD_lbbbEUlllE1_EE10hipError_tPvRmT2_T3_mT4_P12ihipStream_tbEUlT_E_NS1_11comp_targetILNS1_3genE10ELNS1_11target_archE1201ELNS1_3gpuE5ELNS1_3repE0EEENS1_30default_config_static_selectorELNS0_4arch9wavefront6targetE1EEEvT1_,"axG",@progbits,_ZN7rocprim17ROCPRIM_400000_NS6detail17trampoline_kernelINS0_14default_configENS1_35adjacent_difference_config_selectorILb0ElEEZNS1_24adjacent_difference_implIS3_Lb0ELb0EPlS7_ZN2at6native12_GLOBAL__N_124unique_dim_cuda_templateIdEESt5tupleIJNS8_6TensorESD_SD_EERKSD_lbbbEUlllE1_EE10hipError_tPvRmT2_T3_mT4_P12ihipStream_tbEUlT_E_NS1_11comp_targetILNS1_3genE10ELNS1_11target_archE1201ELNS1_3gpuE5ELNS1_3repE0EEENS1_30default_config_static_selectorELNS0_4arch9wavefront6targetE1EEEvT1_,comdat
.Lfunc_end783:
	.size	_ZN7rocprim17ROCPRIM_400000_NS6detail17trampoline_kernelINS0_14default_configENS1_35adjacent_difference_config_selectorILb0ElEEZNS1_24adjacent_difference_implIS3_Lb0ELb0EPlS7_ZN2at6native12_GLOBAL__N_124unique_dim_cuda_templateIdEESt5tupleIJNS8_6TensorESD_SD_EERKSD_lbbbEUlllE1_EE10hipError_tPvRmT2_T3_mT4_P12ihipStream_tbEUlT_E_NS1_11comp_targetILNS1_3genE10ELNS1_11target_archE1201ELNS1_3gpuE5ELNS1_3repE0EEENS1_30default_config_static_selectorELNS0_4arch9wavefront6targetE1EEEvT1_, .Lfunc_end783-_ZN7rocprim17ROCPRIM_400000_NS6detail17trampoline_kernelINS0_14default_configENS1_35adjacent_difference_config_selectorILb0ElEEZNS1_24adjacent_difference_implIS3_Lb0ELb0EPlS7_ZN2at6native12_GLOBAL__N_124unique_dim_cuda_templateIdEESt5tupleIJNS8_6TensorESD_SD_EERKSD_lbbbEUlllE1_EE10hipError_tPvRmT2_T3_mT4_P12ihipStream_tbEUlT_E_NS1_11comp_targetILNS1_3genE10ELNS1_11target_archE1201ELNS1_3gpuE5ELNS1_3repE0EEENS1_30default_config_static_selectorELNS0_4arch9wavefront6targetE1EEEvT1_
                                        ; -- End function
	.section	.AMDGPU.csdata,"",@progbits
; Kernel info:
; codeLenInByte = 0
; NumSgprs: 4
; NumVgprs: 0
; NumAgprs: 0
; TotalNumVgprs: 0
; ScratchSize: 0
; MemoryBound: 0
; FloatMode: 240
; IeeeMode: 1
; LDSByteSize: 0 bytes/workgroup (compile time only)
; SGPRBlocks: 0
; VGPRBlocks: 0
; NumSGPRsForWavesPerEU: 4
; NumVGPRsForWavesPerEU: 1
; AccumOffset: 4
; Occupancy: 8
; WaveLimiterHint : 0
; COMPUTE_PGM_RSRC2:SCRATCH_EN: 0
; COMPUTE_PGM_RSRC2:USER_SGPR: 6
; COMPUTE_PGM_RSRC2:TRAP_HANDLER: 0
; COMPUTE_PGM_RSRC2:TGID_X_EN: 1
; COMPUTE_PGM_RSRC2:TGID_Y_EN: 0
; COMPUTE_PGM_RSRC2:TGID_Z_EN: 0
; COMPUTE_PGM_RSRC2:TIDIG_COMP_CNT: 0
; COMPUTE_PGM_RSRC3_GFX90A:ACCUM_OFFSET: 0
; COMPUTE_PGM_RSRC3_GFX90A:TG_SPLIT: 0
	.section	.text._ZN7rocprim17ROCPRIM_400000_NS6detail17trampoline_kernelINS0_14default_configENS1_35adjacent_difference_config_selectorILb0ElEEZNS1_24adjacent_difference_implIS3_Lb0ELb0EPlS7_ZN2at6native12_GLOBAL__N_124unique_dim_cuda_templateIdEESt5tupleIJNS8_6TensorESD_SD_EERKSD_lbbbEUlllE1_EE10hipError_tPvRmT2_T3_mT4_P12ihipStream_tbEUlT_E_NS1_11comp_targetILNS1_3genE5ELNS1_11target_archE942ELNS1_3gpuE9ELNS1_3repE0EEENS1_30default_config_static_selectorELNS0_4arch9wavefront6targetE1EEEvT1_,"axG",@progbits,_ZN7rocprim17ROCPRIM_400000_NS6detail17trampoline_kernelINS0_14default_configENS1_35adjacent_difference_config_selectorILb0ElEEZNS1_24adjacent_difference_implIS3_Lb0ELb0EPlS7_ZN2at6native12_GLOBAL__N_124unique_dim_cuda_templateIdEESt5tupleIJNS8_6TensorESD_SD_EERKSD_lbbbEUlllE1_EE10hipError_tPvRmT2_T3_mT4_P12ihipStream_tbEUlT_E_NS1_11comp_targetILNS1_3genE5ELNS1_11target_archE942ELNS1_3gpuE9ELNS1_3repE0EEENS1_30default_config_static_selectorELNS0_4arch9wavefront6targetE1EEEvT1_,comdat
	.globl	_ZN7rocprim17ROCPRIM_400000_NS6detail17trampoline_kernelINS0_14default_configENS1_35adjacent_difference_config_selectorILb0ElEEZNS1_24adjacent_difference_implIS3_Lb0ELb0EPlS7_ZN2at6native12_GLOBAL__N_124unique_dim_cuda_templateIdEESt5tupleIJNS8_6TensorESD_SD_EERKSD_lbbbEUlllE1_EE10hipError_tPvRmT2_T3_mT4_P12ihipStream_tbEUlT_E_NS1_11comp_targetILNS1_3genE5ELNS1_11target_archE942ELNS1_3gpuE9ELNS1_3repE0EEENS1_30default_config_static_selectorELNS0_4arch9wavefront6targetE1EEEvT1_ ; -- Begin function _ZN7rocprim17ROCPRIM_400000_NS6detail17trampoline_kernelINS0_14default_configENS1_35adjacent_difference_config_selectorILb0ElEEZNS1_24adjacent_difference_implIS3_Lb0ELb0EPlS7_ZN2at6native12_GLOBAL__N_124unique_dim_cuda_templateIdEESt5tupleIJNS8_6TensorESD_SD_EERKSD_lbbbEUlllE1_EE10hipError_tPvRmT2_T3_mT4_P12ihipStream_tbEUlT_E_NS1_11comp_targetILNS1_3genE5ELNS1_11target_archE942ELNS1_3gpuE9ELNS1_3repE0EEENS1_30default_config_static_selectorELNS0_4arch9wavefront6targetE1EEEvT1_
	.p2align	8
	.type	_ZN7rocprim17ROCPRIM_400000_NS6detail17trampoline_kernelINS0_14default_configENS1_35adjacent_difference_config_selectorILb0ElEEZNS1_24adjacent_difference_implIS3_Lb0ELb0EPlS7_ZN2at6native12_GLOBAL__N_124unique_dim_cuda_templateIdEESt5tupleIJNS8_6TensorESD_SD_EERKSD_lbbbEUlllE1_EE10hipError_tPvRmT2_T3_mT4_P12ihipStream_tbEUlT_E_NS1_11comp_targetILNS1_3genE5ELNS1_11target_archE942ELNS1_3gpuE9ELNS1_3repE0EEENS1_30default_config_static_selectorELNS0_4arch9wavefront6targetE1EEEvT1_,@function
_ZN7rocprim17ROCPRIM_400000_NS6detail17trampoline_kernelINS0_14default_configENS1_35adjacent_difference_config_selectorILb0ElEEZNS1_24adjacent_difference_implIS3_Lb0ELb0EPlS7_ZN2at6native12_GLOBAL__N_124unique_dim_cuda_templateIdEESt5tupleIJNS8_6TensorESD_SD_EERKSD_lbbbEUlllE1_EE10hipError_tPvRmT2_T3_mT4_P12ihipStream_tbEUlT_E_NS1_11comp_targetILNS1_3genE5ELNS1_11target_archE942ELNS1_3gpuE9ELNS1_3repE0EEENS1_30default_config_static_selectorELNS0_4arch9wavefront6targetE1EEEvT1_: ; @_ZN7rocprim17ROCPRIM_400000_NS6detail17trampoline_kernelINS0_14default_configENS1_35adjacent_difference_config_selectorILb0ElEEZNS1_24adjacent_difference_implIS3_Lb0ELb0EPlS7_ZN2at6native12_GLOBAL__N_124unique_dim_cuda_templateIdEESt5tupleIJNS8_6TensorESD_SD_EERKSD_lbbbEUlllE1_EE10hipError_tPvRmT2_T3_mT4_P12ihipStream_tbEUlT_E_NS1_11comp_targetILNS1_3genE5ELNS1_11target_archE942ELNS1_3gpuE9ELNS1_3repE0EEENS1_30default_config_static_selectorELNS0_4arch9wavefront6targetE1EEEvT1_
; %bb.0:
	.section	.rodata,"a",@progbits
	.p2align	6, 0x0
	.amdhsa_kernel _ZN7rocprim17ROCPRIM_400000_NS6detail17trampoline_kernelINS0_14default_configENS1_35adjacent_difference_config_selectorILb0ElEEZNS1_24adjacent_difference_implIS3_Lb0ELb0EPlS7_ZN2at6native12_GLOBAL__N_124unique_dim_cuda_templateIdEESt5tupleIJNS8_6TensorESD_SD_EERKSD_lbbbEUlllE1_EE10hipError_tPvRmT2_T3_mT4_P12ihipStream_tbEUlT_E_NS1_11comp_targetILNS1_3genE5ELNS1_11target_archE942ELNS1_3gpuE9ELNS1_3repE0EEENS1_30default_config_static_selectorELNS0_4arch9wavefront6targetE1EEEvT1_
		.amdhsa_group_segment_fixed_size 0
		.amdhsa_private_segment_fixed_size 0
		.amdhsa_kernarg_size 64
		.amdhsa_user_sgpr_count 6
		.amdhsa_user_sgpr_private_segment_buffer 1
		.amdhsa_user_sgpr_dispatch_ptr 0
		.amdhsa_user_sgpr_queue_ptr 0
		.amdhsa_user_sgpr_kernarg_segment_ptr 1
		.amdhsa_user_sgpr_dispatch_id 0
		.amdhsa_user_sgpr_flat_scratch_init 0
		.amdhsa_user_sgpr_kernarg_preload_length 0
		.amdhsa_user_sgpr_kernarg_preload_offset 0
		.amdhsa_user_sgpr_private_segment_size 0
		.amdhsa_uses_dynamic_stack 0
		.amdhsa_system_sgpr_private_segment_wavefront_offset 0
		.amdhsa_system_sgpr_workgroup_id_x 1
		.amdhsa_system_sgpr_workgroup_id_y 0
		.amdhsa_system_sgpr_workgroup_id_z 0
		.amdhsa_system_sgpr_workgroup_info 0
		.amdhsa_system_vgpr_workitem_id 0
		.amdhsa_next_free_vgpr 1
		.amdhsa_next_free_sgpr 0
		.amdhsa_accum_offset 4
		.amdhsa_reserve_vcc 0
		.amdhsa_reserve_flat_scratch 0
		.amdhsa_float_round_mode_32 0
		.amdhsa_float_round_mode_16_64 0
		.amdhsa_float_denorm_mode_32 3
		.amdhsa_float_denorm_mode_16_64 3
		.amdhsa_dx10_clamp 1
		.amdhsa_ieee_mode 1
		.amdhsa_fp16_overflow 0
		.amdhsa_tg_split 0
		.amdhsa_exception_fp_ieee_invalid_op 0
		.amdhsa_exception_fp_denorm_src 0
		.amdhsa_exception_fp_ieee_div_zero 0
		.amdhsa_exception_fp_ieee_overflow 0
		.amdhsa_exception_fp_ieee_underflow 0
		.amdhsa_exception_fp_ieee_inexact 0
		.amdhsa_exception_int_div_zero 0
	.end_amdhsa_kernel
	.section	.text._ZN7rocprim17ROCPRIM_400000_NS6detail17trampoline_kernelINS0_14default_configENS1_35adjacent_difference_config_selectorILb0ElEEZNS1_24adjacent_difference_implIS3_Lb0ELb0EPlS7_ZN2at6native12_GLOBAL__N_124unique_dim_cuda_templateIdEESt5tupleIJNS8_6TensorESD_SD_EERKSD_lbbbEUlllE1_EE10hipError_tPvRmT2_T3_mT4_P12ihipStream_tbEUlT_E_NS1_11comp_targetILNS1_3genE5ELNS1_11target_archE942ELNS1_3gpuE9ELNS1_3repE0EEENS1_30default_config_static_selectorELNS0_4arch9wavefront6targetE1EEEvT1_,"axG",@progbits,_ZN7rocprim17ROCPRIM_400000_NS6detail17trampoline_kernelINS0_14default_configENS1_35adjacent_difference_config_selectorILb0ElEEZNS1_24adjacent_difference_implIS3_Lb0ELb0EPlS7_ZN2at6native12_GLOBAL__N_124unique_dim_cuda_templateIdEESt5tupleIJNS8_6TensorESD_SD_EERKSD_lbbbEUlllE1_EE10hipError_tPvRmT2_T3_mT4_P12ihipStream_tbEUlT_E_NS1_11comp_targetILNS1_3genE5ELNS1_11target_archE942ELNS1_3gpuE9ELNS1_3repE0EEENS1_30default_config_static_selectorELNS0_4arch9wavefront6targetE1EEEvT1_,comdat
.Lfunc_end784:
	.size	_ZN7rocprim17ROCPRIM_400000_NS6detail17trampoline_kernelINS0_14default_configENS1_35adjacent_difference_config_selectorILb0ElEEZNS1_24adjacent_difference_implIS3_Lb0ELb0EPlS7_ZN2at6native12_GLOBAL__N_124unique_dim_cuda_templateIdEESt5tupleIJNS8_6TensorESD_SD_EERKSD_lbbbEUlllE1_EE10hipError_tPvRmT2_T3_mT4_P12ihipStream_tbEUlT_E_NS1_11comp_targetILNS1_3genE5ELNS1_11target_archE942ELNS1_3gpuE9ELNS1_3repE0EEENS1_30default_config_static_selectorELNS0_4arch9wavefront6targetE1EEEvT1_, .Lfunc_end784-_ZN7rocprim17ROCPRIM_400000_NS6detail17trampoline_kernelINS0_14default_configENS1_35adjacent_difference_config_selectorILb0ElEEZNS1_24adjacent_difference_implIS3_Lb0ELb0EPlS7_ZN2at6native12_GLOBAL__N_124unique_dim_cuda_templateIdEESt5tupleIJNS8_6TensorESD_SD_EERKSD_lbbbEUlllE1_EE10hipError_tPvRmT2_T3_mT4_P12ihipStream_tbEUlT_E_NS1_11comp_targetILNS1_3genE5ELNS1_11target_archE942ELNS1_3gpuE9ELNS1_3repE0EEENS1_30default_config_static_selectorELNS0_4arch9wavefront6targetE1EEEvT1_
                                        ; -- End function
	.section	.AMDGPU.csdata,"",@progbits
; Kernel info:
; codeLenInByte = 0
; NumSgprs: 4
; NumVgprs: 0
; NumAgprs: 0
; TotalNumVgprs: 0
; ScratchSize: 0
; MemoryBound: 0
; FloatMode: 240
; IeeeMode: 1
; LDSByteSize: 0 bytes/workgroup (compile time only)
; SGPRBlocks: 0
; VGPRBlocks: 0
; NumSGPRsForWavesPerEU: 4
; NumVGPRsForWavesPerEU: 1
; AccumOffset: 4
; Occupancy: 8
; WaveLimiterHint : 0
; COMPUTE_PGM_RSRC2:SCRATCH_EN: 0
; COMPUTE_PGM_RSRC2:USER_SGPR: 6
; COMPUTE_PGM_RSRC2:TRAP_HANDLER: 0
; COMPUTE_PGM_RSRC2:TGID_X_EN: 1
; COMPUTE_PGM_RSRC2:TGID_Y_EN: 0
; COMPUTE_PGM_RSRC2:TGID_Z_EN: 0
; COMPUTE_PGM_RSRC2:TIDIG_COMP_CNT: 0
; COMPUTE_PGM_RSRC3_GFX90A:ACCUM_OFFSET: 0
; COMPUTE_PGM_RSRC3_GFX90A:TG_SPLIT: 0
	.section	.text._ZN7rocprim17ROCPRIM_400000_NS6detail17trampoline_kernelINS0_14default_configENS1_35adjacent_difference_config_selectorILb0ElEEZNS1_24adjacent_difference_implIS3_Lb0ELb0EPlS7_ZN2at6native12_GLOBAL__N_124unique_dim_cuda_templateIdEESt5tupleIJNS8_6TensorESD_SD_EERKSD_lbbbEUlllE1_EE10hipError_tPvRmT2_T3_mT4_P12ihipStream_tbEUlT_E_NS1_11comp_targetILNS1_3genE4ELNS1_11target_archE910ELNS1_3gpuE8ELNS1_3repE0EEENS1_30default_config_static_selectorELNS0_4arch9wavefront6targetE1EEEvT1_,"axG",@progbits,_ZN7rocprim17ROCPRIM_400000_NS6detail17trampoline_kernelINS0_14default_configENS1_35adjacent_difference_config_selectorILb0ElEEZNS1_24adjacent_difference_implIS3_Lb0ELb0EPlS7_ZN2at6native12_GLOBAL__N_124unique_dim_cuda_templateIdEESt5tupleIJNS8_6TensorESD_SD_EERKSD_lbbbEUlllE1_EE10hipError_tPvRmT2_T3_mT4_P12ihipStream_tbEUlT_E_NS1_11comp_targetILNS1_3genE4ELNS1_11target_archE910ELNS1_3gpuE8ELNS1_3repE0EEENS1_30default_config_static_selectorELNS0_4arch9wavefront6targetE1EEEvT1_,comdat
	.globl	_ZN7rocprim17ROCPRIM_400000_NS6detail17trampoline_kernelINS0_14default_configENS1_35adjacent_difference_config_selectorILb0ElEEZNS1_24adjacent_difference_implIS3_Lb0ELb0EPlS7_ZN2at6native12_GLOBAL__N_124unique_dim_cuda_templateIdEESt5tupleIJNS8_6TensorESD_SD_EERKSD_lbbbEUlllE1_EE10hipError_tPvRmT2_T3_mT4_P12ihipStream_tbEUlT_E_NS1_11comp_targetILNS1_3genE4ELNS1_11target_archE910ELNS1_3gpuE8ELNS1_3repE0EEENS1_30default_config_static_selectorELNS0_4arch9wavefront6targetE1EEEvT1_ ; -- Begin function _ZN7rocprim17ROCPRIM_400000_NS6detail17trampoline_kernelINS0_14default_configENS1_35adjacent_difference_config_selectorILb0ElEEZNS1_24adjacent_difference_implIS3_Lb0ELb0EPlS7_ZN2at6native12_GLOBAL__N_124unique_dim_cuda_templateIdEESt5tupleIJNS8_6TensorESD_SD_EERKSD_lbbbEUlllE1_EE10hipError_tPvRmT2_T3_mT4_P12ihipStream_tbEUlT_E_NS1_11comp_targetILNS1_3genE4ELNS1_11target_archE910ELNS1_3gpuE8ELNS1_3repE0EEENS1_30default_config_static_selectorELNS0_4arch9wavefront6targetE1EEEvT1_
	.p2align	8
	.type	_ZN7rocprim17ROCPRIM_400000_NS6detail17trampoline_kernelINS0_14default_configENS1_35adjacent_difference_config_selectorILb0ElEEZNS1_24adjacent_difference_implIS3_Lb0ELb0EPlS7_ZN2at6native12_GLOBAL__N_124unique_dim_cuda_templateIdEESt5tupleIJNS8_6TensorESD_SD_EERKSD_lbbbEUlllE1_EE10hipError_tPvRmT2_T3_mT4_P12ihipStream_tbEUlT_E_NS1_11comp_targetILNS1_3genE4ELNS1_11target_archE910ELNS1_3gpuE8ELNS1_3repE0EEENS1_30default_config_static_selectorELNS0_4arch9wavefront6targetE1EEEvT1_,@function
_ZN7rocprim17ROCPRIM_400000_NS6detail17trampoline_kernelINS0_14default_configENS1_35adjacent_difference_config_selectorILb0ElEEZNS1_24adjacent_difference_implIS3_Lb0ELb0EPlS7_ZN2at6native12_GLOBAL__N_124unique_dim_cuda_templateIdEESt5tupleIJNS8_6TensorESD_SD_EERKSD_lbbbEUlllE1_EE10hipError_tPvRmT2_T3_mT4_P12ihipStream_tbEUlT_E_NS1_11comp_targetILNS1_3genE4ELNS1_11target_archE910ELNS1_3gpuE8ELNS1_3repE0EEENS1_30default_config_static_selectorELNS0_4arch9wavefront6targetE1EEEvT1_: ; @_ZN7rocprim17ROCPRIM_400000_NS6detail17trampoline_kernelINS0_14default_configENS1_35adjacent_difference_config_selectorILb0ElEEZNS1_24adjacent_difference_implIS3_Lb0ELb0EPlS7_ZN2at6native12_GLOBAL__N_124unique_dim_cuda_templateIdEESt5tupleIJNS8_6TensorESD_SD_EERKSD_lbbbEUlllE1_EE10hipError_tPvRmT2_T3_mT4_P12ihipStream_tbEUlT_E_NS1_11comp_targetILNS1_3genE4ELNS1_11target_archE910ELNS1_3gpuE8ELNS1_3repE0EEENS1_30default_config_static_selectorELNS0_4arch9wavefront6targetE1EEEvT1_
; %bb.0:
	s_load_dwordx8 s[8:15], s[4:5], 0x0
	s_load_dwordx4 s[16:19], s[4:5], 0x20
	s_load_dwordx2 s[0:1], s[4:5], 0x38
	s_waitcnt lgkmcnt(0)
	s_lshl_b64 s[10:11], s[10:11], 3
	s_add_u32 s24, s8, s10
	s_addc_u32 s25, s9, s11
	s_mov_b32 s9, 0
	s_lshl_b32 s8, s6, 9
	s_lshr_b64 s[2:3], s[14:15], 9
	s_and_b32 s4, s14, 0x1ff
	s_mov_b32 s5, s9
	s_cmp_lg_u64 s[4:5], 0
	s_cselect_b64 s[4:5], -1, 0
	v_cndmask_b32_e64 v1, 0, 1, s[4:5]
	v_readfirstlane_b32 s4, v1
	s_add_u32 s22, s2, s4
	s_addc_u32 s23, s3, 0
	s_add_u32 s26, s0, s6
	s_addc_u32 s27, s1, 0
	s_add_u32 s6, s22, -1
	s_addc_u32 s7, s23, -1
	v_pk_mov_b32 v[2:3], s[6:7], s[6:7] op_sel:[0,1]
	v_cmp_ge_u64_e64 s[0:1], s[26:27], v[2:3]
	s_mov_b64 s[2:3], -1
	s_and_b64 vcc, exec, s[0:1]
	s_cbranch_vccz .LBB785_6
; %bb.1:
	s_lshl_b32 s2, s6, 9
	s_sub_i32 s15, s14, s2
	s_lshl_b64 s[2:3], s[8:9], 3
	s_add_u32 s2, s24, s2
	s_addc_u32 s3, s25, s3
	v_cmp_gt_u32_e32 vcc, s15, v0
                                        ; implicit-def: $vgpr2_vgpr3_vgpr4_vgpr5
	s_and_saveexec_b64 s[4:5], vcc
	s_cbranch_execz .LBB785_3
; %bb.2:
	v_lshlrev_b32_e32 v1, 3, v0
	global_load_dwordx2 v[2:3], v1, s[2:3]
.LBB785_3:
	s_or_b64 exec, exec, s[4:5]
	v_or_b32_e32 v1, 0x100, v0
	v_cmp_gt_u32_e32 vcc, s15, v1
	s_and_saveexec_b64 s[4:5], vcc
	s_cbranch_execz .LBB785_5
; %bb.4:
	v_lshlrev_b32_e32 v4, 3, v0
	global_load_dwordx2 v[4:5], v4, s[2:3] offset:2048
.LBB785_5:
	s_or_b64 exec, exec, s[4:5]
	v_lshrrev_b32_e32 v6, 2, v0
	v_lshrrev_b32_e32 v1, 2, v1
	v_and_b32_e32 v6, 56, v6
	v_lshlrev_b32_e32 v7, 3, v0
	v_and_b32_e32 v1, 0x78, v1
	v_add_u32_e32 v6, v6, v7
	v_add_u32_e32 v1, v1, v7
	s_mov_b64 s[2:3], 0
	s_waitcnt vmcnt(0)
	ds_write_b64 v6, v[2:3]
	ds_write_b64 v1, v[4:5] offset:2048
	s_waitcnt lgkmcnt(0)
	s_barrier
.LBB785_6:
	s_and_b64 vcc, exec, s[2:3]
	v_lshlrev_b32_e32 v1, 3, v0
	s_cbranch_vccz .LBB785_8
; %bb.7:
	s_lshl_b64 s[2:3], s[8:9], 3
	s_add_u32 s2, s24, s2
	s_addc_u32 s3, s25, s3
	global_load_dwordx2 v[2:3], v1, s[2:3]
	global_load_dwordx2 v[4:5], v1, s[2:3] offset:2048
	v_lshrrev_b32_e32 v6, 2, v0
	v_or_b32_e32 v7, 0x100, v0
	v_and_b32_e32 v6, 56, v6
	v_lshrrev_b32_e32 v7, 2, v7
	v_add_u32_e32 v6, v6, v1
	v_and_b32_e32 v7, 0x78, v7
	v_add_u32_e32 v7, v7, v1
	s_waitcnt vmcnt(1)
	ds_write_b64 v6, v[2:3]
	s_waitcnt vmcnt(0)
	ds_write_b64 v7, v[4:5] offset:2048
	s_waitcnt lgkmcnt(0)
	s_barrier
.LBB785_8:
	v_lshlrev_b32_e32 v2, 1, v0
	v_lshrrev_b32_e32 v3, 4, v0
	v_add_lshl_u32 v2, v3, v2, 3
	ds_read2_b64 v[2:5], v2 offset1:1
	s_cmp_eq_u64 s[26:27], 0
	s_mov_b64 s[20:21], 0
	s_waitcnt lgkmcnt(0)
	s_barrier
	s_cbranch_scc1 .LBB785_17
; %bb.9:
	s_lshl_b64 s[2:3], s[8:9], 3
	s_add_u32 s2, s24, s2
	s_addc_u32 s3, s25, s3
	s_add_u32 s2, s2, -8
	s_addc_u32 s3, s3, -1
	s_load_dwordx2 s[24:25], s[2:3], 0x0
	s_cmp_lg_u64 s[26:27], s[6:7]
	s_cbranch_scc0 .LBB785_18
; %bb.10:
	v_cmp_lt_i64_e64 s[2:3], s[16:17], 1
	v_pk_mov_b32 v[8:9], 0, 0
	v_cmp_gt_i64_e64 s[20:21], s[16:17], 0
	s_and_b64 vcc, exec, s[2:3]
	ds_write_b64 v1, v[4:5]
	s_cbranch_vccnz .LBB785_21
; %bb.11:
	v_mul_lo_u32 v8, v5, s16
	v_mul_lo_u32 v9, v4, s17
	v_mad_u64_u32 v[6:7], s[2:3], v4, s16, 0
	v_add3_u32 v7, v7, v9, v8
	v_mul_lo_u32 v10, v3, s16
	v_mul_lo_u32 v11, v2, s17
	v_mad_u64_u32 v[8:9], s[2:3], v2, s16, 0
	v_add3_u32 v9, v9, v11, v10
	v_lshlrev_b64 v[10:11], 3, v[6:7]
	v_mov_b32_e32 v6, s19
	v_add_co_u32_e32 v12, vcc, s18, v10
	v_addc_co_u32_e64 v13, s[2:3], v6, v11, vcc
	v_lshlrev_b64 v[6:7], 3, v[8:9]
	v_mov_b32_e32 v8, s19
	v_add_co_u32_e64 v14, s[2:3], s18, v6
	v_addc_co_u32_e64 v15, s[4:5], v8, v7, s[2:3]
	global_load_dwordx2 v[8:9], v[12:13], off
	global_load_dwordx2 v[16:17], v[14:15], off
	s_waitcnt vmcnt(0)
	v_cmp_eq_f64_e64 s[4:5], v[8:9], v[16:17]
	v_mov_b32_e32 v8, 1
	v_mov_b32_e32 v9, 0
	s_and_saveexec_b64 s[28:29], s[4:5]
	s_cbranch_execz .LBB785_20
; %bb.12:
	v_mov_b32_e32 v6, s19
	v_addc_co_u32_e64 v7, s[2:3], v7, v6, s[2:3]
	v_add_co_u32_e64 v6, s[2:3], 8, v14
	v_mov_b32_e32 v8, s19
	v_addc_co_u32_e64 v7, s[2:3], 0, v7, s[2:3]
	v_addc_co_u32_e32 v9, vcc, v11, v8, vcc
	v_add_co_u32_e32 v8, vcc, 8, v12
	s_add_u32 s2, s16, -1
	v_addc_co_u32_e32 v9, vcc, 0, v9, vcc
	s_addc_u32 s3, s17, -1
	s_mov_b64 s[4:5], 0
	s_mov_b64 s[34:35], 0
                                        ; implicit-def: $sgpr30_sgpr31
	s_branch .LBB785_15
.LBB785_13:                             ;   in Loop: Header=BB785_15 Depth=1
	global_load_dwordx2 v[10:11], v[8:9], off
	global_load_dwordx2 v[12:13], v[6:7], off
	v_add_co_u32_e32 v6, vcc, 8, v6
	v_addc_co_u32_e32 v7, vcc, 0, v7, vcc
	v_add_co_u32_e32 v8, vcc, 8, v8
	v_addc_co_u32_e32 v9, vcc, 0, v9, vcc
	s_add_u32 s34, s34, 1
	s_addc_u32 s35, s35, 0
	s_andn2_b64 s[30:31], s[30:31], exec
	s_waitcnt vmcnt(0)
	v_cmp_neq_f64_e32 vcc, v[10:11], v[12:13]
	s_and_b64 s[36:37], vcc, exec
	s_or_b64 s[30:31], s[30:31], s[36:37]
.LBB785_14:                             ;   in Loop: Header=BB785_15 Depth=1
	s_and_b64 s[36:37], exec, s[30:31]
	s_or_b64 s[4:5], s[36:37], s[4:5]
	v_pk_mov_b32 v[10:11], s[34:35], s[34:35] op_sel:[0,1]
	s_andn2_b64 exec, exec, s[4:5]
	s_cbranch_execz .LBB785_19
.LBB785_15:                             ; =>This Inner Loop Header: Depth=1
	s_or_b64 s[30:31], s[30:31], exec
	s_cmp_eq_u64 s[2:3], s[34:35]
	s_cbranch_scc0 .LBB785_13
; %bb.16:                               ;   in Loop: Header=BB785_15 Depth=1
                                        ; implicit-def: $vgpr6_vgpr7
                                        ; implicit-def: $vgpr8_vgpr9
	s_mov_b64 s[34:35], s[16:17]
	s_branch .LBB785_14
.LBB785_17:
                                        ; implicit-def: $sgpr28_sgpr29
                                        ; implicit-def: $vgpr8_vgpr9
	s_cbranch_execnz .LBB785_60
	s_branch .LBB785_108
.LBB785_18:
                                        ; implicit-def: $sgpr28_sgpr29
                                        ; implicit-def: $vgpr8_vgpr9
	s_cbranch_execnz .LBB785_33
	s_branch .LBB785_59
.LBB785_19:
	s_or_b64 exec, exec, s[4:5]
	v_cmp_gt_i64_e32 vcc, s[16:17], v[10:11]
	s_mov_b32 s2, 0
	v_cndmask_b32_e64 v8, 0, 1, vcc
	v_mov_b32_e32 v9, s2
.LBB785_20:
	s_or_b64 exec, exec, s[28:29]
.LBB785_21:
	v_cmp_ne_u32_e32 vcc, 0, v0
	s_waitcnt lgkmcnt(0)
	v_pk_mov_b32 v[6:7], s[24:25], s[24:25] op_sel:[0,1]
	s_barrier
	s_and_saveexec_b64 s[2:3], vcc
	s_cbranch_execz .LBB785_23
; %bb.22:
	v_add_u32_e32 v6, -8, v1
	ds_read_b64 v[6:7], v6
.LBB785_23:
	s_or_b64 exec, exec, s[2:3]
	s_mov_b64 s[30:31], 0
	s_andn2_b64 vcc, exec, s[20:21]
	s_mov_b64 s[28:29], 0
	s_cbranch_vccnz .LBB785_32
; %bb.24:
	v_mul_lo_u32 v12, v3, s16
	v_mul_lo_u32 v13, v2, s17
	v_mad_u64_u32 v[10:11], s[2:3], v2, s16, 0
	v_add3_u32 v11, v11, v13, v12
	s_waitcnt lgkmcnt(0)
	v_mul_lo_u32 v12, v7, s16
	v_mul_lo_u32 v13, v6, s17
	v_mad_u64_u32 v[6:7], s[2:3], v6, s16, 0
	v_lshlrev_b64 v[10:11], 3, v[10:11]
	v_add3_u32 v7, v7, v13, v12
	v_mov_b32_e32 v13, s19
	v_add_co_u32_e32 v12, vcc, s18, v10
	v_addc_co_u32_e64 v13, s[2:3], v13, v11, vcc
	v_lshlrev_b64 v[6:7], 3, v[6:7]
	v_mov_b32_e32 v10, s19
	v_add_co_u32_e64 v14, s[2:3], s18, v6
	v_addc_co_u32_e64 v15, s[4:5], v10, v7, s[2:3]
	global_load_dwordx2 v[16:17], v[12:13], off
	global_load_dwordx2 v[18:19], v[14:15], off
	s_mov_b64 s[28:29], -1
	s_waitcnt vmcnt(0)
	v_cmp_eq_f64_e64 s[4:5], v[16:17], v[18:19]
	s_and_saveexec_b64 s[20:21], s[4:5]
	s_cbranch_execz .LBB785_31
; %bb.25:
	v_mov_b32_e32 v6, s19
	v_addc_co_u32_e64 v7, s[2:3], v7, v6, s[2:3]
	v_add_co_u32_e64 v6, s[2:3], 8, v14
	v_mov_b32_e32 v10, s19
	v_addc_co_u32_e64 v7, s[2:3], 0, v7, s[2:3]
	v_addc_co_u32_e32 v11, vcc, v11, v10, vcc
	v_add_co_u32_e32 v10, vcc, 8, v12
	s_add_u32 s2, s16, -1
	v_addc_co_u32_e32 v11, vcc, 0, v11, vcc
	s_addc_u32 s3, s17, -1
	s_mov_b64 s[4:5], 0
	s_mov_b64 s[34:35], 0
                                        ; implicit-def: $sgpr28_sgpr29
	s_branch .LBB785_28
.LBB785_26:                             ;   in Loop: Header=BB785_28 Depth=1
	global_load_dwordx2 v[12:13], v[10:11], off
	global_load_dwordx2 v[14:15], v[6:7], off
	v_add_co_u32_e32 v6, vcc, 8, v6
	v_addc_co_u32_e32 v7, vcc, 0, v7, vcc
	v_add_co_u32_e32 v10, vcc, 8, v10
	v_addc_co_u32_e32 v11, vcc, 0, v11, vcc
	s_add_u32 s34, s34, 1
	s_addc_u32 s35, s35, 0
	s_andn2_b64 s[28:29], s[28:29], exec
	s_waitcnt vmcnt(0)
	v_cmp_neq_f64_e32 vcc, v[12:13], v[14:15]
	s_and_b64 s[36:37], vcc, exec
	s_or_b64 s[28:29], s[28:29], s[36:37]
.LBB785_27:                             ;   in Loop: Header=BB785_28 Depth=1
	s_and_b64 s[36:37], exec, s[28:29]
	s_or_b64 s[4:5], s[36:37], s[4:5]
	v_pk_mov_b32 v[12:13], s[34:35], s[34:35] op_sel:[0,1]
	s_andn2_b64 exec, exec, s[4:5]
	s_cbranch_execz .LBB785_30
.LBB785_28:                             ; =>This Inner Loop Header: Depth=1
	s_or_b64 s[28:29], s[28:29], exec
	s_cmp_eq_u64 s[2:3], s[34:35]
	s_cbranch_scc0 .LBB785_26
; %bb.29:                               ;   in Loop: Header=BB785_28 Depth=1
                                        ; implicit-def: $vgpr6_vgpr7
                                        ; implicit-def: $vgpr10_vgpr11
	s_mov_b64 s[34:35], s[16:17]
	s_branch .LBB785_27
.LBB785_30:
	s_or_b64 exec, exec, s[4:5]
	v_cmp_gt_i64_e32 vcc, s[16:17], v[12:13]
	s_orn2_b64 s[28:29], vcc, exec
.LBB785_31:
	s_or_b64 exec, exec, s[20:21]
.LBB785_32:
	s_mov_b64 s[20:21], -1
	s_and_b64 vcc, exec, s[30:31]
	s_cbranch_vccz .LBB785_59
.LBB785_33:
	s_lshl_b32 s2, s26, 9
	v_lshlrev_b32_e32 v16, 1, v0
	s_sub_i32 s7, s14, s2
	s_waitcnt lgkmcnt(0)
	v_or_b32_e32 v6, 1, v16
	v_cmp_gt_u32_e32 vcc, s7, v6
	v_pk_mov_b32 v[8:9], v[4:5], v[4:5] op_sel:[0,1]
	ds_write_b64 v1, v[4:5]
	v_pk_mov_b32 v[6:7], v[2:3], v[2:3] op_sel:[0,1]
	s_and_saveexec_b64 s[26:27], vcc
	s_cbranch_execz .LBB785_44
; %bb.34:
	v_cmp_lt_i64_e64 s[2:3], s[16:17], 1
	s_and_b64 vcc, exec, s[2:3]
	s_cbranch_vccnz .LBB785_41
; %bb.35:
	v_mul_lo_u32 v8, v5, s16
	v_mul_lo_u32 v9, v4, s17
	v_mad_u64_u32 v[6:7], s[2:3], v4, s16, 0
	v_add3_u32 v7, v7, v9, v8
	v_mul_lo_u32 v10, v3, s16
	v_mul_lo_u32 v11, v2, s17
	v_mad_u64_u32 v[8:9], s[2:3], v2, s16, 0
	v_add3_u32 v9, v9, v11, v10
	v_lshlrev_b64 v[10:11], 3, v[6:7]
	v_mov_b32_e32 v6, s19
	v_add_co_u32_e32 v12, vcc, s18, v10
	v_addc_co_u32_e64 v13, s[2:3], v6, v11, vcc
	v_lshlrev_b64 v[6:7], 3, v[8:9]
	v_mov_b32_e32 v8, s19
	v_add_co_u32_e64 v14, s[2:3], s18, v6
	v_addc_co_u32_e64 v15, s[4:5], v8, v7, s[2:3]
	global_load_dwordx2 v[8:9], v[12:13], off
	global_load_dwordx2 v[18:19], v[14:15], off
	s_waitcnt vmcnt(0)
	v_cmp_eq_f64_e64 s[4:5], v[8:9], v[18:19]
	v_mov_b32_e32 v8, 1
	v_mov_b32_e32 v9, 0
	s_and_saveexec_b64 s[28:29], s[4:5]
	s_cbranch_execz .LBB785_43
; %bb.36:
	v_mov_b32_e32 v6, s19
	v_addc_co_u32_e64 v7, s[2:3], v7, v6, s[2:3]
	v_add_co_u32_e64 v6, s[2:3], 8, v14
	v_mov_b32_e32 v8, s19
	v_addc_co_u32_e64 v7, s[2:3], 0, v7, s[2:3]
	v_addc_co_u32_e32 v9, vcc, v11, v8, vcc
	v_add_co_u32_e32 v8, vcc, 8, v12
	s_add_u32 s2, s16, -1
	v_addc_co_u32_e32 v9, vcc, 0, v9, vcc
	s_addc_u32 s3, s17, -1
	s_mov_b64 s[4:5], 0
	s_mov_b64 s[34:35], 0
                                        ; implicit-def: $sgpr30_sgpr31
	s_branch .LBB785_39
.LBB785_37:                             ;   in Loop: Header=BB785_39 Depth=1
	global_load_dwordx2 v[10:11], v[8:9], off
	global_load_dwordx2 v[12:13], v[6:7], off
	v_add_co_u32_e32 v6, vcc, 8, v6
	v_addc_co_u32_e32 v7, vcc, 0, v7, vcc
	v_add_co_u32_e32 v8, vcc, 8, v8
	v_addc_co_u32_e32 v9, vcc, 0, v9, vcc
	s_add_u32 s34, s34, 1
	s_addc_u32 s35, s35, 0
	s_andn2_b64 s[30:31], s[30:31], exec
	s_waitcnt vmcnt(0)
	v_cmp_neq_f64_e32 vcc, v[10:11], v[12:13]
	s_and_b64 s[36:37], vcc, exec
	s_or_b64 s[30:31], s[30:31], s[36:37]
.LBB785_38:                             ;   in Loop: Header=BB785_39 Depth=1
	s_and_b64 s[36:37], exec, s[30:31]
	s_or_b64 s[4:5], s[36:37], s[4:5]
	v_pk_mov_b32 v[10:11], s[34:35], s[34:35] op_sel:[0,1]
	s_andn2_b64 exec, exec, s[4:5]
	s_cbranch_execz .LBB785_42
.LBB785_39:                             ; =>This Inner Loop Header: Depth=1
	s_or_b64 s[30:31], s[30:31], exec
	s_cmp_eq_u64 s[2:3], s[34:35]
	s_cbranch_scc0 .LBB785_37
; %bb.40:                               ;   in Loop: Header=BB785_39 Depth=1
                                        ; implicit-def: $vgpr6_vgpr7
                                        ; implicit-def: $vgpr8_vgpr9
	s_mov_b64 s[34:35], s[16:17]
	s_branch .LBB785_38
.LBB785_41:
	v_pk_mov_b32 v[8:9], 0, 0
	s_branch .LBB785_44
.LBB785_42:
	s_or_b64 exec, exec, s[4:5]
	v_cmp_gt_i64_e32 vcc, s[16:17], v[10:11]
	s_mov_b32 s2, 0
	v_cndmask_b32_e64 v8, 0, 1, vcc
	v_mov_b32_e32 v9, s2
.LBB785_43:
	s_or_b64 exec, exec, s[28:29]
.LBB785_44:
	s_or_b64 exec, exec, s[26:27]
	v_cmp_ne_u32_e32 vcc, 0, v0
	v_pk_mov_b32 v[6:7], s[24:25], s[24:25] op_sel:[0,1]
	s_waitcnt lgkmcnt(0)
	s_barrier
	s_and_saveexec_b64 s[2:3], vcc
	s_cbranch_execz .LBB785_46
; %bb.45:
	v_add_u32_e32 v6, -8, v1
	ds_read_b64 v[6:7], v6
.LBB785_46:
	s_or_b64 exec, exec, s[2:3]
	v_cmp_gt_u32_e32 vcc, s7, v16
                                        ; implicit-def: $sgpr28_sgpr29
	s_and_saveexec_b64 s[24:25], vcc
	s_cbranch_execz .LBB785_58
; %bb.47:
	v_cmp_lt_i64_e64 s[2:3], s[16:17], 1
	s_and_b64 vcc, exec, s[2:3]
	s_cbranch_vccnz .LBB785_54
; %bb.48:
	v_mul_lo_u32 v12, v3, s16
	v_mul_lo_u32 v13, v2, s17
	v_mad_u64_u32 v[10:11], s[2:3], v2, s16, 0
	v_add3_u32 v11, v11, v13, v12
	s_waitcnt lgkmcnt(0)
	v_mul_lo_u32 v12, v7, s16
	v_mul_lo_u32 v13, v6, s17
	v_mad_u64_u32 v[6:7], s[2:3], v6, s16, 0
	v_lshlrev_b64 v[10:11], 3, v[10:11]
	v_add3_u32 v7, v7, v13, v12
	v_mov_b32_e32 v13, s19
	v_add_co_u32_e32 v12, vcc, s18, v10
	v_addc_co_u32_e64 v13, s[2:3], v13, v11, vcc
	v_lshlrev_b64 v[6:7], 3, v[6:7]
	v_mov_b32_e32 v10, s19
	v_add_co_u32_e64 v14, s[2:3], s18, v6
	v_addc_co_u32_e64 v15, s[4:5], v10, v7, s[2:3]
	global_load_dwordx2 v[16:17], v[12:13], off
	global_load_dwordx2 v[18:19], v[14:15], off
	s_mov_b64 s[28:29], -1
	s_waitcnt vmcnt(0)
	v_cmp_eq_f64_e64 s[4:5], v[16:17], v[18:19]
	s_and_saveexec_b64 s[26:27], s[4:5]
	s_cbranch_execz .LBB785_56
; %bb.49:
	v_mov_b32_e32 v6, s19
	v_addc_co_u32_e64 v7, s[2:3], v7, v6, s[2:3]
	v_add_co_u32_e64 v6, s[2:3], 8, v14
	v_mov_b32_e32 v10, s19
	v_addc_co_u32_e64 v7, s[2:3], 0, v7, s[2:3]
	v_addc_co_u32_e32 v11, vcc, v11, v10, vcc
	v_add_co_u32_e32 v10, vcc, 8, v12
	s_add_u32 s2, s16, -1
	v_addc_co_u32_e32 v11, vcc, 0, v11, vcc
	s_addc_u32 s3, s17, -1
	s_mov_b64 s[4:5], 0
	s_mov_b64 s[30:31], 0
                                        ; implicit-def: $sgpr28_sgpr29
	s_branch .LBB785_52
.LBB785_50:                             ;   in Loop: Header=BB785_52 Depth=1
	global_load_dwordx2 v[12:13], v[10:11], off
	global_load_dwordx2 v[14:15], v[6:7], off
	v_add_co_u32_e32 v6, vcc, 8, v6
	v_addc_co_u32_e32 v7, vcc, 0, v7, vcc
	v_add_co_u32_e32 v10, vcc, 8, v10
	v_addc_co_u32_e32 v11, vcc, 0, v11, vcc
	s_add_u32 s30, s30, 1
	s_addc_u32 s31, s31, 0
	s_andn2_b64 s[28:29], s[28:29], exec
	s_waitcnt vmcnt(0)
	v_cmp_neq_f64_e32 vcc, v[12:13], v[14:15]
	s_and_b64 s[34:35], vcc, exec
	s_or_b64 s[28:29], s[28:29], s[34:35]
.LBB785_51:                             ;   in Loop: Header=BB785_52 Depth=1
	s_and_b64 s[34:35], exec, s[28:29]
	s_or_b64 s[4:5], s[34:35], s[4:5]
	v_pk_mov_b32 v[12:13], s[30:31], s[30:31] op_sel:[0,1]
	s_andn2_b64 exec, exec, s[4:5]
	s_cbranch_execz .LBB785_55
.LBB785_52:                             ; =>This Inner Loop Header: Depth=1
	s_or_b64 s[28:29], s[28:29], exec
	s_cmp_eq_u64 s[2:3], s[30:31]
	s_cbranch_scc0 .LBB785_50
; %bb.53:                               ;   in Loop: Header=BB785_52 Depth=1
                                        ; implicit-def: $vgpr6_vgpr7
                                        ; implicit-def: $vgpr10_vgpr11
	s_mov_b64 s[30:31], s[16:17]
	s_branch .LBB785_51
.LBB785_54:
	s_mov_b64 s[28:29], 0
	s_branch .LBB785_57
.LBB785_55:
	s_or_b64 exec, exec, s[4:5]
	v_cmp_gt_i64_e32 vcc, s[16:17], v[12:13]
	s_orn2_b64 s[28:29], vcc, exec
.LBB785_56:
	s_or_b64 exec, exec, s[26:27]
.LBB785_57:
	s_and_b64 s[28:29], s[28:29], exec
	s_or_b64 s[20:21], s[20:21], exec
.LBB785_58:
	s_or_b64 exec, exec, s[24:25]
.LBB785_59:
	s_branch .LBB785_108
.LBB785_60:
	s_cmp_lg_u64 s[22:23], 1
	s_cbranch_scc0 .LBB785_68
; %bb.61:
	v_cmp_lt_i64_e64 s[2:3], s[16:17], 1
	v_pk_mov_b32 v[8:9], 0, 0
	s_waitcnt lgkmcnt(0)
	v_cmp_gt_i64_e64 s[24:25], s[16:17], 0
	s_and_b64 vcc, exec, s[2:3]
	ds_write_b64 v1, v[4:5]
	s_cbranch_vccnz .LBB785_71
; %bb.62:
	v_mul_lo_u32 v8, v5, s16
	v_mul_lo_u32 v9, v4, s17
	v_mad_u64_u32 v[6:7], s[2:3], v4, s16, 0
	v_add3_u32 v7, v7, v9, v8
	v_mul_lo_u32 v10, v3, s16
	v_mul_lo_u32 v11, v2, s17
	v_mad_u64_u32 v[8:9], s[2:3], v2, s16, 0
	v_add3_u32 v9, v9, v11, v10
	v_lshlrev_b64 v[10:11], 3, v[6:7]
	v_mov_b32_e32 v6, s19
	v_add_co_u32_e32 v12, vcc, s18, v10
	v_addc_co_u32_e64 v13, s[2:3], v6, v11, vcc
	v_lshlrev_b64 v[6:7], 3, v[8:9]
	v_mov_b32_e32 v8, s19
	v_add_co_u32_e64 v14, s[2:3], s18, v6
	v_addc_co_u32_e64 v15, s[4:5], v8, v7, s[2:3]
	global_load_dwordx2 v[8:9], v[12:13], off
	global_load_dwordx2 v[16:17], v[14:15], off
	s_waitcnt vmcnt(0)
	v_cmp_eq_f64_e64 s[4:5], v[8:9], v[16:17]
	v_mov_b32_e32 v8, 1
	v_mov_b32_e32 v9, 0
	s_and_saveexec_b64 s[22:23], s[4:5]
	s_cbranch_execz .LBB785_70
; %bb.63:
	v_mov_b32_e32 v6, s19
	v_addc_co_u32_e64 v7, s[2:3], v7, v6, s[2:3]
	v_add_co_u32_e64 v6, s[2:3], 8, v14
	v_mov_b32_e32 v8, s19
	v_addc_co_u32_e64 v7, s[2:3], 0, v7, s[2:3]
	v_addc_co_u32_e32 v9, vcc, v11, v8, vcc
	v_add_co_u32_e32 v8, vcc, 8, v12
	s_add_u32 s2, s16, -1
	v_addc_co_u32_e32 v9, vcc, 0, v9, vcc
	s_addc_u32 s3, s17, -1
	s_mov_b64 s[4:5], 0
	s_mov_b64 s[28:29], 0
                                        ; implicit-def: $sgpr26_sgpr27
	s_branch .LBB785_66
.LBB785_64:                             ;   in Loop: Header=BB785_66 Depth=1
	global_load_dwordx2 v[10:11], v[8:9], off
	global_load_dwordx2 v[12:13], v[6:7], off
	v_add_co_u32_e32 v6, vcc, 8, v6
	v_addc_co_u32_e32 v7, vcc, 0, v7, vcc
	v_add_co_u32_e32 v8, vcc, 8, v8
	v_addc_co_u32_e32 v9, vcc, 0, v9, vcc
	s_add_u32 s28, s28, 1
	s_addc_u32 s29, s29, 0
	s_andn2_b64 s[26:27], s[26:27], exec
	s_waitcnt vmcnt(0)
	v_cmp_neq_f64_e32 vcc, v[10:11], v[12:13]
	s_and_b64 s[30:31], vcc, exec
	s_or_b64 s[26:27], s[26:27], s[30:31]
.LBB785_65:                             ;   in Loop: Header=BB785_66 Depth=1
	s_and_b64 s[30:31], exec, s[26:27]
	s_or_b64 s[4:5], s[30:31], s[4:5]
	v_pk_mov_b32 v[10:11], s[28:29], s[28:29] op_sel:[0,1]
	s_andn2_b64 exec, exec, s[4:5]
	s_cbranch_execz .LBB785_69
.LBB785_66:                             ; =>This Inner Loop Header: Depth=1
	s_or_b64 s[26:27], s[26:27], exec
	s_cmp_eq_u64 s[2:3], s[28:29]
	s_cbranch_scc0 .LBB785_64
; %bb.67:                               ;   in Loop: Header=BB785_66 Depth=1
                                        ; implicit-def: $vgpr6_vgpr7
                                        ; implicit-def: $vgpr8_vgpr9
	s_mov_b64 s[28:29], s[16:17]
	s_branch .LBB785_65
.LBB785_68:
                                        ; implicit-def: $sgpr28_sgpr29
                                        ; implicit-def: $vgpr8_vgpr9
	s_cbranch_execnz .LBB785_84
	s_branch .LBB785_108
.LBB785_69:
	s_or_b64 exec, exec, s[4:5]
	v_cmp_gt_i64_e32 vcc, s[16:17], v[10:11]
	s_mov_b32 s2, 0
	v_cndmask_b32_e64 v8, 0, 1, vcc
	v_mov_b32_e32 v9, s2
.LBB785_70:
	s_or_b64 exec, exec, s[22:23]
.LBB785_71:
	v_cmp_ne_u32_e32 vcc, 0, v0
	s_waitcnt lgkmcnt(0)
	s_barrier
	s_waitcnt lgkmcnt(0)
                                        ; implicit-def: $sgpr28_sgpr29
	s_and_saveexec_b64 s[22:23], vcc
	s_cbranch_execz .LBB785_83
; %bb.72:
	s_andn2_b64 vcc, exec, s[24:25]
	s_cbranch_vccnz .LBB785_79
; %bb.73:
	v_add_u32_e32 v6, -8, v1
	ds_read_b64 v[6:7], v6
	v_mul_lo_u32 v12, v3, s16
	v_mul_lo_u32 v13, v2, s17
	v_mad_u64_u32 v[10:11], s[2:3], v2, s16, 0
	v_add3_u32 v11, v11, v13, v12
	s_waitcnt lgkmcnt(0)
	v_mul_lo_u32 v12, v7, s16
	v_mul_lo_u32 v13, v6, s17
	v_mad_u64_u32 v[6:7], s[2:3], v6, s16, 0
	v_lshlrev_b64 v[10:11], 3, v[10:11]
	v_add3_u32 v7, v7, v13, v12
	v_mov_b32_e32 v13, s19
	v_add_co_u32_e32 v12, vcc, s18, v10
	v_addc_co_u32_e64 v13, s[2:3], v13, v11, vcc
	v_lshlrev_b64 v[6:7], 3, v[6:7]
	v_mov_b32_e32 v10, s19
	v_add_co_u32_e64 v14, s[2:3], s18, v6
	v_addc_co_u32_e64 v15, s[4:5], v10, v7, s[2:3]
	global_load_dwordx2 v[16:17], v[12:13], off
	global_load_dwordx2 v[18:19], v[14:15], off
	s_mov_b64 s[26:27], -1
	s_waitcnt vmcnt(0)
	v_cmp_eq_f64_e64 s[4:5], v[16:17], v[18:19]
	s_and_saveexec_b64 s[24:25], s[4:5]
	s_cbranch_execz .LBB785_81
; %bb.74:
	v_mov_b32_e32 v6, s19
	v_addc_co_u32_e64 v7, s[2:3], v7, v6, s[2:3]
	v_add_co_u32_e64 v6, s[2:3], 8, v14
	v_mov_b32_e32 v10, s19
	v_addc_co_u32_e64 v7, s[2:3], 0, v7, s[2:3]
	v_addc_co_u32_e32 v11, vcc, v11, v10, vcc
	v_add_co_u32_e32 v10, vcc, 8, v12
	s_add_u32 s2, s16, -1
	v_addc_co_u32_e32 v11, vcc, 0, v11, vcc
	s_addc_u32 s3, s17, -1
	s_mov_b64 s[4:5], 0
	s_mov_b64 s[28:29], 0
                                        ; implicit-def: $sgpr26_sgpr27
	s_branch .LBB785_77
.LBB785_75:                             ;   in Loop: Header=BB785_77 Depth=1
	global_load_dwordx2 v[12:13], v[10:11], off
	global_load_dwordx2 v[14:15], v[6:7], off
	v_add_co_u32_e32 v6, vcc, 8, v6
	v_addc_co_u32_e32 v7, vcc, 0, v7, vcc
	v_add_co_u32_e32 v10, vcc, 8, v10
	v_addc_co_u32_e32 v11, vcc, 0, v11, vcc
	s_add_u32 s28, s28, 1
	s_addc_u32 s29, s29, 0
	s_andn2_b64 s[26:27], s[26:27], exec
	s_waitcnt vmcnt(0)
	v_cmp_neq_f64_e32 vcc, v[12:13], v[14:15]
	s_and_b64 s[30:31], vcc, exec
	s_or_b64 s[26:27], s[26:27], s[30:31]
.LBB785_76:                             ;   in Loop: Header=BB785_77 Depth=1
	s_and_b64 s[30:31], exec, s[26:27]
	s_or_b64 s[4:5], s[30:31], s[4:5]
	v_pk_mov_b32 v[12:13], s[28:29], s[28:29] op_sel:[0,1]
	s_andn2_b64 exec, exec, s[4:5]
	s_cbranch_execz .LBB785_80
.LBB785_77:                             ; =>This Inner Loop Header: Depth=1
	s_or_b64 s[26:27], s[26:27], exec
	s_cmp_eq_u64 s[2:3], s[28:29]
	s_cbranch_scc0 .LBB785_75
; %bb.78:                               ;   in Loop: Header=BB785_77 Depth=1
                                        ; implicit-def: $vgpr6_vgpr7
                                        ; implicit-def: $vgpr10_vgpr11
	s_mov_b64 s[28:29], s[16:17]
	s_branch .LBB785_76
.LBB785_79:
	s_mov_b64 s[26:27], 0
	s_branch .LBB785_82
.LBB785_80:
	s_or_b64 exec, exec, s[4:5]
	v_cmp_gt_i64_e32 vcc, s[16:17], v[12:13]
	s_orn2_b64 s[26:27], vcc, exec
.LBB785_81:
	s_or_b64 exec, exec, s[24:25]
.LBB785_82:
	s_and_b64 s[28:29], s[26:27], exec
	s_or_b64 s[20:21], s[20:21], exec
.LBB785_83:
	s_or_b64 exec, exec, s[22:23]
	s_branch .LBB785_108
.LBB785_84:
	v_lshlrev_b32_e32 v14, 1, v0
	s_waitcnt lgkmcnt(0)
	v_or_b32_e32 v6, 1, v14
	v_cmp_gt_u32_e32 vcc, s14, v6
	v_cmp_lt_i64_e64 s[22:23], s[16:17], 1
	v_pk_mov_b32 v[8:9], v[4:5], v[4:5] op_sel:[0,1]
	ds_write_b64 v1, v[4:5]
	v_pk_mov_b32 v[6:7], v[2:3], v[2:3] op_sel:[0,1]
	s_and_saveexec_b64 s[24:25], vcc
	s_cbranch_execz .LBB785_95
; %bb.85:
	s_and_b64 vcc, exec, s[22:23]
	s_cbranch_vccnz .LBB785_92
; %bb.86:
	v_mul_lo_u32 v6, v5, s16
	v_mul_lo_u32 v7, v4, s17
	v_mad_u64_u32 v[4:5], s[2:3], v4, s16, 0
	v_add3_u32 v5, v5, v7, v6
	v_mul_lo_u32 v6, v3, s16
	v_mul_lo_u32 v7, v2, s17
	v_mad_u64_u32 v[8:9], s[2:3], v2, s16, 0
	v_add3_u32 v9, v9, v7, v6
	v_lshlrev_b64 v[6:7], 3, v[4:5]
	v_mov_b32_e32 v4, s19
	v_add_co_u32_e32 v10, vcc, s18, v6
	v_addc_co_u32_e64 v11, s[2:3], v4, v7, vcc
	v_lshlrev_b64 v[4:5], 3, v[8:9]
	v_mov_b32_e32 v6, s19
	v_add_co_u32_e64 v12, s[2:3], s18, v4
	v_addc_co_u32_e64 v13, s[4:5], v6, v5, s[2:3]
	global_load_dwordx2 v[8:9], v[10:11], off
	global_load_dwordx2 v[16:17], v[12:13], off
	s_waitcnt vmcnt(0)
	v_cmp_eq_f64_e64 s[4:5], v[8:9], v[16:17]
	v_mov_b32_e32 v8, 1
	v_mov_b32_e32 v9, 0
	s_and_saveexec_b64 s[26:27], s[4:5]
	s_cbranch_execz .LBB785_94
; %bb.87:
	v_mov_b32_e32 v4, s19
	v_addc_co_u32_e64 v5, s[2:3], v5, v4, s[2:3]
	v_add_co_u32_e64 v4, s[2:3], 8, v12
	v_mov_b32_e32 v6, s19
	v_addc_co_u32_e64 v5, s[2:3], 0, v5, s[2:3]
	v_addc_co_u32_e32 v7, vcc, v7, v6, vcc
	v_add_co_u32_e32 v6, vcc, 8, v10
	s_add_u32 s2, s16, -1
	v_addc_co_u32_e32 v7, vcc, 0, v7, vcc
	s_addc_u32 s3, s17, -1
	s_mov_b64 s[4:5], 0
	s_mov_b64 s[30:31], 0
                                        ; implicit-def: $sgpr28_sgpr29
	s_branch .LBB785_90
.LBB785_88:                             ;   in Loop: Header=BB785_90 Depth=1
	global_load_dwordx2 v[8:9], v[6:7], off
	global_load_dwordx2 v[10:11], v[4:5], off
	v_add_co_u32_e32 v4, vcc, 8, v4
	v_addc_co_u32_e32 v5, vcc, 0, v5, vcc
	v_add_co_u32_e32 v6, vcc, 8, v6
	v_addc_co_u32_e32 v7, vcc, 0, v7, vcc
	s_add_u32 s30, s30, 1
	s_addc_u32 s31, s31, 0
	s_andn2_b64 s[28:29], s[28:29], exec
	s_waitcnt vmcnt(0)
	v_cmp_neq_f64_e32 vcc, v[8:9], v[10:11]
	s_and_b64 s[34:35], vcc, exec
	s_or_b64 s[28:29], s[28:29], s[34:35]
.LBB785_89:                             ;   in Loop: Header=BB785_90 Depth=1
	s_and_b64 s[34:35], exec, s[28:29]
	s_or_b64 s[4:5], s[34:35], s[4:5]
	v_pk_mov_b32 v[8:9], s[30:31], s[30:31] op_sel:[0,1]
	s_andn2_b64 exec, exec, s[4:5]
	s_cbranch_execz .LBB785_93
.LBB785_90:                             ; =>This Inner Loop Header: Depth=1
	s_or_b64 s[28:29], s[28:29], exec
	s_cmp_eq_u64 s[2:3], s[30:31]
	s_cbranch_scc0 .LBB785_88
; %bb.91:                               ;   in Loop: Header=BB785_90 Depth=1
                                        ; implicit-def: $vgpr4_vgpr5
                                        ; implicit-def: $vgpr6_vgpr7
	s_mov_b64 s[30:31], s[16:17]
	s_branch .LBB785_89
.LBB785_92:
	v_pk_mov_b32 v[8:9], 0, 0
	s_branch .LBB785_95
.LBB785_93:
	s_or_b64 exec, exec, s[4:5]
	v_cmp_gt_i64_e32 vcc, s[16:17], v[8:9]
	s_mov_b32 s2, 0
	v_cndmask_b32_e64 v8, 0, 1, vcc
	v_mov_b32_e32 v9, s2
.LBB785_94:
	s_or_b64 exec, exec, s[26:27]
.LBB785_95:
	s_or_b64 exec, exec, s[24:25]
	v_cmp_ne_u32_e32 vcc, 0, v0
	v_cmp_gt_u32_e64 s[2:3], s14, v14
	s_and_b64 s[2:3], vcc, s[2:3]
	s_waitcnt lgkmcnt(0)
	s_barrier
	s_waitcnt lgkmcnt(0)
                                        ; implicit-def: $sgpr28_sgpr29
	s_and_saveexec_b64 s[24:25], s[2:3]
	s_cbranch_execz .LBB785_107
; %bb.96:
	s_and_b64 vcc, exec, s[22:23]
	s_cbranch_vccnz .LBB785_103
; %bb.97:
	v_mul_lo_u32 v6, v3, s16
	v_add_u32_e32 v3, -8, v1
	ds_read_b64 v[4:5], v3
	v_mul_lo_u32 v7, v2, s17
	v_mad_u64_u32 v[2:3], s[2:3], v2, s16, 0
	v_add3_u32 v3, v3, v7, v6
	s_waitcnt lgkmcnt(0)
	v_mul_lo_u32 v5, v5, s16
	v_mul_lo_u32 v6, v4, s17
	v_mad_u64_u32 v[10:11], s[2:3], v4, s16, 0
	v_add3_u32 v11, v11, v6, v5
	v_lshlrev_b64 v[4:5], 3, v[2:3]
	v_mov_b32_e32 v2, s19
	v_add_co_u32_e32 v6, vcc, s18, v4
	v_addc_co_u32_e64 v7, s[2:3], v2, v5, vcc
	v_lshlrev_b64 v[2:3], 3, v[10:11]
	v_mov_b32_e32 v4, s19
	v_add_co_u32_e64 v10, s[2:3], s18, v2
	v_addc_co_u32_e64 v11, s[4:5], v4, v3, s[2:3]
	global_load_dwordx2 v[12:13], v[6:7], off
	global_load_dwordx2 v[14:15], v[10:11], off
	s_mov_b64 s[26:27], -1
	s_waitcnt vmcnt(0)
	v_cmp_eq_f64_e64 s[4:5], v[12:13], v[14:15]
	s_and_saveexec_b64 s[22:23], s[4:5]
	s_cbranch_execz .LBB785_105
; %bb.98:
	v_mov_b32_e32 v2, s19
	v_addc_co_u32_e64 v3, s[2:3], v3, v2, s[2:3]
	v_add_co_u32_e64 v2, s[2:3], 8, v10
	v_mov_b32_e32 v4, s19
	v_addc_co_u32_e64 v3, s[2:3], 0, v3, s[2:3]
	v_addc_co_u32_e32 v5, vcc, v5, v4, vcc
	v_add_co_u32_e32 v4, vcc, 8, v6
	s_add_u32 s2, s16, -1
	v_addc_co_u32_e32 v5, vcc, 0, v5, vcc
	s_addc_u32 s3, s17, -1
	s_mov_b64 s[4:5], 0
	s_mov_b64 s[26:27], 0
                                        ; implicit-def: $sgpr18_sgpr19
	s_branch .LBB785_101
.LBB785_99:                             ;   in Loop: Header=BB785_101 Depth=1
	global_load_dwordx2 v[6:7], v[4:5], off
	global_load_dwordx2 v[10:11], v[2:3], off
	v_add_co_u32_e32 v2, vcc, 8, v2
	v_addc_co_u32_e32 v3, vcc, 0, v3, vcc
	v_add_co_u32_e32 v4, vcc, 8, v4
	v_addc_co_u32_e32 v5, vcc, 0, v5, vcc
	s_add_u32 s26, s26, 1
	s_addc_u32 s27, s27, 0
	s_andn2_b64 s[18:19], s[18:19], exec
	s_waitcnt vmcnt(0)
	v_cmp_neq_f64_e32 vcc, v[6:7], v[10:11]
	s_and_b64 s[28:29], vcc, exec
	s_or_b64 s[18:19], s[18:19], s[28:29]
.LBB785_100:                            ;   in Loop: Header=BB785_101 Depth=1
	s_and_b64 s[28:29], exec, s[18:19]
	s_or_b64 s[4:5], s[28:29], s[4:5]
	v_pk_mov_b32 v[6:7], s[26:27], s[26:27] op_sel:[0,1]
	s_andn2_b64 exec, exec, s[4:5]
	s_cbranch_execz .LBB785_104
.LBB785_101:                            ; =>This Inner Loop Header: Depth=1
	s_or_b64 s[18:19], s[18:19], exec
	s_cmp_eq_u64 s[2:3], s[26:27]
	s_cbranch_scc0 .LBB785_99
; %bb.102:                              ;   in Loop: Header=BB785_101 Depth=1
                                        ; implicit-def: $vgpr2_vgpr3
                                        ; implicit-def: $vgpr4_vgpr5
	s_mov_b64 s[26:27], s[16:17]
	s_branch .LBB785_100
.LBB785_103:
	s_mov_b64 s[26:27], 0
	s_branch .LBB785_106
.LBB785_104:
	s_or_b64 exec, exec, s[4:5]
	v_cmp_gt_i64_e32 vcc, s[16:17], v[6:7]
	s_orn2_b64 s[26:27], vcc, exec
.LBB785_105:
	s_or_b64 exec, exec, s[22:23]
.LBB785_106:
	s_and_b64 s[28:29], s[26:27], exec
	s_or_b64 s[20:21], s[20:21], exec
                                        ; implicit-def: $vgpr2_vgpr3
.LBB785_107:
	s_or_b64 exec, exec, s[24:25]
.LBB785_108:
	s_and_saveexec_b64 s[2:3], s[20:21]
; %bb.109:
	s_mov_b32 s4, 0
	v_cndmask_b32_e64 v2, 0, 1, s[28:29]
	v_mov_b32_e32 v3, s4
; %bb.110:
	s_or_b64 exec, exec, s[2:3]
	s_add_u32 s4, s12, s10
	s_addc_u32 s5, s13, s11
	s_and_b64 vcc, exec, s[0:1]
	v_lshrrev_b32_e32 v10, 1, v0
	s_waitcnt lgkmcnt(0)
	s_barrier
	s_cbranch_vccz .LBB785_114
; %bb.111:
	v_and_b32_e32 v4, 0x78, v10
	v_lshl_add_u32 v6, v0, 4, v4
	v_mov_b32_e32 v4, v8
	v_mov_b32_e32 v5, v9
	v_or_b32_e32 v11, 0x100, v0
	s_lshl_b32 s0, s6, 9
	s_mov_b32 s9, 0
	ds_write2_b64 v6, v[2:3], v[4:5] offset1:1
	v_lshrrev_b32_e32 v4, 5, v11
	s_sub_i32 s2, s14, s0
	s_lshl_b64 s[0:1], s[8:9], 3
	v_add_lshl_u32 v4, v4, v0, 3
	s_add_u32 s0, s4, s0
	s_waitcnt lgkmcnt(0)
	s_barrier
	ds_read_b64 v[4:5], v4 offset:2048
	s_addc_u32 s1, s5, s1
	v_mov_b32_e32 v7, s1
	v_add_co_u32_e32 v6, vcc, s0, v1
	v_addc_co_u32_e32 v7, vcc, 0, v7, vcc
	v_cmp_gt_u32_e32 vcc, s2, v0
	s_and_saveexec_b64 s[0:1], vcc
	s_cbranch_execz .LBB785_113
; %bb.112:
	v_lshrrev_b32_e32 v12, 5, v0
	v_add_lshl_u32 v12, v12, v0, 3
	ds_read_b64 v[12:13], v12
	s_waitcnt lgkmcnt(0)
	global_store_dwordx2 v[6:7], v[12:13], off
.LBB785_113:
	s_or_b64 exec, exec, s[0:1]
	v_cmp_gt_u32_e64 s[0:1], s2, v11
	s_branch .LBB785_116
.LBB785_114:
	s_mov_b64 s[0:1], 0
                                        ; implicit-def: $vgpr4_vgpr5
                                        ; implicit-def: $vgpr6_vgpr7
	s_cbranch_execz .LBB785_116
; %bb.115:
	s_waitcnt lgkmcnt(0)
	v_and_b32_e32 v4, 0x78, v10
	v_lshl_add_u32 v6, v0, 4, v4
	v_mov_b32_e32 v4, v8
	v_mov_b32_e32 v5, v9
	s_mov_b32 s9, 0
	ds_write2_b64 v6, v[2:3], v[4:5] offset1:1
	v_lshrrev_b32_e32 v2, 5, v0
	v_or_b32_e32 v3, 0x100, v0
	s_lshl_b64 s[2:3], s[8:9], 3
	v_add_lshl_u32 v2, v2, v0, 3
	v_lshrrev_b32_e32 v3, 5, v3
	s_add_u32 s2, s4, s2
	s_waitcnt lgkmcnt(0)
	s_barrier
	v_add_lshl_u32 v0, v3, v0, 3
	ds_read_b64 v[2:3], v2
	ds_read_b64 v[4:5], v0 offset:2048
	s_addc_u32 s3, s5, s3
	v_mov_b32_e32 v0, s3
	v_add_co_u32_e32 v6, vcc, s2, v1
	v_addc_co_u32_e32 v7, vcc, 0, v0, vcc
	s_or_b64 s[0:1], s[0:1], exec
	s_waitcnt lgkmcnt(1)
	global_store_dwordx2 v1, v[2:3], s[2:3]
.LBB785_116:
	s_and_saveexec_b64 s[2:3], s[0:1]
	s_cbranch_execnz .LBB785_118
; %bb.117:
	s_endpgm
.LBB785_118:
	s_waitcnt lgkmcnt(0)
	global_store_dwordx2 v[6:7], v[4:5], off offset:2048
	s_endpgm
	.section	.rodata,"a",@progbits
	.p2align	6, 0x0
	.amdhsa_kernel _ZN7rocprim17ROCPRIM_400000_NS6detail17trampoline_kernelINS0_14default_configENS1_35adjacent_difference_config_selectorILb0ElEEZNS1_24adjacent_difference_implIS3_Lb0ELb0EPlS7_ZN2at6native12_GLOBAL__N_124unique_dim_cuda_templateIdEESt5tupleIJNS8_6TensorESD_SD_EERKSD_lbbbEUlllE1_EE10hipError_tPvRmT2_T3_mT4_P12ihipStream_tbEUlT_E_NS1_11comp_targetILNS1_3genE4ELNS1_11target_archE910ELNS1_3gpuE8ELNS1_3repE0EEENS1_30default_config_static_selectorELNS0_4arch9wavefront6targetE1EEEvT1_
		.amdhsa_group_segment_fixed_size 4224
		.amdhsa_private_segment_fixed_size 0
		.amdhsa_kernarg_size 64
		.amdhsa_user_sgpr_count 6
		.amdhsa_user_sgpr_private_segment_buffer 1
		.amdhsa_user_sgpr_dispatch_ptr 0
		.amdhsa_user_sgpr_queue_ptr 0
		.amdhsa_user_sgpr_kernarg_segment_ptr 1
		.amdhsa_user_sgpr_dispatch_id 0
		.amdhsa_user_sgpr_flat_scratch_init 0
		.amdhsa_user_sgpr_kernarg_preload_length 0
		.amdhsa_user_sgpr_kernarg_preload_offset 0
		.amdhsa_user_sgpr_private_segment_size 0
		.amdhsa_uses_dynamic_stack 0
		.amdhsa_system_sgpr_private_segment_wavefront_offset 0
		.amdhsa_system_sgpr_workgroup_id_x 1
		.amdhsa_system_sgpr_workgroup_id_y 0
		.amdhsa_system_sgpr_workgroup_id_z 0
		.amdhsa_system_sgpr_workgroup_info 0
		.amdhsa_system_vgpr_workitem_id 0
		.amdhsa_next_free_vgpr 20
		.amdhsa_next_free_sgpr 38
		.amdhsa_accum_offset 20
		.amdhsa_reserve_vcc 1
		.amdhsa_reserve_flat_scratch 0
		.amdhsa_float_round_mode_32 0
		.amdhsa_float_round_mode_16_64 0
		.amdhsa_float_denorm_mode_32 3
		.amdhsa_float_denorm_mode_16_64 3
		.amdhsa_dx10_clamp 1
		.amdhsa_ieee_mode 1
		.amdhsa_fp16_overflow 0
		.amdhsa_tg_split 0
		.amdhsa_exception_fp_ieee_invalid_op 0
		.amdhsa_exception_fp_denorm_src 0
		.amdhsa_exception_fp_ieee_div_zero 0
		.amdhsa_exception_fp_ieee_overflow 0
		.amdhsa_exception_fp_ieee_underflow 0
		.amdhsa_exception_fp_ieee_inexact 0
		.amdhsa_exception_int_div_zero 0
	.end_amdhsa_kernel
	.section	.text._ZN7rocprim17ROCPRIM_400000_NS6detail17trampoline_kernelINS0_14default_configENS1_35adjacent_difference_config_selectorILb0ElEEZNS1_24adjacent_difference_implIS3_Lb0ELb0EPlS7_ZN2at6native12_GLOBAL__N_124unique_dim_cuda_templateIdEESt5tupleIJNS8_6TensorESD_SD_EERKSD_lbbbEUlllE1_EE10hipError_tPvRmT2_T3_mT4_P12ihipStream_tbEUlT_E_NS1_11comp_targetILNS1_3genE4ELNS1_11target_archE910ELNS1_3gpuE8ELNS1_3repE0EEENS1_30default_config_static_selectorELNS0_4arch9wavefront6targetE1EEEvT1_,"axG",@progbits,_ZN7rocprim17ROCPRIM_400000_NS6detail17trampoline_kernelINS0_14default_configENS1_35adjacent_difference_config_selectorILb0ElEEZNS1_24adjacent_difference_implIS3_Lb0ELb0EPlS7_ZN2at6native12_GLOBAL__N_124unique_dim_cuda_templateIdEESt5tupleIJNS8_6TensorESD_SD_EERKSD_lbbbEUlllE1_EE10hipError_tPvRmT2_T3_mT4_P12ihipStream_tbEUlT_E_NS1_11comp_targetILNS1_3genE4ELNS1_11target_archE910ELNS1_3gpuE8ELNS1_3repE0EEENS1_30default_config_static_selectorELNS0_4arch9wavefront6targetE1EEEvT1_,comdat
.Lfunc_end785:
	.size	_ZN7rocprim17ROCPRIM_400000_NS6detail17trampoline_kernelINS0_14default_configENS1_35adjacent_difference_config_selectorILb0ElEEZNS1_24adjacent_difference_implIS3_Lb0ELb0EPlS7_ZN2at6native12_GLOBAL__N_124unique_dim_cuda_templateIdEESt5tupleIJNS8_6TensorESD_SD_EERKSD_lbbbEUlllE1_EE10hipError_tPvRmT2_T3_mT4_P12ihipStream_tbEUlT_E_NS1_11comp_targetILNS1_3genE4ELNS1_11target_archE910ELNS1_3gpuE8ELNS1_3repE0EEENS1_30default_config_static_selectorELNS0_4arch9wavefront6targetE1EEEvT1_, .Lfunc_end785-_ZN7rocprim17ROCPRIM_400000_NS6detail17trampoline_kernelINS0_14default_configENS1_35adjacent_difference_config_selectorILb0ElEEZNS1_24adjacent_difference_implIS3_Lb0ELb0EPlS7_ZN2at6native12_GLOBAL__N_124unique_dim_cuda_templateIdEESt5tupleIJNS8_6TensorESD_SD_EERKSD_lbbbEUlllE1_EE10hipError_tPvRmT2_T3_mT4_P12ihipStream_tbEUlT_E_NS1_11comp_targetILNS1_3genE4ELNS1_11target_archE910ELNS1_3gpuE8ELNS1_3repE0EEENS1_30default_config_static_selectorELNS0_4arch9wavefront6targetE1EEEvT1_
                                        ; -- End function
	.section	.AMDGPU.csdata,"",@progbits
; Kernel info:
; codeLenInByte = 4256
; NumSgprs: 42
; NumVgprs: 20
; NumAgprs: 0
; TotalNumVgprs: 20
; ScratchSize: 0
; MemoryBound: 1
; FloatMode: 240
; IeeeMode: 1
; LDSByteSize: 4224 bytes/workgroup (compile time only)
; SGPRBlocks: 5
; VGPRBlocks: 2
; NumSGPRsForWavesPerEU: 42
; NumVGPRsForWavesPerEU: 20
; AccumOffset: 20
; Occupancy: 8
; WaveLimiterHint : 1
; COMPUTE_PGM_RSRC2:SCRATCH_EN: 0
; COMPUTE_PGM_RSRC2:USER_SGPR: 6
; COMPUTE_PGM_RSRC2:TRAP_HANDLER: 0
; COMPUTE_PGM_RSRC2:TGID_X_EN: 1
; COMPUTE_PGM_RSRC2:TGID_Y_EN: 0
; COMPUTE_PGM_RSRC2:TGID_Z_EN: 0
; COMPUTE_PGM_RSRC2:TIDIG_COMP_CNT: 0
; COMPUTE_PGM_RSRC3_GFX90A:ACCUM_OFFSET: 4
; COMPUTE_PGM_RSRC3_GFX90A:TG_SPLIT: 0
	.section	.text._ZN7rocprim17ROCPRIM_400000_NS6detail17trampoline_kernelINS0_14default_configENS1_35adjacent_difference_config_selectorILb0ElEEZNS1_24adjacent_difference_implIS3_Lb0ELb0EPlS7_ZN2at6native12_GLOBAL__N_124unique_dim_cuda_templateIdEESt5tupleIJNS8_6TensorESD_SD_EERKSD_lbbbEUlllE1_EE10hipError_tPvRmT2_T3_mT4_P12ihipStream_tbEUlT_E_NS1_11comp_targetILNS1_3genE3ELNS1_11target_archE908ELNS1_3gpuE7ELNS1_3repE0EEENS1_30default_config_static_selectorELNS0_4arch9wavefront6targetE1EEEvT1_,"axG",@progbits,_ZN7rocprim17ROCPRIM_400000_NS6detail17trampoline_kernelINS0_14default_configENS1_35adjacent_difference_config_selectorILb0ElEEZNS1_24adjacent_difference_implIS3_Lb0ELb0EPlS7_ZN2at6native12_GLOBAL__N_124unique_dim_cuda_templateIdEESt5tupleIJNS8_6TensorESD_SD_EERKSD_lbbbEUlllE1_EE10hipError_tPvRmT2_T3_mT4_P12ihipStream_tbEUlT_E_NS1_11comp_targetILNS1_3genE3ELNS1_11target_archE908ELNS1_3gpuE7ELNS1_3repE0EEENS1_30default_config_static_selectorELNS0_4arch9wavefront6targetE1EEEvT1_,comdat
	.globl	_ZN7rocprim17ROCPRIM_400000_NS6detail17trampoline_kernelINS0_14default_configENS1_35adjacent_difference_config_selectorILb0ElEEZNS1_24adjacent_difference_implIS3_Lb0ELb0EPlS7_ZN2at6native12_GLOBAL__N_124unique_dim_cuda_templateIdEESt5tupleIJNS8_6TensorESD_SD_EERKSD_lbbbEUlllE1_EE10hipError_tPvRmT2_T3_mT4_P12ihipStream_tbEUlT_E_NS1_11comp_targetILNS1_3genE3ELNS1_11target_archE908ELNS1_3gpuE7ELNS1_3repE0EEENS1_30default_config_static_selectorELNS0_4arch9wavefront6targetE1EEEvT1_ ; -- Begin function _ZN7rocprim17ROCPRIM_400000_NS6detail17trampoline_kernelINS0_14default_configENS1_35adjacent_difference_config_selectorILb0ElEEZNS1_24adjacent_difference_implIS3_Lb0ELb0EPlS7_ZN2at6native12_GLOBAL__N_124unique_dim_cuda_templateIdEESt5tupleIJNS8_6TensorESD_SD_EERKSD_lbbbEUlllE1_EE10hipError_tPvRmT2_T3_mT4_P12ihipStream_tbEUlT_E_NS1_11comp_targetILNS1_3genE3ELNS1_11target_archE908ELNS1_3gpuE7ELNS1_3repE0EEENS1_30default_config_static_selectorELNS0_4arch9wavefront6targetE1EEEvT1_
	.p2align	8
	.type	_ZN7rocprim17ROCPRIM_400000_NS6detail17trampoline_kernelINS0_14default_configENS1_35adjacent_difference_config_selectorILb0ElEEZNS1_24adjacent_difference_implIS3_Lb0ELb0EPlS7_ZN2at6native12_GLOBAL__N_124unique_dim_cuda_templateIdEESt5tupleIJNS8_6TensorESD_SD_EERKSD_lbbbEUlllE1_EE10hipError_tPvRmT2_T3_mT4_P12ihipStream_tbEUlT_E_NS1_11comp_targetILNS1_3genE3ELNS1_11target_archE908ELNS1_3gpuE7ELNS1_3repE0EEENS1_30default_config_static_selectorELNS0_4arch9wavefront6targetE1EEEvT1_,@function
_ZN7rocprim17ROCPRIM_400000_NS6detail17trampoline_kernelINS0_14default_configENS1_35adjacent_difference_config_selectorILb0ElEEZNS1_24adjacent_difference_implIS3_Lb0ELb0EPlS7_ZN2at6native12_GLOBAL__N_124unique_dim_cuda_templateIdEESt5tupleIJNS8_6TensorESD_SD_EERKSD_lbbbEUlllE1_EE10hipError_tPvRmT2_T3_mT4_P12ihipStream_tbEUlT_E_NS1_11comp_targetILNS1_3genE3ELNS1_11target_archE908ELNS1_3gpuE7ELNS1_3repE0EEENS1_30default_config_static_selectorELNS0_4arch9wavefront6targetE1EEEvT1_: ; @_ZN7rocprim17ROCPRIM_400000_NS6detail17trampoline_kernelINS0_14default_configENS1_35adjacent_difference_config_selectorILb0ElEEZNS1_24adjacent_difference_implIS3_Lb0ELb0EPlS7_ZN2at6native12_GLOBAL__N_124unique_dim_cuda_templateIdEESt5tupleIJNS8_6TensorESD_SD_EERKSD_lbbbEUlllE1_EE10hipError_tPvRmT2_T3_mT4_P12ihipStream_tbEUlT_E_NS1_11comp_targetILNS1_3genE3ELNS1_11target_archE908ELNS1_3gpuE7ELNS1_3repE0EEENS1_30default_config_static_selectorELNS0_4arch9wavefront6targetE1EEEvT1_
; %bb.0:
	.section	.rodata,"a",@progbits
	.p2align	6, 0x0
	.amdhsa_kernel _ZN7rocprim17ROCPRIM_400000_NS6detail17trampoline_kernelINS0_14default_configENS1_35adjacent_difference_config_selectorILb0ElEEZNS1_24adjacent_difference_implIS3_Lb0ELb0EPlS7_ZN2at6native12_GLOBAL__N_124unique_dim_cuda_templateIdEESt5tupleIJNS8_6TensorESD_SD_EERKSD_lbbbEUlllE1_EE10hipError_tPvRmT2_T3_mT4_P12ihipStream_tbEUlT_E_NS1_11comp_targetILNS1_3genE3ELNS1_11target_archE908ELNS1_3gpuE7ELNS1_3repE0EEENS1_30default_config_static_selectorELNS0_4arch9wavefront6targetE1EEEvT1_
		.amdhsa_group_segment_fixed_size 0
		.amdhsa_private_segment_fixed_size 0
		.amdhsa_kernarg_size 64
		.amdhsa_user_sgpr_count 6
		.amdhsa_user_sgpr_private_segment_buffer 1
		.amdhsa_user_sgpr_dispatch_ptr 0
		.amdhsa_user_sgpr_queue_ptr 0
		.amdhsa_user_sgpr_kernarg_segment_ptr 1
		.amdhsa_user_sgpr_dispatch_id 0
		.amdhsa_user_sgpr_flat_scratch_init 0
		.amdhsa_user_sgpr_kernarg_preload_length 0
		.amdhsa_user_sgpr_kernarg_preload_offset 0
		.amdhsa_user_sgpr_private_segment_size 0
		.amdhsa_uses_dynamic_stack 0
		.amdhsa_system_sgpr_private_segment_wavefront_offset 0
		.amdhsa_system_sgpr_workgroup_id_x 1
		.amdhsa_system_sgpr_workgroup_id_y 0
		.amdhsa_system_sgpr_workgroup_id_z 0
		.amdhsa_system_sgpr_workgroup_info 0
		.amdhsa_system_vgpr_workitem_id 0
		.amdhsa_next_free_vgpr 1
		.amdhsa_next_free_sgpr 0
		.amdhsa_accum_offset 4
		.amdhsa_reserve_vcc 0
		.amdhsa_reserve_flat_scratch 0
		.amdhsa_float_round_mode_32 0
		.amdhsa_float_round_mode_16_64 0
		.amdhsa_float_denorm_mode_32 3
		.amdhsa_float_denorm_mode_16_64 3
		.amdhsa_dx10_clamp 1
		.amdhsa_ieee_mode 1
		.amdhsa_fp16_overflow 0
		.amdhsa_tg_split 0
		.amdhsa_exception_fp_ieee_invalid_op 0
		.amdhsa_exception_fp_denorm_src 0
		.amdhsa_exception_fp_ieee_div_zero 0
		.amdhsa_exception_fp_ieee_overflow 0
		.amdhsa_exception_fp_ieee_underflow 0
		.amdhsa_exception_fp_ieee_inexact 0
		.amdhsa_exception_int_div_zero 0
	.end_amdhsa_kernel
	.section	.text._ZN7rocprim17ROCPRIM_400000_NS6detail17trampoline_kernelINS0_14default_configENS1_35adjacent_difference_config_selectorILb0ElEEZNS1_24adjacent_difference_implIS3_Lb0ELb0EPlS7_ZN2at6native12_GLOBAL__N_124unique_dim_cuda_templateIdEESt5tupleIJNS8_6TensorESD_SD_EERKSD_lbbbEUlllE1_EE10hipError_tPvRmT2_T3_mT4_P12ihipStream_tbEUlT_E_NS1_11comp_targetILNS1_3genE3ELNS1_11target_archE908ELNS1_3gpuE7ELNS1_3repE0EEENS1_30default_config_static_selectorELNS0_4arch9wavefront6targetE1EEEvT1_,"axG",@progbits,_ZN7rocprim17ROCPRIM_400000_NS6detail17trampoline_kernelINS0_14default_configENS1_35adjacent_difference_config_selectorILb0ElEEZNS1_24adjacent_difference_implIS3_Lb0ELb0EPlS7_ZN2at6native12_GLOBAL__N_124unique_dim_cuda_templateIdEESt5tupleIJNS8_6TensorESD_SD_EERKSD_lbbbEUlllE1_EE10hipError_tPvRmT2_T3_mT4_P12ihipStream_tbEUlT_E_NS1_11comp_targetILNS1_3genE3ELNS1_11target_archE908ELNS1_3gpuE7ELNS1_3repE0EEENS1_30default_config_static_selectorELNS0_4arch9wavefront6targetE1EEEvT1_,comdat
.Lfunc_end786:
	.size	_ZN7rocprim17ROCPRIM_400000_NS6detail17trampoline_kernelINS0_14default_configENS1_35adjacent_difference_config_selectorILb0ElEEZNS1_24adjacent_difference_implIS3_Lb0ELb0EPlS7_ZN2at6native12_GLOBAL__N_124unique_dim_cuda_templateIdEESt5tupleIJNS8_6TensorESD_SD_EERKSD_lbbbEUlllE1_EE10hipError_tPvRmT2_T3_mT4_P12ihipStream_tbEUlT_E_NS1_11comp_targetILNS1_3genE3ELNS1_11target_archE908ELNS1_3gpuE7ELNS1_3repE0EEENS1_30default_config_static_selectorELNS0_4arch9wavefront6targetE1EEEvT1_, .Lfunc_end786-_ZN7rocprim17ROCPRIM_400000_NS6detail17trampoline_kernelINS0_14default_configENS1_35adjacent_difference_config_selectorILb0ElEEZNS1_24adjacent_difference_implIS3_Lb0ELb0EPlS7_ZN2at6native12_GLOBAL__N_124unique_dim_cuda_templateIdEESt5tupleIJNS8_6TensorESD_SD_EERKSD_lbbbEUlllE1_EE10hipError_tPvRmT2_T3_mT4_P12ihipStream_tbEUlT_E_NS1_11comp_targetILNS1_3genE3ELNS1_11target_archE908ELNS1_3gpuE7ELNS1_3repE0EEENS1_30default_config_static_selectorELNS0_4arch9wavefront6targetE1EEEvT1_
                                        ; -- End function
	.section	.AMDGPU.csdata,"",@progbits
; Kernel info:
; codeLenInByte = 0
; NumSgprs: 4
; NumVgprs: 0
; NumAgprs: 0
; TotalNumVgprs: 0
; ScratchSize: 0
; MemoryBound: 0
; FloatMode: 240
; IeeeMode: 1
; LDSByteSize: 0 bytes/workgroup (compile time only)
; SGPRBlocks: 0
; VGPRBlocks: 0
; NumSGPRsForWavesPerEU: 4
; NumVGPRsForWavesPerEU: 1
; AccumOffset: 4
; Occupancy: 8
; WaveLimiterHint : 0
; COMPUTE_PGM_RSRC2:SCRATCH_EN: 0
; COMPUTE_PGM_RSRC2:USER_SGPR: 6
; COMPUTE_PGM_RSRC2:TRAP_HANDLER: 0
; COMPUTE_PGM_RSRC2:TGID_X_EN: 1
; COMPUTE_PGM_RSRC2:TGID_Y_EN: 0
; COMPUTE_PGM_RSRC2:TGID_Z_EN: 0
; COMPUTE_PGM_RSRC2:TIDIG_COMP_CNT: 0
; COMPUTE_PGM_RSRC3_GFX90A:ACCUM_OFFSET: 0
; COMPUTE_PGM_RSRC3_GFX90A:TG_SPLIT: 0
	.section	.text._ZN7rocprim17ROCPRIM_400000_NS6detail17trampoline_kernelINS0_14default_configENS1_35adjacent_difference_config_selectorILb0ElEEZNS1_24adjacent_difference_implIS3_Lb0ELb0EPlS7_ZN2at6native12_GLOBAL__N_124unique_dim_cuda_templateIdEESt5tupleIJNS8_6TensorESD_SD_EERKSD_lbbbEUlllE1_EE10hipError_tPvRmT2_T3_mT4_P12ihipStream_tbEUlT_E_NS1_11comp_targetILNS1_3genE2ELNS1_11target_archE906ELNS1_3gpuE6ELNS1_3repE0EEENS1_30default_config_static_selectorELNS0_4arch9wavefront6targetE1EEEvT1_,"axG",@progbits,_ZN7rocprim17ROCPRIM_400000_NS6detail17trampoline_kernelINS0_14default_configENS1_35adjacent_difference_config_selectorILb0ElEEZNS1_24adjacent_difference_implIS3_Lb0ELb0EPlS7_ZN2at6native12_GLOBAL__N_124unique_dim_cuda_templateIdEESt5tupleIJNS8_6TensorESD_SD_EERKSD_lbbbEUlllE1_EE10hipError_tPvRmT2_T3_mT4_P12ihipStream_tbEUlT_E_NS1_11comp_targetILNS1_3genE2ELNS1_11target_archE906ELNS1_3gpuE6ELNS1_3repE0EEENS1_30default_config_static_selectorELNS0_4arch9wavefront6targetE1EEEvT1_,comdat
	.globl	_ZN7rocprim17ROCPRIM_400000_NS6detail17trampoline_kernelINS0_14default_configENS1_35adjacent_difference_config_selectorILb0ElEEZNS1_24adjacent_difference_implIS3_Lb0ELb0EPlS7_ZN2at6native12_GLOBAL__N_124unique_dim_cuda_templateIdEESt5tupleIJNS8_6TensorESD_SD_EERKSD_lbbbEUlllE1_EE10hipError_tPvRmT2_T3_mT4_P12ihipStream_tbEUlT_E_NS1_11comp_targetILNS1_3genE2ELNS1_11target_archE906ELNS1_3gpuE6ELNS1_3repE0EEENS1_30default_config_static_selectorELNS0_4arch9wavefront6targetE1EEEvT1_ ; -- Begin function _ZN7rocprim17ROCPRIM_400000_NS6detail17trampoline_kernelINS0_14default_configENS1_35adjacent_difference_config_selectorILb0ElEEZNS1_24adjacent_difference_implIS3_Lb0ELb0EPlS7_ZN2at6native12_GLOBAL__N_124unique_dim_cuda_templateIdEESt5tupleIJNS8_6TensorESD_SD_EERKSD_lbbbEUlllE1_EE10hipError_tPvRmT2_T3_mT4_P12ihipStream_tbEUlT_E_NS1_11comp_targetILNS1_3genE2ELNS1_11target_archE906ELNS1_3gpuE6ELNS1_3repE0EEENS1_30default_config_static_selectorELNS0_4arch9wavefront6targetE1EEEvT1_
	.p2align	8
	.type	_ZN7rocprim17ROCPRIM_400000_NS6detail17trampoline_kernelINS0_14default_configENS1_35adjacent_difference_config_selectorILb0ElEEZNS1_24adjacent_difference_implIS3_Lb0ELb0EPlS7_ZN2at6native12_GLOBAL__N_124unique_dim_cuda_templateIdEESt5tupleIJNS8_6TensorESD_SD_EERKSD_lbbbEUlllE1_EE10hipError_tPvRmT2_T3_mT4_P12ihipStream_tbEUlT_E_NS1_11comp_targetILNS1_3genE2ELNS1_11target_archE906ELNS1_3gpuE6ELNS1_3repE0EEENS1_30default_config_static_selectorELNS0_4arch9wavefront6targetE1EEEvT1_,@function
_ZN7rocprim17ROCPRIM_400000_NS6detail17trampoline_kernelINS0_14default_configENS1_35adjacent_difference_config_selectorILb0ElEEZNS1_24adjacent_difference_implIS3_Lb0ELb0EPlS7_ZN2at6native12_GLOBAL__N_124unique_dim_cuda_templateIdEESt5tupleIJNS8_6TensorESD_SD_EERKSD_lbbbEUlllE1_EE10hipError_tPvRmT2_T3_mT4_P12ihipStream_tbEUlT_E_NS1_11comp_targetILNS1_3genE2ELNS1_11target_archE906ELNS1_3gpuE6ELNS1_3repE0EEENS1_30default_config_static_selectorELNS0_4arch9wavefront6targetE1EEEvT1_: ; @_ZN7rocprim17ROCPRIM_400000_NS6detail17trampoline_kernelINS0_14default_configENS1_35adjacent_difference_config_selectorILb0ElEEZNS1_24adjacent_difference_implIS3_Lb0ELb0EPlS7_ZN2at6native12_GLOBAL__N_124unique_dim_cuda_templateIdEESt5tupleIJNS8_6TensorESD_SD_EERKSD_lbbbEUlllE1_EE10hipError_tPvRmT2_T3_mT4_P12ihipStream_tbEUlT_E_NS1_11comp_targetILNS1_3genE2ELNS1_11target_archE906ELNS1_3gpuE6ELNS1_3repE0EEENS1_30default_config_static_selectorELNS0_4arch9wavefront6targetE1EEEvT1_
; %bb.0:
	.section	.rodata,"a",@progbits
	.p2align	6, 0x0
	.amdhsa_kernel _ZN7rocprim17ROCPRIM_400000_NS6detail17trampoline_kernelINS0_14default_configENS1_35adjacent_difference_config_selectorILb0ElEEZNS1_24adjacent_difference_implIS3_Lb0ELb0EPlS7_ZN2at6native12_GLOBAL__N_124unique_dim_cuda_templateIdEESt5tupleIJNS8_6TensorESD_SD_EERKSD_lbbbEUlllE1_EE10hipError_tPvRmT2_T3_mT4_P12ihipStream_tbEUlT_E_NS1_11comp_targetILNS1_3genE2ELNS1_11target_archE906ELNS1_3gpuE6ELNS1_3repE0EEENS1_30default_config_static_selectorELNS0_4arch9wavefront6targetE1EEEvT1_
		.amdhsa_group_segment_fixed_size 0
		.amdhsa_private_segment_fixed_size 0
		.amdhsa_kernarg_size 64
		.amdhsa_user_sgpr_count 6
		.amdhsa_user_sgpr_private_segment_buffer 1
		.amdhsa_user_sgpr_dispatch_ptr 0
		.amdhsa_user_sgpr_queue_ptr 0
		.amdhsa_user_sgpr_kernarg_segment_ptr 1
		.amdhsa_user_sgpr_dispatch_id 0
		.amdhsa_user_sgpr_flat_scratch_init 0
		.amdhsa_user_sgpr_kernarg_preload_length 0
		.amdhsa_user_sgpr_kernarg_preload_offset 0
		.amdhsa_user_sgpr_private_segment_size 0
		.amdhsa_uses_dynamic_stack 0
		.amdhsa_system_sgpr_private_segment_wavefront_offset 0
		.amdhsa_system_sgpr_workgroup_id_x 1
		.amdhsa_system_sgpr_workgroup_id_y 0
		.amdhsa_system_sgpr_workgroup_id_z 0
		.amdhsa_system_sgpr_workgroup_info 0
		.amdhsa_system_vgpr_workitem_id 0
		.amdhsa_next_free_vgpr 1
		.amdhsa_next_free_sgpr 0
		.amdhsa_accum_offset 4
		.amdhsa_reserve_vcc 0
		.amdhsa_reserve_flat_scratch 0
		.amdhsa_float_round_mode_32 0
		.amdhsa_float_round_mode_16_64 0
		.amdhsa_float_denorm_mode_32 3
		.amdhsa_float_denorm_mode_16_64 3
		.amdhsa_dx10_clamp 1
		.amdhsa_ieee_mode 1
		.amdhsa_fp16_overflow 0
		.amdhsa_tg_split 0
		.amdhsa_exception_fp_ieee_invalid_op 0
		.amdhsa_exception_fp_denorm_src 0
		.amdhsa_exception_fp_ieee_div_zero 0
		.amdhsa_exception_fp_ieee_overflow 0
		.amdhsa_exception_fp_ieee_underflow 0
		.amdhsa_exception_fp_ieee_inexact 0
		.amdhsa_exception_int_div_zero 0
	.end_amdhsa_kernel
	.section	.text._ZN7rocprim17ROCPRIM_400000_NS6detail17trampoline_kernelINS0_14default_configENS1_35adjacent_difference_config_selectorILb0ElEEZNS1_24adjacent_difference_implIS3_Lb0ELb0EPlS7_ZN2at6native12_GLOBAL__N_124unique_dim_cuda_templateIdEESt5tupleIJNS8_6TensorESD_SD_EERKSD_lbbbEUlllE1_EE10hipError_tPvRmT2_T3_mT4_P12ihipStream_tbEUlT_E_NS1_11comp_targetILNS1_3genE2ELNS1_11target_archE906ELNS1_3gpuE6ELNS1_3repE0EEENS1_30default_config_static_selectorELNS0_4arch9wavefront6targetE1EEEvT1_,"axG",@progbits,_ZN7rocprim17ROCPRIM_400000_NS6detail17trampoline_kernelINS0_14default_configENS1_35adjacent_difference_config_selectorILb0ElEEZNS1_24adjacent_difference_implIS3_Lb0ELb0EPlS7_ZN2at6native12_GLOBAL__N_124unique_dim_cuda_templateIdEESt5tupleIJNS8_6TensorESD_SD_EERKSD_lbbbEUlllE1_EE10hipError_tPvRmT2_T3_mT4_P12ihipStream_tbEUlT_E_NS1_11comp_targetILNS1_3genE2ELNS1_11target_archE906ELNS1_3gpuE6ELNS1_3repE0EEENS1_30default_config_static_selectorELNS0_4arch9wavefront6targetE1EEEvT1_,comdat
.Lfunc_end787:
	.size	_ZN7rocprim17ROCPRIM_400000_NS6detail17trampoline_kernelINS0_14default_configENS1_35adjacent_difference_config_selectorILb0ElEEZNS1_24adjacent_difference_implIS3_Lb0ELb0EPlS7_ZN2at6native12_GLOBAL__N_124unique_dim_cuda_templateIdEESt5tupleIJNS8_6TensorESD_SD_EERKSD_lbbbEUlllE1_EE10hipError_tPvRmT2_T3_mT4_P12ihipStream_tbEUlT_E_NS1_11comp_targetILNS1_3genE2ELNS1_11target_archE906ELNS1_3gpuE6ELNS1_3repE0EEENS1_30default_config_static_selectorELNS0_4arch9wavefront6targetE1EEEvT1_, .Lfunc_end787-_ZN7rocprim17ROCPRIM_400000_NS6detail17trampoline_kernelINS0_14default_configENS1_35adjacent_difference_config_selectorILb0ElEEZNS1_24adjacent_difference_implIS3_Lb0ELb0EPlS7_ZN2at6native12_GLOBAL__N_124unique_dim_cuda_templateIdEESt5tupleIJNS8_6TensorESD_SD_EERKSD_lbbbEUlllE1_EE10hipError_tPvRmT2_T3_mT4_P12ihipStream_tbEUlT_E_NS1_11comp_targetILNS1_3genE2ELNS1_11target_archE906ELNS1_3gpuE6ELNS1_3repE0EEENS1_30default_config_static_selectorELNS0_4arch9wavefront6targetE1EEEvT1_
                                        ; -- End function
	.section	.AMDGPU.csdata,"",@progbits
; Kernel info:
; codeLenInByte = 0
; NumSgprs: 4
; NumVgprs: 0
; NumAgprs: 0
; TotalNumVgprs: 0
; ScratchSize: 0
; MemoryBound: 0
; FloatMode: 240
; IeeeMode: 1
; LDSByteSize: 0 bytes/workgroup (compile time only)
; SGPRBlocks: 0
; VGPRBlocks: 0
; NumSGPRsForWavesPerEU: 4
; NumVGPRsForWavesPerEU: 1
; AccumOffset: 4
; Occupancy: 8
; WaveLimiterHint : 0
; COMPUTE_PGM_RSRC2:SCRATCH_EN: 0
; COMPUTE_PGM_RSRC2:USER_SGPR: 6
; COMPUTE_PGM_RSRC2:TRAP_HANDLER: 0
; COMPUTE_PGM_RSRC2:TGID_X_EN: 1
; COMPUTE_PGM_RSRC2:TGID_Y_EN: 0
; COMPUTE_PGM_RSRC2:TGID_Z_EN: 0
; COMPUTE_PGM_RSRC2:TIDIG_COMP_CNT: 0
; COMPUTE_PGM_RSRC3_GFX90A:ACCUM_OFFSET: 0
; COMPUTE_PGM_RSRC3_GFX90A:TG_SPLIT: 0
	.section	.text._ZN7rocprim17ROCPRIM_400000_NS6detail17trampoline_kernelINS0_14default_configENS1_35adjacent_difference_config_selectorILb0ElEEZNS1_24adjacent_difference_implIS3_Lb0ELb0EPlS7_ZN2at6native12_GLOBAL__N_124unique_dim_cuda_templateIdEESt5tupleIJNS8_6TensorESD_SD_EERKSD_lbbbEUlllE1_EE10hipError_tPvRmT2_T3_mT4_P12ihipStream_tbEUlT_E_NS1_11comp_targetILNS1_3genE9ELNS1_11target_archE1100ELNS1_3gpuE3ELNS1_3repE0EEENS1_30default_config_static_selectorELNS0_4arch9wavefront6targetE1EEEvT1_,"axG",@progbits,_ZN7rocprim17ROCPRIM_400000_NS6detail17trampoline_kernelINS0_14default_configENS1_35adjacent_difference_config_selectorILb0ElEEZNS1_24adjacent_difference_implIS3_Lb0ELb0EPlS7_ZN2at6native12_GLOBAL__N_124unique_dim_cuda_templateIdEESt5tupleIJNS8_6TensorESD_SD_EERKSD_lbbbEUlllE1_EE10hipError_tPvRmT2_T3_mT4_P12ihipStream_tbEUlT_E_NS1_11comp_targetILNS1_3genE9ELNS1_11target_archE1100ELNS1_3gpuE3ELNS1_3repE0EEENS1_30default_config_static_selectorELNS0_4arch9wavefront6targetE1EEEvT1_,comdat
	.globl	_ZN7rocprim17ROCPRIM_400000_NS6detail17trampoline_kernelINS0_14default_configENS1_35adjacent_difference_config_selectorILb0ElEEZNS1_24adjacent_difference_implIS3_Lb0ELb0EPlS7_ZN2at6native12_GLOBAL__N_124unique_dim_cuda_templateIdEESt5tupleIJNS8_6TensorESD_SD_EERKSD_lbbbEUlllE1_EE10hipError_tPvRmT2_T3_mT4_P12ihipStream_tbEUlT_E_NS1_11comp_targetILNS1_3genE9ELNS1_11target_archE1100ELNS1_3gpuE3ELNS1_3repE0EEENS1_30default_config_static_selectorELNS0_4arch9wavefront6targetE1EEEvT1_ ; -- Begin function _ZN7rocprim17ROCPRIM_400000_NS6detail17trampoline_kernelINS0_14default_configENS1_35adjacent_difference_config_selectorILb0ElEEZNS1_24adjacent_difference_implIS3_Lb0ELb0EPlS7_ZN2at6native12_GLOBAL__N_124unique_dim_cuda_templateIdEESt5tupleIJNS8_6TensorESD_SD_EERKSD_lbbbEUlllE1_EE10hipError_tPvRmT2_T3_mT4_P12ihipStream_tbEUlT_E_NS1_11comp_targetILNS1_3genE9ELNS1_11target_archE1100ELNS1_3gpuE3ELNS1_3repE0EEENS1_30default_config_static_selectorELNS0_4arch9wavefront6targetE1EEEvT1_
	.p2align	8
	.type	_ZN7rocprim17ROCPRIM_400000_NS6detail17trampoline_kernelINS0_14default_configENS1_35adjacent_difference_config_selectorILb0ElEEZNS1_24adjacent_difference_implIS3_Lb0ELb0EPlS7_ZN2at6native12_GLOBAL__N_124unique_dim_cuda_templateIdEESt5tupleIJNS8_6TensorESD_SD_EERKSD_lbbbEUlllE1_EE10hipError_tPvRmT2_T3_mT4_P12ihipStream_tbEUlT_E_NS1_11comp_targetILNS1_3genE9ELNS1_11target_archE1100ELNS1_3gpuE3ELNS1_3repE0EEENS1_30default_config_static_selectorELNS0_4arch9wavefront6targetE1EEEvT1_,@function
_ZN7rocprim17ROCPRIM_400000_NS6detail17trampoline_kernelINS0_14default_configENS1_35adjacent_difference_config_selectorILb0ElEEZNS1_24adjacent_difference_implIS3_Lb0ELb0EPlS7_ZN2at6native12_GLOBAL__N_124unique_dim_cuda_templateIdEESt5tupleIJNS8_6TensorESD_SD_EERKSD_lbbbEUlllE1_EE10hipError_tPvRmT2_T3_mT4_P12ihipStream_tbEUlT_E_NS1_11comp_targetILNS1_3genE9ELNS1_11target_archE1100ELNS1_3gpuE3ELNS1_3repE0EEENS1_30default_config_static_selectorELNS0_4arch9wavefront6targetE1EEEvT1_: ; @_ZN7rocprim17ROCPRIM_400000_NS6detail17trampoline_kernelINS0_14default_configENS1_35adjacent_difference_config_selectorILb0ElEEZNS1_24adjacent_difference_implIS3_Lb0ELb0EPlS7_ZN2at6native12_GLOBAL__N_124unique_dim_cuda_templateIdEESt5tupleIJNS8_6TensorESD_SD_EERKSD_lbbbEUlllE1_EE10hipError_tPvRmT2_T3_mT4_P12ihipStream_tbEUlT_E_NS1_11comp_targetILNS1_3genE9ELNS1_11target_archE1100ELNS1_3gpuE3ELNS1_3repE0EEENS1_30default_config_static_selectorELNS0_4arch9wavefront6targetE1EEEvT1_
; %bb.0:
	.section	.rodata,"a",@progbits
	.p2align	6, 0x0
	.amdhsa_kernel _ZN7rocprim17ROCPRIM_400000_NS6detail17trampoline_kernelINS0_14default_configENS1_35adjacent_difference_config_selectorILb0ElEEZNS1_24adjacent_difference_implIS3_Lb0ELb0EPlS7_ZN2at6native12_GLOBAL__N_124unique_dim_cuda_templateIdEESt5tupleIJNS8_6TensorESD_SD_EERKSD_lbbbEUlllE1_EE10hipError_tPvRmT2_T3_mT4_P12ihipStream_tbEUlT_E_NS1_11comp_targetILNS1_3genE9ELNS1_11target_archE1100ELNS1_3gpuE3ELNS1_3repE0EEENS1_30default_config_static_selectorELNS0_4arch9wavefront6targetE1EEEvT1_
		.amdhsa_group_segment_fixed_size 0
		.amdhsa_private_segment_fixed_size 0
		.amdhsa_kernarg_size 64
		.amdhsa_user_sgpr_count 6
		.amdhsa_user_sgpr_private_segment_buffer 1
		.amdhsa_user_sgpr_dispatch_ptr 0
		.amdhsa_user_sgpr_queue_ptr 0
		.amdhsa_user_sgpr_kernarg_segment_ptr 1
		.amdhsa_user_sgpr_dispatch_id 0
		.amdhsa_user_sgpr_flat_scratch_init 0
		.amdhsa_user_sgpr_kernarg_preload_length 0
		.amdhsa_user_sgpr_kernarg_preload_offset 0
		.amdhsa_user_sgpr_private_segment_size 0
		.amdhsa_uses_dynamic_stack 0
		.amdhsa_system_sgpr_private_segment_wavefront_offset 0
		.amdhsa_system_sgpr_workgroup_id_x 1
		.amdhsa_system_sgpr_workgroup_id_y 0
		.amdhsa_system_sgpr_workgroup_id_z 0
		.amdhsa_system_sgpr_workgroup_info 0
		.amdhsa_system_vgpr_workitem_id 0
		.amdhsa_next_free_vgpr 1
		.amdhsa_next_free_sgpr 0
		.amdhsa_accum_offset 4
		.amdhsa_reserve_vcc 0
		.amdhsa_reserve_flat_scratch 0
		.amdhsa_float_round_mode_32 0
		.amdhsa_float_round_mode_16_64 0
		.amdhsa_float_denorm_mode_32 3
		.amdhsa_float_denorm_mode_16_64 3
		.amdhsa_dx10_clamp 1
		.amdhsa_ieee_mode 1
		.amdhsa_fp16_overflow 0
		.amdhsa_tg_split 0
		.amdhsa_exception_fp_ieee_invalid_op 0
		.amdhsa_exception_fp_denorm_src 0
		.amdhsa_exception_fp_ieee_div_zero 0
		.amdhsa_exception_fp_ieee_overflow 0
		.amdhsa_exception_fp_ieee_underflow 0
		.amdhsa_exception_fp_ieee_inexact 0
		.amdhsa_exception_int_div_zero 0
	.end_amdhsa_kernel
	.section	.text._ZN7rocprim17ROCPRIM_400000_NS6detail17trampoline_kernelINS0_14default_configENS1_35adjacent_difference_config_selectorILb0ElEEZNS1_24adjacent_difference_implIS3_Lb0ELb0EPlS7_ZN2at6native12_GLOBAL__N_124unique_dim_cuda_templateIdEESt5tupleIJNS8_6TensorESD_SD_EERKSD_lbbbEUlllE1_EE10hipError_tPvRmT2_T3_mT4_P12ihipStream_tbEUlT_E_NS1_11comp_targetILNS1_3genE9ELNS1_11target_archE1100ELNS1_3gpuE3ELNS1_3repE0EEENS1_30default_config_static_selectorELNS0_4arch9wavefront6targetE1EEEvT1_,"axG",@progbits,_ZN7rocprim17ROCPRIM_400000_NS6detail17trampoline_kernelINS0_14default_configENS1_35adjacent_difference_config_selectorILb0ElEEZNS1_24adjacent_difference_implIS3_Lb0ELb0EPlS7_ZN2at6native12_GLOBAL__N_124unique_dim_cuda_templateIdEESt5tupleIJNS8_6TensorESD_SD_EERKSD_lbbbEUlllE1_EE10hipError_tPvRmT2_T3_mT4_P12ihipStream_tbEUlT_E_NS1_11comp_targetILNS1_3genE9ELNS1_11target_archE1100ELNS1_3gpuE3ELNS1_3repE0EEENS1_30default_config_static_selectorELNS0_4arch9wavefront6targetE1EEEvT1_,comdat
.Lfunc_end788:
	.size	_ZN7rocprim17ROCPRIM_400000_NS6detail17trampoline_kernelINS0_14default_configENS1_35adjacent_difference_config_selectorILb0ElEEZNS1_24adjacent_difference_implIS3_Lb0ELb0EPlS7_ZN2at6native12_GLOBAL__N_124unique_dim_cuda_templateIdEESt5tupleIJNS8_6TensorESD_SD_EERKSD_lbbbEUlllE1_EE10hipError_tPvRmT2_T3_mT4_P12ihipStream_tbEUlT_E_NS1_11comp_targetILNS1_3genE9ELNS1_11target_archE1100ELNS1_3gpuE3ELNS1_3repE0EEENS1_30default_config_static_selectorELNS0_4arch9wavefront6targetE1EEEvT1_, .Lfunc_end788-_ZN7rocprim17ROCPRIM_400000_NS6detail17trampoline_kernelINS0_14default_configENS1_35adjacent_difference_config_selectorILb0ElEEZNS1_24adjacent_difference_implIS3_Lb0ELb0EPlS7_ZN2at6native12_GLOBAL__N_124unique_dim_cuda_templateIdEESt5tupleIJNS8_6TensorESD_SD_EERKSD_lbbbEUlllE1_EE10hipError_tPvRmT2_T3_mT4_P12ihipStream_tbEUlT_E_NS1_11comp_targetILNS1_3genE9ELNS1_11target_archE1100ELNS1_3gpuE3ELNS1_3repE0EEENS1_30default_config_static_selectorELNS0_4arch9wavefront6targetE1EEEvT1_
                                        ; -- End function
	.section	.AMDGPU.csdata,"",@progbits
; Kernel info:
; codeLenInByte = 0
; NumSgprs: 4
; NumVgprs: 0
; NumAgprs: 0
; TotalNumVgprs: 0
; ScratchSize: 0
; MemoryBound: 0
; FloatMode: 240
; IeeeMode: 1
; LDSByteSize: 0 bytes/workgroup (compile time only)
; SGPRBlocks: 0
; VGPRBlocks: 0
; NumSGPRsForWavesPerEU: 4
; NumVGPRsForWavesPerEU: 1
; AccumOffset: 4
; Occupancy: 8
; WaveLimiterHint : 0
; COMPUTE_PGM_RSRC2:SCRATCH_EN: 0
; COMPUTE_PGM_RSRC2:USER_SGPR: 6
; COMPUTE_PGM_RSRC2:TRAP_HANDLER: 0
; COMPUTE_PGM_RSRC2:TGID_X_EN: 1
; COMPUTE_PGM_RSRC2:TGID_Y_EN: 0
; COMPUTE_PGM_RSRC2:TGID_Z_EN: 0
; COMPUTE_PGM_RSRC2:TIDIG_COMP_CNT: 0
; COMPUTE_PGM_RSRC3_GFX90A:ACCUM_OFFSET: 0
; COMPUTE_PGM_RSRC3_GFX90A:TG_SPLIT: 0
	.section	.text._ZN7rocprim17ROCPRIM_400000_NS6detail17trampoline_kernelINS0_14default_configENS1_35adjacent_difference_config_selectorILb0ElEEZNS1_24adjacent_difference_implIS3_Lb0ELb0EPlS7_ZN2at6native12_GLOBAL__N_124unique_dim_cuda_templateIdEESt5tupleIJNS8_6TensorESD_SD_EERKSD_lbbbEUlllE1_EE10hipError_tPvRmT2_T3_mT4_P12ihipStream_tbEUlT_E_NS1_11comp_targetILNS1_3genE8ELNS1_11target_archE1030ELNS1_3gpuE2ELNS1_3repE0EEENS1_30default_config_static_selectorELNS0_4arch9wavefront6targetE1EEEvT1_,"axG",@progbits,_ZN7rocprim17ROCPRIM_400000_NS6detail17trampoline_kernelINS0_14default_configENS1_35adjacent_difference_config_selectorILb0ElEEZNS1_24adjacent_difference_implIS3_Lb0ELb0EPlS7_ZN2at6native12_GLOBAL__N_124unique_dim_cuda_templateIdEESt5tupleIJNS8_6TensorESD_SD_EERKSD_lbbbEUlllE1_EE10hipError_tPvRmT2_T3_mT4_P12ihipStream_tbEUlT_E_NS1_11comp_targetILNS1_3genE8ELNS1_11target_archE1030ELNS1_3gpuE2ELNS1_3repE0EEENS1_30default_config_static_selectorELNS0_4arch9wavefront6targetE1EEEvT1_,comdat
	.globl	_ZN7rocprim17ROCPRIM_400000_NS6detail17trampoline_kernelINS0_14default_configENS1_35adjacent_difference_config_selectorILb0ElEEZNS1_24adjacent_difference_implIS3_Lb0ELb0EPlS7_ZN2at6native12_GLOBAL__N_124unique_dim_cuda_templateIdEESt5tupleIJNS8_6TensorESD_SD_EERKSD_lbbbEUlllE1_EE10hipError_tPvRmT2_T3_mT4_P12ihipStream_tbEUlT_E_NS1_11comp_targetILNS1_3genE8ELNS1_11target_archE1030ELNS1_3gpuE2ELNS1_3repE0EEENS1_30default_config_static_selectorELNS0_4arch9wavefront6targetE1EEEvT1_ ; -- Begin function _ZN7rocprim17ROCPRIM_400000_NS6detail17trampoline_kernelINS0_14default_configENS1_35adjacent_difference_config_selectorILb0ElEEZNS1_24adjacent_difference_implIS3_Lb0ELb0EPlS7_ZN2at6native12_GLOBAL__N_124unique_dim_cuda_templateIdEESt5tupleIJNS8_6TensorESD_SD_EERKSD_lbbbEUlllE1_EE10hipError_tPvRmT2_T3_mT4_P12ihipStream_tbEUlT_E_NS1_11comp_targetILNS1_3genE8ELNS1_11target_archE1030ELNS1_3gpuE2ELNS1_3repE0EEENS1_30default_config_static_selectorELNS0_4arch9wavefront6targetE1EEEvT1_
	.p2align	8
	.type	_ZN7rocprim17ROCPRIM_400000_NS6detail17trampoline_kernelINS0_14default_configENS1_35adjacent_difference_config_selectorILb0ElEEZNS1_24adjacent_difference_implIS3_Lb0ELb0EPlS7_ZN2at6native12_GLOBAL__N_124unique_dim_cuda_templateIdEESt5tupleIJNS8_6TensorESD_SD_EERKSD_lbbbEUlllE1_EE10hipError_tPvRmT2_T3_mT4_P12ihipStream_tbEUlT_E_NS1_11comp_targetILNS1_3genE8ELNS1_11target_archE1030ELNS1_3gpuE2ELNS1_3repE0EEENS1_30default_config_static_selectorELNS0_4arch9wavefront6targetE1EEEvT1_,@function
_ZN7rocprim17ROCPRIM_400000_NS6detail17trampoline_kernelINS0_14default_configENS1_35adjacent_difference_config_selectorILb0ElEEZNS1_24adjacent_difference_implIS3_Lb0ELb0EPlS7_ZN2at6native12_GLOBAL__N_124unique_dim_cuda_templateIdEESt5tupleIJNS8_6TensorESD_SD_EERKSD_lbbbEUlllE1_EE10hipError_tPvRmT2_T3_mT4_P12ihipStream_tbEUlT_E_NS1_11comp_targetILNS1_3genE8ELNS1_11target_archE1030ELNS1_3gpuE2ELNS1_3repE0EEENS1_30default_config_static_selectorELNS0_4arch9wavefront6targetE1EEEvT1_: ; @_ZN7rocprim17ROCPRIM_400000_NS6detail17trampoline_kernelINS0_14default_configENS1_35adjacent_difference_config_selectorILb0ElEEZNS1_24adjacent_difference_implIS3_Lb0ELb0EPlS7_ZN2at6native12_GLOBAL__N_124unique_dim_cuda_templateIdEESt5tupleIJNS8_6TensorESD_SD_EERKSD_lbbbEUlllE1_EE10hipError_tPvRmT2_T3_mT4_P12ihipStream_tbEUlT_E_NS1_11comp_targetILNS1_3genE8ELNS1_11target_archE1030ELNS1_3gpuE2ELNS1_3repE0EEENS1_30default_config_static_selectorELNS0_4arch9wavefront6targetE1EEEvT1_
; %bb.0:
	.section	.rodata,"a",@progbits
	.p2align	6, 0x0
	.amdhsa_kernel _ZN7rocprim17ROCPRIM_400000_NS6detail17trampoline_kernelINS0_14default_configENS1_35adjacent_difference_config_selectorILb0ElEEZNS1_24adjacent_difference_implIS3_Lb0ELb0EPlS7_ZN2at6native12_GLOBAL__N_124unique_dim_cuda_templateIdEESt5tupleIJNS8_6TensorESD_SD_EERKSD_lbbbEUlllE1_EE10hipError_tPvRmT2_T3_mT4_P12ihipStream_tbEUlT_E_NS1_11comp_targetILNS1_3genE8ELNS1_11target_archE1030ELNS1_3gpuE2ELNS1_3repE0EEENS1_30default_config_static_selectorELNS0_4arch9wavefront6targetE1EEEvT1_
		.amdhsa_group_segment_fixed_size 0
		.amdhsa_private_segment_fixed_size 0
		.amdhsa_kernarg_size 64
		.amdhsa_user_sgpr_count 6
		.amdhsa_user_sgpr_private_segment_buffer 1
		.amdhsa_user_sgpr_dispatch_ptr 0
		.amdhsa_user_sgpr_queue_ptr 0
		.amdhsa_user_sgpr_kernarg_segment_ptr 1
		.amdhsa_user_sgpr_dispatch_id 0
		.amdhsa_user_sgpr_flat_scratch_init 0
		.amdhsa_user_sgpr_kernarg_preload_length 0
		.amdhsa_user_sgpr_kernarg_preload_offset 0
		.amdhsa_user_sgpr_private_segment_size 0
		.amdhsa_uses_dynamic_stack 0
		.amdhsa_system_sgpr_private_segment_wavefront_offset 0
		.amdhsa_system_sgpr_workgroup_id_x 1
		.amdhsa_system_sgpr_workgroup_id_y 0
		.amdhsa_system_sgpr_workgroup_id_z 0
		.amdhsa_system_sgpr_workgroup_info 0
		.amdhsa_system_vgpr_workitem_id 0
		.amdhsa_next_free_vgpr 1
		.amdhsa_next_free_sgpr 0
		.amdhsa_accum_offset 4
		.amdhsa_reserve_vcc 0
		.amdhsa_reserve_flat_scratch 0
		.amdhsa_float_round_mode_32 0
		.amdhsa_float_round_mode_16_64 0
		.amdhsa_float_denorm_mode_32 3
		.amdhsa_float_denorm_mode_16_64 3
		.amdhsa_dx10_clamp 1
		.amdhsa_ieee_mode 1
		.amdhsa_fp16_overflow 0
		.amdhsa_tg_split 0
		.amdhsa_exception_fp_ieee_invalid_op 0
		.amdhsa_exception_fp_denorm_src 0
		.amdhsa_exception_fp_ieee_div_zero 0
		.amdhsa_exception_fp_ieee_overflow 0
		.amdhsa_exception_fp_ieee_underflow 0
		.amdhsa_exception_fp_ieee_inexact 0
		.amdhsa_exception_int_div_zero 0
	.end_amdhsa_kernel
	.section	.text._ZN7rocprim17ROCPRIM_400000_NS6detail17trampoline_kernelINS0_14default_configENS1_35adjacent_difference_config_selectorILb0ElEEZNS1_24adjacent_difference_implIS3_Lb0ELb0EPlS7_ZN2at6native12_GLOBAL__N_124unique_dim_cuda_templateIdEESt5tupleIJNS8_6TensorESD_SD_EERKSD_lbbbEUlllE1_EE10hipError_tPvRmT2_T3_mT4_P12ihipStream_tbEUlT_E_NS1_11comp_targetILNS1_3genE8ELNS1_11target_archE1030ELNS1_3gpuE2ELNS1_3repE0EEENS1_30default_config_static_selectorELNS0_4arch9wavefront6targetE1EEEvT1_,"axG",@progbits,_ZN7rocprim17ROCPRIM_400000_NS6detail17trampoline_kernelINS0_14default_configENS1_35adjacent_difference_config_selectorILb0ElEEZNS1_24adjacent_difference_implIS3_Lb0ELb0EPlS7_ZN2at6native12_GLOBAL__N_124unique_dim_cuda_templateIdEESt5tupleIJNS8_6TensorESD_SD_EERKSD_lbbbEUlllE1_EE10hipError_tPvRmT2_T3_mT4_P12ihipStream_tbEUlT_E_NS1_11comp_targetILNS1_3genE8ELNS1_11target_archE1030ELNS1_3gpuE2ELNS1_3repE0EEENS1_30default_config_static_selectorELNS0_4arch9wavefront6targetE1EEEvT1_,comdat
.Lfunc_end789:
	.size	_ZN7rocprim17ROCPRIM_400000_NS6detail17trampoline_kernelINS0_14default_configENS1_35adjacent_difference_config_selectorILb0ElEEZNS1_24adjacent_difference_implIS3_Lb0ELb0EPlS7_ZN2at6native12_GLOBAL__N_124unique_dim_cuda_templateIdEESt5tupleIJNS8_6TensorESD_SD_EERKSD_lbbbEUlllE1_EE10hipError_tPvRmT2_T3_mT4_P12ihipStream_tbEUlT_E_NS1_11comp_targetILNS1_3genE8ELNS1_11target_archE1030ELNS1_3gpuE2ELNS1_3repE0EEENS1_30default_config_static_selectorELNS0_4arch9wavefront6targetE1EEEvT1_, .Lfunc_end789-_ZN7rocprim17ROCPRIM_400000_NS6detail17trampoline_kernelINS0_14default_configENS1_35adjacent_difference_config_selectorILb0ElEEZNS1_24adjacent_difference_implIS3_Lb0ELb0EPlS7_ZN2at6native12_GLOBAL__N_124unique_dim_cuda_templateIdEESt5tupleIJNS8_6TensorESD_SD_EERKSD_lbbbEUlllE1_EE10hipError_tPvRmT2_T3_mT4_P12ihipStream_tbEUlT_E_NS1_11comp_targetILNS1_3genE8ELNS1_11target_archE1030ELNS1_3gpuE2ELNS1_3repE0EEENS1_30default_config_static_selectorELNS0_4arch9wavefront6targetE1EEEvT1_
                                        ; -- End function
	.section	.AMDGPU.csdata,"",@progbits
; Kernel info:
; codeLenInByte = 0
; NumSgprs: 4
; NumVgprs: 0
; NumAgprs: 0
; TotalNumVgprs: 0
; ScratchSize: 0
; MemoryBound: 0
; FloatMode: 240
; IeeeMode: 1
; LDSByteSize: 0 bytes/workgroup (compile time only)
; SGPRBlocks: 0
; VGPRBlocks: 0
; NumSGPRsForWavesPerEU: 4
; NumVGPRsForWavesPerEU: 1
; AccumOffset: 4
; Occupancy: 8
; WaveLimiterHint : 0
; COMPUTE_PGM_RSRC2:SCRATCH_EN: 0
; COMPUTE_PGM_RSRC2:USER_SGPR: 6
; COMPUTE_PGM_RSRC2:TRAP_HANDLER: 0
; COMPUTE_PGM_RSRC2:TGID_X_EN: 1
; COMPUTE_PGM_RSRC2:TGID_Y_EN: 0
; COMPUTE_PGM_RSRC2:TGID_Z_EN: 0
; COMPUTE_PGM_RSRC2:TIDIG_COMP_CNT: 0
; COMPUTE_PGM_RSRC3_GFX90A:ACCUM_OFFSET: 0
; COMPUTE_PGM_RSRC3_GFX90A:TG_SPLIT: 0
	.section	.text._ZN7rocprim17ROCPRIM_400000_NS6detail17trampoline_kernelINS0_14default_configENS1_25transform_config_selectorIlLb0EEEZNS1_14transform_implILb0ES3_S5_NS0_18transform_iteratorINS0_17counting_iteratorImlEEZNS1_24adjacent_difference_implIS3_Lb1ELb0EPlSB_ZN2at6native12_GLOBAL__N_124unique_dim_cuda_templateIdEESt5tupleIJNSC_6TensorESH_SH_EERKSH_lbbbEUlllE1_EE10hipError_tPvRmT2_T3_mT4_P12ihipStream_tbEUlmE_lEESB_NS0_8identityIvEEEESM_SP_SQ_mSR_ST_bEUlT_E_NS1_11comp_targetILNS1_3genE0ELNS1_11target_archE4294967295ELNS1_3gpuE0ELNS1_3repE0EEENS1_30default_config_static_selectorELNS0_4arch9wavefront6targetE1EEEvT1_,"axG",@progbits,_ZN7rocprim17ROCPRIM_400000_NS6detail17trampoline_kernelINS0_14default_configENS1_25transform_config_selectorIlLb0EEEZNS1_14transform_implILb0ES3_S5_NS0_18transform_iteratorINS0_17counting_iteratorImlEEZNS1_24adjacent_difference_implIS3_Lb1ELb0EPlSB_ZN2at6native12_GLOBAL__N_124unique_dim_cuda_templateIdEESt5tupleIJNSC_6TensorESH_SH_EERKSH_lbbbEUlllE1_EE10hipError_tPvRmT2_T3_mT4_P12ihipStream_tbEUlmE_lEESB_NS0_8identityIvEEEESM_SP_SQ_mSR_ST_bEUlT_E_NS1_11comp_targetILNS1_3genE0ELNS1_11target_archE4294967295ELNS1_3gpuE0ELNS1_3repE0EEENS1_30default_config_static_selectorELNS0_4arch9wavefront6targetE1EEEvT1_,comdat
	.globl	_ZN7rocprim17ROCPRIM_400000_NS6detail17trampoline_kernelINS0_14default_configENS1_25transform_config_selectorIlLb0EEEZNS1_14transform_implILb0ES3_S5_NS0_18transform_iteratorINS0_17counting_iteratorImlEEZNS1_24adjacent_difference_implIS3_Lb1ELb0EPlSB_ZN2at6native12_GLOBAL__N_124unique_dim_cuda_templateIdEESt5tupleIJNSC_6TensorESH_SH_EERKSH_lbbbEUlllE1_EE10hipError_tPvRmT2_T3_mT4_P12ihipStream_tbEUlmE_lEESB_NS0_8identityIvEEEESM_SP_SQ_mSR_ST_bEUlT_E_NS1_11comp_targetILNS1_3genE0ELNS1_11target_archE4294967295ELNS1_3gpuE0ELNS1_3repE0EEENS1_30default_config_static_selectorELNS0_4arch9wavefront6targetE1EEEvT1_ ; -- Begin function _ZN7rocprim17ROCPRIM_400000_NS6detail17trampoline_kernelINS0_14default_configENS1_25transform_config_selectorIlLb0EEEZNS1_14transform_implILb0ES3_S5_NS0_18transform_iteratorINS0_17counting_iteratorImlEEZNS1_24adjacent_difference_implIS3_Lb1ELb0EPlSB_ZN2at6native12_GLOBAL__N_124unique_dim_cuda_templateIdEESt5tupleIJNSC_6TensorESH_SH_EERKSH_lbbbEUlllE1_EE10hipError_tPvRmT2_T3_mT4_P12ihipStream_tbEUlmE_lEESB_NS0_8identityIvEEEESM_SP_SQ_mSR_ST_bEUlT_E_NS1_11comp_targetILNS1_3genE0ELNS1_11target_archE4294967295ELNS1_3gpuE0ELNS1_3repE0EEENS1_30default_config_static_selectorELNS0_4arch9wavefront6targetE1EEEvT1_
	.p2align	8
	.type	_ZN7rocprim17ROCPRIM_400000_NS6detail17trampoline_kernelINS0_14default_configENS1_25transform_config_selectorIlLb0EEEZNS1_14transform_implILb0ES3_S5_NS0_18transform_iteratorINS0_17counting_iteratorImlEEZNS1_24adjacent_difference_implIS3_Lb1ELb0EPlSB_ZN2at6native12_GLOBAL__N_124unique_dim_cuda_templateIdEESt5tupleIJNSC_6TensorESH_SH_EERKSH_lbbbEUlllE1_EE10hipError_tPvRmT2_T3_mT4_P12ihipStream_tbEUlmE_lEESB_NS0_8identityIvEEEESM_SP_SQ_mSR_ST_bEUlT_E_NS1_11comp_targetILNS1_3genE0ELNS1_11target_archE4294967295ELNS1_3gpuE0ELNS1_3repE0EEENS1_30default_config_static_selectorELNS0_4arch9wavefront6targetE1EEEvT1_,@function
_ZN7rocprim17ROCPRIM_400000_NS6detail17trampoline_kernelINS0_14default_configENS1_25transform_config_selectorIlLb0EEEZNS1_14transform_implILb0ES3_S5_NS0_18transform_iteratorINS0_17counting_iteratorImlEEZNS1_24adjacent_difference_implIS3_Lb1ELb0EPlSB_ZN2at6native12_GLOBAL__N_124unique_dim_cuda_templateIdEESt5tupleIJNSC_6TensorESH_SH_EERKSH_lbbbEUlllE1_EE10hipError_tPvRmT2_T3_mT4_P12ihipStream_tbEUlmE_lEESB_NS0_8identityIvEEEESM_SP_SQ_mSR_ST_bEUlT_E_NS1_11comp_targetILNS1_3genE0ELNS1_11target_archE4294967295ELNS1_3gpuE0ELNS1_3repE0EEENS1_30default_config_static_selectorELNS0_4arch9wavefront6targetE1EEEvT1_: ; @_ZN7rocprim17ROCPRIM_400000_NS6detail17trampoline_kernelINS0_14default_configENS1_25transform_config_selectorIlLb0EEEZNS1_14transform_implILb0ES3_S5_NS0_18transform_iteratorINS0_17counting_iteratorImlEEZNS1_24adjacent_difference_implIS3_Lb1ELb0EPlSB_ZN2at6native12_GLOBAL__N_124unique_dim_cuda_templateIdEESt5tupleIJNSC_6TensorESH_SH_EERKSH_lbbbEUlllE1_EE10hipError_tPvRmT2_T3_mT4_P12ihipStream_tbEUlmE_lEESB_NS0_8identityIvEEEESM_SP_SQ_mSR_ST_bEUlT_E_NS1_11comp_targetILNS1_3genE0ELNS1_11target_archE4294967295ELNS1_3gpuE0ELNS1_3repE0EEENS1_30default_config_static_selectorELNS0_4arch9wavefront6targetE1EEEvT1_
; %bb.0:
	.section	.rodata,"a",@progbits
	.p2align	6, 0x0
	.amdhsa_kernel _ZN7rocprim17ROCPRIM_400000_NS6detail17trampoline_kernelINS0_14default_configENS1_25transform_config_selectorIlLb0EEEZNS1_14transform_implILb0ES3_S5_NS0_18transform_iteratorINS0_17counting_iteratorImlEEZNS1_24adjacent_difference_implIS3_Lb1ELb0EPlSB_ZN2at6native12_GLOBAL__N_124unique_dim_cuda_templateIdEESt5tupleIJNSC_6TensorESH_SH_EERKSH_lbbbEUlllE1_EE10hipError_tPvRmT2_T3_mT4_P12ihipStream_tbEUlmE_lEESB_NS0_8identityIvEEEESM_SP_SQ_mSR_ST_bEUlT_E_NS1_11comp_targetILNS1_3genE0ELNS1_11target_archE4294967295ELNS1_3gpuE0ELNS1_3repE0EEENS1_30default_config_static_selectorELNS0_4arch9wavefront6targetE1EEEvT1_
		.amdhsa_group_segment_fixed_size 0
		.amdhsa_private_segment_fixed_size 0
		.amdhsa_kernarg_size 56
		.amdhsa_user_sgpr_count 6
		.amdhsa_user_sgpr_private_segment_buffer 1
		.amdhsa_user_sgpr_dispatch_ptr 0
		.amdhsa_user_sgpr_queue_ptr 0
		.amdhsa_user_sgpr_kernarg_segment_ptr 1
		.amdhsa_user_sgpr_dispatch_id 0
		.amdhsa_user_sgpr_flat_scratch_init 0
		.amdhsa_user_sgpr_kernarg_preload_length 0
		.amdhsa_user_sgpr_kernarg_preload_offset 0
		.amdhsa_user_sgpr_private_segment_size 0
		.amdhsa_uses_dynamic_stack 0
		.amdhsa_system_sgpr_private_segment_wavefront_offset 0
		.amdhsa_system_sgpr_workgroup_id_x 1
		.amdhsa_system_sgpr_workgroup_id_y 0
		.amdhsa_system_sgpr_workgroup_id_z 0
		.amdhsa_system_sgpr_workgroup_info 0
		.amdhsa_system_vgpr_workitem_id 0
		.amdhsa_next_free_vgpr 1
		.amdhsa_next_free_sgpr 0
		.amdhsa_accum_offset 4
		.amdhsa_reserve_vcc 0
		.amdhsa_reserve_flat_scratch 0
		.amdhsa_float_round_mode_32 0
		.amdhsa_float_round_mode_16_64 0
		.amdhsa_float_denorm_mode_32 3
		.amdhsa_float_denorm_mode_16_64 3
		.amdhsa_dx10_clamp 1
		.amdhsa_ieee_mode 1
		.amdhsa_fp16_overflow 0
		.amdhsa_tg_split 0
		.amdhsa_exception_fp_ieee_invalid_op 0
		.amdhsa_exception_fp_denorm_src 0
		.amdhsa_exception_fp_ieee_div_zero 0
		.amdhsa_exception_fp_ieee_overflow 0
		.amdhsa_exception_fp_ieee_underflow 0
		.amdhsa_exception_fp_ieee_inexact 0
		.amdhsa_exception_int_div_zero 0
	.end_amdhsa_kernel
	.section	.text._ZN7rocprim17ROCPRIM_400000_NS6detail17trampoline_kernelINS0_14default_configENS1_25transform_config_selectorIlLb0EEEZNS1_14transform_implILb0ES3_S5_NS0_18transform_iteratorINS0_17counting_iteratorImlEEZNS1_24adjacent_difference_implIS3_Lb1ELb0EPlSB_ZN2at6native12_GLOBAL__N_124unique_dim_cuda_templateIdEESt5tupleIJNSC_6TensorESH_SH_EERKSH_lbbbEUlllE1_EE10hipError_tPvRmT2_T3_mT4_P12ihipStream_tbEUlmE_lEESB_NS0_8identityIvEEEESM_SP_SQ_mSR_ST_bEUlT_E_NS1_11comp_targetILNS1_3genE0ELNS1_11target_archE4294967295ELNS1_3gpuE0ELNS1_3repE0EEENS1_30default_config_static_selectorELNS0_4arch9wavefront6targetE1EEEvT1_,"axG",@progbits,_ZN7rocprim17ROCPRIM_400000_NS6detail17trampoline_kernelINS0_14default_configENS1_25transform_config_selectorIlLb0EEEZNS1_14transform_implILb0ES3_S5_NS0_18transform_iteratorINS0_17counting_iteratorImlEEZNS1_24adjacent_difference_implIS3_Lb1ELb0EPlSB_ZN2at6native12_GLOBAL__N_124unique_dim_cuda_templateIdEESt5tupleIJNSC_6TensorESH_SH_EERKSH_lbbbEUlllE1_EE10hipError_tPvRmT2_T3_mT4_P12ihipStream_tbEUlmE_lEESB_NS0_8identityIvEEEESM_SP_SQ_mSR_ST_bEUlT_E_NS1_11comp_targetILNS1_3genE0ELNS1_11target_archE4294967295ELNS1_3gpuE0ELNS1_3repE0EEENS1_30default_config_static_selectorELNS0_4arch9wavefront6targetE1EEEvT1_,comdat
.Lfunc_end790:
	.size	_ZN7rocprim17ROCPRIM_400000_NS6detail17trampoline_kernelINS0_14default_configENS1_25transform_config_selectorIlLb0EEEZNS1_14transform_implILb0ES3_S5_NS0_18transform_iteratorINS0_17counting_iteratorImlEEZNS1_24adjacent_difference_implIS3_Lb1ELb0EPlSB_ZN2at6native12_GLOBAL__N_124unique_dim_cuda_templateIdEESt5tupleIJNSC_6TensorESH_SH_EERKSH_lbbbEUlllE1_EE10hipError_tPvRmT2_T3_mT4_P12ihipStream_tbEUlmE_lEESB_NS0_8identityIvEEEESM_SP_SQ_mSR_ST_bEUlT_E_NS1_11comp_targetILNS1_3genE0ELNS1_11target_archE4294967295ELNS1_3gpuE0ELNS1_3repE0EEENS1_30default_config_static_selectorELNS0_4arch9wavefront6targetE1EEEvT1_, .Lfunc_end790-_ZN7rocprim17ROCPRIM_400000_NS6detail17trampoline_kernelINS0_14default_configENS1_25transform_config_selectorIlLb0EEEZNS1_14transform_implILb0ES3_S5_NS0_18transform_iteratorINS0_17counting_iteratorImlEEZNS1_24adjacent_difference_implIS3_Lb1ELb0EPlSB_ZN2at6native12_GLOBAL__N_124unique_dim_cuda_templateIdEESt5tupleIJNSC_6TensorESH_SH_EERKSH_lbbbEUlllE1_EE10hipError_tPvRmT2_T3_mT4_P12ihipStream_tbEUlmE_lEESB_NS0_8identityIvEEEESM_SP_SQ_mSR_ST_bEUlT_E_NS1_11comp_targetILNS1_3genE0ELNS1_11target_archE4294967295ELNS1_3gpuE0ELNS1_3repE0EEENS1_30default_config_static_selectorELNS0_4arch9wavefront6targetE1EEEvT1_
                                        ; -- End function
	.section	.AMDGPU.csdata,"",@progbits
; Kernel info:
; codeLenInByte = 0
; NumSgprs: 4
; NumVgprs: 0
; NumAgprs: 0
; TotalNumVgprs: 0
; ScratchSize: 0
; MemoryBound: 0
; FloatMode: 240
; IeeeMode: 1
; LDSByteSize: 0 bytes/workgroup (compile time only)
; SGPRBlocks: 0
; VGPRBlocks: 0
; NumSGPRsForWavesPerEU: 4
; NumVGPRsForWavesPerEU: 1
; AccumOffset: 4
; Occupancy: 8
; WaveLimiterHint : 0
; COMPUTE_PGM_RSRC2:SCRATCH_EN: 0
; COMPUTE_PGM_RSRC2:USER_SGPR: 6
; COMPUTE_PGM_RSRC2:TRAP_HANDLER: 0
; COMPUTE_PGM_RSRC2:TGID_X_EN: 1
; COMPUTE_PGM_RSRC2:TGID_Y_EN: 0
; COMPUTE_PGM_RSRC2:TGID_Z_EN: 0
; COMPUTE_PGM_RSRC2:TIDIG_COMP_CNT: 0
; COMPUTE_PGM_RSRC3_GFX90A:ACCUM_OFFSET: 0
; COMPUTE_PGM_RSRC3_GFX90A:TG_SPLIT: 0
	.section	.text._ZN7rocprim17ROCPRIM_400000_NS6detail17trampoline_kernelINS0_14default_configENS1_25transform_config_selectorIlLb0EEEZNS1_14transform_implILb0ES3_S5_NS0_18transform_iteratorINS0_17counting_iteratorImlEEZNS1_24adjacent_difference_implIS3_Lb1ELb0EPlSB_ZN2at6native12_GLOBAL__N_124unique_dim_cuda_templateIdEESt5tupleIJNSC_6TensorESH_SH_EERKSH_lbbbEUlllE1_EE10hipError_tPvRmT2_T3_mT4_P12ihipStream_tbEUlmE_lEESB_NS0_8identityIvEEEESM_SP_SQ_mSR_ST_bEUlT_E_NS1_11comp_targetILNS1_3genE5ELNS1_11target_archE942ELNS1_3gpuE9ELNS1_3repE0EEENS1_30default_config_static_selectorELNS0_4arch9wavefront6targetE1EEEvT1_,"axG",@progbits,_ZN7rocprim17ROCPRIM_400000_NS6detail17trampoline_kernelINS0_14default_configENS1_25transform_config_selectorIlLb0EEEZNS1_14transform_implILb0ES3_S5_NS0_18transform_iteratorINS0_17counting_iteratorImlEEZNS1_24adjacent_difference_implIS3_Lb1ELb0EPlSB_ZN2at6native12_GLOBAL__N_124unique_dim_cuda_templateIdEESt5tupleIJNSC_6TensorESH_SH_EERKSH_lbbbEUlllE1_EE10hipError_tPvRmT2_T3_mT4_P12ihipStream_tbEUlmE_lEESB_NS0_8identityIvEEEESM_SP_SQ_mSR_ST_bEUlT_E_NS1_11comp_targetILNS1_3genE5ELNS1_11target_archE942ELNS1_3gpuE9ELNS1_3repE0EEENS1_30default_config_static_selectorELNS0_4arch9wavefront6targetE1EEEvT1_,comdat
	.globl	_ZN7rocprim17ROCPRIM_400000_NS6detail17trampoline_kernelINS0_14default_configENS1_25transform_config_selectorIlLb0EEEZNS1_14transform_implILb0ES3_S5_NS0_18transform_iteratorINS0_17counting_iteratorImlEEZNS1_24adjacent_difference_implIS3_Lb1ELb0EPlSB_ZN2at6native12_GLOBAL__N_124unique_dim_cuda_templateIdEESt5tupleIJNSC_6TensorESH_SH_EERKSH_lbbbEUlllE1_EE10hipError_tPvRmT2_T3_mT4_P12ihipStream_tbEUlmE_lEESB_NS0_8identityIvEEEESM_SP_SQ_mSR_ST_bEUlT_E_NS1_11comp_targetILNS1_3genE5ELNS1_11target_archE942ELNS1_3gpuE9ELNS1_3repE0EEENS1_30default_config_static_selectorELNS0_4arch9wavefront6targetE1EEEvT1_ ; -- Begin function _ZN7rocprim17ROCPRIM_400000_NS6detail17trampoline_kernelINS0_14default_configENS1_25transform_config_selectorIlLb0EEEZNS1_14transform_implILb0ES3_S5_NS0_18transform_iteratorINS0_17counting_iteratorImlEEZNS1_24adjacent_difference_implIS3_Lb1ELb0EPlSB_ZN2at6native12_GLOBAL__N_124unique_dim_cuda_templateIdEESt5tupleIJNSC_6TensorESH_SH_EERKSH_lbbbEUlllE1_EE10hipError_tPvRmT2_T3_mT4_P12ihipStream_tbEUlmE_lEESB_NS0_8identityIvEEEESM_SP_SQ_mSR_ST_bEUlT_E_NS1_11comp_targetILNS1_3genE5ELNS1_11target_archE942ELNS1_3gpuE9ELNS1_3repE0EEENS1_30default_config_static_selectorELNS0_4arch9wavefront6targetE1EEEvT1_
	.p2align	8
	.type	_ZN7rocprim17ROCPRIM_400000_NS6detail17trampoline_kernelINS0_14default_configENS1_25transform_config_selectorIlLb0EEEZNS1_14transform_implILb0ES3_S5_NS0_18transform_iteratorINS0_17counting_iteratorImlEEZNS1_24adjacent_difference_implIS3_Lb1ELb0EPlSB_ZN2at6native12_GLOBAL__N_124unique_dim_cuda_templateIdEESt5tupleIJNSC_6TensorESH_SH_EERKSH_lbbbEUlllE1_EE10hipError_tPvRmT2_T3_mT4_P12ihipStream_tbEUlmE_lEESB_NS0_8identityIvEEEESM_SP_SQ_mSR_ST_bEUlT_E_NS1_11comp_targetILNS1_3genE5ELNS1_11target_archE942ELNS1_3gpuE9ELNS1_3repE0EEENS1_30default_config_static_selectorELNS0_4arch9wavefront6targetE1EEEvT1_,@function
_ZN7rocprim17ROCPRIM_400000_NS6detail17trampoline_kernelINS0_14default_configENS1_25transform_config_selectorIlLb0EEEZNS1_14transform_implILb0ES3_S5_NS0_18transform_iteratorINS0_17counting_iteratorImlEEZNS1_24adjacent_difference_implIS3_Lb1ELb0EPlSB_ZN2at6native12_GLOBAL__N_124unique_dim_cuda_templateIdEESt5tupleIJNSC_6TensorESH_SH_EERKSH_lbbbEUlllE1_EE10hipError_tPvRmT2_T3_mT4_P12ihipStream_tbEUlmE_lEESB_NS0_8identityIvEEEESM_SP_SQ_mSR_ST_bEUlT_E_NS1_11comp_targetILNS1_3genE5ELNS1_11target_archE942ELNS1_3gpuE9ELNS1_3repE0EEENS1_30default_config_static_selectorELNS0_4arch9wavefront6targetE1EEEvT1_: ; @_ZN7rocprim17ROCPRIM_400000_NS6detail17trampoline_kernelINS0_14default_configENS1_25transform_config_selectorIlLb0EEEZNS1_14transform_implILb0ES3_S5_NS0_18transform_iteratorINS0_17counting_iteratorImlEEZNS1_24adjacent_difference_implIS3_Lb1ELb0EPlSB_ZN2at6native12_GLOBAL__N_124unique_dim_cuda_templateIdEESt5tupleIJNSC_6TensorESH_SH_EERKSH_lbbbEUlllE1_EE10hipError_tPvRmT2_T3_mT4_P12ihipStream_tbEUlmE_lEESB_NS0_8identityIvEEEESM_SP_SQ_mSR_ST_bEUlT_E_NS1_11comp_targetILNS1_3genE5ELNS1_11target_archE942ELNS1_3gpuE9ELNS1_3repE0EEENS1_30default_config_static_selectorELNS0_4arch9wavefront6targetE1EEEvT1_
; %bb.0:
	.section	.rodata,"a",@progbits
	.p2align	6, 0x0
	.amdhsa_kernel _ZN7rocprim17ROCPRIM_400000_NS6detail17trampoline_kernelINS0_14default_configENS1_25transform_config_selectorIlLb0EEEZNS1_14transform_implILb0ES3_S5_NS0_18transform_iteratorINS0_17counting_iteratorImlEEZNS1_24adjacent_difference_implIS3_Lb1ELb0EPlSB_ZN2at6native12_GLOBAL__N_124unique_dim_cuda_templateIdEESt5tupleIJNSC_6TensorESH_SH_EERKSH_lbbbEUlllE1_EE10hipError_tPvRmT2_T3_mT4_P12ihipStream_tbEUlmE_lEESB_NS0_8identityIvEEEESM_SP_SQ_mSR_ST_bEUlT_E_NS1_11comp_targetILNS1_3genE5ELNS1_11target_archE942ELNS1_3gpuE9ELNS1_3repE0EEENS1_30default_config_static_selectorELNS0_4arch9wavefront6targetE1EEEvT1_
		.amdhsa_group_segment_fixed_size 0
		.amdhsa_private_segment_fixed_size 0
		.amdhsa_kernarg_size 56
		.amdhsa_user_sgpr_count 6
		.amdhsa_user_sgpr_private_segment_buffer 1
		.amdhsa_user_sgpr_dispatch_ptr 0
		.amdhsa_user_sgpr_queue_ptr 0
		.amdhsa_user_sgpr_kernarg_segment_ptr 1
		.amdhsa_user_sgpr_dispatch_id 0
		.amdhsa_user_sgpr_flat_scratch_init 0
		.amdhsa_user_sgpr_kernarg_preload_length 0
		.amdhsa_user_sgpr_kernarg_preload_offset 0
		.amdhsa_user_sgpr_private_segment_size 0
		.amdhsa_uses_dynamic_stack 0
		.amdhsa_system_sgpr_private_segment_wavefront_offset 0
		.amdhsa_system_sgpr_workgroup_id_x 1
		.amdhsa_system_sgpr_workgroup_id_y 0
		.amdhsa_system_sgpr_workgroup_id_z 0
		.amdhsa_system_sgpr_workgroup_info 0
		.amdhsa_system_vgpr_workitem_id 0
		.amdhsa_next_free_vgpr 1
		.amdhsa_next_free_sgpr 0
		.amdhsa_accum_offset 4
		.amdhsa_reserve_vcc 0
		.amdhsa_reserve_flat_scratch 0
		.amdhsa_float_round_mode_32 0
		.amdhsa_float_round_mode_16_64 0
		.amdhsa_float_denorm_mode_32 3
		.amdhsa_float_denorm_mode_16_64 3
		.amdhsa_dx10_clamp 1
		.amdhsa_ieee_mode 1
		.amdhsa_fp16_overflow 0
		.amdhsa_tg_split 0
		.amdhsa_exception_fp_ieee_invalid_op 0
		.amdhsa_exception_fp_denorm_src 0
		.amdhsa_exception_fp_ieee_div_zero 0
		.amdhsa_exception_fp_ieee_overflow 0
		.amdhsa_exception_fp_ieee_underflow 0
		.amdhsa_exception_fp_ieee_inexact 0
		.amdhsa_exception_int_div_zero 0
	.end_amdhsa_kernel
	.section	.text._ZN7rocprim17ROCPRIM_400000_NS6detail17trampoline_kernelINS0_14default_configENS1_25transform_config_selectorIlLb0EEEZNS1_14transform_implILb0ES3_S5_NS0_18transform_iteratorINS0_17counting_iteratorImlEEZNS1_24adjacent_difference_implIS3_Lb1ELb0EPlSB_ZN2at6native12_GLOBAL__N_124unique_dim_cuda_templateIdEESt5tupleIJNSC_6TensorESH_SH_EERKSH_lbbbEUlllE1_EE10hipError_tPvRmT2_T3_mT4_P12ihipStream_tbEUlmE_lEESB_NS0_8identityIvEEEESM_SP_SQ_mSR_ST_bEUlT_E_NS1_11comp_targetILNS1_3genE5ELNS1_11target_archE942ELNS1_3gpuE9ELNS1_3repE0EEENS1_30default_config_static_selectorELNS0_4arch9wavefront6targetE1EEEvT1_,"axG",@progbits,_ZN7rocprim17ROCPRIM_400000_NS6detail17trampoline_kernelINS0_14default_configENS1_25transform_config_selectorIlLb0EEEZNS1_14transform_implILb0ES3_S5_NS0_18transform_iteratorINS0_17counting_iteratorImlEEZNS1_24adjacent_difference_implIS3_Lb1ELb0EPlSB_ZN2at6native12_GLOBAL__N_124unique_dim_cuda_templateIdEESt5tupleIJNSC_6TensorESH_SH_EERKSH_lbbbEUlllE1_EE10hipError_tPvRmT2_T3_mT4_P12ihipStream_tbEUlmE_lEESB_NS0_8identityIvEEEESM_SP_SQ_mSR_ST_bEUlT_E_NS1_11comp_targetILNS1_3genE5ELNS1_11target_archE942ELNS1_3gpuE9ELNS1_3repE0EEENS1_30default_config_static_selectorELNS0_4arch9wavefront6targetE1EEEvT1_,comdat
.Lfunc_end791:
	.size	_ZN7rocprim17ROCPRIM_400000_NS6detail17trampoline_kernelINS0_14default_configENS1_25transform_config_selectorIlLb0EEEZNS1_14transform_implILb0ES3_S5_NS0_18transform_iteratorINS0_17counting_iteratorImlEEZNS1_24adjacent_difference_implIS3_Lb1ELb0EPlSB_ZN2at6native12_GLOBAL__N_124unique_dim_cuda_templateIdEESt5tupleIJNSC_6TensorESH_SH_EERKSH_lbbbEUlllE1_EE10hipError_tPvRmT2_T3_mT4_P12ihipStream_tbEUlmE_lEESB_NS0_8identityIvEEEESM_SP_SQ_mSR_ST_bEUlT_E_NS1_11comp_targetILNS1_3genE5ELNS1_11target_archE942ELNS1_3gpuE9ELNS1_3repE0EEENS1_30default_config_static_selectorELNS0_4arch9wavefront6targetE1EEEvT1_, .Lfunc_end791-_ZN7rocprim17ROCPRIM_400000_NS6detail17trampoline_kernelINS0_14default_configENS1_25transform_config_selectorIlLb0EEEZNS1_14transform_implILb0ES3_S5_NS0_18transform_iteratorINS0_17counting_iteratorImlEEZNS1_24adjacent_difference_implIS3_Lb1ELb0EPlSB_ZN2at6native12_GLOBAL__N_124unique_dim_cuda_templateIdEESt5tupleIJNSC_6TensorESH_SH_EERKSH_lbbbEUlllE1_EE10hipError_tPvRmT2_T3_mT4_P12ihipStream_tbEUlmE_lEESB_NS0_8identityIvEEEESM_SP_SQ_mSR_ST_bEUlT_E_NS1_11comp_targetILNS1_3genE5ELNS1_11target_archE942ELNS1_3gpuE9ELNS1_3repE0EEENS1_30default_config_static_selectorELNS0_4arch9wavefront6targetE1EEEvT1_
                                        ; -- End function
	.section	.AMDGPU.csdata,"",@progbits
; Kernel info:
; codeLenInByte = 0
; NumSgprs: 4
; NumVgprs: 0
; NumAgprs: 0
; TotalNumVgprs: 0
; ScratchSize: 0
; MemoryBound: 0
; FloatMode: 240
; IeeeMode: 1
; LDSByteSize: 0 bytes/workgroup (compile time only)
; SGPRBlocks: 0
; VGPRBlocks: 0
; NumSGPRsForWavesPerEU: 4
; NumVGPRsForWavesPerEU: 1
; AccumOffset: 4
; Occupancy: 8
; WaveLimiterHint : 0
; COMPUTE_PGM_RSRC2:SCRATCH_EN: 0
; COMPUTE_PGM_RSRC2:USER_SGPR: 6
; COMPUTE_PGM_RSRC2:TRAP_HANDLER: 0
; COMPUTE_PGM_RSRC2:TGID_X_EN: 1
; COMPUTE_PGM_RSRC2:TGID_Y_EN: 0
; COMPUTE_PGM_RSRC2:TGID_Z_EN: 0
; COMPUTE_PGM_RSRC2:TIDIG_COMP_CNT: 0
; COMPUTE_PGM_RSRC3_GFX90A:ACCUM_OFFSET: 0
; COMPUTE_PGM_RSRC3_GFX90A:TG_SPLIT: 0
	.section	.text._ZN7rocprim17ROCPRIM_400000_NS6detail17trampoline_kernelINS0_14default_configENS1_25transform_config_selectorIlLb0EEEZNS1_14transform_implILb0ES3_S5_NS0_18transform_iteratorINS0_17counting_iteratorImlEEZNS1_24adjacent_difference_implIS3_Lb1ELb0EPlSB_ZN2at6native12_GLOBAL__N_124unique_dim_cuda_templateIdEESt5tupleIJNSC_6TensorESH_SH_EERKSH_lbbbEUlllE1_EE10hipError_tPvRmT2_T3_mT4_P12ihipStream_tbEUlmE_lEESB_NS0_8identityIvEEEESM_SP_SQ_mSR_ST_bEUlT_E_NS1_11comp_targetILNS1_3genE4ELNS1_11target_archE910ELNS1_3gpuE8ELNS1_3repE0EEENS1_30default_config_static_selectorELNS0_4arch9wavefront6targetE1EEEvT1_,"axG",@progbits,_ZN7rocprim17ROCPRIM_400000_NS6detail17trampoline_kernelINS0_14default_configENS1_25transform_config_selectorIlLb0EEEZNS1_14transform_implILb0ES3_S5_NS0_18transform_iteratorINS0_17counting_iteratorImlEEZNS1_24adjacent_difference_implIS3_Lb1ELb0EPlSB_ZN2at6native12_GLOBAL__N_124unique_dim_cuda_templateIdEESt5tupleIJNSC_6TensorESH_SH_EERKSH_lbbbEUlllE1_EE10hipError_tPvRmT2_T3_mT4_P12ihipStream_tbEUlmE_lEESB_NS0_8identityIvEEEESM_SP_SQ_mSR_ST_bEUlT_E_NS1_11comp_targetILNS1_3genE4ELNS1_11target_archE910ELNS1_3gpuE8ELNS1_3repE0EEENS1_30default_config_static_selectorELNS0_4arch9wavefront6targetE1EEEvT1_,comdat
	.globl	_ZN7rocprim17ROCPRIM_400000_NS6detail17trampoline_kernelINS0_14default_configENS1_25transform_config_selectorIlLb0EEEZNS1_14transform_implILb0ES3_S5_NS0_18transform_iteratorINS0_17counting_iteratorImlEEZNS1_24adjacent_difference_implIS3_Lb1ELb0EPlSB_ZN2at6native12_GLOBAL__N_124unique_dim_cuda_templateIdEESt5tupleIJNSC_6TensorESH_SH_EERKSH_lbbbEUlllE1_EE10hipError_tPvRmT2_T3_mT4_P12ihipStream_tbEUlmE_lEESB_NS0_8identityIvEEEESM_SP_SQ_mSR_ST_bEUlT_E_NS1_11comp_targetILNS1_3genE4ELNS1_11target_archE910ELNS1_3gpuE8ELNS1_3repE0EEENS1_30default_config_static_selectorELNS0_4arch9wavefront6targetE1EEEvT1_ ; -- Begin function _ZN7rocprim17ROCPRIM_400000_NS6detail17trampoline_kernelINS0_14default_configENS1_25transform_config_selectorIlLb0EEEZNS1_14transform_implILb0ES3_S5_NS0_18transform_iteratorINS0_17counting_iteratorImlEEZNS1_24adjacent_difference_implIS3_Lb1ELb0EPlSB_ZN2at6native12_GLOBAL__N_124unique_dim_cuda_templateIdEESt5tupleIJNSC_6TensorESH_SH_EERKSH_lbbbEUlllE1_EE10hipError_tPvRmT2_T3_mT4_P12ihipStream_tbEUlmE_lEESB_NS0_8identityIvEEEESM_SP_SQ_mSR_ST_bEUlT_E_NS1_11comp_targetILNS1_3genE4ELNS1_11target_archE910ELNS1_3gpuE8ELNS1_3repE0EEENS1_30default_config_static_selectorELNS0_4arch9wavefront6targetE1EEEvT1_
	.p2align	8
	.type	_ZN7rocprim17ROCPRIM_400000_NS6detail17trampoline_kernelINS0_14default_configENS1_25transform_config_selectorIlLb0EEEZNS1_14transform_implILb0ES3_S5_NS0_18transform_iteratorINS0_17counting_iteratorImlEEZNS1_24adjacent_difference_implIS3_Lb1ELb0EPlSB_ZN2at6native12_GLOBAL__N_124unique_dim_cuda_templateIdEESt5tupleIJNSC_6TensorESH_SH_EERKSH_lbbbEUlllE1_EE10hipError_tPvRmT2_T3_mT4_P12ihipStream_tbEUlmE_lEESB_NS0_8identityIvEEEESM_SP_SQ_mSR_ST_bEUlT_E_NS1_11comp_targetILNS1_3genE4ELNS1_11target_archE910ELNS1_3gpuE8ELNS1_3repE0EEENS1_30default_config_static_selectorELNS0_4arch9wavefront6targetE1EEEvT1_,@function
_ZN7rocprim17ROCPRIM_400000_NS6detail17trampoline_kernelINS0_14default_configENS1_25transform_config_selectorIlLb0EEEZNS1_14transform_implILb0ES3_S5_NS0_18transform_iteratorINS0_17counting_iteratorImlEEZNS1_24adjacent_difference_implIS3_Lb1ELb0EPlSB_ZN2at6native12_GLOBAL__N_124unique_dim_cuda_templateIdEESt5tupleIJNSC_6TensorESH_SH_EERKSH_lbbbEUlllE1_EE10hipError_tPvRmT2_T3_mT4_P12ihipStream_tbEUlmE_lEESB_NS0_8identityIvEEEESM_SP_SQ_mSR_ST_bEUlT_E_NS1_11comp_targetILNS1_3genE4ELNS1_11target_archE910ELNS1_3gpuE8ELNS1_3repE0EEENS1_30default_config_static_selectorELNS0_4arch9wavefront6targetE1EEEvT1_: ; @_ZN7rocprim17ROCPRIM_400000_NS6detail17trampoline_kernelINS0_14default_configENS1_25transform_config_selectorIlLb0EEEZNS1_14transform_implILb0ES3_S5_NS0_18transform_iteratorINS0_17counting_iteratorImlEEZNS1_24adjacent_difference_implIS3_Lb1ELb0EPlSB_ZN2at6native12_GLOBAL__N_124unique_dim_cuda_templateIdEESt5tupleIJNSC_6TensorESH_SH_EERKSH_lbbbEUlllE1_EE10hipError_tPvRmT2_T3_mT4_P12ihipStream_tbEUlmE_lEESB_NS0_8identityIvEEEESM_SP_SQ_mSR_ST_bEUlT_E_NS1_11comp_targetILNS1_3genE4ELNS1_11target_archE910ELNS1_3gpuE8ELNS1_3repE0EEENS1_30default_config_static_selectorELNS0_4arch9wavefront6targetE1EEEvT1_
; %bb.0:
	s_load_dwordx4 s[0:3], s[4:5], 0x18
	s_load_dwordx2 s[14:15], s[4:5], 0x28
	s_load_dwordx4 s[8:11], s[4:5], 0x0
	s_load_dword s12, s[4:5], 0x10
	s_waitcnt lgkmcnt(0)
	s_load_dword s3, s[4:5], 0x38
                                        ; kill: killed $sgpr4_sgpr5
	s_lshl_b64 s[4:5], s[0:1], 3
	s_add_u32 s14, s14, s4
	s_addc_u32 s15, s15, s5
	s_lshl_b32 s4, s6, 9
	s_waitcnt lgkmcnt(0)
	s_add_i32 s3, s3, -1
	s_add_u32 s7, s8, s4
	s_addc_u32 s8, s9, 0
	s_add_u32 s16, s7, s0
	s_addc_u32 s17, s8, s1
	s_mov_b32 s5, 0
	s_cmp_lg_u32 s6, s3
	v_lshlrev_b32_e32 v1, 3, v0
	s_cbranch_scc0 .LBB792_2
; %bb.1:
	v_mov_b32_e32 v2, s17
	v_add_co_u32_e32 v3, vcc, s16, v0
	v_addc_co_u32_e32 v5, vcc, 0, v2, vcc
	v_mad_u64_u32 v[2:3], s[0:1], v3, s12, 0
	v_mov_b32_e32 v4, v3
	v_mad_u64_u32 v[4:5], s[0:1], v5, s12, v[4:5]
	v_mov_b32_e32 v3, v4
	v_lshlrev_b64 v[2:3], 3, v[2:3]
	s_mov_b32 s13, s5
	v_mov_b32_e32 v4, s11
	v_add_co_u32_e32 v2, vcc, s10, v2
	v_addc_co_u32_e32 v3, vcc, v4, v3, vcc
	s_lshl_b64 s[0:1], s[12:13], 11
	global_load_dwordx2 v[8:9], v[2:3], off
	v_mov_b32_e32 v4, s1
	v_add_co_u32_e32 v2, vcc, s0, v2
	v_addc_co_u32_e32 v3, vcc, v3, v4, vcc
	global_load_dwordx2 v[4:5], v[2:3], off
	s_lshl_b64 s[6:7], s[4:5], 3
	s_add_u32 s6, s14, s6
	s_addc_u32 s7, s15, s7
	v_mov_b32_e32 v2, s7
	v_add_co_u32_e32 v6, vcc, s6, v1
	v_addc_co_u32_e32 v7, vcc, 0, v2, vcc
	s_waitcnt vmcnt(1)
	global_store_dwordx2 v1, v[8:9], s[6:7]
	s_mov_b64 s[6:7], -1
	s_cbranch_execz .LBB792_3
	s_branch .LBB792_12
.LBB792_2:
	s_mov_b64 s[6:7], 0
                                        ; implicit-def: $vgpr4_vgpr5
                                        ; implicit-def: $vgpr6_vgpr7
.LBB792_3:
	s_sub_i32 s8, s2, s4
	v_cmp_gt_u32_e32 vcc, s8, v0
                                        ; implicit-def: $vgpr2_vgpr3_vgpr4_vgpr5
	s_and_saveexec_b64 s[2:3], vcc
	s_cbranch_execz .LBB792_5
; %bb.4:
	v_mov_b32_e32 v2, s17
	v_add_co_u32_e64 v3, s[0:1], s16, v0
	s_waitcnt vmcnt(1)
	v_addc_co_u32_e64 v5, s[0:1], 0, v2, s[0:1]
	v_mad_u64_u32 v[2:3], s[0:1], v3, s12, 0
	v_mov_b32_e32 v4, v3
	v_mad_u64_u32 v[4:5], s[0:1], v5, s12, v[4:5]
	v_mov_b32_e32 v3, v4
	v_lshlrev_b64 v[2:3], 3, v[2:3]
	v_mov_b32_e32 v4, s11
	v_add_co_u32_e64 v2, s[0:1], s10, v2
	v_addc_co_u32_e64 v3, s[0:1], v4, v3, s[0:1]
	global_load_dwordx2 v[2:3], v[2:3], off
.LBB792_5:
	s_or_b64 exec, exec, s[2:3]
	v_or_b32_e32 v0, 0x100, v0
	v_cmp_gt_u32_e64 s[0:1], s8, v0
	s_and_saveexec_b64 s[8:9], s[0:1]
	s_cbranch_execz .LBB792_7
; %bb.6:
	s_waitcnt vmcnt(1)
	v_mov_b32_e32 v4, s17
	v_add_co_u32_e64 v0, s[2:3], s16, v0
	v_addc_co_u32_e64 v6, s[2:3], 0, v4, s[2:3]
	v_mad_u64_u32 v[4:5], s[2:3], v0, s12, 0
	v_mov_b32_e32 v0, v5
	v_mad_u64_u32 v[6:7], s[2:3], v6, s12, v[0:1]
	v_mov_b32_e32 v5, v6
	v_lshlrev_b64 v[4:5], 3, v[4:5]
	v_mov_b32_e32 v0, s11
	v_add_co_u32_e64 v4, s[2:3], s10, v4
	v_addc_co_u32_e64 v5, s[2:3], v0, v5, s[2:3]
	global_load_dwordx2 v[4:5], v[4:5], off
.LBB792_7:
	s_or_b64 exec, exec, s[8:9]
	s_lshl_b64 s[2:3], s[4:5], 3
	s_add_u32 s2, s14, s2
	s_addc_u32 s3, s15, s3
	v_mov_b32_e32 v0, s3
	v_add_co_u32_e64 v6, s[2:3], s2, v1
	v_addc_co_u32_e64 v7, s[2:3], 0, v0, s[2:3]
	s_and_saveexec_b64 s[2:3], vcc
	s_cbranch_execz .LBB792_9
; %bb.8:
	s_waitcnt vmcnt(0)
	global_store_dwordx2 v[6:7], v[2:3], off
.LBB792_9:
	s_or_b64 exec, exec, s[2:3]
	s_and_saveexec_b64 s[2:3], s[0:1]
; %bb.10:
	s_or_b64 s[6:7], s[6:7], exec
; %bb.11:
	s_or_b64 exec, exec, s[2:3]
.LBB792_12:
	s_and_saveexec_b64 s[0:1], s[6:7]
	s_cbranch_execnz .LBB792_14
; %bb.13:
	s_endpgm
.LBB792_14:
	s_waitcnt vmcnt(0)
	global_store_dwordx2 v[6:7], v[4:5], off offset:2048
	s_endpgm
	.section	.rodata,"a",@progbits
	.p2align	6, 0x0
	.amdhsa_kernel _ZN7rocprim17ROCPRIM_400000_NS6detail17trampoline_kernelINS0_14default_configENS1_25transform_config_selectorIlLb0EEEZNS1_14transform_implILb0ES3_S5_NS0_18transform_iteratorINS0_17counting_iteratorImlEEZNS1_24adjacent_difference_implIS3_Lb1ELb0EPlSB_ZN2at6native12_GLOBAL__N_124unique_dim_cuda_templateIdEESt5tupleIJNSC_6TensorESH_SH_EERKSH_lbbbEUlllE1_EE10hipError_tPvRmT2_T3_mT4_P12ihipStream_tbEUlmE_lEESB_NS0_8identityIvEEEESM_SP_SQ_mSR_ST_bEUlT_E_NS1_11comp_targetILNS1_3genE4ELNS1_11target_archE910ELNS1_3gpuE8ELNS1_3repE0EEENS1_30default_config_static_selectorELNS0_4arch9wavefront6targetE1EEEvT1_
		.amdhsa_group_segment_fixed_size 0
		.amdhsa_private_segment_fixed_size 0
		.amdhsa_kernarg_size 312
		.amdhsa_user_sgpr_count 6
		.amdhsa_user_sgpr_private_segment_buffer 1
		.amdhsa_user_sgpr_dispatch_ptr 0
		.amdhsa_user_sgpr_queue_ptr 0
		.amdhsa_user_sgpr_kernarg_segment_ptr 1
		.amdhsa_user_sgpr_dispatch_id 0
		.amdhsa_user_sgpr_flat_scratch_init 0
		.amdhsa_user_sgpr_kernarg_preload_length 0
		.amdhsa_user_sgpr_kernarg_preload_offset 0
		.amdhsa_user_sgpr_private_segment_size 0
		.amdhsa_uses_dynamic_stack 0
		.amdhsa_system_sgpr_private_segment_wavefront_offset 0
		.amdhsa_system_sgpr_workgroup_id_x 1
		.amdhsa_system_sgpr_workgroup_id_y 0
		.amdhsa_system_sgpr_workgroup_id_z 0
		.amdhsa_system_sgpr_workgroup_info 0
		.amdhsa_system_vgpr_workitem_id 0
		.amdhsa_next_free_vgpr 10
		.amdhsa_next_free_sgpr 18
		.amdhsa_accum_offset 12
		.amdhsa_reserve_vcc 1
		.amdhsa_reserve_flat_scratch 0
		.amdhsa_float_round_mode_32 0
		.amdhsa_float_round_mode_16_64 0
		.amdhsa_float_denorm_mode_32 3
		.amdhsa_float_denorm_mode_16_64 3
		.amdhsa_dx10_clamp 1
		.amdhsa_ieee_mode 1
		.amdhsa_fp16_overflow 0
		.amdhsa_tg_split 0
		.amdhsa_exception_fp_ieee_invalid_op 0
		.amdhsa_exception_fp_denorm_src 0
		.amdhsa_exception_fp_ieee_div_zero 0
		.amdhsa_exception_fp_ieee_overflow 0
		.amdhsa_exception_fp_ieee_underflow 0
		.amdhsa_exception_fp_ieee_inexact 0
		.amdhsa_exception_int_div_zero 0
	.end_amdhsa_kernel
	.section	.text._ZN7rocprim17ROCPRIM_400000_NS6detail17trampoline_kernelINS0_14default_configENS1_25transform_config_selectorIlLb0EEEZNS1_14transform_implILb0ES3_S5_NS0_18transform_iteratorINS0_17counting_iteratorImlEEZNS1_24adjacent_difference_implIS3_Lb1ELb0EPlSB_ZN2at6native12_GLOBAL__N_124unique_dim_cuda_templateIdEESt5tupleIJNSC_6TensorESH_SH_EERKSH_lbbbEUlllE1_EE10hipError_tPvRmT2_T3_mT4_P12ihipStream_tbEUlmE_lEESB_NS0_8identityIvEEEESM_SP_SQ_mSR_ST_bEUlT_E_NS1_11comp_targetILNS1_3genE4ELNS1_11target_archE910ELNS1_3gpuE8ELNS1_3repE0EEENS1_30default_config_static_selectorELNS0_4arch9wavefront6targetE1EEEvT1_,"axG",@progbits,_ZN7rocprim17ROCPRIM_400000_NS6detail17trampoline_kernelINS0_14default_configENS1_25transform_config_selectorIlLb0EEEZNS1_14transform_implILb0ES3_S5_NS0_18transform_iteratorINS0_17counting_iteratorImlEEZNS1_24adjacent_difference_implIS3_Lb1ELb0EPlSB_ZN2at6native12_GLOBAL__N_124unique_dim_cuda_templateIdEESt5tupleIJNSC_6TensorESH_SH_EERKSH_lbbbEUlllE1_EE10hipError_tPvRmT2_T3_mT4_P12ihipStream_tbEUlmE_lEESB_NS0_8identityIvEEEESM_SP_SQ_mSR_ST_bEUlT_E_NS1_11comp_targetILNS1_3genE4ELNS1_11target_archE910ELNS1_3gpuE8ELNS1_3repE0EEENS1_30default_config_static_selectorELNS0_4arch9wavefront6targetE1EEEvT1_,comdat
.Lfunc_end792:
	.size	_ZN7rocprim17ROCPRIM_400000_NS6detail17trampoline_kernelINS0_14default_configENS1_25transform_config_selectorIlLb0EEEZNS1_14transform_implILb0ES3_S5_NS0_18transform_iteratorINS0_17counting_iteratorImlEEZNS1_24adjacent_difference_implIS3_Lb1ELb0EPlSB_ZN2at6native12_GLOBAL__N_124unique_dim_cuda_templateIdEESt5tupleIJNSC_6TensorESH_SH_EERKSH_lbbbEUlllE1_EE10hipError_tPvRmT2_T3_mT4_P12ihipStream_tbEUlmE_lEESB_NS0_8identityIvEEEESM_SP_SQ_mSR_ST_bEUlT_E_NS1_11comp_targetILNS1_3genE4ELNS1_11target_archE910ELNS1_3gpuE8ELNS1_3repE0EEENS1_30default_config_static_selectorELNS0_4arch9wavefront6targetE1EEEvT1_, .Lfunc_end792-_ZN7rocprim17ROCPRIM_400000_NS6detail17trampoline_kernelINS0_14default_configENS1_25transform_config_selectorIlLb0EEEZNS1_14transform_implILb0ES3_S5_NS0_18transform_iteratorINS0_17counting_iteratorImlEEZNS1_24adjacent_difference_implIS3_Lb1ELb0EPlSB_ZN2at6native12_GLOBAL__N_124unique_dim_cuda_templateIdEESt5tupleIJNSC_6TensorESH_SH_EERKSH_lbbbEUlllE1_EE10hipError_tPvRmT2_T3_mT4_P12ihipStream_tbEUlmE_lEESB_NS0_8identityIvEEEESM_SP_SQ_mSR_ST_bEUlT_E_NS1_11comp_targetILNS1_3genE4ELNS1_11target_archE910ELNS1_3gpuE8ELNS1_3repE0EEENS1_30default_config_static_selectorELNS0_4arch9wavefront6targetE1EEEvT1_
                                        ; -- End function
	.section	.AMDGPU.csdata,"",@progbits
; Kernel info:
; codeLenInByte = 556
; NumSgprs: 22
; NumVgprs: 10
; NumAgprs: 0
; TotalNumVgprs: 10
; ScratchSize: 0
; MemoryBound: 0
; FloatMode: 240
; IeeeMode: 1
; LDSByteSize: 0 bytes/workgroup (compile time only)
; SGPRBlocks: 2
; VGPRBlocks: 1
; NumSGPRsForWavesPerEU: 22
; NumVGPRsForWavesPerEU: 10
; AccumOffset: 12
; Occupancy: 8
; WaveLimiterHint : 0
; COMPUTE_PGM_RSRC2:SCRATCH_EN: 0
; COMPUTE_PGM_RSRC2:USER_SGPR: 6
; COMPUTE_PGM_RSRC2:TRAP_HANDLER: 0
; COMPUTE_PGM_RSRC2:TGID_X_EN: 1
; COMPUTE_PGM_RSRC2:TGID_Y_EN: 0
; COMPUTE_PGM_RSRC2:TGID_Z_EN: 0
; COMPUTE_PGM_RSRC2:TIDIG_COMP_CNT: 0
; COMPUTE_PGM_RSRC3_GFX90A:ACCUM_OFFSET: 2
; COMPUTE_PGM_RSRC3_GFX90A:TG_SPLIT: 0
	.section	.text._ZN7rocprim17ROCPRIM_400000_NS6detail17trampoline_kernelINS0_14default_configENS1_25transform_config_selectorIlLb0EEEZNS1_14transform_implILb0ES3_S5_NS0_18transform_iteratorINS0_17counting_iteratorImlEEZNS1_24adjacent_difference_implIS3_Lb1ELb0EPlSB_ZN2at6native12_GLOBAL__N_124unique_dim_cuda_templateIdEESt5tupleIJNSC_6TensorESH_SH_EERKSH_lbbbEUlllE1_EE10hipError_tPvRmT2_T3_mT4_P12ihipStream_tbEUlmE_lEESB_NS0_8identityIvEEEESM_SP_SQ_mSR_ST_bEUlT_E_NS1_11comp_targetILNS1_3genE3ELNS1_11target_archE908ELNS1_3gpuE7ELNS1_3repE0EEENS1_30default_config_static_selectorELNS0_4arch9wavefront6targetE1EEEvT1_,"axG",@progbits,_ZN7rocprim17ROCPRIM_400000_NS6detail17trampoline_kernelINS0_14default_configENS1_25transform_config_selectorIlLb0EEEZNS1_14transform_implILb0ES3_S5_NS0_18transform_iteratorINS0_17counting_iteratorImlEEZNS1_24adjacent_difference_implIS3_Lb1ELb0EPlSB_ZN2at6native12_GLOBAL__N_124unique_dim_cuda_templateIdEESt5tupleIJNSC_6TensorESH_SH_EERKSH_lbbbEUlllE1_EE10hipError_tPvRmT2_T3_mT4_P12ihipStream_tbEUlmE_lEESB_NS0_8identityIvEEEESM_SP_SQ_mSR_ST_bEUlT_E_NS1_11comp_targetILNS1_3genE3ELNS1_11target_archE908ELNS1_3gpuE7ELNS1_3repE0EEENS1_30default_config_static_selectorELNS0_4arch9wavefront6targetE1EEEvT1_,comdat
	.globl	_ZN7rocprim17ROCPRIM_400000_NS6detail17trampoline_kernelINS0_14default_configENS1_25transform_config_selectorIlLb0EEEZNS1_14transform_implILb0ES3_S5_NS0_18transform_iteratorINS0_17counting_iteratorImlEEZNS1_24adjacent_difference_implIS3_Lb1ELb0EPlSB_ZN2at6native12_GLOBAL__N_124unique_dim_cuda_templateIdEESt5tupleIJNSC_6TensorESH_SH_EERKSH_lbbbEUlllE1_EE10hipError_tPvRmT2_T3_mT4_P12ihipStream_tbEUlmE_lEESB_NS0_8identityIvEEEESM_SP_SQ_mSR_ST_bEUlT_E_NS1_11comp_targetILNS1_3genE3ELNS1_11target_archE908ELNS1_3gpuE7ELNS1_3repE0EEENS1_30default_config_static_selectorELNS0_4arch9wavefront6targetE1EEEvT1_ ; -- Begin function _ZN7rocprim17ROCPRIM_400000_NS6detail17trampoline_kernelINS0_14default_configENS1_25transform_config_selectorIlLb0EEEZNS1_14transform_implILb0ES3_S5_NS0_18transform_iteratorINS0_17counting_iteratorImlEEZNS1_24adjacent_difference_implIS3_Lb1ELb0EPlSB_ZN2at6native12_GLOBAL__N_124unique_dim_cuda_templateIdEESt5tupleIJNSC_6TensorESH_SH_EERKSH_lbbbEUlllE1_EE10hipError_tPvRmT2_T3_mT4_P12ihipStream_tbEUlmE_lEESB_NS0_8identityIvEEEESM_SP_SQ_mSR_ST_bEUlT_E_NS1_11comp_targetILNS1_3genE3ELNS1_11target_archE908ELNS1_3gpuE7ELNS1_3repE0EEENS1_30default_config_static_selectorELNS0_4arch9wavefront6targetE1EEEvT1_
	.p2align	8
	.type	_ZN7rocprim17ROCPRIM_400000_NS6detail17trampoline_kernelINS0_14default_configENS1_25transform_config_selectorIlLb0EEEZNS1_14transform_implILb0ES3_S5_NS0_18transform_iteratorINS0_17counting_iteratorImlEEZNS1_24adjacent_difference_implIS3_Lb1ELb0EPlSB_ZN2at6native12_GLOBAL__N_124unique_dim_cuda_templateIdEESt5tupleIJNSC_6TensorESH_SH_EERKSH_lbbbEUlllE1_EE10hipError_tPvRmT2_T3_mT4_P12ihipStream_tbEUlmE_lEESB_NS0_8identityIvEEEESM_SP_SQ_mSR_ST_bEUlT_E_NS1_11comp_targetILNS1_3genE3ELNS1_11target_archE908ELNS1_3gpuE7ELNS1_3repE0EEENS1_30default_config_static_selectorELNS0_4arch9wavefront6targetE1EEEvT1_,@function
_ZN7rocprim17ROCPRIM_400000_NS6detail17trampoline_kernelINS0_14default_configENS1_25transform_config_selectorIlLb0EEEZNS1_14transform_implILb0ES3_S5_NS0_18transform_iteratorINS0_17counting_iteratorImlEEZNS1_24adjacent_difference_implIS3_Lb1ELb0EPlSB_ZN2at6native12_GLOBAL__N_124unique_dim_cuda_templateIdEESt5tupleIJNSC_6TensorESH_SH_EERKSH_lbbbEUlllE1_EE10hipError_tPvRmT2_T3_mT4_P12ihipStream_tbEUlmE_lEESB_NS0_8identityIvEEEESM_SP_SQ_mSR_ST_bEUlT_E_NS1_11comp_targetILNS1_3genE3ELNS1_11target_archE908ELNS1_3gpuE7ELNS1_3repE0EEENS1_30default_config_static_selectorELNS0_4arch9wavefront6targetE1EEEvT1_: ; @_ZN7rocprim17ROCPRIM_400000_NS6detail17trampoline_kernelINS0_14default_configENS1_25transform_config_selectorIlLb0EEEZNS1_14transform_implILb0ES3_S5_NS0_18transform_iteratorINS0_17counting_iteratorImlEEZNS1_24adjacent_difference_implIS3_Lb1ELb0EPlSB_ZN2at6native12_GLOBAL__N_124unique_dim_cuda_templateIdEESt5tupleIJNSC_6TensorESH_SH_EERKSH_lbbbEUlllE1_EE10hipError_tPvRmT2_T3_mT4_P12ihipStream_tbEUlmE_lEESB_NS0_8identityIvEEEESM_SP_SQ_mSR_ST_bEUlT_E_NS1_11comp_targetILNS1_3genE3ELNS1_11target_archE908ELNS1_3gpuE7ELNS1_3repE0EEENS1_30default_config_static_selectorELNS0_4arch9wavefront6targetE1EEEvT1_
; %bb.0:
	.section	.rodata,"a",@progbits
	.p2align	6, 0x0
	.amdhsa_kernel _ZN7rocprim17ROCPRIM_400000_NS6detail17trampoline_kernelINS0_14default_configENS1_25transform_config_selectorIlLb0EEEZNS1_14transform_implILb0ES3_S5_NS0_18transform_iteratorINS0_17counting_iteratorImlEEZNS1_24adjacent_difference_implIS3_Lb1ELb0EPlSB_ZN2at6native12_GLOBAL__N_124unique_dim_cuda_templateIdEESt5tupleIJNSC_6TensorESH_SH_EERKSH_lbbbEUlllE1_EE10hipError_tPvRmT2_T3_mT4_P12ihipStream_tbEUlmE_lEESB_NS0_8identityIvEEEESM_SP_SQ_mSR_ST_bEUlT_E_NS1_11comp_targetILNS1_3genE3ELNS1_11target_archE908ELNS1_3gpuE7ELNS1_3repE0EEENS1_30default_config_static_selectorELNS0_4arch9wavefront6targetE1EEEvT1_
		.amdhsa_group_segment_fixed_size 0
		.amdhsa_private_segment_fixed_size 0
		.amdhsa_kernarg_size 56
		.amdhsa_user_sgpr_count 6
		.amdhsa_user_sgpr_private_segment_buffer 1
		.amdhsa_user_sgpr_dispatch_ptr 0
		.amdhsa_user_sgpr_queue_ptr 0
		.amdhsa_user_sgpr_kernarg_segment_ptr 1
		.amdhsa_user_sgpr_dispatch_id 0
		.amdhsa_user_sgpr_flat_scratch_init 0
		.amdhsa_user_sgpr_kernarg_preload_length 0
		.amdhsa_user_sgpr_kernarg_preload_offset 0
		.amdhsa_user_sgpr_private_segment_size 0
		.amdhsa_uses_dynamic_stack 0
		.amdhsa_system_sgpr_private_segment_wavefront_offset 0
		.amdhsa_system_sgpr_workgroup_id_x 1
		.amdhsa_system_sgpr_workgroup_id_y 0
		.amdhsa_system_sgpr_workgroup_id_z 0
		.amdhsa_system_sgpr_workgroup_info 0
		.amdhsa_system_vgpr_workitem_id 0
		.amdhsa_next_free_vgpr 1
		.amdhsa_next_free_sgpr 0
		.amdhsa_accum_offset 4
		.amdhsa_reserve_vcc 0
		.amdhsa_reserve_flat_scratch 0
		.amdhsa_float_round_mode_32 0
		.amdhsa_float_round_mode_16_64 0
		.amdhsa_float_denorm_mode_32 3
		.amdhsa_float_denorm_mode_16_64 3
		.amdhsa_dx10_clamp 1
		.amdhsa_ieee_mode 1
		.amdhsa_fp16_overflow 0
		.amdhsa_tg_split 0
		.amdhsa_exception_fp_ieee_invalid_op 0
		.amdhsa_exception_fp_denorm_src 0
		.amdhsa_exception_fp_ieee_div_zero 0
		.amdhsa_exception_fp_ieee_overflow 0
		.amdhsa_exception_fp_ieee_underflow 0
		.amdhsa_exception_fp_ieee_inexact 0
		.amdhsa_exception_int_div_zero 0
	.end_amdhsa_kernel
	.section	.text._ZN7rocprim17ROCPRIM_400000_NS6detail17trampoline_kernelINS0_14default_configENS1_25transform_config_selectorIlLb0EEEZNS1_14transform_implILb0ES3_S5_NS0_18transform_iteratorINS0_17counting_iteratorImlEEZNS1_24adjacent_difference_implIS3_Lb1ELb0EPlSB_ZN2at6native12_GLOBAL__N_124unique_dim_cuda_templateIdEESt5tupleIJNSC_6TensorESH_SH_EERKSH_lbbbEUlllE1_EE10hipError_tPvRmT2_T3_mT4_P12ihipStream_tbEUlmE_lEESB_NS0_8identityIvEEEESM_SP_SQ_mSR_ST_bEUlT_E_NS1_11comp_targetILNS1_3genE3ELNS1_11target_archE908ELNS1_3gpuE7ELNS1_3repE0EEENS1_30default_config_static_selectorELNS0_4arch9wavefront6targetE1EEEvT1_,"axG",@progbits,_ZN7rocprim17ROCPRIM_400000_NS6detail17trampoline_kernelINS0_14default_configENS1_25transform_config_selectorIlLb0EEEZNS1_14transform_implILb0ES3_S5_NS0_18transform_iteratorINS0_17counting_iteratorImlEEZNS1_24adjacent_difference_implIS3_Lb1ELb0EPlSB_ZN2at6native12_GLOBAL__N_124unique_dim_cuda_templateIdEESt5tupleIJNSC_6TensorESH_SH_EERKSH_lbbbEUlllE1_EE10hipError_tPvRmT2_T3_mT4_P12ihipStream_tbEUlmE_lEESB_NS0_8identityIvEEEESM_SP_SQ_mSR_ST_bEUlT_E_NS1_11comp_targetILNS1_3genE3ELNS1_11target_archE908ELNS1_3gpuE7ELNS1_3repE0EEENS1_30default_config_static_selectorELNS0_4arch9wavefront6targetE1EEEvT1_,comdat
.Lfunc_end793:
	.size	_ZN7rocprim17ROCPRIM_400000_NS6detail17trampoline_kernelINS0_14default_configENS1_25transform_config_selectorIlLb0EEEZNS1_14transform_implILb0ES3_S5_NS0_18transform_iteratorINS0_17counting_iteratorImlEEZNS1_24adjacent_difference_implIS3_Lb1ELb0EPlSB_ZN2at6native12_GLOBAL__N_124unique_dim_cuda_templateIdEESt5tupleIJNSC_6TensorESH_SH_EERKSH_lbbbEUlllE1_EE10hipError_tPvRmT2_T3_mT4_P12ihipStream_tbEUlmE_lEESB_NS0_8identityIvEEEESM_SP_SQ_mSR_ST_bEUlT_E_NS1_11comp_targetILNS1_3genE3ELNS1_11target_archE908ELNS1_3gpuE7ELNS1_3repE0EEENS1_30default_config_static_selectorELNS0_4arch9wavefront6targetE1EEEvT1_, .Lfunc_end793-_ZN7rocprim17ROCPRIM_400000_NS6detail17trampoline_kernelINS0_14default_configENS1_25transform_config_selectorIlLb0EEEZNS1_14transform_implILb0ES3_S5_NS0_18transform_iteratorINS0_17counting_iteratorImlEEZNS1_24adjacent_difference_implIS3_Lb1ELb0EPlSB_ZN2at6native12_GLOBAL__N_124unique_dim_cuda_templateIdEESt5tupleIJNSC_6TensorESH_SH_EERKSH_lbbbEUlllE1_EE10hipError_tPvRmT2_T3_mT4_P12ihipStream_tbEUlmE_lEESB_NS0_8identityIvEEEESM_SP_SQ_mSR_ST_bEUlT_E_NS1_11comp_targetILNS1_3genE3ELNS1_11target_archE908ELNS1_3gpuE7ELNS1_3repE0EEENS1_30default_config_static_selectorELNS0_4arch9wavefront6targetE1EEEvT1_
                                        ; -- End function
	.section	.AMDGPU.csdata,"",@progbits
; Kernel info:
; codeLenInByte = 0
; NumSgprs: 4
; NumVgprs: 0
; NumAgprs: 0
; TotalNumVgprs: 0
; ScratchSize: 0
; MemoryBound: 0
; FloatMode: 240
; IeeeMode: 1
; LDSByteSize: 0 bytes/workgroup (compile time only)
; SGPRBlocks: 0
; VGPRBlocks: 0
; NumSGPRsForWavesPerEU: 4
; NumVGPRsForWavesPerEU: 1
; AccumOffset: 4
; Occupancy: 8
; WaveLimiterHint : 0
; COMPUTE_PGM_RSRC2:SCRATCH_EN: 0
; COMPUTE_PGM_RSRC2:USER_SGPR: 6
; COMPUTE_PGM_RSRC2:TRAP_HANDLER: 0
; COMPUTE_PGM_RSRC2:TGID_X_EN: 1
; COMPUTE_PGM_RSRC2:TGID_Y_EN: 0
; COMPUTE_PGM_RSRC2:TGID_Z_EN: 0
; COMPUTE_PGM_RSRC2:TIDIG_COMP_CNT: 0
; COMPUTE_PGM_RSRC3_GFX90A:ACCUM_OFFSET: 0
; COMPUTE_PGM_RSRC3_GFX90A:TG_SPLIT: 0
	.section	.text._ZN7rocprim17ROCPRIM_400000_NS6detail17trampoline_kernelINS0_14default_configENS1_25transform_config_selectorIlLb0EEEZNS1_14transform_implILb0ES3_S5_NS0_18transform_iteratorINS0_17counting_iteratorImlEEZNS1_24adjacent_difference_implIS3_Lb1ELb0EPlSB_ZN2at6native12_GLOBAL__N_124unique_dim_cuda_templateIdEESt5tupleIJNSC_6TensorESH_SH_EERKSH_lbbbEUlllE1_EE10hipError_tPvRmT2_T3_mT4_P12ihipStream_tbEUlmE_lEESB_NS0_8identityIvEEEESM_SP_SQ_mSR_ST_bEUlT_E_NS1_11comp_targetILNS1_3genE2ELNS1_11target_archE906ELNS1_3gpuE6ELNS1_3repE0EEENS1_30default_config_static_selectorELNS0_4arch9wavefront6targetE1EEEvT1_,"axG",@progbits,_ZN7rocprim17ROCPRIM_400000_NS6detail17trampoline_kernelINS0_14default_configENS1_25transform_config_selectorIlLb0EEEZNS1_14transform_implILb0ES3_S5_NS0_18transform_iteratorINS0_17counting_iteratorImlEEZNS1_24adjacent_difference_implIS3_Lb1ELb0EPlSB_ZN2at6native12_GLOBAL__N_124unique_dim_cuda_templateIdEESt5tupleIJNSC_6TensorESH_SH_EERKSH_lbbbEUlllE1_EE10hipError_tPvRmT2_T3_mT4_P12ihipStream_tbEUlmE_lEESB_NS0_8identityIvEEEESM_SP_SQ_mSR_ST_bEUlT_E_NS1_11comp_targetILNS1_3genE2ELNS1_11target_archE906ELNS1_3gpuE6ELNS1_3repE0EEENS1_30default_config_static_selectorELNS0_4arch9wavefront6targetE1EEEvT1_,comdat
	.globl	_ZN7rocprim17ROCPRIM_400000_NS6detail17trampoline_kernelINS0_14default_configENS1_25transform_config_selectorIlLb0EEEZNS1_14transform_implILb0ES3_S5_NS0_18transform_iteratorINS0_17counting_iteratorImlEEZNS1_24adjacent_difference_implIS3_Lb1ELb0EPlSB_ZN2at6native12_GLOBAL__N_124unique_dim_cuda_templateIdEESt5tupleIJNSC_6TensorESH_SH_EERKSH_lbbbEUlllE1_EE10hipError_tPvRmT2_T3_mT4_P12ihipStream_tbEUlmE_lEESB_NS0_8identityIvEEEESM_SP_SQ_mSR_ST_bEUlT_E_NS1_11comp_targetILNS1_3genE2ELNS1_11target_archE906ELNS1_3gpuE6ELNS1_3repE0EEENS1_30default_config_static_selectorELNS0_4arch9wavefront6targetE1EEEvT1_ ; -- Begin function _ZN7rocprim17ROCPRIM_400000_NS6detail17trampoline_kernelINS0_14default_configENS1_25transform_config_selectorIlLb0EEEZNS1_14transform_implILb0ES3_S5_NS0_18transform_iteratorINS0_17counting_iteratorImlEEZNS1_24adjacent_difference_implIS3_Lb1ELb0EPlSB_ZN2at6native12_GLOBAL__N_124unique_dim_cuda_templateIdEESt5tupleIJNSC_6TensorESH_SH_EERKSH_lbbbEUlllE1_EE10hipError_tPvRmT2_T3_mT4_P12ihipStream_tbEUlmE_lEESB_NS0_8identityIvEEEESM_SP_SQ_mSR_ST_bEUlT_E_NS1_11comp_targetILNS1_3genE2ELNS1_11target_archE906ELNS1_3gpuE6ELNS1_3repE0EEENS1_30default_config_static_selectorELNS0_4arch9wavefront6targetE1EEEvT1_
	.p2align	8
	.type	_ZN7rocprim17ROCPRIM_400000_NS6detail17trampoline_kernelINS0_14default_configENS1_25transform_config_selectorIlLb0EEEZNS1_14transform_implILb0ES3_S5_NS0_18transform_iteratorINS0_17counting_iteratorImlEEZNS1_24adjacent_difference_implIS3_Lb1ELb0EPlSB_ZN2at6native12_GLOBAL__N_124unique_dim_cuda_templateIdEESt5tupleIJNSC_6TensorESH_SH_EERKSH_lbbbEUlllE1_EE10hipError_tPvRmT2_T3_mT4_P12ihipStream_tbEUlmE_lEESB_NS0_8identityIvEEEESM_SP_SQ_mSR_ST_bEUlT_E_NS1_11comp_targetILNS1_3genE2ELNS1_11target_archE906ELNS1_3gpuE6ELNS1_3repE0EEENS1_30default_config_static_selectorELNS0_4arch9wavefront6targetE1EEEvT1_,@function
_ZN7rocprim17ROCPRIM_400000_NS6detail17trampoline_kernelINS0_14default_configENS1_25transform_config_selectorIlLb0EEEZNS1_14transform_implILb0ES3_S5_NS0_18transform_iteratorINS0_17counting_iteratorImlEEZNS1_24adjacent_difference_implIS3_Lb1ELb0EPlSB_ZN2at6native12_GLOBAL__N_124unique_dim_cuda_templateIdEESt5tupleIJNSC_6TensorESH_SH_EERKSH_lbbbEUlllE1_EE10hipError_tPvRmT2_T3_mT4_P12ihipStream_tbEUlmE_lEESB_NS0_8identityIvEEEESM_SP_SQ_mSR_ST_bEUlT_E_NS1_11comp_targetILNS1_3genE2ELNS1_11target_archE906ELNS1_3gpuE6ELNS1_3repE0EEENS1_30default_config_static_selectorELNS0_4arch9wavefront6targetE1EEEvT1_: ; @_ZN7rocprim17ROCPRIM_400000_NS6detail17trampoline_kernelINS0_14default_configENS1_25transform_config_selectorIlLb0EEEZNS1_14transform_implILb0ES3_S5_NS0_18transform_iteratorINS0_17counting_iteratorImlEEZNS1_24adjacent_difference_implIS3_Lb1ELb0EPlSB_ZN2at6native12_GLOBAL__N_124unique_dim_cuda_templateIdEESt5tupleIJNSC_6TensorESH_SH_EERKSH_lbbbEUlllE1_EE10hipError_tPvRmT2_T3_mT4_P12ihipStream_tbEUlmE_lEESB_NS0_8identityIvEEEESM_SP_SQ_mSR_ST_bEUlT_E_NS1_11comp_targetILNS1_3genE2ELNS1_11target_archE906ELNS1_3gpuE6ELNS1_3repE0EEENS1_30default_config_static_selectorELNS0_4arch9wavefront6targetE1EEEvT1_
; %bb.0:
	.section	.rodata,"a",@progbits
	.p2align	6, 0x0
	.amdhsa_kernel _ZN7rocprim17ROCPRIM_400000_NS6detail17trampoline_kernelINS0_14default_configENS1_25transform_config_selectorIlLb0EEEZNS1_14transform_implILb0ES3_S5_NS0_18transform_iteratorINS0_17counting_iteratorImlEEZNS1_24adjacent_difference_implIS3_Lb1ELb0EPlSB_ZN2at6native12_GLOBAL__N_124unique_dim_cuda_templateIdEESt5tupleIJNSC_6TensorESH_SH_EERKSH_lbbbEUlllE1_EE10hipError_tPvRmT2_T3_mT4_P12ihipStream_tbEUlmE_lEESB_NS0_8identityIvEEEESM_SP_SQ_mSR_ST_bEUlT_E_NS1_11comp_targetILNS1_3genE2ELNS1_11target_archE906ELNS1_3gpuE6ELNS1_3repE0EEENS1_30default_config_static_selectorELNS0_4arch9wavefront6targetE1EEEvT1_
		.amdhsa_group_segment_fixed_size 0
		.amdhsa_private_segment_fixed_size 0
		.amdhsa_kernarg_size 56
		.amdhsa_user_sgpr_count 6
		.amdhsa_user_sgpr_private_segment_buffer 1
		.amdhsa_user_sgpr_dispatch_ptr 0
		.amdhsa_user_sgpr_queue_ptr 0
		.amdhsa_user_sgpr_kernarg_segment_ptr 1
		.amdhsa_user_sgpr_dispatch_id 0
		.amdhsa_user_sgpr_flat_scratch_init 0
		.amdhsa_user_sgpr_kernarg_preload_length 0
		.amdhsa_user_sgpr_kernarg_preload_offset 0
		.amdhsa_user_sgpr_private_segment_size 0
		.amdhsa_uses_dynamic_stack 0
		.amdhsa_system_sgpr_private_segment_wavefront_offset 0
		.amdhsa_system_sgpr_workgroup_id_x 1
		.amdhsa_system_sgpr_workgroup_id_y 0
		.amdhsa_system_sgpr_workgroup_id_z 0
		.amdhsa_system_sgpr_workgroup_info 0
		.amdhsa_system_vgpr_workitem_id 0
		.amdhsa_next_free_vgpr 1
		.amdhsa_next_free_sgpr 0
		.amdhsa_accum_offset 4
		.amdhsa_reserve_vcc 0
		.amdhsa_reserve_flat_scratch 0
		.amdhsa_float_round_mode_32 0
		.amdhsa_float_round_mode_16_64 0
		.amdhsa_float_denorm_mode_32 3
		.amdhsa_float_denorm_mode_16_64 3
		.amdhsa_dx10_clamp 1
		.amdhsa_ieee_mode 1
		.amdhsa_fp16_overflow 0
		.amdhsa_tg_split 0
		.amdhsa_exception_fp_ieee_invalid_op 0
		.amdhsa_exception_fp_denorm_src 0
		.amdhsa_exception_fp_ieee_div_zero 0
		.amdhsa_exception_fp_ieee_overflow 0
		.amdhsa_exception_fp_ieee_underflow 0
		.amdhsa_exception_fp_ieee_inexact 0
		.amdhsa_exception_int_div_zero 0
	.end_amdhsa_kernel
	.section	.text._ZN7rocprim17ROCPRIM_400000_NS6detail17trampoline_kernelINS0_14default_configENS1_25transform_config_selectorIlLb0EEEZNS1_14transform_implILb0ES3_S5_NS0_18transform_iteratorINS0_17counting_iteratorImlEEZNS1_24adjacent_difference_implIS3_Lb1ELb0EPlSB_ZN2at6native12_GLOBAL__N_124unique_dim_cuda_templateIdEESt5tupleIJNSC_6TensorESH_SH_EERKSH_lbbbEUlllE1_EE10hipError_tPvRmT2_T3_mT4_P12ihipStream_tbEUlmE_lEESB_NS0_8identityIvEEEESM_SP_SQ_mSR_ST_bEUlT_E_NS1_11comp_targetILNS1_3genE2ELNS1_11target_archE906ELNS1_3gpuE6ELNS1_3repE0EEENS1_30default_config_static_selectorELNS0_4arch9wavefront6targetE1EEEvT1_,"axG",@progbits,_ZN7rocprim17ROCPRIM_400000_NS6detail17trampoline_kernelINS0_14default_configENS1_25transform_config_selectorIlLb0EEEZNS1_14transform_implILb0ES3_S5_NS0_18transform_iteratorINS0_17counting_iteratorImlEEZNS1_24adjacent_difference_implIS3_Lb1ELb0EPlSB_ZN2at6native12_GLOBAL__N_124unique_dim_cuda_templateIdEESt5tupleIJNSC_6TensorESH_SH_EERKSH_lbbbEUlllE1_EE10hipError_tPvRmT2_T3_mT4_P12ihipStream_tbEUlmE_lEESB_NS0_8identityIvEEEESM_SP_SQ_mSR_ST_bEUlT_E_NS1_11comp_targetILNS1_3genE2ELNS1_11target_archE906ELNS1_3gpuE6ELNS1_3repE0EEENS1_30default_config_static_selectorELNS0_4arch9wavefront6targetE1EEEvT1_,comdat
.Lfunc_end794:
	.size	_ZN7rocprim17ROCPRIM_400000_NS6detail17trampoline_kernelINS0_14default_configENS1_25transform_config_selectorIlLb0EEEZNS1_14transform_implILb0ES3_S5_NS0_18transform_iteratorINS0_17counting_iteratorImlEEZNS1_24adjacent_difference_implIS3_Lb1ELb0EPlSB_ZN2at6native12_GLOBAL__N_124unique_dim_cuda_templateIdEESt5tupleIJNSC_6TensorESH_SH_EERKSH_lbbbEUlllE1_EE10hipError_tPvRmT2_T3_mT4_P12ihipStream_tbEUlmE_lEESB_NS0_8identityIvEEEESM_SP_SQ_mSR_ST_bEUlT_E_NS1_11comp_targetILNS1_3genE2ELNS1_11target_archE906ELNS1_3gpuE6ELNS1_3repE0EEENS1_30default_config_static_selectorELNS0_4arch9wavefront6targetE1EEEvT1_, .Lfunc_end794-_ZN7rocprim17ROCPRIM_400000_NS6detail17trampoline_kernelINS0_14default_configENS1_25transform_config_selectorIlLb0EEEZNS1_14transform_implILb0ES3_S5_NS0_18transform_iteratorINS0_17counting_iteratorImlEEZNS1_24adjacent_difference_implIS3_Lb1ELb0EPlSB_ZN2at6native12_GLOBAL__N_124unique_dim_cuda_templateIdEESt5tupleIJNSC_6TensorESH_SH_EERKSH_lbbbEUlllE1_EE10hipError_tPvRmT2_T3_mT4_P12ihipStream_tbEUlmE_lEESB_NS0_8identityIvEEEESM_SP_SQ_mSR_ST_bEUlT_E_NS1_11comp_targetILNS1_3genE2ELNS1_11target_archE906ELNS1_3gpuE6ELNS1_3repE0EEENS1_30default_config_static_selectorELNS0_4arch9wavefront6targetE1EEEvT1_
                                        ; -- End function
	.section	.AMDGPU.csdata,"",@progbits
; Kernel info:
; codeLenInByte = 0
; NumSgprs: 4
; NumVgprs: 0
; NumAgprs: 0
; TotalNumVgprs: 0
; ScratchSize: 0
; MemoryBound: 0
; FloatMode: 240
; IeeeMode: 1
; LDSByteSize: 0 bytes/workgroup (compile time only)
; SGPRBlocks: 0
; VGPRBlocks: 0
; NumSGPRsForWavesPerEU: 4
; NumVGPRsForWavesPerEU: 1
; AccumOffset: 4
; Occupancy: 8
; WaveLimiterHint : 0
; COMPUTE_PGM_RSRC2:SCRATCH_EN: 0
; COMPUTE_PGM_RSRC2:USER_SGPR: 6
; COMPUTE_PGM_RSRC2:TRAP_HANDLER: 0
; COMPUTE_PGM_RSRC2:TGID_X_EN: 1
; COMPUTE_PGM_RSRC2:TGID_Y_EN: 0
; COMPUTE_PGM_RSRC2:TGID_Z_EN: 0
; COMPUTE_PGM_RSRC2:TIDIG_COMP_CNT: 0
; COMPUTE_PGM_RSRC3_GFX90A:ACCUM_OFFSET: 0
; COMPUTE_PGM_RSRC3_GFX90A:TG_SPLIT: 0
	.section	.text._ZN7rocprim17ROCPRIM_400000_NS6detail17trampoline_kernelINS0_14default_configENS1_25transform_config_selectorIlLb0EEEZNS1_14transform_implILb0ES3_S5_NS0_18transform_iteratorINS0_17counting_iteratorImlEEZNS1_24adjacent_difference_implIS3_Lb1ELb0EPlSB_ZN2at6native12_GLOBAL__N_124unique_dim_cuda_templateIdEESt5tupleIJNSC_6TensorESH_SH_EERKSH_lbbbEUlllE1_EE10hipError_tPvRmT2_T3_mT4_P12ihipStream_tbEUlmE_lEESB_NS0_8identityIvEEEESM_SP_SQ_mSR_ST_bEUlT_E_NS1_11comp_targetILNS1_3genE10ELNS1_11target_archE1201ELNS1_3gpuE5ELNS1_3repE0EEENS1_30default_config_static_selectorELNS0_4arch9wavefront6targetE1EEEvT1_,"axG",@progbits,_ZN7rocprim17ROCPRIM_400000_NS6detail17trampoline_kernelINS0_14default_configENS1_25transform_config_selectorIlLb0EEEZNS1_14transform_implILb0ES3_S5_NS0_18transform_iteratorINS0_17counting_iteratorImlEEZNS1_24adjacent_difference_implIS3_Lb1ELb0EPlSB_ZN2at6native12_GLOBAL__N_124unique_dim_cuda_templateIdEESt5tupleIJNSC_6TensorESH_SH_EERKSH_lbbbEUlllE1_EE10hipError_tPvRmT2_T3_mT4_P12ihipStream_tbEUlmE_lEESB_NS0_8identityIvEEEESM_SP_SQ_mSR_ST_bEUlT_E_NS1_11comp_targetILNS1_3genE10ELNS1_11target_archE1201ELNS1_3gpuE5ELNS1_3repE0EEENS1_30default_config_static_selectorELNS0_4arch9wavefront6targetE1EEEvT1_,comdat
	.globl	_ZN7rocprim17ROCPRIM_400000_NS6detail17trampoline_kernelINS0_14default_configENS1_25transform_config_selectorIlLb0EEEZNS1_14transform_implILb0ES3_S5_NS0_18transform_iteratorINS0_17counting_iteratorImlEEZNS1_24adjacent_difference_implIS3_Lb1ELb0EPlSB_ZN2at6native12_GLOBAL__N_124unique_dim_cuda_templateIdEESt5tupleIJNSC_6TensorESH_SH_EERKSH_lbbbEUlllE1_EE10hipError_tPvRmT2_T3_mT4_P12ihipStream_tbEUlmE_lEESB_NS0_8identityIvEEEESM_SP_SQ_mSR_ST_bEUlT_E_NS1_11comp_targetILNS1_3genE10ELNS1_11target_archE1201ELNS1_3gpuE5ELNS1_3repE0EEENS1_30default_config_static_selectorELNS0_4arch9wavefront6targetE1EEEvT1_ ; -- Begin function _ZN7rocprim17ROCPRIM_400000_NS6detail17trampoline_kernelINS0_14default_configENS1_25transform_config_selectorIlLb0EEEZNS1_14transform_implILb0ES3_S5_NS0_18transform_iteratorINS0_17counting_iteratorImlEEZNS1_24adjacent_difference_implIS3_Lb1ELb0EPlSB_ZN2at6native12_GLOBAL__N_124unique_dim_cuda_templateIdEESt5tupleIJNSC_6TensorESH_SH_EERKSH_lbbbEUlllE1_EE10hipError_tPvRmT2_T3_mT4_P12ihipStream_tbEUlmE_lEESB_NS0_8identityIvEEEESM_SP_SQ_mSR_ST_bEUlT_E_NS1_11comp_targetILNS1_3genE10ELNS1_11target_archE1201ELNS1_3gpuE5ELNS1_3repE0EEENS1_30default_config_static_selectorELNS0_4arch9wavefront6targetE1EEEvT1_
	.p2align	8
	.type	_ZN7rocprim17ROCPRIM_400000_NS6detail17trampoline_kernelINS0_14default_configENS1_25transform_config_selectorIlLb0EEEZNS1_14transform_implILb0ES3_S5_NS0_18transform_iteratorINS0_17counting_iteratorImlEEZNS1_24adjacent_difference_implIS3_Lb1ELb0EPlSB_ZN2at6native12_GLOBAL__N_124unique_dim_cuda_templateIdEESt5tupleIJNSC_6TensorESH_SH_EERKSH_lbbbEUlllE1_EE10hipError_tPvRmT2_T3_mT4_P12ihipStream_tbEUlmE_lEESB_NS0_8identityIvEEEESM_SP_SQ_mSR_ST_bEUlT_E_NS1_11comp_targetILNS1_3genE10ELNS1_11target_archE1201ELNS1_3gpuE5ELNS1_3repE0EEENS1_30default_config_static_selectorELNS0_4arch9wavefront6targetE1EEEvT1_,@function
_ZN7rocprim17ROCPRIM_400000_NS6detail17trampoline_kernelINS0_14default_configENS1_25transform_config_selectorIlLb0EEEZNS1_14transform_implILb0ES3_S5_NS0_18transform_iteratorINS0_17counting_iteratorImlEEZNS1_24adjacent_difference_implIS3_Lb1ELb0EPlSB_ZN2at6native12_GLOBAL__N_124unique_dim_cuda_templateIdEESt5tupleIJNSC_6TensorESH_SH_EERKSH_lbbbEUlllE1_EE10hipError_tPvRmT2_T3_mT4_P12ihipStream_tbEUlmE_lEESB_NS0_8identityIvEEEESM_SP_SQ_mSR_ST_bEUlT_E_NS1_11comp_targetILNS1_3genE10ELNS1_11target_archE1201ELNS1_3gpuE5ELNS1_3repE0EEENS1_30default_config_static_selectorELNS0_4arch9wavefront6targetE1EEEvT1_: ; @_ZN7rocprim17ROCPRIM_400000_NS6detail17trampoline_kernelINS0_14default_configENS1_25transform_config_selectorIlLb0EEEZNS1_14transform_implILb0ES3_S5_NS0_18transform_iteratorINS0_17counting_iteratorImlEEZNS1_24adjacent_difference_implIS3_Lb1ELb0EPlSB_ZN2at6native12_GLOBAL__N_124unique_dim_cuda_templateIdEESt5tupleIJNSC_6TensorESH_SH_EERKSH_lbbbEUlllE1_EE10hipError_tPvRmT2_T3_mT4_P12ihipStream_tbEUlmE_lEESB_NS0_8identityIvEEEESM_SP_SQ_mSR_ST_bEUlT_E_NS1_11comp_targetILNS1_3genE10ELNS1_11target_archE1201ELNS1_3gpuE5ELNS1_3repE0EEENS1_30default_config_static_selectorELNS0_4arch9wavefront6targetE1EEEvT1_
; %bb.0:
	.section	.rodata,"a",@progbits
	.p2align	6, 0x0
	.amdhsa_kernel _ZN7rocprim17ROCPRIM_400000_NS6detail17trampoline_kernelINS0_14default_configENS1_25transform_config_selectorIlLb0EEEZNS1_14transform_implILb0ES3_S5_NS0_18transform_iteratorINS0_17counting_iteratorImlEEZNS1_24adjacent_difference_implIS3_Lb1ELb0EPlSB_ZN2at6native12_GLOBAL__N_124unique_dim_cuda_templateIdEESt5tupleIJNSC_6TensorESH_SH_EERKSH_lbbbEUlllE1_EE10hipError_tPvRmT2_T3_mT4_P12ihipStream_tbEUlmE_lEESB_NS0_8identityIvEEEESM_SP_SQ_mSR_ST_bEUlT_E_NS1_11comp_targetILNS1_3genE10ELNS1_11target_archE1201ELNS1_3gpuE5ELNS1_3repE0EEENS1_30default_config_static_selectorELNS0_4arch9wavefront6targetE1EEEvT1_
		.amdhsa_group_segment_fixed_size 0
		.amdhsa_private_segment_fixed_size 0
		.amdhsa_kernarg_size 56
		.amdhsa_user_sgpr_count 6
		.amdhsa_user_sgpr_private_segment_buffer 1
		.amdhsa_user_sgpr_dispatch_ptr 0
		.amdhsa_user_sgpr_queue_ptr 0
		.amdhsa_user_sgpr_kernarg_segment_ptr 1
		.amdhsa_user_sgpr_dispatch_id 0
		.amdhsa_user_sgpr_flat_scratch_init 0
		.amdhsa_user_sgpr_kernarg_preload_length 0
		.amdhsa_user_sgpr_kernarg_preload_offset 0
		.amdhsa_user_sgpr_private_segment_size 0
		.amdhsa_uses_dynamic_stack 0
		.amdhsa_system_sgpr_private_segment_wavefront_offset 0
		.amdhsa_system_sgpr_workgroup_id_x 1
		.amdhsa_system_sgpr_workgroup_id_y 0
		.amdhsa_system_sgpr_workgroup_id_z 0
		.amdhsa_system_sgpr_workgroup_info 0
		.amdhsa_system_vgpr_workitem_id 0
		.amdhsa_next_free_vgpr 1
		.amdhsa_next_free_sgpr 0
		.amdhsa_accum_offset 4
		.amdhsa_reserve_vcc 0
		.amdhsa_reserve_flat_scratch 0
		.amdhsa_float_round_mode_32 0
		.amdhsa_float_round_mode_16_64 0
		.amdhsa_float_denorm_mode_32 3
		.amdhsa_float_denorm_mode_16_64 3
		.amdhsa_dx10_clamp 1
		.amdhsa_ieee_mode 1
		.amdhsa_fp16_overflow 0
		.amdhsa_tg_split 0
		.amdhsa_exception_fp_ieee_invalid_op 0
		.amdhsa_exception_fp_denorm_src 0
		.amdhsa_exception_fp_ieee_div_zero 0
		.amdhsa_exception_fp_ieee_overflow 0
		.amdhsa_exception_fp_ieee_underflow 0
		.amdhsa_exception_fp_ieee_inexact 0
		.amdhsa_exception_int_div_zero 0
	.end_amdhsa_kernel
	.section	.text._ZN7rocprim17ROCPRIM_400000_NS6detail17trampoline_kernelINS0_14default_configENS1_25transform_config_selectorIlLb0EEEZNS1_14transform_implILb0ES3_S5_NS0_18transform_iteratorINS0_17counting_iteratorImlEEZNS1_24adjacent_difference_implIS3_Lb1ELb0EPlSB_ZN2at6native12_GLOBAL__N_124unique_dim_cuda_templateIdEESt5tupleIJNSC_6TensorESH_SH_EERKSH_lbbbEUlllE1_EE10hipError_tPvRmT2_T3_mT4_P12ihipStream_tbEUlmE_lEESB_NS0_8identityIvEEEESM_SP_SQ_mSR_ST_bEUlT_E_NS1_11comp_targetILNS1_3genE10ELNS1_11target_archE1201ELNS1_3gpuE5ELNS1_3repE0EEENS1_30default_config_static_selectorELNS0_4arch9wavefront6targetE1EEEvT1_,"axG",@progbits,_ZN7rocprim17ROCPRIM_400000_NS6detail17trampoline_kernelINS0_14default_configENS1_25transform_config_selectorIlLb0EEEZNS1_14transform_implILb0ES3_S5_NS0_18transform_iteratorINS0_17counting_iteratorImlEEZNS1_24adjacent_difference_implIS3_Lb1ELb0EPlSB_ZN2at6native12_GLOBAL__N_124unique_dim_cuda_templateIdEESt5tupleIJNSC_6TensorESH_SH_EERKSH_lbbbEUlllE1_EE10hipError_tPvRmT2_T3_mT4_P12ihipStream_tbEUlmE_lEESB_NS0_8identityIvEEEESM_SP_SQ_mSR_ST_bEUlT_E_NS1_11comp_targetILNS1_3genE10ELNS1_11target_archE1201ELNS1_3gpuE5ELNS1_3repE0EEENS1_30default_config_static_selectorELNS0_4arch9wavefront6targetE1EEEvT1_,comdat
.Lfunc_end795:
	.size	_ZN7rocprim17ROCPRIM_400000_NS6detail17trampoline_kernelINS0_14default_configENS1_25transform_config_selectorIlLb0EEEZNS1_14transform_implILb0ES3_S5_NS0_18transform_iteratorINS0_17counting_iteratorImlEEZNS1_24adjacent_difference_implIS3_Lb1ELb0EPlSB_ZN2at6native12_GLOBAL__N_124unique_dim_cuda_templateIdEESt5tupleIJNSC_6TensorESH_SH_EERKSH_lbbbEUlllE1_EE10hipError_tPvRmT2_T3_mT4_P12ihipStream_tbEUlmE_lEESB_NS0_8identityIvEEEESM_SP_SQ_mSR_ST_bEUlT_E_NS1_11comp_targetILNS1_3genE10ELNS1_11target_archE1201ELNS1_3gpuE5ELNS1_3repE0EEENS1_30default_config_static_selectorELNS0_4arch9wavefront6targetE1EEEvT1_, .Lfunc_end795-_ZN7rocprim17ROCPRIM_400000_NS6detail17trampoline_kernelINS0_14default_configENS1_25transform_config_selectorIlLb0EEEZNS1_14transform_implILb0ES3_S5_NS0_18transform_iteratorINS0_17counting_iteratorImlEEZNS1_24adjacent_difference_implIS3_Lb1ELb0EPlSB_ZN2at6native12_GLOBAL__N_124unique_dim_cuda_templateIdEESt5tupleIJNSC_6TensorESH_SH_EERKSH_lbbbEUlllE1_EE10hipError_tPvRmT2_T3_mT4_P12ihipStream_tbEUlmE_lEESB_NS0_8identityIvEEEESM_SP_SQ_mSR_ST_bEUlT_E_NS1_11comp_targetILNS1_3genE10ELNS1_11target_archE1201ELNS1_3gpuE5ELNS1_3repE0EEENS1_30default_config_static_selectorELNS0_4arch9wavefront6targetE1EEEvT1_
                                        ; -- End function
	.section	.AMDGPU.csdata,"",@progbits
; Kernel info:
; codeLenInByte = 0
; NumSgprs: 4
; NumVgprs: 0
; NumAgprs: 0
; TotalNumVgprs: 0
; ScratchSize: 0
; MemoryBound: 0
; FloatMode: 240
; IeeeMode: 1
; LDSByteSize: 0 bytes/workgroup (compile time only)
; SGPRBlocks: 0
; VGPRBlocks: 0
; NumSGPRsForWavesPerEU: 4
; NumVGPRsForWavesPerEU: 1
; AccumOffset: 4
; Occupancy: 8
; WaveLimiterHint : 0
; COMPUTE_PGM_RSRC2:SCRATCH_EN: 0
; COMPUTE_PGM_RSRC2:USER_SGPR: 6
; COMPUTE_PGM_RSRC2:TRAP_HANDLER: 0
; COMPUTE_PGM_RSRC2:TGID_X_EN: 1
; COMPUTE_PGM_RSRC2:TGID_Y_EN: 0
; COMPUTE_PGM_RSRC2:TGID_Z_EN: 0
; COMPUTE_PGM_RSRC2:TIDIG_COMP_CNT: 0
; COMPUTE_PGM_RSRC3_GFX90A:ACCUM_OFFSET: 0
; COMPUTE_PGM_RSRC3_GFX90A:TG_SPLIT: 0
	.section	.text._ZN7rocprim17ROCPRIM_400000_NS6detail17trampoline_kernelINS0_14default_configENS1_25transform_config_selectorIlLb0EEEZNS1_14transform_implILb0ES3_S5_NS0_18transform_iteratorINS0_17counting_iteratorImlEEZNS1_24adjacent_difference_implIS3_Lb1ELb0EPlSB_ZN2at6native12_GLOBAL__N_124unique_dim_cuda_templateIdEESt5tupleIJNSC_6TensorESH_SH_EERKSH_lbbbEUlllE1_EE10hipError_tPvRmT2_T3_mT4_P12ihipStream_tbEUlmE_lEESB_NS0_8identityIvEEEESM_SP_SQ_mSR_ST_bEUlT_E_NS1_11comp_targetILNS1_3genE10ELNS1_11target_archE1200ELNS1_3gpuE4ELNS1_3repE0EEENS1_30default_config_static_selectorELNS0_4arch9wavefront6targetE1EEEvT1_,"axG",@progbits,_ZN7rocprim17ROCPRIM_400000_NS6detail17trampoline_kernelINS0_14default_configENS1_25transform_config_selectorIlLb0EEEZNS1_14transform_implILb0ES3_S5_NS0_18transform_iteratorINS0_17counting_iteratorImlEEZNS1_24adjacent_difference_implIS3_Lb1ELb0EPlSB_ZN2at6native12_GLOBAL__N_124unique_dim_cuda_templateIdEESt5tupleIJNSC_6TensorESH_SH_EERKSH_lbbbEUlllE1_EE10hipError_tPvRmT2_T3_mT4_P12ihipStream_tbEUlmE_lEESB_NS0_8identityIvEEEESM_SP_SQ_mSR_ST_bEUlT_E_NS1_11comp_targetILNS1_3genE10ELNS1_11target_archE1200ELNS1_3gpuE4ELNS1_3repE0EEENS1_30default_config_static_selectorELNS0_4arch9wavefront6targetE1EEEvT1_,comdat
	.globl	_ZN7rocprim17ROCPRIM_400000_NS6detail17trampoline_kernelINS0_14default_configENS1_25transform_config_selectorIlLb0EEEZNS1_14transform_implILb0ES3_S5_NS0_18transform_iteratorINS0_17counting_iteratorImlEEZNS1_24adjacent_difference_implIS3_Lb1ELb0EPlSB_ZN2at6native12_GLOBAL__N_124unique_dim_cuda_templateIdEESt5tupleIJNSC_6TensorESH_SH_EERKSH_lbbbEUlllE1_EE10hipError_tPvRmT2_T3_mT4_P12ihipStream_tbEUlmE_lEESB_NS0_8identityIvEEEESM_SP_SQ_mSR_ST_bEUlT_E_NS1_11comp_targetILNS1_3genE10ELNS1_11target_archE1200ELNS1_3gpuE4ELNS1_3repE0EEENS1_30default_config_static_selectorELNS0_4arch9wavefront6targetE1EEEvT1_ ; -- Begin function _ZN7rocprim17ROCPRIM_400000_NS6detail17trampoline_kernelINS0_14default_configENS1_25transform_config_selectorIlLb0EEEZNS1_14transform_implILb0ES3_S5_NS0_18transform_iteratorINS0_17counting_iteratorImlEEZNS1_24adjacent_difference_implIS3_Lb1ELb0EPlSB_ZN2at6native12_GLOBAL__N_124unique_dim_cuda_templateIdEESt5tupleIJNSC_6TensorESH_SH_EERKSH_lbbbEUlllE1_EE10hipError_tPvRmT2_T3_mT4_P12ihipStream_tbEUlmE_lEESB_NS0_8identityIvEEEESM_SP_SQ_mSR_ST_bEUlT_E_NS1_11comp_targetILNS1_3genE10ELNS1_11target_archE1200ELNS1_3gpuE4ELNS1_3repE0EEENS1_30default_config_static_selectorELNS0_4arch9wavefront6targetE1EEEvT1_
	.p2align	8
	.type	_ZN7rocprim17ROCPRIM_400000_NS6detail17trampoline_kernelINS0_14default_configENS1_25transform_config_selectorIlLb0EEEZNS1_14transform_implILb0ES3_S5_NS0_18transform_iteratorINS0_17counting_iteratorImlEEZNS1_24adjacent_difference_implIS3_Lb1ELb0EPlSB_ZN2at6native12_GLOBAL__N_124unique_dim_cuda_templateIdEESt5tupleIJNSC_6TensorESH_SH_EERKSH_lbbbEUlllE1_EE10hipError_tPvRmT2_T3_mT4_P12ihipStream_tbEUlmE_lEESB_NS0_8identityIvEEEESM_SP_SQ_mSR_ST_bEUlT_E_NS1_11comp_targetILNS1_3genE10ELNS1_11target_archE1200ELNS1_3gpuE4ELNS1_3repE0EEENS1_30default_config_static_selectorELNS0_4arch9wavefront6targetE1EEEvT1_,@function
_ZN7rocprim17ROCPRIM_400000_NS6detail17trampoline_kernelINS0_14default_configENS1_25transform_config_selectorIlLb0EEEZNS1_14transform_implILb0ES3_S5_NS0_18transform_iteratorINS0_17counting_iteratorImlEEZNS1_24adjacent_difference_implIS3_Lb1ELb0EPlSB_ZN2at6native12_GLOBAL__N_124unique_dim_cuda_templateIdEESt5tupleIJNSC_6TensorESH_SH_EERKSH_lbbbEUlllE1_EE10hipError_tPvRmT2_T3_mT4_P12ihipStream_tbEUlmE_lEESB_NS0_8identityIvEEEESM_SP_SQ_mSR_ST_bEUlT_E_NS1_11comp_targetILNS1_3genE10ELNS1_11target_archE1200ELNS1_3gpuE4ELNS1_3repE0EEENS1_30default_config_static_selectorELNS0_4arch9wavefront6targetE1EEEvT1_: ; @_ZN7rocprim17ROCPRIM_400000_NS6detail17trampoline_kernelINS0_14default_configENS1_25transform_config_selectorIlLb0EEEZNS1_14transform_implILb0ES3_S5_NS0_18transform_iteratorINS0_17counting_iteratorImlEEZNS1_24adjacent_difference_implIS3_Lb1ELb0EPlSB_ZN2at6native12_GLOBAL__N_124unique_dim_cuda_templateIdEESt5tupleIJNSC_6TensorESH_SH_EERKSH_lbbbEUlllE1_EE10hipError_tPvRmT2_T3_mT4_P12ihipStream_tbEUlmE_lEESB_NS0_8identityIvEEEESM_SP_SQ_mSR_ST_bEUlT_E_NS1_11comp_targetILNS1_3genE10ELNS1_11target_archE1200ELNS1_3gpuE4ELNS1_3repE0EEENS1_30default_config_static_selectorELNS0_4arch9wavefront6targetE1EEEvT1_
; %bb.0:
	.section	.rodata,"a",@progbits
	.p2align	6, 0x0
	.amdhsa_kernel _ZN7rocprim17ROCPRIM_400000_NS6detail17trampoline_kernelINS0_14default_configENS1_25transform_config_selectorIlLb0EEEZNS1_14transform_implILb0ES3_S5_NS0_18transform_iteratorINS0_17counting_iteratorImlEEZNS1_24adjacent_difference_implIS3_Lb1ELb0EPlSB_ZN2at6native12_GLOBAL__N_124unique_dim_cuda_templateIdEESt5tupleIJNSC_6TensorESH_SH_EERKSH_lbbbEUlllE1_EE10hipError_tPvRmT2_T3_mT4_P12ihipStream_tbEUlmE_lEESB_NS0_8identityIvEEEESM_SP_SQ_mSR_ST_bEUlT_E_NS1_11comp_targetILNS1_3genE10ELNS1_11target_archE1200ELNS1_3gpuE4ELNS1_3repE0EEENS1_30default_config_static_selectorELNS0_4arch9wavefront6targetE1EEEvT1_
		.amdhsa_group_segment_fixed_size 0
		.amdhsa_private_segment_fixed_size 0
		.amdhsa_kernarg_size 56
		.amdhsa_user_sgpr_count 6
		.amdhsa_user_sgpr_private_segment_buffer 1
		.amdhsa_user_sgpr_dispatch_ptr 0
		.amdhsa_user_sgpr_queue_ptr 0
		.amdhsa_user_sgpr_kernarg_segment_ptr 1
		.amdhsa_user_sgpr_dispatch_id 0
		.amdhsa_user_sgpr_flat_scratch_init 0
		.amdhsa_user_sgpr_kernarg_preload_length 0
		.amdhsa_user_sgpr_kernarg_preload_offset 0
		.amdhsa_user_sgpr_private_segment_size 0
		.amdhsa_uses_dynamic_stack 0
		.amdhsa_system_sgpr_private_segment_wavefront_offset 0
		.amdhsa_system_sgpr_workgroup_id_x 1
		.amdhsa_system_sgpr_workgroup_id_y 0
		.amdhsa_system_sgpr_workgroup_id_z 0
		.amdhsa_system_sgpr_workgroup_info 0
		.amdhsa_system_vgpr_workitem_id 0
		.amdhsa_next_free_vgpr 1
		.amdhsa_next_free_sgpr 0
		.amdhsa_accum_offset 4
		.amdhsa_reserve_vcc 0
		.amdhsa_reserve_flat_scratch 0
		.amdhsa_float_round_mode_32 0
		.amdhsa_float_round_mode_16_64 0
		.amdhsa_float_denorm_mode_32 3
		.amdhsa_float_denorm_mode_16_64 3
		.amdhsa_dx10_clamp 1
		.amdhsa_ieee_mode 1
		.amdhsa_fp16_overflow 0
		.amdhsa_tg_split 0
		.amdhsa_exception_fp_ieee_invalid_op 0
		.amdhsa_exception_fp_denorm_src 0
		.amdhsa_exception_fp_ieee_div_zero 0
		.amdhsa_exception_fp_ieee_overflow 0
		.amdhsa_exception_fp_ieee_underflow 0
		.amdhsa_exception_fp_ieee_inexact 0
		.amdhsa_exception_int_div_zero 0
	.end_amdhsa_kernel
	.section	.text._ZN7rocprim17ROCPRIM_400000_NS6detail17trampoline_kernelINS0_14default_configENS1_25transform_config_selectorIlLb0EEEZNS1_14transform_implILb0ES3_S5_NS0_18transform_iteratorINS0_17counting_iteratorImlEEZNS1_24adjacent_difference_implIS3_Lb1ELb0EPlSB_ZN2at6native12_GLOBAL__N_124unique_dim_cuda_templateIdEESt5tupleIJNSC_6TensorESH_SH_EERKSH_lbbbEUlllE1_EE10hipError_tPvRmT2_T3_mT4_P12ihipStream_tbEUlmE_lEESB_NS0_8identityIvEEEESM_SP_SQ_mSR_ST_bEUlT_E_NS1_11comp_targetILNS1_3genE10ELNS1_11target_archE1200ELNS1_3gpuE4ELNS1_3repE0EEENS1_30default_config_static_selectorELNS0_4arch9wavefront6targetE1EEEvT1_,"axG",@progbits,_ZN7rocprim17ROCPRIM_400000_NS6detail17trampoline_kernelINS0_14default_configENS1_25transform_config_selectorIlLb0EEEZNS1_14transform_implILb0ES3_S5_NS0_18transform_iteratorINS0_17counting_iteratorImlEEZNS1_24adjacent_difference_implIS3_Lb1ELb0EPlSB_ZN2at6native12_GLOBAL__N_124unique_dim_cuda_templateIdEESt5tupleIJNSC_6TensorESH_SH_EERKSH_lbbbEUlllE1_EE10hipError_tPvRmT2_T3_mT4_P12ihipStream_tbEUlmE_lEESB_NS0_8identityIvEEEESM_SP_SQ_mSR_ST_bEUlT_E_NS1_11comp_targetILNS1_3genE10ELNS1_11target_archE1200ELNS1_3gpuE4ELNS1_3repE0EEENS1_30default_config_static_selectorELNS0_4arch9wavefront6targetE1EEEvT1_,comdat
.Lfunc_end796:
	.size	_ZN7rocprim17ROCPRIM_400000_NS6detail17trampoline_kernelINS0_14default_configENS1_25transform_config_selectorIlLb0EEEZNS1_14transform_implILb0ES3_S5_NS0_18transform_iteratorINS0_17counting_iteratorImlEEZNS1_24adjacent_difference_implIS3_Lb1ELb0EPlSB_ZN2at6native12_GLOBAL__N_124unique_dim_cuda_templateIdEESt5tupleIJNSC_6TensorESH_SH_EERKSH_lbbbEUlllE1_EE10hipError_tPvRmT2_T3_mT4_P12ihipStream_tbEUlmE_lEESB_NS0_8identityIvEEEESM_SP_SQ_mSR_ST_bEUlT_E_NS1_11comp_targetILNS1_3genE10ELNS1_11target_archE1200ELNS1_3gpuE4ELNS1_3repE0EEENS1_30default_config_static_selectorELNS0_4arch9wavefront6targetE1EEEvT1_, .Lfunc_end796-_ZN7rocprim17ROCPRIM_400000_NS6detail17trampoline_kernelINS0_14default_configENS1_25transform_config_selectorIlLb0EEEZNS1_14transform_implILb0ES3_S5_NS0_18transform_iteratorINS0_17counting_iteratorImlEEZNS1_24adjacent_difference_implIS3_Lb1ELb0EPlSB_ZN2at6native12_GLOBAL__N_124unique_dim_cuda_templateIdEESt5tupleIJNSC_6TensorESH_SH_EERKSH_lbbbEUlllE1_EE10hipError_tPvRmT2_T3_mT4_P12ihipStream_tbEUlmE_lEESB_NS0_8identityIvEEEESM_SP_SQ_mSR_ST_bEUlT_E_NS1_11comp_targetILNS1_3genE10ELNS1_11target_archE1200ELNS1_3gpuE4ELNS1_3repE0EEENS1_30default_config_static_selectorELNS0_4arch9wavefront6targetE1EEEvT1_
                                        ; -- End function
	.section	.AMDGPU.csdata,"",@progbits
; Kernel info:
; codeLenInByte = 0
; NumSgprs: 4
; NumVgprs: 0
; NumAgprs: 0
; TotalNumVgprs: 0
; ScratchSize: 0
; MemoryBound: 0
; FloatMode: 240
; IeeeMode: 1
; LDSByteSize: 0 bytes/workgroup (compile time only)
; SGPRBlocks: 0
; VGPRBlocks: 0
; NumSGPRsForWavesPerEU: 4
; NumVGPRsForWavesPerEU: 1
; AccumOffset: 4
; Occupancy: 8
; WaveLimiterHint : 0
; COMPUTE_PGM_RSRC2:SCRATCH_EN: 0
; COMPUTE_PGM_RSRC2:USER_SGPR: 6
; COMPUTE_PGM_RSRC2:TRAP_HANDLER: 0
; COMPUTE_PGM_RSRC2:TGID_X_EN: 1
; COMPUTE_PGM_RSRC2:TGID_Y_EN: 0
; COMPUTE_PGM_RSRC2:TGID_Z_EN: 0
; COMPUTE_PGM_RSRC2:TIDIG_COMP_CNT: 0
; COMPUTE_PGM_RSRC3_GFX90A:ACCUM_OFFSET: 0
; COMPUTE_PGM_RSRC3_GFX90A:TG_SPLIT: 0
	.section	.text._ZN7rocprim17ROCPRIM_400000_NS6detail17trampoline_kernelINS0_14default_configENS1_25transform_config_selectorIlLb0EEEZNS1_14transform_implILb0ES3_S5_NS0_18transform_iteratorINS0_17counting_iteratorImlEEZNS1_24adjacent_difference_implIS3_Lb1ELb0EPlSB_ZN2at6native12_GLOBAL__N_124unique_dim_cuda_templateIdEESt5tupleIJNSC_6TensorESH_SH_EERKSH_lbbbEUlllE1_EE10hipError_tPvRmT2_T3_mT4_P12ihipStream_tbEUlmE_lEESB_NS0_8identityIvEEEESM_SP_SQ_mSR_ST_bEUlT_E_NS1_11comp_targetILNS1_3genE9ELNS1_11target_archE1100ELNS1_3gpuE3ELNS1_3repE0EEENS1_30default_config_static_selectorELNS0_4arch9wavefront6targetE1EEEvT1_,"axG",@progbits,_ZN7rocprim17ROCPRIM_400000_NS6detail17trampoline_kernelINS0_14default_configENS1_25transform_config_selectorIlLb0EEEZNS1_14transform_implILb0ES3_S5_NS0_18transform_iteratorINS0_17counting_iteratorImlEEZNS1_24adjacent_difference_implIS3_Lb1ELb0EPlSB_ZN2at6native12_GLOBAL__N_124unique_dim_cuda_templateIdEESt5tupleIJNSC_6TensorESH_SH_EERKSH_lbbbEUlllE1_EE10hipError_tPvRmT2_T3_mT4_P12ihipStream_tbEUlmE_lEESB_NS0_8identityIvEEEESM_SP_SQ_mSR_ST_bEUlT_E_NS1_11comp_targetILNS1_3genE9ELNS1_11target_archE1100ELNS1_3gpuE3ELNS1_3repE0EEENS1_30default_config_static_selectorELNS0_4arch9wavefront6targetE1EEEvT1_,comdat
	.globl	_ZN7rocprim17ROCPRIM_400000_NS6detail17trampoline_kernelINS0_14default_configENS1_25transform_config_selectorIlLb0EEEZNS1_14transform_implILb0ES3_S5_NS0_18transform_iteratorINS0_17counting_iteratorImlEEZNS1_24adjacent_difference_implIS3_Lb1ELb0EPlSB_ZN2at6native12_GLOBAL__N_124unique_dim_cuda_templateIdEESt5tupleIJNSC_6TensorESH_SH_EERKSH_lbbbEUlllE1_EE10hipError_tPvRmT2_T3_mT4_P12ihipStream_tbEUlmE_lEESB_NS0_8identityIvEEEESM_SP_SQ_mSR_ST_bEUlT_E_NS1_11comp_targetILNS1_3genE9ELNS1_11target_archE1100ELNS1_3gpuE3ELNS1_3repE0EEENS1_30default_config_static_selectorELNS0_4arch9wavefront6targetE1EEEvT1_ ; -- Begin function _ZN7rocprim17ROCPRIM_400000_NS6detail17trampoline_kernelINS0_14default_configENS1_25transform_config_selectorIlLb0EEEZNS1_14transform_implILb0ES3_S5_NS0_18transform_iteratorINS0_17counting_iteratorImlEEZNS1_24adjacent_difference_implIS3_Lb1ELb0EPlSB_ZN2at6native12_GLOBAL__N_124unique_dim_cuda_templateIdEESt5tupleIJNSC_6TensorESH_SH_EERKSH_lbbbEUlllE1_EE10hipError_tPvRmT2_T3_mT4_P12ihipStream_tbEUlmE_lEESB_NS0_8identityIvEEEESM_SP_SQ_mSR_ST_bEUlT_E_NS1_11comp_targetILNS1_3genE9ELNS1_11target_archE1100ELNS1_3gpuE3ELNS1_3repE0EEENS1_30default_config_static_selectorELNS0_4arch9wavefront6targetE1EEEvT1_
	.p2align	8
	.type	_ZN7rocprim17ROCPRIM_400000_NS6detail17trampoline_kernelINS0_14default_configENS1_25transform_config_selectorIlLb0EEEZNS1_14transform_implILb0ES3_S5_NS0_18transform_iteratorINS0_17counting_iteratorImlEEZNS1_24adjacent_difference_implIS3_Lb1ELb0EPlSB_ZN2at6native12_GLOBAL__N_124unique_dim_cuda_templateIdEESt5tupleIJNSC_6TensorESH_SH_EERKSH_lbbbEUlllE1_EE10hipError_tPvRmT2_T3_mT4_P12ihipStream_tbEUlmE_lEESB_NS0_8identityIvEEEESM_SP_SQ_mSR_ST_bEUlT_E_NS1_11comp_targetILNS1_3genE9ELNS1_11target_archE1100ELNS1_3gpuE3ELNS1_3repE0EEENS1_30default_config_static_selectorELNS0_4arch9wavefront6targetE1EEEvT1_,@function
_ZN7rocprim17ROCPRIM_400000_NS6detail17trampoline_kernelINS0_14default_configENS1_25transform_config_selectorIlLb0EEEZNS1_14transform_implILb0ES3_S5_NS0_18transform_iteratorINS0_17counting_iteratorImlEEZNS1_24adjacent_difference_implIS3_Lb1ELb0EPlSB_ZN2at6native12_GLOBAL__N_124unique_dim_cuda_templateIdEESt5tupleIJNSC_6TensorESH_SH_EERKSH_lbbbEUlllE1_EE10hipError_tPvRmT2_T3_mT4_P12ihipStream_tbEUlmE_lEESB_NS0_8identityIvEEEESM_SP_SQ_mSR_ST_bEUlT_E_NS1_11comp_targetILNS1_3genE9ELNS1_11target_archE1100ELNS1_3gpuE3ELNS1_3repE0EEENS1_30default_config_static_selectorELNS0_4arch9wavefront6targetE1EEEvT1_: ; @_ZN7rocprim17ROCPRIM_400000_NS6detail17trampoline_kernelINS0_14default_configENS1_25transform_config_selectorIlLb0EEEZNS1_14transform_implILb0ES3_S5_NS0_18transform_iteratorINS0_17counting_iteratorImlEEZNS1_24adjacent_difference_implIS3_Lb1ELb0EPlSB_ZN2at6native12_GLOBAL__N_124unique_dim_cuda_templateIdEESt5tupleIJNSC_6TensorESH_SH_EERKSH_lbbbEUlllE1_EE10hipError_tPvRmT2_T3_mT4_P12ihipStream_tbEUlmE_lEESB_NS0_8identityIvEEEESM_SP_SQ_mSR_ST_bEUlT_E_NS1_11comp_targetILNS1_3genE9ELNS1_11target_archE1100ELNS1_3gpuE3ELNS1_3repE0EEENS1_30default_config_static_selectorELNS0_4arch9wavefront6targetE1EEEvT1_
; %bb.0:
	.section	.rodata,"a",@progbits
	.p2align	6, 0x0
	.amdhsa_kernel _ZN7rocprim17ROCPRIM_400000_NS6detail17trampoline_kernelINS0_14default_configENS1_25transform_config_selectorIlLb0EEEZNS1_14transform_implILb0ES3_S5_NS0_18transform_iteratorINS0_17counting_iteratorImlEEZNS1_24adjacent_difference_implIS3_Lb1ELb0EPlSB_ZN2at6native12_GLOBAL__N_124unique_dim_cuda_templateIdEESt5tupleIJNSC_6TensorESH_SH_EERKSH_lbbbEUlllE1_EE10hipError_tPvRmT2_T3_mT4_P12ihipStream_tbEUlmE_lEESB_NS0_8identityIvEEEESM_SP_SQ_mSR_ST_bEUlT_E_NS1_11comp_targetILNS1_3genE9ELNS1_11target_archE1100ELNS1_3gpuE3ELNS1_3repE0EEENS1_30default_config_static_selectorELNS0_4arch9wavefront6targetE1EEEvT1_
		.amdhsa_group_segment_fixed_size 0
		.amdhsa_private_segment_fixed_size 0
		.amdhsa_kernarg_size 56
		.amdhsa_user_sgpr_count 6
		.amdhsa_user_sgpr_private_segment_buffer 1
		.amdhsa_user_sgpr_dispatch_ptr 0
		.amdhsa_user_sgpr_queue_ptr 0
		.amdhsa_user_sgpr_kernarg_segment_ptr 1
		.amdhsa_user_sgpr_dispatch_id 0
		.amdhsa_user_sgpr_flat_scratch_init 0
		.amdhsa_user_sgpr_kernarg_preload_length 0
		.amdhsa_user_sgpr_kernarg_preload_offset 0
		.amdhsa_user_sgpr_private_segment_size 0
		.amdhsa_uses_dynamic_stack 0
		.amdhsa_system_sgpr_private_segment_wavefront_offset 0
		.amdhsa_system_sgpr_workgroup_id_x 1
		.amdhsa_system_sgpr_workgroup_id_y 0
		.amdhsa_system_sgpr_workgroup_id_z 0
		.amdhsa_system_sgpr_workgroup_info 0
		.amdhsa_system_vgpr_workitem_id 0
		.amdhsa_next_free_vgpr 1
		.amdhsa_next_free_sgpr 0
		.amdhsa_accum_offset 4
		.amdhsa_reserve_vcc 0
		.amdhsa_reserve_flat_scratch 0
		.amdhsa_float_round_mode_32 0
		.amdhsa_float_round_mode_16_64 0
		.amdhsa_float_denorm_mode_32 3
		.amdhsa_float_denorm_mode_16_64 3
		.amdhsa_dx10_clamp 1
		.amdhsa_ieee_mode 1
		.amdhsa_fp16_overflow 0
		.amdhsa_tg_split 0
		.amdhsa_exception_fp_ieee_invalid_op 0
		.amdhsa_exception_fp_denorm_src 0
		.amdhsa_exception_fp_ieee_div_zero 0
		.amdhsa_exception_fp_ieee_overflow 0
		.amdhsa_exception_fp_ieee_underflow 0
		.amdhsa_exception_fp_ieee_inexact 0
		.amdhsa_exception_int_div_zero 0
	.end_amdhsa_kernel
	.section	.text._ZN7rocprim17ROCPRIM_400000_NS6detail17trampoline_kernelINS0_14default_configENS1_25transform_config_selectorIlLb0EEEZNS1_14transform_implILb0ES3_S5_NS0_18transform_iteratorINS0_17counting_iteratorImlEEZNS1_24adjacent_difference_implIS3_Lb1ELb0EPlSB_ZN2at6native12_GLOBAL__N_124unique_dim_cuda_templateIdEESt5tupleIJNSC_6TensorESH_SH_EERKSH_lbbbEUlllE1_EE10hipError_tPvRmT2_T3_mT4_P12ihipStream_tbEUlmE_lEESB_NS0_8identityIvEEEESM_SP_SQ_mSR_ST_bEUlT_E_NS1_11comp_targetILNS1_3genE9ELNS1_11target_archE1100ELNS1_3gpuE3ELNS1_3repE0EEENS1_30default_config_static_selectorELNS0_4arch9wavefront6targetE1EEEvT1_,"axG",@progbits,_ZN7rocprim17ROCPRIM_400000_NS6detail17trampoline_kernelINS0_14default_configENS1_25transform_config_selectorIlLb0EEEZNS1_14transform_implILb0ES3_S5_NS0_18transform_iteratorINS0_17counting_iteratorImlEEZNS1_24adjacent_difference_implIS3_Lb1ELb0EPlSB_ZN2at6native12_GLOBAL__N_124unique_dim_cuda_templateIdEESt5tupleIJNSC_6TensorESH_SH_EERKSH_lbbbEUlllE1_EE10hipError_tPvRmT2_T3_mT4_P12ihipStream_tbEUlmE_lEESB_NS0_8identityIvEEEESM_SP_SQ_mSR_ST_bEUlT_E_NS1_11comp_targetILNS1_3genE9ELNS1_11target_archE1100ELNS1_3gpuE3ELNS1_3repE0EEENS1_30default_config_static_selectorELNS0_4arch9wavefront6targetE1EEEvT1_,comdat
.Lfunc_end797:
	.size	_ZN7rocprim17ROCPRIM_400000_NS6detail17trampoline_kernelINS0_14default_configENS1_25transform_config_selectorIlLb0EEEZNS1_14transform_implILb0ES3_S5_NS0_18transform_iteratorINS0_17counting_iteratorImlEEZNS1_24adjacent_difference_implIS3_Lb1ELb0EPlSB_ZN2at6native12_GLOBAL__N_124unique_dim_cuda_templateIdEESt5tupleIJNSC_6TensorESH_SH_EERKSH_lbbbEUlllE1_EE10hipError_tPvRmT2_T3_mT4_P12ihipStream_tbEUlmE_lEESB_NS0_8identityIvEEEESM_SP_SQ_mSR_ST_bEUlT_E_NS1_11comp_targetILNS1_3genE9ELNS1_11target_archE1100ELNS1_3gpuE3ELNS1_3repE0EEENS1_30default_config_static_selectorELNS0_4arch9wavefront6targetE1EEEvT1_, .Lfunc_end797-_ZN7rocprim17ROCPRIM_400000_NS6detail17trampoline_kernelINS0_14default_configENS1_25transform_config_selectorIlLb0EEEZNS1_14transform_implILb0ES3_S5_NS0_18transform_iteratorINS0_17counting_iteratorImlEEZNS1_24adjacent_difference_implIS3_Lb1ELb0EPlSB_ZN2at6native12_GLOBAL__N_124unique_dim_cuda_templateIdEESt5tupleIJNSC_6TensorESH_SH_EERKSH_lbbbEUlllE1_EE10hipError_tPvRmT2_T3_mT4_P12ihipStream_tbEUlmE_lEESB_NS0_8identityIvEEEESM_SP_SQ_mSR_ST_bEUlT_E_NS1_11comp_targetILNS1_3genE9ELNS1_11target_archE1100ELNS1_3gpuE3ELNS1_3repE0EEENS1_30default_config_static_selectorELNS0_4arch9wavefront6targetE1EEEvT1_
                                        ; -- End function
	.section	.AMDGPU.csdata,"",@progbits
; Kernel info:
; codeLenInByte = 0
; NumSgprs: 4
; NumVgprs: 0
; NumAgprs: 0
; TotalNumVgprs: 0
; ScratchSize: 0
; MemoryBound: 0
; FloatMode: 240
; IeeeMode: 1
; LDSByteSize: 0 bytes/workgroup (compile time only)
; SGPRBlocks: 0
; VGPRBlocks: 0
; NumSGPRsForWavesPerEU: 4
; NumVGPRsForWavesPerEU: 1
; AccumOffset: 4
; Occupancy: 8
; WaveLimiterHint : 0
; COMPUTE_PGM_RSRC2:SCRATCH_EN: 0
; COMPUTE_PGM_RSRC2:USER_SGPR: 6
; COMPUTE_PGM_RSRC2:TRAP_HANDLER: 0
; COMPUTE_PGM_RSRC2:TGID_X_EN: 1
; COMPUTE_PGM_RSRC2:TGID_Y_EN: 0
; COMPUTE_PGM_RSRC2:TGID_Z_EN: 0
; COMPUTE_PGM_RSRC2:TIDIG_COMP_CNT: 0
; COMPUTE_PGM_RSRC3_GFX90A:ACCUM_OFFSET: 0
; COMPUTE_PGM_RSRC3_GFX90A:TG_SPLIT: 0
	.section	.text._ZN7rocprim17ROCPRIM_400000_NS6detail17trampoline_kernelINS0_14default_configENS1_25transform_config_selectorIlLb0EEEZNS1_14transform_implILb0ES3_S5_NS0_18transform_iteratorINS0_17counting_iteratorImlEEZNS1_24adjacent_difference_implIS3_Lb1ELb0EPlSB_ZN2at6native12_GLOBAL__N_124unique_dim_cuda_templateIdEESt5tupleIJNSC_6TensorESH_SH_EERKSH_lbbbEUlllE1_EE10hipError_tPvRmT2_T3_mT4_P12ihipStream_tbEUlmE_lEESB_NS0_8identityIvEEEESM_SP_SQ_mSR_ST_bEUlT_E_NS1_11comp_targetILNS1_3genE8ELNS1_11target_archE1030ELNS1_3gpuE2ELNS1_3repE0EEENS1_30default_config_static_selectorELNS0_4arch9wavefront6targetE1EEEvT1_,"axG",@progbits,_ZN7rocprim17ROCPRIM_400000_NS6detail17trampoline_kernelINS0_14default_configENS1_25transform_config_selectorIlLb0EEEZNS1_14transform_implILb0ES3_S5_NS0_18transform_iteratorINS0_17counting_iteratorImlEEZNS1_24adjacent_difference_implIS3_Lb1ELb0EPlSB_ZN2at6native12_GLOBAL__N_124unique_dim_cuda_templateIdEESt5tupleIJNSC_6TensorESH_SH_EERKSH_lbbbEUlllE1_EE10hipError_tPvRmT2_T3_mT4_P12ihipStream_tbEUlmE_lEESB_NS0_8identityIvEEEESM_SP_SQ_mSR_ST_bEUlT_E_NS1_11comp_targetILNS1_3genE8ELNS1_11target_archE1030ELNS1_3gpuE2ELNS1_3repE0EEENS1_30default_config_static_selectorELNS0_4arch9wavefront6targetE1EEEvT1_,comdat
	.globl	_ZN7rocprim17ROCPRIM_400000_NS6detail17trampoline_kernelINS0_14default_configENS1_25transform_config_selectorIlLb0EEEZNS1_14transform_implILb0ES3_S5_NS0_18transform_iteratorINS0_17counting_iteratorImlEEZNS1_24adjacent_difference_implIS3_Lb1ELb0EPlSB_ZN2at6native12_GLOBAL__N_124unique_dim_cuda_templateIdEESt5tupleIJNSC_6TensorESH_SH_EERKSH_lbbbEUlllE1_EE10hipError_tPvRmT2_T3_mT4_P12ihipStream_tbEUlmE_lEESB_NS0_8identityIvEEEESM_SP_SQ_mSR_ST_bEUlT_E_NS1_11comp_targetILNS1_3genE8ELNS1_11target_archE1030ELNS1_3gpuE2ELNS1_3repE0EEENS1_30default_config_static_selectorELNS0_4arch9wavefront6targetE1EEEvT1_ ; -- Begin function _ZN7rocprim17ROCPRIM_400000_NS6detail17trampoline_kernelINS0_14default_configENS1_25transform_config_selectorIlLb0EEEZNS1_14transform_implILb0ES3_S5_NS0_18transform_iteratorINS0_17counting_iteratorImlEEZNS1_24adjacent_difference_implIS3_Lb1ELb0EPlSB_ZN2at6native12_GLOBAL__N_124unique_dim_cuda_templateIdEESt5tupleIJNSC_6TensorESH_SH_EERKSH_lbbbEUlllE1_EE10hipError_tPvRmT2_T3_mT4_P12ihipStream_tbEUlmE_lEESB_NS0_8identityIvEEEESM_SP_SQ_mSR_ST_bEUlT_E_NS1_11comp_targetILNS1_3genE8ELNS1_11target_archE1030ELNS1_3gpuE2ELNS1_3repE0EEENS1_30default_config_static_selectorELNS0_4arch9wavefront6targetE1EEEvT1_
	.p2align	8
	.type	_ZN7rocprim17ROCPRIM_400000_NS6detail17trampoline_kernelINS0_14default_configENS1_25transform_config_selectorIlLb0EEEZNS1_14transform_implILb0ES3_S5_NS0_18transform_iteratorINS0_17counting_iteratorImlEEZNS1_24adjacent_difference_implIS3_Lb1ELb0EPlSB_ZN2at6native12_GLOBAL__N_124unique_dim_cuda_templateIdEESt5tupleIJNSC_6TensorESH_SH_EERKSH_lbbbEUlllE1_EE10hipError_tPvRmT2_T3_mT4_P12ihipStream_tbEUlmE_lEESB_NS0_8identityIvEEEESM_SP_SQ_mSR_ST_bEUlT_E_NS1_11comp_targetILNS1_3genE8ELNS1_11target_archE1030ELNS1_3gpuE2ELNS1_3repE0EEENS1_30default_config_static_selectorELNS0_4arch9wavefront6targetE1EEEvT1_,@function
_ZN7rocprim17ROCPRIM_400000_NS6detail17trampoline_kernelINS0_14default_configENS1_25transform_config_selectorIlLb0EEEZNS1_14transform_implILb0ES3_S5_NS0_18transform_iteratorINS0_17counting_iteratorImlEEZNS1_24adjacent_difference_implIS3_Lb1ELb0EPlSB_ZN2at6native12_GLOBAL__N_124unique_dim_cuda_templateIdEESt5tupleIJNSC_6TensorESH_SH_EERKSH_lbbbEUlllE1_EE10hipError_tPvRmT2_T3_mT4_P12ihipStream_tbEUlmE_lEESB_NS0_8identityIvEEEESM_SP_SQ_mSR_ST_bEUlT_E_NS1_11comp_targetILNS1_3genE8ELNS1_11target_archE1030ELNS1_3gpuE2ELNS1_3repE0EEENS1_30default_config_static_selectorELNS0_4arch9wavefront6targetE1EEEvT1_: ; @_ZN7rocprim17ROCPRIM_400000_NS6detail17trampoline_kernelINS0_14default_configENS1_25transform_config_selectorIlLb0EEEZNS1_14transform_implILb0ES3_S5_NS0_18transform_iteratorINS0_17counting_iteratorImlEEZNS1_24adjacent_difference_implIS3_Lb1ELb0EPlSB_ZN2at6native12_GLOBAL__N_124unique_dim_cuda_templateIdEESt5tupleIJNSC_6TensorESH_SH_EERKSH_lbbbEUlllE1_EE10hipError_tPvRmT2_T3_mT4_P12ihipStream_tbEUlmE_lEESB_NS0_8identityIvEEEESM_SP_SQ_mSR_ST_bEUlT_E_NS1_11comp_targetILNS1_3genE8ELNS1_11target_archE1030ELNS1_3gpuE2ELNS1_3repE0EEENS1_30default_config_static_selectorELNS0_4arch9wavefront6targetE1EEEvT1_
; %bb.0:
	.section	.rodata,"a",@progbits
	.p2align	6, 0x0
	.amdhsa_kernel _ZN7rocprim17ROCPRIM_400000_NS6detail17trampoline_kernelINS0_14default_configENS1_25transform_config_selectorIlLb0EEEZNS1_14transform_implILb0ES3_S5_NS0_18transform_iteratorINS0_17counting_iteratorImlEEZNS1_24adjacent_difference_implIS3_Lb1ELb0EPlSB_ZN2at6native12_GLOBAL__N_124unique_dim_cuda_templateIdEESt5tupleIJNSC_6TensorESH_SH_EERKSH_lbbbEUlllE1_EE10hipError_tPvRmT2_T3_mT4_P12ihipStream_tbEUlmE_lEESB_NS0_8identityIvEEEESM_SP_SQ_mSR_ST_bEUlT_E_NS1_11comp_targetILNS1_3genE8ELNS1_11target_archE1030ELNS1_3gpuE2ELNS1_3repE0EEENS1_30default_config_static_selectorELNS0_4arch9wavefront6targetE1EEEvT1_
		.amdhsa_group_segment_fixed_size 0
		.amdhsa_private_segment_fixed_size 0
		.amdhsa_kernarg_size 56
		.amdhsa_user_sgpr_count 6
		.amdhsa_user_sgpr_private_segment_buffer 1
		.amdhsa_user_sgpr_dispatch_ptr 0
		.amdhsa_user_sgpr_queue_ptr 0
		.amdhsa_user_sgpr_kernarg_segment_ptr 1
		.amdhsa_user_sgpr_dispatch_id 0
		.amdhsa_user_sgpr_flat_scratch_init 0
		.amdhsa_user_sgpr_kernarg_preload_length 0
		.amdhsa_user_sgpr_kernarg_preload_offset 0
		.amdhsa_user_sgpr_private_segment_size 0
		.amdhsa_uses_dynamic_stack 0
		.amdhsa_system_sgpr_private_segment_wavefront_offset 0
		.amdhsa_system_sgpr_workgroup_id_x 1
		.amdhsa_system_sgpr_workgroup_id_y 0
		.amdhsa_system_sgpr_workgroup_id_z 0
		.amdhsa_system_sgpr_workgroup_info 0
		.amdhsa_system_vgpr_workitem_id 0
		.amdhsa_next_free_vgpr 1
		.amdhsa_next_free_sgpr 0
		.amdhsa_accum_offset 4
		.amdhsa_reserve_vcc 0
		.amdhsa_reserve_flat_scratch 0
		.amdhsa_float_round_mode_32 0
		.amdhsa_float_round_mode_16_64 0
		.amdhsa_float_denorm_mode_32 3
		.amdhsa_float_denorm_mode_16_64 3
		.amdhsa_dx10_clamp 1
		.amdhsa_ieee_mode 1
		.amdhsa_fp16_overflow 0
		.amdhsa_tg_split 0
		.amdhsa_exception_fp_ieee_invalid_op 0
		.amdhsa_exception_fp_denorm_src 0
		.amdhsa_exception_fp_ieee_div_zero 0
		.amdhsa_exception_fp_ieee_overflow 0
		.amdhsa_exception_fp_ieee_underflow 0
		.amdhsa_exception_fp_ieee_inexact 0
		.amdhsa_exception_int_div_zero 0
	.end_amdhsa_kernel
	.section	.text._ZN7rocprim17ROCPRIM_400000_NS6detail17trampoline_kernelINS0_14default_configENS1_25transform_config_selectorIlLb0EEEZNS1_14transform_implILb0ES3_S5_NS0_18transform_iteratorINS0_17counting_iteratorImlEEZNS1_24adjacent_difference_implIS3_Lb1ELb0EPlSB_ZN2at6native12_GLOBAL__N_124unique_dim_cuda_templateIdEESt5tupleIJNSC_6TensorESH_SH_EERKSH_lbbbEUlllE1_EE10hipError_tPvRmT2_T3_mT4_P12ihipStream_tbEUlmE_lEESB_NS0_8identityIvEEEESM_SP_SQ_mSR_ST_bEUlT_E_NS1_11comp_targetILNS1_3genE8ELNS1_11target_archE1030ELNS1_3gpuE2ELNS1_3repE0EEENS1_30default_config_static_selectorELNS0_4arch9wavefront6targetE1EEEvT1_,"axG",@progbits,_ZN7rocprim17ROCPRIM_400000_NS6detail17trampoline_kernelINS0_14default_configENS1_25transform_config_selectorIlLb0EEEZNS1_14transform_implILb0ES3_S5_NS0_18transform_iteratorINS0_17counting_iteratorImlEEZNS1_24adjacent_difference_implIS3_Lb1ELb0EPlSB_ZN2at6native12_GLOBAL__N_124unique_dim_cuda_templateIdEESt5tupleIJNSC_6TensorESH_SH_EERKSH_lbbbEUlllE1_EE10hipError_tPvRmT2_T3_mT4_P12ihipStream_tbEUlmE_lEESB_NS0_8identityIvEEEESM_SP_SQ_mSR_ST_bEUlT_E_NS1_11comp_targetILNS1_3genE8ELNS1_11target_archE1030ELNS1_3gpuE2ELNS1_3repE0EEENS1_30default_config_static_selectorELNS0_4arch9wavefront6targetE1EEEvT1_,comdat
.Lfunc_end798:
	.size	_ZN7rocprim17ROCPRIM_400000_NS6detail17trampoline_kernelINS0_14default_configENS1_25transform_config_selectorIlLb0EEEZNS1_14transform_implILb0ES3_S5_NS0_18transform_iteratorINS0_17counting_iteratorImlEEZNS1_24adjacent_difference_implIS3_Lb1ELb0EPlSB_ZN2at6native12_GLOBAL__N_124unique_dim_cuda_templateIdEESt5tupleIJNSC_6TensorESH_SH_EERKSH_lbbbEUlllE1_EE10hipError_tPvRmT2_T3_mT4_P12ihipStream_tbEUlmE_lEESB_NS0_8identityIvEEEESM_SP_SQ_mSR_ST_bEUlT_E_NS1_11comp_targetILNS1_3genE8ELNS1_11target_archE1030ELNS1_3gpuE2ELNS1_3repE0EEENS1_30default_config_static_selectorELNS0_4arch9wavefront6targetE1EEEvT1_, .Lfunc_end798-_ZN7rocprim17ROCPRIM_400000_NS6detail17trampoline_kernelINS0_14default_configENS1_25transform_config_selectorIlLb0EEEZNS1_14transform_implILb0ES3_S5_NS0_18transform_iteratorINS0_17counting_iteratorImlEEZNS1_24adjacent_difference_implIS3_Lb1ELb0EPlSB_ZN2at6native12_GLOBAL__N_124unique_dim_cuda_templateIdEESt5tupleIJNSC_6TensorESH_SH_EERKSH_lbbbEUlllE1_EE10hipError_tPvRmT2_T3_mT4_P12ihipStream_tbEUlmE_lEESB_NS0_8identityIvEEEESM_SP_SQ_mSR_ST_bEUlT_E_NS1_11comp_targetILNS1_3genE8ELNS1_11target_archE1030ELNS1_3gpuE2ELNS1_3repE0EEENS1_30default_config_static_selectorELNS0_4arch9wavefront6targetE1EEEvT1_
                                        ; -- End function
	.section	.AMDGPU.csdata,"",@progbits
; Kernel info:
; codeLenInByte = 0
; NumSgprs: 4
; NumVgprs: 0
; NumAgprs: 0
; TotalNumVgprs: 0
; ScratchSize: 0
; MemoryBound: 0
; FloatMode: 240
; IeeeMode: 1
; LDSByteSize: 0 bytes/workgroup (compile time only)
; SGPRBlocks: 0
; VGPRBlocks: 0
; NumSGPRsForWavesPerEU: 4
; NumVGPRsForWavesPerEU: 1
; AccumOffset: 4
; Occupancy: 8
; WaveLimiterHint : 0
; COMPUTE_PGM_RSRC2:SCRATCH_EN: 0
; COMPUTE_PGM_RSRC2:USER_SGPR: 6
; COMPUTE_PGM_RSRC2:TRAP_HANDLER: 0
; COMPUTE_PGM_RSRC2:TGID_X_EN: 1
; COMPUTE_PGM_RSRC2:TGID_Y_EN: 0
; COMPUTE_PGM_RSRC2:TGID_Z_EN: 0
; COMPUTE_PGM_RSRC2:TIDIG_COMP_CNT: 0
; COMPUTE_PGM_RSRC3_GFX90A:ACCUM_OFFSET: 0
; COMPUTE_PGM_RSRC3_GFX90A:TG_SPLIT: 0
	.section	.text._ZN7rocprim17ROCPRIM_400000_NS6detail17trampoline_kernelINS0_14default_configENS1_35adjacent_difference_config_selectorILb1ElEEZNS1_24adjacent_difference_implIS3_Lb1ELb0EPlS7_ZN2at6native12_GLOBAL__N_124unique_dim_cuda_templateIdEESt5tupleIJNS8_6TensorESD_SD_EERKSD_lbbbEUlllE1_EE10hipError_tPvRmT2_T3_mT4_P12ihipStream_tbEUlT_E_NS1_11comp_targetILNS1_3genE0ELNS1_11target_archE4294967295ELNS1_3gpuE0ELNS1_3repE0EEENS1_30default_config_static_selectorELNS0_4arch9wavefront6targetE1EEEvT1_,"axG",@progbits,_ZN7rocprim17ROCPRIM_400000_NS6detail17trampoline_kernelINS0_14default_configENS1_35adjacent_difference_config_selectorILb1ElEEZNS1_24adjacent_difference_implIS3_Lb1ELb0EPlS7_ZN2at6native12_GLOBAL__N_124unique_dim_cuda_templateIdEESt5tupleIJNS8_6TensorESD_SD_EERKSD_lbbbEUlllE1_EE10hipError_tPvRmT2_T3_mT4_P12ihipStream_tbEUlT_E_NS1_11comp_targetILNS1_3genE0ELNS1_11target_archE4294967295ELNS1_3gpuE0ELNS1_3repE0EEENS1_30default_config_static_selectorELNS0_4arch9wavefront6targetE1EEEvT1_,comdat
	.globl	_ZN7rocprim17ROCPRIM_400000_NS6detail17trampoline_kernelINS0_14default_configENS1_35adjacent_difference_config_selectorILb1ElEEZNS1_24adjacent_difference_implIS3_Lb1ELb0EPlS7_ZN2at6native12_GLOBAL__N_124unique_dim_cuda_templateIdEESt5tupleIJNS8_6TensorESD_SD_EERKSD_lbbbEUlllE1_EE10hipError_tPvRmT2_T3_mT4_P12ihipStream_tbEUlT_E_NS1_11comp_targetILNS1_3genE0ELNS1_11target_archE4294967295ELNS1_3gpuE0ELNS1_3repE0EEENS1_30default_config_static_selectorELNS0_4arch9wavefront6targetE1EEEvT1_ ; -- Begin function _ZN7rocprim17ROCPRIM_400000_NS6detail17trampoline_kernelINS0_14default_configENS1_35adjacent_difference_config_selectorILb1ElEEZNS1_24adjacent_difference_implIS3_Lb1ELb0EPlS7_ZN2at6native12_GLOBAL__N_124unique_dim_cuda_templateIdEESt5tupleIJNS8_6TensorESD_SD_EERKSD_lbbbEUlllE1_EE10hipError_tPvRmT2_T3_mT4_P12ihipStream_tbEUlT_E_NS1_11comp_targetILNS1_3genE0ELNS1_11target_archE4294967295ELNS1_3gpuE0ELNS1_3repE0EEENS1_30default_config_static_selectorELNS0_4arch9wavefront6targetE1EEEvT1_
	.p2align	8
	.type	_ZN7rocprim17ROCPRIM_400000_NS6detail17trampoline_kernelINS0_14default_configENS1_35adjacent_difference_config_selectorILb1ElEEZNS1_24adjacent_difference_implIS3_Lb1ELb0EPlS7_ZN2at6native12_GLOBAL__N_124unique_dim_cuda_templateIdEESt5tupleIJNS8_6TensorESD_SD_EERKSD_lbbbEUlllE1_EE10hipError_tPvRmT2_T3_mT4_P12ihipStream_tbEUlT_E_NS1_11comp_targetILNS1_3genE0ELNS1_11target_archE4294967295ELNS1_3gpuE0ELNS1_3repE0EEENS1_30default_config_static_selectorELNS0_4arch9wavefront6targetE1EEEvT1_,@function
_ZN7rocprim17ROCPRIM_400000_NS6detail17trampoline_kernelINS0_14default_configENS1_35adjacent_difference_config_selectorILb1ElEEZNS1_24adjacent_difference_implIS3_Lb1ELb0EPlS7_ZN2at6native12_GLOBAL__N_124unique_dim_cuda_templateIdEESt5tupleIJNS8_6TensorESD_SD_EERKSD_lbbbEUlllE1_EE10hipError_tPvRmT2_T3_mT4_P12ihipStream_tbEUlT_E_NS1_11comp_targetILNS1_3genE0ELNS1_11target_archE4294967295ELNS1_3gpuE0ELNS1_3repE0EEENS1_30default_config_static_selectorELNS0_4arch9wavefront6targetE1EEEvT1_: ; @_ZN7rocprim17ROCPRIM_400000_NS6detail17trampoline_kernelINS0_14default_configENS1_35adjacent_difference_config_selectorILb1ElEEZNS1_24adjacent_difference_implIS3_Lb1ELb0EPlS7_ZN2at6native12_GLOBAL__N_124unique_dim_cuda_templateIdEESt5tupleIJNS8_6TensorESD_SD_EERKSD_lbbbEUlllE1_EE10hipError_tPvRmT2_T3_mT4_P12ihipStream_tbEUlT_E_NS1_11comp_targetILNS1_3genE0ELNS1_11target_archE4294967295ELNS1_3gpuE0ELNS1_3repE0EEENS1_30default_config_static_selectorELNS0_4arch9wavefront6targetE1EEEvT1_
; %bb.0:
	.section	.rodata,"a",@progbits
	.p2align	6, 0x0
	.amdhsa_kernel _ZN7rocprim17ROCPRIM_400000_NS6detail17trampoline_kernelINS0_14default_configENS1_35adjacent_difference_config_selectorILb1ElEEZNS1_24adjacent_difference_implIS3_Lb1ELb0EPlS7_ZN2at6native12_GLOBAL__N_124unique_dim_cuda_templateIdEESt5tupleIJNS8_6TensorESD_SD_EERKSD_lbbbEUlllE1_EE10hipError_tPvRmT2_T3_mT4_P12ihipStream_tbEUlT_E_NS1_11comp_targetILNS1_3genE0ELNS1_11target_archE4294967295ELNS1_3gpuE0ELNS1_3repE0EEENS1_30default_config_static_selectorELNS0_4arch9wavefront6targetE1EEEvT1_
		.amdhsa_group_segment_fixed_size 0
		.amdhsa_private_segment_fixed_size 0
		.amdhsa_kernarg_size 64
		.amdhsa_user_sgpr_count 6
		.amdhsa_user_sgpr_private_segment_buffer 1
		.amdhsa_user_sgpr_dispatch_ptr 0
		.amdhsa_user_sgpr_queue_ptr 0
		.amdhsa_user_sgpr_kernarg_segment_ptr 1
		.amdhsa_user_sgpr_dispatch_id 0
		.amdhsa_user_sgpr_flat_scratch_init 0
		.amdhsa_user_sgpr_kernarg_preload_length 0
		.amdhsa_user_sgpr_kernarg_preload_offset 0
		.amdhsa_user_sgpr_private_segment_size 0
		.amdhsa_uses_dynamic_stack 0
		.amdhsa_system_sgpr_private_segment_wavefront_offset 0
		.amdhsa_system_sgpr_workgroup_id_x 1
		.amdhsa_system_sgpr_workgroup_id_y 0
		.amdhsa_system_sgpr_workgroup_id_z 0
		.amdhsa_system_sgpr_workgroup_info 0
		.amdhsa_system_vgpr_workitem_id 0
		.amdhsa_next_free_vgpr 1
		.amdhsa_next_free_sgpr 0
		.amdhsa_accum_offset 4
		.amdhsa_reserve_vcc 0
		.amdhsa_reserve_flat_scratch 0
		.amdhsa_float_round_mode_32 0
		.amdhsa_float_round_mode_16_64 0
		.amdhsa_float_denorm_mode_32 3
		.amdhsa_float_denorm_mode_16_64 3
		.amdhsa_dx10_clamp 1
		.amdhsa_ieee_mode 1
		.amdhsa_fp16_overflow 0
		.amdhsa_tg_split 0
		.amdhsa_exception_fp_ieee_invalid_op 0
		.amdhsa_exception_fp_denorm_src 0
		.amdhsa_exception_fp_ieee_div_zero 0
		.amdhsa_exception_fp_ieee_overflow 0
		.amdhsa_exception_fp_ieee_underflow 0
		.amdhsa_exception_fp_ieee_inexact 0
		.amdhsa_exception_int_div_zero 0
	.end_amdhsa_kernel
	.section	.text._ZN7rocprim17ROCPRIM_400000_NS6detail17trampoline_kernelINS0_14default_configENS1_35adjacent_difference_config_selectorILb1ElEEZNS1_24adjacent_difference_implIS3_Lb1ELb0EPlS7_ZN2at6native12_GLOBAL__N_124unique_dim_cuda_templateIdEESt5tupleIJNS8_6TensorESD_SD_EERKSD_lbbbEUlllE1_EE10hipError_tPvRmT2_T3_mT4_P12ihipStream_tbEUlT_E_NS1_11comp_targetILNS1_3genE0ELNS1_11target_archE4294967295ELNS1_3gpuE0ELNS1_3repE0EEENS1_30default_config_static_selectorELNS0_4arch9wavefront6targetE1EEEvT1_,"axG",@progbits,_ZN7rocprim17ROCPRIM_400000_NS6detail17trampoline_kernelINS0_14default_configENS1_35adjacent_difference_config_selectorILb1ElEEZNS1_24adjacent_difference_implIS3_Lb1ELb0EPlS7_ZN2at6native12_GLOBAL__N_124unique_dim_cuda_templateIdEESt5tupleIJNS8_6TensorESD_SD_EERKSD_lbbbEUlllE1_EE10hipError_tPvRmT2_T3_mT4_P12ihipStream_tbEUlT_E_NS1_11comp_targetILNS1_3genE0ELNS1_11target_archE4294967295ELNS1_3gpuE0ELNS1_3repE0EEENS1_30default_config_static_selectorELNS0_4arch9wavefront6targetE1EEEvT1_,comdat
.Lfunc_end799:
	.size	_ZN7rocprim17ROCPRIM_400000_NS6detail17trampoline_kernelINS0_14default_configENS1_35adjacent_difference_config_selectorILb1ElEEZNS1_24adjacent_difference_implIS3_Lb1ELb0EPlS7_ZN2at6native12_GLOBAL__N_124unique_dim_cuda_templateIdEESt5tupleIJNS8_6TensorESD_SD_EERKSD_lbbbEUlllE1_EE10hipError_tPvRmT2_T3_mT4_P12ihipStream_tbEUlT_E_NS1_11comp_targetILNS1_3genE0ELNS1_11target_archE4294967295ELNS1_3gpuE0ELNS1_3repE0EEENS1_30default_config_static_selectorELNS0_4arch9wavefront6targetE1EEEvT1_, .Lfunc_end799-_ZN7rocprim17ROCPRIM_400000_NS6detail17trampoline_kernelINS0_14default_configENS1_35adjacent_difference_config_selectorILb1ElEEZNS1_24adjacent_difference_implIS3_Lb1ELb0EPlS7_ZN2at6native12_GLOBAL__N_124unique_dim_cuda_templateIdEESt5tupleIJNS8_6TensorESD_SD_EERKSD_lbbbEUlllE1_EE10hipError_tPvRmT2_T3_mT4_P12ihipStream_tbEUlT_E_NS1_11comp_targetILNS1_3genE0ELNS1_11target_archE4294967295ELNS1_3gpuE0ELNS1_3repE0EEENS1_30default_config_static_selectorELNS0_4arch9wavefront6targetE1EEEvT1_
                                        ; -- End function
	.section	.AMDGPU.csdata,"",@progbits
; Kernel info:
; codeLenInByte = 0
; NumSgprs: 4
; NumVgprs: 0
; NumAgprs: 0
; TotalNumVgprs: 0
; ScratchSize: 0
; MemoryBound: 0
; FloatMode: 240
; IeeeMode: 1
; LDSByteSize: 0 bytes/workgroup (compile time only)
; SGPRBlocks: 0
; VGPRBlocks: 0
; NumSGPRsForWavesPerEU: 4
; NumVGPRsForWavesPerEU: 1
; AccumOffset: 4
; Occupancy: 8
; WaveLimiterHint : 0
; COMPUTE_PGM_RSRC2:SCRATCH_EN: 0
; COMPUTE_PGM_RSRC2:USER_SGPR: 6
; COMPUTE_PGM_RSRC2:TRAP_HANDLER: 0
; COMPUTE_PGM_RSRC2:TGID_X_EN: 1
; COMPUTE_PGM_RSRC2:TGID_Y_EN: 0
; COMPUTE_PGM_RSRC2:TGID_Z_EN: 0
; COMPUTE_PGM_RSRC2:TIDIG_COMP_CNT: 0
; COMPUTE_PGM_RSRC3_GFX90A:ACCUM_OFFSET: 0
; COMPUTE_PGM_RSRC3_GFX90A:TG_SPLIT: 0
	.section	.text._ZN7rocprim17ROCPRIM_400000_NS6detail17trampoline_kernelINS0_14default_configENS1_35adjacent_difference_config_selectorILb1ElEEZNS1_24adjacent_difference_implIS3_Lb1ELb0EPlS7_ZN2at6native12_GLOBAL__N_124unique_dim_cuda_templateIdEESt5tupleIJNS8_6TensorESD_SD_EERKSD_lbbbEUlllE1_EE10hipError_tPvRmT2_T3_mT4_P12ihipStream_tbEUlT_E_NS1_11comp_targetILNS1_3genE10ELNS1_11target_archE1201ELNS1_3gpuE5ELNS1_3repE0EEENS1_30default_config_static_selectorELNS0_4arch9wavefront6targetE1EEEvT1_,"axG",@progbits,_ZN7rocprim17ROCPRIM_400000_NS6detail17trampoline_kernelINS0_14default_configENS1_35adjacent_difference_config_selectorILb1ElEEZNS1_24adjacent_difference_implIS3_Lb1ELb0EPlS7_ZN2at6native12_GLOBAL__N_124unique_dim_cuda_templateIdEESt5tupleIJNS8_6TensorESD_SD_EERKSD_lbbbEUlllE1_EE10hipError_tPvRmT2_T3_mT4_P12ihipStream_tbEUlT_E_NS1_11comp_targetILNS1_3genE10ELNS1_11target_archE1201ELNS1_3gpuE5ELNS1_3repE0EEENS1_30default_config_static_selectorELNS0_4arch9wavefront6targetE1EEEvT1_,comdat
	.globl	_ZN7rocprim17ROCPRIM_400000_NS6detail17trampoline_kernelINS0_14default_configENS1_35adjacent_difference_config_selectorILb1ElEEZNS1_24adjacent_difference_implIS3_Lb1ELb0EPlS7_ZN2at6native12_GLOBAL__N_124unique_dim_cuda_templateIdEESt5tupleIJNS8_6TensorESD_SD_EERKSD_lbbbEUlllE1_EE10hipError_tPvRmT2_T3_mT4_P12ihipStream_tbEUlT_E_NS1_11comp_targetILNS1_3genE10ELNS1_11target_archE1201ELNS1_3gpuE5ELNS1_3repE0EEENS1_30default_config_static_selectorELNS0_4arch9wavefront6targetE1EEEvT1_ ; -- Begin function _ZN7rocprim17ROCPRIM_400000_NS6detail17trampoline_kernelINS0_14default_configENS1_35adjacent_difference_config_selectorILb1ElEEZNS1_24adjacent_difference_implIS3_Lb1ELb0EPlS7_ZN2at6native12_GLOBAL__N_124unique_dim_cuda_templateIdEESt5tupleIJNS8_6TensorESD_SD_EERKSD_lbbbEUlllE1_EE10hipError_tPvRmT2_T3_mT4_P12ihipStream_tbEUlT_E_NS1_11comp_targetILNS1_3genE10ELNS1_11target_archE1201ELNS1_3gpuE5ELNS1_3repE0EEENS1_30default_config_static_selectorELNS0_4arch9wavefront6targetE1EEEvT1_
	.p2align	8
	.type	_ZN7rocprim17ROCPRIM_400000_NS6detail17trampoline_kernelINS0_14default_configENS1_35adjacent_difference_config_selectorILb1ElEEZNS1_24adjacent_difference_implIS3_Lb1ELb0EPlS7_ZN2at6native12_GLOBAL__N_124unique_dim_cuda_templateIdEESt5tupleIJNS8_6TensorESD_SD_EERKSD_lbbbEUlllE1_EE10hipError_tPvRmT2_T3_mT4_P12ihipStream_tbEUlT_E_NS1_11comp_targetILNS1_3genE10ELNS1_11target_archE1201ELNS1_3gpuE5ELNS1_3repE0EEENS1_30default_config_static_selectorELNS0_4arch9wavefront6targetE1EEEvT1_,@function
_ZN7rocprim17ROCPRIM_400000_NS6detail17trampoline_kernelINS0_14default_configENS1_35adjacent_difference_config_selectorILb1ElEEZNS1_24adjacent_difference_implIS3_Lb1ELb0EPlS7_ZN2at6native12_GLOBAL__N_124unique_dim_cuda_templateIdEESt5tupleIJNS8_6TensorESD_SD_EERKSD_lbbbEUlllE1_EE10hipError_tPvRmT2_T3_mT4_P12ihipStream_tbEUlT_E_NS1_11comp_targetILNS1_3genE10ELNS1_11target_archE1201ELNS1_3gpuE5ELNS1_3repE0EEENS1_30default_config_static_selectorELNS0_4arch9wavefront6targetE1EEEvT1_: ; @_ZN7rocprim17ROCPRIM_400000_NS6detail17trampoline_kernelINS0_14default_configENS1_35adjacent_difference_config_selectorILb1ElEEZNS1_24adjacent_difference_implIS3_Lb1ELb0EPlS7_ZN2at6native12_GLOBAL__N_124unique_dim_cuda_templateIdEESt5tupleIJNS8_6TensorESD_SD_EERKSD_lbbbEUlllE1_EE10hipError_tPvRmT2_T3_mT4_P12ihipStream_tbEUlT_E_NS1_11comp_targetILNS1_3genE10ELNS1_11target_archE1201ELNS1_3gpuE5ELNS1_3repE0EEENS1_30default_config_static_selectorELNS0_4arch9wavefront6targetE1EEEvT1_
; %bb.0:
	.section	.rodata,"a",@progbits
	.p2align	6, 0x0
	.amdhsa_kernel _ZN7rocprim17ROCPRIM_400000_NS6detail17trampoline_kernelINS0_14default_configENS1_35adjacent_difference_config_selectorILb1ElEEZNS1_24adjacent_difference_implIS3_Lb1ELb0EPlS7_ZN2at6native12_GLOBAL__N_124unique_dim_cuda_templateIdEESt5tupleIJNS8_6TensorESD_SD_EERKSD_lbbbEUlllE1_EE10hipError_tPvRmT2_T3_mT4_P12ihipStream_tbEUlT_E_NS1_11comp_targetILNS1_3genE10ELNS1_11target_archE1201ELNS1_3gpuE5ELNS1_3repE0EEENS1_30default_config_static_selectorELNS0_4arch9wavefront6targetE1EEEvT1_
		.amdhsa_group_segment_fixed_size 0
		.amdhsa_private_segment_fixed_size 0
		.amdhsa_kernarg_size 64
		.amdhsa_user_sgpr_count 6
		.amdhsa_user_sgpr_private_segment_buffer 1
		.amdhsa_user_sgpr_dispatch_ptr 0
		.amdhsa_user_sgpr_queue_ptr 0
		.amdhsa_user_sgpr_kernarg_segment_ptr 1
		.amdhsa_user_sgpr_dispatch_id 0
		.amdhsa_user_sgpr_flat_scratch_init 0
		.amdhsa_user_sgpr_kernarg_preload_length 0
		.amdhsa_user_sgpr_kernarg_preload_offset 0
		.amdhsa_user_sgpr_private_segment_size 0
		.amdhsa_uses_dynamic_stack 0
		.amdhsa_system_sgpr_private_segment_wavefront_offset 0
		.amdhsa_system_sgpr_workgroup_id_x 1
		.amdhsa_system_sgpr_workgroup_id_y 0
		.amdhsa_system_sgpr_workgroup_id_z 0
		.amdhsa_system_sgpr_workgroup_info 0
		.amdhsa_system_vgpr_workitem_id 0
		.amdhsa_next_free_vgpr 1
		.amdhsa_next_free_sgpr 0
		.amdhsa_accum_offset 4
		.amdhsa_reserve_vcc 0
		.amdhsa_reserve_flat_scratch 0
		.amdhsa_float_round_mode_32 0
		.amdhsa_float_round_mode_16_64 0
		.amdhsa_float_denorm_mode_32 3
		.amdhsa_float_denorm_mode_16_64 3
		.amdhsa_dx10_clamp 1
		.amdhsa_ieee_mode 1
		.amdhsa_fp16_overflow 0
		.amdhsa_tg_split 0
		.amdhsa_exception_fp_ieee_invalid_op 0
		.amdhsa_exception_fp_denorm_src 0
		.amdhsa_exception_fp_ieee_div_zero 0
		.amdhsa_exception_fp_ieee_overflow 0
		.amdhsa_exception_fp_ieee_underflow 0
		.amdhsa_exception_fp_ieee_inexact 0
		.amdhsa_exception_int_div_zero 0
	.end_amdhsa_kernel
	.section	.text._ZN7rocprim17ROCPRIM_400000_NS6detail17trampoline_kernelINS0_14default_configENS1_35adjacent_difference_config_selectorILb1ElEEZNS1_24adjacent_difference_implIS3_Lb1ELb0EPlS7_ZN2at6native12_GLOBAL__N_124unique_dim_cuda_templateIdEESt5tupleIJNS8_6TensorESD_SD_EERKSD_lbbbEUlllE1_EE10hipError_tPvRmT2_T3_mT4_P12ihipStream_tbEUlT_E_NS1_11comp_targetILNS1_3genE10ELNS1_11target_archE1201ELNS1_3gpuE5ELNS1_3repE0EEENS1_30default_config_static_selectorELNS0_4arch9wavefront6targetE1EEEvT1_,"axG",@progbits,_ZN7rocprim17ROCPRIM_400000_NS6detail17trampoline_kernelINS0_14default_configENS1_35adjacent_difference_config_selectorILb1ElEEZNS1_24adjacent_difference_implIS3_Lb1ELb0EPlS7_ZN2at6native12_GLOBAL__N_124unique_dim_cuda_templateIdEESt5tupleIJNS8_6TensorESD_SD_EERKSD_lbbbEUlllE1_EE10hipError_tPvRmT2_T3_mT4_P12ihipStream_tbEUlT_E_NS1_11comp_targetILNS1_3genE10ELNS1_11target_archE1201ELNS1_3gpuE5ELNS1_3repE0EEENS1_30default_config_static_selectorELNS0_4arch9wavefront6targetE1EEEvT1_,comdat
.Lfunc_end800:
	.size	_ZN7rocprim17ROCPRIM_400000_NS6detail17trampoline_kernelINS0_14default_configENS1_35adjacent_difference_config_selectorILb1ElEEZNS1_24adjacent_difference_implIS3_Lb1ELb0EPlS7_ZN2at6native12_GLOBAL__N_124unique_dim_cuda_templateIdEESt5tupleIJNS8_6TensorESD_SD_EERKSD_lbbbEUlllE1_EE10hipError_tPvRmT2_T3_mT4_P12ihipStream_tbEUlT_E_NS1_11comp_targetILNS1_3genE10ELNS1_11target_archE1201ELNS1_3gpuE5ELNS1_3repE0EEENS1_30default_config_static_selectorELNS0_4arch9wavefront6targetE1EEEvT1_, .Lfunc_end800-_ZN7rocprim17ROCPRIM_400000_NS6detail17trampoline_kernelINS0_14default_configENS1_35adjacent_difference_config_selectorILb1ElEEZNS1_24adjacent_difference_implIS3_Lb1ELb0EPlS7_ZN2at6native12_GLOBAL__N_124unique_dim_cuda_templateIdEESt5tupleIJNS8_6TensorESD_SD_EERKSD_lbbbEUlllE1_EE10hipError_tPvRmT2_T3_mT4_P12ihipStream_tbEUlT_E_NS1_11comp_targetILNS1_3genE10ELNS1_11target_archE1201ELNS1_3gpuE5ELNS1_3repE0EEENS1_30default_config_static_selectorELNS0_4arch9wavefront6targetE1EEEvT1_
                                        ; -- End function
	.section	.AMDGPU.csdata,"",@progbits
; Kernel info:
; codeLenInByte = 0
; NumSgprs: 4
; NumVgprs: 0
; NumAgprs: 0
; TotalNumVgprs: 0
; ScratchSize: 0
; MemoryBound: 0
; FloatMode: 240
; IeeeMode: 1
; LDSByteSize: 0 bytes/workgroup (compile time only)
; SGPRBlocks: 0
; VGPRBlocks: 0
; NumSGPRsForWavesPerEU: 4
; NumVGPRsForWavesPerEU: 1
; AccumOffset: 4
; Occupancy: 8
; WaveLimiterHint : 0
; COMPUTE_PGM_RSRC2:SCRATCH_EN: 0
; COMPUTE_PGM_RSRC2:USER_SGPR: 6
; COMPUTE_PGM_RSRC2:TRAP_HANDLER: 0
; COMPUTE_PGM_RSRC2:TGID_X_EN: 1
; COMPUTE_PGM_RSRC2:TGID_Y_EN: 0
; COMPUTE_PGM_RSRC2:TGID_Z_EN: 0
; COMPUTE_PGM_RSRC2:TIDIG_COMP_CNT: 0
; COMPUTE_PGM_RSRC3_GFX90A:ACCUM_OFFSET: 0
; COMPUTE_PGM_RSRC3_GFX90A:TG_SPLIT: 0
	.section	.text._ZN7rocprim17ROCPRIM_400000_NS6detail17trampoline_kernelINS0_14default_configENS1_35adjacent_difference_config_selectorILb1ElEEZNS1_24adjacent_difference_implIS3_Lb1ELb0EPlS7_ZN2at6native12_GLOBAL__N_124unique_dim_cuda_templateIdEESt5tupleIJNS8_6TensorESD_SD_EERKSD_lbbbEUlllE1_EE10hipError_tPvRmT2_T3_mT4_P12ihipStream_tbEUlT_E_NS1_11comp_targetILNS1_3genE5ELNS1_11target_archE942ELNS1_3gpuE9ELNS1_3repE0EEENS1_30default_config_static_selectorELNS0_4arch9wavefront6targetE1EEEvT1_,"axG",@progbits,_ZN7rocprim17ROCPRIM_400000_NS6detail17trampoline_kernelINS0_14default_configENS1_35adjacent_difference_config_selectorILb1ElEEZNS1_24adjacent_difference_implIS3_Lb1ELb0EPlS7_ZN2at6native12_GLOBAL__N_124unique_dim_cuda_templateIdEESt5tupleIJNS8_6TensorESD_SD_EERKSD_lbbbEUlllE1_EE10hipError_tPvRmT2_T3_mT4_P12ihipStream_tbEUlT_E_NS1_11comp_targetILNS1_3genE5ELNS1_11target_archE942ELNS1_3gpuE9ELNS1_3repE0EEENS1_30default_config_static_selectorELNS0_4arch9wavefront6targetE1EEEvT1_,comdat
	.globl	_ZN7rocprim17ROCPRIM_400000_NS6detail17trampoline_kernelINS0_14default_configENS1_35adjacent_difference_config_selectorILb1ElEEZNS1_24adjacent_difference_implIS3_Lb1ELb0EPlS7_ZN2at6native12_GLOBAL__N_124unique_dim_cuda_templateIdEESt5tupleIJNS8_6TensorESD_SD_EERKSD_lbbbEUlllE1_EE10hipError_tPvRmT2_T3_mT4_P12ihipStream_tbEUlT_E_NS1_11comp_targetILNS1_3genE5ELNS1_11target_archE942ELNS1_3gpuE9ELNS1_3repE0EEENS1_30default_config_static_selectorELNS0_4arch9wavefront6targetE1EEEvT1_ ; -- Begin function _ZN7rocprim17ROCPRIM_400000_NS6detail17trampoline_kernelINS0_14default_configENS1_35adjacent_difference_config_selectorILb1ElEEZNS1_24adjacent_difference_implIS3_Lb1ELb0EPlS7_ZN2at6native12_GLOBAL__N_124unique_dim_cuda_templateIdEESt5tupleIJNS8_6TensorESD_SD_EERKSD_lbbbEUlllE1_EE10hipError_tPvRmT2_T3_mT4_P12ihipStream_tbEUlT_E_NS1_11comp_targetILNS1_3genE5ELNS1_11target_archE942ELNS1_3gpuE9ELNS1_3repE0EEENS1_30default_config_static_selectorELNS0_4arch9wavefront6targetE1EEEvT1_
	.p2align	8
	.type	_ZN7rocprim17ROCPRIM_400000_NS6detail17trampoline_kernelINS0_14default_configENS1_35adjacent_difference_config_selectorILb1ElEEZNS1_24adjacent_difference_implIS3_Lb1ELb0EPlS7_ZN2at6native12_GLOBAL__N_124unique_dim_cuda_templateIdEESt5tupleIJNS8_6TensorESD_SD_EERKSD_lbbbEUlllE1_EE10hipError_tPvRmT2_T3_mT4_P12ihipStream_tbEUlT_E_NS1_11comp_targetILNS1_3genE5ELNS1_11target_archE942ELNS1_3gpuE9ELNS1_3repE0EEENS1_30default_config_static_selectorELNS0_4arch9wavefront6targetE1EEEvT1_,@function
_ZN7rocprim17ROCPRIM_400000_NS6detail17trampoline_kernelINS0_14default_configENS1_35adjacent_difference_config_selectorILb1ElEEZNS1_24adjacent_difference_implIS3_Lb1ELb0EPlS7_ZN2at6native12_GLOBAL__N_124unique_dim_cuda_templateIdEESt5tupleIJNS8_6TensorESD_SD_EERKSD_lbbbEUlllE1_EE10hipError_tPvRmT2_T3_mT4_P12ihipStream_tbEUlT_E_NS1_11comp_targetILNS1_3genE5ELNS1_11target_archE942ELNS1_3gpuE9ELNS1_3repE0EEENS1_30default_config_static_selectorELNS0_4arch9wavefront6targetE1EEEvT1_: ; @_ZN7rocprim17ROCPRIM_400000_NS6detail17trampoline_kernelINS0_14default_configENS1_35adjacent_difference_config_selectorILb1ElEEZNS1_24adjacent_difference_implIS3_Lb1ELb0EPlS7_ZN2at6native12_GLOBAL__N_124unique_dim_cuda_templateIdEESt5tupleIJNS8_6TensorESD_SD_EERKSD_lbbbEUlllE1_EE10hipError_tPvRmT2_T3_mT4_P12ihipStream_tbEUlT_E_NS1_11comp_targetILNS1_3genE5ELNS1_11target_archE942ELNS1_3gpuE9ELNS1_3repE0EEENS1_30default_config_static_selectorELNS0_4arch9wavefront6targetE1EEEvT1_
; %bb.0:
	.section	.rodata,"a",@progbits
	.p2align	6, 0x0
	.amdhsa_kernel _ZN7rocprim17ROCPRIM_400000_NS6detail17trampoline_kernelINS0_14default_configENS1_35adjacent_difference_config_selectorILb1ElEEZNS1_24adjacent_difference_implIS3_Lb1ELb0EPlS7_ZN2at6native12_GLOBAL__N_124unique_dim_cuda_templateIdEESt5tupleIJNS8_6TensorESD_SD_EERKSD_lbbbEUlllE1_EE10hipError_tPvRmT2_T3_mT4_P12ihipStream_tbEUlT_E_NS1_11comp_targetILNS1_3genE5ELNS1_11target_archE942ELNS1_3gpuE9ELNS1_3repE0EEENS1_30default_config_static_selectorELNS0_4arch9wavefront6targetE1EEEvT1_
		.amdhsa_group_segment_fixed_size 0
		.amdhsa_private_segment_fixed_size 0
		.amdhsa_kernarg_size 64
		.amdhsa_user_sgpr_count 6
		.amdhsa_user_sgpr_private_segment_buffer 1
		.amdhsa_user_sgpr_dispatch_ptr 0
		.amdhsa_user_sgpr_queue_ptr 0
		.amdhsa_user_sgpr_kernarg_segment_ptr 1
		.amdhsa_user_sgpr_dispatch_id 0
		.amdhsa_user_sgpr_flat_scratch_init 0
		.amdhsa_user_sgpr_kernarg_preload_length 0
		.amdhsa_user_sgpr_kernarg_preload_offset 0
		.amdhsa_user_sgpr_private_segment_size 0
		.amdhsa_uses_dynamic_stack 0
		.amdhsa_system_sgpr_private_segment_wavefront_offset 0
		.amdhsa_system_sgpr_workgroup_id_x 1
		.amdhsa_system_sgpr_workgroup_id_y 0
		.amdhsa_system_sgpr_workgroup_id_z 0
		.amdhsa_system_sgpr_workgroup_info 0
		.amdhsa_system_vgpr_workitem_id 0
		.amdhsa_next_free_vgpr 1
		.amdhsa_next_free_sgpr 0
		.amdhsa_accum_offset 4
		.amdhsa_reserve_vcc 0
		.amdhsa_reserve_flat_scratch 0
		.amdhsa_float_round_mode_32 0
		.amdhsa_float_round_mode_16_64 0
		.amdhsa_float_denorm_mode_32 3
		.amdhsa_float_denorm_mode_16_64 3
		.amdhsa_dx10_clamp 1
		.amdhsa_ieee_mode 1
		.amdhsa_fp16_overflow 0
		.amdhsa_tg_split 0
		.amdhsa_exception_fp_ieee_invalid_op 0
		.amdhsa_exception_fp_denorm_src 0
		.amdhsa_exception_fp_ieee_div_zero 0
		.amdhsa_exception_fp_ieee_overflow 0
		.amdhsa_exception_fp_ieee_underflow 0
		.amdhsa_exception_fp_ieee_inexact 0
		.amdhsa_exception_int_div_zero 0
	.end_amdhsa_kernel
	.section	.text._ZN7rocprim17ROCPRIM_400000_NS6detail17trampoline_kernelINS0_14default_configENS1_35adjacent_difference_config_selectorILb1ElEEZNS1_24adjacent_difference_implIS3_Lb1ELb0EPlS7_ZN2at6native12_GLOBAL__N_124unique_dim_cuda_templateIdEESt5tupleIJNS8_6TensorESD_SD_EERKSD_lbbbEUlllE1_EE10hipError_tPvRmT2_T3_mT4_P12ihipStream_tbEUlT_E_NS1_11comp_targetILNS1_3genE5ELNS1_11target_archE942ELNS1_3gpuE9ELNS1_3repE0EEENS1_30default_config_static_selectorELNS0_4arch9wavefront6targetE1EEEvT1_,"axG",@progbits,_ZN7rocprim17ROCPRIM_400000_NS6detail17trampoline_kernelINS0_14default_configENS1_35adjacent_difference_config_selectorILb1ElEEZNS1_24adjacent_difference_implIS3_Lb1ELb0EPlS7_ZN2at6native12_GLOBAL__N_124unique_dim_cuda_templateIdEESt5tupleIJNS8_6TensorESD_SD_EERKSD_lbbbEUlllE1_EE10hipError_tPvRmT2_T3_mT4_P12ihipStream_tbEUlT_E_NS1_11comp_targetILNS1_3genE5ELNS1_11target_archE942ELNS1_3gpuE9ELNS1_3repE0EEENS1_30default_config_static_selectorELNS0_4arch9wavefront6targetE1EEEvT1_,comdat
.Lfunc_end801:
	.size	_ZN7rocprim17ROCPRIM_400000_NS6detail17trampoline_kernelINS0_14default_configENS1_35adjacent_difference_config_selectorILb1ElEEZNS1_24adjacent_difference_implIS3_Lb1ELb0EPlS7_ZN2at6native12_GLOBAL__N_124unique_dim_cuda_templateIdEESt5tupleIJNS8_6TensorESD_SD_EERKSD_lbbbEUlllE1_EE10hipError_tPvRmT2_T3_mT4_P12ihipStream_tbEUlT_E_NS1_11comp_targetILNS1_3genE5ELNS1_11target_archE942ELNS1_3gpuE9ELNS1_3repE0EEENS1_30default_config_static_selectorELNS0_4arch9wavefront6targetE1EEEvT1_, .Lfunc_end801-_ZN7rocprim17ROCPRIM_400000_NS6detail17trampoline_kernelINS0_14default_configENS1_35adjacent_difference_config_selectorILb1ElEEZNS1_24adjacent_difference_implIS3_Lb1ELb0EPlS7_ZN2at6native12_GLOBAL__N_124unique_dim_cuda_templateIdEESt5tupleIJNS8_6TensorESD_SD_EERKSD_lbbbEUlllE1_EE10hipError_tPvRmT2_T3_mT4_P12ihipStream_tbEUlT_E_NS1_11comp_targetILNS1_3genE5ELNS1_11target_archE942ELNS1_3gpuE9ELNS1_3repE0EEENS1_30default_config_static_selectorELNS0_4arch9wavefront6targetE1EEEvT1_
                                        ; -- End function
	.section	.AMDGPU.csdata,"",@progbits
; Kernel info:
; codeLenInByte = 0
; NumSgprs: 4
; NumVgprs: 0
; NumAgprs: 0
; TotalNumVgprs: 0
; ScratchSize: 0
; MemoryBound: 0
; FloatMode: 240
; IeeeMode: 1
; LDSByteSize: 0 bytes/workgroup (compile time only)
; SGPRBlocks: 0
; VGPRBlocks: 0
; NumSGPRsForWavesPerEU: 4
; NumVGPRsForWavesPerEU: 1
; AccumOffset: 4
; Occupancy: 8
; WaveLimiterHint : 0
; COMPUTE_PGM_RSRC2:SCRATCH_EN: 0
; COMPUTE_PGM_RSRC2:USER_SGPR: 6
; COMPUTE_PGM_RSRC2:TRAP_HANDLER: 0
; COMPUTE_PGM_RSRC2:TGID_X_EN: 1
; COMPUTE_PGM_RSRC2:TGID_Y_EN: 0
; COMPUTE_PGM_RSRC2:TGID_Z_EN: 0
; COMPUTE_PGM_RSRC2:TIDIG_COMP_CNT: 0
; COMPUTE_PGM_RSRC3_GFX90A:ACCUM_OFFSET: 0
; COMPUTE_PGM_RSRC3_GFX90A:TG_SPLIT: 0
	.section	.text._ZN7rocprim17ROCPRIM_400000_NS6detail17trampoline_kernelINS0_14default_configENS1_35adjacent_difference_config_selectorILb1ElEEZNS1_24adjacent_difference_implIS3_Lb1ELb0EPlS7_ZN2at6native12_GLOBAL__N_124unique_dim_cuda_templateIdEESt5tupleIJNS8_6TensorESD_SD_EERKSD_lbbbEUlllE1_EE10hipError_tPvRmT2_T3_mT4_P12ihipStream_tbEUlT_E_NS1_11comp_targetILNS1_3genE4ELNS1_11target_archE910ELNS1_3gpuE8ELNS1_3repE0EEENS1_30default_config_static_selectorELNS0_4arch9wavefront6targetE1EEEvT1_,"axG",@progbits,_ZN7rocprim17ROCPRIM_400000_NS6detail17trampoline_kernelINS0_14default_configENS1_35adjacent_difference_config_selectorILb1ElEEZNS1_24adjacent_difference_implIS3_Lb1ELb0EPlS7_ZN2at6native12_GLOBAL__N_124unique_dim_cuda_templateIdEESt5tupleIJNS8_6TensorESD_SD_EERKSD_lbbbEUlllE1_EE10hipError_tPvRmT2_T3_mT4_P12ihipStream_tbEUlT_E_NS1_11comp_targetILNS1_3genE4ELNS1_11target_archE910ELNS1_3gpuE8ELNS1_3repE0EEENS1_30default_config_static_selectorELNS0_4arch9wavefront6targetE1EEEvT1_,comdat
	.globl	_ZN7rocprim17ROCPRIM_400000_NS6detail17trampoline_kernelINS0_14default_configENS1_35adjacent_difference_config_selectorILb1ElEEZNS1_24adjacent_difference_implIS3_Lb1ELb0EPlS7_ZN2at6native12_GLOBAL__N_124unique_dim_cuda_templateIdEESt5tupleIJNS8_6TensorESD_SD_EERKSD_lbbbEUlllE1_EE10hipError_tPvRmT2_T3_mT4_P12ihipStream_tbEUlT_E_NS1_11comp_targetILNS1_3genE4ELNS1_11target_archE910ELNS1_3gpuE8ELNS1_3repE0EEENS1_30default_config_static_selectorELNS0_4arch9wavefront6targetE1EEEvT1_ ; -- Begin function _ZN7rocprim17ROCPRIM_400000_NS6detail17trampoline_kernelINS0_14default_configENS1_35adjacent_difference_config_selectorILb1ElEEZNS1_24adjacent_difference_implIS3_Lb1ELb0EPlS7_ZN2at6native12_GLOBAL__N_124unique_dim_cuda_templateIdEESt5tupleIJNS8_6TensorESD_SD_EERKSD_lbbbEUlllE1_EE10hipError_tPvRmT2_T3_mT4_P12ihipStream_tbEUlT_E_NS1_11comp_targetILNS1_3genE4ELNS1_11target_archE910ELNS1_3gpuE8ELNS1_3repE0EEENS1_30default_config_static_selectorELNS0_4arch9wavefront6targetE1EEEvT1_
	.p2align	8
	.type	_ZN7rocprim17ROCPRIM_400000_NS6detail17trampoline_kernelINS0_14default_configENS1_35adjacent_difference_config_selectorILb1ElEEZNS1_24adjacent_difference_implIS3_Lb1ELb0EPlS7_ZN2at6native12_GLOBAL__N_124unique_dim_cuda_templateIdEESt5tupleIJNS8_6TensorESD_SD_EERKSD_lbbbEUlllE1_EE10hipError_tPvRmT2_T3_mT4_P12ihipStream_tbEUlT_E_NS1_11comp_targetILNS1_3genE4ELNS1_11target_archE910ELNS1_3gpuE8ELNS1_3repE0EEENS1_30default_config_static_selectorELNS0_4arch9wavefront6targetE1EEEvT1_,@function
_ZN7rocprim17ROCPRIM_400000_NS6detail17trampoline_kernelINS0_14default_configENS1_35adjacent_difference_config_selectorILb1ElEEZNS1_24adjacent_difference_implIS3_Lb1ELb0EPlS7_ZN2at6native12_GLOBAL__N_124unique_dim_cuda_templateIdEESt5tupleIJNS8_6TensorESD_SD_EERKSD_lbbbEUlllE1_EE10hipError_tPvRmT2_T3_mT4_P12ihipStream_tbEUlT_E_NS1_11comp_targetILNS1_3genE4ELNS1_11target_archE910ELNS1_3gpuE8ELNS1_3repE0EEENS1_30default_config_static_selectorELNS0_4arch9wavefront6targetE1EEEvT1_: ; @_ZN7rocprim17ROCPRIM_400000_NS6detail17trampoline_kernelINS0_14default_configENS1_35adjacent_difference_config_selectorILb1ElEEZNS1_24adjacent_difference_implIS3_Lb1ELb0EPlS7_ZN2at6native12_GLOBAL__N_124unique_dim_cuda_templateIdEESt5tupleIJNS8_6TensorESD_SD_EERKSD_lbbbEUlllE1_EE10hipError_tPvRmT2_T3_mT4_P12ihipStream_tbEUlT_E_NS1_11comp_targetILNS1_3genE4ELNS1_11target_archE910ELNS1_3gpuE8ELNS1_3repE0EEENS1_30default_config_static_selectorELNS0_4arch9wavefront6targetE1EEEvT1_
; %bb.0:
	s_load_dwordx16 s[8:23], s[4:5], 0x0
	s_mov_b32 s3, 0
	s_waitcnt lgkmcnt(0)
	s_lshl_b64 s[10:11], s[10:11], 3
	s_add_u32 s30, s8, s10
	s_addc_u32 s31, s9, s11
	s_lshl_b32 s8, s6, 10
	s_lshr_b64 s[0:1], s[14:15], 10
	s_and_b32 s2, s14, 0x3ff
	s_cmp_lg_u64 s[2:3], 0
	s_cselect_b64 s[4:5], -1, 0
	v_cndmask_b32_e64 v1, 0, 1, s[4:5]
	v_readfirstlane_b32 s2, v1
	s_add_u32 s26, s0, s2
	s_addc_u32 s27, s1, 0
	s_add_u32 s28, s22, s6
	s_addc_u32 s29, s23, 0
	s_mov_b32 s2, s6
	s_add_u32 s6, s26, -1
	s_addc_u32 s7, s27, -1
	v_pk_mov_b32 v[2:3], s[6:7], s[6:7] op_sel:[0,1]
	v_cmp_ge_u64_e64 s[0:1], s[28:29], v[2:3]
	s_mov_b64 s[4:5], -1
	s_and_b64 vcc, exec, s[0:1]
	s_cbranch_vccz .LBB802_6
; %bb.1:
	s_lshl_b32 s4, s6, 10
	s_mov_b32 s9, s3
	s_sub_i32 s15, s14, s4
	s_lshl_b64 s[4:5], s[8:9], 3
	s_add_u32 s4, s30, s4
	s_addc_u32 s5, s31, s5
	v_cmp_gt_u32_e32 vcc, s15, v0
                                        ; implicit-def: $vgpr2_vgpr3_vgpr4_vgpr5
	s_and_saveexec_b64 s[24:25], vcc
	s_cbranch_execz .LBB802_3
; %bb.2:
	v_lshlrev_b32_e32 v1, 3, v0
	global_load_dwordx2 v[2:3], v1, s[4:5]
.LBB802_3:
	s_or_b64 exec, exec, s[24:25]
	v_or_b32_e32 v1, 0x200, v0
	v_cmp_gt_u32_e32 vcc, s15, v1
	s_and_saveexec_b64 s[24:25], vcc
	s_cbranch_execz .LBB802_5
; %bb.4:
	v_lshlrev_b32_e32 v4, 3, v1
	global_load_dwordx2 v[4:5], v4, s[4:5]
.LBB802_5:
	s_or_b64 exec, exec, s[24:25]
	v_lshrrev_b32_e32 v6, 2, v0
	v_lshrrev_b32_e32 v1, 2, v1
	v_and_b32_e32 v6, 0x78, v6
	v_lshlrev_b32_e32 v7, 3, v0
	v_and_b32_e32 v1, 0xf8, v1
	v_add_u32_e32 v6, v6, v7
	v_add_u32_e32 v1, v1, v7
	s_mov_b64 s[4:5], 0
	s_waitcnt vmcnt(0)
	ds_write_b64 v6, v[2:3]
	ds_write_b64 v1, v[4:5] offset:4096
	s_waitcnt lgkmcnt(0)
	s_barrier
.LBB802_6:
	s_and_b64 vcc, exec, s[4:5]
	v_lshlrev_b32_e32 v1, 3, v0
	s_cbranch_vccz .LBB802_8
; %bb.7:
	s_mov_b32 s9, 0
	s_lshl_b64 s[4:5], s[8:9], 3
	s_add_u32 s4, s30, s4
	s_addc_u32 s5, s31, s5
	v_mov_b32_e32 v2, s5
	v_add_co_u32_e32 v3, vcc, s4, v1
	v_addc_co_u32_e32 v4, vcc, 0, v2, vcc
	v_add_co_u32_e32 v2, vcc, 0x1000, v3
	v_addc_co_u32_e32 v3, vcc, 0, v4, vcc
	global_load_dwordx2 v[4:5], v1, s[4:5]
	global_load_dwordx2 v[6:7], v[2:3], off
	v_lshrrev_b32_e32 v2, 2, v0
	v_or_b32_e32 v3, 0x200, v0
	v_and_b32_e32 v2, 0x78, v2
	v_lshrrev_b32_e32 v3, 2, v3
	v_add_u32_e32 v2, v2, v1
	v_and_b32_e32 v3, 0xf8, v3
	v_add_u32_e32 v3, v3, v1
	s_waitcnt vmcnt(1)
	ds_write_b64 v2, v[4:5]
	s_waitcnt vmcnt(0)
	ds_write_b64 v3, v[6:7] offset:4096
	s_waitcnt lgkmcnt(0)
	s_barrier
.LBB802_8:
	v_lshlrev_b32_e32 v2, 1, v0
	v_lshrrev_b32_e32 v3, 4, v0
	v_add_lshl_u32 v2, v3, v2, 3
	ds_read2_b64 v[2:5], v2 offset1:1
	s_cmp_eq_u64 s[28:29], 0
	s_mov_b64 s[24:25], 0
	s_waitcnt lgkmcnt(0)
	s_barrier
	s_cbranch_scc1 .LBB802_17
; %bb.9:
	s_lshl_b64 s[4:5], s[22:23], 3
	s_add_u32 s4, s20, s4
	s_addc_u32 s5, s21, s5
	s_lshl_b64 s[2:3], s[2:3], 3
	s_add_u32 s2, s4, s2
	s_addc_u32 s3, s5, s3
	s_add_u32 s2, s2, -8
	s_addc_u32 s3, s3, -1
	s_load_dwordx2 s[20:21], s[2:3], 0x0
	s_cmp_lg_u64 s[28:29], s[6:7]
	s_cbranch_scc0 .LBB802_18
; %bb.10:
	v_cmp_lt_i64_e64 s[2:3], s[16:17], 1
	v_pk_mov_b32 v[8:9], 0, 0
	v_cmp_gt_i64_e64 s[22:23], s[16:17], 0
	s_and_b64 vcc, exec, s[2:3]
	ds_write_b64 v1, v[4:5]
	s_cbranch_vccnz .LBB802_21
; %bb.11:
	v_mul_lo_u32 v8, v5, s16
	v_mul_lo_u32 v9, v4, s17
	v_mad_u64_u32 v[6:7], s[2:3], v4, s16, 0
	v_add3_u32 v7, v7, v9, v8
	v_mul_lo_u32 v10, v3, s16
	v_mul_lo_u32 v11, v2, s17
	v_mad_u64_u32 v[8:9], s[2:3], v2, s16, 0
	v_add3_u32 v9, v9, v11, v10
	v_lshlrev_b64 v[10:11], 3, v[6:7]
	v_mov_b32_e32 v6, s19
	v_add_co_u32_e32 v12, vcc, s18, v10
	v_addc_co_u32_e64 v13, s[2:3], v6, v11, vcc
	v_lshlrev_b64 v[6:7], 3, v[8:9]
	v_mov_b32_e32 v8, s19
	v_add_co_u32_e64 v14, s[2:3], s18, v6
	v_addc_co_u32_e64 v15, s[4:5], v8, v7, s[2:3]
	global_load_dwordx2 v[8:9], v[12:13], off
	global_load_dwordx2 v[16:17], v[14:15], off
	s_waitcnt vmcnt(0)
	v_cmp_eq_f64_e64 s[4:5], v[8:9], v[16:17]
	v_mov_b32_e32 v8, 1
	v_mov_b32_e32 v9, 0
	s_and_saveexec_b64 s[24:25], s[4:5]
	s_cbranch_execz .LBB802_20
; %bb.12:
	v_mov_b32_e32 v6, s19
	v_addc_co_u32_e64 v7, s[2:3], v7, v6, s[2:3]
	v_add_co_u32_e64 v6, s[2:3], 8, v14
	v_mov_b32_e32 v8, s19
	v_addc_co_u32_e64 v7, s[2:3], 0, v7, s[2:3]
	v_addc_co_u32_e32 v9, vcc, v11, v8, vcc
	v_add_co_u32_e32 v8, vcc, 8, v12
	s_add_u32 s2, s16, -1
	v_addc_co_u32_e32 v9, vcc, 0, v9, vcc
	s_addc_u32 s3, s17, -1
	s_mov_b64 s[4:5], 0
	s_mov_b64 s[34:35], 0
                                        ; implicit-def: $sgpr30_sgpr31
	s_branch .LBB802_15
.LBB802_13:                             ;   in Loop: Header=BB802_15 Depth=1
	global_load_dwordx2 v[10:11], v[8:9], off
	global_load_dwordx2 v[12:13], v[6:7], off
	v_add_co_u32_e32 v6, vcc, 8, v6
	v_addc_co_u32_e32 v7, vcc, 0, v7, vcc
	v_add_co_u32_e32 v8, vcc, 8, v8
	v_addc_co_u32_e32 v9, vcc, 0, v9, vcc
	s_add_u32 s34, s34, 1
	s_addc_u32 s35, s35, 0
	s_andn2_b64 s[30:31], s[30:31], exec
	s_waitcnt vmcnt(0)
	v_cmp_neq_f64_e32 vcc, v[10:11], v[12:13]
	s_and_b64 s[36:37], vcc, exec
	s_or_b64 s[30:31], s[30:31], s[36:37]
.LBB802_14:                             ;   in Loop: Header=BB802_15 Depth=1
	s_and_b64 s[36:37], exec, s[30:31]
	s_or_b64 s[4:5], s[36:37], s[4:5]
	v_pk_mov_b32 v[10:11], s[34:35], s[34:35] op_sel:[0,1]
	s_andn2_b64 exec, exec, s[4:5]
	s_cbranch_execz .LBB802_19
.LBB802_15:                             ; =>This Inner Loop Header: Depth=1
	s_or_b64 s[30:31], s[30:31], exec
	s_cmp_eq_u64 s[2:3], s[34:35]
	s_cbranch_scc0 .LBB802_13
; %bb.16:                               ;   in Loop: Header=BB802_15 Depth=1
                                        ; implicit-def: $vgpr6_vgpr7
                                        ; implicit-def: $vgpr8_vgpr9
	s_mov_b64 s[34:35], s[16:17]
	s_branch .LBB802_14
.LBB802_17:
                                        ; implicit-def: $sgpr22_sgpr23
                                        ; implicit-def: $vgpr8_vgpr9
	s_cbranch_execnz .LBB802_60
	s_branch .LBB802_108
.LBB802_18:
                                        ; implicit-def: $sgpr22_sgpr23
                                        ; implicit-def: $vgpr8_vgpr9
	s_cbranch_execnz .LBB802_33
	s_branch .LBB802_59
.LBB802_19:
	s_or_b64 exec, exec, s[4:5]
	v_cmp_gt_i64_e32 vcc, s[16:17], v[10:11]
	s_mov_b32 s2, 0
	v_cndmask_b32_e64 v8, 0, 1, vcc
	v_mov_b32_e32 v9, s2
.LBB802_20:
	s_or_b64 exec, exec, s[24:25]
.LBB802_21:
	v_cmp_ne_u32_e32 vcc, 0, v0
	s_waitcnt lgkmcnt(0)
	v_pk_mov_b32 v[6:7], s[20:21], s[20:21] op_sel:[0,1]
	s_barrier
	s_and_saveexec_b64 s[2:3], vcc
	s_cbranch_execz .LBB802_23
; %bb.22:
	v_add_u32_e32 v6, -8, v1
	ds_read_b64 v[6:7], v6
.LBB802_23:
	s_or_b64 exec, exec, s[2:3]
	s_mov_b64 s[30:31], 0
	s_andn2_b64 vcc, exec, s[22:23]
	s_mov_b64 s[22:23], 0
	s_cbranch_vccnz .LBB802_32
; %bb.24:
	v_mul_lo_u32 v12, v3, s16
	v_mul_lo_u32 v13, v2, s17
	v_mad_u64_u32 v[10:11], s[2:3], v2, s16, 0
	v_add3_u32 v11, v11, v13, v12
	s_waitcnt lgkmcnt(0)
	v_mul_lo_u32 v12, v7, s16
	v_mul_lo_u32 v13, v6, s17
	v_mad_u64_u32 v[6:7], s[2:3], v6, s16, 0
	v_lshlrev_b64 v[10:11], 3, v[10:11]
	v_add3_u32 v7, v7, v13, v12
	v_mov_b32_e32 v13, s19
	v_add_co_u32_e32 v12, vcc, s18, v10
	v_addc_co_u32_e64 v13, s[2:3], v13, v11, vcc
	v_lshlrev_b64 v[6:7], 3, v[6:7]
	v_mov_b32_e32 v10, s19
	v_add_co_u32_e64 v14, s[2:3], s18, v6
	v_addc_co_u32_e64 v15, s[4:5], v10, v7, s[2:3]
	global_load_dwordx2 v[16:17], v[12:13], off
	global_load_dwordx2 v[18:19], v[14:15], off
	s_mov_b64 s[22:23], -1
	s_waitcnt vmcnt(0)
	v_cmp_eq_f64_e64 s[4:5], v[16:17], v[18:19]
	s_and_saveexec_b64 s[24:25], s[4:5]
	s_cbranch_execz .LBB802_31
; %bb.25:
	v_mov_b32_e32 v6, s19
	v_addc_co_u32_e64 v7, s[2:3], v7, v6, s[2:3]
	v_add_co_u32_e64 v6, s[2:3], 8, v14
	v_mov_b32_e32 v10, s19
	v_addc_co_u32_e64 v7, s[2:3], 0, v7, s[2:3]
	v_addc_co_u32_e32 v11, vcc, v11, v10, vcc
	v_add_co_u32_e32 v10, vcc, 8, v12
	s_add_u32 s2, s16, -1
	v_addc_co_u32_e32 v11, vcc, 0, v11, vcc
	s_addc_u32 s3, s17, -1
	s_mov_b64 s[4:5], 0
	s_mov_b64 s[34:35], 0
                                        ; implicit-def: $sgpr22_sgpr23
	s_branch .LBB802_28
.LBB802_26:                             ;   in Loop: Header=BB802_28 Depth=1
	global_load_dwordx2 v[12:13], v[10:11], off
	global_load_dwordx2 v[14:15], v[6:7], off
	v_add_co_u32_e32 v6, vcc, 8, v6
	v_addc_co_u32_e32 v7, vcc, 0, v7, vcc
	v_add_co_u32_e32 v10, vcc, 8, v10
	v_addc_co_u32_e32 v11, vcc, 0, v11, vcc
	s_add_u32 s34, s34, 1
	s_addc_u32 s35, s35, 0
	s_andn2_b64 s[22:23], s[22:23], exec
	s_waitcnt vmcnt(0)
	v_cmp_neq_f64_e32 vcc, v[12:13], v[14:15]
	s_and_b64 s[36:37], vcc, exec
	s_or_b64 s[22:23], s[22:23], s[36:37]
.LBB802_27:                             ;   in Loop: Header=BB802_28 Depth=1
	s_and_b64 s[36:37], exec, s[22:23]
	s_or_b64 s[4:5], s[36:37], s[4:5]
	v_pk_mov_b32 v[12:13], s[34:35], s[34:35] op_sel:[0,1]
	s_andn2_b64 exec, exec, s[4:5]
	s_cbranch_execz .LBB802_30
.LBB802_28:                             ; =>This Inner Loop Header: Depth=1
	s_or_b64 s[22:23], s[22:23], exec
	s_cmp_eq_u64 s[2:3], s[34:35]
	s_cbranch_scc0 .LBB802_26
; %bb.29:                               ;   in Loop: Header=BB802_28 Depth=1
                                        ; implicit-def: $vgpr6_vgpr7
                                        ; implicit-def: $vgpr10_vgpr11
	s_mov_b64 s[34:35], s[16:17]
	s_branch .LBB802_27
.LBB802_30:
	s_or_b64 exec, exec, s[4:5]
	v_cmp_gt_i64_e32 vcc, s[16:17], v[12:13]
	s_orn2_b64 s[22:23], vcc, exec
.LBB802_31:
	s_or_b64 exec, exec, s[24:25]
.LBB802_32:
	s_mov_b64 s[24:25], -1
	s_and_b64 vcc, exec, s[30:31]
	s_cbranch_vccz .LBB802_59
.LBB802_33:
	s_lshl_b32 s2, s28, 10
	v_lshlrev_b32_e32 v16, 1, v0
	s_sub_i32 s7, s14, s2
	s_waitcnt lgkmcnt(0)
	v_or_b32_e32 v6, 1, v16
	v_cmp_gt_u32_e32 vcc, s7, v6
	v_pk_mov_b32 v[8:9], v[4:5], v[4:5] op_sel:[0,1]
	ds_write_b64 v1, v[4:5]
	v_pk_mov_b32 v[6:7], v[2:3], v[2:3] op_sel:[0,1]
	s_and_saveexec_b64 s[22:23], vcc
	s_cbranch_execz .LBB802_44
; %bb.34:
	v_cmp_lt_i64_e64 s[2:3], s[16:17], 1
	s_and_b64 vcc, exec, s[2:3]
	s_cbranch_vccnz .LBB802_41
; %bb.35:
	v_mul_lo_u32 v8, v5, s16
	v_mul_lo_u32 v9, v4, s17
	v_mad_u64_u32 v[6:7], s[2:3], v4, s16, 0
	v_add3_u32 v7, v7, v9, v8
	v_mul_lo_u32 v10, v3, s16
	v_mul_lo_u32 v11, v2, s17
	v_mad_u64_u32 v[8:9], s[2:3], v2, s16, 0
	v_add3_u32 v9, v9, v11, v10
	v_lshlrev_b64 v[10:11], 3, v[6:7]
	v_mov_b32_e32 v6, s19
	v_add_co_u32_e32 v12, vcc, s18, v10
	v_addc_co_u32_e64 v13, s[2:3], v6, v11, vcc
	v_lshlrev_b64 v[6:7], 3, v[8:9]
	v_mov_b32_e32 v8, s19
	v_add_co_u32_e64 v14, s[2:3], s18, v6
	v_addc_co_u32_e64 v15, s[4:5], v8, v7, s[2:3]
	global_load_dwordx2 v[8:9], v[12:13], off
	global_load_dwordx2 v[18:19], v[14:15], off
	s_waitcnt vmcnt(0)
	v_cmp_eq_f64_e64 s[4:5], v[8:9], v[18:19]
	v_mov_b32_e32 v8, 1
	v_mov_b32_e32 v9, 0
	s_and_saveexec_b64 s[28:29], s[4:5]
	s_cbranch_execz .LBB802_43
; %bb.36:
	v_mov_b32_e32 v6, s19
	v_addc_co_u32_e64 v7, s[2:3], v7, v6, s[2:3]
	v_add_co_u32_e64 v6, s[2:3], 8, v14
	v_mov_b32_e32 v8, s19
	v_addc_co_u32_e64 v7, s[2:3], 0, v7, s[2:3]
	v_addc_co_u32_e32 v9, vcc, v11, v8, vcc
	v_add_co_u32_e32 v8, vcc, 8, v12
	s_add_u32 s2, s16, -1
	v_addc_co_u32_e32 v9, vcc, 0, v9, vcc
	s_addc_u32 s3, s17, -1
	s_mov_b64 s[4:5], 0
	s_mov_b64 s[34:35], 0
                                        ; implicit-def: $sgpr30_sgpr31
	s_branch .LBB802_39
.LBB802_37:                             ;   in Loop: Header=BB802_39 Depth=1
	global_load_dwordx2 v[10:11], v[8:9], off
	global_load_dwordx2 v[12:13], v[6:7], off
	v_add_co_u32_e32 v6, vcc, 8, v6
	v_addc_co_u32_e32 v7, vcc, 0, v7, vcc
	v_add_co_u32_e32 v8, vcc, 8, v8
	v_addc_co_u32_e32 v9, vcc, 0, v9, vcc
	s_add_u32 s34, s34, 1
	s_addc_u32 s35, s35, 0
	s_andn2_b64 s[30:31], s[30:31], exec
	s_waitcnt vmcnt(0)
	v_cmp_neq_f64_e32 vcc, v[10:11], v[12:13]
	s_and_b64 s[36:37], vcc, exec
	s_or_b64 s[30:31], s[30:31], s[36:37]
.LBB802_38:                             ;   in Loop: Header=BB802_39 Depth=1
	s_and_b64 s[36:37], exec, s[30:31]
	s_or_b64 s[4:5], s[36:37], s[4:5]
	v_pk_mov_b32 v[10:11], s[34:35], s[34:35] op_sel:[0,1]
	s_andn2_b64 exec, exec, s[4:5]
	s_cbranch_execz .LBB802_42
.LBB802_39:                             ; =>This Inner Loop Header: Depth=1
	s_or_b64 s[30:31], s[30:31], exec
	s_cmp_eq_u64 s[2:3], s[34:35]
	s_cbranch_scc0 .LBB802_37
; %bb.40:                               ;   in Loop: Header=BB802_39 Depth=1
                                        ; implicit-def: $vgpr6_vgpr7
                                        ; implicit-def: $vgpr8_vgpr9
	s_mov_b64 s[34:35], s[16:17]
	s_branch .LBB802_38
.LBB802_41:
	v_pk_mov_b32 v[8:9], 0, 0
	s_branch .LBB802_44
.LBB802_42:
	s_or_b64 exec, exec, s[4:5]
	v_cmp_gt_i64_e32 vcc, s[16:17], v[10:11]
	s_mov_b32 s2, 0
	v_cndmask_b32_e64 v8, 0, 1, vcc
	v_mov_b32_e32 v9, s2
.LBB802_43:
	s_or_b64 exec, exec, s[28:29]
.LBB802_44:
	s_or_b64 exec, exec, s[22:23]
	v_cmp_ne_u32_e32 vcc, 0, v0
	v_pk_mov_b32 v[6:7], s[20:21], s[20:21] op_sel:[0,1]
	s_waitcnt lgkmcnt(0)
	s_barrier
	s_and_saveexec_b64 s[2:3], vcc
	s_cbranch_execz .LBB802_46
; %bb.45:
	v_add_u32_e32 v6, -8, v1
	ds_read_b64 v[6:7], v6
.LBB802_46:
	s_or_b64 exec, exec, s[2:3]
	v_cmp_gt_u32_e32 vcc, s7, v16
                                        ; implicit-def: $sgpr22_sgpr23
	s_and_saveexec_b64 s[20:21], vcc
	s_cbranch_execz .LBB802_58
; %bb.47:
	v_cmp_lt_i64_e64 s[2:3], s[16:17], 1
	s_and_b64 vcc, exec, s[2:3]
	s_cbranch_vccnz .LBB802_54
; %bb.48:
	v_mul_lo_u32 v12, v3, s16
	v_mul_lo_u32 v13, v2, s17
	v_mad_u64_u32 v[10:11], s[2:3], v2, s16, 0
	v_add3_u32 v11, v11, v13, v12
	s_waitcnt lgkmcnt(0)
	v_mul_lo_u32 v12, v7, s16
	v_mul_lo_u32 v13, v6, s17
	v_mad_u64_u32 v[6:7], s[2:3], v6, s16, 0
	v_lshlrev_b64 v[10:11], 3, v[10:11]
	v_add3_u32 v7, v7, v13, v12
	v_mov_b32_e32 v13, s19
	v_add_co_u32_e32 v12, vcc, s18, v10
	v_addc_co_u32_e64 v13, s[2:3], v13, v11, vcc
	v_lshlrev_b64 v[6:7], 3, v[6:7]
	v_mov_b32_e32 v10, s19
	v_add_co_u32_e64 v14, s[2:3], s18, v6
	v_addc_co_u32_e64 v15, s[4:5], v10, v7, s[2:3]
	global_load_dwordx2 v[16:17], v[12:13], off
	global_load_dwordx2 v[18:19], v[14:15], off
	s_mov_b64 s[28:29], -1
	s_waitcnt vmcnt(0)
	v_cmp_eq_f64_e64 s[4:5], v[16:17], v[18:19]
	s_and_saveexec_b64 s[22:23], s[4:5]
	s_cbranch_execz .LBB802_56
; %bb.49:
	v_mov_b32_e32 v6, s19
	v_addc_co_u32_e64 v7, s[2:3], v7, v6, s[2:3]
	v_add_co_u32_e64 v6, s[2:3], 8, v14
	v_mov_b32_e32 v10, s19
	v_addc_co_u32_e64 v7, s[2:3], 0, v7, s[2:3]
	v_addc_co_u32_e32 v11, vcc, v11, v10, vcc
	v_add_co_u32_e32 v10, vcc, 8, v12
	s_add_u32 s2, s16, -1
	v_addc_co_u32_e32 v11, vcc, 0, v11, vcc
	s_addc_u32 s3, s17, -1
	s_mov_b64 s[4:5], 0
	s_mov_b64 s[30:31], 0
                                        ; implicit-def: $sgpr28_sgpr29
	s_branch .LBB802_52
.LBB802_50:                             ;   in Loop: Header=BB802_52 Depth=1
	global_load_dwordx2 v[12:13], v[10:11], off
	global_load_dwordx2 v[14:15], v[6:7], off
	v_add_co_u32_e32 v6, vcc, 8, v6
	v_addc_co_u32_e32 v7, vcc, 0, v7, vcc
	v_add_co_u32_e32 v10, vcc, 8, v10
	v_addc_co_u32_e32 v11, vcc, 0, v11, vcc
	s_add_u32 s30, s30, 1
	s_addc_u32 s31, s31, 0
	s_andn2_b64 s[28:29], s[28:29], exec
	s_waitcnt vmcnt(0)
	v_cmp_neq_f64_e32 vcc, v[12:13], v[14:15]
	s_and_b64 s[34:35], vcc, exec
	s_or_b64 s[28:29], s[28:29], s[34:35]
.LBB802_51:                             ;   in Loop: Header=BB802_52 Depth=1
	s_and_b64 s[34:35], exec, s[28:29]
	s_or_b64 s[4:5], s[34:35], s[4:5]
	v_pk_mov_b32 v[12:13], s[30:31], s[30:31] op_sel:[0,1]
	s_andn2_b64 exec, exec, s[4:5]
	s_cbranch_execz .LBB802_55
.LBB802_52:                             ; =>This Inner Loop Header: Depth=1
	s_or_b64 s[28:29], s[28:29], exec
	s_cmp_eq_u64 s[2:3], s[30:31]
	s_cbranch_scc0 .LBB802_50
; %bb.53:                               ;   in Loop: Header=BB802_52 Depth=1
                                        ; implicit-def: $vgpr6_vgpr7
                                        ; implicit-def: $vgpr10_vgpr11
	s_mov_b64 s[30:31], s[16:17]
	s_branch .LBB802_51
.LBB802_54:
	s_mov_b64 s[28:29], 0
	s_branch .LBB802_57
.LBB802_55:
	s_or_b64 exec, exec, s[4:5]
	v_cmp_gt_i64_e32 vcc, s[16:17], v[12:13]
	s_orn2_b64 s[28:29], vcc, exec
.LBB802_56:
	s_or_b64 exec, exec, s[22:23]
.LBB802_57:
	s_and_b64 s[22:23], s[28:29], exec
	s_or_b64 s[24:25], s[24:25], exec
.LBB802_58:
	s_or_b64 exec, exec, s[20:21]
.LBB802_59:
	s_branch .LBB802_108
.LBB802_60:
	s_cmp_lg_u64 s[26:27], 1
	s_cbranch_scc0 .LBB802_68
; %bb.61:
	v_cmp_lt_i64_e64 s[2:3], s[16:17], 1
	v_pk_mov_b32 v[8:9], 0, 0
	v_cmp_gt_i64_e64 s[26:27], s[16:17], 0
	s_and_b64 vcc, exec, s[2:3]
	ds_write_b64 v1, v[4:5]
	s_cbranch_vccnz .LBB802_71
; %bb.62:
	v_mul_lo_u32 v8, v5, s16
	v_mul_lo_u32 v9, v4, s17
	s_waitcnt lgkmcnt(0)
	v_mad_u64_u32 v[6:7], s[2:3], v4, s16, 0
	v_add3_u32 v7, v7, v9, v8
	v_mul_lo_u32 v10, v3, s16
	v_mul_lo_u32 v11, v2, s17
	v_mad_u64_u32 v[8:9], s[2:3], v2, s16, 0
	v_add3_u32 v9, v9, v11, v10
	v_lshlrev_b64 v[10:11], 3, v[6:7]
	v_mov_b32_e32 v6, s19
	v_add_co_u32_e32 v12, vcc, s18, v10
	v_addc_co_u32_e64 v13, s[2:3], v6, v11, vcc
	v_lshlrev_b64 v[6:7], 3, v[8:9]
	v_mov_b32_e32 v8, s19
	v_add_co_u32_e64 v14, s[2:3], s18, v6
	v_addc_co_u32_e64 v15, s[4:5], v8, v7, s[2:3]
	global_load_dwordx2 v[8:9], v[12:13], off
	global_load_dwordx2 v[16:17], v[14:15], off
	s_waitcnt vmcnt(0)
	v_cmp_eq_f64_e64 s[4:5], v[8:9], v[16:17]
	v_mov_b32_e32 v8, 1
	v_mov_b32_e32 v9, 0
	s_and_saveexec_b64 s[20:21], s[4:5]
	s_cbranch_execz .LBB802_70
; %bb.63:
	v_mov_b32_e32 v6, s19
	v_addc_co_u32_e64 v7, s[2:3], v7, v6, s[2:3]
	v_add_co_u32_e64 v6, s[2:3], 8, v14
	v_mov_b32_e32 v8, s19
	v_addc_co_u32_e64 v7, s[2:3], 0, v7, s[2:3]
	v_addc_co_u32_e32 v9, vcc, v11, v8, vcc
	v_add_co_u32_e32 v8, vcc, 8, v12
	s_add_u32 s2, s16, -1
	v_addc_co_u32_e32 v9, vcc, 0, v9, vcc
	s_addc_u32 s3, s17, -1
	s_mov_b64 s[4:5], 0
	s_mov_b64 s[28:29], 0
                                        ; implicit-def: $sgpr22_sgpr23
	s_branch .LBB802_66
.LBB802_64:                             ;   in Loop: Header=BB802_66 Depth=1
	global_load_dwordx2 v[10:11], v[8:9], off
	global_load_dwordx2 v[12:13], v[6:7], off
	v_add_co_u32_e32 v6, vcc, 8, v6
	v_addc_co_u32_e32 v7, vcc, 0, v7, vcc
	v_add_co_u32_e32 v8, vcc, 8, v8
	v_addc_co_u32_e32 v9, vcc, 0, v9, vcc
	s_add_u32 s28, s28, 1
	s_addc_u32 s29, s29, 0
	s_andn2_b64 s[22:23], s[22:23], exec
	s_waitcnt vmcnt(0)
	v_cmp_neq_f64_e32 vcc, v[10:11], v[12:13]
	s_and_b64 s[30:31], vcc, exec
	s_or_b64 s[22:23], s[22:23], s[30:31]
.LBB802_65:                             ;   in Loop: Header=BB802_66 Depth=1
	s_and_b64 s[30:31], exec, s[22:23]
	s_or_b64 s[4:5], s[30:31], s[4:5]
	v_pk_mov_b32 v[10:11], s[28:29], s[28:29] op_sel:[0,1]
	s_andn2_b64 exec, exec, s[4:5]
	s_cbranch_execz .LBB802_69
.LBB802_66:                             ; =>This Inner Loop Header: Depth=1
	s_or_b64 s[22:23], s[22:23], exec
	s_cmp_eq_u64 s[2:3], s[28:29]
	s_cbranch_scc0 .LBB802_64
; %bb.67:                               ;   in Loop: Header=BB802_66 Depth=1
                                        ; implicit-def: $vgpr6_vgpr7
                                        ; implicit-def: $vgpr8_vgpr9
	s_mov_b64 s[28:29], s[16:17]
	s_branch .LBB802_65
.LBB802_68:
                                        ; implicit-def: $sgpr22_sgpr23
                                        ; implicit-def: $vgpr8_vgpr9
	s_cbranch_execnz .LBB802_84
	s_branch .LBB802_108
.LBB802_69:
	s_or_b64 exec, exec, s[4:5]
	v_cmp_gt_i64_e32 vcc, s[16:17], v[10:11]
	s_mov_b32 s2, 0
	v_cndmask_b32_e64 v8, 0, 1, vcc
	v_mov_b32_e32 v9, s2
.LBB802_70:
	s_or_b64 exec, exec, s[20:21]
.LBB802_71:
	v_cmp_ne_u32_e32 vcc, 0, v0
	s_waitcnt lgkmcnt(0)
	s_barrier
	s_waitcnt lgkmcnt(0)
                                        ; implicit-def: $sgpr22_sgpr23
	s_and_saveexec_b64 s[20:21], vcc
	s_cbranch_execz .LBB802_83
; %bb.72:
	s_andn2_b64 vcc, exec, s[26:27]
	s_cbranch_vccnz .LBB802_79
; %bb.73:
	v_add_u32_e32 v6, -8, v1
	ds_read_b64 v[6:7], v6
	v_mul_lo_u32 v12, v3, s16
	v_mul_lo_u32 v13, v2, s17
	v_mad_u64_u32 v[10:11], s[2:3], v2, s16, 0
	v_add3_u32 v11, v11, v13, v12
	s_waitcnt lgkmcnt(0)
	v_mul_lo_u32 v12, v7, s16
	v_mul_lo_u32 v13, v6, s17
	v_mad_u64_u32 v[6:7], s[2:3], v6, s16, 0
	v_lshlrev_b64 v[10:11], 3, v[10:11]
	v_add3_u32 v7, v7, v13, v12
	v_mov_b32_e32 v13, s19
	v_add_co_u32_e32 v12, vcc, s18, v10
	v_addc_co_u32_e64 v13, s[2:3], v13, v11, vcc
	v_lshlrev_b64 v[6:7], 3, v[6:7]
	v_mov_b32_e32 v10, s19
	v_add_co_u32_e64 v14, s[2:3], s18, v6
	v_addc_co_u32_e64 v15, s[4:5], v10, v7, s[2:3]
	global_load_dwordx2 v[16:17], v[12:13], off
	global_load_dwordx2 v[18:19], v[14:15], off
	s_mov_b64 s[26:27], -1
	s_waitcnt vmcnt(0)
	v_cmp_eq_f64_e64 s[4:5], v[16:17], v[18:19]
	s_and_saveexec_b64 s[22:23], s[4:5]
	s_cbranch_execz .LBB802_81
; %bb.74:
	v_mov_b32_e32 v6, s19
	v_addc_co_u32_e64 v7, s[2:3], v7, v6, s[2:3]
	v_add_co_u32_e64 v6, s[2:3], 8, v14
	v_mov_b32_e32 v10, s19
	v_addc_co_u32_e64 v7, s[2:3], 0, v7, s[2:3]
	v_addc_co_u32_e32 v11, vcc, v11, v10, vcc
	v_add_co_u32_e32 v10, vcc, 8, v12
	s_add_u32 s2, s16, -1
	v_addc_co_u32_e32 v11, vcc, 0, v11, vcc
	s_addc_u32 s3, s17, -1
	s_mov_b64 s[4:5], 0
	s_mov_b64 s[28:29], 0
                                        ; implicit-def: $sgpr26_sgpr27
	s_branch .LBB802_77
.LBB802_75:                             ;   in Loop: Header=BB802_77 Depth=1
	global_load_dwordx2 v[12:13], v[10:11], off
	global_load_dwordx2 v[14:15], v[6:7], off
	v_add_co_u32_e32 v6, vcc, 8, v6
	v_addc_co_u32_e32 v7, vcc, 0, v7, vcc
	v_add_co_u32_e32 v10, vcc, 8, v10
	v_addc_co_u32_e32 v11, vcc, 0, v11, vcc
	s_add_u32 s28, s28, 1
	s_addc_u32 s29, s29, 0
	s_andn2_b64 s[26:27], s[26:27], exec
	s_waitcnt vmcnt(0)
	v_cmp_neq_f64_e32 vcc, v[12:13], v[14:15]
	s_and_b64 s[30:31], vcc, exec
	s_or_b64 s[26:27], s[26:27], s[30:31]
.LBB802_76:                             ;   in Loop: Header=BB802_77 Depth=1
	s_and_b64 s[30:31], exec, s[26:27]
	s_or_b64 s[4:5], s[30:31], s[4:5]
	v_pk_mov_b32 v[12:13], s[28:29], s[28:29] op_sel:[0,1]
	s_andn2_b64 exec, exec, s[4:5]
	s_cbranch_execz .LBB802_80
.LBB802_77:                             ; =>This Inner Loop Header: Depth=1
	s_or_b64 s[26:27], s[26:27], exec
	s_cmp_eq_u64 s[2:3], s[28:29]
	s_cbranch_scc0 .LBB802_75
; %bb.78:                               ;   in Loop: Header=BB802_77 Depth=1
                                        ; implicit-def: $vgpr6_vgpr7
                                        ; implicit-def: $vgpr10_vgpr11
	s_mov_b64 s[28:29], s[16:17]
	s_branch .LBB802_76
.LBB802_79:
	s_mov_b64 s[26:27], 0
	s_branch .LBB802_82
.LBB802_80:
	s_or_b64 exec, exec, s[4:5]
	v_cmp_gt_i64_e32 vcc, s[16:17], v[12:13]
	s_orn2_b64 s[26:27], vcc, exec
.LBB802_81:
	s_or_b64 exec, exec, s[22:23]
.LBB802_82:
	s_and_b64 s[22:23], s[26:27], exec
	s_or_b64 s[24:25], s[24:25], exec
.LBB802_83:
	s_or_b64 exec, exec, s[20:21]
	s_branch .LBB802_108
.LBB802_84:
	v_lshlrev_b32_e32 v14, 1, v0
	s_waitcnt lgkmcnt(0)
	v_or_b32_e32 v6, 1, v14
	v_cmp_gt_u32_e32 vcc, s14, v6
	v_cmp_lt_i64_e64 s[20:21], s[16:17], 1
	v_pk_mov_b32 v[8:9], v[4:5], v[4:5] op_sel:[0,1]
	ds_write_b64 v1, v[4:5]
	v_pk_mov_b32 v[6:7], v[2:3], v[2:3] op_sel:[0,1]
	s_and_saveexec_b64 s[22:23], vcc
	s_cbranch_execz .LBB802_95
; %bb.85:
	s_and_b64 vcc, exec, s[20:21]
	s_cbranch_vccnz .LBB802_92
; %bb.86:
	v_mul_lo_u32 v6, v5, s16
	v_mul_lo_u32 v7, v4, s17
	v_mad_u64_u32 v[4:5], s[2:3], v4, s16, 0
	v_add3_u32 v5, v5, v7, v6
	v_mul_lo_u32 v6, v3, s16
	v_mul_lo_u32 v7, v2, s17
	v_mad_u64_u32 v[8:9], s[2:3], v2, s16, 0
	v_add3_u32 v9, v9, v7, v6
	v_lshlrev_b64 v[6:7], 3, v[4:5]
	v_mov_b32_e32 v4, s19
	v_add_co_u32_e32 v10, vcc, s18, v6
	v_addc_co_u32_e64 v11, s[2:3], v4, v7, vcc
	v_lshlrev_b64 v[4:5], 3, v[8:9]
	v_mov_b32_e32 v6, s19
	v_add_co_u32_e64 v12, s[2:3], s18, v4
	v_addc_co_u32_e64 v13, s[4:5], v6, v5, s[2:3]
	global_load_dwordx2 v[8:9], v[10:11], off
	global_load_dwordx2 v[16:17], v[12:13], off
	s_waitcnt vmcnt(0)
	v_cmp_eq_f64_e64 s[4:5], v[8:9], v[16:17]
	v_mov_b32_e32 v8, 1
	v_mov_b32_e32 v9, 0
	s_and_saveexec_b64 s[26:27], s[4:5]
	s_cbranch_execz .LBB802_94
; %bb.87:
	v_mov_b32_e32 v4, s19
	v_addc_co_u32_e64 v5, s[2:3], v5, v4, s[2:3]
	v_add_co_u32_e64 v4, s[2:3], 8, v12
	v_mov_b32_e32 v6, s19
	v_addc_co_u32_e64 v5, s[2:3], 0, v5, s[2:3]
	v_addc_co_u32_e32 v7, vcc, v7, v6, vcc
	v_add_co_u32_e32 v6, vcc, 8, v10
	s_add_u32 s2, s16, -1
	v_addc_co_u32_e32 v7, vcc, 0, v7, vcc
	s_addc_u32 s3, s17, -1
	s_mov_b64 s[4:5], 0
	s_mov_b64 s[30:31], 0
                                        ; implicit-def: $sgpr28_sgpr29
	s_branch .LBB802_90
.LBB802_88:                             ;   in Loop: Header=BB802_90 Depth=1
	global_load_dwordx2 v[8:9], v[6:7], off
	global_load_dwordx2 v[10:11], v[4:5], off
	v_add_co_u32_e32 v4, vcc, 8, v4
	v_addc_co_u32_e32 v5, vcc, 0, v5, vcc
	v_add_co_u32_e32 v6, vcc, 8, v6
	v_addc_co_u32_e32 v7, vcc, 0, v7, vcc
	s_add_u32 s30, s30, 1
	s_addc_u32 s31, s31, 0
	s_andn2_b64 s[28:29], s[28:29], exec
	s_waitcnt vmcnt(0)
	v_cmp_neq_f64_e32 vcc, v[8:9], v[10:11]
	s_and_b64 s[34:35], vcc, exec
	s_or_b64 s[28:29], s[28:29], s[34:35]
.LBB802_89:                             ;   in Loop: Header=BB802_90 Depth=1
	s_and_b64 s[34:35], exec, s[28:29]
	s_or_b64 s[4:5], s[34:35], s[4:5]
	v_pk_mov_b32 v[8:9], s[30:31], s[30:31] op_sel:[0,1]
	s_andn2_b64 exec, exec, s[4:5]
	s_cbranch_execz .LBB802_93
.LBB802_90:                             ; =>This Inner Loop Header: Depth=1
	s_or_b64 s[28:29], s[28:29], exec
	s_cmp_eq_u64 s[2:3], s[30:31]
	s_cbranch_scc0 .LBB802_88
; %bb.91:                               ;   in Loop: Header=BB802_90 Depth=1
                                        ; implicit-def: $vgpr4_vgpr5
                                        ; implicit-def: $vgpr6_vgpr7
	s_mov_b64 s[30:31], s[16:17]
	s_branch .LBB802_89
.LBB802_92:
	v_pk_mov_b32 v[8:9], 0, 0
	s_branch .LBB802_95
.LBB802_93:
	s_or_b64 exec, exec, s[4:5]
	v_cmp_gt_i64_e32 vcc, s[16:17], v[8:9]
	s_mov_b32 s2, 0
	v_cndmask_b32_e64 v8, 0, 1, vcc
	v_mov_b32_e32 v9, s2
.LBB802_94:
	s_or_b64 exec, exec, s[26:27]
.LBB802_95:
	s_or_b64 exec, exec, s[22:23]
	v_cmp_ne_u32_e32 vcc, 0, v0
	v_cmp_gt_u32_e64 s[2:3], s14, v14
	s_and_b64 s[2:3], vcc, s[2:3]
	s_waitcnt lgkmcnt(0)
	s_barrier
	s_waitcnt lgkmcnt(0)
                                        ; implicit-def: $sgpr22_sgpr23
	s_and_saveexec_b64 s[26:27], s[2:3]
	s_cbranch_execz .LBB802_107
; %bb.96:
	s_and_b64 vcc, exec, s[20:21]
	s_cbranch_vccnz .LBB802_103
; %bb.97:
	v_mul_lo_u32 v6, v3, s16
	v_add_u32_e32 v3, -8, v1
	ds_read_b64 v[4:5], v3
	v_mul_lo_u32 v7, v2, s17
	v_mad_u64_u32 v[2:3], s[2:3], v2, s16, 0
	v_add3_u32 v3, v3, v7, v6
	s_waitcnt lgkmcnt(0)
	v_mul_lo_u32 v5, v5, s16
	v_mul_lo_u32 v6, v4, s17
	v_mad_u64_u32 v[10:11], s[2:3], v4, s16, 0
	v_add3_u32 v11, v11, v6, v5
	v_lshlrev_b64 v[4:5], 3, v[2:3]
	v_mov_b32_e32 v2, s19
	v_add_co_u32_e32 v6, vcc, s18, v4
	v_addc_co_u32_e64 v7, s[2:3], v2, v5, vcc
	v_lshlrev_b64 v[2:3], 3, v[10:11]
	v_mov_b32_e32 v4, s19
	v_add_co_u32_e64 v10, s[2:3], s18, v2
	v_addc_co_u32_e64 v11, s[4:5], v4, v3, s[2:3]
	global_load_dwordx2 v[12:13], v[6:7], off
	global_load_dwordx2 v[14:15], v[10:11], off
	s_mov_b64 s[22:23], -1
	s_waitcnt vmcnt(0)
	v_cmp_eq_f64_e64 s[4:5], v[12:13], v[14:15]
	s_and_saveexec_b64 s[20:21], s[4:5]
	s_cbranch_execz .LBB802_105
; %bb.98:
	v_mov_b32_e32 v2, s19
	v_addc_co_u32_e64 v3, s[2:3], v3, v2, s[2:3]
	v_add_co_u32_e64 v2, s[2:3], 8, v10
	v_mov_b32_e32 v4, s19
	v_addc_co_u32_e64 v3, s[2:3], 0, v3, s[2:3]
	v_addc_co_u32_e32 v5, vcc, v5, v4, vcc
	v_add_co_u32_e32 v4, vcc, 8, v6
	s_add_u32 s2, s16, -1
	v_addc_co_u32_e32 v5, vcc, 0, v5, vcc
	s_addc_u32 s3, s17, -1
	s_mov_b64 s[4:5], 0
	s_mov_b64 s[22:23], 0
                                        ; implicit-def: $sgpr18_sgpr19
	s_branch .LBB802_101
.LBB802_99:                             ;   in Loop: Header=BB802_101 Depth=1
	global_load_dwordx2 v[6:7], v[4:5], off
	global_load_dwordx2 v[10:11], v[2:3], off
	v_add_co_u32_e32 v2, vcc, 8, v2
	v_addc_co_u32_e32 v3, vcc, 0, v3, vcc
	v_add_co_u32_e32 v4, vcc, 8, v4
	v_addc_co_u32_e32 v5, vcc, 0, v5, vcc
	s_add_u32 s22, s22, 1
	s_addc_u32 s23, s23, 0
	s_andn2_b64 s[18:19], s[18:19], exec
	s_waitcnt vmcnt(0)
	v_cmp_neq_f64_e32 vcc, v[6:7], v[10:11]
	s_and_b64 s[28:29], vcc, exec
	s_or_b64 s[18:19], s[18:19], s[28:29]
.LBB802_100:                            ;   in Loop: Header=BB802_101 Depth=1
	s_and_b64 s[28:29], exec, s[18:19]
	s_or_b64 s[4:5], s[28:29], s[4:5]
	v_pk_mov_b32 v[6:7], s[22:23], s[22:23] op_sel:[0,1]
	s_andn2_b64 exec, exec, s[4:5]
	s_cbranch_execz .LBB802_104
.LBB802_101:                            ; =>This Inner Loop Header: Depth=1
	s_or_b64 s[18:19], s[18:19], exec
	s_cmp_eq_u64 s[2:3], s[22:23]
	s_cbranch_scc0 .LBB802_99
; %bb.102:                              ;   in Loop: Header=BB802_101 Depth=1
                                        ; implicit-def: $vgpr2_vgpr3
                                        ; implicit-def: $vgpr4_vgpr5
	s_mov_b64 s[22:23], s[16:17]
	s_branch .LBB802_100
.LBB802_103:
	s_mov_b64 s[22:23], 0
	s_branch .LBB802_106
.LBB802_104:
	s_or_b64 exec, exec, s[4:5]
	v_cmp_gt_i64_e32 vcc, s[16:17], v[6:7]
	s_orn2_b64 s[22:23], vcc, exec
.LBB802_105:
	s_or_b64 exec, exec, s[20:21]
.LBB802_106:
	s_and_b64 s[22:23], s[22:23], exec
	s_or_b64 s[24:25], s[24:25], exec
                                        ; implicit-def: $vgpr2_vgpr3
.LBB802_107:
	s_or_b64 exec, exec, s[26:27]
.LBB802_108:
	s_and_saveexec_b64 s[2:3], s[24:25]
; %bb.109:
	s_mov_b32 s4, 0
	v_cndmask_b32_e64 v2, 0, 1, s[22:23]
	v_mov_b32_e32 v3, s4
; %bb.110:
	s_or_b64 exec, exec, s[2:3]
	s_add_u32 s4, s12, s10
	s_addc_u32 s5, s13, s11
	s_and_b64 vcc, exec, s[0:1]
	v_lshrrev_b32_e32 v10, 1, v0
	s_waitcnt lgkmcnt(0)
	s_barrier
	s_cbranch_vccz .LBB802_114
; %bb.111:
	v_and_b32_e32 v4, 0xf8, v10
	v_lshl_add_u32 v6, v0, 4, v4
	v_mov_b32_e32 v4, v8
	v_mov_b32_e32 v5, v9
	v_or_b32_e32 v11, 0x200, v0
	s_lshl_b32 s0, s6, 10
	s_mov_b32 s9, 0
	ds_write2_b64 v6, v[2:3], v[4:5] offset1:1
	v_lshrrev_b32_e32 v4, 5, v11
	s_sub_i32 s2, s14, s0
	s_lshl_b64 s[0:1], s[8:9], 3
	v_add_lshl_u32 v4, v4, v0, 3
	s_add_u32 s0, s4, s0
	s_waitcnt lgkmcnt(0)
	s_barrier
	ds_read_b64 v[4:5], v4 offset:4096
	s_addc_u32 s1, s5, s1
	v_mov_b32_e32 v7, s1
	v_add_co_u32_e32 v6, vcc, s0, v1
	v_addc_co_u32_e32 v7, vcc, 0, v7, vcc
	v_cmp_gt_u32_e32 vcc, s2, v0
	s_and_saveexec_b64 s[0:1], vcc
	s_cbranch_execz .LBB802_113
; %bb.112:
	v_lshrrev_b32_e32 v12, 5, v0
	v_add_lshl_u32 v12, v12, v0, 3
	ds_read_b64 v[12:13], v12
	s_waitcnt lgkmcnt(0)
	global_store_dwordx2 v[6:7], v[12:13], off
.LBB802_113:
	s_or_b64 exec, exec, s[0:1]
	v_cmp_gt_u32_e64 s[0:1], s2, v11
	s_branch .LBB802_116
.LBB802_114:
	s_mov_b64 s[0:1], 0
                                        ; implicit-def: $vgpr4_vgpr5
                                        ; implicit-def: $vgpr6_vgpr7
	s_cbranch_execz .LBB802_116
; %bb.115:
	s_waitcnt lgkmcnt(0)
	v_and_b32_e32 v4, 0xf8, v10
	v_lshl_add_u32 v6, v0, 4, v4
	v_mov_b32_e32 v4, v8
	v_mov_b32_e32 v5, v9
	s_mov_b32 s9, 0
	ds_write2_b64 v6, v[2:3], v[4:5] offset1:1
	v_lshrrev_b32_e32 v2, 5, v0
	v_or_b32_e32 v3, 0x200, v0
	s_lshl_b64 s[2:3], s[8:9], 3
	v_add_lshl_u32 v2, v2, v0, 3
	v_lshrrev_b32_e32 v3, 5, v3
	s_add_u32 s2, s4, s2
	s_waitcnt lgkmcnt(0)
	s_barrier
	v_add_lshl_u32 v0, v3, v0, 3
	ds_read_b64 v[2:3], v2
	ds_read_b64 v[4:5], v0 offset:4096
	s_addc_u32 s3, s5, s3
	v_mov_b32_e32 v0, s3
	v_add_co_u32_e32 v6, vcc, s2, v1
	v_addc_co_u32_e32 v7, vcc, 0, v0, vcc
	s_or_b64 s[0:1], s[0:1], exec
	s_waitcnt lgkmcnt(1)
	global_store_dwordx2 v1, v[2:3], s[2:3]
.LBB802_116:
	s_and_saveexec_b64 s[2:3], s[0:1]
	s_cbranch_execnz .LBB802_118
; %bb.117:
	s_endpgm
.LBB802_118:
	v_add_co_u32_e32 v0, vcc, 0x1000, v6
	v_addc_co_u32_e32 v1, vcc, 0, v7, vcc
	s_waitcnt lgkmcnt(0)
	global_store_dwordx2 v[0:1], v[4:5], off
	s_endpgm
	.section	.rodata,"a",@progbits
	.p2align	6, 0x0
	.amdhsa_kernel _ZN7rocprim17ROCPRIM_400000_NS6detail17trampoline_kernelINS0_14default_configENS1_35adjacent_difference_config_selectorILb1ElEEZNS1_24adjacent_difference_implIS3_Lb1ELb0EPlS7_ZN2at6native12_GLOBAL__N_124unique_dim_cuda_templateIdEESt5tupleIJNS8_6TensorESD_SD_EERKSD_lbbbEUlllE1_EE10hipError_tPvRmT2_T3_mT4_P12ihipStream_tbEUlT_E_NS1_11comp_targetILNS1_3genE4ELNS1_11target_archE910ELNS1_3gpuE8ELNS1_3repE0EEENS1_30default_config_static_selectorELNS0_4arch9wavefront6targetE1EEEvT1_
		.amdhsa_group_segment_fixed_size 8448
		.amdhsa_private_segment_fixed_size 0
		.amdhsa_kernarg_size 64
		.amdhsa_user_sgpr_count 6
		.amdhsa_user_sgpr_private_segment_buffer 1
		.amdhsa_user_sgpr_dispatch_ptr 0
		.amdhsa_user_sgpr_queue_ptr 0
		.amdhsa_user_sgpr_kernarg_segment_ptr 1
		.amdhsa_user_sgpr_dispatch_id 0
		.amdhsa_user_sgpr_flat_scratch_init 0
		.amdhsa_user_sgpr_kernarg_preload_length 0
		.amdhsa_user_sgpr_kernarg_preload_offset 0
		.amdhsa_user_sgpr_private_segment_size 0
		.amdhsa_uses_dynamic_stack 0
		.amdhsa_system_sgpr_private_segment_wavefront_offset 0
		.amdhsa_system_sgpr_workgroup_id_x 1
		.amdhsa_system_sgpr_workgroup_id_y 0
		.amdhsa_system_sgpr_workgroup_id_z 0
		.amdhsa_system_sgpr_workgroup_info 0
		.amdhsa_system_vgpr_workitem_id 0
		.amdhsa_next_free_vgpr 20
		.amdhsa_next_free_sgpr 38
		.amdhsa_accum_offset 20
		.amdhsa_reserve_vcc 1
		.amdhsa_reserve_flat_scratch 0
		.amdhsa_float_round_mode_32 0
		.amdhsa_float_round_mode_16_64 0
		.amdhsa_float_denorm_mode_32 3
		.amdhsa_float_denorm_mode_16_64 3
		.amdhsa_dx10_clamp 1
		.amdhsa_ieee_mode 1
		.amdhsa_fp16_overflow 0
		.amdhsa_tg_split 0
		.amdhsa_exception_fp_ieee_invalid_op 0
		.amdhsa_exception_fp_denorm_src 0
		.amdhsa_exception_fp_ieee_div_zero 0
		.amdhsa_exception_fp_ieee_overflow 0
		.amdhsa_exception_fp_ieee_underflow 0
		.amdhsa_exception_fp_ieee_inexact 0
		.amdhsa_exception_int_div_zero 0
	.end_amdhsa_kernel
	.section	.text._ZN7rocprim17ROCPRIM_400000_NS6detail17trampoline_kernelINS0_14default_configENS1_35adjacent_difference_config_selectorILb1ElEEZNS1_24adjacent_difference_implIS3_Lb1ELb0EPlS7_ZN2at6native12_GLOBAL__N_124unique_dim_cuda_templateIdEESt5tupleIJNS8_6TensorESD_SD_EERKSD_lbbbEUlllE1_EE10hipError_tPvRmT2_T3_mT4_P12ihipStream_tbEUlT_E_NS1_11comp_targetILNS1_3genE4ELNS1_11target_archE910ELNS1_3gpuE8ELNS1_3repE0EEENS1_30default_config_static_selectorELNS0_4arch9wavefront6targetE1EEEvT1_,"axG",@progbits,_ZN7rocprim17ROCPRIM_400000_NS6detail17trampoline_kernelINS0_14default_configENS1_35adjacent_difference_config_selectorILb1ElEEZNS1_24adjacent_difference_implIS3_Lb1ELb0EPlS7_ZN2at6native12_GLOBAL__N_124unique_dim_cuda_templateIdEESt5tupleIJNS8_6TensorESD_SD_EERKSD_lbbbEUlllE1_EE10hipError_tPvRmT2_T3_mT4_P12ihipStream_tbEUlT_E_NS1_11comp_targetILNS1_3genE4ELNS1_11target_archE910ELNS1_3gpuE8ELNS1_3repE0EEENS1_30default_config_static_selectorELNS0_4arch9wavefront6targetE1EEEvT1_,comdat
.Lfunc_end802:
	.size	_ZN7rocprim17ROCPRIM_400000_NS6detail17trampoline_kernelINS0_14default_configENS1_35adjacent_difference_config_selectorILb1ElEEZNS1_24adjacent_difference_implIS3_Lb1ELb0EPlS7_ZN2at6native12_GLOBAL__N_124unique_dim_cuda_templateIdEESt5tupleIJNS8_6TensorESD_SD_EERKSD_lbbbEUlllE1_EE10hipError_tPvRmT2_T3_mT4_P12ihipStream_tbEUlT_E_NS1_11comp_targetILNS1_3genE4ELNS1_11target_archE910ELNS1_3gpuE8ELNS1_3repE0EEENS1_30default_config_static_selectorELNS0_4arch9wavefront6targetE1EEEvT1_, .Lfunc_end802-_ZN7rocprim17ROCPRIM_400000_NS6detail17trampoline_kernelINS0_14default_configENS1_35adjacent_difference_config_selectorILb1ElEEZNS1_24adjacent_difference_implIS3_Lb1ELb0EPlS7_ZN2at6native12_GLOBAL__N_124unique_dim_cuda_templateIdEESt5tupleIJNS8_6TensorESD_SD_EERKSD_lbbbEUlllE1_EE10hipError_tPvRmT2_T3_mT4_P12ihipStream_tbEUlT_E_NS1_11comp_targetILNS1_3genE4ELNS1_11target_archE910ELNS1_3gpuE8ELNS1_3repE0EEENS1_30default_config_static_selectorELNS0_4arch9wavefront6targetE1EEEvT1_
                                        ; -- End function
	.section	.AMDGPU.csdata,"",@progbits
; Kernel info:
; codeLenInByte = 4304
; NumSgprs: 42
; NumVgprs: 20
; NumAgprs: 0
; TotalNumVgprs: 20
; ScratchSize: 0
; MemoryBound: 1
; FloatMode: 240
; IeeeMode: 1
; LDSByteSize: 8448 bytes/workgroup (compile time only)
; SGPRBlocks: 5
; VGPRBlocks: 2
; NumSGPRsForWavesPerEU: 42
; NumVGPRsForWavesPerEU: 20
; AccumOffset: 20
; Occupancy: 8
; WaveLimiterHint : 1
; COMPUTE_PGM_RSRC2:SCRATCH_EN: 0
; COMPUTE_PGM_RSRC2:USER_SGPR: 6
; COMPUTE_PGM_RSRC2:TRAP_HANDLER: 0
; COMPUTE_PGM_RSRC2:TGID_X_EN: 1
; COMPUTE_PGM_RSRC2:TGID_Y_EN: 0
; COMPUTE_PGM_RSRC2:TGID_Z_EN: 0
; COMPUTE_PGM_RSRC2:TIDIG_COMP_CNT: 0
; COMPUTE_PGM_RSRC3_GFX90A:ACCUM_OFFSET: 4
; COMPUTE_PGM_RSRC3_GFX90A:TG_SPLIT: 0
	.section	.text._ZN7rocprim17ROCPRIM_400000_NS6detail17trampoline_kernelINS0_14default_configENS1_35adjacent_difference_config_selectorILb1ElEEZNS1_24adjacent_difference_implIS3_Lb1ELb0EPlS7_ZN2at6native12_GLOBAL__N_124unique_dim_cuda_templateIdEESt5tupleIJNS8_6TensorESD_SD_EERKSD_lbbbEUlllE1_EE10hipError_tPvRmT2_T3_mT4_P12ihipStream_tbEUlT_E_NS1_11comp_targetILNS1_3genE3ELNS1_11target_archE908ELNS1_3gpuE7ELNS1_3repE0EEENS1_30default_config_static_selectorELNS0_4arch9wavefront6targetE1EEEvT1_,"axG",@progbits,_ZN7rocprim17ROCPRIM_400000_NS6detail17trampoline_kernelINS0_14default_configENS1_35adjacent_difference_config_selectorILb1ElEEZNS1_24adjacent_difference_implIS3_Lb1ELb0EPlS7_ZN2at6native12_GLOBAL__N_124unique_dim_cuda_templateIdEESt5tupleIJNS8_6TensorESD_SD_EERKSD_lbbbEUlllE1_EE10hipError_tPvRmT2_T3_mT4_P12ihipStream_tbEUlT_E_NS1_11comp_targetILNS1_3genE3ELNS1_11target_archE908ELNS1_3gpuE7ELNS1_3repE0EEENS1_30default_config_static_selectorELNS0_4arch9wavefront6targetE1EEEvT1_,comdat
	.globl	_ZN7rocprim17ROCPRIM_400000_NS6detail17trampoline_kernelINS0_14default_configENS1_35adjacent_difference_config_selectorILb1ElEEZNS1_24adjacent_difference_implIS3_Lb1ELb0EPlS7_ZN2at6native12_GLOBAL__N_124unique_dim_cuda_templateIdEESt5tupleIJNS8_6TensorESD_SD_EERKSD_lbbbEUlllE1_EE10hipError_tPvRmT2_T3_mT4_P12ihipStream_tbEUlT_E_NS1_11comp_targetILNS1_3genE3ELNS1_11target_archE908ELNS1_3gpuE7ELNS1_3repE0EEENS1_30default_config_static_selectorELNS0_4arch9wavefront6targetE1EEEvT1_ ; -- Begin function _ZN7rocprim17ROCPRIM_400000_NS6detail17trampoline_kernelINS0_14default_configENS1_35adjacent_difference_config_selectorILb1ElEEZNS1_24adjacent_difference_implIS3_Lb1ELb0EPlS7_ZN2at6native12_GLOBAL__N_124unique_dim_cuda_templateIdEESt5tupleIJNS8_6TensorESD_SD_EERKSD_lbbbEUlllE1_EE10hipError_tPvRmT2_T3_mT4_P12ihipStream_tbEUlT_E_NS1_11comp_targetILNS1_3genE3ELNS1_11target_archE908ELNS1_3gpuE7ELNS1_3repE0EEENS1_30default_config_static_selectorELNS0_4arch9wavefront6targetE1EEEvT1_
	.p2align	8
	.type	_ZN7rocprim17ROCPRIM_400000_NS6detail17trampoline_kernelINS0_14default_configENS1_35adjacent_difference_config_selectorILb1ElEEZNS1_24adjacent_difference_implIS3_Lb1ELb0EPlS7_ZN2at6native12_GLOBAL__N_124unique_dim_cuda_templateIdEESt5tupleIJNS8_6TensorESD_SD_EERKSD_lbbbEUlllE1_EE10hipError_tPvRmT2_T3_mT4_P12ihipStream_tbEUlT_E_NS1_11comp_targetILNS1_3genE3ELNS1_11target_archE908ELNS1_3gpuE7ELNS1_3repE0EEENS1_30default_config_static_selectorELNS0_4arch9wavefront6targetE1EEEvT1_,@function
_ZN7rocprim17ROCPRIM_400000_NS6detail17trampoline_kernelINS0_14default_configENS1_35adjacent_difference_config_selectorILb1ElEEZNS1_24adjacent_difference_implIS3_Lb1ELb0EPlS7_ZN2at6native12_GLOBAL__N_124unique_dim_cuda_templateIdEESt5tupleIJNS8_6TensorESD_SD_EERKSD_lbbbEUlllE1_EE10hipError_tPvRmT2_T3_mT4_P12ihipStream_tbEUlT_E_NS1_11comp_targetILNS1_3genE3ELNS1_11target_archE908ELNS1_3gpuE7ELNS1_3repE0EEENS1_30default_config_static_selectorELNS0_4arch9wavefront6targetE1EEEvT1_: ; @_ZN7rocprim17ROCPRIM_400000_NS6detail17trampoline_kernelINS0_14default_configENS1_35adjacent_difference_config_selectorILb1ElEEZNS1_24adjacent_difference_implIS3_Lb1ELb0EPlS7_ZN2at6native12_GLOBAL__N_124unique_dim_cuda_templateIdEESt5tupleIJNS8_6TensorESD_SD_EERKSD_lbbbEUlllE1_EE10hipError_tPvRmT2_T3_mT4_P12ihipStream_tbEUlT_E_NS1_11comp_targetILNS1_3genE3ELNS1_11target_archE908ELNS1_3gpuE7ELNS1_3repE0EEENS1_30default_config_static_selectorELNS0_4arch9wavefront6targetE1EEEvT1_
; %bb.0:
	.section	.rodata,"a",@progbits
	.p2align	6, 0x0
	.amdhsa_kernel _ZN7rocprim17ROCPRIM_400000_NS6detail17trampoline_kernelINS0_14default_configENS1_35adjacent_difference_config_selectorILb1ElEEZNS1_24adjacent_difference_implIS3_Lb1ELb0EPlS7_ZN2at6native12_GLOBAL__N_124unique_dim_cuda_templateIdEESt5tupleIJNS8_6TensorESD_SD_EERKSD_lbbbEUlllE1_EE10hipError_tPvRmT2_T3_mT4_P12ihipStream_tbEUlT_E_NS1_11comp_targetILNS1_3genE3ELNS1_11target_archE908ELNS1_3gpuE7ELNS1_3repE0EEENS1_30default_config_static_selectorELNS0_4arch9wavefront6targetE1EEEvT1_
		.amdhsa_group_segment_fixed_size 0
		.amdhsa_private_segment_fixed_size 0
		.amdhsa_kernarg_size 64
		.amdhsa_user_sgpr_count 6
		.amdhsa_user_sgpr_private_segment_buffer 1
		.amdhsa_user_sgpr_dispatch_ptr 0
		.amdhsa_user_sgpr_queue_ptr 0
		.amdhsa_user_sgpr_kernarg_segment_ptr 1
		.amdhsa_user_sgpr_dispatch_id 0
		.amdhsa_user_sgpr_flat_scratch_init 0
		.amdhsa_user_sgpr_kernarg_preload_length 0
		.amdhsa_user_sgpr_kernarg_preload_offset 0
		.amdhsa_user_sgpr_private_segment_size 0
		.amdhsa_uses_dynamic_stack 0
		.amdhsa_system_sgpr_private_segment_wavefront_offset 0
		.amdhsa_system_sgpr_workgroup_id_x 1
		.amdhsa_system_sgpr_workgroup_id_y 0
		.amdhsa_system_sgpr_workgroup_id_z 0
		.amdhsa_system_sgpr_workgroup_info 0
		.amdhsa_system_vgpr_workitem_id 0
		.amdhsa_next_free_vgpr 1
		.amdhsa_next_free_sgpr 0
		.amdhsa_accum_offset 4
		.amdhsa_reserve_vcc 0
		.amdhsa_reserve_flat_scratch 0
		.amdhsa_float_round_mode_32 0
		.amdhsa_float_round_mode_16_64 0
		.amdhsa_float_denorm_mode_32 3
		.amdhsa_float_denorm_mode_16_64 3
		.amdhsa_dx10_clamp 1
		.amdhsa_ieee_mode 1
		.amdhsa_fp16_overflow 0
		.amdhsa_tg_split 0
		.amdhsa_exception_fp_ieee_invalid_op 0
		.amdhsa_exception_fp_denorm_src 0
		.amdhsa_exception_fp_ieee_div_zero 0
		.amdhsa_exception_fp_ieee_overflow 0
		.amdhsa_exception_fp_ieee_underflow 0
		.amdhsa_exception_fp_ieee_inexact 0
		.amdhsa_exception_int_div_zero 0
	.end_amdhsa_kernel
	.section	.text._ZN7rocprim17ROCPRIM_400000_NS6detail17trampoline_kernelINS0_14default_configENS1_35adjacent_difference_config_selectorILb1ElEEZNS1_24adjacent_difference_implIS3_Lb1ELb0EPlS7_ZN2at6native12_GLOBAL__N_124unique_dim_cuda_templateIdEESt5tupleIJNS8_6TensorESD_SD_EERKSD_lbbbEUlllE1_EE10hipError_tPvRmT2_T3_mT4_P12ihipStream_tbEUlT_E_NS1_11comp_targetILNS1_3genE3ELNS1_11target_archE908ELNS1_3gpuE7ELNS1_3repE0EEENS1_30default_config_static_selectorELNS0_4arch9wavefront6targetE1EEEvT1_,"axG",@progbits,_ZN7rocprim17ROCPRIM_400000_NS6detail17trampoline_kernelINS0_14default_configENS1_35adjacent_difference_config_selectorILb1ElEEZNS1_24adjacent_difference_implIS3_Lb1ELb0EPlS7_ZN2at6native12_GLOBAL__N_124unique_dim_cuda_templateIdEESt5tupleIJNS8_6TensorESD_SD_EERKSD_lbbbEUlllE1_EE10hipError_tPvRmT2_T3_mT4_P12ihipStream_tbEUlT_E_NS1_11comp_targetILNS1_3genE3ELNS1_11target_archE908ELNS1_3gpuE7ELNS1_3repE0EEENS1_30default_config_static_selectorELNS0_4arch9wavefront6targetE1EEEvT1_,comdat
.Lfunc_end803:
	.size	_ZN7rocprim17ROCPRIM_400000_NS6detail17trampoline_kernelINS0_14default_configENS1_35adjacent_difference_config_selectorILb1ElEEZNS1_24adjacent_difference_implIS3_Lb1ELb0EPlS7_ZN2at6native12_GLOBAL__N_124unique_dim_cuda_templateIdEESt5tupleIJNS8_6TensorESD_SD_EERKSD_lbbbEUlllE1_EE10hipError_tPvRmT2_T3_mT4_P12ihipStream_tbEUlT_E_NS1_11comp_targetILNS1_3genE3ELNS1_11target_archE908ELNS1_3gpuE7ELNS1_3repE0EEENS1_30default_config_static_selectorELNS0_4arch9wavefront6targetE1EEEvT1_, .Lfunc_end803-_ZN7rocprim17ROCPRIM_400000_NS6detail17trampoline_kernelINS0_14default_configENS1_35adjacent_difference_config_selectorILb1ElEEZNS1_24adjacent_difference_implIS3_Lb1ELb0EPlS7_ZN2at6native12_GLOBAL__N_124unique_dim_cuda_templateIdEESt5tupleIJNS8_6TensorESD_SD_EERKSD_lbbbEUlllE1_EE10hipError_tPvRmT2_T3_mT4_P12ihipStream_tbEUlT_E_NS1_11comp_targetILNS1_3genE3ELNS1_11target_archE908ELNS1_3gpuE7ELNS1_3repE0EEENS1_30default_config_static_selectorELNS0_4arch9wavefront6targetE1EEEvT1_
                                        ; -- End function
	.section	.AMDGPU.csdata,"",@progbits
; Kernel info:
; codeLenInByte = 0
; NumSgprs: 4
; NumVgprs: 0
; NumAgprs: 0
; TotalNumVgprs: 0
; ScratchSize: 0
; MemoryBound: 0
; FloatMode: 240
; IeeeMode: 1
; LDSByteSize: 0 bytes/workgroup (compile time only)
; SGPRBlocks: 0
; VGPRBlocks: 0
; NumSGPRsForWavesPerEU: 4
; NumVGPRsForWavesPerEU: 1
; AccumOffset: 4
; Occupancy: 8
; WaveLimiterHint : 0
; COMPUTE_PGM_RSRC2:SCRATCH_EN: 0
; COMPUTE_PGM_RSRC2:USER_SGPR: 6
; COMPUTE_PGM_RSRC2:TRAP_HANDLER: 0
; COMPUTE_PGM_RSRC2:TGID_X_EN: 1
; COMPUTE_PGM_RSRC2:TGID_Y_EN: 0
; COMPUTE_PGM_RSRC2:TGID_Z_EN: 0
; COMPUTE_PGM_RSRC2:TIDIG_COMP_CNT: 0
; COMPUTE_PGM_RSRC3_GFX90A:ACCUM_OFFSET: 0
; COMPUTE_PGM_RSRC3_GFX90A:TG_SPLIT: 0
	.section	.text._ZN7rocprim17ROCPRIM_400000_NS6detail17trampoline_kernelINS0_14default_configENS1_35adjacent_difference_config_selectorILb1ElEEZNS1_24adjacent_difference_implIS3_Lb1ELb0EPlS7_ZN2at6native12_GLOBAL__N_124unique_dim_cuda_templateIdEESt5tupleIJNS8_6TensorESD_SD_EERKSD_lbbbEUlllE1_EE10hipError_tPvRmT2_T3_mT4_P12ihipStream_tbEUlT_E_NS1_11comp_targetILNS1_3genE2ELNS1_11target_archE906ELNS1_3gpuE6ELNS1_3repE0EEENS1_30default_config_static_selectorELNS0_4arch9wavefront6targetE1EEEvT1_,"axG",@progbits,_ZN7rocprim17ROCPRIM_400000_NS6detail17trampoline_kernelINS0_14default_configENS1_35adjacent_difference_config_selectorILb1ElEEZNS1_24adjacent_difference_implIS3_Lb1ELb0EPlS7_ZN2at6native12_GLOBAL__N_124unique_dim_cuda_templateIdEESt5tupleIJNS8_6TensorESD_SD_EERKSD_lbbbEUlllE1_EE10hipError_tPvRmT2_T3_mT4_P12ihipStream_tbEUlT_E_NS1_11comp_targetILNS1_3genE2ELNS1_11target_archE906ELNS1_3gpuE6ELNS1_3repE0EEENS1_30default_config_static_selectorELNS0_4arch9wavefront6targetE1EEEvT1_,comdat
	.globl	_ZN7rocprim17ROCPRIM_400000_NS6detail17trampoline_kernelINS0_14default_configENS1_35adjacent_difference_config_selectorILb1ElEEZNS1_24adjacent_difference_implIS3_Lb1ELb0EPlS7_ZN2at6native12_GLOBAL__N_124unique_dim_cuda_templateIdEESt5tupleIJNS8_6TensorESD_SD_EERKSD_lbbbEUlllE1_EE10hipError_tPvRmT2_T3_mT4_P12ihipStream_tbEUlT_E_NS1_11comp_targetILNS1_3genE2ELNS1_11target_archE906ELNS1_3gpuE6ELNS1_3repE0EEENS1_30default_config_static_selectorELNS0_4arch9wavefront6targetE1EEEvT1_ ; -- Begin function _ZN7rocprim17ROCPRIM_400000_NS6detail17trampoline_kernelINS0_14default_configENS1_35adjacent_difference_config_selectorILb1ElEEZNS1_24adjacent_difference_implIS3_Lb1ELb0EPlS7_ZN2at6native12_GLOBAL__N_124unique_dim_cuda_templateIdEESt5tupleIJNS8_6TensorESD_SD_EERKSD_lbbbEUlllE1_EE10hipError_tPvRmT2_T3_mT4_P12ihipStream_tbEUlT_E_NS1_11comp_targetILNS1_3genE2ELNS1_11target_archE906ELNS1_3gpuE6ELNS1_3repE0EEENS1_30default_config_static_selectorELNS0_4arch9wavefront6targetE1EEEvT1_
	.p2align	8
	.type	_ZN7rocprim17ROCPRIM_400000_NS6detail17trampoline_kernelINS0_14default_configENS1_35adjacent_difference_config_selectorILb1ElEEZNS1_24adjacent_difference_implIS3_Lb1ELb0EPlS7_ZN2at6native12_GLOBAL__N_124unique_dim_cuda_templateIdEESt5tupleIJNS8_6TensorESD_SD_EERKSD_lbbbEUlllE1_EE10hipError_tPvRmT2_T3_mT4_P12ihipStream_tbEUlT_E_NS1_11comp_targetILNS1_3genE2ELNS1_11target_archE906ELNS1_3gpuE6ELNS1_3repE0EEENS1_30default_config_static_selectorELNS0_4arch9wavefront6targetE1EEEvT1_,@function
_ZN7rocprim17ROCPRIM_400000_NS6detail17trampoline_kernelINS0_14default_configENS1_35adjacent_difference_config_selectorILb1ElEEZNS1_24adjacent_difference_implIS3_Lb1ELb0EPlS7_ZN2at6native12_GLOBAL__N_124unique_dim_cuda_templateIdEESt5tupleIJNS8_6TensorESD_SD_EERKSD_lbbbEUlllE1_EE10hipError_tPvRmT2_T3_mT4_P12ihipStream_tbEUlT_E_NS1_11comp_targetILNS1_3genE2ELNS1_11target_archE906ELNS1_3gpuE6ELNS1_3repE0EEENS1_30default_config_static_selectorELNS0_4arch9wavefront6targetE1EEEvT1_: ; @_ZN7rocprim17ROCPRIM_400000_NS6detail17trampoline_kernelINS0_14default_configENS1_35adjacent_difference_config_selectorILb1ElEEZNS1_24adjacent_difference_implIS3_Lb1ELb0EPlS7_ZN2at6native12_GLOBAL__N_124unique_dim_cuda_templateIdEESt5tupleIJNS8_6TensorESD_SD_EERKSD_lbbbEUlllE1_EE10hipError_tPvRmT2_T3_mT4_P12ihipStream_tbEUlT_E_NS1_11comp_targetILNS1_3genE2ELNS1_11target_archE906ELNS1_3gpuE6ELNS1_3repE0EEENS1_30default_config_static_selectorELNS0_4arch9wavefront6targetE1EEEvT1_
; %bb.0:
	.section	.rodata,"a",@progbits
	.p2align	6, 0x0
	.amdhsa_kernel _ZN7rocprim17ROCPRIM_400000_NS6detail17trampoline_kernelINS0_14default_configENS1_35adjacent_difference_config_selectorILb1ElEEZNS1_24adjacent_difference_implIS3_Lb1ELb0EPlS7_ZN2at6native12_GLOBAL__N_124unique_dim_cuda_templateIdEESt5tupleIJNS8_6TensorESD_SD_EERKSD_lbbbEUlllE1_EE10hipError_tPvRmT2_T3_mT4_P12ihipStream_tbEUlT_E_NS1_11comp_targetILNS1_3genE2ELNS1_11target_archE906ELNS1_3gpuE6ELNS1_3repE0EEENS1_30default_config_static_selectorELNS0_4arch9wavefront6targetE1EEEvT1_
		.amdhsa_group_segment_fixed_size 0
		.amdhsa_private_segment_fixed_size 0
		.amdhsa_kernarg_size 64
		.amdhsa_user_sgpr_count 6
		.amdhsa_user_sgpr_private_segment_buffer 1
		.amdhsa_user_sgpr_dispatch_ptr 0
		.amdhsa_user_sgpr_queue_ptr 0
		.amdhsa_user_sgpr_kernarg_segment_ptr 1
		.amdhsa_user_sgpr_dispatch_id 0
		.amdhsa_user_sgpr_flat_scratch_init 0
		.amdhsa_user_sgpr_kernarg_preload_length 0
		.amdhsa_user_sgpr_kernarg_preload_offset 0
		.amdhsa_user_sgpr_private_segment_size 0
		.amdhsa_uses_dynamic_stack 0
		.amdhsa_system_sgpr_private_segment_wavefront_offset 0
		.amdhsa_system_sgpr_workgroup_id_x 1
		.amdhsa_system_sgpr_workgroup_id_y 0
		.amdhsa_system_sgpr_workgroup_id_z 0
		.amdhsa_system_sgpr_workgroup_info 0
		.amdhsa_system_vgpr_workitem_id 0
		.amdhsa_next_free_vgpr 1
		.amdhsa_next_free_sgpr 0
		.amdhsa_accum_offset 4
		.amdhsa_reserve_vcc 0
		.amdhsa_reserve_flat_scratch 0
		.amdhsa_float_round_mode_32 0
		.amdhsa_float_round_mode_16_64 0
		.amdhsa_float_denorm_mode_32 3
		.amdhsa_float_denorm_mode_16_64 3
		.amdhsa_dx10_clamp 1
		.amdhsa_ieee_mode 1
		.amdhsa_fp16_overflow 0
		.amdhsa_tg_split 0
		.amdhsa_exception_fp_ieee_invalid_op 0
		.amdhsa_exception_fp_denorm_src 0
		.amdhsa_exception_fp_ieee_div_zero 0
		.amdhsa_exception_fp_ieee_overflow 0
		.amdhsa_exception_fp_ieee_underflow 0
		.amdhsa_exception_fp_ieee_inexact 0
		.amdhsa_exception_int_div_zero 0
	.end_amdhsa_kernel
	.section	.text._ZN7rocprim17ROCPRIM_400000_NS6detail17trampoline_kernelINS0_14default_configENS1_35adjacent_difference_config_selectorILb1ElEEZNS1_24adjacent_difference_implIS3_Lb1ELb0EPlS7_ZN2at6native12_GLOBAL__N_124unique_dim_cuda_templateIdEESt5tupleIJNS8_6TensorESD_SD_EERKSD_lbbbEUlllE1_EE10hipError_tPvRmT2_T3_mT4_P12ihipStream_tbEUlT_E_NS1_11comp_targetILNS1_3genE2ELNS1_11target_archE906ELNS1_3gpuE6ELNS1_3repE0EEENS1_30default_config_static_selectorELNS0_4arch9wavefront6targetE1EEEvT1_,"axG",@progbits,_ZN7rocprim17ROCPRIM_400000_NS6detail17trampoline_kernelINS0_14default_configENS1_35adjacent_difference_config_selectorILb1ElEEZNS1_24adjacent_difference_implIS3_Lb1ELb0EPlS7_ZN2at6native12_GLOBAL__N_124unique_dim_cuda_templateIdEESt5tupleIJNS8_6TensorESD_SD_EERKSD_lbbbEUlllE1_EE10hipError_tPvRmT2_T3_mT4_P12ihipStream_tbEUlT_E_NS1_11comp_targetILNS1_3genE2ELNS1_11target_archE906ELNS1_3gpuE6ELNS1_3repE0EEENS1_30default_config_static_selectorELNS0_4arch9wavefront6targetE1EEEvT1_,comdat
.Lfunc_end804:
	.size	_ZN7rocprim17ROCPRIM_400000_NS6detail17trampoline_kernelINS0_14default_configENS1_35adjacent_difference_config_selectorILb1ElEEZNS1_24adjacent_difference_implIS3_Lb1ELb0EPlS7_ZN2at6native12_GLOBAL__N_124unique_dim_cuda_templateIdEESt5tupleIJNS8_6TensorESD_SD_EERKSD_lbbbEUlllE1_EE10hipError_tPvRmT2_T3_mT4_P12ihipStream_tbEUlT_E_NS1_11comp_targetILNS1_3genE2ELNS1_11target_archE906ELNS1_3gpuE6ELNS1_3repE0EEENS1_30default_config_static_selectorELNS0_4arch9wavefront6targetE1EEEvT1_, .Lfunc_end804-_ZN7rocprim17ROCPRIM_400000_NS6detail17trampoline_kernelINS0_14default_configENS1_35adjacent_difference_config_selectorILb1ElEEZNS1_24adjacent_difference_implIS3_Lb1ELb0EPlS7_ZN2at6native12_GLOBAL__N_124unique_dim_cuda_templateIdEESt5tupleIJNS8_6TensorESD_SD_EERKSD_lbbbEUlllE1_EE10hipError_tPvRmT2_T3_mT4_P12ihipStream_tbEUlT_E_NS1_11comp_targetILNS1_3genE2ELNS1_11target_archE906ELNS1_3gpuE6ELNS1_3repE0EEENS1_30default_config_static_selectorELNS0_4arch9wavefront6targetE1EEEvT1_
                                        ; -- End function
	.section	.AMDGPU.csdata,"",@progbits
; Kernel info:
; codeLenInByte = 0
; NumSgprs: 4
; NumVgprs: 0
; NumAgprs: 0
; TotalNumVgprs: 0
; ScratchSize: 0
; MemoryBound: 0
; FloatMode: 240
; IeeeMode: 1
; LDSByteSize: 0 bytes/workgroup (compile time only)
; SGPRBlocks: 0
; VGPRBlocks: 0
; NumSGPRsForWavesPerEU: 4
; NumVGPRsForWavesPerEU: 1
; AccumOffset: 4
; Occupancy: 8
; WaveLimiterHint : 0
; COMPUTE_PGM_RSRC2:SCRATCH_EN: 0
; COMPUTE_PGM_RSRC2:USER_SGPR: 6
; COMPUTE_PGM_RSRC2:TRAP_HANDLER: 0
; COMPUTE_PGM_RSRC2:TGID_X_EN: 1
; COMPUTE_PGM_RSRC2:TGID_Y_EN: 0
; COMPUTE_PGM_RSRC2:TGID_Z_EN: 0
; COMPUTE_PGM_RSRC2:TIDIG_COMP_CNT: 0
; COMPUTE_PGM_RSRC3_GFX90A:ACCUM_OFFSET: 0
; COMPUTE_PGM_RSRC3_GFX90A:TG_SPLIT: 0
	.section	.text._ZN7rocprim17ROCPRIM_400000_NS6detail17trampoline_kernelINS0_14default_configENS1_35adjacent_difference_config_selectorILb1ElEEZNS1_24adjacent_difference_implIS3_Lb1ELb0EPlS7_ZN2at6native12_GLOBAL__N_124unique_dim_cuda_templateIdEESt5tupleIJNS8_6TensorESD_SD_EERKSD_lbbbEUlllE1_EE10hipError_tPvRmT2_T3_mT4_P12ihipStream_tbEUlT_E_NS1_11comp_targetILNS1_3genE9ELNS1_11target_archE1100ELNS1_3gpuE3ELNS1_3repE0EEENS1_30default_config_static_selectorELNS0_4arch9wavefront6targetE1EEEvT1_,"axG",@progbits,_ZN7rocprim17ROCPRIM_400000_NS6detail17trampoline_kernelINS0_14default_configENS1_35adjacent_difference_config_selectorILb1ElEEZNS1_24adjacent_difference_implIS3_Lb1ELb0EPlS7_ZN2at6native12_GLOBAL__N_124unique_dim_cuda_templateIdEESt5tupleIJNS8_6TensorESD_SD_EERKSD_lbbbEUlllE1_EE10hipError_tPvRmT2_T3_mT4_P12ihipStream_tbEUlT_E_NS1_11comp_targetILNS1_3genE9ELNS1_11target_archE1100ELNS1_3gpuE3ELNS1_3repE0EEENS1_30default_config_static_selectorELNS0_4arch9wavefront6targetE1EEEvT1_,comdat
	.globl	_ZN7rocprim17ROCPRIM_400000_NS6detail17trampoline_kernelINS0_14default_configENS1_35adjacent_difference_config_selectorILb1ElEEZNS1_24adjacent_difference_implIS3_Lb1ELb0EPlS7_ZN2at6native12_GLOBAL__N_124unique_dim_cuda_templateIdEESt5tupleIJNS8_6TensorESD_SD_EERKSD_lbbbEUlllE1_EE10hipError_tPvRmT2_T3_mT4_P12ihipStream_tbEUlT_E_NS1_11comp_targetILNS1_3genE9ELNS1_11target_archE1100ELNS1_3gpuE3ELNS1_3repE0EEENS1_30default_config_static_selectorELNS0_4arch9wavefront6targetE1EEEvT1_ ; -- Begin function _ZN7rocprim17ROCPRIM_400000_NS6detail17trampoline_kernelINS0_14default_configENS1_35adjacent_difference_config_selectorILb1ElEEZNS1_24adjacent_difference_implIS3_Lb1ELb0EPlS7_ZN2at6native12_GLOBAL__N_124unique_dim_cuda_templateIdEESt5tupleIJNS8_6TensorESD_SD_EERKSD_lbbbEUlllE1_EE10hipError_tPvRmT2_T3_mT4_P12ihipStream_tbEUlT_E_NS1_11comp_targetILNS1_3genE9ELNS1_11target_archE1100ELNS1_3gpuE3ELNS1_3repE0EEENS1_30default_config_static_selectorELNS0_4arch9wavefront6targetE1EEEvT1_
	.p2align	8
	.type	_ZN7rocprim17ROCPRIM_400000_NS6detail17trampoline_kernelINS0_14default_configENS1_35adjacent_difference_config_selectorILb1ElEEZNS1_24adjacent_difference_implIS3_Lb1ELb0EPlS7_ZN2at6native12_GLOBAL__N_124unique_dim_cuda_templateIdEESt5tupleIJNS8_6TensorESD_SD_EERKSD_lbbbEUlllE1_EE10hipError_tPvRmT2_T3_mT4_P12ihipStream_tbEUlT_E_NS1_11comp_targetILNS1_3genE9ELNS1_11target_archE1100ELNS1_3gpuE3ELNS1_3repE0EEENS1_30default_config_static_selectorELNS0_4arch9wavefront6targetE1EEEvT1_,@function
_ZN7rocprim17ROCPRIM_400000_NS6detail17trampoline_kernelINS0_14default_configENS1_35adjacent_difference_config_selectorILb1ElEEZNS1_24adjacent_difference_implIS3_Lb1ELb0EPlS7_ZN2at6native12_GLOBAL__N_124unique_dim_cuda_templateIdEESt5tupleIJNS8_6TensorESD_SD_EERKSD_lbbbEUlllE1_EE10hipError_tPvRmT2_T3_mT4_P12ihipStream_tbEUlT_E_NS1_11comp_targetILNS1_3genE9ELNS1_11target_archE1100ELNS1_3gpuE3ELNS1_3repE0EEENS1_30default_config_static_selectorELNS0_4arch9wavefront6targetE1EEEvT1_: ; @_ZN7rocprim17ROCPRIM_400000_NS6detail17trampoline_kernelINS0_14default_configENS1_35adjacent_difference_config_selectorILb1ElEEZNS1_24adjacent_difference_implIS3_Lb1ELb0EPlS7_ZN2at6native12_GLOBAL__N_124unique_dim_cuda_templateIdEESt5tupleIJNS8_6TensorESD_SD_EERKSD_lbbbEUlllE1_EE10hipError_tPvRmT2_T3_mT4_P12ihipStream_tbEUlT_E_NS1_11comp_targetILNS1_3genE9ELNS1_11target_archE1100ELNS1_3gpuE3ELNS1_3repE0EEENS1_30default_config_static_selectorELNS0_4arch9wavefront6targetE1EEEvT1_
; %bb.0:
	.section	.rodata,"a",@progbits
	.p2align	6, 0x0
	.amdhsa_kernel _ZN7rocprim17ROCPRIM_400000_NS6detail17trampoline_kernelINS0_14default_configENS1_35adjacent_difference_config_selectorILb1ElEEZNS1_24adjacent_difference_implIS3_Lb1ELb0EPlS7_ZN2at6native12_GLOBAL__N_124unique_dim_cuda_templateIdEESt5tupleIJNS8_6TensorESD_SD_EERKSD_lbbbEUlllE1_EE10hipError_tPvRmT2_T3_mT4_P12ihipStream_tbEUlT_E_NS1_11comp_targetILNS1_3genE9ELNS1_11target_archE1100ELNS1_3gpuE3ELNS1_3repE0EEENS1_30default_config_static_selectorELNS0_4arch9wavefront6targetE1EEEvT1_
		.amdhsa_group_segment_fixed_size 0
		.amdhsa_private_segment_fixed_size 0
		.amdhsa_kernarg_size 64
		.amdhsa_user_sgpr_count 6
		.amdhsa_user_sgpr_private_segment_buffer 1
		.amdhsa_user_sgpr_dispatch_ptr 0
		.amdhsa_user_sgpr_queue_ptr 0
		.amdhsa_user_sgpr_kernarg_segment_ptr 1
		.amdhsa_user_sgpr_dispatch_id 0
		.amdhsa_user_sgpr_flat_scratch_init 0
		.amdhsa_user_sgpr_kernarg_preload_length 0
		.amdhsa_user_sgpr_kernarg_preload_offset 0
		.amdhsa_user_sgpr_private_segment_size 0
		.amdhsa_uses_dynamic_stack 0
		.amdhsa_system_sgpr_private_segment_wavefront_offset 0
		.amdhsa_system_sgpr_workgroup_id_x 1
		.amdhsa_system_sgpr_workgroup_id_y 0
		.amdhsa_system_sgpr_workgroup_id_z 0
		.amdhsa_system_sgpr_workgroup_info 0
		.amdhsa_system_vgpr_workitem_id 0
		.amdhsa_next_free_vgpr 1
		.amdhsa_next_free_sgpr 0
		.amdhsa_accum_offset 4
		.amdhsa_reserve_vcc 0
		.amdhsa_reserve_flat_scratch 0
		.amdhsa_float_round_mode_32 0
		.amdhsa_float_round_mode_16_64 0
		.amdhsa_float_denorm_mode_32 3
		.amdhsa_float_denorm_mode_16_64 3
		.amdhsa_dx10_clamp 1
		.amdhsa_ieee_mode 1
		.amdhsa_fp16_overflow 0
		.amdhsa_tg_split 0
		.amdhsa_exception_fp_ieee_invalid_op 0
		.amdhsa_exception_fp_denorm_src 0
		.amdhsa_exception_fp_ieee_div_zero 0
		.amdhsa_exception_fp_ieee_overflow 0
		.amdhsa_exception_fp_ieee_underflow 0
		.amdhsa_exception_fp_ieee_inexact 0
		.amdhsa_exception_int_div_zero 0
	.end_amdhsa_kernel
	.section	.text._ZN7rocprim17ROCPRIM_400000_NS6detail17trampoline_kernelINS0_14default_configENS1_35adjacent_difference_config_selectorILb1ElEEZNS1_24adjacent_difference_implIS3_Lb1ELb0EPlS7_ZN2at6native12_GLOBAL__N_124unique_dim_cuda_templateIdEESt5tupleIJNS8_6TensorESD_SD_EERKSD_lbbbEUlllE1_EE10hipError_tPvRmT2_T3_mT4_P12ihipStream_tbEUlT_E_NS1_11comp_targetILNS1_3genE9ELNS1_11target_archE1100ELNS1_3gpuE3ELNS1_3repE0EEENS1_30default_config_static_selectorELNS0_4arch9wavefront6targetE1EEEvT1_,"axG",@progbits,_ZN7rocprim17ROCPRIM_400000_NS6detail17trampoline_kernelINS0_14default_configENS1_35adjacent_difference_config_selectorILb1ElEEZNS1_24adjacent_difference_implIS3_Lb1ELb0EPlS7_ZN2at6native12_GLOBAL__N_124unique_dim_cuda_templateIdEESt5tupleIJNS8_6TensorESD_SD_EERKSD_lbbbEUlllE1_EE10hipError_tPvRmT2_T3_mT4_P12ihipStream_tbEUlT_E_NS1_11comp_targetILNS1_3genE9ELNS1_11target_archE1100ELNS1_3gpuE3ELNS1_3repE0EEENS1_30default_config_static_selectorELNS0_4arch9wavefront6targetE1EEEvT1_,comdat
.Lfunc_end805:
	.size	_ZN7rocprim17ROCPRIM_400000_NS6detail17trampoline_kernelINS0_14default_configENS1_35adjacent_difference_config_selectorILb1ElEEZNS1_24adjacent_difference_implIS3_Lb1ELb0EPlS7_ZN2at6native12_GLOBAL__N_124unique_dim_cuda_templateIdEESt5tupleIJNS8_6TensorESD_SD_EERKSD_lbbbEUlllE1_EE10hipError_tPvRmT2_T3_mT4_P12ihipStream_tbEUlT_E_NS1_11comp_targetILNS1_3genE9ELNS1_11target_archE1100ELNS1_3gpuE3ELNS1_3repE0EEENS1_30default_config_static_selectorELNS0_4arch9wavefront6targetE1EEEvT1_, .Lfunc_end805-_ZN7rocprim17ROCPRIM_400000_NS6detail17trampoline_kernelINS0_14default_configENS1_35adjacent_difference_config_selectorILb1ElEEZNS1_24adjacent_difference_implIS3_Lb1ELb0EPlS7_ZN2at6native12_GLOBAL__N_124unique_dim_cuda_templateIdEESt5tupleIJNS8_6TensorESD_SD_EERKSD_lbbbEUlllE1_EE10hipError_tPvRmT2_T3_mT4_P12ihipStream_tbEUlT_E_NS1_11comp_targetILNS1_3genE9ELNS1_11target_archE1100ELNS1_3gpuE3ELNS1_3repE0EEENS1_30default_config_static_selectorELNS0_4arch9wavefront6targetE1EEEvT1_
                                        ; -- End function
	.section	.AMDGPU.csdata,"",@progbits
; Kernel info:
; codeLenInByte = 0
; NumSgprs: 4
; NumVgprs: 0
; NumAgprs: 0
; TotalNumVgprs: 0
; ScratchSize: 0
; MemoryBound: 0
; FloatMode: 240
; IeeeMode: 1
; LDSByteSize: 0 bytes/workgroup (compile time only)
; SGPRBlocks: 0
; VGPRBlocks: 0
; NumSGPRsForWavesPerEU: 4
; NumVGPRsForWavesPerEU: 1
; AccumOffset: 4
; Occupancy: 8
; WaveLimiterHint : 0
; COMPUTE_PGM_RSRC2:SCRATCH_EN: 0
; COMPUTE_PGM_RSRC2:USER_SGPR: 6
; COMPUTE_PGM_RSRC2:TRAP_HANDLER: 0
; COMPUTE_PGM_RSRC2:TGID_X_EN: 1
; COMPUTE_PGM_RSRC2:TGID_Y_EN: 0
; COMPUTE_PGM_RSRC2:TGID_Z_EN: 0
; COMPUTE_PGM_RSRC2:TIDIG_COMP_CNT: 0
; COMPUTE_PGM_RSRC3_GFX90A:ACCUM_OFFSET: 0
; COMPUTE_PGM_RSRC3_GFX90A:TG_SPLIT: 0
	.section	.text._ZN7rocprim17ROCPRIM_400000_NS6detail17trampoline_kernelINS0_14default_configENS1_35adjacent_difference_config_selectorILb1ElEEZNS1_24adjacent_difference_implIS3_Lb1ELb0EPlS7_ZN2at6native12_GLOBAL__N_124unique_dim_cuda_templateIdEESt5tupleIJNS8_6TensorESD_SD_EERKSD_lbbbEUlllE1_EE10hipError_tPvRmT2_T3_mT4_P12ihipStream_tbEUlT_E_NS1_11comp_targetILNS1_3genE8ELNS1_11target_archE1030ELNS1_3gpuE2ELNS1_3repE0EEENS1_30default_config_static_selectorELNS0_4arch9wavefront6targetE1EEEvT1_,"axG",@progbits,_ZN7rocprim17ROCPRIM_400000_NS6detail17trampoline_kernelINS0_14default_configENS1_35adjacent_difference_config_selectorILb1ElEEZNS1_24adjacent_difference_implIS3_Lb1ELb0EPlS7_ZN2at6native12_GLOBAL__N_124unique_dim_cuda_templateIdEESt5tupleIJNS8_6TensorESD_SD_EERKSD_lbbbEUlllE1_EE10hipError_tPvRmT2_T3_mT4_P12ihipStream_tbEUlT_E_NS1_11comp_targetILNS1_3genE8ELNS1_11target_archE1030ELNS1_3gpuE2ELNS1_3repE0EEENS1_30default_config_static_selectorELNS0_4arch9wavefront6targetE1EEEvT1_,comdat
	.globl	_ZN7rocprim17ROCPRIM_400000_NS6detail17trampoline_kernelINS0_14default_configENS1_35adjacent_difference_config_selectorILb1ElEEZNS1_24adjacent_difference_implIS3_Lb1ELb0EPlS7_ZN2at6native12_GLOBAL__N_124unique_dim_cuda_templateIdEESt5tupleIJNS8_6TensorESD_SD_EERKSD_lbbbEUlllE1_EE10hipError_tPvRmT2_T3_mT4_P12ihipStream_tbEUlT_E_NS1_11comp_targetILNS1_3genE8ELNS1_11target_archE1030ELNS1_3gpuE2ELNS1_3repE0EEENS1_30default_config_static_selectorELNS0_4arch9wavefront6targetE1EEEvT1_ ; -- Begin function _ZN7rocprim17ROCPRIM_400000_NS6detail17trampoline_kernelINS0_14default_configENS1_35adjacent_difference_config_selectorILb1ElEEZNS1_24adjacent_difference_implIS3_Lb1ELb0EPlS7_ZN2at6native12_GLOBAL__N_124unique_dim_cuda_templateIdEESt5tupleIJNS8_6TensorESD_SD_EERKSD_lbbbEUlllE1_EE10hipError_tPvRmT2_T3_mT4_P12ihipStream_tbEUlT_E_NS1_11comp_targetILNS1_3genE8ELNS1_11target_archE1030ELNS1_3gpuE2ELNS1_3repE0EEENS1_30default_config_static_selectorELNS0_4arch9wavefront6targetE1EEEvT1_
	.p2align	8
	.type	_ZN7rocprim17ROCPRIM_400000_NS6detail17trampoline_kernelINS0_14default_configENS1_35adjacent_difference_config_selectorILb1ElEEZNS1_24adjacent_difference_implIS3_Lb1ELb0EPlS7_ZN2at6native12_GLOBAL__N_124unique_dim_cuda_templateIdEESt5tupleIJNS8_6TensorESD_SD_EERKSD_lbbbEUlllE1_EE10hipError_tPvRmT2_T3_mT4_P12ihipStream_tbEUlT_E_NS1_11comp_targetILNS1_3genE8ELNS1_11target_archE1030ELNS1_3gpuE2ELNS1_3repE0EEENS1_30default_config_static_selectorELNS0_4arch9wavefront6targetE1EEEvT1_,@function
_ZN7rocprim17ROCPRIM_400000_NS6detail17trampoline_kernelINS0_14default_configENS1_35adjacent_difference_config_selectorILb1ElEEZNS1_24adjacent_difference_implIS3_Lb1ELb0EPlS7_ZN2at6native12_GLOBAL__N_124unique_dim_cuda_templateIdEESt5tupleIJNS8_6TensorESD_SD_EERKSD_lbbbEUlllE1_EE10hipError_tPvRmT2_T3_mT4_P12ihipStream_tbEUlT_E_NS1_11comp_targetILNS1_3genE8ELNS1_11target_archE1030ELNS1_3gpuE2ELNS1_3repE0EEENS1_30default_config_static_selectorELNS0_4arch9wavefront6targetE1EEEvT1_: ; @_ZN7rocprim17ROCPRIM_400000_NS6detail17trampoline_kernelINS0_14default_configENS1_35adjacent_difference_config_selectorILb1ElEEZNS1_24adjacent_difference_implIS3_Lb1ELb0EPlS7_ZN2at6native12_GLOBAL__N_124unique_dim_cuda_templateIdEESt5tupleIJNS8_6TensorESD_SD_EERKSD_lbbbEUlllE1_EE10hipError_tPvRmT2_T3_mT4_P12ihipStream_tbEUlT_E_NS1_11comp_targetILNS1_3genE8ELNS1_11target_archE1030ELNS1_3gpuE2ELNS1_3repE0EEENS1_30default_config_static_selectorELNS0_4arch9wavefront6targetE1EEEvT1_
; %bb.0:
	.section	.rodata,"a",@progbits
	.p2align	6, 0x0
	.amdhsa_kernel _ZN7rocprim17ROCPRIM_400000_NS6detail17trampoline_kernelINS0_14default_configENS1_35adjacent_difference_config_selectorILb1ElEEZNS1_24adjacent_difference_implIS3_Lb1ELb0EPlS7_ZN2at6native12_GLOBAL__N_124unique_dim_cuda_templateIdEESt5tupleIJNS8_6TensorESD_SD_EERKSD_lbbbEUlllE1_EE10hipError_tPvRmT2_T3_mT4_P12ihipStream_tbEUlT_E_NS1_11comp_targetILNS1_3genE8ELNS1_11target_archE1030ELNS1_3gpuE2ELNS1_3repE0EEENS1_30default_config_static_selectorELNS0_4arch9wavefront6targetE1EEEvT1_
		.amdhsa_group_segment_fixed_size 0
		.amdhsa_private_segment_fixed_size 0
		.amdhsa_kernarg_size 64
		.amdhsa_user_sgpr_count 6
		.amdhsa_user_sgpr_private_segment_buffer 1
		.amdhsa_user_sgpr_dispatch_ptr 0
		.amdhsa_user_sgpr_queue_ptr 0
		.amdhsa_user_sgpr_kernarg_segment_ptr 1
		.amdhsa_user_sgpr_dispatch_id 0
		.amdhsa_user_sgpr_flat_scratch_init 0
		.amdhsa_user_sgpr_kernarg_preload_length 0
		.amdhsa_user_sgpr_kernarg_preload_offset 0
		.amdhsa_user_sgpr_private_segment_size 0
		.amdhsa_uses_dynamic_stack 0
		.amdhsa_system_sgpr_private_segment_wavefront_offset 0
		.amdhsa_system_sgpr_workgroup_id_x 1
		.amdhsa_system_sgpr_workgroup_id_y 0
		.amdhsa_system_sgpr_workgroup_id_z 0
		.amdhsa_system_sgpr_workgroup_info 0
		.amdhsa_system_vgpr_workitem_id 0
		.amdhsa_next_free_vgpr 1
		.amdhsa_next_free_sgpr 0
		.amdhsa_accum_offset 4
		.amdhsa_reserve_vcc 0
		.amdhsa_reserve_flat_scratch 0
		.amdhsa_float_round_mode_32 0
		.amdhsa_float_round_mode_16_64 0
		.amdhsa_float_denorm_mode_32 3
		.amdhsa_float_denorm_mode_16_64 3
		.amdhsa_dx10_clamp 1
		.amdhsa_ieee_mode 1
		.amdhsa_fp16_overflow 0
		.amdhsa_tg_split 0
		.amdhsa_exception_fp_ieee_invalid_op 0
		.amdhsa_exception_fp_denorm_src 0
		.amdhsa_exception_fp_ieee_div_zero 0
		.amdhsa_exception_fp_ieee_overflow 0
		.amdhsa_exception_fp_ieee_underflow 0
		.amdhsa_exception_fp_ieee_inexact 0
		.amdhsa_exception_int_div_zero 0
	.end_amdhsa_kernel
	.section	.text._ZN7rocprim17ROCPRIM_400000_NS6detail17trampoline_kernelINS0_14default_configENS1_35adjacent_difference_config_selectorILb1ElEEZNS1_24adjacent_difference_implIS3_Lb1ELb0EPlS7_ZN2at6native12_GLOBAL__N_124unique_dim_cuda_templateIdEESt5tupleIJNS8_6TensorESD_SD_EERKSD_lbbbEUlllE1_EE10hipError_tPvRmT2_T3_mT4_P12ihipStream_tbEUlT_E_NS1_11comp_targetILNS1_3genE8ELNS1_11target_archE1030ELNS1_3gpuE2ELNS1_3repE0EEENS1_30default_config_static_selectorELNS0_4arch9wavefront6targetE1EEEvT1_,"axG",@progbits,_ZN7rocprim17ROCPRIM_400000_NS6detail17trampoline_kernelINS0_14default_configENS1_35adjacent_difference_config_selectorILb1ElEEZNS1_24adjacent_difference_implIS3_Lb1ELb0EPlS7_ZN2at6native12_GLOBAL__N_124unique_dim_cuda_templateIdEESt5tupleIJNS8_6TensorESD_SD_EERKSD_lbbbEUlllE1_EE10hipError_tPvRmT2_T3_mT4_P12ihipStream_tbEUlT_E_NS1_11comp_targetILNS1_3genE8ELNS1_11target_archE1030ELNS1_3gpuE2ELNS1_3repE0EEENS1_30default_config_static_selectorELNS0_4arch9wavefront6targetE1EEEvT1_,comdat
.Lfunc_end806:
	.size	_ZN7rocprim17ROCPRIM_400000_NS6detail17trampoline_kernelINS0_14default_configENS1_35adjacent_difference_config_selectorILb1ElEEZNS1_24adjacent_difference_implIS3_Lb1ELb0EPlS7_ZN2at6native12_GLOBAL__N_124unique_dim_cuda_templateIdEESt5tupleIJNS8_6TensorESD_SD_EERKSD_lbbbEUlllE1_EE10hipError_tPvRmT2_T3_mT4_P12ihipStream_tbEUlT_E_NS1_11comp_targetILNS1_3genE8ELNS1_11target_archE1030ELNS1_3gpuE2ELNS1_3repE0EEENS1_30default_config_static_selectorELNS0_4arch9wavefront6targetE1EEEvT1_, .Lfunc_end806-_ZN7rocprim17ROCPRIM_400000_NS6detail17trampoline_kernelINS0_14default_configENS1_35adjacent_difference_config_selectorILb1ElEEZNS1_24adjacent_difference_implIS3_Lb1ELb0EPlS7_ZN2at6native12_GLOBAL__N_124unique_dim_cuda_templateIdEESt5tupleIJNS8_6TensorESD_SD_EERKSD_lbbbEUlllE1_EE10hipError_tPvRmT2_T3_mT4_P12ihipStream_tbEUlT_E_NS1_11comp_targetILNS1_3genE8ELNS1_11target_archE1030ELNS1_3gpuE2ELNS1_3repE0EEENS1_30default_config_static_selectorELNS0_4arch9wavefront6targetE1EEEvT1_
                                        ; -- End function
	.section	.AMDGPU.csdata,"",@progbits
; Kernel info:
; codeLenInByte = 0
; NumSgprs: 4
; NumVgprs: 0
; NumAgprs: 0
; TotalNumVgprs: 0
; ScratchSize: 0
; MemoryBound: 0
; FloatMode: 240
; IeeeMode: 1
; LDSByteSize: 0 bytes/workgroup (compile time only)
; SGPRBlocks: 0
; VGPRBlocks: 0
; NumSGPRsForWavesPerEU: 4
; NumVGPRsForWavesPerEU: 1
; AccumOffset: 4
; Occupancy: 8
; WaveLimiterHint : 0
; COMPUTE_PGM_RSRC2:SCRATCH_EN: 0
; COMPUTE_PGM_RSRC2:USER_SGPR: 6
; COMPUTE_PGM_RSRC2:TRAP_HANDLER: 0
; COMPUTE_PGM_RSRC2:TGID_X_EN: 1
; COMPUTE_PGM_RSRC2:TGID_Y_EN: 0
; COMPUTE_PGM_RSRC2:TGID_Z_EN: 0
; COMPUTE_PGM_RSRC2:TIDIG_COMP_CNT: 0
; COMPUTE_PGM_RSRC3_GFX90A:ACCUM_OFFSET: 0
; COMPUTE_PGM_RSRC3_GFX90A:TG_SPLIT: 0
	.section	.text._ZN7rocprim17ROCPRIM_400000_NS6detail17trampoline_kernelINS0_14default_configENS1_25partition_config_selectorILNS1_17partition_subalgoE8ElNS0_10empty_typeEbEEZZNS1_14partition_implILS5_8ELb0ES3_jPlPS6_PKS6_NS0_5tupleIJS9_S6_EEENSD_IJSA_SA_EEENS0_18inequality_wrapperIZN2at6native12_GLOBAL__N_124unique_dim_cuda_templateIdEESt5tupleIJNSH_6TensorESM_SM_EERKSM_lbbbEUlllE0_EEPmJS6_EEE10hipError_tPvRmT3_T4_T5_T6_T7_T9_mT8_P12ihipStream_tbDpT10_ENKUlT_T0_E_clISt17integral_constantIbLb0EES1C_EEDaS17_S18_EUlS17_E_NS1_11comp_targetILNS1_3genE0ELNS1_11target_archE4294967295ELNS1_3gpuE0ELNS1_3repE0EEENS1_30default_config_static_selectorELNS0_4arch9wavefront6targetE1EEEvT1_,"axG",@progbits,_ZN7rocprim17ROCPRIM_400000_NS6detail17trampoline_kernelINS0_14default_configENS1_25partition_config_selectorILNS1_17partition_subalgoE8ElNS0_10empty_typeEbEEZZNS1_14partition_implILS5_8ELb0ES3_jPlPS6_PKS6_NS0_5tupleIJS9_S6_EEENSD_IJSA_SA_EEENS0_18inequality_wrapperIZN2at6native12_GLOBAL__N_124unique_dim_cuda_templateIdEESt5tupleIJNSH_6TensorESM_SM_EERKSM_lbbbEUlllE0_EEPmJS6_EEE10hipError_tPvRmT3_T4_T5_T6_T7_T9_mT8_P12ihipStream_tbDpT10_ENKUlT_T0_E_clISt17integral_constantIbLb0EES1C_EEDaS17_S18_EUlS17_E_NS1_11comp_targetILNS1_3genE0ELNS1_11target_archE4294967295ELNS1_3gpuE0ELNS1_3repE0EEENS1_30default_config_static_selectorELNS0_4arch9wavefront6targetE1EEEvT1_,comdat
	.globl	_ZN7rocprim17ROCPRIM_400000_NS6detail17trampoline_kernelINS0_14default_configENS1_25partition_config_selectorILNS1_17partition_subalgoE8ElNS0_10empty_typeEbEEZZNS1_14partition_implILS5_8ELb0ES3_jPlPS6_PKS6_NS0_5tupleIJS9_S6_EEENSD_IJSA_SA_EEENS0_18inequality_wrapperIZN2at6native12_GLOBAL__N_124unique_dim_cuda_templateIdEESt5tupleIJNSH_6TensorESM_SM_EERKSM_lbbbEUlllE0_EEPmJS6_EEE10hipError_tPvRmT3_T4_T5_T6_T7_T9_mT8_P12ihipStream_tbDpT10_ENKUlT_T0_E_clISt17integral_constantIbLb0EES1C_EEDaS17_S18_EUlS17_E_NS1_11comp_targetILNS1_3genE0ELNS1_11target_archE4294967295ELNS1_3gpuE0ELNS1_3repE0EEENS1_30default_config_static_selectorELNS0_4arch9wavefront6targetE1EEEvT1_ ; -- Begin function _ZN7rocprim17ROCPRIM_400000_NS6detail17trampoline_kernelINS0_14default_configENS1_25partition_config_selectorILNS1_17partition_subalgoE8ElNS0_10empty_typeEbEEZZNS1_14partition_implILS5_8ELb0ES3_jPlPS6_PKS6_NS0_5tupleIJS9_S6_EEENSD_IJSA_SA_EEENS0_18inequality_wrapperIZN2at6native12_GLOBAL__N_124unique_dim_cuda_templateIdEESt5tupleIJNSH_6TensorESM_SM_EERKSM_lbbbEUlllE0_EEPmJS6_EEE10hipError_tPvRmT3_T4_T5_T6_T7_T9_mT8_P12ihipStream_tbDpT10_ENKUlT_T0_E_clISt17integral_constantIbLb0EES1C_EEDaS17_S18_EUlS17_E_NS1_11comp_targetILNS1_3genE0ELNS1_11target_archE4294967295ELNS1_3gpuE0ELNS1_3repE0EEENS1_30default_config_static_selectorELNS0_4arch9wavefront6targetE1EEEvT1_
	.p2align	8
	.type	_ZN7rocprim17ROCPRIM_400000_NS6detail17trampoline_kernelINS0_14default_configENS1_25partition_config_selectorILNS1_17partition_subalgoE8ElNS0_10empty_typeEbEEZZNS1_14partition_implILS5_8ELb0ES3_jPlPS6_PKS6_NS0_5tupleIJS9_S6_EEENSD_IJSA_SA_EEENS0_18inequality_wrapperIZN2at6native12_GLOBAL__N_124unique_dim_cuda_templateIdEESt5tupleIJNSH_6TensorESM_SM_EERKSM_lbbbEUlllE0_EEPmJS6_EEE10hipError_tPvRmT3_T4_T5_T6_T7_T9_mT8_P12ihipStream_tbDpT10_ENKUlT_T0_E_clISt17integral_constantIbLb0EES1C_EEDaS17_S18_EUlS17_E_NS1_11comp_targetILNS1_3genE0ELNS1_11target_archE4294967295ELNS1_3gpuE0ELNS1_3repE0EEENS1_30default_config_static_selectorELNS0_4arch9wavefront6targetE1EEEvT1_,@function
_ZN7rocprim17ROCPRIM_400000_NS6detail17trampoline_kernelINS0_14default_configENS1_25partition_config_selectorILNS1_17partition_subalgoE8ElNS0_10empty_typeEbEEZZNS1_14partition_implILS5_8ELb0ES3_jPlPS6_PKS6_NS0_5tupleIJS9_S6_EEENSD_IJSA_SA_EEENS0_18inequality_wrapperIZN2at6native12_GLOBAL__N_124unique_dim_cuda_templateIdEESt5tupleIJNSH_6TensorESM_SM_EERKSM_lbbbEUlllE0_EEPmJS6_EEE10hipError_tPvRmT3_T4_T5_T6_T7_T9_mT8_P12ihipStream_tbDpT10_ENKUlT_T0_E_clISt17integral_constantIbLb0EES1C_EEDaS17_S18_EUlS17_E_NS1_11comp_targetILNS1_3genE0ELNS1_11target_archE4294967295ELNS1_3gpuE0ELNS1_3repE0EEENS1_30default_config_static_selectorELNS0_4arch9wavefront6targetE1EEEvT1_: ; @_ZN7rocprim17ROCPRIM_400000_NS6detail17trampoline_kernelINS0_14default_configENS1_25partition_config_selectorILNS1_17partition_subalgoE8ElNS0_10empty_typeEbEEZZNS1_14partition_implILS5_8ELb0ES3_jPlPS6_PKS6_NS0_5tupleIJS9_S6_EEENSD_IJSA_SA_EEENS0_18inequality_wrapperIZN2at6native12_GLOBAL__N_124unique_dim_cuda_templateIdEESt5tupleIJNSH_6TensorESM_SM_EERKSM_lbbbEUlllE0_EEPmJS6_EEE10hipError_tPvRmT3_T4_T5_T6_T7_T9_mT8_P12ihipStream_tbDpT10_ENKUlT_T0_E_clISt17integral_constantIbLb0EES1C_EEDaS17_S18_EUlS17_E_NS1_11comp_targetILNS1_3genE0ELNS1_11target_archE4294967295ELNS1_3gpuE0ELNS1_3repE0EEENS1_30default_config_static_selectorELNS0_4arch9wavefront6targetE1EEEvT1_
; %bb.0:
	.section	.rodata,"a",@progbits
	.p2align	6, 0x0
	.amdhsa_kernel _ZN7rocprim17ROCPRIM_400000_NS6detail17trampoline_kernelINS0_14default_configENS1_25partition_config_selectorILNS1_17partition_subalgoE8ElNS0_10empty_typeEbEEZZNS1_14partition_implILS5_8ELb0ES3_jPlPS6_PKS6_NS0_5tupleIJS9_S6_EEENSD_IJSA_SA_EEENS0_18inequality_wrapperIZN2at6native12_GLOBAL__N_124unique_dim_cuda_templateIdEESt5tupleIJNSH_6TensorESM_SM_EERKSM_lbbbEUlllE0_EEPmJS6_EEE10hipError_tPvRmT3_T4_T5_T6_T7_T9_mT8_P12ihipStream_tbDpT10_ENKUlT_T0_E_clISt17integral_constantIbLb0EES1C_EEDaS17_S18_EUlS17_E_NS1_11comp_targetILNS1_3genE0ELNS1_11target_archE4294967295ELNS1_3gpuE0ELNS1_3repE0EEENS1_30default_config_static_selectorELNS0_4arch9wavefront6targetE1EEEvT1_
		.amdhsa_group_segment_fixed_size 0
		.amdhsa_private_segment_fixed_size 0
		.amdhsa_kernarg_size 120
		.amdhsa_user_sgpr_count 6
		.amdhsa_user_sgpr_private_segment_buffer 1
		.amdhsa_user_sgpr_dispatch_ptr 0
		.amdhsa_user_sgpr_queue_ptr 0
		.amdhsa_user_sgpr_kernarg_segment_ptr 1
		.amdhsa_user_sgpr_dispatch_id 0
		.amdhsa_user_sgpr_flat_scratch_init 0
		.amdhsa_user_sgpr_kernarg_preload_length 0
		.amdhsa_user_sgpr_kernarg_preload_offset 0
		.amdhsa_user_sgpr_private_segment_size 0
		.amdhsa_uses_dynamic_stack 0
		.amdhsa_system_sgpr_private_segment_wavefront_offset 0
		.amdhsa_system_sgpr_workgroup_id_x 1
		.amdhsa_system_sgpr_workgroup_id_y 0
		.amdhsa_system_sgpr_workgroup_id_z 0
		.amdhsa_system_sgpr_workgroup_info 0
		.amdhsa_system_vgpr_workitem_id 0
		.amdhsa_next_free_vgpr 1
		.amdhsa_next_free_sgpr 0
		.amdhsa_accum_offset 4
		.amdhsa_reserve_vcc 0
		.amdhsa_reserve_flat_scratch 0
		.amdhsa_float_round_mode_32 0
		.amdhsa_float_round_mode_16_64 0
		.amdhsa_float_denorm_mode_32 3
		.amdhsa_float_denorm_mode_16_64 3
		.amdhsa_dx10_clamp 1
		.amdhsa_ieee_mode 1
		.amdhsa_fp16_overflow 0
		.amdhsa_tg_split 0
		.amdhsa_exception_fp_ieee_invalid_op 0
		.amdhsa_exception_fp_denorm_src 0
		.amdhsa_exception_fp_ieee_div_zero 0
		.amdhsa_exception_fp_ieee_overflow 0
		.amdhsa_exception_fp_ieee_underflow 0
		.amdhsa_exception_fp_ieee_inexact 0
		.amdhsa_exception_int_div_zero 0
	.end_amdhsa_kernel
	.section	.text._ZN7rocprim17ROCPRIM_400000_NS6detail17trampoline_kernelINS0_14default_configENS1_25partition_config_selectorILNS1_17partition_subalgoE8ElNS0_10empty_typeEbEEZZNS1_14partition_implILS5_8ELb0ES3_jPlPS6_PKS6_NS0_5tupleIJS9_S6_EEENSD_IJSA_SA_EEENS0_18inequality_wrapperIZN2at6native12_GLOBAL__N_124unique_dim_cuda_templateIdEESt5tupleIJNSH_6TensorESM_SM_EERKSM_lbbbEUlllE0_EEPmJS6_EEE10hipError_tPvRmT3_T4_T5_T6_T7_T9_mT8_P12ihipStream_tbDpT10_ENKUlT_T0_E_clISt17integral_constantIbLb0EES1C_EEDaS17_S18_EUlS17_E_NS1_11comp_targetILNS1_3genE0ELNS1_11target_archE4294967295ELNS1_3gpuE0ELNS1_3repE0EEENS1_30default_config_static_selectorELNS0_4arch9wavefront6targetE1EEEvT1_,"axG",@progbits,_ZN7rocprim17ROCPRIM_400000_NS6detail17trampoline_kernelINS0_14default_configENS1_25partition_config_selectorILNS1_17partition_subalgoE8ElNS0_10empty_typeEbEEZZNS1_14partition_implILS5_8ELb0ES3_jPlPS6_PKS6_NS0_5tupleIJS9_S6_EEENSD_IJSA_SA_EEENS0_18inequality_wrapperIZN2at6native12_GLOBAL__N_124unique_dim_cuda_templateIdEESt5tupleIJNSH_6TensorESM_SM_EERKSM_lbbbEUlllE0_EEPmJS6_EEE10hipError_tPvRmT3_T4_T5_T6_T7_T9_mT8_P12ihipStream_tbDpT10_ENKUlT_T0_E_clISt17integral_constantIbLb0EES1C_EEDaS17_S18_EUlS17_E_NS1_11comp_targetILNS1_3genE0ELNS1_11target_archE4294967295ELNS1_3gpuE0ELNS1_3repE0EEENS1_30default_config_static_selectorELNS0_4arch9wavefront6targetE1EEEvT1_,comdat
.Lfunc_end807:
	.size	_ZN7rocprim17ROCPRIM_400000_NS6detail17trampoline_kernelINS0_14default_configENS1_25partition_config_selectorILNS1_17partition_subalgoE8ElNS0_10empty_typeEbEEZZNS1_14partition_implILS5_8ELb0ES3_jPlPS6_PKS6_NS0_5tupleIJS9_S6_EEENSD_IJSA_SA_EEENS0_18inequality_wrapperIZN2at6native12_GLOBAL__N_124unique_dim_cuda_templateIdEESt5tupleIJNSH_6TensorESM_SM_EERKSM_lbbbEUlllE0_EEPmJS6_EEE10hipError_tPvRmT3_T4_T5_T6_T7_T9_mT8_P12ihipStream_tbDpT10_ENKUlT_T0_E_clISt17integral_constantIbLb0EES1C_EEDaS17_S18_EUlS17_E_NS1_11comp_targetILNS1_3genE0ELNS1_11target_archE4294967295ELNS1_3gpuE0ELNS1_3repE0EEENS1_30default_config_static_selectorELNS0_4arch9wavefront6targetE1EEEvT1_, .Lfunc_end807-_ZN7rocprim17ROCPRIM_400000_NS6detail17trampoline_kernelINS0_14default_configENS1_25partition_config_selectorILNS1_17partition_subalgoE8ElNS0_10empty_typeEbEEZZNS1_14partition_implILS5_8ELb0ES3_jPlPS6_PKS6_NS0_5tupleIJS9_S6_EEENSD_IJSA_SA_EEENS0_18inequality_wrapperIZN2at6native12_GLOBAL__N_124unique_dim_cuda_templateIdEESt5tupleIJNSH_6TensorESM_SM_EERKSM_lbbbEUlllE0_EEPmJS6_EEE10hipError_tPvRmT3_T4_T5_T6_T7_T9_mT8_P12ihipStream_tbDpT10_ENKUlT_T0_E_clISt17integral_constantIbLb0EES1C_EEDaS17_S18_EUlS17_E_NS1_11comp_targetILNS1_3genE0ELNS1_11target_archE4294967295ELNS1_3gpuE0ELNS1_3repE0EEENS1_30default_config_static_selectorELNS0_4arch9wavefront6targetE1EEEvT1_
                                        ; -- End function
	.section	.AMDGPU.csdata,"",@progbits
; Kernel info:
; codeLenInByte = 0
; NumSgprs: 4
; NumVgprs: 0
; NumAgprs: 0
; TotalNumVgprs: 0
; ScratchSize: 0
; MemoryBound: 0
; FloatMode: 240
; IeeeMode: 1
; LDSByteSize: 0 bytes/workgroup (compile time only)
; SGPRBlocks: 0
; VGPRBlocks: 0
; NumSGPRsForWavesPerEU: 4
; NumVGPRsForWavesPerEU: 1
; AccumOffset: 4
; Occupancy: 8
; WaveLimiterHint : 0
; COMPUTE_PGM_RSRC2:SCRATCH_EN: 0
; COMPUTE_PGM_RSRC2:USER_SGPR: 6
; COMPUTE_PGM_RSRC2:TRAP_HANDLER: 0
; COMPUTE_PGM_RSRC2:TGID_X_EN: 1
; COMPUTE_PGM_RSRC2:TGID_Y_EN: 0
; COMPUTE_PGM_RSRC2:TGID_Z_EN: 0
; COMPUTE_PGM_RSRC2:TIDIG_COMP_CNT: 0
; COMPUTE_PGM_RSRC3_GFX90A:ACCUM_OFFSET: 0
; COMPUTE_PGM_RSRC3_GFX90A:TG_SPLIT: 0
	.section	.text._ZN7rocprim17ROCPRIM_400000_NS6detail17trampoline_kernelINS0_14default_configENS1_25partition_config_selectorILNS1_17partition_subalgoE8ElNS0_10empty_typeEbEEZZNS1_14partition_implILS5_8ELb0ES3_jPlPS6_PKS6_NS0_5tupleIJS9_S6_EEENSD_IJSA_SA_EEENS0_18inequality_wrapperIZN2at6native12_GLOBAL__N_124unique_dim_cuda_templateIdEESt5tupleIJNSH_6TensorESM_SM_EERKSM_lbbbEUlllE0_EEPmJS6_EEE10hipError_tPvRmT3_T4_T5_T6_T7_T9_mT8_P12ihipStream_tbDpT10_ENKUlT_T0_E_clISt17integral_constantIbLb0EES1C_EEDaS17_S18_EUlS17_E_NS1_11comp_targetILNS1_3genE5ELNS1_11target_archE942ELNS1_3gpuE9ELNS1_3repE0EEENS1_30default_config_static_selectorELNS0_4arch9wavefront6targetE1EEEvT1_,"axG",@progbits,_ZN7rocprim17ROCPRIM_400000_NS6detail17trampoline_kernelINS0_14default_configENS1_25partition_config_selectorILNS1_17partition_subalgoE8ElNS0_10empty_typeEbEEZZNS1_14partition_implILS5_8ELb0ES3_jPlPS6_PKS6_NS0_5tupleIJS9_S6_EEENSD_IJSA_SA_EEENS0_18inequality_wrapperIZN2at6native12_GLOBAL__N_124unique_dim_cuda_templateIdEESt5tupleIJNSH_6TensorESM_SM_EERKSM_lbbbEUlllE0_EEPmJS6_EEE10hipError_tPvRmT3_T4_T5_T6_T7_T9_mT8_P12ihipStream_tbDpT10_ENKUlT_T0_E_clISt17integral_constantIbLb0EES1C_EEDaS17_S18_EUlS17_E_NS1_11comp_targetILNS1_3genE5ELNS1_11target_archE942ELNS1_3gpuE9ELNS1_3repE0EEENS1_30default_config_static_selectorELNS0_4arch9wavefront6targetE1EEEvT1_,comdat
	.globl	_ZN7rocprim17ROCPRIM_400000_NS6detail17trampoline_kernelINS0_14default_configENS1_25partition_config_selectorILNS1_17partition_subalgoE8ElNS0_10empty_typeEbEEZZNS1_14partition_implILS5_8ELb0ES3_jPlPS6_PKS6_NS0_5tupleIJS9_S6_EEENSD_IJSA_SA_EEENS0_18inequality_wrapperIZN2at6native12_GLOBAL__N_124unique_dim_cuda_templateIdEESt5tupleIJNSH_6TensorESM_SM_EERKSM_lbbbEUlllE0_EEPmJS6_EEE10hipError_tPvRmT3_T4_T5_T6_T7_T9_mT8_P12ihipStream_tbDpT10_ENKUlT_T0_E_clISt17integral_constantIbLb0EES1C_EEDaS17_S18_EUlS17_E_NS1_11comp_targetILNS1_3genE5ELNS1_11target_archE942ELNS1_3gpuE9ELNS1_3repE0EEENS1_30default_config_static_selectorELNS0_4arch9wavefront6targetE1EEEvT1_ ; -- Begin function _ZN7rocprim17ROCPRIM_400000_NS6detail17trampoline_kernelINS0_14default_configENS1_25partition_config_selectorILNS1_17partition_subalgoE8ElNS0_10empty_typeEbEEZZNS1_14partition_implILS5_8ELb0ES3_jPlPS6_PKS6_NS0_5tupleIJS9_S6_EEENSD_IJSA_SA_EEENS0_18inequality_wrapperIZN2at6native12_GLOBAL__N_124unique_dim_cuda_templateIdEESt5tupleIJNSH_6TensorESM_SM_EERKSM_lbbbEUlllE0_EEPmJS6_EEE10hipError_tPvRmT3_T4_T5_T6_T7_T9_mT8_P12ihipStream_tbDpT10_ENKUlT_T0_E_clISt17integral_constantIbLb0EES1C_EEDaS17_S18_EUlS17_E_NS1_11comp_targetILNS1_3genE5ELNS1_11target_archE942ELNS1_3gpuE9ELNS1_3repE0EEENS1_30default_config_static_selectorELNS0_4arch9wavefront6targetE1EEEvT1_
	.p2align	8
	.type	_ZN7rocprim17ROCPRIM_400000_NS6detail17trampoline_kernelINS0_14default_configENS1_25partition_config_selectorILNS1_17partition_subalgoE8ElNS0_10empty_typeEbEEZZNS1_14partition_implILS5_8ELb0ES3_jPlPS6_PKS6_NS0_5tupleIJS9_S6_EEENSD_IJSA_SA_EEENS0_18inequality_wrapperIZN2at6native12_GLOBAL__N_124unique_dim_cuda_templateIdEESt5tupleIJNSH_6TensorESM_SM_EERKSM_lbbbEUlllE0_EEPmJS6_EEE10hipError_tPvRmT3_T4_T5_T6_T7_T9_mT8_P12ihipStream_tbDpT10_ENKUlT_T0_E_clISt17integral_constantIbLb0EES1C_EEDaS17_S18_EUlS17_E_NS1_11comp_targetILNS1_3genE5ELNS1_11target_archE942ELNS1_3gpuE9ELNS1_3repE0EEENS1_30default_config_static_selectorELNS0_4arch9wavefront6targetE1EEEvT1_,@function
_ZN7rocprim17ROCPRIM_400000_NS6detail17trampoline_kernelINS0_14default_configENS1_25partition_config_selectorILNS1_17partition_subalgoE8ElNS0_10empty_typeEbEEZZNS1_14partition_implILS5_8ELb0ES3_jPlPS6_PKS6_NS0_5tupleIJS9_S6_EEENSD_IJSA_SA_EEENS0_18inequality_wrapperIZN2at6native12_GLOBAL__N_124unique_dim_cuda_templateIdEESt5tupleIJNSH_6TensorESM_SM_EERKSM_lbbbEUlllE0_EEPmJS6_EEE10hipError_tPvRmT3_T4_T5_T6_T7_T9_mT8_P12ihipStream_tbDpT10_ENKUlT_T0_E_clISt17integral_constantIbLb0EES1C_EEDaS17_S18_EUlS17_E_NS1_11comp_targetILNS1_3genE5ELNS1_11target_archE942ELNS1_3gpuE9ELNS1_3repE0EEENS1_30default_config_static_selectorELNS0_4arch9wavefront6targetE1EEEvT1_: ; @_ZN7rocprim17ROCPRIM_400000_NS6detail17trampoline_kernelINS0_14default_configENS1_25partition_config_selectorILNS1_17partition_subalgoE8ElNS0_10empty_typeEbEEZZNS1_14partition_implILS5_8ELb0ES3_jPlPS6_PKS6_NS0_5tupleIJS9_S6_EEENSD_IJSA_SA_EEENS0_18inequality_wrapperIZN2at6native12_GLOBAL__N_124unique_dim_cuda_templateIdEESt5tupleIJNSH_6TensorESM_SM_EERKSM_lbbbEUlllE0_EEPmJS6_EEE10hipError_tPvRmT3_T4_T5_T6_T7_T9_mT8_P12ihipStream_tbDpT10_ENKUlT_T0_E_clISt17integral_constantIbLb0EES1C_EEDaS17_S18_EUlS17_E_NS1_11comp_targetILNS1_3genE5ELNS1_11target_archE942ELNS1_3gpuE9ELNS1_3repE0EEENS1_30default_config_static_selectorELNS0_4arch9wavefront6targetE1EEEvT1_
; %bb.0:
	.section	.rodata,"a",@progbits
	.p2align	6, 0x0
	.amdhsa_kernel _ZN7rocprim17ROCPRIM_400000_NS6detail17trampoline_kernelINS0_14default_configENS1_25partition_config_selectorILNS1_17partition_subalgoE8ElNS0_10empty_typeEbEEZZNS1_14partition_implILS5_8ELb0ES3_jPlPS6_PKS6_NS0_5tupleIJS9_S6_EEENSD_IJSA_SA_EEENS0_18inequality_wrapperIZN2at6native12_GLOBAL__N_124unique_dim_cuda_templateIdEESt5tupleIJNSH_6TensorESM_SM_EERKSM_lbbbEUlllE0_EEPmJS6_EEE10hipError_tPvRmT3_T4_T5_T6_T7_T9_mT8_P12ihipStream_tbDpT10_ENKUlT_T0_E_clISt17integral_constantIbLb0EES1C_EEDaS17_S18_EUlS17_E_NS1_11comp_targetILNS1_3genE5ELNS1_11target_archE942ELNS1_3gpuE9ELNS1_3repE0EEENS1_30default_config_static_selectorELNS0_4arch9wavefront6targetE1EEEvT1_
		.amdhsa_group_segment_fixed_size 0
		.amdhsa_private_segment_fixed_size 0
		.amdhsa_kernarg_size 120
		.amdhsa_user_sgpr_count 6
		.amdhsa_user_sgpr_private_segment_buffer 1
		.amdhsa_user_sgpr_dispatch_ptr 0
		.amdhsa_user_sgpr_queue_ptr 0
		.amdhsa_user_sgpr_kernarg_segment_ptr 1
		.amdhsa_user_sgpr_dispatch_id 0
		.amdhsa_user_sgpr_flat_scratch_init 0
		.amdhsa_user_sgpr_kernarg_preload_length 0
		.amdhsa_user_sgpr_kernarg_preload_offset 0
		.amdhsa_user_sgpr_private_segment_size 0
		.amdhsa_uses_dynamic_stack 0
		.amdhsa_system_sgpr_private_segment_wavefront_offset 0
		.amdhsa_system_sgpr_workgroup_id_x 1
		.amdhsa_system_sgpr_workgroup_id_y 0
		.amdhsa_system_sgpr_workgroup_id_z 0
		.amdhsa_system_sgpr_workgroup_info 0
		.amdhsa_system_vgpr_workitem_id 0
		.amdhsa_next_free_vgpr 1
		.amdhsa_next_free_sgpr 0
		.amdhsa_accum_offset 4
		.amdhsa_reserve_vcc 0
		.amdhsa_reserve_flat_scratch 0
		.amdhsa_float_round_mode_32 0
		.amdhsa_float_round_mode_16_64 0
		.amdhsa_float_denorm_mode_32 3
		.amdhsa_float_denorm_mode_16_64 3
		.amdhsa_dx10_clamp 1
		.amdhsa_ieee_mode 1
		.amdhsa_fp16_overflow 0
		.amdhsa_tg_split 0
		.amdhsa_exception_fp_ieee_invalid_op 0
		.amdhsa_exception_fp_denorm_src 0
		.amdhsa_exception_fp_ieee_div_zero 0
		.amdhsa_exception_fp_ieee_overflow 0
		.amdhsa_exception_fp_ieee_underflow 0
		.amdhsa_exception_fp_ieee_inexact 0
		.amdhsa_exception_int_div_zero 0
	.end_amdhsa_kernel
	.section	.text._ZN7rocprim17ROCPRIM_400000_NS6detail17trampoline_kernelINS0_14default_configENS1_25partition_config_selectorILNS1_17partition_subalgoE8ElNS0_10empty_typeEbEEZZNS1_14partition_implILS5_8ELb0ES3_jPlPS6_PKS6_NS0_5tupleIJS9_S6_EEENSD_IJSA_SA_EEENS0_18inequality_wrapperIZN2at6native12_GLOBAL__N_124unique_dim_cuda_templateIdEESt5tupleIJNSH_6TensorESM_SM_EERKSM_lbbbEUlllE0_EEPmJS6_EEE10hipError_tPvRmT3_T4_T5_T6_T7_T9_mT8_P12ihipStream_tbDpT10_ENKUlT_T0_E_clISt17integral_constantIbLb0EES1C_EEDaS17_S18_EUlS17_E_NS1_11comp_targetILNS1_3genE5ELNS1_11target_archE942ELNS1_3gpuE9ELNS1_3repE0EEENS1_30default_config_static_selectorELNS0_4arch9wavefront6targetE1EEEvT1_,"axG",@progbits,_ZN7rocprim17ROCPRIM_400000_NS6detail17trampoline_kernelINS0_14default_configENS1_25partition_config_selectorILNS1_17partition_subalgoE8ElNS0_10empty_typeEbEEZZNS1_14partition_implILS5_8ELb0ES3_jPlPS6_PKS6_NS0_5tupleIJS9_S6_EEENSD_IJSA_SA_EEENS0_18inequality_wrapperIZN2at6native12_GLOBAL__N_124unique_dim_cuda_templateIdEESt5tupleIJNSH_6TensorESM_SM_EERKSM_lbbbEUlllE0_EEPmJS6_EEE10hipError_tPvRmT3_T4_T5_T6_T7_T9_mT8_P12ihipStream_tbDpT10_ENKUlT_T0_E_clISt17integral_constantIbLb0EES1C_EEDaS17_S18_EUlS17_E_NS1_11comp_targetILNS1_3genE5ELNS1_11target_archE942ELNS1_3gpuE9ELNS1_3repE0EEENS1_30default_config_static_selectorELNS0_4arch9wavefront6targetE1EEEvT1_,comdat
.Lfunc_end808:
	.size	_ZN7rocprim17ROCPRIM_400000_NS6detail17trampoline_kernelINS0_14default_configENS1_25partition_config_selectorILNS1_17partition_subalgoE8ElNS0_10empty_typeEbEEZZNS1_14partition_implILS5_8ELb0ES3_jPlPS6_PKS6_NS0_5tupleIJS9_S6_EEENSD_IJSA_SA_EEENS0_18inequality_wrapperIZN2at6native12_GLOBAL__N_124unique_dim_cuda_templateIdEESt5tupleIJNSH_6TensorESM_SM_EERKSM_lbbbEUlllE0_EEPmJS6_EEE10hipError_tPvRmT3_T4_T5_T6_T7_T9_mT8_P12ihipStream_tbDpT10_ENKUlT_T0_E_clISt17integral_constantIbLb0EES1C_EEDaS17_S18_EUlS17_E_NS1_11comp_targetILNS1_3genE5ELNS1_11target_archE942ELNS1_3gpuE9ELNS1_3repE0EEENS1_30default_config_static_selectorELNS0_4arch9wavefront6targetE1EEEvT1_, .Lfunc_end808-_ZN7rocprim17ROCPRIM_400000_NS6detail17trampoline_kernelINS0_14default_configENS1_25partition_config_selectorILNS1_17partition_subalgoE8ElNS0_10empty_typeEbEEZZNS1_14partition_implILS5_8ELb0ES3_jPlPS6_PKS6_NS0_5tupleIJS9_S6_EEENSD_IJSA_SA_EEENS0_18inequality_wrapperIZN2at6native12_GLOBAL__N_124unique_dim_cuda_templateIdEESt5tupleIJNSH_6TensorESM_SM_EERKSM_lbbbEUlllE0_EEPmJS6_EEE10hipError_tPvRmT3_T4_T5_T6_T7_T9_mT8_P12ihipStream_tbDpT10_ENKUlT_T0_E_clISt17integral_constantIbLb0EES1C_EEDaS17_S18_EUlS17_E_NS1_11comp_targetILNS1_3genE5ELNS1_11target_archE942ELNS1_3gpuE9ELNS1_3repE0EEENS1_30default_config_static_selectorELNS0_4arch9wavefront6targetE1EEEvT1_
                                        ; -- End function
	.section	.AMDGPU.csdata,"",@progbits
; Kernel info:
; codeLenInByte = 0
; NumSgprs: 4
; NumVgprs: 0
; NumAgprs: 0
; TotalNumVgprs: 0
; ScratchSize: 0
; MemoryBound: 0
; FloatMode: 240
; IeeeMode: 1
; LDSByteSize: 0 bytes/workgroup (compile time only)
; SGPRBlocks: 0
; VGPRBlocks: 0
; NumSGPRsForWavesPerEU: 4
; NumVGPRsForWavesPerEU: 1
; AccumOffset: 4
; Occupancy: 8
; WaveLimiterHint : 0
; COMPUTE_PGM_RSRC2:SCRATCH_EN: 0
; COMPUTE_PGM_RSRC2:USER_SGPR: 6
; COMPUTE_PGM_RSRC2:TRAP_HANDLER: 0
; COMPUTE_PGM_RSRC2:TGID_X_EN: 1
; COMPUTE_PGM_RSRC2:TGID_Y_EN: 0
; COMPUTE_PGM_RSRC2:TGID_Z_EN: 0
; COMPUTE_PGM_RSRC2:TIDIG_COMP_CNT: 0
; COMPUTE_PGM_RSRC3_GFX90A:ACCUM_OFFSET: 0
; COMPUTE_PGM_RSRC3_GFX90A:TG_SPLIT: 0
	.section	.text._ZN7rocprim17ROCPRIM_400000_NS6detail17trampoline_kernelINS0_14default_configENS1_25partition_config_selectorILNS1_17partition_subalgoE8ElNS0_10empty_typeEbEEZZNS1_14partition_implILS5_8ELb0ES3_jPlPS6_PKS6_NS0_5tupleIJS9_S6_EEENSD_IJSA_SA_EEENS0_18inequality_wrapperIZN2at6native12_GLOBAL__N_124unique_dim_cuda_templateIdEESt5tupleIJNSH_6TensorESM_SM_EERKSM_lbbbEUlllE0_EEPmJS6_EEE10hipError_tPvRmT3_T4_T5_T6_T7_T9_mT8_P12ihipStream_tbDpT10_ENKUlT_T0_E_clISt17integral_constantIbLb0EES1C_EEDaS17_S18_EUlS17_E_NS1_11comp_targetILNS1_3genE4ELNS1_11target_archE910ELNS1_3gpuE8ELNS1_3repE0EEENS1_30default_config_static_selectorELNS0_4arch9wavefront6targetE1EEEvT1_,"axG",@progbits,_ZN7rocprim17ROCPRIM_400000_NS6detail17trampoline_kernelINS0_14default_configENS1_25partition_config_selectorILNS1_17partition_subalgoE8ElNS0_10empty_typeEbEEZZNS1_14partition_implILS5_8ELb0ES3_jPlPS6_PKS6_NS0_5tupleIJS9_S6_EEENSD_IJSA_SA_EEENS0_18inequality_wrapperIZN2at6native12_GLOBAL__N_124unique_dim_cuda_templateIdEESt5tupleIJNSH_6TensorESM_SM_EERKSM_lbbbEUlllE0_EEPmJS6_EEE10hipError_tPvRmT3_T4_T5_T6_T7_T9_mT8_P12ihipStream_tbDpT10_ENKUlT_T0_E_clISt17integral_constantIbLb0EES1C_EEDaS17_S18_EUlS17_E_NS1_11comp_targetILNS1_3genE4ELNS1_11target_archE910ELNS1_3gpuE8ELNS1_3repE0EEENS1_30default_config_static_selectorELNS0_4arch9wavefront6targetE1EEEvT1_,comdat
	.globl	_ZN7rocprim17ROCPRIM_400000_NS6detail17trampoline_kernelINS0_14default_configENS1_25partition_config_selectorILNS1_17partition_subalgoE8ElNS0_10empty_typeEbEEZZNS1_14partition_implILS5_8ELb0ES3_jPlPS6_PKS6_NS0_5tupleIJS9_S6_EEENSD_IJSA_SA_EEENS0_18inequality_wrapperIZN2at6native12_GLOBAL__N_124unique_dim_cuda_templateIdEESt5tupleIJNSH_6TensorESM_SM_EERKSM_lbbbEUlllE0_EEPmJS6_EEE10hipError_tPvRmT3_T4_T5_T6_T7_T9_mT8_P12ihipStream_tbDpT10_ENKUlT_T0_E_clISt17integral_constantIbLb0EES1C_EEDaS17_S18_EUlS17_E_NS1_11comp_targetILNS1_3genE4ELNS1_11target_archE910ELNS1_3gpuE8ELNS1_3repE0EEENS1_30default_config_static_selectorELNS0_4arch9wavefront6targetE1EEEvT1_ ; -- Begin function _ZN7rocprim17ROCPRIM_400000_NS6detail17trampoline_kernelINS0_14default_configENS1_25partition_config_selectorILNS1_17partition_subalgoE8ElNS0_10empty_typeEbEEZZNS1_14partition_implILS5_8ELb0ES3_jPlPS6_PKS6_NS0_5tupleIJS9_S6_EEENSD_IJSA_SA_EEENS0_18inequality_wrapperIZN2at6native12_GLOBAL__N_124unique_dim_cuda_templateIdEESt5tupleIJNSH_6TensorESM_SM_EERKSM_lbbbEUlllE0_EEPmJS6_EEE10hipError_tPvRmT3_T4_T5_T6_T7_T9_mT8_P12ihipStream_tbDpT10_ENKUlT_T0_E_clISt17integral_constantIbLb0EES1C_EEDaS17_S18_EUlS17_E_NS1_11comp_targetILNS1_3genE4ELNS1_11target_archE910ELNS1_3gpuE8ELNS1_3repE0EEENS1_30default_config_static_selectorELNS0_4arch9wavefront6targetE1EEEvT1_
	.p2align	8
	.type	_ZN7rocprim17ROCPRIM_400000_NS6detail17trampoline_kernelINS0_14default_configENS1_25partition_config_selectorILNS1_17partition_subalgoE8ElNS0_10empty_typeEbEEZZNS1_14partition_implILS5_8ELb0ES3_jPlPS6_PKS6_NS0_5tupleIJS9_S6_EEENSD_IJSA_SA_EEENS0_18inequality_wrapperIZN2at6native12_GLOBAL__N_124unique_dim_cuda_templateIdEESt5tupleIJNSH_6TensorESM_SM_EERKSM_lbbbEUlllE0_EEPmJS6_EEE10hipError_tPvRmT3_T4_T5_T6_T7_T9_mT8_P12ihipStream_tbDpT10_ENKUlT_T0_E_clISt17integral_constantIbLb0EES1C_EEDaS17_S18_EUlS17_E_NS1_11comp_targetILNS1_3genE4ELNS1_11target_archE910ELNS1_3gpuE8ELNS1_3repE0EEENS1_30default_config_static_selectorELNS0_4arch9wavefront6targetE1EEEvT1_,@function
_ZN7rocprim17ROCPRIM_400000_NS6detail17trampoline_kernelINS0_14default_configENS1_25partition_config_selectorILNS1_17partition_subalgoE8ElNS0_10empty_typeEbEEZZNS1_14partition_implILS5_8ELb0ES3_jPlPS6_PKS6_NS0_5tupleIJS9_S6_EEENSD_IJSA_SA_EEENS0_18inequality_wrapperIZN2at6native12_GLOBAL__N_124unique_dim_cuda_templateIdEESt5tupleIJNSH_6TensorESM_SM_EERKSM_lbbbEUlllE0_EEPmJS6_EEE10hipError_tPvRmT3_T4_T5_T6_T7_T9_mT8_P12ihipStream_tbDpT10_ENKUlT_T0_E_clISt17integral_constantIbLb0EES1C_EEDaS17_S18_EUlS17_E_NS1_11comp_targetILNS1_3genE4ELNS1_11target_archE910ELNS1_3gpuE8ELNS1_3repE0EEENS1_30default_config_static_selectorELNS0_4arch9wavefront6targetE1EEEvT1_: ; @_ZN7rocprim17ROCPRIM_400000_NS6detail17trampoline_kernelINS0_14default_configENS1_25partition_config_selectorILNS1_17partition_subalgoE8ElNS0_10empty_typeEbEEZZNS1_14partition_implILS5_8ELb0ES3_jPlPS6_PKS6_NS0_5tupleIJS9_S6_EEENSD_IJSA_SA_EEENS0_18inequality_wrapperIZN2at6native12_GLOBAL__N_124unique_dim_cuda_templateIdEESt5tupleIJNSH_6TensorESM_SM_EERKSM_lbbbEUlllE0_EEPmJS6_EEE10hipError_tPvRmT3_T4_T5_T6_T7_T9_mT8_P12ihipStream_tbDpT10_ENKUlT_T0_E_clISt17integral_constantIbLb0EES1C_EEDaS17_S18_EUlS17_E_NS1_11comp_targetILNS1_3genE4ELNS1_11target_archE910ELNS1_3gpuE8ELNS1_3repE0EEENS1_30default_config_static_selectorELNS0_4arch9wavefront6targetE1EEEvT1_
; %bb.0:
	s_load_dwordx8 s[20:27], s[4:5], 0x40
	s_load_dwordx4 s[0:3], s[4:5], 0x8
	s_load_dwordx4 s[28:31], s[4:5], 0x60
	s_load_dword s7, s[4:5], 0x70
	s_waitcnt lgkmcnt(0)
	v_mov_b32_e32 v2, s24
	s_lshl_b64 s[8:9], s[2:3], 3
	s_add_u32 s12, s0, s8
	s_mul_i32 s8, s7, 0x500
	s_addc_u32 s13, s1, s9
	s_add_i32 s1, s8, s2
	s_add_i32 s10, s7, -1
	s_sub_i32 s7, s24, s1
	s_add_u32 s8, s2, s8
	s_addc_u32 s9, s3, 0
	v_mov_b32_e32 v3, s25
	s_cmp_eq_u32 s6, s10
	s_load_dwordx2 s[22:23], s[22:23], 0x0
	v_cmp_ge_u64_e32 vcc, s[8:9], v[2:3]
	s_cselect_b64 s[24:25], -1, 0
	s_mul_i32 s0, s6, 0x500
	s_mov_b32 s1, 0
	s_and_b64 s[10:11], s[24:25], vcc
	s_xor_b64 s[34:35], s[10:11], -1
	s_lshl_b64 s[0:1], s[0:1], 3
	s_add_u32 s0, s12, s0
	s_mov_b64 s[8:9], -1
	s_addc_u32 s1, s13, s1
	s_and_b64 vcc, exec, s[34:35]
	s_cbranch_vccz .LBB809_2
; %bb.1:
	v_lshlrev_b32_e32 v1, 3, v0
	v_mov_b32_e32 v2, s1
	v_add_co_u32_e32 v12, vcc, s0, v1
	v_addc_co_u32_e32 v13, vcc, 0, v2, vcc
	v_add_co_u32_e32 v2, vcc, 0x1000, v12
	v_addc_co_u32_e32 v3, vcc, 0, v13, vcc
	global_load_dwordx2 v[4:5], v1, s[0:1]
	global_load_dwordx2 v[6:7], v1, s[0:1] offset:2048
	global_load_dwordx2 v[8:9], v[2:3], off
	global_load_dwordx2 v[10:11], v[2:3], off offset:2048
	v_add_co_u32_e32 v2, vcc, 0x2000, v12
	v_addc_co_u32_e32 v3, vcc, 0, v13, vcc
	global_load_dwordx2 v[2:3], v[2:3], off
	s_mov_b64 s[8:9], 0
	s_waitcnt vmcnt(3)
	ds_write2st64_b64 v1, v[4:5], v[6:7] offset1:4
	s_waitcnt vmcnt(1)
	ds_write2st64_b64 v1, v[8:9], v[10:11] offset0:8 offset1:12
	s_waitcnt vmcnt(0)
	ds_write_b64 v1, v[2:3] offset:8192
	s_waitcnt lgkmcnt(0)
	s_barrier
.LBB809_2:
	s_andn2_b64 vcc, exec, s[8:9]
	s_addk_i32 s7, 0x500
	s_cbranch_vccnz .LBB809_14
; %bb.3:
	v_cmp_gt_u32_e32 vcc, s7, v0
                                        ; implicit-def: $vgpr2_vgpr3_vgpr4_vgpr5_vgpr6_vgpr7_vgpr8_vgpr9_vgpr10_vgpr11_vgpr12_vgpr13_vgpr14_vgpr15_vgpr16_vgpr17
	s_and_saveexec_b64 s[8:9], vcc
	s_cbranch_execz .LBB809_5
; %bb.4:
	v_lshlrev_b32_e32 v1, 3, v0
	global_load_dwordx2 v[2:3], v1, s[0:1]
.LBB809_5:
	s_or_b64 exec, exec, s[8:9]
	v_or_b32_e32 v1, 0x100, v0
	v_cmp_gt_u32_e32 vcc, s7, v1
	s_and_saveexec_b64 s[8:9], vcc
	s_cbranch_execz .LBB809_7
; %bb.6:
	v_lshlrev_b32_e32 v1, 3, v0
	global_load_dwordx2 v[4:5], v1, s[0:1] offset:2048
.LBB809_7:
	s_or_b64 exec, exec, s[8:9]
	v_or_b32_e32 v1, 0x200, v0
	v_cmp_gt_u32_e32 vcc, s7, v1
	s_and_saveexec_b64 s[8:9], vcc
	s_cbranch_execz .LBB809_9
; %bb.8:
	v_lshlrev_b32_e32 v1, 3, v1
	global_load_dwordx2 v[6:7], v1, s[0:1]
.LBB809_9:
	s_or_b64 exec, exec, s[8:9]
	v_or_b32_e32 v1, 0x300, v0
	v_cmp_gt_u32_e32 vcc, s7, v1
	s_and_saveexec_b64 s[8:9], vcc
	s_cbranch_execz .LBB809_11
; %bb.10:
	v_lshlrev_b32_e32 v1, 3, v1
	global_load_dwordx2 v[8:9], v1, s[0:1]
.LBB809_11:
	;; [unrolled: 9-line block ×3, first 2 shown]
	s_or_b64 exec, exec, s[8:9]
	v_lshlrev_b32_e32 v1, 3, v0
	s_waitcnt vmcnt(0)
	ds_write2st64_b64 v1, v[2:3], v[4:5] offset1:4
	ds_write2st64_b64 v1, v[6:7], v[8:9] offset0:8 offset1:12
	ds_write_b64 v1, v[10:11] offset:8192
	s_waitcnt lgkmcnt(0)
	s_barrier
.LBB809_14:
	v_mul_u32_u24_e32 v1, 5, v0
	v_lshlrev_b32_e32 v20, 3, v1
	s_waitcnt lgkmcnt(0)
	ds_read2_b64 v[6:9], v20 offset1:1
	ds_read2_b64 v[2:5], v20 offset0:2 offset1:3
	ds_read_b64 v[10:11], v20 offset:32
	s_cmp_lg_u32 s6, 0
	s_cselect_b64 s[16:17], -1, 0
	s_cmp_lg_u64 s[2:3], 0
	s_cselect_b64 s[2:3], -1, 0
	s_or_b64 s[2:3], s[16:17], s[2:3]
	v_mad_u32_u24 v24, v0, 5, 1
	v_mad_u32_u24 v22, v0, 5, 2
	v_mad_u32_u24 v25, v0, 5, 3
	v_mad_u32_u24 v23, v0, 5, 4
	s_mov_b64 s[12:13], 0
	s_and_b64 vcc, exec, s[2:3]
	v_cmp_gt_i64_e64 s[2:3], s[26:27], 0
	s_waitcnt lgkmcnt(0)
	s_barrier
	s_cbranch_vccz .LBB809_23
; %bb.15:
	s_add_u32 s0, s0, -8
	s_addc_u32 s1, s1, -1
	s_load_dwordx2 s[12:13], s[0:1], 0x0
	v_cndmask_b32_e64 v12, 0, 1, s[2:3]
	v_lshlrev_b32_e32 v21, 3, v0
	s_mov_b64 s[14:15], 0
	s_and_b64 vcc, exec, s[34:35]
	v_cmp_ne_u32_e64 s[0:1], 1, v12
	ds_write_b64 v21, v[10:11]
	s_cbranch_vccz .LBB809_24
; %bb.16:
	v_mul_lo_u32 v14, v5, s26
	v_mul_lo_u32 v15, v4, s27
	v_mad_u64_u32 v[12:13], s[2:3], v4, s26, 0
	v_add3_u32 v13, v13, v15, v14
	s_and_b64 vcc, exec, s[0:1]
	v_lshlrev_b64 v[12:13], 3, v[12:13]
	s_cbranch_vccnz .LBB809_27
; %bb.17:
	v_mul_lo_u32 v16, v11, s26
	v_mul_lo_u32 v17, v10, s27
	v_mad_u64_u32 v[14:15], s[2:3], v10, s26, 0
	v_add3_u32 v15, v15, v17, v16
	v_mov_b32_e32 v17, s29
	v_add_co_u32_e32 v16, vcc, s28, v12
	v_addc_co_u32_e64 v17, s[2:3], v17, v13, vcc
	v_lshlrev_b64 v[14:15], 3, v[14:15]
	v_mov_b32_e32 v19, s29
	v_add_co_u32_e64 v18, s[2:3], s28, v14
	v_addc_co_u32_e64 v19, s[8:9], v19, v15, s[2:3]
	global_load_dwordx2 v[26:27], v[16:17], off
	global_load_dwordx2 v[28:29], v[18:19], off
	s_mov_b64 s[14:15], -1
	s_waitcnt vmcnt(0)
	v_cmp_eq_f64_e64 s[8:9], v[26:27], v[28:29]
	s_and_saveexec_b64 s[18:19], s[8:9]
	s_cbranch_execz .LBB809_26
; %bb.18:
	v_mov_b32_e32 v14, s29
	v_addc_co_u32_e64 v15, s[2:3], v15, v14, s[2:3]
	v_add_co_u32_e64 v14, s[2:3], 8, v18
	v_mov_b32_e32 v17, s29
	v_addc_co_u32_e64 v15, s[2:3], 0, v15, s[2:3]
	v_addc_co_u32_e32 v17, vcc, v13, v17, vcc
	v_add_co_u32_e32 v16, vcc, 8, v16
	s_add_u32 s2, s26, -1
	v_addc_co_u32_e32 v17, vcc, 0, v17, vcc
	s_addc_u32 s3, s27, -1
	s_mov_b64 s[8:9], 0
	s_mov_b64 s[36:37], 0
                                        ; implicit-def: $sgpr14_sgpr15
	s_branch .LBB809_21
.LBB809_19:                             ;   in Loop: Header=BB809_21 Depth=1
	global_load_dwordx2 v[18:19], v[16:17], off
	global_load_dwordx2 v[26:27], v[14:15], off
	v_add_co_u32_e32 v14, vcc, 8, v14
	v_addc_co_u32_e32 v15, vcc, 0, v15, vcc
	v_add_co_u32_e32 v16, vcc, 8, v16
	v_addc_co_u32_e32 v17, vcc, 0, v17, vcc
	s_add_u32 s36, s36, 1
	s_addc_u32 s37, s37, 0
	s_andn2_b64 s[14:15], s[14:15], exec
	s_waitcnt vmcnt(0)
	v_cmp_neq_f64_e32 vcc, v[18:19], v[26:27]
	s_and_b64 s[38:39], vcc, exec
	s_or_b64 s[14:15], s[14:15], s[38:39]
.LBB809_20:                             ;   in Loop: Header=BB809_21 Depth=1
	s_and_b64 s[38:39], exec, s[14:15]
	s_or_b64 s[8:9], s[38:39], s[8:9]
	v_pk_mov_b32 v[18:19], s[36:37], s[36:37] op_sel:[0,1]
	s_andn2_b64 exec, exec, s[8:9]
	s_cbranch_execz .LBB809_25
.LBB809_21:                             ; =>This Inner Loop Header: Depth=1
	s_or_b64 s[14:15], s[14:15], exec
	s_cmp_eq_u64 s[2:3], s[36:37]
	s_cbranch_scc0 .LBB809_19
; %bb.22:                               ;   in Loop: Header=BB809_21 Depth=1
                                        ; implicit-def: $vgpr14_vgpr15
                                        ; implicit-def: $vgpr16_vgpr17
	s_mov_b64 s[36:37], s[26:27]
	s_branch .LBB809_20
.LBB809_23:
                                        ; implicit-def: $sgpr18_sgpr19
                                        ; implicit-def: $vgpr13
                                        ; implicit-def: $vgpr16
	s_branch .LBB809_125
.LBB809_24:
                                        ; implicit-def: $sgpr18_sgpr19
                                        ; implicit-def: $vgpr13
                                        ; implicit-def: $vgpr16
	s_cbranch_execnz .LBB809_66
	s_branch .LBB809_124
.LBB809_25:
	s_or_b64 exec, exec, s[8:9]
	v_cmp_gt_i64_e32 vcc, s[26:27], v[18:19]
	s_orn2_b64 s[14:15], vcc, exec
.LBB809_26:
	s_or_b64 exec, exec, s[18:19]
.LBB809_27:
	v_mul_lo_u32 v16, v3, s26
	v_mul_lo_u32 v17, v2, s27
	v_mad_u64_u32 v[14:15], s[2:3], v2, s26, 0
	v_add3_u32 v15, v15, v17, v16
	s_mov_b64 s[18:19], 0
	s_and_b64 vcc, exec, s[0:1]
	v_lshlrev_b64 v[16:17], 3, v[14:15]
	s_mov_b64 s[36:37], 0
	s_cbranch_vccnz .LBB809_36
; %bb.28:
	v_mov_b32_e32 v15, s29
	v_add_co_u32_e32 v14, vcc, s28, v16
	v_addc_co_u32_e64 v15, s[2:3], v15, v17, vcc
	v_mov_b32_e32 v19, s29
	v_add_co_u32_e64 v18, s[2:3], s28, v12
	v_addc_co_u32_e64 v19, s[8:9], v19, v13, s[2:3]
	global_load_dwordx2 v[26:27], v[14:15], off
	global_load_dwordx2 v[28:29], v[18:19], off
	s_mov_b64 s[36:37], -1
	s_waitcnt vmcnt(0)
	v_cmp_eq_f64_e64 s[8:9], v[26:27], v[28:29]
	s_and_saveexec_b64 s[38:39], s[8:9]
	s_cbranch_execz .LBB809_35
; %bb.29:
	v_mov_b32_e32 v12, s29
	v_addc_co_u32_e64 v13, s[2:3], v13, v12, s[2:3]
	v_add_co_u32_e64 v12, s[2:3], 8, v18
	v_mov_b32_e32 v15, s29
	v_addc_co_u32_e64 v13, s[2:3], 0, v13, s[2:3]
	v_addc_co_u32_e32 v15, vcc, v17, v15, vcc
	v_add_co_u32_e32 v14, vcc, 8, v14
	s_add_u32 s2, s26, -1
	v_addc_co_u32_e32 v15, vcc, 0, v15, vcc
	s_addc_u32 s3, s27, -1
	s_mov_b64 s[8:9], 0
	s_mov_b64 s[40:41], 0
                                        ; implicit-def: $sgpr36_sgpr37
	s_branch .LBB809_32
.LBB809_30:                             ;   in Loop: Header=BB809_32 Depth=1
	global_load_dwordx2 v[18:19], v[14:15], off
	global_load_dwordx2 v[26:27], v[12:13], off
	v_add_co_u32_e32 v12, vcc, 8, v12
	v_addc_co_u32_e32 v13, vcc, 0, v13, vcc
	v_add_co_u32_e32 v14, vcc, 8, v14
	v_addc_co_u32_e32 v15, vcc, 0, v15, vcc
	s_add_u32 s40, s40, 1
	s_addc_u32 s41, s41, 0
	s_andn2_b64 s[36:37], s[36:37], exec
	s_waitcnt vmcnt(0)
	v_cmp_neq_f64_e32 vcc, v[18:19], v[26:27]
	s_and_b64 s[42:43], vcc, exec
	s_or_b64 s[36:37], s[36:37], s[42:43]
.LBB809_31:                             ;   in Loop: Header=BB809_32 Depth=1
	s_and_b64 s[42:43], exec, s[36:37]
	s_or_b64 s[8:9], s[42:43], s[8:9]
	v_pk_mov_b32 v[18:19], s[40:41], s[40:41] op_sel:[0,1]
	s_andn2_b64 exec, exec, s[8:9]
	s_cbranch_execz .LBB809_34
.LBB809_32:                             ; =>This Inner Loop Header: Depth=1
	s_or_b64 s[36:37], s[36:37], exec
	s_cmp_eq_u64 s[2:3], s[40:41]
	s_cbranch_scc0 .LBB809_30
; %bb.33:                               ;   in Loop: Header=BB809_32 Depth=1
                                        ; implicit-def: $vgpr12_vgpr13
                                        ; implicit-def: $vgpr14_vgpr15
	s_mov_b64 s[40:41], s[26:27]
	s_branch .LBB809_31
.LBB809_34:
	s_or_b64 exec, exec, s[8:9]
	v_cmp_gt_i64_e32 vcc, s[26:27], v[18:19]
	s_orn2_b64 s[36:37], vcc, exec
.LBB809_35:
	s_or_b64 exec, exec, s[38:39]
.LBB809_36:
	v_mul_lo_u32 v14, v9, s26
	v_mul_lo_u32 v15, v8, s27
	v_mad_u64_u32 v[12:13], s[2:3], v8, s26, 0
	v_add3_u32 v13, v13, v15, v14
	s_and_b64 vcc, exec, s[0:1]
	v_lshlrev_b64 v[14:15], 3, v[12:13]
	s_cbranch_vccnz .LBB809_45
; %bb.37:
	v_mov_b32_e32 v12, s29
	v_add_co_u32_e32 v18, vcc, s28, v14
	v_addc_co_u32_e64 v19, s[2:3], v12, v15, vcc
	v_mov_b32_e32 v13, s29
	v_add_co_u32_e64 v12, s[2:3], s28, v16
	v_addc_co_u32_e64 v13, s[8:9], v13, v17, s[2:3]
	global_load_dwordx2 v[26:27], v[18:19], off
	global_load_dwordx2 v[28:29], v[12:13], off
	s_mov_b64 s[18:19], -1
	s_waitcnt vmcnt(0)
	v_cmp_eq_f64_e64 s[8:9], v[26:27], v[28:29]
	s_and_saveexec_b64 s[38:39], s[8:9]
	s_cbranch_execz .LBB809_44
; %bb.38:
	v_mov_b32_e32 v13, s29
	v_addc_co_u32_e64 v13, s[2:3], v17, v13, s[2:3]
	v_add_co_u32_e64 v12, s[2:3], 8, v12
	v_mov_b32_e32 v16, s29
	v_addc_co_u32_e64 v13, s[2:3], 0, v13, s[2:3]
	v_addc_co_u32_e32 v17, vcc, v15, v16, vcc
	v_add_co_u32_e32 v16, vcc, 8, v18
	s_add_u32 s2, s26, -1
	v_addc_co_u32_e32 v17, vcc, 0, v17, vcc
	s_addc_u32 s3, s27, -1
	s_mov_b64 s[8:9], 0
	s_mov_b64 s[40:41], 0
                                        ; implicit-def: $sgpr18_sgpr19
	s_branch .LBB809_41
.LBB809_39:                             ;   in Loop: Header=BB809_41 Depth=1
	global_load_dwordx2 v[18:19], v[16:17], off
	global_load_dwordx2 v[26:27], v[12:13], off
	v_add_co_u32_e32 v12, vcc, 8, v12
	v_addc_co_u32_e32 v13, vcc, 0, v13, vcc
	v_add_co_u32_e32 v16, vcc, 8, v16
	v_addc_co_u32_e32 v17, vcc, 0, v17, vcc
	s_add_u32 s40, s40, 1
	s_addc_u32 s41, s41, 0
	s_andn2_b64 s[18:19], s[18:19], exec
	s_waitcnt vmcnt(0)
	v_cmp_neq_f64_e32 vcc, v[18:19], v[26:27]
	s_and_b64 s[42:43], vcc, exec
	s_or_b64 s[18:19], s[18:19], s[42:43]
.LBB809_40:                             ;   in Loop: Header=BB809_41 Depth=1
	s_and_b64 s[42:43], exec, s[18:19]
	s_or_b64 s[8:9], s[42:43], s[8:9]
	v_pk_mov_b32 v[18:19], s[40:41], s[40:41] op_sel:[0,1]
	s_andn2_b64 exec, exec, s[8:9]
	s_cbranch_execz .LBB809_43
.LBB809_41:                             ; =>This Inner Loop Header: Depth=1
	s_or_b64 s[18:19], s[18:19], exec
	s_cmp_eq_u64 s[2:3], s[40:41]
	s_cbranch_scc0 .LBB809_39
; %bb.42:                               ;   in Loop: Header=BB809_41 Depth=1
                                        ; implicit-def: $vgpr12_vgpr13
                                        ; implicit-def: $vgpr16_vgpr17
	s_mov_b64 s[40:41], s[26:27]
	s_branch .LBB809_40
.LBB809_43:
	s_or_b64 exec, exec, s[8:9]
	v_cmp_gt_i64_e32 vcc, s[26:27], v[18:19]
	s_orn2_b64 s[18:19], vcc, exec
.LBB809_44:
	s_or_b64 exec, exec, s[38:39]
.LBB809_45:
	v_mul_lo_u32 v16, v7, s26
	v_mul_lo_u32 v17, v6, s27
	v_mad_u64_u32 v[12:13], s[2:3], v6, s26, 0
	v_add3_u32 v13, v13, v17, v16
	s_mov_b64 s[40:41], 0
	s_and_b64 vcc, exec, s[0:1]
	v_lshlrev_b64 v[12:13], 3, v[12:13]
	s_cbranch_vccnz .LBB809_54
; %bb.46:
	v_mov_b32_e32 v17, s29
	v_add_co_u32_e32 v16, vcc, s28, v12
	v_addc_co_u32_e64 v17, s[2:3], v17, v13, vcc
	v_mov_b32_e32 v19, s29
	v_add_co_u32_e64 v18, s[2:3], s28, v14
	v_addc_co_u32_e64 v19, s[8:9], v19, v15, s[2:3]
	global_load_dwordx2 v[26:27], v[16:17], off
	global_load_dwordx2 v[28:29], v[18:19], off
	s_mov_b64 s[40:41], -1
	s_waitcnt vmcnt(0)
	v_cmp_eq_f64_e64 s[8:9], v[26:27], v[28:29]
	s_and_saveexec_b64 s[38:39], s[8:9]
	s_cbranch_execz .LBB809_53
; %bb.47:
	v_mov_b32_e32 v14, s29
	v_addc_co_u32_e64 v15, s[2:3], v15, v14, s[2:3]
	v_add_co_u32_e64 v14, s[2:3], 8, v18
	v_mov_b32_e32 v17, s29
	v_addc_co_u32_e64 v15, s[2:3], 0, v15, s[2:3]
	v_addc_co_u32_e32 v17, vcc, v13, v17, vcc
	v_add_co_u32_e32 v16, vcc, 8, v16
	s_add_u32 s2, s26, -1
	v_addc_co_u32_e32 v17, vcc, 0, v17, vcc
	s_addc_u32 s3, s27, -1
	s_mov_b64 s[8:9], 0
	s_mov_b64 s[42:43], 0
                                        ; implicit-def: $sgpr40_sgpr41
	s_branch .LBB809_50
.LBB809_48:                             ;   in Loop: Header=BB809_50 Depth=1
	global_load_dwordx2 v[18:19], v[16:17], off
	global_load_dwordx2 v[26:27], v[14:15], off
	v_add_co_u32_e32 v14, vcc, 8, v14
	v_addc_co_u32_e32 v15, vcc, 0, v15, vcc
	v_add_co_u32_e32 v16, vcc, 8, v16
	v_addc_co_u32_e32 v17, vcc, 0, v17, vcc
	s_add_u32 s42, s42, 1
	s_addc_u32 s43, s43, 0
	s_andn2_b64 s[40:41], s[40:41], exec
	s_waitcnt vmcnt(0)
	v_cmp_neq_f64_e32 vcc, v[18:19], v[26:27]
	s_and_b64 s[44:45], vcc, exec
	s_or_b64 s[40:41], s[40:41], s[44:45]
.LBB809_49:                             ;   in Loop: Header=BB809_50 Depth=1
	s_and_b64 s[44:45], exec, s[40:41]
	s_or_b64 s[8:9], s[44:45], s[8:9]
	v_pk_mov_b32 v[18:19], s[42:43], s[42:43] op_sel:[0,1]
	s_andn2_b64 exec, exec, s[8:9]
	s_cbranch_execz .LBB809_52
.LBB809_50:                             ; =>This Inner Loop Header: Depth=1
	s_or_b64 s[40:41], s[40:41], exec
	s_cmp_eq_u64 s[2:3], s[42:43]
	s_cbranch_scc0 .LBB809_48
; %bb.51:                               ;   in Loop: Header=BB809_50 Depth=1
                                        ; implicit-def: $vgpr14_vgpr15
                                        ; implicit-def: $vgpr16_vgpr17
	s_mov_b64 s[42:43], s[26:27]
	s_branch .LBB809_49
.LBB809_52:
	s_or_b64 exec, exec, s[8:9]
	v_cmp_gt_i64_e32 vcc, s[26:27], v[18:19]
	s_orn2_b64 s[40:41], vcc, exec
.LBB809_53:
	s_or_b64 exec, exec, s[38:39]
.LBB809_54:
	v_cmp_ne_u32_e32 vcc, 0, v0
	s_waitcnt lgkmcnt(0)
	v_pk_mov_b32 v[14:15], s[12:13], s[12:13] op_sel:[0,1]
	s_barrier
	s_and_saveexec_b64 s[2:3], vcc
	s_cbranch_execz .LBB809_56
; %bb.55:
	v_add_u32_e32 v14, -8, v21
	ds_read_b64 v[14:15], v14
.LBB809_56:
	s_or_b64 exec, exec, s[2:3]
	v_cndmask_b32_e64 v17, 0, 1, s[36:37]
	v_cndmask_b32_e64 v16, 0, 1, s[18:19]
	;; [unrolled: 1-line block ×3, first 2 shown]
	v_lshlrev_b16_e32 v17, 8, v17
	v_lshlrev_b16_e32 v26, 8, v18
	v_or_b32_sdwa v27, v16, v17 dst_sel:WORD_1 dst_unused:UNUSED_PAD src0_sel:DWORD src1_sel:DWORD
	s_mov_b64 s[36:37], 0
	s_and_b64 vcc, exec, s[0:1]
	s_mov_b64 s[18:19], 0
	s_cbranch_vccnz .LBB809_65
; %bb.57:
	s_waitcnt lgkmcnt(0)
	v_mul_lo_u32 v16, v15, s26
	v_mul_lo_u32 v17, v14, s27
	v_mad_u64_u32 v[14:15], s[2:3], v14, s26, 0
	v_add3_u32 v15, v15, v17, v16
	v_lshlrev_b64 v[14:15], 3, v[14:15]
	v_mov_b32_e32 v17, s29
	v_add_co_u32_e32 v16, vcc, s28, v14
	v_addc_co_u32_e64 v17, s[2:3], v17, v15, vcc
	v_mov_b32_e32 v14, s29
	v_add_co_u32_e64 v18, s[2:3], s28, v12
	v_addc_co_u32_e64 v19, s[8:9], v14, v13, s[2:3]
	global_load_dwordx2 v[28:29], v[16:17], off
	global_load_dwordx2 v[30:31], v[18:19], off
	s_mov_b64 s[18:19], -1
	s_waitcnt vmcnt(0)
	v_cmp_eq_f64_e64 s[8:9], v[28:29], v[30:31]
	s_and_saveexec_b64 s[38:39], s[8:9]
	s_cbranch_execz .LBB809_64
; %bb.58:
	v_mov_b32_e32 v12, s29
	v_addc_co_u32_e64 v13, s[2:3], v13, v12, s[2:3]
	v_add_co_u32_e64 v12, s[2:3], 8, v18
	v_mov_b32_e32 v14, s29
	v_addc_co_u32_e64 v13, s[2:3], 0, v13, s[2:3]
	v_addc_co_u32_e32 v15, vcc, v15, v14, vcc
	v_add_co_u32_e32 v14, vcc, 8, v16
	s_add_u32 s2, s26, -1
	v_addc_co_u32_e32 v15, vcc, 0, v15, vcc
	s_addc_u32 s3, s27, -1
	s_mov_b64 s[8:9], 0
	s_mov_b64 s[40:41], 0
                                        ; implicit-def: $sgpr18_sgpr19
	s_branch .LBB809_61
.LBB809_59:                             ;   in Loop: Header=BB809_61 Depth=1
	global_load_dwordx2 v[16:17], v[14:15], off
	global_load_dwordx2 v[18:19], v[12:13], off
	v_add_co_u32_e32 v12, vcc, 8, v12
	v_addc_co_u32_e32 v13, vcc, 0, v13, vcc
	v_add_co_u32_e32 v14, vcc, 8, v14
	v_addc_co_u32_e32 v15, vcc, 0, v15, vcc
	s_add_u32 s40, s40, 1
	s_addc_u32 s41, s41, 0
	s_andn2_b64 s[18:19], s[18:19], exec
	s_waitcnt vmcnt(0)
	v_cmp_neq_f64_e32 vcc, v[16:17], v[18:19]
	s_and_b64 s[42:43], vcc, exec
	s_or_b64 s[18:19], s[18:19], s[42:43]
.LBB809_60:                             ;   in Loop: Header=BB809_61 Depth=1
	s_and_b64 s[42:43], exec, s[18:19]
	s_or_b64 s[8:9], s[42:43], s[8:9]
	v_pk_mov_b32 v[16:17], s[40:41], s[40:41] op_sel:[0,1]
	s_andn2_b64 exec, exec, s[8:9]
	s_cbranch_execz .LBB809_63
.LBB809_61:                             ; =>This Inner Loop Header: Depth=1
	s_or_b64 s[18:19], s[18:19], exec
	s_cmp_eq_u64 s[2:3], s[40:41]
	s_cbranch_scc0 .LBB809_59
; %bb.62:                               ;   in Loop: Header=BB809_61 Depth=1
                                        ; implicit-def: $vgpr12_vgpr13
                                        ; implicit-def: $vgpr14_vgpr15
	s_mov_b64 s[40:41], s[26:27]
	s_branch .LBB809_60
.LBB809_63:
	s_or_b64 exec, exec, s[8:9]
	v_cmp_gt_i64_e32 vcc, s[26:27], v[16:17]
	s_orn2_b64 s[18:19], vcc, exec
.LBB809_64:
	s_or_b64 exec, exec, s[38:39]
.LBB809_65:
	v_cndmask_b32_e64 v13, 0, 1, s[14:15]
	v_or_b32_e32 v16, v26, v27
	s_and_b64 vcc, exec, s[36:37]
	s_cbranch_vccz .LBB809_124
.LBB809_66:
	v_cmp_gt_u32_e32 vcc, s7, v23
	s_mov_b64 s[18:19], 0
	s_mov_b64 s[14:15], 0
	s_and_saveexec_b64 s[36:37], vcc
	s_cbranch_execz .LBB809_77
; %bb.67:
	s_and_b64 vcc, exec, s[0:1]
	s_mov_b64 s[38:39], 0
	s_cbranch_vccnz .LBB809_76
; %bb.68:
	s_waitcnt lgkmcnt(0)
	v_mul_lo_u32 v14, v5, s26
	v_mul_lo_u32 v15, v4, s27
	v_mad_u64_u32 v[12:13], s[2:3], v4, s26, 0
	v_add3_u32 v13, v13, v15, v14
	v_mul_lo_u32 v14, v11, s26
	v_mul_lo_u32 v15, v10, s27
	v_mad_u64_u32 v[18:19], s[2:3], v10, s26, 0
	v_add3_u32 v19, v19, v15, v14
	v_lshlrev_b64 v[14:15], 3, v[12:13]
	v_mov_b32_e32 v12, s29
	v_add_co_u32_e32 v16, vcc, s28, v14
	v_addc_co_u32_e64 v17, s[2:3], v12, v15, vcc
	v_lshlrev_b64 v[12:13], 3, v[18:19]
	v_mov_b32_e32 v14, s29
	v_add_co_u32_e64 v18, s[2:3], s28, v12
	v_addc_co_u32_e64 v19, s[8:9], v14, v13, s[2:3]
	global_load_dwordx2 v[26:27], v[16:17], off
	global_load_dwordx2 v[28:29], v[18:19], off
	s_mov_b64 s[38:39], -1
	s_waitcnt vmcnt(0)
	v_cmp_eq_f64_e64 s[8:9], v[26:27], v[28:29]
	s_and_saveexec_b64 s[14:15], s[8:9]
	s_cbranch_execz .LBB809_75
; %bb.69:
	v_mov_b32_e32 v12, s29
	v_addc_co_u32_e64 v13, s[2:3], v13, v12, s[2:3]
	v_add_co_u32_e64 v12, s[2:3], 8, v18
	v_mov_b32_e32 v14, s29
	v_addc_co_u32_e64 v13, s[2:3], 0, v13, s[2:3]
	v_addc_co_u32_e32 v15, vcc, v15, v14, vcc
	v_add_co_u32_e32 v14, vcc, 8, v16
	s_add_u32 s2, s26, -1
	v_addc_co_u32_e32 v15, vcc, 0, v15, vcc
	s_addc_u32 s3, s27, -1
	s_mov_b64 s[8:9], 0
	s_mov_b64 s[40:41], 0
                                        ; implicit-def: $sgpr38_sgpr39
	s_branch .LBB809_72
.LBB809_70:                             ;   in Loop: Header=BB809_72 Depth=1
	global_load_dwordx2 v[16:17], v[14:15], off
	global_load_dwordx2 v[18:19], v[12:13], off
	v_add_co_u32_e32 v12, vcc, 8, v12
	v_addc_co_u32_e32 v13, vcc, 0, v13, vcc
	v_add_co_u32_e32 v14, vcc, 8, v14
	v_addc_co_u32_e32 v15, vcc, 0, v15, vcc
	s_add_u32 s40, s40, 1
	s_addc_u32 s41, s41, 0
	s_andn2_b64 s[38:39], s[38:39], exec
	s_waitcnt vmcnt(0)
	v_cmp_neq_f64_e32 vcc, v[16:17], v[18:19]
	s_and_b64 s[42:43], vcc, exec
	s_or_b64 s[38:39], s[38:39], s[42:43]
.LBB809_71:                             ;   in Loop: Header=BB809_72 Depth=1
	s_and_b64 s[42:43], exec, s[38:39]
	s_or_b64 s[8:9], s[42:43], s[8:9]
	v_pk_mov_b32 v[16:17], s[40:41], s[40:41] op_sel:[0,1]
	s_andn2_b64 exec, exec, s[8:9]
	s_cbranch_execz .LBB809_74
.LBB809_72:                             ; =>This Inner Loop Header: Depth=1
	s_or_b64 s[38:39], s[38:39], exec
	s_cmp_eq_u64 s[2:3], s[40:41]
	s_cbranch_scc0 .LBB809_70
; %bb.73:                               ;   in Loop: Header=BB809_72 Depth=1
                                        ; implicit-def: $vgpr12_vgpr13
                                        ; implicit-def: $vgpr14_vgpr15
	s_mov_b64 s[40:41], s[26:27]
	s_branch .LBB809_71
.LBB809_74:
	s_or_b64 exec, exec, s[8:9]
	v_cmp_gt_i64_e32 vcc, s[26:27], v[16:17]
	s_orn2_b64 s[38:39], vcc, exec
.LBB809_75:
	s_or_b64 exec, exec, s[14:15]
.LBB809_76:
	s_and_b64 s[14:15], s[38:39], exec
.LBB809_77:
	s_or_b64 exec, exec, s[36:37]
	v_cmp_gt_u32_e32 vcc, s7, v25
	s_and_saveexec_b64 s[36:37], vcc
	s_cbranch_execz .LBB809_88
; %bb.78:
	s_and_b64 vcc, exec, s[0:1]
	s_mov_b64 s[38:39], 0
	s_cbranch_vccnz .LBB809_87
; %bb.79:
	s_waitcnt lgkmcnt(0)
	v_mul_lo_u32 v14, v3, s26
	v_mul_lo_u32 v15, v2, s27
	v_mad_u64_u32 v[12:13], s[2:3], v2, s26, 0
	v_add3_u32 v13, v13, v15, v14
	v_mul_lo_u32 v14, v5, s26
	v_mul_lo_u32 v15, v4, s27
	v_mad_u64_u32 v[18:19], s[2:3], v4, s26, 0
	v_add3_u32 v19, v19, v15, v14
	v_lshlrev_b64 v[14:15], 3, v[12:13]
	v_mov_b32_e32 v12, s29
	v_add_co_u32_e32 v16, vcc, s28, v14
	v_addc_co_u32_e64 v17, s[2:3], v12, v15, vcc
	v_lshlrev_b64 v[12:13], 3, v[18:19]
	v_mov_b32_e32 v14, s29
	v_add_co_u32_e64 v18, s[2:3], s28, v12
	v_addc_co_u32_e64 v19, s[8:9], v14, v13, s[2:3]
	global_load_dwordx2 v[26:27], v[16:17], off
	global_load_dwordx2 v[28:29], v[18:19], off
	s_mov_b64 s[38:39], -1
	s_waitcnt vmcnt(0)
	v_cmp_eq_f64_e64 s[8:9], v[26:27], v[28:29]
	s_and_saveexec_b64 s[18:19], s[8:9]
	s_cbranch_execz .LBB809_86
; %bb.80:
	v_mov_b32_e32 v12, s29
	v_addc_co_u32_e64 v13, s[2:3], v13, v12, s[2:3]
	v_add_co_u32_e64 v12, s[2:3], 8, v18
	v_mov_b32_e32 v14, s29
	v_addc_co_u32_e64 v13, s[2:3], 0, v13, s[2:3]
	v_addc_co_u32_e32 v15, vcc, v15, v14, vcc
	v_add_co_u32_e32 v14, vcc, 8, v16
	s_add_u32 s2, s26, -1
	v_addc_co_u32_e32 v15, vcc, 0, v15, vcc
	s_addc_u32 s3, s27, -1
	s_mov_b64 s[8:9], 0
	s_mov_b64 s[40:41], 0
                                        ; implicit-def: $sgpr38_sgpr39
	s_branch .LBB809_83
.LBB809_81:                             ;   in Loop: Header=BB809_83 Depth=1
	global_load_dwordx2 v[16:17], v[14:15], off
	global_load_dwordx2 v[18:19], v[12:13], off
	v_add_co_u32_e32 v12, vcc, 8, v12
	v_addc_co_u32_e32 v13, vcc, 0, v13, vcc
	v_add_co_u32_e32 v14, vcc, 8, v14
	v_addc_co_u32_e32 v15, vcc, 0, v15, vcc
	s_add_u32 s40, s40, 1
	s_addc_u32 s41, s41, 0
	s_andn2_b64 s[38:39], s[38:39], exec
	s_waitcnt vmcnt(0)
	v_cmp_neq_f64_e32 vcc, v[16:17], v[18:19]
	s_and_b64 s[42:43], vcc, exec
	s_or_b64 s[38:39], s[38:39], s[42:43]
.LBB809_82:                             ;   in Loop: Header=BB809_83 Depth=1
	s_and_b64 s[42:43], exec, s[38:39]
	s_or_b64 s[8:9], s[42:43], s[8:9]
	v_pk_mov_b32 v[16:17], s[40:41], s[40:41] op_sel:[0,1]
	s_andn2_b64 exec, exec, s[8:9]
	s_cbranch_execz .LBB809_85
.LBB809_83:                             ; =>This Inner Loop Header: Depth=1
	s_or_b64 s[38:39], s[38:39], exec
	s_cmp_eq_u64 s[2:3], s[40:41]
	s_cbranch_scc0 .LBB809_81
; %bb.84:                               ;   in Loop: Header=BB809_83 Depth=1
                                        ; implicit-def: $vgpr12_vgpr13
                                        ; implicit-def: $vgpr14_vgpr15
	s_mov_b64 s[40:41], s[26:27]
	s_branch .LBB809_82
.LBB809_85:
	s_or_b64 exec, exec, s[8:9]
	v_cmp_gt_i64_e32 vcc, s[26:27], v[16:17]
	s_orn2_b64 s[38:39], vcc, exec
.LBB809_86:
	s_or_b64 exec, exec, s[18:19]
.LBB809_87:
	s_and_b64 s[18:19], s[38:39], exec
.LBB809_88:
	s_or_b64 exec, exec, s[36:37]
	v_cmp_gt_u32_e32 vcc, s7, v22
	s_mov_b64 s[36:37], 0
	s_mov_b64 s[38:39], 0
	s_and_saveexec_b64 s[40:41], vcc
	s_cbranch_execz .LBB809_99
; %bb.89:
	s_and_b64 vcc, exec, s[0:1]
	s_mov_b64 s[42:43], 0
	s_cbranch_vccnz .LBB809_98
; %bb.90:
	s_waitcnt lgkmcnt(0)
	v_mul_lo_u32 v14, v9, s26
	v_mul_lo_u32 v15, v8, s27
	v_mad_u64_u32 v[12:13], s[2:3], v8, s26, 0
	v_add3_u32 v13, v13, v15, v14
	v_mul_lo_u32 v14, v3, s26
	v_mul_lo_u32 v15, v2, s27
	v_mad_u64_u32 v[18:19], s[2:3], v2, s26, 0
	v_add3_u32 v19, v19, v15, v14
	v_lshlrev_b64 v[14:15], 3, v[12:13]
	v_mov_b32_e32 v12, s29
	v_add_co_u32_e32 v16, vcc, s28, v14
	v_addc_co_u32_e64 v17, s[2:3], v12, v15, vcc
	v_lshlrev_b64 v[12:13], 3, v[18:19]
	v_mov_b32_e32 v14, s29
	v_add_co_u32_e64 v18, s[2:3], s28, v12
	v_addc_co_u32_e64 v19, s[8:9], v14, v13, s[2:3]
	global_load_dwordx2 v[26:27], v[16:17], off
	global_load_dwordx2 v[28:29], v[18:19], off
	s_mov_b64 s[42:43], -1
	s_waitcnt vmcnt(0)
	v_cmp_eq_f64_e64 s[8:9], v[26:27], v[28:29]
	s_and_saveexec_b64 s[38:39], s[8:9]
	s_cbranch_execz .LBB809_97
; %bb.91:
	v_mov_b32_e32 v12, s29
	v_addc_co_u32_e64 v13, s[2:3], v13, v12, s[2:3]
	v_add_co_u32_e64 v12, s[2:3], 8, v18
	v_mov_b32_e32 v14, s29
	v_addc_co_u32_e64 v13, s[2:3], 0, v13, s[2:3]
	v_addc_co_u32_e32 v15, vcc, v15, v14, vcc
	v_add_co_u32_e32 v14, vcc, 8, v16
	s_add_u32 s2, s26, -1
	v_addc_co_u32_e32 v15, vcc, 0, v15, vcc
	s_addc_u32 s3, s27, -1
	s_mov_b64 s[8:9], 0
	s_mov_b64 s[44:45], 0
                                        ; implicit-def: $sgpr42_sgpr43
	s_branch .LBB809_94
.LBB809_92:                             ;   in Loop: Header=BB809_94 Depth=1
	global_load_dwordx2 v[16:17], v[14:15], off
	global_load_dwordx2 v[18:19], v[12:13], off
	v_add_co_u32_e32 v12, vcc, 8, v12
	v_addc_co_u32_e32 v13, vcc, 0, v13, vcc
	v_add_co_u32_e32 v14, vcc, 8, v14
	v_addc_co_u32_e32 v15, vcc, 0, v15, vcc
	s_add_u32 s44, s44, 1
	s_addc_u32 s45, s45, 0
	s_andn2_b64 s[42:43], s[42:43], exec
	s_waitcnt vmcnt(0)
	v_cmp_neq_f64_e32 vcc, v[16:17], v[18:19]
	s_and_b64 s[46:47], vcc, exec
	s_or_b64 s[42:43], s[42:43], s[46:47]
.LBB809_93:                             ;   in Loop: Header=BB809_94 Depth=1
	s_and_b64 s[46:47], exec, s[42:43]
	s_or_b64 s[8:9], s[46:47], s[8:9]
	v_pk_mov_b32 v[16:17], s[44:45], s[44:45] op_sel:[0,1]
	s_andn2_b64 exec, exec, s[8:9]
	s_cbranch_execz .LBB809_96
.LBB809_94:                             ; =>This Inner Loop Header: Depth=1
	s_or_b64 s[42:43], s[42:43], exec
	s_cmp_eq_u64 s[2:3], s[44:45]
	s_cbranch_scc0 .LBB809_92
; %bb.95:                               ;   in Loop: Header=BB809_94 Depth=1
                                        ; implicit-def: $vgpr12_vgpr13
                                        ; implicit-def: $vgpr14_vgpr15
	s_mov_b64 s[44:45], s[26:27]
	s_branch .LBB809_93
.LBB809_96:
	s_or_b64 exec, exec, s[8:9]
	v_cmp_gt_i64_e32 vcc, s[26:27], v[16:17]
	s_orn2_b64 s[42:43], vcc, exec
.LBB809_97:
	s_or_b64 exec, exec, s[38:39]
.LBB809_98:
	s_and_b64 s[38:39], s[42:43], exec
.LBB809_99:
	s_or_b64 exec, exec, s[40:41]
	v_cmp_gt_u32_e32 vcc, s7, v24
	s_and_saveexec_b64 s[40:41], vcc
	s_cbranch_execz .LBB809_110
; %bb.100:
	s_and_b64 vcc, exec, s[0:1]
	s_mov_b64 s[42:43], 0
	s_cbranch_vccnz .LBB809_109
; %bb.101:
	s_waitcnt lgkmcnt(0)
	v_mul_lo_u32 v14, v7, s26
	v_mul_lo_u32 v15, v6, s27
	v_mad_u64_u32 v[12:13], s[2:3], v6, s26, 0
	v_add3_u32 v13, v13, v15, v14
	v_mul_lo_u32 v14, v9, s26
	v_mul_lo_u32 v15, v8, s27
	v_mad_u64_u32 v[18:19], s[2:3], v8, s26, 0
	v_add3_u32 v19, v19, v15, v14
	v_lshlrev_b64 v[14:15], 3, v[12:13]
	v_mov_b32_e32 v12, s29
	v_add_co_u32_e32 v16, vcc, s28, v14
	v_addc_co_u32_e64 v17, s[2:3], v12, v15, vcc
	v_lshlrev_b64 v[12:13], 3, v[18:19]
	v_mov_b32_e32 v14, s29
	v_add_co_u32_e64 v18, s[2:3], s28, v12
	v_addc_co_u32_e64 v19, s[8:9], v14, v13, s[2:3]
	global_load_dwordx2 v[26:27], v[16:17], off
	global_load_dwordx2 v[28:29], v[18:19], off
	s_mov_b64 s[42:43], -1
	s_waitcnt vmcnt(0)
	v_cmp_eq_f64_e64 s[8:9], v[26:27], v[28:29]
	s_and_saveexec_b64 s[36:37], s[8:9]
	s_cbranch_execz .LBB809_108
; %bb.102:
	v_mov_b32_e32 v12, s29
	v_addc_co_u32_e64 v13, s[2:3], v13, v12, s[2:3]
	v_add_co_u32_e64 v12, s[2:3], 8, v18
	v_mov_b32_e32 v14, s29
	v_addc_co_u32_e64 v13, s[2:3], 0, v13, s[2:3]
	v_addc_co_u32_e32 v15, vcc, v15, v14, vcc
	v_add_co_u32_e32 v14, vcc, 8, v16
	s_add_u32 s2, s26, -1
	v_addc_co_u32_e32 v15, vcc, 0, v15, vcc
	s_addc_u32 s3, s27, -1
	s_mov_b64 s[8:9], 0
	s_mov_b64 s[44:45], 0
                                        ; implicit-def: $sgpr42_sgpr43
	s_branch .LBB809_105
.LBB809_103:                            ;   in Loop: Header=BB809_105 Depth=1
	global_load_dwordx2 v[16:17], v[14:15], off
	global_load_dwordx2 v[18:19], v[12:13], off
	v_add_co_u32_e32 v12, vcc, 8, v12
	v_addc_co_u32_e32 v13, vcc, 0, v13, vcc
	v_add_co_u32_e32 v14, vcc, 8, v14
	v_addc_co_u32_e32 v15, vcc, 0, v15, vcc
	s_add_u32 s44, s44, 1
	s_addc_u32 s45, s45, 0
	s_andn2_b64 s[42:43], s[42:43], exec
	s_waitcnt vmcnt(0)
	v_cmp_neq_f64_e32 vcc, v[16:17], v[18:19]
	s_and_b64 s[46:47], vcc, exec
	s_or_b64 s[42:43], s[42:43], s[46:47]
.LBB809_104:                            ;   in Loop: Header=BB809_105 Depth=1
	s_and_b64 s[46:47], exec, s[42:43]
	s_or_b64 s[8:9], s[46:47], s[8:9]
	v_pk_mov_b32 v[16:17], s[44:45], s[44:45] op_sel:[0,1]
	s_andn2_b64 exec, exec, s[8:9]
	s_cbranch_execz .LBB809_107
.LBB809_105:                            ; =>This Inner Loop Header: Depth=1
	s_or_b64 s[42:43], s[42:43], exec
	s_cmp_eq_u64 s[2:3], s[44:45]
	s_cbranch_scc0 .LBB809_103
; %bb.106:                              ;   in Loop: Header=BB809_105 Depth=1
                                        ; implicit-def: $vgpr12_vgpr13
                                        ; implicit-def: $vgpr14_vgpr15
	s_mov_b64 s[44:45], s[26:27]
	s_branch .LBB809_104
.LBB809_107:
	s_or_b64 exec, exec, s[8:9]
	v_cmp_gt_i64_e32 vcc, s[26:27], v[16:17]
	s_orn2_b64 s[42:43], vcc, exec
.LBB809_108:
	s_or_b64 exec, exec, s[36:37]
.LBB809_109:
	s_and_b64 s[36:37], s[42:43], exec
.LBB809_110:
	s_or_b64 exec, exec, s[40:41]
	v_cmp_ne_u32_e32 vcc, 0, v0
	s_waitcnt lgkmcnt(0)
	v_pk_mov_b32 v[12:13], s[12:13], s[12:13] op_sel:[0,1]
	s_barrier
	s_and_saveexec_b64 s[2:3], vcc
	s_cbranch_execz .LBB809_112
; %bb.111:
	v_add_u32_e32 v12, -8, v21
	ds_read_b64 v[12:13], v12
.LBB809_112:
	s_or_b64 exec, exec, s[2:3]
	v_cndmask_b32_e64 v15, 0, 1, s[18:19]
	v_cndmask_b32_e64 v14, 0, 1, s[38:39]
	v_cndmask_b32_e64 v16, 0, 1, s[36:37]
	v_lshlrev_b16_e32 v15, 8, v15
	v_cmp_gt_u32_e32 vcc, s7, v1
	v_lshlrev_b16_e32 v21, 8, v16
	v_or_b32_sdwa v26, v14, v15 dst_sel:WORD_1 dst_unused:UNUSED_PAD src0_sel:DWORD src1_sel:DWORD
	s_mov_b64 s[18:19], 0
	s_and_saveexec_b64 s[8:9], vcc
	s_cbranch_execz .LBB809_123
; %bb.113:
	s_and_b64 vcc, exec, s[0:1]
	s_cbranch_vccnz .LBB809_122
; %bb.114:
	s_waitcnt lgkmcnt(0)
	v_mul_lo_u32 v14, v13, s26
	v_mul_lo_u32 v15, v12, s27
	v_mad_u64_u32 v[12:13], s[0:1], v12, s26, 0
	v_add3_u32 v13, v13, v15, v14
	v_mul_lo_u32 v14, v7, s26
	v_mul_lo_u32 v15, v6, s27
	v_mad_u64_u32 v[18:19], s[0:1], v6, s26, 0
	v_add3_u32 v19, v19, v15, v14
	v_lshlrev_b64 v[14:15], 3, v[12:13]
	v_mov_b32_e32 v12, s29
	v_add_co_u32_e32 v16, vcc, s28, v14
	v_addc_co_u32_e64 v17, s[0:1], v12, v15, vcc
	v_lshlrev_b64 v[12:13], 3, v[18:19]
	v_mov_b32_e32 v14, s29
	v_add_co_u32_e64 v18, s[0:1], s28, v12
	v_addc_co_u32_e64 v19, s[2:3], v14, v13, s[0:1]
	global_load_dwordx2 v[28:29], v[16:17], off
	global_load_dwordx2 v[30:31], v[18:19], off
	s_mov_b64 s[18:19], -1
	s_waitcnt vmcnt(0)
	v_cmp_eq_f64_e64 s[2:3], v[28:29], v[30:31]
	s_and_saveexec_b64 s[12:13], s[2:3]
	s_cbranch_execz .LBB809_121
; %bb.115:
	v_mov_b32_e32 v12, s29
	v_addc_co_u32_e64 v13, s[0:1], v13, v12, s[0:1]
	v_add_co_u32_e64 v12, s[0:1], 8, v18
	v_mov_b32_e32 v14, s29
	v_addc_co_u32_e64 v13, s[0:1], 0, v13, s[0:1]
	v_addc_co_u32_e32 v15, vcc, v15, v14, vcc
	v_add_co_u32_e32 v14, vcc, 8, v16
	s_add_u32 s0, s26, -1
	v_addc_co_u32_e32 v15, vcc, 0, v15, vcc
	s_addc_u32 s1, s27, -1
	s_mov_b64 s[2:3], 0
	s_mov_b64 s[36:37], 0
                                        ; implicit-def: $sgpr18_sgpr19
	s_branch .LBB809_118
.LBB809_116:                            ;   in Loop: Header=BB809_118 Depth=1
	global_load_dwordx2 v[16:17], v[14:15], off
	global_load_dwordx2 v[18:19], v[12:13], off
	v_add_co_u32_e32 v12, vcc, 8, v12
	v_addc_co_u32_e32 v13, vcc, 0, v13, vcc
	v_add_co_u32_e32 v14, vcc, 8, v14
	v_addc_co_u32_e32 v15, vcc, 0, v15, vcc
	s_add_u32 s36, s36, 1
	s_addc_u32 s37, s37, 0
	s_andn2_b64 s[18:19], s[18:19], exec
	s_waitcnt vmcnt(0)
	v_cmp_neq_f64_e32 vcc, v[16:17], v[18:19]
	s_and_b64 s[38:39], vcc, exec
	s_or_b64 s[18:19], s[18:19], s[38:39]
.LBB809_117:                            ;   in Loop: Header=BB809_118 Depth=1
	s_and_b64 s[38:39], exec, s[18:19]
	s_or_b64 s[2:3], s[38:39], s[2:3]
	v_pk_mov_b32 v[16:17], s[36:37], s[36:37] op_sel:[0,1]
	s_andn2_b64 exec, exec, s[2:3]
	s_cbranch_execz .LBB809_120
.LBB809_118:                            ; =>This Inner Loop Header: Depth=1
	s_or_b64 s[18:19], s[18:19], exec
	s_cmp_eq_u64 s[0:1], s[36:37]
	s_cbranch_scc0 .LBB809_116
; %bb.119:                              ;   in Loop: Header=BB809_118 Depth=1
                                        ; implicit-def: $vgpr12_vgpr13
                                        ; implicit-def: $vgpr14_vgpr15
	s_mov_b64 s[36:37], s[26:27]
	s_branch .LBB809_117
.LBB809_120:
	s_or_b64 exec, exec, s[2:3]
	v_cmp_gt_i64_e32 vcc, s[26:27], v[16:17]
	s_orn2_b64 s[18:19], vcc, exec
.LBB809_121:
	s_or_b64 exec, exec, s[12:13]
.LBB809_122:
	s_and_b64 s[18:19], s[18:19], exec
.LBB809_123:
	s_or_b64 exec, exec, s[8:9]
	s_waitcnt lgkmcnt(0)
	v_cndmask_b32_e64 v13, 0, 1, s[14:15]
	v_or_b32_e32 v16, v21, v26
.LBB809_124:
	s_waitcnt lgkmcnt(0)
	s_mov_b64 s[12:13], -1
	s_cbranch_execnz .LBB809_233
.LBB809_125:
	v_lshlrev_b32_e32 v12, 5, v0
	v_sub_u32_e32 v26, v20, v12
	s_mov_b64 s[18:19], 0
	v_cmp_gt_i64_e64 s[14:15], s[26:27], 0
	s_and_b64 vcc, exec, s[34:35]
	ds_write_b64 v26, v[10:11]
	s_cbranch_vccz .LBB809_133
; %bb.126:
	v_mul_lo_u32 v14, v5, s26
	v_mul_lo_u32 v15, v4, s27
	v_mad_u64_u32 v[12:13], s[0:1], v4, s26, 0
	v_add3_u32 v13, v13, v15, v14
	v_cndmask_b32_e64 v14, 0, 1, s[14:15]
	v_cmp_ne_u32_e64 s[0:1], 1, v14
	s_andn2_b64 vcc, exec, s[14:15]
	v_lshlrev_b64 v[12:13], 3, v[12:13]
	s_cbranch_vccnz .LBB809_136
; %bb.127:
	v_mul_lo_u32 v16, v11, s26
	v_mul_lo_u32 v17, v10, s27
	v_mad_u64_u32 v[14:15], s[2:3], v10, s26, 0
	v_add3_u32 v15, v15, v17, v16
	v_mov_b32_e32 v17, s29
	v_add_co_u32_e32 v16, vcc, s28, v12
	v_addc_co_u32_e64 v17, s[2:3], v17, v13, vcc
	v_lshlrev_b64 v[14:15], 3, v[14:15]
	v_mov_b32_e32 v19, s29
	v_add_co_u32_e64 v18, s[2:3], s28, v14
	v_addc_co_u32_e64 v19, s[8:9], v19, v15, s[2:3]
	global_load_dwordx2 v[20:21], v[16:17], off
	global_load_dwordx2 v[28:29], v[18:19], off
	s_mov_b64 s[18:19], -1
	s_waitcnt vmcnt(0)
	v_cmp_eq_f64_e64 s[8:9], v[20:21], v[28:29]
	s_and_saveexec_b64 s[36:37], s[8:9]
	s_cbranch_execz .LBB809_135
; %bb.128:
	v_mov_b32_e32 v14, s29
	v_addc_co_u32_e64 v15, s[2:3], v15, v14, s[2:3]
	v_add_co_u32_e64 v14, s[2:3], 8, v18
	v_mov_b32_e32 v17, s29
	v_addc_co_u32_e64 v15, s[2:3], 0, v15, s[2:3]
	v_addc_co_u32_e32 v17, vcc, v13, v17, vcc
	v_add_co_u32_e32 v16, vcc, 8, v16
	s_add_u32 s2, s26, -1
	v_addc_co_u32_e32 v17, vcc, 0, v17, vcc
	s_addc_u32 s3, s27, -1
	s_mov_b64 s[8:9], 0
	s_mov_b64 s[38:39], 0
                                        ; implicit-def: $sgpr18_sgpr19
	s_branch .LBB809_131
.LBB809_129:                            ;   in Loop: Header=BB809_131 Depth=1
	global_load_dwordx2 v[18:19], v[16:17], off
	global_load_dwordx2 v[20:21], v[14:15], off
	v_add_co_u32_e32 v14, vcc, 8, v14
	v_addc_co_u32_e32 v15, vcc, 0, v15, vcc
	v_add_co_u32_e32 v16, vcc, 8, v16
	v_addc_co_u32_e32 v17, vcc, 0, v17, vcc
	s_add_u32 s38, s38, 1
	s_addc_u32 s39, s39, 0
	s_andn2_b64 s[18:19], s[18:19], exec
	s_waitcnt vmcnt(0)
	v_cmp_neq_f64_e32 vcc, v[18:19], v[20:21]
	s_and_b64 s[40:41], vcc, exec
	s_or_b64 s[18:19], s[18:19], s[40:41]
.LBB809_130:                            ;   in Loop: Header=BB809_131 Depth=1
	s_and_b64 s[40:41], exec, s[18:19]
	s_or_b64 s[8:9], s[40:41], s[8:9]
	v_pk_mov_b32 v[18:19], s[38:39], s[38:39] op_sel:[0,1]
	s_andn2_b64 exec, exec, s[8:9]
	s_cbranch_execz .LBB809_134
.LBB809_131:                            ; =>This Inner Loop Header: Depth=1
	s_or_b64 s[18:19], s[18:19], exec
	s_cmp_eq_u64 s[2:3], s[38:39]
	s_cbranch_scc0 .LBB809_129
; %bb.132:                              ;   in Loop: Header=BB809_131 Depth=1
                                        ; implicit-def: $vgpr14_vgpr15
                                        ; implicit-def: $vgpr16_vgpr17
	s_mov_b64 s[38:39], s[26:27]
	s_branch .LBB809_130
.LBB809_133:
                                        ; implicit-def: $sgpr18_sgpr19
                                        ; implicit-def: $vgpr13
                                        ; implicit-def: $vgpr16
	s_cbranch_execnz .LBB809_175
	s_branch .LBB809_233
.LBB809_134:
	s_or_b64 exec, exec, s[8:9]
	v_cmp_gt_i64_e32 vcc, s[26:27], v[18:19]
	s_orn2_b64 s[18:19], vcc, exec
.LBB809_135:
	s_or_b64 exec, exec, s[36:37]
.LBB809_136:
	v_mul_lo_u32 v16, v3, s26
	v_mul_lo_u32 v17, v2, s27
	v_mad_u64_u32 v[14:15], s[2:3], v2, s26, 0
	v_add3_u32 v15, v15, v17, v16
	s_mov_b64 s[36:37], 0
	s_and_b64 vcc, exec, s[0:1]
	v_lshlrev_b64 v[14:15], 3, v[14:15]
	s_mov_b64 s[38:39], 0
	s_cbranch_vccnz .LBB809_145
; %bb.137:
	v_mov_b32_e32 v17, s29
	v_add_co_u32_e32 v16, vcc, s28, v14
	v_addc_co_u32_e64 v17, s[2:3], v17, v15, vcc
	v_mov_b32_e32 v19, s29
	v_add_co_u32_e64 v18, s[2:3], s28, v12
	v_addc_co_u32_e64 v19, s[8:9], v19, v13, s[2:3]
	global_load_dwordx2 v[20:21], v[16:17], off
	global_load_dwordx2 v[28:29], v[18:19], off
	s_mov_b64 s[38:39], -1
	s_waitcnt vmcnt(0)
	v_cmp_eq_f64_e64 s[8:9], v[20:21], v[28:29]
	s_and_saveexec_b64 s[40:41], s[8:9]
	s_cbranch_execz .LBB809_144
; %bb.138:
	v_mov_b32_e32 v12, s29
	v_addc_co_u32_e64 v13, s[2:3], v13, v12, s[2:3]
	v_add_co_u32_e64 v12, s[2:3], 8, v18
	v_mov_b32_e32 v17, s29
	v_addc_co_u32_e64 v13, s[2:3], 0, v13, s[2:3]
	v_addc_co_u32_e32 v17, vcc, v15, v17, vcc
	v_add_co_u32_e32 v16, vcc, 8, v16
	s_add_u32 s2, s26, -1
	v_addc_co_u32_e32 v17, vcc, 0, v17, vcc
	s_addc_u32 s3, s27, -1
	s_mov_b64 s[8:9], 0
	s_mov_b64 s[42:43], 0
                                        ; implicit-def: $sgpr38_sgpr39
	s_branch .LBB809_141
.LBB809_139:                            ;   in Loop: Header=BB809_141 Depth=1
	global_load_dwordx2 v[18:19], v[16:17], off
	global_load_dwordx2 v[20:21], v[12:13], off
	v_add_co_u32_e32 v12, vcc, 8, v12
	v_addc_co_u32_e32 v13, vcc, 0, v13, vcc
	v_add_co_u32_e32 v16, vcc, 8, v16
	v_addc_co_u32_e32 v17, vcc, 0, v17, vcc
	s_add_u32 s42, s42, 1
	s_addc_u32 s43, s43, 0
	s_andn2_b64 s[38:39], s[38:39], exec
	s_waitcnt vmcnt(0)
	v_cmp_neq_f64_e32 vcc, v[18:19], v[20:21]
	s_and_b64 s[44:45], vcc, exec
	s_or_b64 s[38:39], s[38:39], s[44:45]
.LBB809_140:                            ;   in Loop: Header=BB809_141 Depth=1
	s_and_b64 s[44:45], exec, s[38:39]
	s_or_b64 s[8:9], s[44:45], s[8:9]
	v_pk_mov_b32 v[18:19], s[42:43], s[42:43] op_sel:[0,1]
	s_andn2_b64 exec, exec, s[8:9]
	s_cbranch_execz .LBB809_143
.LBB809_141:                            ; =>This Inner Loop Header: Depth=1
	s_or_b64 s[38:39], s[38:39], exec
	s_cmp_eq_u64 s[2:3], s[42:43]
	s_cbranch_scc0 .LBB809_139
; %bb.142:                              ;   in Loop: Header=BB809_141 Depth=1
                                        ; implicit-def: $vgpr12_vgpr13
                                        ; implicit-def: $vgpr16_vgpr17
	s_mov_b64 s[42:43], s[26:27]
	s_branch .LBB809_140
.LBB809_143:
	s_or_b64 exec, exec, s[8:9]
	v_cmp_gt_i64_e32 vcc, s[26:27], v[18:19]
	s_orn2_b64 s[38:39], vcc, exec
.LBB809_144:
	s_or_b64 exec, exec, s[40:41]
.LBB809_145:
	v_mul_lo_u32 v16, v9, s26
	v_mul_lo_u32 v17, v8, s27
	v_mad_u64_u32 v[12:13], s[2:3], v8, s26, 0
	v_add3_u32 v13, v13, v17, v16
	s_and_b64 vcc, exec, s[0:1]
	v_lshlrev_b64 v[12:13], 3, v[12:13]
	s_cbranch_vccnz .LBB809_154
; %bb.146:
	v_mov_b32_e32 v17, s29
	v_add_co_u32_e32 v16, vcc, s28, v12
	v_addc_co_u32_e64 v17, s[2:3], v17, v13, vcc
	v_mov_b32_e32 v19, s29
	v_add_co_u32_e64 v18, s[2:3], s28, v14
	v_addc_co_u32_e64 v19, s[8:9], v19, v15, s[2:3]
	global_load_dwordx2 v[20:21], v[16:17], off
	global_load_dwordx2 v[28:29], v[18:19], off
	s_mov_b64 s[36:37], -1
	s_waitcnt vmcnt(0)
	v_cmp_eq_f64_e64 s[8:9], v[20:21], v[28:29]
	s_and_saveexec_b64 s[40:41], s[8:9]
	s_cbranch_execz .LBB809_153
; %bb.147:
	v_mov_b32_e32 v14, s29
	v_addc_co_u32_e64 v15, s[2:3], v15, v14, s[2:3]
	v_add_co_u32_e64 v14, s[2:3], 8, v18
	v_mov_b32_e32 v17, s29
	v_addc_co_u32_e64 v15, s[2:3], 0, v15, s[2:3]
	v_addc_co_u32_e32 v17, vcc, v13, v17, vcc
	v_add_co_u32_e32 v16, vcc, 8, v16
	s_add_u32 s2, s26, -1
	v_addc_co_u32_e32 v17, vcc, 0, v17, vcc
	s_addc_u32 s3, s27, -1
	s_mov_b64 s[8:9], 0
	s_mov_b64 s[42:43], 0
                                        ; implicit-def: $sgpr36_sgpr37
	s_branch .LBB809_150
.LBB809_148:                            ;   in Loop: Header=BB809_150 Depth=1
	global_load_dwordx2 v[18:19], v[16:17], off
	global_load_dwordx2 v[20:21], v[14:15], off
	v_add_co_u32_e32 v14, vcc, 8, v14
	v_addc_co_u32_e32 v15, vcc, 0, v15, vcc
	v_add_co_u32_e32 v16, vcc, 8, v16
	v_addc_co_u32_e32 v17, vcc, 0, v17, vcc
	s_add_u32 s42, s42, 1
	s_addc_u32 s43, s43, 0
	s_andn2_b64 s[36:37], s[36:37], exec
	s_waitcnt vmcnt(0)
	v_cmp_neq_f64_e32 vcc, v[18:19], v[20:21]
	s_and_b64 s[44:45], vcc, exec
	s_or_b64 s[36:37], s[36:37], s[44:45]
.LBB809_149:                            ;   in Loop: Header=BB809_150 Depth=1
	s_and_b64 s[44:45], exec, s[36:37]
	s_or_b64 s[8:9], s[44:45], s[8:9]
	v_pk_mov_b32 v[18:19], s[42:43], s[42:43] op_sel:[0,1]
	s_andn2_b64 exec, exec, s[8:9]
	s_cbranch_execz .LBB809_152
.LBB809_150:                            ; =>This Inner Loop Header: Depth=1
	s_or_b64 s[36:37], s[36:37], exec
	s_cmp_eq_u64 s[2:3], s[42:43]
	s_cbranch_scc0 .LBB809_148
; %bb.151:                              ;   in Loop: Header=BB809_150 Depth=1
                                        ; implicit-def: $vgpr14_vgpr15
                                        ; implicit-def: $vgpr16_vgpr17
	s_mov_b64 s[42:43], s[26:27]
	s_branch .LBB809_149
.LBB809_152:
	s_or_b64 exec, exec, s[8:9]
	v_cmp_gt_i64_e32 vcc, s[26:27], v[18:19]
	s_orn2_b64 s[36:37], vcc, exec
.LBB809_153:
	s_or_b64 exec, exec, s[40:41]
.LBB809_154:
	v_mul_lo_u32 v16, v7, s26
	v_mul_lo_u32 v17, v6, s27
	v_mad_u64_u32 v[14:15], s[2:3], v6, s26, 0
	v_add3_u32 v15, v15, v17, v16
	s_and_b64 vcc, exec, s[0:1]
	s_mov_b64 s[42:43], 0
	s_cbranch_vccnz .LBB809_163
; %bb.155:
	v_lshlrev_b64 v[16:17], 3, v[14:15]
	v_mov_b32_e32 v19, s29
	v_add_co_u32_e32 v18, vcc, s28, v16
	v_addc_co_u32_e64 v19, s[2:3], v19, v17, vcc
	v_mov_b32_e32 v16, s29
	v_add_co_u32_e64 v20, s[2:3], s28, v12
	v_addc_co_u32_e64 v21, s[8:9], v16, v13, s[2:3]
	global_load_dwordx2 v[28:29], v[18:19], off
	global_load_dwordx2 v[30:31], v[20:21], off
	s_mov_b64 s[42:43], -1
	s_waitcnt vmcnt(0)
	v_cmp_eq_f64_e64 s[8:9], v[28:29], v[30:31]
	s_and_saveexec_b64 s[40:41], s[8:9]
	s_cbranch_execz .LBB809_162
; %bb.156:
	v_mov_b32_e32 v12, s29
	v_addc_co_u32_e64 v13, s[2:3], v13, v12, s[2:3]
	v_add_co_u32_e64 v12, s[2:3], 8, v20
	v_mov_b32_e32 v16, s29
	v_addc_co_u32_e64 v13, s[2:3], 0, v13, s[2:3]
	v_addc_co_u32_e32 v17, vcc, v17, v16, vcc
	v_add_co_u32_e32 v16, vcc, 8, v18
	s_add_u32 s2, s26, -1
	v_addc_co_u32_e32 v17, vcc, 0, v17, vcc
	s_addc_u32 s3, s27, -1
	s_mov_b64 s[8:9], 0
	s_mov_b64 s[44:45], 0
                                        ; implicit-def: $sgpr42_sgpr43
	s_branch .LBB809_159
.LBB809_157:                            ;   in Loop: Header=BB809_159 Depth=1
	global_load_dwordx2 v[18:19], v[16:17], off
	global_load_dwordx2 v[20:21], v[12:13], off
	v_add_co_u32_e32 v12, vcc, 8, v12
	v_addc_co_u32_e32 v13, vcc, 0, v13, vcc
	v_add_co_u32_e32 v16, vcc, 8, v16
	v_addc_co_u32_e32 v17, vcc, 0, v17, vcc
	s_add_u32 s44, s44, 1
	s_addc_u32 s45, s45, 0
	s_andn2_b64 s[42:43], s[42:43], exec
	s_waitcnt vmcnt(0)
	v_cmp_neq_f64_e32 vcc, v[18:19], v[20:21]
	s_and_b64 s[46:47], vcc, exec
	s_or_b64 s[42:43], s[42:43], s[46:47]
.LBB809_158:                            ;   in Loop: Header=BB809_159 Depth=1
	s_and_b64 s[46:47], exec, s[42:43]
	s_or_b64 s[8:9], s[46:47], s[8:9]
	v_pk_mov_b32 v[18:19], s[44:45], s[44:45] op_sel:[0,1]
	s_andn2_b64 exec, exec, s[8:9]
	s_cbranch_execz .LBB809_161
.LBB809_159:                            ; =>This Inner Loop Header: Depth=1
	s_or_b64 s[42:43], s[42:43], exec
	s_cmp_eq_u64 s[2:3], s[44:45]
	s_cbranch_scc0 .LBB809_157
; %bb.160:                              ;   in Loop: Header=BB809_159 Depth=1
                                        ; implicit-def: $vgpr12_vgpr13
                                        ; implicit-def: $vgpr16_vgpr17
	s_mov_b64 s[44:45], s[26:27]
	s_branch .LBB809_158
.LBB809_161:
	s_or_b64 exec, exec, s[8:9]
	v_cmp_gt_i64_e32 vcc, s[26:27], v[18:19]
	s_orn2_b64 s[42:43], vcc, exec
.LBB809_162:
	s_or_b64 exec, exec, s[40:41]
.LBB809_163:
	v_cndmask_b32_e64 v13, 0, 1, s[38:39]
	v_cndmask_b32_e64 v16, 0, 1, s[42:43]
	;; [unrolled: 1-line block ×3, first 2 shown]
	v_lshlrev_b16_e32 v16, 8, v16
	v_lshlrev_b16_e32 v13, 8, v13
	v_or_b32_e32 v16, 1, v16
	v_or_b32_sdwa v12, v12, v13 dst_sel:WORD_1 dst_unused:UNUSED_PAD src0_sel:DWORD src1_sel:DWORD
	v_or_b32_sdwa v12, v16, v12 dst_sel:DWORD dst_unused:UNUSED_PAD src0_sel:WORD_0 src1_sel:DWORD
	v_cndmask_b32_e64 v13, 0, 1, s[18:19]
	v_cmp_ne_u32_e32 vcc, 0, v0
	s_waitcnt lgkmcnt(0)
	s_barrier
	s_waitcnt lgkmcnt(0)
                                        ; implicit-def: $sgpr18_sgpr19
                                        ; implicit-def: $vgpr16
	s_and_saveexec_b64 s[2:3], vcc
	s_xor_b64 s[8:9], exec, s[2:3]
	s_cbranch_execz .LBB809_174
; %bb.164:
	s_mov_b32 s33, 0x3020104
	s_and_b64 vcc, exec, s[0:1]
	s_mov_b64 s[36:37], 0
	s_cbranch_vccnz .LBB809_173
; %bb.165:
	v_add_u32_e32 v16, -8, v26
	ds_read_b64 v[16:17], v16
	v_mov_b32_e32 v19, s29
	v_lshlrev_b64 v[14:15], 3, v[14:15]
	s_mov_b64 s[36:37], -1
	s_waitcnt lgkmcnt(0)
	v_mul_lo_u32 v18, v17, s26
	v_mul_lo_u32 v20, v16, s27
	v_mad_u64_u32 v[16:17], s[0:1], v16, s26, 0
	v_add3_u32 v17, v17, v20, v18
	v_lshlrev_b64 v[16:17], 3, v[16:17]
	v_add_co_u32_e32 v18, vcc, s28, v16
	v_addc_co_u32_e64 v19, s[0:1], v19, v17, vcc
	v_mov_b32_e32 v16, s29
	v_add_co_u32_e64 v20, s[0:1], s28, v14
	v_addc_co_u32_e64 v21, s[2:3], v16, v15, s[0:1]
	global_load_dwordx2 v[28:29], v[18:19], off
	global_load_dwordx2 v[30:31], v[20:21], off
	s_waitcnt vmcnt(0)
	v_cmp_eq_f64_e64 s[2:3], v[28:29], v[30:31]
	s_and_saveexec_b64 s[18:19], s[2:3]
	s_cbranch_execz .LBB809_172
; %bb.166:
	v_mov_b32_e32 v14, s29
	v_addc_co_u32_e64 v15, s[0:1], v15, v14, s[0:1]
	v_add_co_u32_e64 v14, s[0:1], 8, v20
	v_mov_b32_e32 v16, s29
	v_addc_co_u32_e64 v15, s[0:1], 0, v15, s[0:1]
	v_addc_co_u32_e32 v17, vcc, v17, v16, vcc
	v_add_co_u32_e32 v16, vcc, 8, v18
	s_add_u32 s0, s26, -1
	v_addc_co_u32_e32 v17, vcc, 0, v17, vcc
	s_addc_u32 s1, s27, -1
	s_mov_b64 s[2:3], 0
	s_mov_b64 s[38:39], 0
                                        ; implicit-def: $sgpr36_sgpr37
	s_branch .LBB809_169
.LBB809_167:                            ;   in Loop: Header=BB809_169 Depth=1
	global_load_dwordx2 v[18:19], v[16:17], off
	global_load_dwordx2 v[20:21], v[14:15], off
	v_add_co_u32_e32 v14, vcc, 8, v14
	v_addc_co_u32_e32 v15, vcc, 0, v15, vcc
	v_add_co_u32_e32 v16, vcc, 8, v16
	v_addc_co_u32_e32 v17, vcc, 0, v17, vcc
	s_add_u32 s38, s38, 1
	s_addc_u32 s39, s39, 0
	s_andn2_b64 s[36:37], s[36:37], exec
	s_waitcnt vmcnt(0)
	v_cmp_neq_f64_e32 vcc, v[18:19], v[20:21]
	s_and_b64 s[40:41], vcc, exec
	s_or_b64 s[36:37], s[36:37], s[40:41]
.LBB809_168:                            ;   in Loop: Header=BB809_169 Depth=1
	s_and_b64 s[40:41], exec, s[36:37]
	s_or_b64 s[2:3], s[40:41], s[2:3]
	v_pk_mov_b32 v[18:19], s[38:39], s[38:39] op_sel:[0,1]
	s_andn2_b64 exec, exec, s[2:3]
	s_cbranch_execz .LBB809_171
.LBB809_169:                            ; =>This Inner Loop Header: Depth=1
	s_or_b64 s[36:37], s[36:37], exec
	s_cmp_eq_u64 s[0:1], s[38:39]
	s_cbranch_scc0 .LBB809_167
; %bb.170:                              ;   in Loop: Header=BB809_169 Depth=1
                                        ; implicit-def: $vgpr14_vgpr15
                                        ; implicit-def: $vgpr16_vgpr17
	s_mov_b64 s[38:39], s[26:27]
	s_branch .LBB809_168
.LBB809_171:
	s_or_b64 exec, exec, s[2:3]
	v_cmp_gt_i64_e32 vcc, s[26:27], v[18:19]
	s_orn2_b64 s[36:37], vcc, exec
.LBB809_172:
	s_or_b64 exec, exec, s[18:19]
.LBB809_173:
	v_perm_b32 v16, v12, v12, s33
	s_and_b64 s[18:19], s[36:37], exec
	s_or_b64 s[12:13], s[12:13], exec
.LBB809_174:
	s_or_b64 exec, exec, s[8:9]
	s_branch .LBB809_233
.LBB809_175:
	v_cmp_gt_u32_e32 vcc, s7, v23
	s_mov_b64 s[18:19], 0
	s_mov_b64 s[8:9], 0
	s_and_saveexec_b64 s[36:37], vcc
	s_cbranch_execz .LBB809_186
; %bb.176:
	s_andn2_b64 vcc, exec, s[14:15]
	s_mov_b64 s[38:39], 0
	s_cbranch_vccnz .LBB809_185
; %bb.177:
	v_mul_lo_u32 v14, v5, s26
	v_mul_lo_u32 v15, v4, s27
	v_mad_u64_u32 v[12:13], s[0:1], v4, s26, 0
	v_add3_u32 v13, v13, v15, v14
	v_mul_lo_u32 v14, v11, s26
	v_mul_lo_u32 v15, v10, s27
	v_mad_u64_u32 v[18:19], s[0:1], v10, s26, 0
	v_add3_u32 v19, v19, v15, v14
	v_lshlrev_b64 v[14:15], 3, v[12:13]
	v_mov_b32_e32 v12, s29
	v_add_co_u32_e32 v16, vcc, s28, v14
	v_addc_co_u32_e64 v17, s[0:1], v12, v15, vcc
	v_lshlrev_b64 v[12:13], 3, v[18:19]
	v_mov_b32_e32 v14, s29
	v_add_co_u32_e64 v18, s[0:1], s28, v12
	v_addc_co_u32_e64 v19, s[2:3], v14, v13, s[0:1]
	global_load_dwordx2 v[20:21], v[16:17], off
	global_load_dwordx2 v[28:29], v[18:19], off
	s_mov_b64 s[38:39], -1
	s_waitcnt vmcnt(0)
	v_cmp_eq_f64_e64 s[2:3], v[20:21], v[28:29]
	s_and_saveexec_b64 s[8:9], s[2:3]
	s_cbranch_execz .LBB809_184
; %bb.178:
	v_mov_b32_e32 v12, s29
	v_addc_co_u32_e64 v13, s[0:1], v13, v12, s[0:1]
	v_add_co_u32_e64 v12, s[0:1], 8, v18
	v_mov_b32_e32 v14, s29
	v_addc_co_u32_e64 v13, s[0:1], 0, v13, s[0:1]
	v_addc_co_u32_e32 v15, vcc, v15, v14, vcc
	v_add_co_u32_e32 v14, vcc, 8, v16
	s_add_u32 s0, s26, -1
	v_addc_co_u32_e32 v15, vcc, 0, v15, vcc
	s_addc_u32 s1, s27, -1
	s_mov_b64 s[2:3], 0
	s_mov_b64 s[40:41], 0
                                        ; implicit-def: $sgpr38_sgpr39
	s_branch .LBB809_181
.LBB809_179:                            ;   in Loop: Header=BB809_181 Depth=1
	global_load_dwordx2 v[16:17], v[14:15], off
	global_load_dwordx2 v[18:19], v[12:13], off
	v_add_co_u32_e32 v12, vcc, 8, v12
	v_addc_co_u32_e32 v13, vcc, 0, v13, vcc
	v_add_co_u32_e32 v14, vcc, 8, v14
	v_addc_co_u32_e32 v15, vcc, 0, v15, vcc
	s_add_u32 s40, s40, 1
	s_addc_u32 s41, s41, 0
	s_andn2_b64 s[38:39], s[38:39], exec
	s_waitcnt vmcnt(0)
	v_cmp_neq_f64_e32 vcc, v[16:17], v[18:19]
	s_and_b64 s[42:43], vcc, exec
	s_or_b64 s[38:39], s[38:39], s[42:43]
.LBB809_180:                            ;   in Loop: Header=BB809_181 Depth=1
	s_and_b64 s[42:43], exec, s[38:39]
	s_or_b64 s[2:3], s[42:43], s[2:3]
	v_pk_mov_b32 v[16:17], s[40:41], s[40:41] op_sel:[0,1]
	s_andn2_b64 exec, exec, s[2:3]
	s_cbranch_execz .LBB809_183
.LBB809_181:                            ; =>This Inner Loop Header: Depth=1
	s_or_b64 s[38:39], s[38:39], exec
	s_cmp_eq_u64 s[0:1], s[40:41]
	s_cbranch_scc0 .LBB809_179
; %bb.182:                              ;   in Loop: Header=BB809_181 Depth=1
                                        ; implicit-def: $vgpr12_vgpr13
                                        ; implicit-def: $vgpr14_vgpr15
	s_mov_b64 s[40:41], s[26:27]
	s_branch .LBB809_180
.LBB809_183:
	s_or_b64 exec, exec, s[2:3]
	v_cmp_gt_i64_e32 vcc, s[26:27], v[16:17]
	s_orn2_b64 s[38:39], vcc, exec
.LBB809_184:
	s_or_b64 exec, exec, s[8:9]
.LBB809_185:
	s_and_b64 s[8:9], s[38:39], exec
.LBB809_186:
	s_or_b64 exec, exec, s[36:37]
	v_cmp_gt_u32_e32 vcc, s7, v25
	s_and_saveexec_b64 s[36:37], vcc
	s_cbranch_execz .LBB809_197
; %bb.187:
	s_andn2_b64 vcc, exec, s[14:15]
	s_mov_b64 s[38:39], 0
	s_cbranch_vccnz .LBB809_196
; %bb.188:
	v_mul_lo_u32 v14, v3, s26
	v_mul_lo_u32 v15, v2, s27
	v_mad_u64_u32 v[12:13], s[0:1], v2, s26, 0
	v_add3_u32 v13, v13, v15, v14
	v_mul_lo_u32 v14, v5, s26
	v_mul_lo_u32 v15, v4, s27
	v_mad_u64_u32 v[18:19], s[0:1], v4, s26, 0
	v_add3_u32 v19, v19, v15, v14
	v_lshlrev_b64 v[14:15], 3, v[12:13]
	v_mov_b32_e32 v12, s29
	v_add_co_u32_e32 v16, vcc, s28, v14
	v_addc_co_u32_e64 v17, s[0:1], v12, v15, vcc
	v_lshlrev_b64 v[12:13], 3, v[18:19]
	v_mov_b32_e32 v14, s29
	v_add_co_u32_e64 v18, s[0:1], s28, v12
	v_addc_co_u32_e64 v19, s[2:3], v14, v13, s[0:1]
	global_load_dwordx2 v[20:21], v[16:17], off
	global_load_dwordx2 v[28:29], v[18:19], off
	s_mov_b64 s[38:39], -1
	s_waitcnt vmcnt(0)
	v_cmp_eq_f64_e64 s[2:3], v[20:21], v[28:29]
	s_and_saveexec_b64 s[18:19], s[2:3]
	s_cbranch_execz .LBB809_195
; %bb.189:
	v_mov_b32_e32 v12, s29
	v_addc_co_u32_e64 v13, s[0:1], v13, v12, s[0:1]
	v_add_co_u32_e64 v12, s[0:1], 8, v18
	v_mov_b32_e32 v14, s29
	v_addc_co_u32_e64 v13, s[0:1], 0, v13, s[0:1]
	v_addc_co_u32_e32 v15, vcc, v15, v14, vcc
	v_add_co_u32_e32 v14, vcc, 8, v16
	s_add_u32 s0, s26, -1
	v_addc_co_u32_e32 v15, vcc, 0, v15, vcc
	s_addc_u32 s1, s27, -1
	s_mov_b64 s[2:3], 0
	s_mov_b64 s[40:41], 0
                                        ; implicit-def: $sgpr38_sgpr39
	s_branch .LBB809_192
.LBB809_190:                            ;   in Loop: Header=BB809_192 Depth=1
	global_load_dwordx2 v[16:17], v[14:15], off
	global_load_dwordx2 v[18:19], v[12:13], off
	v_add_co_u32_e32 v12, vcc, 8, v12
	v_addc_co_u32_e32 v13, vcc, 0, v13, vcc
	v_add_co_u32_e32 v14, vcc, 8, v14
	v_addc_co_u32_e32 v15, vcc, 0, v15, vcc
	s_add_u32 s40, s40, 1
	s_addc_u32 s41, s41, 0
	s_andn2_b64 s[38:39], s[38:39], exec
	s_waitcnt vmcnt(0)
	v_cmp_neq_f64_e32 vcc, v[16:17], v[18:19]
	s_and_b64 s[42:43], vcc, exec
	s_or_b64 s[38:39], s[38:39], s[42:43]
.LBB809_191:                            ;   in Loop: Header=BB809_192 Depth=1
	s_and_b64 s[42:43], exec, s[38:39]
	s_or_b64 s[2:3], s[42:43], s[2:3]
	v_pk_mov_b32 v[16:17], s[40:41], s[40:41] op_sel:[0,1]
	s_andn2_b64 exec, exec, s[2:3]
	s_cbranch_execz .LBB809_194
.LBB809_192:                            ; =>This Inner Loop Header: Depth=1
	s_or_b64 s[38:39], s[38:39], exec
	s_cmp_eq_u64 s[0:1], s[40:41]
	s_cbranch_scc0 .LBB809_190
; %bb.193:                              ;   in Loop: Header=BB809_192 Depth=1
                                        ; implicit-def: $vgpr12_vgpr13
                                        ; implicit-def: $vgpr14_vgpr15
	s_mov_b64 s[40:41], s[26:27]
	s_branch .LBB809_191
.LBB809_194:
	s_or_b64 exec, exec, s[2:3]
	v_cmp_gt_i64_e32 vcc, s[26:27], v[16:17]
	s_orn2_b64 s[38:39], vcc, exec
.LBB809_195:
	s_or_b64 exec, exec, s[18:19]
.LBB809_196:
	s_and_b64 s[18:19], s[38:39], exec
.LBB809_197:
	s_or_b64 exec, exec, s[36:37]
	v_cmp_gt_u32_e32 vcc, s7, v22
	s_mov_b64 s[36:37], 0
	s_mov_b64 s[38:39], 0
	s_and_saveexec_b64 s[40:41], vcc
	s_cbranch_execz .LBB809_208
; %bb.198:
	s_andn2_b64 vcc, exec, s[14:15]
	s_mov_b64 s[42:43], 0
	s_cbranch_vccnz .LBB809_207
; %bb.199:
	v_mul_lo_u32 v14, v9, s26
	v_mul_lo_u32 v15, v8, s27
	v_mad_u64_u32 v[12:13], s[0:1], v8, s26, 0
	v_add3_u32 v13, v13, v15, v14
	v_mul_lo_u32 v14, v3, s26
	v_mul_lo_u32 v15, v2, s27
	v_mad_u64_u32 v[18:19], s[0:1], v2, s26, 0
	v_add3_u32 v19, v19, v15, v14
	v_lshlrev_b64 v[14:15], 3, v[12:13]
	v_mov_b32_e32 v12, s29
	v_add_co_u32_e32 v16, vcc, s28, v14
	v_addc_co_u32_e64 v17, s[0:1], v12, v15, vcc
	v_lshlrev_b64 v[12:13], 3, v[18:19]
	v_mov_b32_e32 v14, s29
	v_add_co_u32_e64 v18, s[0:1], s28, v12
	v_addc_co_u32_e64 v19, s[2:3], v14, v13, s[0:1]
	global_load_dwordx2 v[20:21], v[16:17], off
	global_load_dwordx2 v[28:29], v[18:19], off
	s_mov_b64 s[42:43], -1
	s_waitcnt vmcnt(0)
	v_cmp_eq_f64_e64 s[2:3], v[20:21], v[28:29]
	s_and_saveexec_b64 s[38:39], s[2:3]
	s_cbranch_execz .LBB809_206
; %bb.200:
	v_mov_b32_e32 v12, s29
	v_addc_co_u32_e64 v13, s[0:1], v13, v12, s[0:1]
	v_add_co_u32_e64 v12, s[0:1], 8, v18
	v_mov_b32_e32 v14, s29
	v_addc_co_u32_e64 v13, s[0:1], 0, v13, s[0:1]
	v_addc_co_u32_e32 v15, vcc, v15, v14, vcc
	v_add_co_u32_e32 v14, vcc, 8, v16
	s_add_u32 s0, s26, -1
	v_addc_co_u32_e32 v15, vcc, 0, v15, vcc
	s_addc_u32 s1, s27, -1
	s_mov_b64 s[2:3], 0
	s_mov_b64 s[44:45], 0
                                        ; implicit-def: $sgpr42_sgpr43
	s_branch .LBB809_203
.LBB809_201:                            ;   in Loop: Header=BB809_203 Depth=1
	global_load_dwordx2 v[16:17], v[14:15], off
	global_load_dwordx2 v[18:19], v[12:13], off
	v_add_co_u32_e32 v12, vcc, 8, v12
	v_addc_co_u32_e32 v13, vcc, 0, v13, vcc
	v_add_co_u32_e32 v14, vcc, 8, v14
	v_addc_co_u32_e32 v15, vcc, 0, v15, vcc
	s_add_u32 s44, s44, 1
	s_addc_u32 s45, s45, 0
	s_andn2_b64 s[42:43], s[42:43], exec
	s_waitcnt vmcnt(0)
	v_cmp_neq_f64_e32 vcc, v[16:17], v[18:19]
	s_and_b64 s[46:47], vcc, exec
	s_or_b64 s[42:43], s[42:43], s[46:47]
.LBB809_202:                            ;   in Loop: Header=BB809_203 Depth=1
	s_and_b64 s[46:47], exec, s[42:43]
	s_or_b64 s[2:3], s[46:47], s[2:3]
	v_pk_mov_b32 v[16:17], s[44:45], s[44:45] op_sel:[0,1]
	s_andn2_b64 exec, exec, s[2:3]
	s_cbranch_execz .LBB809_205
.LBB809_203:                            ; =>This Inner Loop Header: Depth=1
	s_or_b64 s[42:43], s[42:43], exec
	s_cmp_eq_u64 s[0:1], s[44:45]
	s_cbranch_scc0 .LBB809_201
; %bb.204:                              ;   in Loop: Header=BB809_203 Depth=1
                                        ; implicit-def: $vgpr12_vgpr13
                                        ; implicit-def: $vgpr14_vgpr15
	s_mov_b64 s[44:45], s[26:27]
	s_branch .LBB809_202
.LBB809_205:
	s_or_b64 exec, exec, s[2:3]
	v_cmp_gt_i64_e32 vcc, s[26:27], v[16:17]
	s_orn2_b64 s[42:43], vcc, exec
.LBB809_206:
	s_or_b64 exec, exec, s[38:39]
.LBB809_207:
	s_and_b64 s[38:39], s[42:43], exec
.LBB809_208:
	s_or_b64 exec, exec, s[40:41]
	v_cmp_gt_u32_e32 vcc, s7, v24
	s_and_saveexec_b64 s[40:41], vcc
	s_cbranch_execz .LBB809_219
; %bb.209:
	s_andn2_b64 vcc, exec, s[14:15]
	s_mov_b64 s[42:43], 0
	s_cbranch_vccnz .LBB809_218
; %bb.210:
	v_mul_lo_u32 v14, v7, s26
	v_mul_lo_u32 v15, v6, s27
	v_mad_u64_u32 v[12:13], s[0:1], v6, s26, 0
	v_add3_u32 v13, v13, v15, v14
	v_mul_lo_u32 v14, v9, s26
	v_mul_lo_u32 v15, v8, s27
	v_mad_u64_u32 v[18:19], s[0:1], v8, s26, 0
	v_add3_u32 v19, v19, v15, v14
	v_lshlrev_b64 v[14:15], 3, v[12:13]
	v_mov_b32_e32 v12, s29
	v_add_co_u32_e32 v16, vcc, s28, v14
	v_addc_co_u32_e64 v17, s[0:1], v12, v15, vcc
	v_lshlrev_b64 v[12:13], 3, v[18:19]
	v_mov_b32_e32 v14, s29
	v_add_co_u32_e64 v18, s[0:1], s28, v12
	v_addc_co_u32_e64 v19, s[2:3], v14, v13, s[0:1]
	global_load_dwordx2 v[20:21], v[16:17], off
	global_load_dwordx2 v[28:29], v[18:19], off
	s_mov_b64 s[42:43], -1
	s_waitcnt vmcnt(0)
	v_cmp_eq_f64_e64 s[2:3], v[20:21], v[28:29]
	s_and_saveexec_b64 s[36:37], s[2:3]
	s_cbranch_execz .LBB809_217
; %bb.211:
	v_mov_b32_e32 v12, s29
	v_addc_co_u32_e64 v13, s[0:1], v13, v12, s[0:1]
	v_add_co_u32_e64 v12, s[0:1], 8, v18
	v_mov_b32_e32 v14, s29
	v_addc_co_u32_e64 v13, s[0:1], 0, v13, s[0:1]
	v_addc_co_u32_e32 v15, vcc, v15, v14, vcc
	v_add_co_u32_e32 v14, vcc, 8, v16
	s_add_u32 s0, s26, -1
	v_addc_co_u32_e32 v15, vcc, 0, v15, vcc
	s_addc_u32 s1, s27, -1
	s_mov_b64 s[2:3], 0
	s_mov_b64 s[44:45], 0
                                        ; implicit-def: $sgpr42_sgpr43
	s_branch .LBB809_214
.LBB809_212:                            ;   in Loop: Header=BB809_214 Depth=1
	global_load_dwordx2 v[16:17], v[14:15], off
	global_load_dwordx2 v[18:19], v[12:13], off
	v_add_co_u32_e32 v12, vcc, 8, v12
	v_addc_co_u32_e32 v13, vcc, 0, v13, vcc
	v_add_co_u32_e32 v14, vcc, 8, v14
	v_addc_co_u32_e32 v15, vcc, 0, v15, vcc
	s_add_u32 s44, s44, 1
	s_addc_u32 s45, s45, 0
	s_andn2_b64 s[42:43], s[42:43], exec
	s_waitcnt vmcnt(0)
	v_cmp_neq_f64_e32 vcc, v[16:17], v[18:19]
	s_and_b64 s[46:47], vcc, exec
	s_or_b64 s[42:43], s[42:43], s[46:47]
.LBB809_213:                            ;   in Loop: Header=BB809_214 Depth=1
	s_and_b64 s[46:47], exec, s[42:43]
	s_or_b64 s[2:3], s[46:47], s[2:3]
	v_pk_mov_b32 v[16:17], s[44:45], s[44:45] op_sel:[0,1]
	s_andn2_b64 exec, exec, s[2:3]
	s_cbranch_execz .LBB809_216
.LBB809_214:                            ; =>This Inner Loop Header: Depth=1
	s_or_b64 s[42:43], s[42:43], exec
	s_cmp_eq_u64 s[0:1], s[44:45]
	s_cbranch_scc0 .LBB809_212
; %bb.215:                              ;   in Loop: Header=BB809_214 Depth=1
                                        ; implicit-def: $vgpr12_vgpr13
                                        ; implicit-def: $vgpr14_vgpr15
	s_mov_b64 s[44:45], s[26:27]
	s_branch .LBB809_213
.LBB809_216:
	s_or_b64 exec, exec, s[2:3]
	v_cmp_gt_i64_e32 vcc, s[26:27], v[16:17]
	s_orn2_b64 s[42:43], vcc, exec
.LBB809_217:
	s_or_b64 exec, exec, s[36:37]
.LBB809_218:
	s_and_b64 s[36:37], s[42:43], exec
.LBB809_219:
	s_or_b64 exec, exec, s[40:41]
	v_cndmask_b32_e64 v13, 0, 1, s[18:19]
	v_cndmask_b32_e64 v14, 0, 1, s[36:37]
	;; [unrolled: 1-line block ×3, first 2 shown]
	v_lshlrev_b16_e32 v14, 8, v14
	v_lshlrev_b16_e32 v13, 8, v13
	v_or_b32_e32 v14, 1, v14
	v_or_b32_sdwa v12, v12, v13 dst_sel:WORD_1 dst_unused:UNUSED_PAD src0_sel:DWORD src1_sel:DWORD
	v_or_b32_sdwa v12, v14, v12 dst_sel:DWORD dst_unused:UNUSED_PAD src0_sel:WORD_0 src1_sel:DWORD
	v_cndmask_b32_e64 v13, 0, 1, s[8:9]
	v_cmp_ne_u32_e32 vcc, 0, v0
	s_waitcnt lgkmcnt(0)
	s_barrier
	s_waitcnt lgkmcnt(0)
                                        ; implicit-def: $sgpr18_sgpr19
                                        ; implicit-def: $vgpr16
	s_and_saveexec_b64 s[8:9], vcc
	s_cbranch_execz .LBB809_232
; %bb.220:
	v_cmp_gt_u32_e32 vcc, s7, v1
	s_mov_b32 s33, 0x3020104
	s_mov_b64 s[0:1], 0
	s_and_saveexec_b64 s[18:19], vcc
	s_cbranch_execz .LBB809_231
; %bb.221:
	s_andn2_b64 vcc, exec, s[14:15]
	s_mov_b64 s[36:37], 0
	s_cbranch_vccnz .LBB809_230
; %bb.222:
	v_add_u32_e32 v14, -8, v26
	ds_read_b64 v[14:15], v14
	v_mul_lo_u32 v16, v7, s26
	v_mad_u64_u32 v[20:21], s[0:1], v6, s26, 0
	s_mov_b64 s[36:37], -1
	s_waitcnt lgkmcnt(0)
	v_mul_lo_u32 v17, v15, s26
	v_mul_lo_u32 v18, v14, s27
	v_mad_u64_u32 v[14:15], s[0:1], v14, s26, 0
	v_add3_u32 v15, v15, v18, v17
	v_mul_lo_u32 v17, v6, s27
	v_add3_u32 v21, v21, v17, v16
	v_lshlrev_b64 v[16:17], 3, v[14:15]
	v_mov_b32_e32 v14, s29
	v_add_co_u32_e32 v18, vcc, s28, v16
	v_addc_co_u32_e64 v19, s[0:1], v14, v17, vcc
	v_lshlrev_b64 v[14:15], 3, v[20:21]
	v_mov_b32_e32 v16, s29
	v_add_co_u32_e64 v20, s[0:1], s28, v14
	v_addc_co_u32_e64 v21, s[2:3], v16, v15, s[0:1]
	global_load_dwordx2 v[26:27], v[18:19], off
	global_load_dwordx2 v[28:29], v[20:21], off
	s_waitcnt vmcnt(0)
	v_cmp_eq_f64_e64 s[2:3], v[26:27], v[28:29]
	s_and_saveexec_b64 s[14:15], s[2:3]
	s_cbranch_execz .LBB809_229
; %bb.223:
	v_mov_b32_e32 v14, s29
	v_addc_co_u32_e64 v15, s[0:1], v15, v14, s[0:1]
	v_add_co_u32_e64 v14, s[0:1], 8, v20
	v_mov_b32_e32 v16, s29
	v_addc_co_u32_e64 v15, s[0:1], 0, v15, s[0:1]
	v_addc_co_u32_e32 v17, vcc, v17, v16, vcc
	v_add_co_u32_e32 v16, vcc, 8, v18
	s_add_u32 s0, s26, -1
	v_addc_co_u32_e32 v17, vcc, 0, v17, vcc
	s_addc_u32 s1, s27, -1
	s_mov_b64 s[2:3], 0
	s_mov_b64 s[36:37], 0
                                        ; implicit-def: $sgpr28_sgpr29
	s_branch .LBB809_226
.LBB809_224:                            ;   in Loop: Header=BB809_226 Depth=1
	global_load_dwordx2 v[18:19], v[16:17], off
	global_load_dwordx2 v[20:21], v[14:15], off
	v_add_co_u32_e32 v14, vcc, 8, v14
	v_addc_co_u32_e32 v15, vcc, 0, v15, vcc
	v_add_co_u32_e32 v16, vcc, 8, v16
	v_addc_co_u32_e32 v17, vcc, 0, v17, vcc
	s_add_u32 s36, s36, 1
	s_addc_u32 s37, s37, 0
	s_andn2_b64 s[28:29], s[28:29], exec
	s_waitcnt vmcnt(0)
	v_cmp_neq_f64_e32 vcc, v[18:19], v[20:21]
	s_and_b64 s[38:39], vcc, exec
	s_or_b64 s[28:29], s[28:29], s[38:39]
.LBB809_225:                            ;   in Loop: Header=BB809_226 Depth=1
	s_and_b64 s[38:39], exec, s[28:29]
	s_or_b64 s[2:3], s[38:39], s[2:3]
	v_pk_mov_b32 v[18:19], s[36:37], s[36:37] op_sel:[0,1]
	s_andn2_b64 exec, exec, s[2:3]
	s_cbranch_execz .LBB809_228
.LBB809_226:                            ; =>This Inner Loop Header: Depth=1
	s_or_b64 s[28:29], s[28:29], exec
	s_cmp_eq_u64 s[0:1], s[36:37]
	s_cbranch_scc0 .LBB809_224
; %bb.227:                              ;   in Loop: Header=BB809_226 Depth=1
                                        ; implicit-def: $vgpr14_vgpr15
                                        ; implicit-def: $vgpr16_vgpr17
	s_mov_b64 s[36:37], s[26:27]
	s_branch .LBB809_225
.LBB809_228:
	s_or_b64 exec, exec, s[2:3]
	v_cmp_gt_i64_e32 vcc, s[26:27], v[18:19]
	s_orn2_b64 s[36:37], vcc, exec
.LBB809_229:
	s_or_b64 exec, exec, s[14:15]
.LBB809_230:
	s_and_b64 s[0:1], s[36:37], exec
.LBB809_231:
	s_or_b64 exec, exec, s[18:19]
	v_perm_b32 v16, v12, v12, s33
	s_and_b64 s[18:19], s[0:1], exec
	s_or_b64 s[12:13], s[12:13], exec
.LBB809_232:
	s_or_b64 exec, exec, s[8:9]
.LBB809_233:
	s_and_saveexec_b64 s[0:1], s[12:13]
	s_cbranch_execz .LBB809_235
; %bb.234:
	v_lshrrev_b32_e32 v14, 24, v16
	s_movk_i32 s2, 0xff
	v_lshlrev_b16_e32 v14, 8, v14
	v_and_b32_sdwa v15, v16, s2 dst_sel:DWORD dst_unused:UNUSED_PAD src0_sel:WORD_1 src1_sel:DWORD
	v_or_b32_sdwa v14, v15, v14 dst_sel:WORD_1 dst_unused:UNUSED_PAD src0_sel:DWORD src1_sel:DWORD
	v_mov_b32_e32 v15, 8
	v_cndmask_b32_e64 v12, 0, 1, s[18:19]
	v_lshrrev_b32_sdwa v15, v15, v16 dst_sel:BYTE_1 dst_unused:UNUSED_PAD src0_sel:DWORD src1_sel:DWORD
	v_or_b32_e32 v12, v12, v15
	s_mov_b32 s2, 0xffff
	v_or_b32_sdwa v12, v12, v14 dst_sel:DWORD dst_unused:UNUSED_PAD src0_sel:WORD_0 src1_sel:DWORD
	v_and_b32_sdwa v13, s2, v13 dst_sel:DWORD dst_unused:UNUSED_PAD src0_sel:DWORD src1_sel:BYTE_0
.LBB809_235:
	s_or_b64 exec, exec, s[0:1]
	s_andn2_b64 vcc, exec, s[10:11]
	s_cbranch_vccnz .LBB809_237
; %bb.236:
	v_cmp_gt_u32_e32 vcc, s7, v1
	v_cndmask_b32_e32 v1, 0, v12, vcc
	v_and_b32_e32 v1, 0xffff00ff, v1
	v_cmp_gt_u32_e64 s[0:1], s7, v24
	v_cndmask_b32_e64 v1, v1, v12, s[0:1]
	v_lshrrev_b32_e32 v14, 24, v1
	s_mov_b32 s2, 0x40c0100
	v_perm_b32 v1, v14, v1, s2
	v_cmp_gt_u32_e64 s[2:3], s7, v22
	v_cmp_gt_u32_e64 s[8:9], s7, v25
	v_cndmask_b32_e64 v1, v1, v12, s[2:3]
	s_or_b64 s[2:3], s[8:9], s[2:3]
	s_or_b64 s[0:1], s[2:3], s[0:1]
	s_or_b64 vcc, s[0:1], vcc
	v_and_b32_e32 v1, 0xffffff, v1
	v_cndmask_b32_e32 v14, 0, v13, vcc
	v_cndmask_b32_e64 v1, v1, v12, s[8:9]
	v_and_b32_e32 v14, 0xffffff00, v14
	v_cmp_gt_u32_e32 vcc, s7, v23
	v_cndmask_b32_e32 v1, v1, v12, vcc
	v_cndmask_b32_e32 v12, v14, v13, vcc
	s_mov_b32 s0, 0x3020104
	v_and_b32_e32 v13, 0xff, v12
	v_perm_b32 v12, v1, v1, s0
.LBB809_237:
	v_and_b32_e32 v1, 0xff, v12
	v_bfe_u32 v25, v12, 8, 8
	v_bfe_u32 v27, v12, 16, 8
	v_alignbit_b32 v14, v13, v12, 24
	v_and_b32_e32 v28, 0xff, v14
	v_and_b32_e32 v14, 0xff, v13
	v_add3_u32 v15, v25, v1, v27
	v_add3_u32 v31, v15, v28, v14
	v_mbcnt_lo_u32_b32 v14, -1, 0
	v_mbcnt_hi_u32_b32 v29, -1, v14
	v_and_b32_e32 v14, 15, v29
	v_cmp_eq_u32_e64 s[14:15], 0, v14
	v_cmp_lt_u32_e64 s[12:13], 1, v14
	v_cmp_lt_u32_e64 s[10:11], 3, v14
	;; [unrolled: 1-line block ×3, first 2 shown]
	v_and_b32_e32 v14, 16, v29
	v_cmp_eq_u32_e64 s[18:19], 0, v14
	v_or_b32_e32 v14, 63, v0
	v_cmp_lt_u32_e64 s[0:1], 31, v29
	v_lshrrev_b32_e32 v30, 6, v0
	v_cmp_eq_u32_e64 s[2:3], v14, v0
	s_and_b64 vcc, exec, s[16:17]
	s_waitcnt lgkmcnt(0)
	s_barrier
	s_cbranch_vccz .LBB809_264
; %bb.238:
	v_mov_b32_dpp v14, v31 row_shr:1 row_mask:0xf bank_mask:0xf
	v_cndmask_b32_e64 v14, v14, 0, s[14:15]
	v_add_u32_e32 v14, v14, v31
	s_nop 1
	v_mov_b32_dpp v15, v14 row_shr:2 row_mask:0xf bank_mask:0xf
	v_cndmask_b32_e64 v15, 0, v15, s[12:13]
	v_add_u32_e32 v14, v14, v15
	s_nop 1
	v_mov_b32_dpp v15, v14 row_shr:4 row_mask:0xf bank_mask:0xf
	v_cndmask_b32_e64 v15, 0, v15, s[10:11]
	v_add_u32_e32 v14, v14, v15
	s_nop 1
	v_mov_b32_dpp v15, v14 row_shr:8 row_mask:0xf bank_mask:0xf
	v_cndmask_b32_e64 v15, 0, v15, s[8:9]
	v_add_u32_e32 v14, v14, v15
	s_nop 1
	v_mov_b32_dpp v15, v14 row_bcast:15 row_mask:0xf bank_mask:0xf
	v_cndmask_b32_e64 v15, v15, 0, s[18:19]
	v_add_u32_e32 v14, v14, v15
	s_nop 1
	v_mov_b32_dpp v15, v14 row_bcast:31 row_mask:0xf bank_mask:0xf
	v_cndmask_b32_e64 v15, 0, v15, s[0:1]
	v_add_u32_e32 v14, v14, v15
	s_and_saveexec_b64 s[16:17], s[2:3]
	s_cbranch_execz .LBB809_240
; %bb.239:
	v_lshlrev_b32_e32 v15, 2, v30
	ds_write_b32 v15, v14
.LBB809_240:
	s_or_b64 exec, exec, s[16:17]
	v_cmp_gt_u32_e32 vcc, 4, v0
	s_waitcnt lgkmcnt(0)
	s_barrier
	s_and_saveexec_b64 s[16:17], vcc
	s_cbranch_execz .LBB809_242
; %bb.241:
	v_lshlrev_b32_e32 v15, 2, v0
	ds_read_b32 v16, v15
	v_and_b32_e32 v17, 3, v29
	v_cmp_ne_u32_e32 vcc, 0, v17
	s_waitcnt lgkmcnt(0)
	v_mov_b32_dpp v18, v16 row_shr:1 row_mask:0xf bank_mask:0xf
	v_cndmask_b32_e32 v18, 0, v18, vcc
	v_add_u32_e32 v16, v18, v16
	v_cmp_lt_u32_e32 vcc, 1, v17
	s_nop 0
	v_mov_b32_dpp v18, v16 row_shr:2 row_mask:0xf bank_mask:0xf
	v_cndmask_b32_e32 v17, 0, v18, vcc
	v_add_u32_e32 v16, v16, v17
	ds_write_b32 v15, v16
.LBB809_242:
	s_or_b64 exec, exec, s[16:17]
	v_cmp_gt_u32_e32 vcc, 64, v0
	v_cmp_lt_u32_e64 s[16:17], 63, v0
	s_waitcnt lgkmcnt(0)
	s_barrier
	s_waitcnt lgkmcnt(0)
                                        ; implicit-def: $vgpr24
	s_and_saveexec_b64 s[26:27], s[16:17]
	s_cbranch_execz .LBB809_244
; %bb.243:
	v_lshl_add_u32 v15, v30, 2, -4
	ds_read_b32 v24, v15
	s_waitcnt lgkmcnt(0)
	v_add_u32_e32 v14, v24, v14
.LBB809_244:
	s_or_b64 exec, exec, s[26:27]
	v_add_u32_e32 v15, -1, v29
	v_and_b32_e32 v16, 64, v29
	v_cmp_lt_i32_e64 s[16:17], v15, v16
	v_cndmask_b32_e64 v15, v15, v29, s[16:17]
	v_lshlrev_b32_e32 v15, 2, v15
	ds_bpermute_b32 v26, v15, v14
	v_cmp_eq_u32_e64 s[16:17], 0, v29
	s_and_saveexec_b64 s[26:27], vcc
	s_cbranch_execz .LBB809_263
; %bb.245:
	v_mov_b32_e32 v21, 0
	ds_read_b32 v14, v21 offset:12
	s_and_saveexec_b64 s[28:29], s[16:17]
	s_cbranch_execz .LBB809_247
; %bb.246:
	s_add_i32 s36, s6, 64
	s_mov_b32 s37, 0
	s_lshl_b64 s[36:37], s[36:37], 3
	s_add_u32 s36, s30, s36
	v_mov_b32_e32 v15, 1
	s_addc_u32 s37, s31, s37
	s_waitcnt lgkmcnt(0)
	global_store_dwordx2 v21, v[14:15], s[36:37]
.LBB809_247:
	s_or_b64 exec, exec, s[28:29]
	v_xad_u32 v16, v29, -1, s6
	v_add_u32_e32 v20, 64, v16
	v_lshlrev_b64 v[18:19], 3, v[20:21]
	v_mov_b32_e32 v15, s31
	v_add_co_u32_e32 v22, vcc, s30, v18
	v_addc_co_u32_e32 v23, vcc, v15, v19, vcc
	global_load_dwordx2 v[18:19], v[22:23], off glc
	s_waitcnt vmcnt(0)
	v_cmp_eq_u16_sdwa s[36:37], v19, v21 src0_sel:BYTE_0 src1_sel:DWORD
	s_and_saveexec_b64 s[28:29], s[36:37]
	s_cbranch_execz .LBB809_251
; %bb.248:
	s_mov_b64 s[36:37], 0
	v_mov_b32_e32 v15, 0
.LBB809_249:                            ; =>This Inner Loop Header: Depth=1
	global_load_dwordx2 v[18:19], v[22:23], off glc
	s_waitcnt vmcnt(0)
	v_cmp_ne_u16_sdwa s[38:39], v19, v15 src0_sel:BYTE_0 src1_sel:DWORD
	s_or_b64 s[36:37], s[38:39], s[36:37]
	s_andn2_b64 exec, exec, s[36:37]
	s_cbranch_execnz .LBB809_249
; %bb.250:
	s_or_b64 exec, exec, s[36:37]
.LBB809_251:
	s_or_b64 exec, exec, s[28:29]
	v_and_b32_e32 v32, 63, v29
	v_mov_b32_e32 v15, 2
	v_cmp_ne_u32_e32 vcc, 63, v32
	v_cmp_eq_u16_sdwa s[28:29], v19, v15 src0_sel:BYTE_0 src1_sel:DWORD
	v_lshlrev_b64 v[20:21], v29, -1
	v_addc_co_u32_e32 v23, vcc, 0, v29, vcc
	v_and_b32_e32 v17, s29, v21
	v_lshlrev_b32_e32 v33, 2, v23
	v_or_b32_e32 v17, 0x80000000, v17
	ds_bpermute_b32 v23, v33, v18
	v_and_b32_e32 v22, s28, v20
	v_ffbl_b32_e32 v17, v17
	v_add_u32_e32 v17, 32, v17
	v_ffbl_b32_e32 v22, v22
	v_min_u32_e32 v17, v22, v17
	v_cmp_lt_u32_e32 vcc, v32, v17
	s_waitcnt lgkmcnt(0)
	v_cndmask_b32_e32 v22, 0, v23, vcc
	v_cmp_gt_u32_e32 vcc, 62, v32
	v_add_u32_e32 v18, v22, v18
	v_cndmask_b32_e64 v22, 0, 1, vcc
	v_lshlrev_b32_e32 v22, 1, v22
	v_add_lshl_u32 v34, v22, v29, 2
	ds_bpermute_b32 v22, v34, v18
	v_add_u32_e32 v35, 2, v32
	v_cmp_le_u32_e32 vcc, v35, v17
	v_add_u32_e32 v37, 4, v32
	v_add_u32_e32 v39, 8, v32
	s_waitcnt lgkmcnt(0)
	v_cndmask_b32_e32 v22, 0, v22, vcc
	v_cmp_gt_u32_e32 vcc, 60, v32
	v_add_u32_e32 v18, v18, v22
	v_cndmask_b32_e64 v22, 0, 1, vcc
	v_lshlrev_b32_e32 v22, 2, v22
	v_add_lshl_u32 v36, v22, v29, 2
	ds_bpermute_b32 v22, v36, v18
	v_cmp_le_u32_e32 vcc, v37, v17
	v_add_u32_e32 v42, 16, v32
	v_add_u32_e32 v44, 32, v32
	s_waitcnt lgkmcnt(0)
	v_cndmask_b32_e32 v22, 0, v22, vcc
	v_cmp_gt_u32_e32 vcc, 56, v32
	v_add_u32_e32 v18, v18, v22
	v_cndmask_b32_e64 v22, 0, 1, vcc
	v_lshlrev_b32_e32 v22, 3, v22
	v_add_lshl_u32 v38, v22, v29, 2
	ds_bpermute_b32 v22, v38, v18
	v_cmp_le_u32_e32 vcc, v39, v17
	s_waitcnt lgkmcnt(0)
	v_cndmask_b32_e32 v22, 0, v22, vcc
	v_cmp_gt_u32_e32 vcc, 48, v32
	v_add_u32_e32 v18, v18, v22
	v_cndmask_b32_e64 v22, 0, 1, vcc
	v_lshlrev_b32_e32 v22, 4, v22
	v_add_lshl_u32 v41, v22, v29, 2
	ds_bpermute_b32 v22, v41, v18
	v_cmp_le_u32_e32 vcc, v42, v17
	;; [unrolled: 9-line block ×3, first 2 shown]
	s_waitcnt lgkmcnt(0)
	v_cndmask_b32_e32 v17, 0, v22, vcc
	v_add_u32_e32 v18, v18, v17
	v_mov_b32_e32 v17, 0
	s_branch .LBB809_253
.LBB809_252:                            ;   in Loop: Header=BB809_253 Depth=1
	s_or_b64 exec, exec, s[28:29]
	v_cmp_eq_u16_sdwa s[28:29], v19, v15 src0_sel:BYTE_0 src1_sel:DWORD
	v_and_b32_e32 v22, s29, v21
	v_or_b32_e32 v22, 0x80000000, v22
	ds_bpermute_b32 v45, v33, v18
	v_and_b32_e32 v23, s28, v20
	v_ffbl_b32_e32 v22, v22
	v_add_u32_e32 v22, 32, v22
	v_ffbl_b32_e32 v23, v23
	v_min_u32_e32 v22, v23, v22
	v_cmp_lt_u32_e32 vcc, v32, v22
	s_waitcnt lgkmcnt(0)
	v_cndmask_b32_e32 v23, 0, v45, vcc
	v_add_u32_e32 v18, v23, v18
	ds_bpermute_b32 v23, v34, v18
	v_cmp_le_u32_e32 vcc, v35, v22
	v_subrev_u32_e32 v16, 64, v16
	s_waitcnt lgkmcnt(0)
	v_cndmask_b32_e32 v23, 0, v23, vcc
	v_add_u32_e32 v18, v18, v23
	ds_bpermute_b32 v23, v36, v18
	v_cmp_le_u32_e32 vcc, v37, v22
	s_waitcnt lgkmcnt(0)
	v_cndmask_b32_e32 v23, 0, v23, vcc
	v_add_u32_e32 v18, v18, v23
	ds_bpermute_b32 v23, v38, v18
	v_cmp_le_u32_e32 vcc, v39, v22
	;; [unrolled: 5-line block ×4, first 2 shown]
	s_waitcnt lgkmcnt(0)
	v_cndmask_b32_e32 v22, 0, v23, vcc
	v_add3_u32 v18, v22, v40, v18
.LBB809_253:                            ; =>This Loop Header: Depth=1
                                        ;     Child Loop BB809_256 Depth 2
	v_cmp_ne_u16_sdwa s[28:29], v19, v15 src0_sel:BYTE_0 src1_sel:DWORD
	v_cndmask_b32_e64 v19, 0, 1, s[28:29]
	;;#ASMSTART
	;;#ASMEND
	v_cmp_ne_u32_e32 vcc, 0, v19
	s_cmp_lg_u64 vcc, exec
	v_mov_b32_e32 v40, v18
	s_cbranch_scc1 .LBB809_258
; %bb.254:                              ;   in Loop: Header=BB809_253 Depth=1
	v_lshlrev_b64 v[18:19], 3, v[16:17]
	v_mov_b32_e32 v23, s31
	v_add_co_u32_e32 v22, vcc, s30, v18
	v_addc_co_u32_e32 v23, vcc, v23, v19, vcc
	global_load_dwordx2 v[18:19], v[22:23], off glc
	s_waitcnt vmcnt(0)
	v_cmp_eq_u16_sdwa s[36:37], v19, v17 src0_sel:BYTE_0 src1_sel:DWORD
	s_and_saveexec_b64 s[28:29], s[36:37]
	s_cbranch_execz .LBB809_252
; %bb.255:                              ;   in Loop: Header=BB809_253 Depth=1
	s_mov_b64 s[36:37], 0
.LBB809_256:                            ;   Parent Loop BB809_253 Depth=1
                                        ; =>  This Inner Loop Header: Depth=2
	global_load_dwordx2 v[18:19], v[22:23], off glc
	s_waitcnt vmcnt(0)
	v_cmp_ne_u16_sdwa s[38:39], v19, v17 src0_sel:BYTE_0 src1_sel:DWORD
	s_or_b64 s[36:37], s[38:39], s[36:37]
	s_andn2_b64 exec, exec, s[36:37]
	s_cbranch_execnz .LBB809_256
; %bb.257:                              ;   in Loop: Header=BB809_253 Depth=1
	s_or_b64 exec, exec, s[36:37]
	s_branch .LBB809_252
.LBB809_258:                            ;   in Loop: Header=BB809_253 Depth=1
                                        ; implicit-def: $vgpr18
                                        ; implicit-def: $vgpr19
	s_cbranch_execz .LBB809_253
; %bb.259:
	s_and_saveexec_b64 s[28:29], s[16:17]
	s_cbranch_execz .LBB809_261
; %bb.260:
	s_add_i32 s6, s6, 64
	s_mov_b32 s7, 0
	s_lshl_b64 s[6:7], s[6:7], 3
	s_add_u32 s6, s30, s6
	v_add_u32_e32 v16, v40, v14
	v_mov_b32_e32 v17, 2
	s_addc_u32 s7, s31, s7
	v_mov_b32_e32 v15, 0
	global_store_dwordx2 v15, v[16:17], s[6:7]
	s_movk_i32 s6, 0x2800
	v_add_u32_e64 v15, s6, 0
	ds_write2_b32 v15, v14, v40 offset1:2
.LBB809_261:
	s_or_b64 exec, exec, s[28:29]
	v_cmp_eq_u32_e32 vcc, 0, v0
	s_and_b64 exec, exec, vcc
	s_cbranch_execz .LBB809_263
; %bb.262:
	v_mov_b32_e32 v14, 0
	ds_write_b32 v14, v40 offset:12
.LBB809_263:
	s_or_b64 exec, exec, s[26:27]
	v_mov_b32_e32 v14, 0
	s_waitcnt lgkmcnt(0)
	s_barrier
	ds_read_b32 v14, v14 offset:12
	v_cndmask_b32_e64 v15, v26, v24, s[16:17]
	v_cmp_ne_u32_e32 vcc, 0, v0
	v_cndmask_b32_e32 v15, 0, v15, vcc
	s_movk_i32 s6, 0x2800
	s_waitcnt lgkmcnt(0)
	v_add_u32_e32 v26, v14, v15
	v_add_u32_e64 v14, s6, 0
	s_barrier
	ds_read2_b32 v[14:15], v14 offset1:2
	v_add_u32_e32 v24, v26, v1
	v_add_u32_e32 v22, v24, v25
	;; [unrolled: 1-line block ×4, first 2 shown]
	s_load_dwordx2 s[4:5], s[4:5], 0x28
	v_lshrrev_b64 v[16:17], 24, v[12:13]
	s_branch .LBB809_274
.LBB809_264:
                                        ; implicit-def: $vgpr18
                                        ; implicit-def: $vgpr20
                                        ; implicit-def: $vgpr22
                                        ; implicit-def: $vgpr24
                                        ; implicit-def: $vgpr26
                                        ; implicit-def: $vgpr15
	s_load_dwordx2 s[4:5], s[4:5], 0x28
	v_lshrrev_b64 v[16:17], 24, v[12:13]
	s_cbranch_execz .LBB809_274
; %bb.265:
	s_waitcnt lgkmcnt(0)
	v_mov_b32_dpp v14, v31 row_shr:1 row_mask:0xf bank_mask:0xf
	v_cndmask_b32_e64 v14, v14, 0, s[14:15]
	v_add_u32_e32 v14, v14, v31
	s_nop 1
	v_mov_b32_dpp v15, v14 row_shr:2 row_mask:0xf bank_mask:0xf
	v_cndmask_b32_e64 v15, 0, v15, s[12:13]
	v_add_u32_e32 v14, v14, v15
	s_nop 1
	;; [unrolled: 4-line block ×4, first 2 shown]
	v_mov_b32_dpp v15, v14 row_bcast:15 row_mask:0xf bank_mask:0xf
	v_cndmask_b32_e64 v15, v15, 0, s[18:19]
	v_add_u32_e32 v14, v14, v15
	s_nop 1
	v_mov_b32_dpp v15, v14 row_bcast:31 row_mask:0xf bank_mask:0xf
	v_cndmask_b32_e64 v15, 0, v15, s[0:1]
	v_add_u32_e32 v14, v14, v15
	s_and_saveexec_b64 s[0:1], s[2:3]
	s_cbranch_execz .LBB809_267
; %bb.266:
	v_lshlrev_b32_e32 v15, 2, v30
	ds_write_b32 v15, v14
.LBB809_267:
	s_or_b64 exec, exec, s[0:1]
	v_cmp_gt_u32_e32 vcc, 4, v0
	s_waitcnt lgkmcnt(0)
	s_barrier
	s_and_saveexec_b64 s[0:1], vcc
	s_cbranch_execz .LBB809_269
; %bb.268:
	v_lshlrev_b32_e32 v15, 2, v0
	ds_read_b32 v17, v15
	v_and_b32_e32 v18, 3, v29
	v_cmp_ne_u32_e32 vcc, 0, v18
	s_waitcnt lgkmcnt(0)
	v_mov_b32_dpp v19, v17 row_shr:1 row_mask:0xf bank_mask:0xf
	v_cndmask_b32_e32 v19, 0, v19, vcc
	v_add_u32_e32 v17, v19, v17
	v_cmp_lt_u32_e32 vcc, 1, v18
	s_nop 0
	v_mov_b32_dpp v19, v17 row_shr:2 row_mask:0xf bank_mask:0xf
	v_cndmask_b32_e32 v18, 0, v19, vcc
	v_add_u32_e32 v17, v17, v18
	ds_write_b32 v15, v17
.LBB809_269:
	s_or_b64 exec, exec, s[0:1]
	v_cmp_lt_u32_e32 vcc, 63, v0
	v_mov_b32_e32 v15, 0
	v_mov_b32_e32 v17, 0
	s_waitcnt lgkmcnt(0)
	s_barrier
	s_and_saveexec_b64 s[0:1], vcc
	s_cbranch_execz .LBB809_271
; %bb.270:
	v_lshl_add_u32 v17, v30, 2, -4
	ds_read_b32 v17, v17
.LBB809_271:
	s_or_b64 exec, exec, s[0:1]
	v_add_u32_e32 v18, -1, v29
	v_and_b32_e32 v19, 64, v29
	v_cmp_lt_i32_e32 vcc, v18, v19
	v_cndmask_b32_e32 v18, v18, v29, vcc
	s_waitcnt lgkmcnt(0)
	v_add_u32_e32 v14, v17, v14
	v_lshlrev_b32_e32 v18, 2, v18
	ds_bpermute_b32 v18, v18, v14
	ds_read_b32 v14, v15 offset:12
	v_cmp_eq_u32_e32 vcc, 0, v0
	s_and_saveexec_b64 s[0:1], vcc
	s_cbranch_execz .LBB809_273
; %bb.272:
	v_mov_b32_e32 v19, 0
	v_mov_b32_e32 v15, 2
	s_waitcnt lgkmcnt(0)
	global_store_dwordx2 v19, v[14:15], s[30:31] offset:512
.LBB809_273:
	s_or_b64 exec, exec, s[0:1]
	v_cmp_eq_u32_e64 s[0:1], 0, v29
	s_waitcnt lgkmcnt(1)
	v_cndmask_b32_e64 v17, v18, v17, s[0:1]
	v_cndmask_b32_e64 v26, v17, 0, vcc
	v_add_u32_e32 v24, v26, v1
	v_add_u32_e32 v22, v24, v25
	;; [unrolled: 1-line block ×3, first 2 shown]
	v_mov_b32_e32 v15, 0
	v_add_u32_e32 v18, v20, v28
	s_waitcnt lgkmcnt(0)
	s_barrier
.LBB809_274:
	s_movk_i32 s0, 0x101
	s_waitcnt lgkmcnt(0)
	v_cmp_gt_u32_e32 vcc, s0, v14
	v_lshrrev_b32_e32 v1, 8, v12
	s_mov_b64 s[0:1], -1
	s_cbranch_vccnz .LBB809_278
; %bb.275:
	s_and_b64 vcc, exec, s[0:1]
	s_cbranch_vccnz .LBB809_294
.LBB809_276:
	v_cmp_eq_u32_e32 vcc, 0, v0
	s_and_b64 s[0:1], vcc, s[24:25]
	s_and_saveexec_b64 s[2:3], s[0:1]
	s_cbranch_execnz .LBB809_308
.LBB809_277:
	s_endpgm
.LBB809_278:
	v_add_u32_e32 v17, v15, v14
	v_cmp_lt_u32_e32 vcc, v26, v17
	s_or_b64 s[2:3], s[34:35], vcc
	s_and_saveexec_b64 s[0:1], s[2:3]
	s_cbranch_execz .LBB809_281
; %bb.279:
	v_and_b32_e32 v19, 1, v12
	v_cmp_eq_u32_e32 vcc, 1, v19
	s_and_b64 exec, exec, vcc
	s_cbranch_execz .LBB809_281
; %bb.280:
	s_lshl_b64 s[2:3], s[22:23], 3
	s_add_u32 s2, s4, s2
	v_mov_b32_e32 v27, 0
	s_addc_u32 s3, s5, s3
	v_lshlrev_b64 v[28:29], 3, v[26:27]
	v_mov_b32_e32 v19, s3
	v_add_co_u32_e32 v28, vcc, s2, v28
	v_addc_co_u32_e32 v29, vcc, v19, v29, vcc
	global_store_dwordx2 v[28:29], v[6:7], off
.LBB809_281:
	s_or_b64 exec, exec, s[0:1]
	v_cmp_lt_u32_e32 vcc, v24, v17
	s_or_b64 s[2:3], s[34:35], vcc
	s_and_saveexec_b64 s[0:1], s[2:3]
	s_cbranch_execz .LBB809_284
; %bb.282:
	v_and_b32_e32 v19, 1, v1
	v_cmp_eq_u32_e32 vcc, 1, v19
	s_and_b64 exec, exec, vcc
	s_cbranch_execz .LBB809_284
; %bb.283:
	s_lshl_b64 s[2:3], s[22:23], 3
	s_add_u32 s2, s4, s2
	v_mov_b32_e32 v25, 0
	s_addc_u32 s3, s5, s3
	v_lshlrev_b64 v[28:29], 3, v[24:25]
	v_mov_b32_e32 v19, s3
	v_add_co_u32_e32 v28, vcc, s2, v28
	v_addc_co_u32_e32 v29, vcc, v19, v29, vcc
	global_store_dwordx2 v[28:29], v[8:9], off
.LBB809_284:
	s_or_b64 exec, exec, s[0:1]
	v_cmp_lt_u32_e32 vcc, v22, v17
	s_or_b64 s[2:3], s[34:35], vcc
	s_and_saveexec_b64 s[0:1], s[2:3]
	s_cbranch_execz .LBB809_287
; %bb.285:
	v_mov_b32_e32 v19, 1
	v_and_b32_sdwa v19, v19, v12 dst_sel:DWORD dst_unused:UNUSED_PAD src0_sel:DWORD src1_sel:WORD_1
	v_cmp_eq_u32_e32 vcc, 1, v19
	s_and_b64 exec, exec, vcc
	s_cbranch_execz .LBB809_287
; %bb.286:
	s_lshl_b64 s[2:3], s[22:23], 3
	s_add_u32 s2, s4, s2
	v_mov_b32_e32 v23, 0
	s_addc_u32 s3, s5, s3
	v_lshlrev_b64 v[28:29], 3, v[22:23]
	v_mov_b32_e32 v19, s3
	v_add_co_u32_e32 v28, vcc, s2, v28
	v_addc_co_u32_e32 v29, vcc, v19, v29, vcc
	global_store_dwordx2 v[28:29], v[2:3], off
.LBB809_287:
	s_or_b64 exec, exec, s[0:1]
	v_cmp_lt_u32_e32 vcc, v20, v17
	s_or_b64 s[2:3], s[34:35], vcc
	s_and_saveexec_b64 s[0:1], s[2:3]
	s_cbranch_execz .LBB809_290
; %bb.288:
	v_and_b32_e32 v19, 1, v16
	v_cmp_eq_u32_e32 vcc, 1, v19
	s_and_b64 exec, exec, vcc
	s_cbranch_execz .LBB809_290
; %bb.289:
	s_lshl_b64 s[2:3], s[22:23], 3
	s_add_u32 s2, s4, s2
	v_mov_b32_e32 v21, 0
	s_addc_u32 s3, s5, s3
	v_lshlrev_b64 v[28:29], 3, v[20:21]
	v_mov_b32_e32 v19, s3
	v_add_co_u32_e32 v28, vcc, s2, v28
	v_addc_co_u32_e32 v29, vcc, v19, v29, vcc
	global_store_dwordx2 v[28:29], v[4:5], off
.LBB809_290:
	s_or_b64 exec, exec, s[0:1]
	v_cmp_lt_u32_e32 vcc, v18, v17
	s_or_b64 s[2:3], s[34:35], vcc
	s_and_saveexec_b64 s[0:1], s[2:3]
	s_cbranch_execz .LBB809_293
; %bb.291:
	v_and_b32_e32 v17, 1, v13
	v_cmp_eq_u32_e32 vcc, 1, v17
	s_and_b64 exec, exec, vcc
	s_cbranch_execz .LBB809_293
; %bb.292:
	s_lshl_b64 s[2:3], s[22:23], 3
	s_add_u32 s2, s4, s2
	v_mov_b32_e32 v19, 0
	s_addc_u32 s3, s5, s3
	v_lshlrev_b64 v[28:29], 3, v[18:19]
	v_mov_b32_e32 v17, s3
	v_add_co_u32_e32 v28, vcc, s2, v28
	v_addc_co_u32_e32 v29, vcc, v17, v29, vcc
	global_store_dwordx2 v[28:29], v[10:11], off
.LBB809_293:
	s_or_b64 exec, exec, s[0:1]
	s_branch .LBB809_276
.LBB809_294:
	v_and_b32_e32 v17, 1, v12
	v_cmp_eq_u32_e32 vcc, 1, v17
	s_and_saveexec_b64 s[0:1], vcc
	s_cbranch_execz .LBB809_296
; %bb.295:
	v_sub_u32_e32 v17, v26, v15
	v_lshlrev_b32_e32 v17, 3, v17
	ds_write_b64 v17, v[6:7]
.LBB809_296:
	s_or_b64 exec, exec, s[0:1]
	v_and_b32_e32 v1, 1, v1
	v_cmp_eq_u32_e32 vcc, 1, v1
	s_and_saveexec_b64 s[0:1], vcc
	s_cbranch_execz .LBB809_298
; %bb.297:
	v_sub_u32_e32 v1, v24, v15
	v_lshlrev_b32_e32 v1, 3, v1
	ds_write_b64 v1, v[8:9]
.LBB809_298:
	s_or_b64 exec, exec, s[0:1]
	v_mov_b32_e32 v1, 1
	v_and_b32_sdwa v1, v1, v12 dst_sel:DWORD dst_unused:UNUSED_PAD src0_sel:DWORD src1_sel:WORD_1
	v_cmp_eq_u32_e32 vcc, 1, v1
	s_and_saveexec_b64 s[0:1], vcc
	s_cbranch_execz .LBB809_300
; %bb.299:
	v_sub_u32_e32 v1, v22, v15
	v_lshlrev_b32_e32 v1, 3, v1
	ds_write_b64 v1, v[2:3]
.LBB809_300:
	s_or_b64 exec, exec, s[0:1]
	v_and_b32_e32 v1, 1, v16
	v_cmp_eq_u32_e32 vcc, 1, v1
	s_and_saveexec_b64 s[0:1], vcc
	s_cbranch_execz .LBB809_302
; %bb.301:
	v_sub_u32_e32 v1, v20, v15
	v_lshlrev_b32_e32 v1, 3, v1
	ds_write_b64 v1, v[4:5]
.LBB809_302:
	s_or_b64 exec, exec, s[0:1]
	v_and_b32_e32 v1, 1, v13
	v_cmp_eq_u32_e32 vcc, 1, v1
	s_and_saveexec_b64 s[0:1], vcc
	s_cbranch_execz .LBB809_304
; %bb.303:
	v_sub_u32_e32 v1, v18, v15
	v_lshlrev_b32_e32 v1, 3, v1
	ds_write_b64 v1, v[10:11]
.LBB809_304:
	s_or_b64 exec, exec, s[0:1]
	v_cmp_lt_u32_e32 vcc, v0, v14
	s_waitcnt lgkmcnt(0)
	s_barrier
	s_and_saveexec_b64 s[0:1], vcc
	s_cbranch_execz .LBB809_307
; %bb.305:
	v_mov_b32_e32 v3, 0
	v_mov_b32_e32 v2, v15
	v_lshlrev_b64 v[4:5], 3, v[2:3]
	v_mov_b32_e32 v1, s5
	v_add_co_u32_e32 v2, vcc, s4, v4
	v_addc_co_u32_e32 v4, vcc, v1, v5, vcc
	s_lshl_b64 s[2:3], s[22:23], 3
	v_mov_b32_e32 v5, s3
	v_add_co_u32_e32 v1, vcc, s2, v2
	v_addc_co_u32_e32 v4, vcc, v4, v5, vcc
	v_lshlrev_b32_e32 v5, 3, v0
	s_mov_b64 s[2:3], 0
	v_mov_b32_e32 v2, v0
.LBB809_306:                            ; =>This Inner Loop Header: Depth=1
	ds_read_b64 v[6:7], v5
	v_lshlrev_b64 v[8:9], 3, v[2:3]
	v_add_co_u32_e32 v8, vcc, v1, v8
	v_add_u32_e32 v2, 0x100, v2
	v_addc_co_u32_e32 v9, vcc, v4, v9, vcc
	v_cmp_ge_u32_e32 vcc, v2, v14
	v_add_u32_e32 v5, 0x800, v5
	s_or_b64 s[2:3], vcc, s[2:3]
	s_waitcnt lgkmcnt(0)
	global_store_dwordx2 v[8:9], v[6:7], off
	s_andn2_b64 exec, exec, s[2:3]
	s_cbranch_execnz .LBB809_306
.LBB809_307:
	s_or_b64 exec, exec, s[0:1]
	v_cmp_eq_u32_e32 vcc, 0, v0
	s_and_b64 s[0:1], vcc, s[24:25]
	s_and_saveexec_b64 s[2:3], s[0:1]
	s_cbranch_execz .LBB809_277
.LBB809_308:
	v_mov_b32_e32 v0, s23
	v_add_co_u32_e32 v1, vcc, s22, v14
	v_addc_co_u32_e32 v3, vcc, 0, v0, vcc
	v_add_co_u32_e32 v0, vcc, v1, v15
	v_mov_b32_e32 v2, 0
	v_addc_co_u32_e32 v1, vcc, 0, v3, vcc
	global_store_dwordx2 v2, v[0:1], s[20:21]
	s_endpgm
	.section	.rodata,"a",@progbits
	.p2align	6, 0x0
	.amdhsa_kernel _ZN7rocprim17ROCPRIM_400000_NS6detail17trampoline_kernelINS0_14default_configENS1_25partition_config_selectorILNS1_17partition_subalgoE8ElNS0_10empty_typeEbEEZZNS1_14partition_implILS5_8ELb0ES3_jPlPS6_PKS6_NS0_5tupleIJS9_S6_EEENSD_IJSA_SA_EEENS0_18inequality_wrapperIZN2at6native12_GLOBAL__N_124unique_dim_cuda_templateIdEESt5tupleIJNSH_6TensorESM_SM_EERKSM_lbbbEUlllE0_EEPmJS6_EEE10hipError_tPvRmT3_T4_T5_T6_T7_T9_mT8_P12ihipStream_tbDpT10_ENKUlT_T0_E_clISt17integral_constantIbLb0EES1C_EEDaS17_S18_EUlS17_E_NS1_11comp_targetILNS1_3genE4ELNS1_11target_archE910ELNS1_3gpuE8ELNS1_3repE0EEENS1_30default_config_static_selectorELNS0_4arch9wavefront6targetE1EEEvT1_
		.amdhsa_group_segment_fixed_size 10252
		.amdhsa_private_segment_fixed_size 0
		.amdhsa_kernarg_size 120
		.amdhsa_user_sgpr_count 6
		.amdhsa_user_sgpr_private_segment_buffer 1
		.amdhsa_user_sgpr_dispatch_ptr 0
		.amdhsa_user_sgpr_queue_ptr 0
		.amdhsa_user_sgpr_kernarg_segment_ptr 1
		.amdhsa_user_sgpr_dispatch_id 0
		.amdhsa_user_sgpr_flat_scratch_init 0
		.amdhsa_user_sgpr_kernarg_preload_length 0
		.amdhsa_user_sgpr_kernarg_preload_offset 0
		.amdhsa_user_sgpr_private_segment_size 0
		.amdhsa_uses_dynamic_stack 0
		.amdhsa_system_sgpr_private_segment_wavefront_offset 0
		.amdhsa_system_sgpr_workgroup_id_x 1
		.amdhsa_system_sgpr_workgroup_id_y 0
		.amdhsa_system_sgpr_workgroup_id_z 0
		.amdhsa_system_sgpr_workgroup_info 0
		.amdhsa_system_vgpr_workitem_id 0
		.amdhsa_next_free_vgpr 46
		.amdhsa_next_free_sgpr 48
		.amdhsa_accum_offset 48
		.amdhsa_reserve_vcc 1
		.amdhsa_reserve_flat_scratch 0
		.amdhsa_float_round_mode_32 0
		.amdhsa_float_round_mode_16_64 0
		.amdhsa_float_denorm_mode_32 3
		.amdhsa_float_denorm_mode_16_64 3
		.amdhsa_dx10_clamp 1
		.amdhsa_ieee_mode 1
		.amdhsa_fp16_overflow 0
		.amdhsa_tg_split 0
		.amdhsa_exception_fp_ieee_invalid_op 0
		.amdhsa_exception_fp_denorm_src 0
		.amdhsa_exception_fp_ieee_div_zero 0
		.amdhsa_exception_fp_ieee_overflow 0
		.amdhsa_exception_fp_ieee_underflow 0
		.amdhsa_exception_fp_ieee_inexact 0
		.amdhsa_exception_int_div_zero 0
	.end_amdhsa_kernel
	.section	.text._ZN7rocprim17ROCPRIM_400000_NS6detail17trampoline_kernelINS0_14default_configENS1_25partition_config_selectorILNS1_17partition_subalgoE8ElNS0_10empty_typeEbEEZZNS1_14partition_implILS5_8ELb0ES3_jPlPS6_PKS6_NS0_5tupleIJS9_S6_EEENSD_IJSA_SA_EEENS0_18inequality_wrapperIZN2at6native12_GLOBAL__N_124unique_dim_cuda_templateIdEESt5tupleIJNSH_6TensorESM_SM_EERKSM_lbbbEUlllE0_EEPmJS6_EEE10hipError_tPvRmT3_T4_T5_T6_T7_T9_mT8_P12ihipStream_tbDpT10_ENKUlT_T0_E_clISt17integral_constantIbLb0EES1C_EEDaS17_S18_EUlS17_E_NS1_11comp_targetILNS1_3genE4ELNS1_11target_archE910ELNS1_3gpuE8ELNS1_3repE0EEENS1_30default_config_static_selectorELNS0_4arch9wavefront6targetE1EEEvT1_,"axG",@progbits,_ZN7rocprim17ROCPRIM_400000_NS6detail17trampoline_kernelINS0_14default_configENS1_25partition_config_selectorILNS1_17partition_subalgoE8ElNS0_10empty_typeEbEEZZNS1_14partition_implILS5_8ELb0ES3_jPlPS6_PKS6_NS0_5tupleIJS9_S6_EEENSD_IJSA_SA_EEENS0_18inequality_wrapperIZN2at6native12_GLOBAL__N_124unique_dim_cuda_templateIdEESt5tupleIJNSH_6TensorESM_SM_EERKSM_lbbbEUlllE0_EEPmJS6_EEE10hipError_tPvRmT3_T4_T5_T6_T7_T9_mT8_P12ihipStream_tbDpT10_ENKUlT_T0_E_clISt17integral_constantIbLb0EES1C_EEDaS17_S18_EUlS17_E_NS1_11comp_targetILNS1_3genE4ELNS1_11target_archE910ELNS1_3gpuE8ELNS1_3repE0EEENS1_30default_config_static_selectorELNS0_4arch9wavefront6targetE1EEEvT1_,comdat
.Lfunc_end809:
	.size	_ZN7rocprim17ROCPRIM_400000_NS6detail17trampoline_kernelINS0_14default_configENS1_25partition_config_selectorILNS1_17partition_subalgoE8ElNS0_10empty_typeEbEEZZNS1_14partition_implILS5_8ELb0ES3_jPlPS6_PKS6_NS0_5tupleIJS9_S6_EEENSD_IJSA_SA_EEENS0_18inequality_wrapperIZN2at6native12_GLOBAL__N_124unique_dim_cuda_templateIdEESt5tupleIJNSH_6TensorESM_SM_EERKSM_lbbbEUlllE0_EEPmJS6_EEE10hipError_tPvRmT3_T4_T5_T6_T7_T9_mT8_P12ihipStream_tbDpT10_ENKUlT_T0_E_clISt17integral_constantIbLb0EES1C_EEDaS17_S18_EUlS17_E_NS1_11comp_targetILNS1_3genE4ELNS1_11target_archE910ELNS1_3gpuE8ELNS1_3repE0EEENS1_30default_config_static_selectorELNS0_4arch9wavefront6targetE1EEEvT1_, .Lfunc_end809-_ZN7rocprim17ROCPRIM_400000_NS6detail17trampoline_kernelINS0_14default_configENS1_25partition_config_selectorILNS1_17partition_subalgoE8ElNS0_10empty_typeEbEEZZNS1_14partition_implILS5_8ELb0ES3_jPlPS6_PKS6_NS0_5tupleIJS9_S6_EEENSD_IJSA_SA_EEENS0_18inequality_wrapperIZN2at6native12_GLOBAL__N_124unique_dim_cuda_templateIdEESt5tupleIJNSH_6TensorESM_SM_EERKSM_lbbbEUlllE0_EEPmJS6_EEE10hipError_tPvRmT3_T4_T5_T6_T7_T9_mT8_P12ihipStream_tbDpT10_ENKUlT_T0_E_clISt17integral_constantIbLb0EES1C_EEDaS17_S18_EUlS17_E_NS1_11comp_targetILNS1_3genE4ELNS1_11target_archE910ELNS1_3gpuE8ELNS1_3repE0EEENS1_30default_config_static_selectorELNS0_4arch9wavefront6targetE1EEEvT1_
                                        ; -- End function
	.section	.AMDGPU.csdata,"",@progbits
; Kernel info:
; codeLenInByte = 11376
; NumSgprs: 52
; NumVgprs: 46
; NumAgprs: 0
; TotalNumVgprs: 46
; ScratchSize: 0
; MemoryBound: 1
; FloatMode: 240
; IeeeMode: 1
; LDSByteSize: 10252 bytes/workgroup (compile time only)
; SGPRBlocks: 6
; VGPRBlocks: 5
; NumSGPRsForWavesPerEU: 52
; NumVGPRsForWavesPerEU: 46
; AccumOffset: 48
; Occupancy: 6
; WaveLimiterHint : 1
; COMPUTE_PGM_RSRC2:SCRATCH_EN: 0
; COMPUTE_PGM_RSRC2:USER_SGPR: 6
; COMPUTE_PGM_RSRC2:TRAP_HANDLER: 0
; COMPUTE_PGM_RSRC2:TGID_X_EN: 1
; COMPUTE_PGM_RSRC2:TGID_Y_EN: 0
; COMPUTE_PGM_RSRC2:TGID_Z_EN: 0
; COMPUTE_PGM_RSRC2:TIDIG_COMP_CNT: 0
; COMPUTE_PGM_RSRC3_GFX90A:ACCUM_OFFSET: 11
; COMPUTE_PGM_RSRC3_GFX90A:TG_SPLIT: 0
	.section	.text._ZN7rocprim17ROCPRIM_400000_NS6detail17trampoline_kernelINS0_14default_configENS1_25partition_config_selectorILNS1_17partition_subalgoE8ElNS0_10empty_typeEbEEZZNS1_14partition_implILS5_8ELb0ES3_jPlPS6_PKS6_NS0_5tupleIJS9_S6_EEENSD_IJSA_SA_EEENS0_18inequality_wrapperIZN2at6native12_GLOBAL__N_124unique_dim_cuda_templateIdEESt5tupleIJNSH_6TensorESM_SM_EERKSM_lbbbEUlllE0_EEPmJS6_EEE10hipError_tPvRmT3_T4_T5_T6_T7_T9_mT8_P12ihipStream_tbDpT10_ENKUlT_T0_E_clISt17integral_constantIbLb0EES1C_EEDaS17_S18_EUlS17_E_NS1_11comp_targetILNS1_3genE3ELNS1_11target_archE908ELNS1_3gpuE7ELNS1_3repE0EEENS1_30default_config_static_selectorELNS0_4arch9wavefront6targetE1EEEvT1_,"axG",@progbits,_ZN7rocprim17ROCPRIM_400000_NS6detail17trampoline_kernelINS0_14default_configENS1_25partition_config_selectorILNS1_17partition_subalgoE8ElNS0_10empty_typeEbEEZZNS1_14partition_implILS5_8ELb0ES3_jPlPS6_PKS6_NS0_5tupleIJS9_S6_EEENSD_IJSA_SA_EEENS0_18inequality_wrapperIZN2at6native12_GLOBAL__N_124unique_dim_cuda_templateIdEESt5tupleIJNSH_6TensorESM_SM_EERKSM_lbbbEUlllE0_EEPmJS6_EEE10hipError_tPvRmT3_T4_T5_T6_T7_T9_mT8_P12ihipStream_tbDpT10_ENKUlT_T0_E_clISt17integral_constantIbLb0EES1C_EEDaS17_S18_EUlS17_E_NS1_11comp_targetILNS1_3genE3ELNS1_11target_archE908ELNS1_3gpuE7ELNS1_3repE0EEENS1_30default_config_static_selectorELNS0_4arch9wavefront6targetE1EEEvT1_,comdat
	.globl	_ZN7rocprim17ROCPRIM_400000_NS6detail17trampoline_kernelINS0_14default_configENS1_25partition_config_selectorILNS1_17partition_subalgoE8ElNS0_10empty_typeEbEEZZNS1_14partition_implILS5_8ELb0ES3_jPlPS6_PKS6_NS0_5tupleIJS9_S6_EEENSD_IJSA_SA_EEENS0_18inequality_wrapperIZN2at6native12_GLOBAL__N_124unique_dim_cuda_templateIdEESt5tupleIJNSH_6TensorESM_SM_EERKSM_lbbbEUlllE0_EEPmJS6_EEE10hipError_tPvRmT3_T4_T5_T6_T7_T9_mT8_P12ihipStream_tbDpT10_ENKUlT_T0_E_clISt17integral_constantIbLb0EES1C_EEDaS17_S18_EUlS17_E_NS1_11comp_targetILNS1_3genE3ELNS1_11target_archE908ELNS1_3gpuE7ELNS1_3repE0EEENS1_30default_config_static_selectorELNS0_4arch9wavefront6targetE1EEEvT1_ ; -- Begin function _ZN7rocprim17ROCPRIM_400000_NS6detail17trampoline_kernelINS0_14default_configENS1_25partition_config_selectorILNS1_17partition_subalgoE8ElNS0_10empty_typeEbEEZZNS1_14partition_implILS5_8ELb0ES3_jPlPS6_PKS6_NS0_5tupleIJS9_S6_EEENSD_IJSA_SA_EEENS0_18inequality_wrapperIZN2at6native12_GLOBAL__N_124unique_dim_cuda_templateIdEESt5tupleIJNSH_6TensorESM_SM_EERKSM_lbbbEUlllE0_EEPmJS6_EEE10hipError_tPvRmT3_T4_T5_T6_T7_T9_mT8_P12ihipStream_tbDpT10_ENKUlT_T0_E_clISt17integral_constantIbLb0EES1C_EEDaS17_S18_EUlS17_E_NS1_11comp_targetILNS1_3genE3ELNS1_11target_archE908ELNS1_3gpuE7ELNS1_3repE0EEENS1_30default_config_static_selectorELNS0_4arch9wavefront6targetE1EEEvT1_
	.p2align	8
	.type	_ZN7rocprim17ROCPRIM_400000_NS6detail17trampoline_kernelINS0_14default_configENS1_25partition_config_selectorILNS1_17partition_subalgoE8ElNS0_10empty_typeEbEEZZNS1_14partition_implILS5_8ELb0ES3_jPlPS6_PKS6_NS0_5tupleIJS9_S6_EEENSD_IJSA_SA_EEENS0_18inequality_wrapperIZN2at6native12_GLOBAL__N_124unique_dim_cuda_templateIdEESt5tupleIJNSH_6TensorESM_SM_EERKSM_lbbbEUlllE0_EEPmJS6_EEE10hipError_tPvRmT3_T4_T5_T6_T7_T9_mT8_P12ihipStream_tbDpT10_ENKUlT_T0_E_clISt17integral_constantIbLb0EES1C_EEDaS17_S18_EUlS17_E_NS1_11comp_targetILNS1_3genE3ELNS1_11target_archE908ELNS1_3gpuE7ELNS1_3repE0EEENS1_30default_config_static_selectorELNS0_4arch9wavefront6targetE1EEEvT1_,@function
_ZN7rocprim17ROCPRIM_400000_NS6detail17trampoline_kernelINS0_14default_configENS1_25partition_config_selectorILNS1_17partition_subalgoE8ElNS0_10empty_typeEbEEZZNS1_14partition_implILS5_8ELb0ES3_jPlPS6_PKS6_NS0_5tupleIJS9_S6_EEENSD_IJSA_SA_EEENS0_18inequality_wrapperIZN2at6native12_GLOBAL__N_124unique_dim_cuda_templateIdEESt5tupleIJNSH_6TensorESM_SM_EERKSM_lbbbEUlllE0_EEPmJS6_EEE10hipError_tPvRmT3_T4_T5_T6_T7_T9_mT8_P12ihipStream_tbDpT10_ENKUlT_T0_E_clISt17integral_constantIbLb0EES1C_EEDaS17_S18_EUlS17_E_NS1_11comp_targetILNS1_3genE3ELNS1_11target_archE908ELNS1_3gpuE7ELNS1_3repE0EEENS1_30default_config_static_selectorELNS0_4arch9wavefront6targetE1EEEvT1_: ; @_ZN7rocprim17ROCPRIM_400000_NS6detail17trampoline_kernelINS0_14default_configENS1_25partition_config_selectorILNS1_17partition_subalgoE8ElNS0_10empty_typeEbEEZZNS1_14partition_implILS5_8ELb0ES3_jPlPS6_PKS6_NS0_5tupleIJS9_S6_EEENSD_IJSA_SA_EEENS0_18inequality_wrapperIZN2at6native12_GLOBAL__N_124unique_dim_cuda_templateIdEESt5tupleIJNSH_6TensorESM_SM_EERKSM_lbbbEUlllE0_EEPmJS6_EEE10hipError_tPvRmT3_T4_T5_T6_T7_T9_mT8_P12ihipStream_tbDpT10_ENKUlT_T0_E_clISt17integral_constantIbLb0EES1C_EEDaS17_S18_EUlS17_E_NS1_11comp_targetILNS1_3genE3ELNS1_11target_archE908ELNS1_3gpuE7ELNS1_3repE0EEENS1_30default_config_static_selectorELNS0_4arch9wavefront6targetE1EEEvT1_
; %bb.0:
	.section	.rodata,"a",@progbits
	.p2align	6, 0x0
	.amdhsa_kernel _ZN7rocprim17ROCPRIM_400000_NS6detail17trampoline_kernelINS0_14default_configENS1_25partition_config_selectorILNS1_17partition_subalgoE8ElNS0_10empty_typeEbEEZZNS1_14partition_implILS5_8ELb0ES3_jPlPS6_PKS6_NS0_5tupleIJS9_S6_EEENSD_IJSA_SA_EEENS0_18inequality_wrapperIZN2at6native12_GLOBAL__N_124unique_dim_cuda_templateIdEESt5tupleIJNSH_6TensorESM_SM_EERKSM_lbbbEUlllE0_EEPmJS6_EEE10hipError_tPvRmT3_T4_T5_T6_T7_T9_mT8_P12ihipStream_tbDpT10_ENKUlT_T0_E_clISt17integral_constantIbLb0EES1C_EEDaS17_S18_EUlS17_E_NS1_11comp_targetILNS1_3genE3ELNS1_11target_archE908ELNS1_3gpuE7ELNS1_3repE0EEENS1_30default_config_static_selectorELNS0_4arch9wavefront6targetE1EEEvT1_
		.amdhsa_group_segment_fixed_size 0
		.amdhsa_private_segment_fixed_size 0
		.amdhsa_kernarg_size 120
		.amdhsa_user_sgpr_count 6
		.amdhsa_user_sgpr_private_segment_buffer 1
		.amdhsa_user_sgpr_dispatch_ptr 0
		.amdhsa_user_sgpr_queue_ptr 0
		.amdhsa_user_sgpr_kernarg_segment_ptr 1
		.amdhsa_user_sgpr_dispatch_id 0
		.amdhsa_user_sgpr_flat_scratch_init 0
		.amdhsa_user_sgpr_kernarg_preload_length 0
		.amdhsa_user_sgpr_kernarg_preload_offset 0
		.amdhsa_user_sgpr_private_segment_size 0
		.amdhsa_uses_dynamic_stack 0
		.amdhsa_system_sgpr_private_segment_wavefront_offset 0
		.amdhsa_system_sgpr_workgroup_id_x 1
		.amdhsa_system_sgpr_workgroup_id_y 0
		.amdhsa_system_sgpr_workgroup_id_z 0
		.amdhsa_system_sgpr_workgroup_info 0
		.amdhsa_system_vgpr_workitem_id 0
		.amdhsa_next_free_vgpr 1
		.amdhsa_next_free_sgpr 0
		.amdhsa_accum_offset 4
		.amdhsa_reserve_vcc 0
		.amdhsa_reserve_flat_scratch 0
		.amdhsa_float_round_mode_32 0
		.amdhsa_float_round_mode_16_64 0
		.amdhsa_float_denorm_mode_32 3
		.amdhsa_float_denorm_mode_16_64 3
		.amdhsa_dx10_clamp 1
		.amdhsa_ieee_mode 1
		.amdhsa_fp16_overflow 0
		.amdhsa_tg_split 0
		.amdhsa_exception_fp_ieee_invalid_op 0
		.amdhsa_exception_fp_denorm_src 0
		.amdhsa_exception_fp_ieee_div_zero 0
		.amdhsa_exception_fp_ieee_overflow 0
		.amdhsa_exception_fp_ieee_underflow 0
		.amdhsa_exception_fp_ieee_inexact 0
		.amdhsa_exception_int_div_zero 0
	.end_amdhsa_kernel
	.section	.text._ZN7rocprim17ROCPRIM_400000_NS6detail17trampoline_kernelINS0_14default_configENS1_25partition_config_selectorILNS1_17partition_subalgoE8ElNS0_10empty_typeEbEEZZNS1_14partition_implILS5_8ELb0ES3_jPlPS6_PKS6_NS0_5tupleIJS9_S6_EEENSD_IJSA_SA_EEENS0_18inequality_wrapperIZN2at6native12_GLOBAL__N_124unique_dim_cuda_templateIdEESt5tupleIJNSH_6TensorESM_SM_EERKSM_lbbbEUlllE0_EEPmJS6_EEE10hipError_tPvRmT3_T4_T5_T6_T7_T9_mT8_P12ihipStream_tbDpT10_ENKUlT_T0_E_clISt17integral_constantIbLb0EES1C_EEDaS17_S18_EUlS17_E_NS1_11comp_targetILNS1_3genE3ELNS1_11target_archE908ELNS1_3gpuE7ELNS1_3repE0EEENS1_30default_config_static_selectorELNS0_4arch9wavefront6targetE1EEEvT1_,"axG",@progbits,_ZN7rocprim17ROCPRIM_400000_NS6detail17trampoline_kernelINS0_14default_configENS1_25partition_config_selectorILNS1_17partition_subalgoE8ElNS0_10empty_typeEbEEZZNS1_14partition_implILS5_8ELb0ES3_jPlPS6_PKS6_NS0_5tupleIJS9_S6_EEENSD_IJSA_SA_EEENS0_18inequality_wrapperIZN2at6native12_GLOBAL__N_124unique_dim_cuda_templateIdEESt5tupleIJNSH_6TensorESM_SM_EERKSM_lbbbEUlllE0_EEPmJS6_EEE10hipError_tPvRmT3_T4_T5_T6_T7_T9_mT8_P12ihipStream_tbDpT10_ENKUlT_T0_E_clISt17integral_constantIbLb0EES1C_EEDaS17_S18_EUlS17_E_NS1_11comp_targetILNS1_3genE3ELNS1_11target_archE908ELNS1_3gpuE7ELNS1_3repE0EEENS1_30default_config_static_selectorELNS0_4arch9wavefront6targetE1EEEvT1_,comdat
.Lfunc_end810:
	.size	_ZN7rocprim17ROCPRIM_400000_NS6detail17trampoline_kernelINS0_14default_configENS1_25partition_config_selectorILNS1_17partition_subalgoE8ElNS0_10empty_typeEbEEZZNS1_14partition_implILS5_8ELb0ES3_jPlPS6_PKS6_NS0_5tupleIJS9_S6_EEENSD_IJSA_SA_EEENS0_18inequality_wrapperIZN2at6native12_GLOBAL__N_124unique_dim_cuda_templateIdEESt5tupleIJNSH_6TensorESM_SM_EERKSM_lbbbEUlllE0_EEPmJS6_EEE10hipError_tPvRmT3_T4_T5_T6_T7_T9_mT8_P12ihipStream_tbDpT10_ENKUlT_T0_E_clISt17integral_constantIbLb0EES1C_EEDaS17_S18_EUlS17_E_NS1_11comp_targetILNS1_3genE3ELNS1_11target_archE908ELNS1_3gpuE7ELNS1_3repE0EEENS1_30default_config_static_selectorELNS0_4arch9wavefront6targetE1EEEvT1_, .Lfunc_end810-_ZN7rocprim17ROCPRIM_400000_NS6detail17trampoline_kernelINS0_14default_configENS1_25partition_config_selectorILNS1_17partition_subalgoE8ElNS0_10empty_typeEbEEZZNS1_14partition_implILS5_8ELb0ES3_jPlPS6_PKS6_NS0_5tupleIJS9_S6_EEENSD_IJSA_SA_EEENS0_18inequality_wrapperIZN2at6native12_GLOBAL__N_124unique_dim_cuda_templateIdEESt5tupleIJNSH_6TensorESM_SM_EERKSM_lbbbEUlllE0_EEPmJS6_EEE10hipError_tPvRmT3_T4_T5_T6_T7_T9_mT8_P12ihipStream_tbDpT10_ENKUlT_T0_E_clISt17integral_constantIbLb0EES1C_EEDaS17_S18_EUlS17_E_NS1_11comp_targetILNS1_3genE3ELNS1_11target_archE908ELNS1_3gpuE7ELNS1_3repE0EEENS1_30default_config_static_selectorELNS0_4arch9wavefront6targetE1EEEvT1_
                                        ; -- End function
	.section	.AMDGPU.csdata,"",@progbits
; Kernel info:
; codeLenInByte = 0
; NumSgprs: 4
; NumVgprs: 0
; NumAgprs: 0
; TotalNumVgprs: 0
; ScratchSize: 0
; MemoryBound: 0
; FloatMode: 240
; IeeeMode: 1
; LDSByteSize: 0 bytes/workgroup (compile time only)
; SGPRBlocks: 0
; VGPRBlocks: 0
; NumSGPRsForWavesPerEU: 4
; NumVGPRsForWavesPerEU: 1
; AccumOffset: 4
; Occupancy: 8
; WaveLimiterHint : 0
; COMPUTE_PGM_RSRC2:SCRATCH_EN: 0
; COMPUTE_PGM_RSRC2:USER_SGPR: 6
; COMPUTE_PGM_RSRC2:TRAP_HANDLER: 0
; COMPUTE_PGM_RSRC2:TGID_X_EN: 1
; COMPUTE_PGM_RSRC2:TGID_Y_EN: 0
; COMPUTE_PGM_RSRC2:TGID_Z_EN: 0
; COMPUTE_PGM_RSRC2:TIDIG_COMP_CNT: 0
; COMPUTE_PGM_RSRC3_GFX90A:ACCUM_OFFSET: 0
; COMPUTE_PGM_RSRC3_GFX90A:TG_SPLIT: 0
	.section	.text._ZN7rocprim17ROCPRIM_400000_NS6detail17trampoline_kernelINS0_14default_configENS1_25partition_config_selectorILNS1_17partition_subalgoE8ElNS0_10empty_typeEbEEZZNS1_14partition_implILS5_8ELb0ES3_jPlPS6_PKS6_NS0_5tupleIJS9_S6_EEENSD_IJSA_SA_EEENS0_18inequality_wrapperIZN2at6native12_GLOBAL__N_124unique_dim_cuda_templateIdEESt5tupleIJNSH_6TensorESM_SM_EERKSM_lbbbEUlllE0_EEPmJS6_EEE10hipError_tPvRmT3_T4_T5_T6_T7_T9_mT8_P12ihipStream_tbDpT10_ENKUlT_T0_E_clISt17integral_constantIbLb0EES1C_EEDaS17_S18_EUlS17_E_NS1_11comp_targetILNS1_3genE2ELNS1_11target_archE906ELNS1_3gpuE6ELNS1_3repE0EEENS1_30default_config_static_selectorELNS0_4arch9wavefront6targetE1EEEvT1_,"axG",@progbits,_ZN7rocprim17ROCPRIM_400000_NS6detail17trampoline_kernelINS0_14default_configENS1_25partition_config_selectorILNS1_17partition_subalgoE8ElNS0_10empty_typeEbEEZZNS1_14partition_implILS5_8ELb0ES3_jPlPS6_PKS6_NS0_5tupleIJS9_S6_EEENSD_IJSA_SA_EEENS0_18inequality_wrapperIZN2at6native12_GLOBAL__N_124unique_dim_cuda_templateIdEESt5tupleIJNSH_6TensorESM_SM_EERKSM_lbbbEUlllE0_EEPmJS6_EEE10hipError_tPvRmT3_T4_T5_T6_T7_T9_mT8_P12ihipStream_tbDpT10_ENKUlT_T0_E_clISt17integral_constantIbLb0EES1C_EEDaS17_S18_EUlS17_E_NS1_11comp_targetILNS1_3genE2ELNS1_11target_archE906ELNS1_3gpuE6ELNS1_3repE0EEENS1_30default_config_static_selectorELNS0_4arch9wavefront6targetE1EEEvT1_,comdat
	.globl	_ZN7rocprim17ROCPRIM_400000_NS6detail17trampoline_kernelINS0_14default_configENS1_25partition_config_selectorILNS1_17partition_subalgoE8ElNS0_10empty_typeEbEEZZNS1_14partition_implILS5_8ELb0ES3_jPlPS6_PKS6_NS0_5tupleIJS9_S6_EEENSD_IJSA_SA_EEENS0_18inequality_wrapperIZN2at6native12_GLOBAL__N_124unique_dim_cuda_templateIdEESt5tupleIJNSH_6TensorESM_SM_EERKSM_lbbbEUlllE0_EEPmJS6_EEE10hipError_tPvRmT3_T4_T5_T6_T7_T9_mT8_P12ihipStream_tbDpT10_ENKUlT_T0_E_clISt17integral_constantIbLb0EES1C_EEDaS17_S18_EUlS17_E_NS1_11comp_targetILNS1_3genE2ELNS1_11target_archE906ELNS1_3gpuE6ELNS1_3repE0EEENS1_30default_config_static_selectorELNS0_4arch9wavefront6targetE1EEEvT1_ ; -- Begin function _ZN7rocprim17ROCPRIM_400000_NS6detail17trampoline_kernelINS0_14default_configENS1_25partition_config_selectorILNS1_17partition_subalgoE8ElNS0_10empty_typeEbEEZZNS1_14partition_implILS5_8ELb0ES3_jPlPS6_PKS6_NS0_5tupleIJS9_S6_EEENSD_IJSA_SA_EEENS0_18inequality_wrapperIZN2at6native12_GLOBAL__N_124unique_dim_cuda_templateIdEESt5tupleIJNSH_6TensorESM_SM_EERKSM_lbbbEUlllE0_EEPmJS6_EEE10hipError_tPvRmT3_T4_T5_T6_T7_T9_mT8_P12ihipStream_tbDpT10_ENKUlT_T0_E_clISt17integral_constantIbLb0EES1C_EEDaS17_S18_EUlS17_E_NS1_11comp_targetILNS1_3genE2ELNS1_11target_archE906ELNS1_3gpuE6ELNS1_3repE0EEENS1_30default_config_static_selectorELNS0_4arch9wavefront6targetE1EEEvT1_
	.p2align	8
	.type	_ZN7rocprim17ROCPRIM_400000_NS6detail17trampoline_kernelINS0_14default_configENS1_25partition_config_selectorILNS1_17partition_subalgoE8ElNS0_10empty_typeEbEEZZNS1_14partition_implILS5_8ELb0ES3_jPlPS6_PKS6_NS0_5tupleIJS9_S6_EEENSD_IJSA_SA_EEENS0_18inequality_wrapperIZN2at6native12_GLOBAL__N_124unique_dim_cuda_templateIdEESt5tupleIJNSH_6TensorESM_SM_EERKSM_lbbbEUlllE0_EEPmJS6_EEE10hipError_tPvRmT3_T4_T5_T6_T7_T9_mT8_P12ihipStream_tbDpT10_ENKUlT_T0_E_clISt17integral_constantIbLb0EES1C_EEDaS17_S18_EUlS17_E_NS1_11comp_targetILNS1_3genE2ELNS1_11target_archE906ELNS1_3gpuE6ELNS1_3repE0EEENS1_30default_config_static_selectorELNS0_4arch9wavefront6targetE1EEEvT1_,@function
_ZN7rocprim17ROCPRIM_400000_NS6detail17trampoline_kernelINS0_14default_configENS1_25partition_config_selectorILNS1_17partition_subalgoE8ElNS0_10empty_typeEbEEZZNS1_14partition_implILS5_8ELb0ES3_jPlPS6_PKS6_NS0_5tupleIJS9_S6_EEENSD_IJSA_SA_EEENS0_18inequality_wrapperIZN2at6native12_GLOBAL__N_124unique_dim_cuda_templateIdEESt5tupleIJNSH_6TensorESM_SM_EERKSM_lbbbEUlllE0_EEPmJS6_EEE10hipError_tPvRmT3_T4_T5_T6_T7_T9_mT8_P12ihipStream_tbDpT10_ENKUlT_T0_E_clISt17integral_constantIbLb0EES1C_EEDaS17_S18_EUlS17_E_NS1_11comp_targetILNS1_3genE2ELNS1_11target_archE906ELNS1_3gpuE6ELNS1_3repE0EEENS1_30default_config_static_selectorELNS0_4arch9wavefront6targetE1EEEvT1_: ; @_ZN7rocprim17ROCPRIM_400000_NS6detail17trampoline_kernelINS0_14default_configENS1_25partition_config_selectorILNS1_17partition_subalgoE8ElNS0_10empty_typeEbEEZZNS1_14partition_implILS5_8ELb0ES3_jPlPS6_PKS6_NS0_5tupleIJS9_S6_EEENSD_IJSA_SA_EEENS0_18inequality_wrapperIZN2at6native12_GLOBAL__N_124unique_dim_cuda_templateIdEESt5tupleIJNSH_6TensorESM_SM_EERKSM_lbbbEUlllE0_EEPmJS6_EEE10hipError_tPvRmT3_T4_T5_T6_T7_T9_mT8_P12ihipStream_tbDpT10_ENKUlT_T0_E_clISt17integral_constantIbLb0EES1C_EEDaS17_S18_EUlS17_E_NS1_11comp_targetILNS1_3genE2ELNS1_11target_archE906ELNS1_3gpuE6ELNS1_3repE0EEENS1_30default_config_static_selectorELNS0_4arch9wavefront6targetE1EEEvT1_
; %bb.0:
	.section	.rodata,"a",@progbits
	.p2align	6, 0x0
	.amdhsa_kernel _ZN7rocprim17ROCPRIM_400000_NS6detail17trampoline_kernelINS0_14default_configENS1_25partition_config_selectorILNS1_17partition_subalgoE8ElNS0_10empty_typeEbEEZZNS1_14partition_implILS5_8ELb0ES3_jPlPS6_PKS6_NS0_5tupleIJS9_S6_EEENSD_IJSA_SA_EEENS0_18inequality_wrapperIZN2at6native12_GLOBAL__N_124unique_dim_cuda_templateIdEESt5tupleIJNSH_6TensorESM_SM_EERKSM_lbbbEUlllE0_EEPmJS6_EEE10hipError_tPvRmT3_T4_T5_T6_T7_T9_mT8_P12ihipStream_tbDpT10_ENKUlT_T0_E_clISt17integral_constantIbLb0EES1C_EEDaS17_S18_EUlS17_E_NS1_11comp_targetILNS1_3genE2ELNS1_11target_archE906ELNS1_3gpuE6ELNS1_3repE0EEENS1_30default_config_static_selectorELNS0_4arch9wavefront6targetE1EEEvT1_
		.amdhsa_group_segment_fixed_size 0
		.amdhsa_private_segment_fixed_size 0
		.amdhsa_kernarg_size 120
		.amdhsa_user_sgpr_count 6
		.amdhsa_user_sgpr_private_segment_buffer 1
		.amdhsa_user_sgpr_dispatch_ptr 0
		.amdhsa_user_sgpr_queue_ptr 0
		.amdhsa_user_sgpr_kernarg_segment_ptr 1
		.amdhsa_user_sgpr_dispatch_id 0
		.amdhsa_user_sgpr_flat_scratch_init 0
		.amdhsa_user_sgpr_kernarg_preload_length 0
		.amdhsa_user_sgpr_kernarg_preload_offset 0
		.amdhsa_user_sgpr_private_segment_size 0
		.amdhsa_uses_dynamic_stack 0
		.amdhsa_system_sgpr_private_segment_wavefront_offset 0
		.amdhsa_system_sgpr_workgroup_id_x 1
		.amdhsa_system_sgpr_workgroup_id_y 0
		.amdhsa_system_sgpr_workgroup_id_z 0
		.amdhsa_system_sgpr_workgroup_info 0
		.amdhsa_system_vgpr_workitem_id 0
		.amdhsa_next_free_vgpr 1
		.amdhsa_next_free_sgpr 0
		.amdhsa_accum_offset 4
		.amdhsa_reserve_vcc 0
		.amdhsa_reserve_flat_scratch 0
		.amdhsa_float_round_mode_32 0
		.amdhsa_float_round_mode_16_64 0
		.amdhsa_float_denorm_mode_32 3
		.amdhsa_float_denorm_mode_16_64 3
		.amdhsa_dx10_clamp 1
		.amdhsa_ieee_mode 1
		.amdhsa_fp16_overflow 0
		.amdhsa_tg_split 0
		.amdhsa_exception_fp_ieee_invalid_op 0
		.amdhsa_exception_fp_denorm_src 0
		.amdhsa_exception_fp_ieee_div_zero 0
		.amdhsa_exception_fp_ieee_overflow 0
		.amdhsa_exception_fp_ieee_underflow 0
		.amdhsa_exception_fp_ieee_inexact 0
		.amdhsa_exception_int_div_zero 0
	.end_amdhsa_kernel
	.section	.text._ZN7rocprim17ROCPRIM_400000_NS6detail17trampoline_kernelINS0_14default_configENS1_25partition_config_selectorILNS1_17partition_subalgoE8ElNS0_10empty_typeEbEEZZNS1_14partition_implILS5_8ELb0ES3_jPlPS6_PKS6_NS0_5tupleIJS9_S6_EEENSD_IJSA_SA_EEENS0_18inequality_wrapperIZN2at6native12_GLOBAL__N_124unique_dim_cuda_templateIdEESt5tupleIJNSH_6TensorESM_SM_EERKSM_lbbbEUlllE0_EEPmJS6_EEE10hipError_tPvRmT3_T4_T5_T6_T7_T9_mT8_P12ihipStream_tbDpT10_ENKUlT_T0_E_clISt17integral_constantIbLb0EES1C_EEDaS17_S18_EUlS17_E_NS1_11comp_targetILNS1_3genE2ELNS1_11target_archE906ELNS1_3gpuE6ELNS1_3repE0EEENS1_30default_config_static_selectorELNS0_4arch9wavefront6targetE1EEEvT1_,"axG",@progbits,_ZN7rocprim17ROCPRIM_400000_NS6detail17trampoline_kernelINS0_14default_configENS1_25partition_config_selectorILNS1_17partition_subalgoE8ElNS0_10empty_typeEbEEZZNS1_14partition_implILS5_8ELb0ES3_jPlPS6_PKS6_NS0_5tupleIJS9_S6_EEENSD_IJSA_SA_EEENS0_18inequality_wrapperIZN2at6native12_GLOBAL__N_124unique_dim_cuda_templateIdEESt5tupleIJNSH_6TensorESM_SM_EERKSM_lbbbEUlllE0_EEPmJS6_EEE10hipError_tPvRmT3_T4_T5_T6_T7_T9_mT8_P12ihipStream_tbDpT10_ENKUlT_T0_E_clISt17integral_constantIbLb0EES1C_EEDaS17_S18_EUlS17_E_NS1_11comp_targetILNS1_3genE2ELNS1_11target_archE906ELNS1_3gpuE6ELNS1_3repE0EEENS1_30default_config_static_selectorELNS0_4arch9wavefront6targetE1EEEvT1_,comdat
.Lfunc_end811:
	.size	_ZN7rocprim17ROCPRIM_400000_NS6detail17trampoline_kernelINS0_14default_configENS1_25partition_config_selectorILNS1_17partition_subalgoE8ElNS0_10empty_typeEbEEZZNS1_14partition_implILS5_8ELb0ES3_jPlPS6_PKS6_NS0_5tupleIJS9_S6_EEENSD_IJSA_SA_EEENS0_18inequality_wrapperIZN2at6native12_GLOBAL__N_124unique_dim_cuda_templateIdEESt5tupleIJNSH_6TensorESM_SM_EERKSM_lbbbEUlllE0_EEPmJS6_EEE10hipError_tPvRmT3_T4_T5_T6_T7_T9_mT8_P12ihipStream_tbDpT10_ENKUlT_T0_E_clISt17integral_constantIbLb0EES1C_EEDaS17_S18_EUlS17_E_NS1_11comp_targetILNS1_3genE2ELNS1_11target_archE906ELNS1_3gpuE6ELNS1_3repE0EEENS1_30default_config_static_selectorELNS0_4arch9wavefront6targetE1EEEvT1_, .Lfunc_end811-_ZN7rocprim17ROCPRIM_400000_NS6detail17trampoline_kernelINS0_14default_configENS1_25partition_config_selectorILNS1_17partition_subalgoE8ElNS0_10empty_typeEbEEZZNS1_14partition_implILS5_8ELb0ES3_jPlPS6_PKS6_NS0_5tupleIJS9_S6_EEENSD_IJSA_SA_EEENS0_18inequality_wrapperIZN2at6native12_GLOBAL__N_124unique_dim_cuda_templateIdEESt5tupleIJNSH_6TensorESM_SM_EERKSM_lbbbEUlllE0_EEPmJS6_EEE10hipError_tPvRmT3_T4_T5_T6_T7_T9_mT8_P12ihipStream_tbDpT10_ENKUlT_T0_E_clISt17integral_constantIbLb0EES1C_EEDaS17_S18_EUlS17_E_NS1_11comp_targetILNS1_3genE2ELNS1_11target_archE906ELNS1_3gpuE6ELNS1_3repE0EEENS1_30default_config_static_selectorELNS0_4arch9wavefront6targetE1EEEvT1_
                                        ; -- End function
	.section	.AMDGPU.csdata,"",@progbits
; Kernel info:
; codeLenInByte = 0
; NumSgprs: 4
; NumVgprs: 0
; NumAgprs: 0
; TotalNumVgprs: 0
; ScratchSize: 0
; MemoryBound: 0
; FloatMode: 240
; IeeeMode: 1
; LDSByteSize: 0 bytes/workgroup (compile time only)
; SGPRBlocks: 0
; VGPRBlocks: 0
; NumSGPRsForWavesPerEU: 4
; NumVGPRsForWavesPerEU: 1
; AccumOffset: 4
; Occupancy: 8
; WaveLimiterHint : 0
; COMPUTE_PGM_RSRC2:SCRATCH_EN: 0
; COMPUTE_PGM_RSRC2:USER_SGPR: 6
; COMPUTE_PGM_RSRC2:TRAP_HANDLER: 0
; COMPUTE_PGM_RSRC2:TGID_X_EN: 1
; COMPUTE_PGM_RSRC2:TGID_Y_EN: 0
; COMPUTE_PGM_RSRC2:TGID_Z_EN: 0
; COMPUTE_PGM_RSRC2:TIDIG_COMP_CNT: 0
; COMPUTE_PGM_RSRC3_GFX90A:ACCUM_OFFSET: 0
; COMPUTE_PGM_RSRC3_GFX90A:TG_SPLIT: 0
	.section	.text._ZN7rocprim17ROCPRIM_400000_NS6detail17trampoline_kernelINS0_14default_configENS1_25partition_config_selectorILNS1_17partition_subalgoE8ElNS0_10empty_typeEbEEZZNS1_14partition_implILS5_8ELb0ES3_jPlPS6_PKS6_NS0_5tupleIJS9_S6_EEENSD_IJSA_SA_EEENS0_18inequality_wrapperIZN2at6native12_GLOBAL__N_124unique_dim_cuda_templateIdEESt5tupleIJNSH_6TensorESM_SM_EERKSM_lbbbEUlllE0_EEPmJS6_EEE10hipError_tPvRmT3_T4_T5_T6_T7_T9_mT8_P12ihipStream_tbDpT10_ENKUlT_T0_E_clISt17integral_constantIbLb0EES1C_EEDaS17_S18_EUlS17_E_NS1_11comp_targetILNS1_3genE10ELNS1_11target_archE1200ELNS1_3gpuE4ELNS1_3repE0EEENS1_30default_config_static_selectorELNS0_4arch9wavefront6targetE1EEEvT1_,"axG",@progbits,_ZN7rocprim17ROCPRIM_400000_NS6detail17trampoline_kernelINS0_14default_configENS1_25partition_config_selectorILNS1_17partition_subalgoE8ElNS0_10empty_typeEbEEZZNS1_14partition_implILS5_8ELb0ES3_jPlPS6_PKS6_NS0_5tupleIJS9_S6_EEENSD_IJSA_SA_EEENS0_18inequality_wrapperIZN2at6native12_GLOBAL__N_124unique_dim_cuda_templateIdEESt5tupleIJNSH_6TensorESM_SM_EERKSM_lbbbEUlllE0_EEPmJS6_EEE10hipError_tPvRmT3_T4_T5_T6_T7_T9_mT8_P12ihipStream_tbDpT10_ENKUlT_T0_E_clISt17integral_constantIbLb0EES1C_EEDaS17_S18_EUlS17_E_NS1_11comp_targetILNS1_3genE10ELNS1_11target_archE1200ELNS1_3gpuE4ELNS1_3repE0EEENS1_30default_config_static_selectorELNS0_4arch9wavefront6targetE1EEEvT1_,comdat
	.globl	_ZN7rocprim17ROCPRIM_400000_NS6detail17trampoline_kernelINS0_14default_configENS1_25partition_config_selectorILNS1_17partition_subalgoE8ElNS0_10empty_typeEbEEZZNS1_14partition_implILS5_8ELb0ES3_jPlPS6_PKS6_NS0_5tupleIJS9_S6_EEENSD_IJSA_SA_EEENS0_18inequality_wrapperIZN2at6native12_GLOBAL__N_124unique_dim_cuda_templateIdEESt5tupleIJNSH_6TensorESM_SM_EERKSM_lbbbEUlllE0_EEPmJS6_EEE10hipError_tPvRmT3_T4_T5_T6_T7_T9_mT8_P12ihipStream_tbDpT10_ENKUlT_T0_E_clISt17integral_constantIbLb0EES1C_EEDaS17_S18_EUlS17_E_NS1_11comp_targetILNS1_3genE10ELNS1_11target_archE1200ELNS1_3gpuE4ELNS1_3repE0EEENS1_30default_config_static_selectorELNS0_4arch9wavefront6targetE1EEEvT1_ ; -- Begin function _ZN7rocprim17ROCPRIM_400000_NS6detail17trampoline_kernelINS0_14default_configENS1_25partition_config_selectorILNS1_17partition_subalgoE8ElNS0_10empty_typeEbEEZZNS1_14partition_implILS5_8ELb0ES3_jPlPS6_PKS6_NS0_5tupleIJS9_S6_EEENSD_IJSA_SA_EEENS0_18inequality_wrapperIZN2at6native12_GLOBAL__N_124unique_dim_cuda_templateIdEESt5tupleIJNSH_6TensorESM_SM_EERKSM_lbbbEUlllE0_EEPmJS6_EEE10hipError_tPvRmT3_T4_T5_T6_T7_T9_mT8_P12ihipStream_tbDpT10_ENKUlT_T0_E_clISt17integral_constantIbLb0EES1C_EEDaS17_S18_EUlS17_E_NS1_11comp_targetILNS1_3genE10ELNS1_11target_archE1200ELNS1_3gpuE4ELNS1_3repE0EEENS1_30default_config_static_selectorELNS0_4arch9wavefront6targetE1EEEvT1_
	.p2align	8
	.type	_ZN7rocprim17ROCPRIM_400000_NS6detail17trampoline_kernelINS0_14default_configENS1_25partition_config_selectorILNS1_17partition_subalgoE8ElNS0_10empty_typeEbEEZZNS1_14partition_implILS5_8ELb0ES3_jPlPS6_PKS6_NS0_5tupleIJS9_S6_EEENSD_IJSA_SA_EEENS0_18inequality_wrapperIZN2at6native12_GLOBAL__N_124unique_dim_cuda_templateIdEESt5tupleIJNSH_6TensorESM_SM_EERKSM_lbbbEUlllE0_EEPmJS6_EEE10hipError_tPvRmT3_T4_T5_T6_T7_T9_mT8_P12ihipStream_tbDpT10_ENKUlT_T0_E_clISt17integral_constantIbLb0EES1C_EEDaS17_S18_EUlS17_E_NS1_11comp_targetILNS1_3genE10ELNS1_11target_archE1200ELNS1_3gpuE4ELNS1_3repE0EEENS1_30default_config_static_selectorELNS0_4arch9wavefront6targetE1EEEvT1_,@function
_ZN7rocprim17ROCPRIM_400000_NS6detail17trampoline_kernelINS0_14default_configENS1_25partition_config_selectorILNS1_17partition_subalgoE8ElNS0_10empty_typeEbEEZZNS1_14partition_implILS5_8ELb0ES3_jPlPS6_PKS6_NS0_5tupleIJS9_S6_EEENSD_IJSA_SA_EEENS0_18inequality_wrapperIZN2at6native12_GLOBAL__N_124unique_dim_cuda_templateIdEESt5tupleIJNSH_6TensorESM_SM_EERKSM_lbbbEUlllE0_EEPmJS6_EEE10hipError_tPvRmT3_T4_T5_T6_T7_T9_mT8_P12ihipStream_tbDpT10_ENKUlT_T0_E_clISt17integral_constantIbLb0EES1C_EEDaS17_S18_EUlS17_E_NS1_11comp_targetILNS1_3genE10ELNS1_11target_archE1200ELNS1_3gpuE4ELNS1_3repE0EEENS1_30default_config_static_selectorELNS0_4arch9wavefront6targetE1EEEvT1_: ; @_ZN7rocprim17ROCPRIM_400000_NS6detail17trampoline_kernelINS0_14default_configENS1_25partition_config_selectorILNS1_17partition_subalgoE8ElNS0_10empty_typeEbEEZZNS1_14partition_implILS5_8ELb0ES3_jPlPS6_PKS6_NS0_5tupleIJS9_S6_EEENSD_IJSA_SA_EEENS0_18inequality_wrapperIZN2at6native12_GLOBAL__N_124unique_dim_cuda_templateIdEESt5tupleIJNSH_6TensorESM_SM_EERKSM_lbbbEUlllE0_EEPmJS6_EEE10hipError_tPvRmT3_T4_T5_T6_T7_T9_mT8_P12ihipStream_tbDpT10_ENKUlT_T0_E_clISt17integral_constantIbLb0EES1C_EEDaS17_S18_EUlS17_E_NS1_11comp_targetILNS1_3genE10ELNS1_11target_archE1200ELNS1_3gpuE4ELNS1_3repE0EEENS1_30default_config_static_selectorELNS0_4arch9wavefront6targetE1EEEvT1_
; %bb.0:
	.section	.rodata,"a",@progbits
	.p2align	6, 0x0
	.amdhsa_kernel _ZN7rocprim17ROCPRIM_400000_NS6detail17trampoline_kernelINS0_14default_configENS1_25partition_config_selectorILNS1_17partition_subalgoE8ElNS0_10empty_typeEbEEZZNS1_14partition_implILS5_8ELb0ES3_jPlPS6_PKS6_NS0_5tupleIJS9_S6_EEENSD_IJSA_SA_EEENS0_18inequality_wrapperIZN2at6native12_GLOBAL__N_124unique_dim_cuda_templateIdEESt5tupleIJNSH_6TensorESM_SM_EERKSM_lbbbEUlllE0_EEPmJS6_EEE10hipError_tPvRmT3_T4_T5_T6_T7_T9_mT8_P12ihipStream_tbDpT10_ENKUlT_T0_E_clISt17integral_constantIbLb0EES1C_EEDaS17_S18_EUlS17_E_NS1_11comp_targetILNS1_3genE10ELNS1_11target_archE1200ELNS1_3gpuE4ELNS1_3repE0EEENS1_30default_config_static_selectorELNS0_4arch9wavefront6targetE1EEEvT1_
		.amdhsa_group_segment_fixed_size 0
		.amdhsa_private_segment_fixed_size 0
		.amdhsa_kernarg_size 120
		.amdhsa_user_sgpr_count 6
		.amdhsa_user_sgpr_private_segment_buffer 1
		.amdhsa_user_sgpr_dispatch_ptr 0
		.amdhsa_user_sgpr_queue_ptr 0
		.amdhsa_user_sgpr_kernarg_segment_ptr 1
		.amdhsa_user_sgpr_dispatch_id 0
		.amdhsa_user_sgpr_flat_scratch_init 0
		.amdhsa_user_sgpr_kernarg_preload_length 0
		.amdhsa_user_sgpr_kernarg_preload_offset 0
		.amdhsa_user_sgpr_private_segment_size 0
		.amdhsa_uses_dynamic_stack 0
		.amdhsa_system_sgpr_private_segment_wavefront_offset 0
		.amdhsa_system_sgpr_workgroup_id_x 1
		.amdhsa_system_sgpr_workgroup_id_y 0
		.amdhsa_system_sgpr_workgroup_id_z 0
		.amdhsa_system_sgpr_workgroup_info 0
		.amdhsa_system_vgpr_workitem_id 0
		.amdhsa_next_free_vgpr 1
		.amdhsa_next_free_sgpr 0
		.amdhsa_accum_offset 4
		.amdhsa_reserve_vcc 0
		.amdhsa_reserve_flat_scratch 0
		.amdhsa_float_round_mode_32 0
		.amdhsa_float_round_mode_16_64 0
		.amdhsa_float_denorm_mode_32 3
		.amdhsa_float_denorm_mode_16_64 3
		.amdhsa_dx10_clamp 1
		.amdhsa_ieee_mode 1
		.amdhsa_fp16_overflow 0
		.amdhsa_tg_split 0
		.amdhsa_exception_fp_ieee_invalid_op 0
		.amdhsa_exception_fp_denorm_src 0
		.amdhsa_exception_fp_ieee_div_zero 0
		.amdhsa_exception_fp_ieee_overflow 0
		.amdhsa_exception_fp_ieee_underflow 0
		.amdhsa_exception_fp_ieee_inexact 0
		.amdhsa_exception_int_div_zero 0
	.end_amdhsa_kernel
	.section	.text._ZN7rocprim17ROCPRIM_400000_NS6detail17trampoline_kernelINS0_14default_configENS1_25partition_config_selectorILNS1_17partition_subalgoE8ElNS0_10empty_typeEbEEZZNS1_14partition_implILS5_8ELb0ES3_jPlPS6_PKS6_NS0_5tupleIJS9_S6_EEENSD_IJSA_SA_EEENS0_18inequality_wrapperIZN2at6native12_GLOBAL__N_124unique_dim_cuda_templateIdEESt5tupleIJNSH_6TensorESM_SM_EERKSM_lbbbEUlllE0_EEPmJS6_EEE10hipError_tPvRmT3_T4_T5_T6_T7_T9_mT8_P12ihipStream_tbDpT10_ENKUlT_T0_E_clISt17integral_constantIbLb0EES1C_EEDaS17_S18_EUlS17_E_NS1_11comp_targetILNS1_3genE10ELNS1_11target_archE1200ELNS1_3gpuE4ELNS1_3repE0EEENS1_30default_config_static_selectorELNS0_4arch9wavefront6targetE1EEEvT1_,"axG",@progbits,_ZN7rocprim17ROCPRIM_400000_NS6detail17trampoline_kernelINS0_14default_configENS1_25partition_config_selectorILNS1_17partition_subalgoE8ElNS0_10empty_typeEbEEZZNS1_14partition_implILS5_8ELb0ES3_jPlPS6_PKS6_NS0_5tupleIJS9_S6_EEENSD_IJSA_SA_EEENS0_18inequality_wrapperIZN2at6native12_GLOBAL__N_124unique_dim_cuda_templateIdEESt5tupleIJNSH_6TensorESM_SM_EERKSM_lbbbEUlllE0_EEPmJS6_EEE10hipError_tPvRmT3_T4_T5_T6_T7_T9_mT8_P12ihipStream_tbDpT10_ENKUlT_T0_E_clISt17integral_constantIbLb0EES1C_EEDaS17_S18_EUlS17_E_NS1_11comp_targetILNS1_3genE10ELNS1_11target_archE1200ELNS1_3gpuE4ELNS1_3repE0EEENS1_30default_config_static_selectorELNS0_4arch9wavefront6targetE1EEEvT1_,comdat
.Lfunc_end812:
	.size	_ZN7rocprim17ROCPRIM_400000_NS6detail17trampoline_kernelINS0_14default_configENS1_25partition_config_selectorILNS1_17partition_subalgoE8ElNS0_10empty_typeEbEEZZNS1_14partition_implILS5_8ELb0ES3_jPlPS6_PKS6_NS0_5tupleIJS9_S6_EEENSD_IJSA_SA_EEENS0_18inequality_wrapperIZN2at6native12_GLOBAL__N_124unique_dim_cuda_templateIdEESt5tupleIJNSH_6TensorESM_SM_EERKSM_lbbbEUlllE0_EEPmJS6_EEE10hipError_tPvRmT3_T4_T5_T6_T7_T9_mT8_P12ihipStream_tbDpT10_ENKUlT_T0_E_clISt17integral_constantIbLb0EES1C_EEDaS17_S18_EUlS17_E_NS1_11comp_targetILNS1_3genE10ELNS1_11target_archE1200ELNS1_3gpuE4ELNS1_3repE0EEENS1_30default_config_static_selectorELNS0_4arch9wavefront6targetE1EEEvT1_, .Lfunc_end812-_ZN7rocprim17ROCPRIM_400000_NS6detail17trampoline_kernelINS0_14default_configENS1_25partition_config_selectorILNS1_17partition_subalgoE8ElNS0_10empty_typeEbEEZZNS1_14partition_implILS5_8ELb0ES3_jPlPS6_PKS6_NS0_5tupleIJS9_S6_EEENSD_IJSA_SA_EEENS0_18inequality_wrapperIZN2at6native12_GLOBAL__N_124unique_dim_cuda_templateIdEESt5tupleIJNSH_6TensorESM_SM_EERKSM_lbbbEUlllE0_EEPmJS6_EEE10hipError_tPvRmT3_T4_T5_T6_T7_T9_mT8_P12ihipStream_tbDpT10_ENKUlT_T0_E_clISt17integral_constantIbLb0EES1C_EEDaS17_S18_EUlS17_E_NS1_11comp_targetILNS1_3genE10ELNS1_11target_archE1200ELNS1_3gpuE4ELNS1_3repE0EEENS1_30default_config_static_selectorELNS0_4arch9wavefront6targetE1EEEvT1_
                                        ; -- End function
	.section	.AMDGPU.csdata,"",@progbits
; Kernel info:
; codeLenInByte = 0
; NumSgprs: 4
; NumVgprs: 0
; NumAgprs: 0
; TotalNumVgprs: 0
; ScratchSize: 0
; MemoryBound: 0
; FloatMode: 240
; IeeeMode: 1
; LDSByteSize: 0 bytes/workgroup (compile time only)
; SGPRBlocks: 0
; VGPRBlocks: 0
; NumSGPRsForWavesPerEU: 4
; NumVGPRsForWavesPerEU: 1
; AccumOffset: 4
; Occupancy: 8
; WaveLimiterHint : 0
; COMPUTE_PGM_RSRC2:SCRATCH_EN: 0
; COMPUTE_PGM_RSRC2:USER_SGPR: 6
; COMPUTE_PGM_RSRC2:TRAP_HANDLER: 0
; COMPUTE_PGM_RSRC2:TGID_X_EN: 1
; COMPUTE_PGM_RSRC2:TGID_Y_EN: 0
; COMPUTE_PGM_RSRC2:TGID_Z_EN: 0
; COMPUTE_PGM_RSRC2:TIDIG_COMP_CNT: 0
; COMPUTE_PGM_RSRC3_GFX90A:ACCUM_OFFSET: 0
; COMPUTE_PGM_RSRC3_GFX90A:TG_SPLIT: 0
	.section	.text._ZN7rocprim17ROCPRIM_400000_NS6detail17trampoline_kernelINS0_14default_configENS1_25partition_config_selectorILNS1_17partition_subalgoE8ElNS0_10empty_typeEbEEZZNS1_14partition_implILS5_8ELb0ES3_jPlPS6_PKS6_NS0_5tupleIJS9_S6_EEENSD_IJSA_SA_EEENS0_18inequality_wrapperIZN2at6native12_GLOBAL__N_124unique_dim_cuda_templateIdEESt5tupleIJNSH_6TensorESM_SM_EERKSM_lbbbEUlllE0_EEPmJS6_EEE10hipError_tPvRmT3_T4_T5_T6_T7_T9_mT8_P12ihipStream_tbDpT10_ENKUlT_T0_E_clISt17integral_constantIbLb0EES1C_EEDaS17_S18_EUlS17_E_NS1_11comp_targetILNS1_3genE9ELNS1_11target_archE1100ELNS1_3gpuE3ELNS1_3repE0EEENS1_30default_config_static_selectorELNS0_4arch9wavefront6targetE1EEEvT1_,"axG",@progbits,_ZN7rocprim17ROCPRIM_400000_NS6detail17trampoline_kernelINS0_14default_configENS1_25partition_config_selectorILNS1_17partition_subalgoE8ElNS0_10empty_typeEbEEZZNS1_14partition_implILS5_8ELb0ES3_jPlPS6_PKS6_NS0_5tupleIJS9_S6_EEENSD_IJSA_SA_EEENS0_18inequality_wrapperIZN2at6native12_GLOBAL__N_124unique_dim_cuda_templateIdEESt5tupleIJNSH_6TensorESM_SM_EERKSM_lbbbEUlllE0_EEPmJS6_EEE10hipError_tPvRmT3_T4_T5_T6_T7_T9_mT8_P12ihipStream_tbDpT10_ENKUlT_T0_E_clISt17integral_constantIbLb0EES1C_EEDaS17_S18_EUlS17_E_NS1_11comp_targetILNS1_3genE9ELNS1_11target_archE1100ELNS1_3gpuE3ELNS1_3repE0EEENS1_30default_config_static_selectorELNS0_4arch9wavefront6targetE1EEEvT1_,comdat
	.globl	_ZN7rocprim17ROCPRIM_400000_NS6detail17trampoline_kernelINS0_14default_configENS1_25partition_config_selectorILNS1_17partition_subalgoE8ElNS0_10empty_typeEbEEZZNS1_14partition_implILS5_8ELb0ES3_jPlPS6_PKS6_NS0_5tupleIJS9_S6_EEENSD_IJSA_SA_EEENS0_18inequality_wrapperIZN2at6native12_GLOBAL__N_124unique_dim_cuda_templateIdEESt5tupleIJNSH_6TensorESM_SM_EERKSM_lbbbEUlllE0_EEPmJS6_EEE10hipError_tPvRmT3_T4_T5_T6_T7_T9_mT8_P12ihipStream_tbDpT10_ENKUlT_T0_E_clISt17integral_constantIbLb0EES1C_EEDaS17_S18_EUlS17_E_NS1_11comp_targetILNS1_3genE9ELNS1_11target_archE1100ELNS1_3gpuE3ELNS1_3repE0EEENS1_30default_config_static_selectorELNS0_4arch9wavefront6targetE1EEEvT1_ ; -- Begin function _ZN7rocprim17ROCPRIM_400000_NS6detail17trampoline_kernelINS0_14default_configENS1_25partition_config_selectorILNS1_17partition_subalgoE8ElNS0_10empty_typeEbEEZZNS1_14partition_implILS5_8ELb0ES3_jPlPS6_PKS6_NS0_5tupleIJS9_S6_EEENSD_IJSA_SA_EEENS0_18inequality_wrapperIZN2at6native12_GLOBAL__N_124unique_dim_cuda_templateIdEESt5tupleIJNSH_6TensorESM_SM_EERKSM_lbbbEUlllE0_EEPmJS6_EEE10hipError_tPvRmT3_T4_T5_T6_T7_T9_mT8_P12ihipStream_tbDpT10_ENKUlT_T0_E_clISt17integral_constantIbLb0EES1C_EEDaS17_S18_EUlS17_E_NS1_11comp_targetILNS1_3genE9ELNS1_11target_archE1100ELNS1_3gpuE3ELNS1_3repE0EEENS1_30default_config_static_selectorELNS0_4arch9wavefront6targetE1EEEvT1_
	.p2align	8
	.type	_ZN7rocprim17ROCPRIM_400000_NS6detail17trampoline_kernelINS0_14default_configENS1_25partition_config_selectorILNS1_17partition_subalgoE8ElNS0_10empty_typeEbEEZZNS1_14partition_implILS5_8ELb0ES3_jPlPS6_PKS6_NS0_5tupleIJS9_S6_EEENSD_IJSA_SA_EEENS0_18inequality_wrapperIZN2at6native12_GLOBAL__N_124unique_dim_cuda_templateIdEESt5tupleIJNSH_6TensorESM_SM_EERKSM_lbbbEUlllE0_EEPmJS6_EEE10hipError_tPvRmT3_T4_T5_T6_T7_T9_mT8_P12ihipStream_tbDpT10_ENKUlT_T0_E_clISt17integral_constantIbLb0EES1C_EEDaS17_S18_EUlS17_E_NS1_11comp_targetILNS1_3genE9ELNS1_11target_archE1100ELNS1_3gpuE3ELNS1_3repE0EEENS1_30default_config_static_selectorELNS0_4arch9wavefront6targetE1EEEvT1_,@function
_ZN7rocprim17ROCPRIM_400000_NS6detail17trampoline_kernelINS0_14default_configENS1_25partition_config_selectorILNS1_17partition_subalgoE8ElNS0_10empty_typeEbEEZZNS1_14partition_implILS5_8ELb0ES3_jPlPS6_PKS6_NS0_5tupleIJS9_S6_EEENSD_IJSA_SA_EEENS0_18inequality_wrapperIZN2at6native12_GLOBAL__N_124unique_dim_cuda_templateIdEESt5tupleIJNSH_6TensorESM_SM_EERKSM_lbbbEUlllE0_EEPmJS6_EEE10hipError_tPvRmT3_T4_T5_T6_T7_T9_mT8_P12ihipStream_tbDpT10_ENKUlT_T0_E_clISt17integral_constantIbLb0EES1C_EEDaS17_S18_EUlS17_E_NS1_11comp_targetILNS1_3genE9ELNS1_11target_archE1100ELNS1_3gpuE3ELNS1_3repE0EEENS1_30default_config_static_selectorELNS0_4arch9wavefront6targetE1EEEvT1_: ; @_ZN7rocprim17ROCPRIM_400000_NS6detail17trampoline_kernelINS0_14default_configENS1_25partition_config_selectorILNS1_17partition_subalgoE8ElNS0_10empty_typeEbEEZZNS1_14partition_implILS5_8ELb0ES3_jPlPS6_PKS6_NS0_5tupleIJS9_S6_EEENSD_IJSA_SA_EEENS0_18inequality_wrapperIZN2at6native12_GLOBAL__N_124unique_dim_cuda_templateIdEESt5tupleIJNSH_6TensorESM_SM_EERKSM_lbbbEUlllE0_EEPmJS6_EEE10hipError_tPvRmT3_T4_T5_T6_T7_T9_mT8_P12ihipStream_tbDpT10_ENKUlT_T0_E_clISt17integral_constantIbLb0EES1C_EEDaS17_S18_EUlS17_E_NS1_11comp_targetILNS1_3genE9ELNS1_11target_archE1100ELNS1_3gpuE3ELNS1_3repE0EEENS1_30default_config_static_selectorELNS0_4arch9wavefront6targetE1EEEvT1_
; %bb.0:
	.section	.rodata,"a",@progbits
	.p2align	6, 0x0
	.amdhsa_kernel _ZN7rocprim17ROCPRIM_400000_NS6detail17trampoline_kernelINS0_14default_configENS1_25partition_config_selectorILNS1_17partition_subalgoE8ElNS0_10empty_typeEbEEZZNS1_14partition_implILS5_8ELb0ES3_jPlPS6_PKS6_NS0_5tupleIJS9_S6_EEENSD_IJSA_SA_EEENS0_18inequality_wrapperIZN2at6native12_GLOBAL__N_124unique_dim_cuda_templateIdEESt5tupleIJNSH_6TensorESM_SM_EERKSM_lbbbEUlllE0_EEPmJS6_EEE10hipError_tPvRmT3_T4_T5_T6_T7_T9_mT8_P12ihipStream_tbDpT10_ENKUlT_T0_E_clISt17integral_constantIbLb0EES1C_EEDaS17_S18_EUlS17_E_NS1_11comp_targetILNS1_3genE9ELNS1_11target_archE1100ELNS1_3gpuE3ELNS1_3repE0EEENS1_30default_config_static_selectorELNS0_4arch9wavefront6targetE1EEEvT1_
		.amdhsa_group_segment_fixed_size 0
		.amdhsa_private_segment_fixed_size 0
		.amdhsa_kernarg_size 120
		.amdhsa_user_sgpr_count 6
		.amdhsa_user_sgpr_private_segment_buffer 1
		.amdhsa_user_sgpr_dispatch_ptr 0
		.amdhsa_user_sgpr_queue_ptr 0
		.amdhsa_user_sgpr_kernarg_segment_ptr 1
		.amdhsa_user_sgpr_dispatch_id 0
		.amdhsa_user_sgpr_flat_scratch_init 0
		.amdhsa_user_sgpr_kernarg_preload_length 0
		.amdhsa_user_sgpr_kernarg_preload_offset 0
		.amdhsa_user_sgpr_private_segment_size 0
		.amdhsa_uses_dynamic_stack 0
		.amdhsa_system_sgpr_private_segment_wavefront_offset 0
		.amdhsa_system_sgpr_workgroup_id_x 1
		.amdhsa_system_sgpr_workgroup_id_y 0
		.amdhsa_system_sgpr_workgroup_id_z 0
		.amdhsa_system_sgpr_workgroup_info 0
		.amdhsa_system_vgpr_workitem_id 0
		.amdhsa_next_free_vgpr 1
		.amdhsa_next_free_sgpr 0
		.amdhsa_accum_offset 4
		.amdhsa_reserve_vcc 0
		.amdhsa_reserve_flat_scratch 0
		.amdhsa_float_round_mode_32 0
		.amdhsa_float_round_mode_16_64 0
		.amdhsa_float_denorm_mode_32 3
		.amdhsa_float_denorm_mode_16_64 3
		.amdhsa_dx10_clamp 1
		.amdhsa_ieee_mode 1
		.amdhsa_fp16_overflow 0
		.amdhsa_tg_split 0
		.amdhsa_exception_fp_ieee_invalid_op 0
		.amdhsa_exception_fp_denorm_src 0
		.amdhsa_exception_fp_ieee_div_zero 0
		.amdhsa_exception_fp_ieee_overflow 0
		.amdhsa_exception_fp_ieee_underflow 0
		.amdhsa_exception_fp_ieee_inexact 0
		.amdhsa_exception_int_div_zero 0
	.end_amdhsa_kernel
	.section	.text._ZN7rocprim17ROCPRIM_400000_NS6detail17trampoline_kernelINS0_14default_configENS1_25partition_config_selectorILNS1_17partition_subalgoE8ElNS0_10empty_typeEbEEZZNS1_14partition_implILS5_8ELb0ES3_jPlPS6_PKS6_NS0_5tupleIJS9_S6_EEENSD_IJSA_SA_EEENS0_18inequality_wrapperIZN2at6native12_GLOBAL__N_124unique_dim_cuda_templateIdEESt5tupleIJNSH_6TensorESM_SM_EERKSM_lbbbEUlllE0_EEPmJS6_EEE10hipError_tPvRmT3_T4_T5_T6_T7_T9_mT8_P12ihipStream_tbDpT10_ENKUlT_T0_E_clISt17integral_constantIbLb0EES1C_EEDaS17_S18_EUlS17_E_NS1_11comp_targetILNS1_3genE9ELNS1_11target_archE1100ELNS1_3gpuE3ELNS1_3repE0EEENS1_30default_config_static_selectorELNS0_4arch9wavefront6targetE1EEEvT1_,"axG",@progbits,_ZN7rocprim17ROCPRIM_400000_NS6detail17trampoline_kernelINS0_14default_configENS1_25partition_config_selectorILNS1_17partition_subalgoE8ElNS0_10empty_typeEbEEZZNS1_14partition_implILS5_8ELb0ES3_jPlPS6_PKS6_NS0_5tupleIJS9_S6_EEENSD_IJSA_SA_EEENS0_18inequality_wrapperIZN2at6native12_GLOBAL__N_124unique_dim_cuda_templateIdEESt5tupleIJNSH_6TensorESM_SM_EERKSM_lbbbEUlllE0_EEPmJS6_EEE10hipError_tPvRmT3_T4_T5_T6_T7_T9_mT8_P12ihipStream_tbDpT10_ENKUlT_T0_E_clISt17integral_constantIbLb0EES1C_EEDaS17_S18_EUlS17_E_NS1_11comp_targetILNS1_3genE9ELNS1_11target_archE1100ELNS1_3gpuE3ELNS1_3repE0EEENS1_30default_config_static_selectorELNS0_4arch9wavefront6targetE1EEEvT1_,comdat
.Lfunc_end813:
	.size	_ZN7rocprim17ROCPRIM_400000_NS6detail17trampoline_kernelINS0_14default_configENS1_25partition_config_selectorILNS1_17partition_subalgoE8ElNS0_10empty_typeEbEEZZNS1_14partition_implILS5_8ELb0ES3_jPlPS6_PKS6_NS0_5tupleIJS9_S6_EEENSD_IJSA_SA_EEENS0_18inequality_wrapperIZN2at6native12_GLOBAL__N_124unique_dim_cuda_templateIdEESt5tupleIJNSH_6TensorESM_SM_EERKSM_lbbbEUlllE0_EEPmJS6_EEE10hipError_tPvRmT3_T4_T5_T6_T7_T9_mT8_P12ihipStream_tbDpT10_ENKUlT_T0_E_clISt17integral_constantIbLb0EES1C_EEDaS17_S18_EUlS17_E_NS1_11comp_targetILNS1_3genE9ELNS1_11target_archE1100ELNS1_3gpuE3ELNS1_3repE0EEENS1_30default_config_static_selectorELNS0_4arch9wavefront6targetE1EEEvT1_, .Lfunc_end813-_ZN7rocprim17ROCPRIM_400000_NS6detail17trampoline_kernelINS0_14default_configENS1_25partition_config_selectorILNS1_17partition_subalgoE8ElNS0_10empty_typeEbEEZZNS1_14partition_implILS5_8ELb0ES3_jPlPS6_PKS6_NS0_5tupleIJS9_S6_EEENSD_IJSA_SA_EEENS0_18inequality_wrapperIZN2at6native12_GLOBAL__N_124unique_dim_cuda_templateIdEESt5tupleIJNSH_6TensorESM_SM_EERKSM_lbbbEUlllE0_EEPmJS6_EEE10hipError_tPvRmT3_T4_T5_T6_T7_T9_mT8_P12ihipStream_tbDpT10_ENKUlT_T0_E_clISt17integral_constantIbLb0EES1C_EEDaS17_S18_EUlS17_E_NS1_11comp_targetILNS1_3genE9ELNS1_11target_archE1100ELNS1_3gpuE3ELNS1_3repE0EEENS1_30default_config_static_selectorELNS0_4arch9wavefront6targetE1EEEvT1_
                                        ; -- End function
	.section	.AMDGPU.csdata,"",@progbits
; Kernel info:
; codeLenInByte = 0
; NumSgprs: 4
; NumVgprs: 0
; NumAgprs: 0
; TotalNumVgprs: 0
; ScratchSize: 0
; MemoryBound: 0
; FloatMode: 240
; IeeeMode: 1
; LDSByteSize: 0 bytes/workgroup (compile time only)
; SGPRBlocks: 0
; VGPRBlocks: 0
; NumSGPRsForWavesPerEU: 4
; NumVGPRsForWavesPerEU: 1
; AccumOffset: 4
; Occupancy: 8
; WaveLimiterHint : 0
; COMPUTE_PGM_RSRC2:SCRATCH_EN: 0
; COMPUTE_PGM_RSRC2:USER_SGPR: 6
; COMPUTE_PGM_RSRC2:TRAP_HANDLER: 0
; COMPUTE_PGM_RSRC2:TGID_X_EN: 1
; COMPUTE_PGM_RSRC2:TGID_Y_EN: 0
; COMPUTE_PGM_RSRC2:TGID_Z_EN: 0
; COMPUTE_PGM_RSRC2:TIDIG_COMP_CNT: 0
; COMPUTE_PGM_RSRC3_GFX90A:ACCUM_OFFSET: 0
; COMPUTE_PGM_RSRC3_GFX90A:TG_SPLIT: 0
	.section	.text._ZN7rocprim17ROCPRIM_400000_NS6detail17trampoline_kernelINS0_14default_configENS1_25partition_config_selectorILNS1_17partition_subalgoE8ElNS0_10empty_typeEbEEZZNS1_14partition_implILS5_8ELb0ES3_jPlPS6_PKS6_NS0_5tupleIJS9_S6_EEENSD_IJSA_SA_EEENS0_18inequality_wrapperIZN2at6native12_GLOBAL__N_124unique_dim_cuda_templateIdEESt5tupleIJNSH_6TensorESM_SM_EERKSM_lbbbEUlllE0_EEPmJS6_EEE10hipError_tPvRmT3_T4_T5_T6_T7_T9_mT8_P12ihipStream_tbDpT10_ENKUlT_T0_E_clISt17integral_constantIbLb0EES1C_EEDaS17_S18_EUlS17_E_NS1_11comp_targetILNS1_3genE8ELNS1_11target_archE1030ELNS1_3gpuE2ELNS1_3repE0EEENS1_30default_config_static_selectorELNS0_4arch9wavefront6targetE1EEEvT1_,"axG",@progbits,_ZN7rocprim17ROCPRIM_400000_NS6detail17trampoline_kernelINS0_14default_configENS1_25partition_config_selectorILNS1_17partition_subalgoE8ElNS0_10empty_typeEbEEZZNS1_14partition_implILS5_8ELb0ES3_jPlPS6_PKS6_NS0_5tupleIJS9_S6_EEENSD_IJSA_SA_EEENS0_18inequality_wrapperIZN2at6native12_GLOBAL__N_124unique_dim_cuda_templateIdEESt5tupleIJNSH_6TensorESM_SM_EERKSM_lbbbEUlllE0_EEPmJS6_EEE10hipError_tPvRmT3_T4_T5_T6_T7_T9_mT8_P12ihipStream_tbDpT10_ENKUlT_T0_E_clISt17integral_constantIbLb0EES1C_EEDaS17_S18_EUlS17_E_NS1_11comp_targetILNS1_3genE8ELNS1_11target_archE1030ELNS1_3gpuE2ELNS1_3repE0EEENS1_30default_config_static_selectorELNS0_4arch9wavefront6targetE1EEEvT1_,comdat
	.globl	_ZN7rocprim17ROCPRIM_400000_NS6detail17trampoline_kernelINS0_14default_configENS1_25partition_config_selectorILNS1_17partition_subalgoE8ElNS0_10empty_typeEbEEZZNS1_14partition_implILS5_8ELb0ES3_jPlPS6_PKS6_NS0_5tupleIJS9_S6_EEENSD_IJSA_SA_EEENS0_18inequality_wrapperIZN2at6native12_GLOBAL__N_124unique_dim_cuda_templateIdEESt5tupleIJNSH_6TensorESM_SM_EERKSM_lbbbEUlllE0_EEPmJS6_EEE10hipError_tPvRmT3_T4_T5_T6_T7_T9_mT8_P12ihipStream_tbDpT10_ENKUlT_T0_E_clISt17integral_constantIbLb0EES1C_EEDaS17_S18_EUlS17_E_NS1_11comp_targetILNS1_3genE8ELNS1_11target_archE1030ELNS1_3gpuE2ELNS1_3repE0EEENS1_30default_config_static_selectorELNS0_4arch9wavefront6targetE1EEEvT1_ ; -- Begin function _ZN7rocprim17ROCPRIM_400000_NS6detail17trampoline_kernelINS0_14default_configENS1_25partition_config_selectorILNS1_17partition_subalgoE8ElNS0_10empty_typeEbEEZZNS1_14partition_implILS5_8ELb0ES3_jPlPS6_PKS6_NS0_5tupleIJS9_S6_EEENSD_IJSA_SA_EEENS0_18inequality_wrapperIZN2at6native12_GLOBAL__N_124unique_dim_cuda_templateIdEESt5tupleIJNSH_6TensorESM_SM_EERKSM_lbbbEUlllE0_EEPmJS6_EEE10hipError_tPvRmT3_T4_T5_T6_T7_T9_mT8_P12ihipStream_tbDpT10_ENKUlT_T0_E_clISt17integral_constantIbLb0EES1C_EEDaS17_S18_EUlS17_E_NS1_11comp_targetILNS1_3genE8ELNS1_11target_archE1030ELNS1_3gpuE2ELNS1_3repE0EEENS1_30default_config_static_selectorELNS0_4arch9wavefront6targetE1EEEvT1_
	.p2align	8
	.type	_ZN7rocprim17ROCPRIM_400000_NS6detail17trampoline_kernelINS0_14default_configENS1_25partition_config_selectorILNS1_17partition_subalgoE8ElNS0_10empty_typeEbEEZZNS1_14partition_implILS5_8ELb0ES3_jPlPS6_PKS6_NS0_5tupleIJS9_S6_EEENSD_IJSA_SA_EEENS0_18inequality_wrapperIZN2at6native12_GLOBAL__N_124unique_dim_cuda_templateIdEESt5tupleIJNSH_6TensorESM_SM_EERKSM_lbbbEUlllE0_EEPmJS6_EEE10hipError_tPvRmT3_T4_T5_T6_T7_T9_mT8_P12ihipStream_tbDpT10_ENKUlT_T0_E_clISt17integral_constantIbLb0EES1C_EEDaS17_S18_EUlS17_E_NS1_11comp_targetILNS1_3genE8ELNS1_11target_archE1030ELNS1_3gpuE2ELNS1_3repE0EEENS1_30default_config_static_selectorELNS0_4arch9wavefront6targetE1EEEvT1_,@function
_ZN7rocprim17ROCPRIM_400000_NS6detail17trampoline_kernelINS0_14default_configENS1_25partition_config_selectorILNS1_17partition_subalgoE8ElNS0_10empty_typeEbEEZZNS1_14partition_implILS5_8ELb0ES3_jPlPS6_PKS6_NS0_5tupleIJS9_S6_EEENSD_IJSA_SA_EEENS0_18inequality_wrapperIZN2at6native12_GLOBAL__N_124unique_dim_cuda_templateIdEESt5tupleIJNSH_6TensorESM_SM_EERKSM_lbbbEUlllE0_EEPmJS6_EEE10hipError_tPvRmT3_T4_T5_T6_T7_T9_mT8_P12ihipStream_tbDpT10_ENKUlT_T0_E_clISt17integral_constantIbLb0EES1C_EEDaS17_S18_EUlS17_E_NS1_11comp_targetILNS1_3genE8ELNS1_11target_archE1030ELNS1_3gpuE2ELNS1_3repE0EEENS1_30default_config_static_selectorELNS0_4arch9wavefront6targetE1EEEvT1_: ; @_ZN7rocprim17ROCPRIM_400000_NS6detail17trampoline_kernelINS0_14default_configENS1_25partition_config_selectorILNS1_17partition_subalgoE8ElNS0_10empty_typeEbEEZZNS1_14partition_implILS5_8ELb0ES3_jPlPS6_PKS6_NS0_5tupleIJS9_S6_EEENSD_IJSA_SA_EEENS0_18inequality_wrapperIZN2at6native12_GLOBAL__N_124unique_dim_cuda_templateIdEESt5tupleIJNSH_6TensorESM_SM_EERKSM_lbbbEUlllE0_EEPmJS6_EEE10hipError_tPvRmT3_T4_T5_T6_T7_T9_mT8_P12ihipStream_tbDpT10_ENKUlT_T0_E_clISt17integral_constantIbLb0EES1C_EEDaS17_S18_EUlS17_E_NS1_11comp_targetILNS1_3genE8ELNS1_11target_archE1030ELNS1_3gpuE2ELNS1_3repE0EEENS1_30default_config_static_selectorELNS0_4arch9wavefront6targetE1EEEvT1_
; %bb.0:
	.section	.rodata,"a",@progbits
	.p2align	6, 0x0
	.amdhsa_kernel _ZN7rocprim17ROCPRIM_400000_NS6detail17trampoline_kernelINS0_14default_configENS1_25partition_config_selectorILNS1_17partition_subalgoE8ElNS0_10empty_typeEbEEZZNS1_14partition_implILS5_8ELb0ES3_jPlPS6_PKS6_NS0_5tupleIJS9_S6_EEENSD_IJSA_SA_EEENS0_18inequality_wrapperIZN2at6native12_GLOBAL__N_124unique_dim_cuda_templateIdEESt5tupleIJNSH_6TensorESM_SM_EERKSM_lbbbEUlllE0_EEPmJS6_EEE10hipError_tPvRmT3_T4_T5_T6_T7_T9_mT8_P12ihipStream_tbDpT10_ENKUlT_T0_E_clISt17integral_constantIbLb0EES1C_EEDaS17_S18_EUlS17_E_NS1_11comp_targetILNS1_3genE8ELNS1_11target_archE1030ELNS1_3gpuE2ELNS1_3repE0EEENS1_30default_config_static_selectorELNS0_4arch9wavefront6targetE1EEEvT1_
		.amdhsa_group_segment_fixed_size 0
		.amdhsa_private_segment_fixed_size 0
		.amdhsa_kernarg_size 120
		.amdhsa_user_sgpr_count 6
		.amdhsa_user_sgpr_private_segment_buffer 1
		.amdhsa_user_sgpr_dispatch_ptr 0
		.amdhsa_user_sgpr_queue_ptr 0
		.amdhsa_user_sgpr_kernarg_segment_ptr 1
		.amdhsa_user_sgpr_dispatch_id 0
		.amdhsa_user_sgpr_flat_scratch_init 0
		.amdhsa_user_sgpr_kernarg_preload_length 0
		.amdhsa_user_sgpr_kernarg_preload_offset 0
		.amdhsa_user_sgpr_private_segment_size 0
		.amdhsa_uses_dynamic_stack 0
		.amdhsa_system_sgpr_private_segment_wavefront_offset 0
		.amdhsa_system_sgpr_workgroup_id_x 1
		.amdhsa_system_sgpr_workgroup_id_y 0
		.amdhsa_system_sgpr_workgroup_id_z 0
		.amdhsa_system_sgpr_workgroup_info 0
		.amdhsa_system_vgpr_workitem_id 0
		.amdhsa_next_free_vgpr 1
		.amdhsa_next_free_sgpr 0
		.amdhsa_accum_offset 4
		.amdhsa_reserve_vcc 0
		.amdhsa_reserve_flat_scratch 0
		.amdhsa_float_round_mode_32 0
		.amdhsa_float_round_mode_16_64 0
		.amdhsa_float_denorm_mode_32 3
		.amdhsa_float_denorm_mode_16_64 3
		.amdhsa_dx10_clamp 1
		.amdhsa_ieee_mode 1
		.amdhsa_fp16_overflow 0
		.amdhsa_tg_split 0
		.amdhsa_exception_fp_ieee_invalid_op 0
		.amdhsa_exception_fp_denorm_src 0
		.amdhsa_exception_fp_ieee_div_zero 0
		.amdhsa_exception_fp_ieee_overflow 0
		.amdhsa_exception_fp_ieee_underflow 0
		.amdhsa_exception_fp_ieee_inexact 0
		.amdhsa_exception_int_div_zero 0
	.end_amdhsa_kernel
	.section	.text._ZN7rocprim17ROCPRIM_400000_NS6detail17trampoline_kernelINS0_14default_configENS1_25partition_config_selectorILNS1_17partition_subalgoE8ElNS0_10empty_typeEbEEZZNS1_14partition_implILS5_8ELb0ES3_jPlPS6_PKS6_NS0_5tupleIJS9_S6_EEENSD_IJSA_SA_EEENS0_18inequality_wrapperIZN2at6native12_GLOBAL__N_124unique_dim_cuda_templateIdEESt5tupleIJNSH_6TensorESM_SM_EERKSM_lbbbEUlllE0_EEPmJS6_EEE10hipError_tPvRmT3_T4_T5_T6_T7_T9_mT8_P12ihipStream_tbDpT10_ENKUlT_T0_E_clISt17integral_constantIbLb0EES1C_EEDaS17_S18_EUlS17_E_NS1_11comp_targetILNS1_3genE8ELNS1_11target_archE1030ELNS1_3gpuE2ELNS1_3repE0EEENS1_30default_config_static_selectorELNS0_4arch9wavefront6targetE1EEEvT1_,"axG",@progbits,_ZN7rocprim17ROCPRIM_400000_NS6detail17trampoline_kernelINS0_14default_configENS1_25partition_config_selectorILNS1_17partition_subalgoE8ElNS0_10empty_typeEbEEZZNS1_14partition_implILS5_8ELb0ES3_jPlPS6_PKS6_NS0_5tupleIJS9_S6_EEENSD_IJSA_SA_EEENS0_18inequality_wrapperIZN2at6native12_GLOBAL__N_124unique_dim_cuda_templateIdEESt5tupleIJNSH_6TensorESM_SM_EERKSM_lbbbEUlllE0_EEPmJS6_EEE10hipError_tPvRmT3_T4_T5_T6_T7_T9_mT8_P12ihipStream_tbDpT10_ENKUlT_T0_E_clISt17integral_constantIbLb0EES1C_EEDaS17_S18_EUlS17_E_NS1_11comp_targetILNS1_3genE8ELNS1_11target_archE1030ELNS1_3gpuE2ELNS1_3repE0EEENS1_30default_config_static_selectorELNS0_4arch9wavefront6targetE1EEEvT1_,comdat
.Lfunc_end814:
	.size	_ZN7rocprim17ROCPRIM_400000_NS6detail17trampoline_kernelINS0_14default_configENS1_25partition_config_selectorILNS1_17partition_subalgoE8ElNS0_10empty_typeEbEEZZNS1_14partition_implILS5_8ELb0ES3_jPlPS6_PKS6_NS0_5tupleIJS9_S6_EEENSD_IJSA_SA_EEENS0_18inequality_wrapperIZN2at6native12_GLOBAL__N_124unique_dim_cuda_templateIdEESt5tupleIJNSH_6TensorESM_SM_EERKSM_lbbbEUlllE0_EEPmJS6_EEE10hipError_tPvRmT3_T4_T5_T6_T7_T9_mT8_P12ihipStream_tbDpT10_ENKUlT_T0_E_clISt17integral_constantIbLb0EES1C_EEDaS17_S18_EUlS17_E_NS1_11comp_targetILNS1_3genE8ELNS1_11target_archE1030ELNS1_3gpuE2ELNS1_3repE0EEENS1_30default_config_static_selectorELNS0_4arch9wavefront6targetE1EEEvT1_, .Lfunc_end814-_ZN7rocprim17ROCPRIM_400000_NS6detail17trampoline_kernelINS0_14default_configENS1_25partition_config_selectorILNS1_17partition_subalgoE8ElNS0_10empty_typeEbEEZZNS1_14partition_implILS5_8ELb0ES3_jPlPS6_PKS6_NS0_5tupleIJS9_S6_EEENSD_IJSA_SA_EEENS0_18inequality_wrapperIZN2at6native12_GLOBAL__N_124unique_dim_cuda_templateIdEESt5tupleIJNSH_6TensorESM_SM_EERKSM_lbbbEUlllE0_EEPmJS6_EEE10hipError_tPvRmT3_T4_T5_T6_T7_T9_mT8_P12ihipStream_tbDpT10_ENKUlT_T0_E_clISt17integral_constantIbLb0EES1C_EEDaS17_S18_EUlS17_E_NS1_11comp_targetILNS1_3genE8ELNS1_11target_archE1030ELNS1_3gpuE2ELNS1_3repE0EEENS1_30default_config_static_selectorELNS0_4arch9wavefront6targetE1EEEvT1_
                                        ; -- End function
	.section	.AMDGPU.csdata,"",@progbits
; Kernel info:
; codeLenInByte = 0
; NumSgprs: 4
; NumVgprs: 0
; NumAgprs: 0
; TotalNumVgprs: 0
; ScratchSize: 0
; MemoryBound: 0
; FloatMode: 240
; IeeeMode: 1
; LDSByteSize: 0 bytes/workgroup (compile time only)
; SGPRBlocks: 0
; VGPRBlocks: 0
; NumSGPRsForWavesPerEU: 4
; NumVGPRsForWavesPerEU: 1
; AccumOffset: 4
; Occupancy: 8
; WaveLimiterHint : 0
; COMPUTE_PGM_RSRC2:SCRATCH_EN: 0
; COMPUTE_PGM_RSRC2:USER_SGPR: 6
; COMPUTE_PGM_RSRC2:TRAP_HANDLER: 0
; COMPUTE_PGM_RSRC2:TGID_X_EN: 1
; COMPUTE_PGM_RSRC2:TGID_Y_EN: 0
; COMPUTE_PGM_RSRC2:TGID_Z_EN: 0
; COMPUTE_PGM_RSRC2:TIDIG_COMP_CNT: 0
; COMPUTE_PGM_RSRC3_GFX90A:ACCUM_OFFSET: 0
; COMPUTE_PGM_RSRC3_GFX90A:TG_SPLIT: 0
	.section	.text._ZN7rocprim17ROCPRIM_400000_NS6detail17trampoline_kernelINS0_14default_configENS1_25partition_config_selectorILNS1_17partition_subalgoE8ElNS0_10empty_typeEbEEZZNS1_14partition_implILS5_8ELb0ES3_jPlPS6_PKS6_NS0_5tupleIJS9_S6_EEENSD_IJSA_SA_EEENS0_18inequality_wrapperIZN2at6native12_GLOBAL__N_124unique_dim_cuda_templateIdEESt5tupleIJNSH_6TensorESM_SM_EERKSM_lbbbEUlllE0_EEPmJS6_EEE10hipError_tPvRmT3_T4_T5_T6_T7_T9_mT8_P12ihipStream_tbDpT10_ENKUlT_T0_E_clISt17integral_constantIbLb1EES1C_EEDaS17_S18_EUlS17_E_NS1_11comp_targetILNS1_3genE0ELNS1_11target_archE4294967295ELNS1_3gpuE0ELNS1_3repE0EEENS1_30default_config_static_selectorELNS0_4arch9wavefront6targetE1EEEvT1_,"axG",@progbits,_ZN7rocprim17ROCPRIM_400000_NS6detail17trampoline_kernelINS0_14default_configENS1_25partition_config_selectorILNS1_17partition_subalgoE8ElNS0_10empty_typeEbEEZZNS1_14partition_implILS5_8ELb0ES3_jPlPS6_PKS6_NS0_5tupleIJS9_S6_EEENSD_IJSA_SA_EEENS0_18inequality_wrapperIZN2at6native12_GLOBAL__N_124unique_dim_cuda_templateIdEESt5tupleIJNSH_6TensorESM_SM_EERKSM_lbbbEUlllE0_EEPmJS6_EEE10hipError_tPvRmT3_T4_T5_T6_T7_T9_mT8_P12ihipStream_tbDpT10_ENKUlT_T0_E_clISt17integral_constantIbLb1EES1C_EEDaS17_S18_EUlS17_E_NS1_11comp_targetILNS1_3genE0ELNS1_11target_archE4294967295ELNS1_3gpuE0ELNS1_3repE0EEENS1_30default_config_static_selectorELNS0_4arch9wavefront6targetE1EEEvT1_,comdat
	.globl	_ZN7rocprim17ROCPRIM_400000_NS6detail17trampoline_kernelINS0_14default_configENS1_25partition_config_selectorILNS1_17partition_subalgoE8ElNS0_10empty_typeEbEEZZNS1_14partition_implILS5_8ELb0ES3_jPlPS6_PKS6_NS0_5tupleIJS9_S6_EEENSD_IJSA_SA_EEENS0_18inequality_wrapperIZN2at6native12_GLOBAL__N_124unique_dim_cuda_templateIdEESt5tupleIJNSH_6TensorESM_SM_EERKSM_lbbbEUlllE0_EEPmJS6_EEE10hipError_tPvRmT3_T4_T5_T6_T7_T9_mT8_P12ihipStream_tbDpT10_ENKUlT_T0_E_clISt17integral_constantIbLb1EES1C_EEDaS17_S18_EUlS17_E_NS1_11comp_targetILNS1_3genE0ELNS1_11target_archE4294967295ELNS1_3gpuE0ELNS1_3repE0EEENS1_30default_config_static_selectorELNS0_4arch9wavefront6targetE1EEEvT1_ ; -- Begin function _ZN7rocprim17ROCPRIM_400000_NS6detail17trampoline_kernelINS0_14default_configENS1_25partition_config_selectorILNS1_17partition_subalgoE8ElNS0_10empty_typeEbEEZZNS1_14partition_implILS5_8ELb0ES3_jPlPS6_PKS6_NS0_5tupleIJS9_S6_EEENSD_IJSA_SA_EEENS0_18inequality_wrapperIZN2at6native12_GLOBAL__N_124unique_dim_cuda_templateIdEESt5tupleIJNSH_6TensorESM_SM_EERKSM_lbbbEUlllE0_EEPmJS6_EEE10hipError_tPvRmT3_T4_T5_T6_T7_T9_mT8_P12ihipStream_tbDpT10_ENKUlT_T0_E_clISt17integral_constantIbLb1EES1C_EEDaS17_S18_EUlS17_E_NS1_11comp_targetILNS1_3genE0ELNS1_11target_archE4294967295ELNS1_3gpuE0ELNS1_3repE0EEENS1_30default_config_static_selectorELNS0_4arch9wavefront6targetE1EEEvT1_
	.p2align	8
	.type	_ZN7rocprim17ROCPRIM_400000_NS6detail17trampoline_kernelINS0_14default_configENS1_25partition_config_selectorILNS1_17partition_subalgoE8ElNS0_10empty_typeEbEEZZNS1_14partition_implILS5_8ELb0ES3_jPlPS6_PKS6_NS0_5tupleIJS9_S6_EEENSD_IJSA_SA_EEENS0_18inequality_wrapperIZN2at6native12_GLOBAL__N_124unique_dim_cuda_templateIdEESt5tupleIJNSH_6TensorESM_SM_EERKSM_lbbbEUlllE0_EEPmJS6_EEE10hipError_tPvRmT3_T4_T5_T6_T7_T9_mT8_P12ihipStream_tbDpT10_ENKUlT_T0_E_clISt17integral_constantIbLb1EES1C_EEDaS17_S18_EUlS17_E_NS1_11comp_targetILNS1_3genE0ELNS1_11target_archE4294967295ELNS1_3gpuE0ELNS1_3repE0EEENS1_30default_config_static_selectorELNS0_4arch9wavefront6targetE1EEEvT1_,@function
_ZN7rocprim17ROCPRIM_400000_NS6detail17trampoline_kernelINS0_14default_configENS1_25partition_config_selectorILNS1_17partition_subalgoE8ElNS0_10empty_typeEbEEZZNS1_14partition_implILS5_8ELb0ES3_jPlPS6_PKS6_NS0_5tupleIJS9_S6_EEENSD_IJSA_SA_EEENS0_18inequality_wrapperIZN2at6native12_GLOBAL__N_124unique_dim_cuda_templateIdEESt5tupleIJNSH_6TensorESM_SM_EERKSM_lbbbEUlllE0_EEPmJS6_EEE10hipError_tPvRmT3_T4_T5_T6_T7_T9_mT8_P12ihipStream_tbDpT10_ENKUlT_T0_E_clISt17integral_constantIbLb1EES1C_EEDaS17_S18_EUlS17_E_NS1_11comp_targetILNS1_3genE0ELNS1_11target_archE4294967295ELNS1_3gpuE0ELNS1_3repE0EEENS1_30default_config_static_selectorELNS0_4arch9wavefront6targetE1EEEvT1_: ; @_ZN7rocprim17ROCPRIM_400000_NS6detail17trampoline_kernelINS0_14default_configENS1_25partition_config_selectorILNS1_17partition_subalgoE8ElNS0_10empty_typeEbEEZZNS1_14partition_implILS5_8ELb0ES3_jPlPS6_PKS6_NS0_5tupleIJS9_S6_EEENSD_IJSA_SA_EEENS0_18inequality_wrapperIZN2at6native12_GLOBAL__N_124unique_dim_cuda_templateIdEESt5tupleIJNSH_6TensorESM_SM_EERKSM_lbbbEUlllE0_EEPmJS6_EEE10hipError_tPvRmT3_T4_T5_T6_T7_T9_mT8_P12ihipStream_tbDpT10_ENKUlT_T0_E_clISt17integral_constantIbLb1EES1C_EEDaS17_S18_EUlS17_E_NS1_11comp_targetILNS1_3genE0ELNS1_11target_archE4294967295ELNS1_3gpuE0ELNS1_3repE0EEENS1_30default_config_static_selectorELNS0_4arch9wavefront6targetE1EEEvT1_
; %bb.0:
	.section	.rodata,"a",@progbits
	.p2align	6, 0x0
	.amdhsa_kernel _ZN7rocprim17ROCPRIM_400000_NS6detail17trampoline_kernelINS0_14default_configENS1_25partition_config_selectorILNS1_17partition_subalgoE8ElNS0_10empty_typeEbEEZZNS1_14partition_implILS5_8ELb0ES3_jPlPS6_PKS6_NS0_5tupleIJS9_S6_EEENSD_IJSA_SA_EEENS0_18inequality_wrapperIZN2at6native12_GLOBAL__N_124unique_dim_cuda_templateIdEESt5tupleIJNSH_6TensorESM_SM_EERKSM_lbbbEUlllE0_EEPmJS6_EEE10hipError_tPvRmT3_T4_T5_T6_T7_T9_mT8_P12ihipStream_tbDpT10_ENKUlT_T0_E_clISt17integral_constantIbLb1EES1C_EEDaS17_S18_EUlS17_E_NS1_11comp_targetILNS1_3genE0ELNS1_11target_archE4294967295ELNS1_3gpuE0ELNS1_3repE0EEENS1_30default_config_static_selectorELNS0_4arch9wavefront6targetE1EEEvT1_
		.amdhsa_group_segment_fixed_size 0
		.amdhsa_private_segment_fixed_size 0
		.amdhsa_kernarg_size 136
		.amdhsa_user_sgpr_count 6
		.amdhsa_user_sgpr_private_segment_buffer 1
		.amdhsa_user_sgpr_dispatch_ptr 0
		.amdhsa_user_sgpr_queue_ptr 0
		.amdhsa_user_sgpr_kernarg_segment_ptr 1
		.amdhsa_user_sgpr_dispatch_id 0
		.amdhsa_user_sgpr_flat_scratch_init 0
		.amdhsa_user_sgpr_kernarg_preload_length 0
		.amdhsa_user_sgpr_kernarg_preload_offset 0
		.amdhsa_user_sgpr_private_segment_size 0
		.amdhsa_uses_dynamic_stack 0
		.amdhsa_system_sgpr_private_segment_wavefront_offset 0
		.amdhsa_system_sgpr_workgroup_id_x 1
		.amdhsa_system_sgpr_workgroup_id_y 0
		.amdhsa_system_sgpr_workgroup_id_z 0
		.amdhsa_system_sgpr_workgroup_info 0
		.amdhsa_system_vgpr_workitem_id 0
		.amdhsa_next_free_vgpr 1
		.amdhsa_next_free_sgpr 0
		.amdhsa_accum_offset 4
		.amdhsa_reserve_vcc 0
		.amdhsa_reserve_flat_scratch 0
		.amdhsa_float_round_mode_32 0
		.amdhsa_float_round_mode_16_64 0
		.amdhsa_float_denorm_mode_32 3
		.amdhsa_float_denorm_mode_16_64 3
		.amdhsa_dx10_clamp 1
		.amdhsa_ieee_mode 1
		.amdhsa_fp16_overflow 0
		.amdhsa_tg_split 0
		.amdhsa_exception_fp_ieee_invalid_op 0
		.amdhsa_exception_fp_denorm_src 0
		.amdhsa_exception_fp_ieee_div_zero 0
		.amdhsa_exception_fp_ieee_overflow 0
		.amdhsa_exception_fp_ieee_underflow 0
		.amdhsa_exception_fp_ieee_inexact 0
		.amdhsa_exception_int_div_zero 0
	.end_amdhsa_kernel
	.section	.text._ZN7rocprim17ROCPRIM_400000_NS6detail17trampoline_kernelINS0_14default_configENS1_25partition_config_selectorILNS1_17partition_subalgoE8ElNS0_10empty_typeEbEEZZNS1_14partition_implILS5_8ELb0ES3_jPlPS6_PKS6_NS0_5tupleIJS9_S6_EEENSD_IJSA_SA_EEENS0_18inequality_wrapperIZN2at6native12_GLOBAL__N_124unique_dim_cuda_templateIdEESt5tupleIJNSH_6TensorESM_SM_EERKSM_lbbbEUlllE0_EEPmJS6_EEE10hipError_tPvRmT3_T4_T5_T6_T7_T9_mT8_P12ihipStream_tbDpT10_ENKUlT_T0_E_clISt17integral_constantIbLb1EES1C_EEDaS17_S18_EUlS17_E_NS1_11comp_targetILNS1_3genE0ELNS1_11target_archE4294967295ELNS1_3gpuE0ELNS1_3repE0EEENS1_30default_config_static_selectorELNS0_4arch9wavefront6targetE1EEEvT1_,"axG",@progbits,_ZN7rocprim17ROCPRIM_400000_NS6detail17trampoline_kernelINS0_14default_configENS1_25partition_config_selectorILNS1_17partition_subalgoE8ElNS0_10empty_typeEbEEZZNS1_14partition_implILS5_8ELb0ES3_jPlPS6_PKS6_NS0_5tupleIJS9_S6_EEENSD_IJSA_SA_EEENS0_18inequality_wrapperIZN2at6native12_GLOBAL__N_124unique_dim_cuda_templateIdEESt5tupleIJNSH_6TensorESM_SM_EERKSM_lbbbEUlllE0_EEPmJS6_EEE10hipError_tPvRmT3_T4_T5_T6_T7_T9_mT8_P12ihipStream_tbDpT10_ENKUlT_T0_E_clISt17integral_constantIbLb1EES1C_EEDaS17_S18_EUlS17_E_NS1_11comp_targetILNS1_3genE0ELNS1_11target_archE4294967295ELNS1_3gpuE0ELNS1_3repE0EEENS1_30default_config_static_selectorELNS0_4arch9wavefront6targetE1EEEvT1_,comdat
.Lfunc_end815:
	.size	_ZN7rocprim17ROCPRIM_400000_NS6detail17trampoline_kernelINS0_14default_configENS1_25partition_config_selectorILNS1_17partition_subalgoE8ElNS0_10empty_typeEbEEZZNS1_14partition_implILS5_8ELb0ES3_jPlPS6_PKS6_NS0_5tupleIJS9_S6_EEENSD_IJSA_SA_EEENS0_18inequality_wrapperIZN2at6native12_GLOBAL__N_124unique_dim_cuda_templateIdEESt5tupleIJNSH_6TensorESM_SM_EERKSM_lbbbEUlllE0_EEPmJS6_EEE10hipError_tPvRmT3_T4_T5_T6_T7_T9_mT8_P12ihipStream_tbDpT10_ENKUlT_T0_E_clISt17integral_constantIbLb1EES1C_EEDaS17_S18_EUlS17_E_NS1_11comp_targetILNS1_3genE0ELNS1_11target_archE4294967295ELNS1_3gpuE0ELNS1_3repE0EEENS1_30default_config_static_selectorELNS0_4arch9wavefront6targetE1EEEvT1_, .Lfunc_end815-_ZN7rocprim17ROCPRIM_400000_NS6detail17trampoline_kernelINS0_14default_configENS1_25partition_config_selectorILNS1_17partition_subalgoE8ElNS0_10empty_typeEbEEZZNS1_14partition_implILS5_8ELb0ES3_jPlPS6_PKS6_NS0_5tupleIJS9_S6_EEENSD_IJSA_SA_EEENS0_18inequality_wrapperIZN2at6native12_GLOBAL__N_124unique_dim_cuda_templateIdEESt5tupleIJNSH_6TensorESM_SM_EERKSM_lbbbEUlllE0_EEPmJS6_EEE10hipError_tPvRmT3_T4_T5_T6_T7_T9_mT8_P12ihipStream_tbDpT10_ENKUlT_T0_E_clISt17integral_constantIbLb1EES1C_EEDaS17_S18_EUlS17_E_NS1_11comp_targetILNS1_3genE0ELNS1_11target_archE4294967295ELNS1_3gpuE0ELNS1_3repE0EEENS1_30default_config_static_selectorELNS0_4arch9wavefront6targetE1EEEvT1_
                                        ; -- End function
	.section	.AMDGPU.csdata,"",@progbits
; Kernel info:
; codeLenInByte = 0
; NumSgprs: 4
; NumVgprs: 0
; NumAgprs: 0
; TotalNumVgprs: 0
; ScratchSize: 0
; MemoryBound: 0
; FloatMode: 240
; IeeeMode: 1
; LDSByteSize: 0 bytes/workgroup (compile time only)
; SGPRBlocks: 0
; VGPRBlocks: 0
; NumSGPRsForWavesPerEU: 4
; NumVGPRsForWavesPerEU: 1
; AccumOffset: 4
; Occupancy: 8
; WaveLimiterHint : 0
; COMPUTE_PGM_RSRC2:SCRATCH_EN: 0
; COMPUTE_PGM_RSRC2:USER_SGPR: 6
; COMPUTE_PGM_RSRC2:TRAP_HANDLER: 0
; COMPUTE_PGM_RSRC2:TGID_X_EN: 1
; COMPUTE_PGM_RSRC2:TGID_Y_EN: 0
; COMPUTE_PGM_RSRC2:TGID_Z_EN: 0
; COMPUTE_PGM_RSRC2:TIDIG_COMP_CNT: 0
; COMPUTE_PGM_RSRC3_GFX90A:ACCUM_OFFSET: 0
; COMPUTE_PGM_RSRC3_GFX90A:TG_SPLIT: 0
	.section	.text._ZN7rocprim17ROCPRIM_400000_NS6detail17trampoline_kernelINS0_14default_configENS1_25partition_config_selectorILNS1_17partition_subalgoE8ElNS0_10empty_typeEbEEZZNS1_14partition_implILS5_8ELb0ES3_jPlPS6_PKS6_NS0_5tupleIJS9_S6_EEENSD_IJSA_SA_EEENS0_18inequality_wrapperIZN2at6native12_GLOBAL__N_124unique_dim_cuda_templateIdEESt5tupleIJNSH_6TensorESM_SM_EERKSM_lbbbEUlllE0_EEPmJS6_EEE10hipError_tPvRmT3_T4_T5_T6_T7_T9_mT8_P12ihipStream_tbDpT10_ENKUlT_T0_E_clISt17integral_constantIbLb1EES1C_EEDaS17_S18_EUlS17_E_NS1_11comp_targetILNS1_3genE5ELNS1_11target_archE942ELNS1_3gpuE9ELNS1_3repE0EEENS1_30default_config_static_selectorELNS0_4arch9wavefront6targetE1EEEvT1_,"axG",@progbits,_ZN7rocprim17ROCPRIM_400000_NS6detail17trampoline_kernelINS0_14default_configENS1_25partition_config_selectorILNS1_17partition_subalgoE8ElNS0_10empty_typeEbEEZZNS1_14partition_implILS5_8ELb0ES3_jPlPS6_PKS6_NS0_5tupleIJS9_S6_EEENSD_IJSA_SA_EEENS0_18inequality_wrapperIZN2at6native12_GLOBAL__N_124unique_dim_cuda_templateIdEESt5tupleIJNSH_6TensorESM_SM_EERKSM_lbbbEUlllE0_EEPmJS6_EEE10hipError_tPvRmT3_T4_T5_T6_T7_T9_mT8_P12ihipStream_tbDpT10_ENKUlT_T0_E_clISt17integral_constantIbLb1EES1C_EEDaS17_S18_EUlS17_E_NS1_11comp_targetILNS1_3genE5ELNS1_11target_archE942ELNS1_3gpuE9ELNS1_3repE0EEENS1_30default_config_static_selectorELNS0_4arch9wavefront6targetE1EEEvT1_,comdat
	.globl	_ZN7rocprim17ROCPRIM_400000_NS6detail17trampoline_kernelINS0_14default_configENS1_25partition_config_selectorILNS1_17partition_subalgoE8ElNS0_10empty_typeEbEEZZNS1_14partition_implILS5_8ELb0ES3_jPlPS6_PKS6_NS0_5tupleIJS9_S6_EEENSD_IJSA_SA_EEENS0_18inequality_wrapperIZN2at6native12_GLOBAL__N_124unique_dim_cuda_templateIdEESt5tupleIJNSH_6TensorESM_SM_EERKSM_lbbbEUlllE0_EEPmJS6_EEE10hipError_tPvRmT3_T4_T5_T6_T7_T9_mT8_P12ihipStream_tbDpT10_ENKUlT_T0_E_clISt17integral_constantIbLb1EES1C_EEDaS17_S18_EUlS17_E_NS1_11comp_targetILNS1_3genE5ELNS1_11target_archE942ELNS1_3gpuE9ELNS1_3repE0EEENS1_30default_config_static_selectorELNS0_4arch9wavefront6targetE1EEEvT1_ ; -- Begin function _ZN7rocprim17ROCPRIM_400000_NS6detail17trampoline_kernelINS0_14default_configENS1_25partition_config_selectorILNS1_17partition_subalgoE8ElNS0_10empty_typeEbEEZZNS1_14partition_implILS5_8ELb0ES3_jPlPS6_PKS6_NS0_5tupleIJS9_S6_EEENSD_IJSA_SA_EEENS0_18inequality_wrapperIZN2at6native12_GLOBAL__N_124unique_dim_cuda_templateIdEESt5tupleIJNSH_6TensorESM_SM_EERKSM_lbbbEUlllE0_EEPmJS6_EEE10hipError_tPvRmT3_T4_T5_T6_T7_T9_mT8_P12ihipStream_tbDpT10_ENKUlT_T0_E_clISt17integral_constantIbLb1EES1C_EEDaS17_S18_EUlS17_E_NS1_11comp_targetILNS1_3genE5ELNS1_11target_archE942ELNS1_3gpuE9ELNS1_3repE0EEENS1_30default_config_static_selectorELNS0_4arch9wavefront6targetE1EEEvT1_
	.p2align	8
	.type	_ZN7rocprim17ROCPRIM_400000_NS6detail17trampoline_kernelINS0_14default_configENS1_25partition_config_selectorILNS1_17partition_subalgoE8ElNS0_10empty_typeEbEEZZNS1_14partition_implILS5_8ELb0ES3_jPlPS6_PKS6_NS0_5tupleIJS9_S6_EEENSD_IJSA_SA_EEENS0_18inequality_wrapperIZN2at6native12_GLOBAL__N_124unique_dim_cuda_templateIdEESt5tupleIJNSH_6TensorESM_SM_EERKSM_lbbbEUlllE0_EEPmJS6_EEE10hipError_tPvRmT3_T4_T5_T6_T7_T9_mT8_P12ihipStream_tbDpT10_ENKUlT_T0_E_clISt17integral_constantIbLb1EES1C_EEDaS17_S18_EUlS17_E_NS1_11comp_targetILNS1_3genE5ELNS1_11target_archE942ELNS1_3gpuE9ELNS1_3repE0EEENS1_30default_config_static_selectorELNS0_4arch9wavefront6targetE1EEEvT1_,@function
_ZN7rocprim17ROCPRIM_400000_NS6detail17trampoline_kernelINS0_14default_configENS1_25partition_config_selectorILNS1_17partition_subalgoE8ElNS0_10empty_typeEbEEZZNS1_14partition_implILS5_8ELb0ES3_jPlPS6_PKS6_NS0_5tupleIJS9_S6_EEENSD_IJSA_SA_EEENS0_18inequality_wrapperIZN2at6native12_GLOBAL__N_124unique_dim_cuda_templateIdEESt5tupleIJNSH_6TensorESM_SM_EERKSM_lbbbEUlllE0_EEPmJS6_EEE10hipError_tPvRmT3_T4_T5_T6_T7_T9_mT8_P12ihipStream_tbDpT10_ENKUlT_T0_E_clISt17integral_constantIbLb1EES1C_EEDaS17_S18_EUlS17_E_NS1_11comp_targetILNS1_3genE5ELNS1_11target_archE942ELNS1_3gpuE9ELNS1_3repE0EEENS1_30default_config_static_selectorELNS0_4arch9wavefront6targetE1EEEvT1_: ; @_ZN7rocprim17ROCPRIM_400000_NS6detail17trampoline_kernelINS0_14default_configENS1_25partition_config_selectorILNS1_17partition_subalgoE8ElNS0_10empty_typeEbEEZZNS1_14partition_implILS5_8ELb0ES3_jPlPS6_PKS6_NS0_5tupleIJS9_S6_EEENSD_IJSA_SA_EEENS0_18inequality_wrapperIZN2at6native12_GLOBAL__N_124unique_dim_cuda_templateIdEESt5tupleIJNSH_6TensorESM_SM_EERKSM_lbbbEUlllE0_EEPmJS6_EEE10hipError_tPvRmT3_T4_T5_T6_T7_T9_mT8_P12ihipStream_tbDpT10_ENKUlT_T0_E_clISt17integral_constantIbLb1EES1C_EEDaS17_S18_EUlS17_E_NS1_11comp_targetILNS1_3genE5ELNS1_11target_archE942ELNS1_3gpuE9ELNS1_3repE0EEENS1_30default_config_static_selectorELNS0_4arch9wavefront6targetE1EEEvT1_
; %bb.0:
	.section	.rodata,"a",@progbits
	.p2align	6, 0x0
	.amdhsa_kernel _ZN7rocprim17ROCPRIM_400000_NS6detail17trampoline_kernelINS0_14default_configENS1_25partition_config_selectorILNS1_17partition_subalgoE8ElNS0_10empty_typeEbEEZZNS1_14partition_implILS5_8ELb0ES3_jPlPS6_PKS6_NS0_5tupleIJS9_S6_EEENSD_IJSA_SA_EEENS0_18inequality_wrapperIZN2at6native12_GLOBAL__N_124unique_dim_cuda_templateIdEESt5tupleIJNSH_6TensorESM_SM_EERKSM_lbbbEUlllE0_EEPmJS6_EEE10hipError_tPvRmT3_T4_T5_T6_T7_T9_mT8_P12ihipStream_tbDpT10_ENKUlT_T0_E_clISt17integral_constantIbLb1EES1C_EEDaS17_S18_EUlS17_E_NS1_11comp_targetILNS1_3genE5ELNS1_11target_archE942ELNS1_3gpuE9ELNS1_3repE0EEENS1_30default_config_static_selectorELNS0_4arch9wavefront6targetE1EEEvT1_
		.amdhsa_group_segment_fixed_size 0
		.amdhsa_private_segment_fixed_size 0
		.amdhsa_kernarg_size 136
		.amdhsa_user_sgpr_count 6
		.amdhsa_user_sgpr_private_segment_buffer 1
		.amdhsa_user_sgpr_dispatch_ptr 0
		.amdhsa_user_sgpr_queue_ptr 0
		.amdhsa_user_sgpr_kernarg_segment_ptr 1
		.amdhsa_user_sgpr_dispatch_id 0
		.amdhsa_user_sgpr_flat_scratch_init 0
		.amdhsa_user_sgpr_kernarg_preload_length 0
		.amdhsa_user_sgpr_kernarg_preload_offset 0
		.amdhsa_user_sgpr_private_segment_size 0
		.amdhsa_uses_dynamic_stack 0
		.amdhsa_system_sgpr_private_segment_wavefront_offset 0
		.amdhsa_system_sgpr_workgroup_id_x 1
		.amdhsa_system_sgpr_workgroup_id_y 0
		.amdhsa_system_sgpr_workgroup_id_z 0
		.amdhsa_system_sgpr_workgroup_info 0
		.amdhsa_system_vgpr_workitem_id 0
		.amdhsa_next_free_vgpr 1
		.amdhsa_next_free_sgpr 0
		.amdhsa_accum_offset 4
		.amdhsa_reserve_vcc 0
		.amdhsa_reserve_flat_scratch 0
		.amdhsa_float_round_mode_32 0
		.amdhsa_float_round_mode_16_64 0
		.amdhsa_float_denorm_mode_32 3
		.amdhsa_float_denorm_mode_16_64 3
		.amdhsa_dx10_clamp 1
		.amdhsa_ieee_mode 1
		.amdhsa_fp16_overflow 0
		.amdhsa_tg_split 0
		.amdhsa_exception_fp_ieee_invalid_op 0
		.amdhsa_exception_fp_denorm_src 0
		.amdhsa_exception_fp_ieee_div_zero 0
		.amdhsa_exception_fp_ieee_overflow 0
		.amdhsa_exception_fp_ieee_underflow 0
		.amdhsa_exception_fp_ieee_inexact 0
		.amdhsa_exception_int_div_zero 0
	.end_amdhsa_kernel
	.section	.text._ZN7rocprim17ROCPRIM_400000_NS6detail17trampoline_kernelINS0_14default_configENS1_25partition_config_selectorILNS1_17partition_subalgoE8ElNS0_10empty_typeEbEEZZNS1_14partition_implILS5_8ELb0ES3_jPlPS6_PKS6_NS0_5tupleIJS9_S6_EEENSD_IJSA_SA_EEENS0_18inequality_wrapperIZN2at6native12_GLOBAL__N_124unique_dim_cuda_templateIdEESt5tupleIJNSH_6TensorESM_SM_EERKSM_lbbbEUlllE0_EEPmJS6_EEE10hipError_tPvRmT3_T4_T5_T6_T7_T9_mT8_P12ihipStream_tbDpT10_ENKUlT_T0_E_clISt17integral_constantIbLb1EES1C_EEDaS17_S18_EUlS17_E_NS1_11comp_targetILNS1_3genE5ELNS1_11target_archE942ELNS1_3gpuE9ELNS1_3repE0EEENS1_30default_config_static_selectorELNS0_4arch9wavefront6targetE1EEEvT1_,"axG",@progbits,_ZN7rocprim17ROCPRIM_400000_NS6detail17trampoline_kernelINS0_14default_configENS1_25partition_config_selectorILNS1_17partition_subalgoE8ElNS0_10empty_typeEbEEZZNS1_14partition_implILS5_8ELb0ES3_jPlPS6_PKS6_NS0_5tupleIJS9_S6_EEENSD_IJSA_SA_EEENS0_18inequality_wrapperIZN2at6native12_GLOBAL__N_124unique_dim_cuda_templateIdEESt5tupleIJNSH_6TensorESM_SM_EERKSM_lbbbEUlllE0_EEPmJS6_EEE10hipError_tPvRmT3_T4_T5_T6_T7_T9_mT8_P12ihipStream_tbDpT10_ENKUlT_T0_E_clISt17integral_constantIbLb1EES1C_EEDaS17_S18_EUlS17_E_NS1_11comp_targetILNS1_3genE5ELNS1_11target_archE942ELNS1_3gpuE9ELNS1_3repE0EEENS1_30default_config_static_selectorELNS0_4arch9wavefront6targetE1EEEvT1_,comdat
.Lfunc_end816:
	.size	_ZN7rocprim17ROCPRIM_400000_NS6detail17trampoline_kernelINS0_14default_configENS1_25partition_config_selectorILNS1_17partition_subalgoE8ElNS0_10empty_typeEbEEZZNS1_14partition_implILS5_8ELb0ES3_jPlPS6_PKS6_NS0_5tupleIJS9_S6_EEENSD_IJSA_SA_EEENS0_18inequality_wrapperIZN2at6native12_GLOBAL__N_124unique_dim_cuda_templateIdEESt5tupleIJNSH_6TensorESM_SM_EERKSM_lbbbEUlllE0_EEPmJS6_EEE10hipError_tPvRmT3_T4_T5_T6_T7_T9_mT8_P12ihipStream_tbDpT10_ENKUlT_T0_E_clISt17integral_constantIbLb1EES1C_EEDaS17_S18_EUlS17_E_NS1_11comp_targetILNS1_3genE5ELNS1_11target_archE942ELNS1_3gpuE9ELNS1_3repE0EEENS1_30default_config_static_selectorELNS0_4arch9wavefront6targetE1EEEvT1_, .Lfunc_end816-_ZN7rocprim17ROCPRIM_400000_NS6detail17trampoline_kernelINS0_14default_configENS1_25partition_config_selectorILNS1_17partition_subalgoE8ElNS0_10empty_typeEbEEZZNS1_14partition_implILS5_8ELb0ES3_jPlPS6_PKS6_NS0_5tupleIJS9_S6_EEENSD_IJSA_SA_EEENS0_18inequality_wrapperIZN2at6native12_GLOBAL__N_124unique_dim_cuda_templateIdEESt5tupleIJNSH_6TensorESM_SM_EERKSM_lbbbEUlllE0_EEPmJS6_EEE10hipError_tPvRmT3_T4_T5_T6_T7_T9_mT8_P12ihipStream_tbDpT10_ENKUlT_T0_E_clISt17integral_constantIbLb1EES1C_EEDaS17_S18_EUlS17_E_NS1_11comp_targetILNS1_3genE5ELNS1_11target_archE942ELNS1_3gpuE9ELNS1_3repE0EEENS1_30default_config_static_selectorELNS0_4arch9wavefront6targetE1EEEvT1_
                                        ; -- End function
	.section	.AMDGPU.csdata,"",@progbits
; Kernel info:
; codeLenInByte = 0
; NumSgprs: 4
; NumVgprs: 0
; NumAgprs: 0
; TotalNumVgprs: 0
; ScratchSize: 0
; MemoryBound: 0
; FloatMode: 240
; IeeeMode: 1
; LDSByteSize: 0 bytes/workgroup (compile time only)
; SGPRBlocks: 0
; VGPRBlocks: 0
; NumSGPRsForWavesPerEU: 4
; NumVGPRsForWavesPerEU: 1
; AccumOffset: 4
; Occupancy: 8
; WaveLimiterHint : 0
; COMPUTE_PGM_RSRC2:SCRATCH_EN: 0
; COMPUTE_PGM_RSRC2:USER_SGPR: 6
; COMPUTE_PGM_RSRC2:TRAP_HANDLER: 0
; COMPUTE_PGM_RSRC2:TGID_X_EN: 1
; COMPUTE_PGM_RSRC2:TGID_Y_EN: 0
; COMPUTE_PGM_RSRC2:TGID_Z_EN: 0
; COMPUTE_PGM_RSRC2:TIDIG_COMP_CNT: 0
; COMPUTE_PGM_RSRC3_GFX90A:ACCUM_OFFSET: 0
; COMPUTE_PGM_RSRC3_GFX90A:TG_SPLIT: 0
	.section	.text._ZN7rocprim17ROCPRIM_400000_NS6detail17trampoline_kernelINS0_14default_configENS1_25partition_config_selectorILNS1_17partition_subalgoE8ElNS0_10empty_typeEbEEZZNS1_14partition_implILS5_8ELb0ES3_jPlPS6_PKS6_NS0_5tupleIJS9_S6_EEENSD_IJSA_SA_EEENS0_18inequality_wrapperIZN2at6native12_GLOBAL__N_124unique_dim_cuda_templateIdEESt5tupleIJNSH_6TensorESM_SM_EERKSM_lbbbEUlllE0_EEPmJS6_EEE10hipError_tPvRmT3_T4_T5_T6_T7_T9_mT8_P12ihipStream_tbDpT10_ENKUlT_T0_E_clISt17integral_constantIbLb1EES1C_EEDaS17_S18_EUlS17_E_NS1_11comp_targetILNS1_3genE4ELNS1_11target_archE910ELNS1_3gpuE8ELNS1_3repE0EEENS1_30default_config_static_selectorELNS0_4arch9wavefront6targetE1EEEvT1_,"axG",@progbits,_ZN7rocprim17ROCPRIM_400000_NS6detail17trampoline_kernelINS0_14default_configENS1_25partition_config_selectorILNS1_17partition_subalgoE8ElNS0_10empty_typeEbEEZZNS1_14partition_implILS5_8ELb0ES3_jPlPS6_PKS6_NS0_5tupleIJS9_S6_EEENSD_IJSA_SA_EEENS0_18inequality_wrapperIZN2at6native12_GLOBAL__N_124unique_dim_cuda_templateIdEESt5tupleIJNSH_6TensorESM_SM_EERKSM_lbbbEUlllE0_EEPmJS6_EEE10hipError_tPvRmT3_T4_T5_T6_T7_T9_mT8_P12ihipStream_tbDpT10_ENKUlT_T0_E_clISt17integral_constantIbLb1EES1C_EEDaS17_S18_EUlS17_E_NS1_11comp_targetILNS1_3genE4ELNS1_11target_archE910ELNS1_3gpuE8ELNS1_3repE0EEENS1_30default_config_static_selectorELNS0_4arch9wavefront6targetE1EEEvT1_,comdat
	.globl	_ZN7rocprim17ROCPRIM_400000_NS6detail17trampoline_kernelINS0_14default_configENS1_25partition_config_selectorILNS1_17partition_subalgoE8ElNS0_10empty_typeEbEEZZNS1_14partition_implILS5_8ELb0ES3_jPlPS6_PKS6_NS0_5tupleIJS9_S6_EEENSD_IJSA_SA_EEENS0_18inequality_wrapperIZN2at6native12_GLOBAL__N_124unique_dim_cuda_templateIdEESt5tupleIJNSH_6TensorESM_SM_EERKSM_lbbbEUlllE0_EEPmJS6_EEE10hipError_tPvRmT3_T4_T5_T6_T7_T9_mT8_P12ihipStream_tbDpT10_ENKUlT_T0_E_clISt17integral_constantIbLb1EES1C_EEDaS17_S18_EUlS17_E_NS1_11comp_targetILNS1_3genE4ELNS1_11target_archE910ELNS1_3gpuE8ELNS1_3repE0EEENS1_30default_config_static_selectorELNS0_4arch9wavefront6targetE1EEEvT1_ ; -- Begin function _ZN7rocprim17ROCPRIM_400000_NS6detail17trampoline_kernelINS0_14default_configENS1_25partition_config_selectorILNS1_17partition_subalgoE8ElNS0_10empty_typeEbEEZZNS1_14partition_implILS5_8ELb0ES3_jPlPS6_PKS6_NS0_5tupleIJS9_S6_EEENSD_IJSA_SA_EEENS0_18inequality_wrapperIZN2at6native12_GLOBAL__N_124unique_dim_cuda_templateIdEESt5tupleIJNSH_6TensorESM_SM_EERKSM_lbbbEUlllE0_EEPmJS6_EEE10hipError_tPvRmT3_T4_T5_T6_T7_T9_mT8_P12ihipStream_tbDpT10_ENKUlT_T0_E_clISt17integral_constantIbLb1EES1C_EEDaS17_S18_EUlS17_E_NS1_11comp_targetILNS1_3genE4ELNS1_11target_archE910ELNS1_3gpuE8ELNS1_3repE0EEENS1_30default_config_static_selectorELNS0_4arch9wavefront6targetE1EEEvT1_
	.p2align	8
	.type	_ZN7rocprim17ROCPRIM_400000_NS6detail17trampoline_kernelINS0_14default_configENS1_25partition_config_selectorILNS1_17partition_subalgoE8ElNS0_10empty_typeEbEEZZNS1_14partition_implILS5_8ELb0ES3_jPlPS6_PKS6_NS0_5tupleIJS9_S6_EEENSD_IJSA_SA_EEENS0_18inequality_wrapperIZN2at6native12_GLOBAL__N_124unique_dim_cuda_templateIdEESt5tupleIJNSH_6TensorESM_SM_EERKSM_lbbbEUlllE0_EEPmJS6_EEE10hipError_tPvRmT3_T4_T5_T6_T7_T9_mT8_P12ihipStream_tbDpT10_ENKUlT_T0_E_clISt17integral_constantIbLb1EES1C_EEDaS17_S18_EUlS17_E_NS1_11comp_targetILNS1_3genE4ELNS1_11target_archE910ELNS1_3gpuE8ELNS1_3repE0EEENS1_30default_config_static_selectorELNS0_4arch9wavefront6targetE1EEEvT1_,@function
_ZN7rocprim17ROCPRIM_400000_NS6detail17trampoline_kernelINS0_14default_configENS1_25partition_config_selectorILNS1_17partition_subalgoE8ElNS0_10empty_typeEbEEZZNS1_14partition_implILS5_8ELb0ES3_jPlPS6_PKS6_NS0_5tupleIJS9_S6_EEENSD_IJSA_SA_EEENS0_18inequality_wrapperIZN2at6native12_GLOBAL__N_124unique_dim_cuda_templateIdEESt5tupleIJNSH_6TensorESM_SM_EERKSM_lbbbEUlllE0_EEPmJS6_EEE10hipError_tPvRmT3_T4_T5_T6_T7_T9_mT8_P12ihipStream_tbDpT10_ENKUlT_T0_E_clISt17integral_constantIbLb1EES1C_EEDaS17_S18_EUlS17_E_NS1_11comp_targetILNS1_3genE4ELNS1_11target_archE910ELNS1_3gpuE8ELNS1_3repE0EEENS1_30default_config_static_selectorELNS0_4arch9wavefront6targetE1EEEvT1_: ; @_ZN7rocprim17ROCPRIM_400000_NS6detail17trampoline_kernelINS0_14default_configENS1_25partition_config_selectorILNS1_17partition_subalgoE8ElNS0_10empty_typeEbEEZZNS1_14partition_implILS5_8ELb0ES3_jPlPS6_PKS6_NS0_5tupleIJS9_S6_EEENSD_IJSA_SA_EEENS0_18inequality_wrapperIZN2at6native12_GLOBAL__N_124unique_dim_cuda_templateIdEESt5tupleIJNSH_6TensorESM_SM_EERKSM_lbbbEUlllE0_EEPmJS6_EEE10hipError_tPvRmT3_T4_T5_T6_T7_T9_mT8_P12ihipStream_tbDpT10_ENKUlT_T0_E_clISt17integral_constantIbLb1EES1C_EEDaS17_S18_EUlS17_E_NS1_11comp_targetILNS1_3genE4ELNS1_11target_archE910ELNS1_3gpuE8ELNS1_3repE0EEENS1_30default_config_static_selectorELNS0_4arch9wavefront6targetE1EEEvT1_
; %bb.0:
	s_load_dwordx2 s[28:29], s[4:5], 0x28
	s_load_dwordx8 s[20:27], s[4:5], 0x40
	s_load_dwordx4 s[16:19], s[4:5], 0x60
	v_cmp_ne_u32_e64 s[2:3], 0, v0
	v_cmp_eq_u32_e64 s[0:1], 0, v0
	s_and_saveexec_b64 s[6:7], s[0:1]
	s_cbranch_execz .LBB817_4
; %bb.1:
	s_mov_b64 s[10:11], exec
	v_mbcnt_lo_u32_b32 v1, s10, 0
	v_mbcnt_hi_u32_b32 v1, s11, v1
	v_cmp_eq_u32_e32 vcc, 0, v1
                                        ; implicit-def: $vgpr2
	s_and_saveexec_b64 s[8:9], vcc
	s_cbranch_execz .LBB817_3
; %bb.2:
	s_load_dwordx2 s[12:13], s[4:5], 0x78
	s_bcnt1_i32_b64 s10, s[10:11]
	v_mov_b32_e32 v2, 0
	v_mov_b32_e32 v3, s10
	s_waitcnt lgkmcnt(0)
	global_atomic_add v2, v2, v3, s[12:13] glc
.LBB817_3:
	s_or_b64 exec, exec, s[8:9]
	s_waitcnt vmcnt(0)
	v_readfirstlane_b32 s8, v2
	v_add_u32_e32 v1, s8, v1
	v_mov_b32_e32 v2, 0
	ds_write_b32 v2, v1
.LBB817_4:
	s_or_b64 exec, exec, s[6:7]
	v_mov_b32_e32 v3, 0
	s_load_dwordx4 s[8:11], s[4:5], 0x8
	s_load_dword s12, s[4:5], 0x70
	s_waitcnt lgkmcnt(0)
	s_barrier
	ds_read_b32 v1, v3
	s_waitcnt lgkmcnt(0)
	s_barrier
	global_load_dwordx2 v[4:5], v3, s[22:23]
	s_lshl_b64 s[4:5], s[10:11], 3
	s_mul_i32 s14, s12, 0x500
	s_add_u32 s8, s8, s4
	s_addc_u32 s4, s9, s5
	s_add_i32 s5, s14, s10
	s_add_i32 s12, s12, -1
	s_sub_i32 s48, s24, s5
	v_mov_b32_e32 v8, s4
	s_add_u32 s4, s10, s14
	s_addc_u32 s5, s11, 0
	v_readfirstlane_b32 s33, v1
	v_mov_b32_e32 v6, s24
	v_mov_b32_e32 v7, s25
	s_movk_i32 s13, 0x500
	s_cmp_eq_u32 s33, s12
	v_mul_lo_u32 v2, v1, s13
	v_cmp_ge_u64_e32 vcc, s[4:5], v[6:7]
	s_cselect_b64 s[24:25], -1, 0
	v_lshlrev_b64 v[2:3], 3, v[2:3]
	s_and_b64 s[12:13], vcc, s[24:25]
	v_add_co_u32_e64 v18, s[4:5], s8, v2
	s_xor_b64 s[30:31], s[12:13], -1
	s_mov_b64 s[6:7], -1
	v_addc_co_u32_e64 v19, s[4:5], v8, v3, s[4:5]
	s_and_b64 vcc, exec, s[30:31]
	s_waitcnt vmcnt(0)
	v_readfirstlane_b32 s22, v4
	v_readfirstlane_b32 s23, v5
	s_cbranch_vccz .LBB817_6
; %bb.5:
	v_lshlrev_b32_e32 v1, 3, v0
	v_add_co_u32_e32 v12, vcc, v18, v1
	v_addc_co_u32_e32 v13, vcc, 0, v19, vcc
	v_add_co_u32_e32 v2, vcc, 0x1000, v12
	v_readfirstlane_b32 s4, v18
	v_readfirstlane_b32 s5, v19
	v_addc_co_u32_e32 v3, vcc, 0, v13, vcc
	s_nop 3
	global_load_dwordx2 v[4:5], v1, s[4:5]
	global_load_dwordx2 v[6:7], v1, s[4:5] offset:2048
	global_load_dwordx2 v[8:9], v[2:3], off
	global_load_dwordx2 v[10:11], v[2:3], off offset:2048
	v_add_co_u32_e32 v2, vcc, 0x2000, v12
	v_addc_co_u32_e32 v3, vcc, 0, v13, vcc
	global_load_dwordx2 v[2:3], v[2:3], off
	s_mov_b64 s[6:7], 0
	s_waitcnt vmcnt(3)
	ds_write2st64_b64 v1, v[4:5], v[6:7] offset1:4
	s_waitcnt vmcnt(1)
	ds_write2st64_b64 v1, v[8:9], v[10:11] offset0:8 offset1:12
	s_waitcnt vmcnt(0)
	ds_write_b64 v1, v[2:3] offset:8192
	s_waitcnt lgkmcnt(0)
	s_barrier
.LBB817_6:
	s_andn2_b64 vcc, exec, s[6:7]
	s_addk_i32 s48, 0x500
	s_cbranch_vccnz .LBB817_18
; %bb.7:
	v_cmp_gt_u32_e32 vcc, s48, v0
                                        ; implicit-def: $vgpr2_vgpr3_vgpr4_vgpr5_vgpr6_vgpr7_vgpr8_vgpr9_vgpr10_vgpr11_vgpr12_vgpr13_vgpr14_vgpr15_vgpr16_vgpr17
	s_and_saveexec_b64 s[4:5], vcc
	s_cbranch_execz .LBB817_9
; %bb.8:
	v_lshlrev_b32_e32 v1, 3, v0
	v_readfirstlane_b32 s6, v18
	v_readfirstlane_b32 s7, v19
	s_nop 4
	global_load_dwordx2 v[2:3], v1, s[6:7]
.LBB817_9:
	s_or_b64 exec, exec, s[4:5]
	v_or_b32_e32 v1, 0x100, v0
	v_cmp_gt_u32_e32 vcc, s48, v1
	s_and_saveexec_b64 s[4:5], vcc
	s_cbranch_execz .LBB817_11
; %bb.10:
	v_lshlrev_b32_e32 v1, 3, v0
	v_readfirstlane_b32 s6, v18
	v_readfirstlane_b32 s7, v19
	s_nop 4
	global_load_dwordx2 v[4:5], v1, s[6:7] offset:2048
.LBB817_11:
	s_or_b64 exec, exec, s[4:5]
	v_or_b32_e32 v1, 0x200, v0
	v_cmp_gt_u32_e32 vcc, s48, v1
	s_and_saveexec_b64 s[4:5], vcc
	s_cbranch_execz .LBB817_13
; %bb.12:
	v_lshlrev_b32_e32 v1, 3, v1
	v_readfirstlane_b32 s6, v18
	v_readfirstlane_b32 s7, v19
	s_nop 4
	global_load_dwordx2 v[6:7], v1, s[6:7]
.LBB817_13:
	s_or_b64 exec, exec, s[4:5]
	v_or_b32_e32 v1, 0x300, v0
	v_cmp_gt_u32_e32 vcc, s48, v1
	s_and_saveexec_b64 s[4:5], vcc
	s_cbranch_execz .LBB817_15
; %bb.14:
	v_lshlrev_b32_e32 v1, 3, v1
	v_readfirstlane_b32 s6, v18
	v_readfirstlane_b32 s7, v19
	s_nop 4
	global_load_dwordx2 v[8:9], v1, s[6:7]
.LBB817_15:
	;; [unrolled: 12-line block ×3, first 2 shown]
	s_or_b64 exec, exec, s[4:5]
	v_lshlrev_b32_e32 v1, 3, v0
	s_waitcnt vmcnt(0)
	ds_write2st64_b64 v1, v[2:3], v[4:5] offset1:4
	ds_write2st64_b64 v1, v[6:7], v[8:9] offset0:8 offset1:12
	ds_write_b64 v1, v[10:11] offset:8192
	s_waitcnt lgkmcnt(0)
	s_barrier
.LBB817_18:
	v_mul_u32_u24_e32 v1, 5, v0
	v_lshlrev_b32_e32 v26, 3, v1
	ds_read2_b64 v[6:9], v26 offset1:1
	ds_read2_b64 v[2:5], v26 offset0:2 offset1:3
	ds_read_b64 v[10:11], v26 offset:32
	s_cmp_lg_u32 s33, 0
	s_cselect_b64 s[34:35], -1, 0
	s_cmp_lg_u64 s[10:11], 0
	s_cselect_b64 s[4:5], -1, 0
	s_or_b64 s[4:5], s[4:5], s[34:35]
	v_mad_u32_u24 v24, v0, 5, 1
	v_mad_u32_u24 v22, v0, 5, 2
	;; [unrolled: 1-line block ×4, first 2 shown]
	s_mov_b64 s[14:15], 0
	s_and_b64 vcc, exec, s[4:5]
	v_cmp_gt_i64_e64 s[4:5], s[26:27], 0
	s_waitcnt lgkmcnt(0)
	s_barrier
	s_cbranch_vccz .LBB817_27
; %bb.19:
	global_load_dwordx2 v[14:15], v[18:19], off offset:-8
	v_cndmask_b32_e64 v12, 0, 1, s[4:5]
	v_lshlrev_b32_e32 v27, 3, v0
	s_mov_b64 s[10:11], 0
	s_and_b64 vcc, exec, s[30:31]
	v_cmp_ne_u32_e64 s[4:5], 1, v12
	ds_write_b64 v27, v[10:11]
	s_cbranch_vccz .LBB817_28
; %bb.20:
	v_mul_lo_u32 v16, v5, s26
	v_mul_lo_u32 v17, v4, s27
	v_mad_u64_u32 v[12:13], s[6:7], v4, s26, 0
	v_add3_u32 v13, v13, v17, v16
	s_and_b64 vcc, exec, s[4:5]
	v_lshlrev_b64 v[12:13], 3, v[12:13]
	s_cbranch_vccnz .LBB817_31
; %bb.21:
	v_mul_lo_u32 v18, v11, s26
	v_mul_lo_u32 v19, v10, s27
	v_mad_u64_u32 v[16:17], s[6:7], v10, s26, 0
	v_add3_u32 v17, v17, v19, v18
	v_mov_b32_e32 v19, s17
	v_add_co_u32_e32 v18, vcc, s16, v12
	v_addc_co_u32_e64 v19, s[6:7], v19, v13, vcc
	v_lshlrev_b64 v[16:17], 3, v[16:17]
	v_mov_b32_e32 v21, s17
	v_add_co_u32_e64 v20, s[6:7], s16, v16
	v_addc_co_u32_e64 v21, s[8:9], v21, v17, s[6:7]
	global_load_dwordx2 v[28:29], v[18:19], off
	global_load_dwordx2 v[30:31], v[20:21], off
	s_mov_b64 s[10:11], -1
	s_waitcnt vmcnt(0)
	v_cmp_eq_f64_e64 s[8:9], v[28:29], v[30:31]
	s_and_saveexec_b64 s[14:15], s[8:9]
	s_cbranch_execz .LBB817_30
; %bb.22:
	v_mov_b32_e32 v16, s17
	v_addc_co_u32_e64 v17, s[6:7], v17, v16, s[6:7]
	v_add_co_u32_e64 v16, s[6:7], 8, v20
	v_mov_b32_e32 v19, s17
	v_addc_co_u32_e64 v17, s[6:7], 0, v17, s[6:7]
	v_addc_co_u32_e32 v19, vcc, v13, v19, vcc
	v_add_co_u32_e32 v18, vcc, 8, v18
	s_add_u32 s6, s26, -1
	v_addc_co_u32_e32 v19, vcc, 0, v19, vcc
	s_addc_u32 s7, s27, -1
	s_mov_b64 s[8:9], 0
	s_mov_b64 s[36:37], 0
                                        ; implicit-def: $sgpr10_sgpr11
	s_branch .LBB817_25
.LBB817_23:                             ;   in Loop: Header=BB817_25 Depth=1
	global_load_dwordx2 v[20:21], v[18:19], off
	global_load_dwordx2 v[28:29], v[16:17], off
	v_add_co_u32_e32 v16, vcc, 8, v16
	v_addc_co_u32_e32 v17, vcc, 0, v17, vcc
	v_add_co_u32_e32 v18, vcc, 8, v18
	v_addc_co_u32_e32 v19, vcc, 0, v19, vcc
	s_add_u32 s36, s36, 1
	s_addc_u32 s37, s37, 0
	s_andn2_b64 s[10:11], s[10:11], exec
	s_waitcnt vmcnt(0)
	v_cmp_neq_f64_e32 vcc, v[20:21], v[28:29]
	s_and_b64 s[38:39], vcc, exec
	s_or_b64 s[10:11], s[10:11], s[38:39]
.LBB817_24:                             ;   in Loop: Header=BB817_25 Depth=1
	s_and_b64 s[38:39], exec, s[10:11]
	s_or_b64 s[8:9], s[38:39], s[8:9]
	v_pk_mov_b32 v[20:21], s[36:37], s[36:37] op_sel:[0,1]
	s_andn2_b64 exec, exec, s[8:9]
	s_cbranch_execz .LBB817_29
.LBB817_25:                             ; =>This Inner Loop Header: Depth=1
	s_or_b64 s[10:11], s[10:11], exec
	s_cmp_eq_u64 s[6:7], s[36:37]
	s_cbranch_scc0 .LBB817_23
; %bb.26:                               ;   in Loop: Header=BB817_25 Depth=1
                                        ; implicit-def: $vgpr16_vgpr17
                                        ; implicit-def: $vgpr18_vgpr19
	s_mov_b64 s[36:37], s[26:27]
	s_branch .LBB817_24
.LBB817_27:
                                        ; implicit-def: $sgpr36_sgpr37
                                        ; implicit-def: $vgpr13
                                        ; implicit-def: $vgpr16
	s_branch .LBB817_129
.LBB817_28:
                                        ; implicit-def: $sgpr36_sgpr37
                                        ; implicit-def: $vgpr13
                                        ; implicit-def: $vgpr16
	s_cbranch_execnz .LBB817_70
	s_branch .LBB817_128
.LBB817_29:
	s_or_b64 exec, exec, s[8:9]
	v_cmp_gt_i64_e32 vcc, s[26:27], v[20:21]
	s_orn2_b64 s[10:11], vcc, exec
.LBB817_30:
	s_or_b64 exec, exec, s[14:15]
.LBB817_31:
	v_mul_lo_u32 v18, v3, s26
	v_mul_lo_u32 v19, v2, s27
	v_mad_u64_u32 v[16:17], s[6:7], v2, s26, 0
	v_add3_u32 v17, v17, v19, v18
	s_mov_b64 s[14:15], 0
	s_and_b64 vcc, exec, s[4:5]
	v_lshlrev_b64 v[18:19], 3, v[16:17]
	s_mov_b64 s[36:37], 0
	s_cbranch_vccnz .LBB817_40
; %bb.32:
	v_mov_b32_e32 v17, s17
	v_add_co_u32_e32 v16, vcc, s16, v18
	v_addc_co_u32_e64 v17, s[6:7], v17, v19, vcc
	v_mov_b32_e32 v21, s17
	v_add_co_u32_e64 v20, s[6:7], s16, v12
	v_addc_co_u32_e64 v21, s[8:9], v21, v13, s[6:7]
	global_load_dwordx2 v[28:29], v[16:17], off
	global_load_dwordx2 v[30:31], v[20:21], off
	s_mov_b64 s[36:37], -1
	s_waitcnt vmcnt(0)
	v_cmp_eq_f64_e64 s[8:9], v[28:29], v[30:31]
	s_and_saveexec_b64 s[38:39], s[8:9]
	s_cbranch_execz .LBB817_39
; %bb.33:
	v_mov_b32_e32 v12, s17
	v_addc_co_u32_e64 v13, s[6:7], v13, v12, s[6:7]
	v_add_co_u32_e64 v12, s[6:7], 8, v20
	v_mov_b32_e32 v17, s17
	v_addc_co_u32_e64 v13, s[6:7], 0, v13, s[6:7]
	v_addc_co_u32_e32 v17, vcc, v19, v17, vcc
	v_add_co_u32_e32 v16, vcc, 8, v16
	s_add_u32 s6, s26, -1
	v_addc_co_u32_e32 v17, vcc, 0, v17, vcc
	s_addc_u32 s7, s27, -1
	s_mov_b64 s[8:9], 0
	s_mov_b64 s[40:41], 0
                                        ; implicit-def: $sgpr36_sgpr37
	s_branch .LBB817_36
.LBB817_34:                             ;   in Loop: Header=BB817_36 Depth=1
	global_load_dwordx2 v[20:21], v[16:17], off
	global_load_dwordx2 v[28:29], v[12:13], off
	v_add_co_u32_e32 v12, vcc, 8, v12
	v_addc_co_u32_e32 v13, vcc, 0, v13, vcc
	v_add_co_u32_e32 v16, vcc, 8, v16
	v_addc_co_u32_e32 v17, vcc, 0, v17, vcc
	s_add_u32 s40, s40, 1
	s_addc_u32 s41, s41, 0
	s_andn2_b64 s[36:37], s[36:37], exec
	s_waitcnt vmcnt(0)
	v_cmp_neq_f64_e32 vcc, v[20:21], v[28:29]
	s_and_b64 s[42:43], vcc, exec
	s_or_b64 s[36:37], s[36:37], s[42:43]
.LBB817_35:                             ;   in Loop: Header=BB817_36 Depth=1
	s_and_b64 s[42:43], exec, s[36:37]
	s_or_b64 s[8:9], s[42:43], s[8:9]
	v_pk_mov_b32 v[20:21], s[40:41], s[40:41] op_sel:[0,1]
	s_andn2_b64 exec, exec, s[8:9]
	s_cbranch_execz .LBB817_38
.LBB817_36:                             ; =>This Inner Loop Header: Depth=1
	s_or_b64 s[36:37], s[36:37], exec
	s_cmp_eq_u64 s[6:7], s[40:41]
	s_cbranch_scc0 .LBB817_34
; %bb.37:                               ;   in Loop: Header=BB817_36 Depth=1
                                        ; implicit-def: $vgpr12_vgpr13
                                        ; implicit-def: $vgpr16_vgpr17
	s_mov_b64 s[40:41], s[26:27]
	s_branch .LBB817_35
.LBB817_38:
	s_or_b64 exec, exec, s[8:9]
	v_cmp_gt_i64_e32 vcc, s[26:27], v[20:21]
	s_orn2_b64 s[36:37], vcc, exec
.LBB817_39:
	s_or_b64 exec, exec, s[38:39]
.LBB817_40:
	v_mul_lo_u32 v16, v9, s26
	v_mul_lo_u32 v17, v8, s27
	v_mad_u64_u32 v[12:13], s[6:7], v8, s26, 0
	v_add3_u32 v13, v13, v17, v16
	s_and_b64 vcc, exec, s[4:5]
	v_lshlrev_b64 v[16:17], 3, v[12:13]
	s_cbranch_vccnz .LBB817_49
; %bb.41:
	v_mov_b32_e32 v12, s17
	v_add_co_u32_e32 v20, vcc, s16, v16
	v_addc_co_u32_e64 v21, s[6:7], v12, v17, vcc
	v_mov_b32_e32 v13, s17
	v_add_co_u32_e64 v12, s[6:7], s16, v18
	v_addc_co_u32_e64 v13, s[8:9], v13, v19, s[6:7]
	global_load_dwordx2 v[28:29], v[20:21], off
	global_load_dwordx2 v[30:31], v[12:13], off
	s_mov_b64 s[14:15], -1
	s_waitcnt vmcnt(0)
	v_cmp_eq_f64_e64 s[8:9], v[28:29], v[30:31]
	s_and_saveexec_b64 s[38:39], s[8:9]
	s_cbranch_execz .LBB817_48
; %bb.42:
	v_mov_b32_e32 v13, s17
	v_addc_co_u32_e64 v13, s[6:7], v19, v13, s[6:7]
	v_add_co_u32_e64 v12, s[6:7], 8, v12
	v_mov_b32_e32 v18, s17
	v_addc_co_u32_e64 v13, s[6:7], 0, v13, s[6:7]
	v_addc_co_u32_e32 v19, vcc, v17, v18, vcc
	v_add_co_u32_e32 v18, vcc, 8, v20
	s_add_u32 s6, s26, -1
	v_addc_co_u32_e32 v19, vcc, 0, v19, vcc
	s_addc_u32 s7, s27, -1
	s_mov_b64 s[8:9], 0
	s_mov_b64 s[40:41], 0
                                        ; implicit-def: $sgpr14_sgpr15
	s_branch .LBB817_45
.LBB817_43:                             ;   in Loop: Header=BB817_45 Depth=1
	global_load_dwordx2 v[20:21], v[18:19], off
	global_load_dwordx2 v[28:29], v[12:13], off
	v_add_co_u32_e32 v12, vcc, 8, v12
	v_addc_co_u32_e32 v13, vcc, 0, v13, vcc
	v_add_co_u32_e32 v18, vcc, 8, v18
	v_addc_co_u32_e32 v19, vcc, 0, v19, vcc
	s_add_u32 s40, s40, 1
	s_addc_u32 s41, s41, 0
	s_andn2_b64 s[14:15], s[14:15], exec
	s_waitcnt vmcnt(0)
	v_cmp_neq_f64_e32 vcc, v[20:21], v[28:29]
	s_and_b64 s[42:43], vcc, exec
	s_or_b64 s[14:15], s[14:15], s[42:43]
.LBB817_44:                             ;   in Loop: Header=BB817_45 Depth=1
	s_and_b64 s[42:43], exec, s[14:15]
	s_or_b64 s[8:9], s[42:43], s[8:9]
	v_pk_mov_b32 v[20:21], s[40:41], s[40:41] op_sel:[0,1]
	s_andn2_b64 exec, exec, s[8:9]
	s_cbranch_execz .LBB817_47
.LBB817_45:                             ; =>This Inner Loop Header: Depth=1
	s_or_b64 s[14:15], s[14:15], exec
	s_cmp_eq_u64 s[6:7], s[40:41]
	s_cbranch_scc0 .LBB817_43
; %bb.46:                               ;   in Loop: Header=BB817_45 Depth=1
                                        ; implicit-def: $vgpr12_vgpr13
                                        ; implicit-def: $vgpr18_vgpr19
	s_mov_b64 s[40:41], s[26:27]
	s_branch .LBB817_44
.LBB817_47:
	s_or_b64 exec, exec, s[8:9]
	v_cmp_gt_i64_e32 vcc, s[26:27], v[20:21]
	s_orn2_b64 s[14:15], vcc, exec
.LBB817_48:
	s_or_b64 exec, exec, s[38:39]
.LBB817_49:
	v_mul_lo_u32 v18, v7, s26
	v_mul_lo_u32 v19, v6, s27
	v_mad_u64_u32 v[12:13], s[6:7], v6, s26, 0
	v_add3_u32 v13, v13, v19, v18
	s_mov_b64 s[40:41], 0
	s_and_b64 vcc, exec, s[4:5]
	v_lshlrev_b64 v[12:13], 3, v[12:13]
	s_cbranch_vccnz .LBB817_58
; %bb.50:
	v_mov_b32_e32 v19, s17
	v_add_co_u32_e32 v18, vcc, s16, v12
	v_addc_co_u32_e64 v19, s[6:7], v19, v13, vcc
	v_mov_b32_e32 v21, s17
	v_add_co_u32_e64 v20, s[6:7], s16, v16
	v_addc_co_u32_e64 v21, s[8:9], v21, v17, s[6:7]
	global_load_dwordx2 v[28:29], v[18:19], off
	global_load_dwordx2 v[30:31], v[20:21], off
	s_mov_b64 s[40:41], -1
	s_waitcnt vmcnt(0)
	v_cmp_eq_f64_e64 s[8:9], v[28:29], v[30:31]
	s_and_saveexec_b64 s[38:39], s[8:9]
	s_cbranch_execz .LBB817_57
; %bb.51:
	v_mov_b32_e32 v16, s17
	v_addc_co_u32_e64 v17, s[6:7], v17, v16, s[6:7]
	v_add_co_u32_e64 v16, s[6:7], 8, v20
	v_mov_b32_e32 v19, s17
	v_addc_co_u32_e64 v17, s[6:7], 0, v17, s[6:7]
	v_addc_co_u32_e32 v19, vcc, v13, v19, vcc
	v_add_co_u32_e32 v18, vcc, 8, v18
	s_add_u32 s6, s26, -1
	v_addc_co_u32_e32 v19, vcc, 0, v19, vcc
	s_addc_u32 s7, s27, -1
	s_mov_b64 s[8:9], 0
	s_mov_b64 s[42:43], 0
                                        ; implicit-def: $sgpr40_sgpr41
	s_branch .LBB817_54
.LBB817_52:                             ;   in Loop: Header=BB817_54 Depth=1
	global_load_dwordx2 v[20:21], v[18:19], off
	global_load_dwordx2 v[28:29], v[16:17], off
	v_add_co_u32_e32 v16, vcc, 8, v16
	v_addc_co_u32_e32 v17, vcc, 0, v17, vcc
	v_add_co_u32_e32 v18, vcc, 8, v18
	v_addc_co_u32_e32 v19, vcc, 0, v19, vcc
	s_add_u32 s42, s42, 1
	s_addc_u32 s43, s43, 0
	s_andn2_b64 s[40:41], s[40:41], exec
	s_waitcnt vmcnt(0)
	v_cmp_neq_f64_e32 vcc, v[20:21], v[28:29]
	s_and_b64 s[44:45], vcc, exec
	s_or_b64 s[40:41], s[40:41], s[44:45]
.LBB817_53:                             ;   in Loop: Header=BB817_54 Depth=1
	s_and_b64 s[44:45], exec, s[40:41]
	s_or_b64 s[8:9], s[44:45], s[8:9]
	v_pk_mov_b32 v[20:21], s[42:43], s[42:43] op_sel:[0,1]
	s_andn2_b64 exec, exec, s[8:9]
	s_cbranch_execz .LBB817_56
.LBB817_54:                             ; =>This Inner Loop Header: Depth=1
	s_or_b64 s[40:41], s[40:41], exec
	s_cmp_eq_u64 s[6:7], s[42:43]
	s_cbranch_scc0 .LBB817_52
; %bb.55:                               ;   in Loop: Header=BB817_54 Depth=1
                                        ; implicit-def: $vgpr16_vgpr17
                                        ; implicit-def: $vgpr18_vgpr19
	s_mov_b64 s[42:43], s[26:27]
	s_branch .LBB817_53
.LBB817_56:
	s_or_b64 exec, exec, s[8:9]
	v_cmp_gt_i64_e32 vcc, s[26:27], v[20:21]
	s_orn2_b64 s[40:41], vcc, exec
.LBB817_57:
	s_or_b64 exec, exec, s[38:39]
.LBB817_58:
	s_waitcnt vmcnt(0)
	v_pk_mov_b32 v[16:17], v[14:15], v[14:15] op_sel:[0,1]
	s_waitcnt lgkmcnt(0)
	s_barrier
	s_and_saveexec_b64 s[6:7], s[2:3]
	s_cbranch_execz .LBB817_60
; %bb.59:
	v_add_u32_e32 v16, -8, v27
	ds_read_b64 v[16:17], v16
.LBB817_60:
	s_or_b64 exec, exec, s[6:7]
	v_cndmask_b32_e64 v19, 0, 1, s[36:37]
	v_cndmask_b32_e64 v18, 0, 1, s[14:15]
	;; [unrolled: 1-line block ×3, first 2 shown]
	v_lshlrev_b16_e32 v19, 8, v19
	v_lshlrev_b16_e32 v28, 8, v20
	v_or_b32_sdwa v29, v18, v19 dst_sel:WORD_1 dst_unused:UNUSED_PAD src0_sel:DWORD src1_sel:DWORD
	s_mov_b64 s[14:15], 0
	s_and_b64 vcc, exec, s[4:5]
	s_mov_b64 s[36:37], 0
	s_cbranch_vccnz .LBB817_69
; %bb.61:
	s_waitcnt lgkmcnt(0)
	v_mul_lo_u32 v18, v17, s26
	v_mul_lo_u32 v19, v16, s27
	v_mad_u64_u32 v[16:17], s[6:7], v16, s26, 0
	v_add3_u32 v17, v17, v19, v18
	v_lshlrev_b64 v[16:17], 3, v[16:17]
	v_mov_b32_e32 v19, s17
	v_add_co_u32_e32 v18, vcc, s16, v16
	v_addc_co_u32_e64 v19, s[6:7], v19, v17, vcc
	v_mov_b32_e32 v16, s17
	v_add_co_u32_e64 v20, s[6:7], s16, v12
	v_addc_co_u32_e64 v21, s[8:9], v16, v13, s[6:7]
	global_load_dwordx2 v[30:31], v[18:19], off
	global_load_dwordx2 v[32:33], v[20:21], off
	s_mov_b64 s[36:37], -1
	s_waitcnt vmcnt(0)
	v_cmp_eq_f64_e64 s[8:9], v[30:31], v[32:33]
	s_and_saveexec_b64 s[38:39], s[8:9]
	s_cbranch_execz .LBB817_68
; %bb.62:
	v_mov_b32_e32 v12, s17
	v_addc_co_u32_e64 v13, s[6:7], v13, v12, s[6:7]
	v_add_co_u32_e64 v12, s[6:7], 8, v20
	v_mov_b32_e32 v16, s17
	v_addc_co_u32_e64 v13, s[6:7], 0, v13, s[6:7]
	v_addc_co_u32_e32 v17, vcc, v17, v16, vcc
	v_add_co_u32_e32 v16, vcc, 8, v18
	s_add_u32 s6, s26, -1
	v_addc_co_u32_e32 v17, vcc, 0, v17, vcc
	s_addc_u32 s7, s27, -1
	s_mov_b64 s[8:9], 0
	s_mov_b64 s[40:41], 0
                                        ; implicit-def: $sgpr36_sgpr37
	s_branch .LBB817_65
.LBB817_63:                             ;   in Loop: Header=BB817_65 Depth=1
	global_load_dwordx2 v[18:19], v[16:17], off
	global_load_dwordx2 v[20:21], v[12:13], off
	v_add_co_u32_e32 v12, vcc, 8, v12
	v_addc_co_u32_e32 v13, vcc, 0, v13, vcc
	v_add_co_u32_e32 v16, vcc, 8, v16
	v_addc_co_u32_e32 v17, vcc, 0, v17, vcc
	s_add_u32 s40, s40, 1
	s_addc_u32 s41, s41, 0
	s_andn2_b64 s[36:37], s[36:37], exec
	s_waitcnt vmcnt(0)
	v_cmp_neq_f64_e32 vcc, v[18:19], v[20:21]
	s_and_b64 s[42:43], vcc, exec
	s_or_b64 s[36:37], s[36:37], s[42:43]
.LBB817_64:                             ;   in Loop: Header=BB817_65 Depth=1
	s_and_b64 s[42:43], exec, s[36:37]
	s_or_b64 s[8:9], s[42:43], s[8:9]
	v_pk_mov_b32 v[18:19], s[40:41], s[40:41] op_sel:[0,1]
	s_andn2_b64 exec, exec, s[8:9]
	s_cbranch_execz .LBB817_67
.LBB817_65:                             ; =>This Inner Loop Header: Depth=1
	s_or_b64 s[36:37], s[36:37], exec
	s_cmp_eq_u64 s[6:7], s[40:41]
	s_cbranch_scc0 .LBB817_63
; %bb.66:                               ;   in Loop: Header=BB817_65 Depth=1
                                        ; implicit-def: $vgpr12_vgpr13
                                        ; implicit-def: $vgpr16_vgpr17
	s_mov_b64 s[40:41], s[26:27]
	s_branch .LBB817_64
.LBB817_67:
	s_or_b64 exec, exec, s[8:9]
	v_cmp_gt_i64_e32 vcc, s[26:27], v[18:19]
	s_orn2_b64 s[36:37], vcc, exec
.LBB817_68:
	s_or_b64 exec, exec, s[38:39]
.LBB817_69:
	v_cndmask_b32_e64 v13, 0, 1, s[10:11]
	s_waitcnt lgkmcnt(0)
	v_or_b32_e32 v16, v28, v29
	s_and_b64 vcc, exec, s[14:15]
	s_cbranch_vccz .LBB817_128
.LBB817_70:
	v_cmp_gt_u32_e32 vcc, s48, v23
	s_mov_b64 s[14:15], 0
	s_mov_b64 s[10:11], 0
	s_and_saveexec_b64 s[36:37], vcc
	s_cbranch_execz .LBB817_81
; %bb.71:
	s_and_b64 vcc, exec, s[4:5]
	s_mov_b64 s[38:39], 0
	s_cbranch_vccnz .LBB817_80
; %bb.72:
	v_mul_lo_u32 v16, v5, s26
	v_mul_lo_u32 v17, v4, s27
	v_mad_u64_u32 v[12:13], s[6:7], v4, s26, 0
	v_add3_u32 v13, v13, v17, v16
	v_mul_lo_u32 v16, v11, s26
	v_mul_lo_u32 v17, v10, s27
	v_mad_u64_u32 v[20:21], s[6:7], v10, s26, 0
	v_add3_u32 v21, v21, v17, v16
	v_lshlrev_b64 v[16:17], 3, v[12:13]
	v_mov_b32_e32 v12, s17
	v_add_co_u32_e32 v18, vcc, s16, v16
	v_addc_co_u32_e64 v19, s[6:7], v12, v17, vcc
	v_lshlrev_b64 v[12:13], 3, v[20:21]
	v_mov_b32_e32 v16, s17
	v_add_co_u32_e64 v20, s[6:7], s16, v12
	v_addc_co_u32_e64 v21, s[8:9], v16, v13, s[6:7]
	global_load_dwordx2 v[28:29], v[18:19], off
	global_load_dwordx2 v[30:31], v[20:21], off
	s_mov_b64 s[38:39], -1
	s_waitcnt vmcnt(0)
	v_cmp_eq_f64_e64 s[8:9], v[28:29], v[30:31]
	s_and_saveexec_b64 s[10:11], s[8:9]
	s_cbranch_execz .LBB817_79
; %bb.73:
	v_mov_b32_e32 v12, s17
	v_addc_co_u32_e64 v13, s[6:7], v13, v12, s[6:7]
	v_add_co_u32_e64 v12, s[6:7], 8, v20
	v_mov_b32_e32 v16, s17
	v_addc_co_u32_e64 v13, s[6:7], 0, v13, s[6:7]
	v_addc_co_u32_e32 v17, vcc, v17, v16, vcc
	v_add_co_u32_e32 v16, vcc, 8, v18
	s_add_u32 s6, s26, -1
	v_addc_co_u32_e32 v17, vcc, 0, v17, vcc
	s_addc_u32 s7, s27, -1
	s_mov_b64 s[8:9], 0
	s_mov_b64 s[40:41], 0
                                        ; implicit-def: $sgpr38_sgpr39
	s_branch .LBB817_76
.LBB817_74:                             ;   in Loop: Header=BB817_76 Depth=1
	global_load_dwordx2 v[18:19], v[16:17], off
	global_load_dwordx2 v[20:21], v[12:13], off
	v_add_co_u32_e32 v12, vcc, 8, v12
	v_addc_co_u32_e32 v13, vcc, 0, v13, vcc
	v_add_co_u32_e32 v16, vcc, 8, v16
	v_addc_co_u32_e32 v17, vcc, 0, v17, vcc
	s_add_u32 s40, s40, 1
	s_addc_u32 s41, s41, 0
	s_andn2_b64 s[38:39], s[38:39], exec
	s_waitcnt vmcnt(0)
	v_cmp_neq_f64_e32 vcc, v[18:19], v[20:21]
	s_and_b64 s[42:43], vcc, exec
	s_or_b64 s[38:39], s[38:39], s[42:43]
.LBB817_75:                             ;   in Loop: Header=BB817_76 Depth=1
	s_and_b64 s[42:43], exec, s[38:39]
	s_or_b64 s[8:9], s[42:43], s[8:9]
	v_pk_mov_b32 v[18:19], s[40:41], s[40:41] op_sel:[0,1]
	s_andn2_b64 exec, exec, s[8:9]
	s_cbranch_execz .LBB817_78
.LBB817_76:                             ; =>This Inner Loop Header: Depth=1
	s_or_b64 s[38:39], s[38:39], exec
	s_cmp_eq_u64 s[6:7], s[40:41]
	s_cbranch_scc0 .LBB817_74
; %bb.77:                               ;   in Loop: Header=BB817_76 Depth=1
                                        ; implicit-def: $vgpr12_vgpr13
                                        ; implicit-def: $vgpr16_vgpr17
	s_mov_b64 s[40:41], s[26:27]
	s_branch .LBB817_75
.LBB817_78:
	s_or_b64 exec, exec, s[8:9]
	v_cmp_gt_i64_e32 vcc, s[26:27], v[18:19]
	s_orn2_b64 s[38:39], vcc, exec
.LBB817_79:
	s_or_b64 exec, exec, s[10:11]
.LBB817_80:
	s_and_b64 s[10:11], s[38:39], exec
.LBB817_81:
	s_or_b64 exec, exec, s[36:37]
	v_cmp_gt_u32_e32 vcc, s48, v25
	s_and_saveexec_b64 s[36:37], vcc
	s_cbranch_execz .LBB817_92
; %bb.82:
	s_and_b64 vcc, exec, s[4:5]
	s_mov_b64 s[38:39], 0
	s_cbranch_vccnz .LBB817_91
; %bb.83:
	v_mul_lo_u32 v16, v3, s26
	v_mul_lo_u32 v17, v2, s27
	v_mad_u64_u32 v[12:13], s[6:7], v2, s26, 0
	v_add3_u32 v13, v13, v17, v16
	v_mul_lo_u32 v16, v5, s26
	v_mul_lo_u32 v17, v4, s27
	v_mad_u64_u32 v[20:21], s[6:7], v4, s26, 0
	v_add3_u32 v21, v21, v17, v16
	v_lshlrev_b64 v[16:17], 3, v[12:13]
	v_mov_b32_e32 v12, s17
	v_add_co_u32_e32 v18, vcc, s16, v16
	v_addc_co_u32_e64 v19, s[6:7], v12, v17, vcc
	v_lshlrev_b64 v[12:13], 3, v[20:21]
	v_mov_b32_e32 v16, s17
	v_add_co_u32_e64 v20, s[6:7], s16, v12
	v_addc_co_u32_e64 v21, s[8:9], v16, v13, s[6:7]
	global_load_dwordx2 v[28:29], v[18:19], off
	global_load_dwordx2 v[30:31], v[20:21], off
	s_mov_b64 s[38:39], -1
	s_waitcnt vmcnt(0)
	v_cmp_eq_f64_e64 s[8:9], v[28:29], v[30:31]
	s_and_saveexec_b64 s[14:15], s[8:9]
	s_cbranch_execz .LBB817_90
; %bb.84:
	v_mov_b32_e32 v12, s17
	v_addc_co_u32_e64 v13, s[6:7], v13, v12, s[6:7]
	v_add_co_u32_e64 v12, s[6:7], 8, v20
	v_mov_b32_e32 v16, s17
	v_addc_co_u32_e64 v13, s[6:7], 0, v13, s[6:7]
	v_addc_co_u32_e32 v17, vcc, v17, v16, vcc
	v_add_co_u32_e32 v16, vcc, 8, v18
	s_add_u32 s6, s26, -1
	v_addc_co_u32_e32 v17, vcc, 0, v17, vcc
	s_addc_u32 s7, s27, -1
	s_mov_b64 s[8:9], 0
	s_mov_b64 s[40:41], 0
                                        ; implicit-def: $sgpr38_sgpr39
	s_branch .LBB817_87
.LBB817_85:                             ;   in Loop: Header=BB817_87 Depth=1
	global_load_dwordx2 v[18:19], v[16:17], off
	global_load_dwordx2 v[20:21], v[12:13], off
	v_add_co_u32_e32 v12, vcc, 8, v12
	v_addc_co_u32_e32 v13, vcc, 0, v13, vcc
	v_add_co_u32_e32 v16, vcc, 8, v16
	v_addc_co_u32_e32 v17, vcc, 0, v17, vcc
	s_add_u32 s40, s40, 1
	s_addc_u32 s41, s41, 0
	s_andn2_b64 s[38:39], s[38:39], exec
	s_waitcnt vmcnt(0)
	v_cmp_neq_f64_e32 vcc, v[18:19], v[20:21]
	s_and_b64 s[42:43], vcc, exec
	s_or_b64 s[38:39], s[38:39], s[42:43]
.LBB817_86:                             ;   in Loop: Header=BB817_87 Depth=1
	s_and_b64 s[42:43], exec, s[38:39]
	s_or_b64 s[8:9], s[42:43], s[8:9]
	v_pk_mov_b32 v[18:19], s[40:41], s[40:41] op_sel:[0,1]
	s_andn2_b64 exec, exec, s[8:9]
	s_cbranch_execz .LBB817_89
.LBB817_87:                             ; =>This Inner Loop Header: Depth=1
	s_or_b64 s[38:39], s[38:39], exec
	s_cmp_eq_u64 s[6:7], s[40:41]
	s_cbranch_scc0 .LBB817_85
; %bb.88:                               ;   in Loop: Header=BB817_87 Depth=1
                                        ; implicit-def: $vgpr12_vgpr13
                                        ; implicit-def: $vgpr16_vgpr17
	s_mov_b64 s[40:41], s[26:27]
	s_branch .LBB817_86
.LBB817_89:
	s_or_b64 exec, exec, s[8:9]
	v_cmp_gt_i64_e32 vcc, s[26:27], v[18:19]
	s_orn2_b64 s[38:39], vcc, exec
.LBB817_90:
	s_or_b64 exec, exec, s[14:15]
.LBB817_91:
	s_and_b64 s[14:15], s[38:39], exec
.LBB817_92:
	s_or_b64 exec, exec, s[36:37]
	v_cmp_gt_u32_e32 vcc, s48, v22
	s_mov_b64 s[36:37], 0
	s_mov_b64 s[38:39], 0
	s_and_saveexec_b64 s[40:41], vcc
	s_cbranch_execz .LBB817_103
; %bb.93:
	s_and_b64 vcc, exec, s[4:5]
	s_mov_b64 s[42:43], 0
	s_cbranch_vccnz .LBB817_102
; %bb.94:
	v_mul_lo_u32 v16, v9, s26
	v_mul_lo_u32 v17, v8, s27
	v_mad_u64_u32 v[12:13], s[6:7], v8, s26, 0
	v_add3_u32 v13, v13, v17, v16
	v_mul_lo_u32 v16, v3, s26
	v_mul_lo_u32 v17, v2, s27
	v_mad_u64_u32 v[20:21], s[6:7], v2, s26, 0
	v_add3_u32 v21, v21, v17, v16
	v_lshlrev_b64 v[16:17], 3, v[12:13]
	v_mov_b32_e32 v12, s17
	v_add_co_u32_e32 v18, vcc, s16, v16
	v_addc_co_u32_e64 v19, s[6:7], v12, v17, vcc
	v_lshlrev_b64 v[12:13], 3, v[20:21]
	v_mov_b32_e32 v16, s17
	v_add_co_u32_e64 v20, s[6:7], s16, v12
	v_addc_co_u32_e64 v21, s[8:9], v16, v13, s[6:7]
	global_load_dwordx2 v[28:29], v[18:19], off
	global_load_dwordx2 v[30:31], v[20:21], off
	s_mov_b64 s[42:43], -1
	s_waitcnt vmcnt(0)
	v_cmp_eq_f64_e64 s[8:9], v[28:29], v[30:31]
	s_and_saveexec_b64 s[38:39], s[8:9]
	s_cbranch_execz .LBB817_101
; %bb.95:
	v_mov_b32_e32 v12, s17
	v_addc_co_u32_e64 v13, s[6:7], v13, v12, s[6:7]
	v_add_co_u32_e64 v12, s[6:7], 8, v20
	v_mov_b32_e32 v16, s17
	v_addc_co_u32_e64 v13, s[6:7], 0, v13, s[6:7]
	v_addc_co_u32_e32 v17, vcc, v17, v16, vcc
	v_add_co_u32_e32 v16, vcc, 8, v18
	s_add_u32 s6, s26, -1
	v_addc_co_u32_e32 v17, vcc, 0, v17, vcc
	s_addc_u32 s7, s27, -1
	s_mov_b64 s[8:9], 0
	s_mov_b64 s[44:45], 0
                                        ; implicit-def: $sgpr42_sgpr43
	s_branch .LBB817_98
.LBB817_96:                             ;   in Loop: Header=BB817_98 Depth=1
	global_load_dwordx2 v[18:19], v[16:17], off
	global_load_dwordx2 v[20:21], v[12:13], off
	v_add_co_u32_e32 v12, vcc, 8, v12
	v_addc_co_u32_e32 v13, vcc, 0, v13, vcc
	v_add_co_u32_e32 v16, vcc, 8, v16
	v_addc_co_u32_e32 v17, vcc, 0, v17, vcc
	s_add_u32 s44, s44, 1
	s_addc_u32 s45, s45, 0
	s_andn2_b64 s[42:43], s[42:43], exec
	s_waitcnt vmcnt(0)
	v_cmp_neq_f64_e32 vcc, v[18:19], v[20:21]
	s_and_b64 s[46:47], vcc, exec
	s_or_b64 s[42:43], s[42:43], s[46:47]
.LBB817_97:                             ;   in Loop: Header=BB817_98 Depth=1
	s_and_b64 s[46:47], exec, s[42:43]
	s_or_b64 s[8:9], s[46:47], s[8:9]
	v_pk_mov_b32 v[18:19], s[44:45], s[44:45] op_sel:[0,1]
	s_andn2_b64 exec, exec, s[8:9]
	s_cbranch_execz .LBB817_100
.LBB817_98:                             ; =>This Inner Loop Header: Depth=1
	s_or_b64 s[42:43], s[42:43], exec
	s_cmp_eq_u64 s[6:7], s[44:45]
	s_cbranch_scc0 .LBB817_96
; %bb.99:                               ;   in Loop: Header=BB817_98 Depth=1
                                        ; implicit-def: $vgpr12_vgpr13
                                        ; implicit-def: $vgpr16_vgpr17
	s_mov_b64 s[44:45], s[26:27]
	s_branch .LBB817_97
.LBB817_100:
	s_or_b64 exec, exec, s[8:9]
	v_cmp_gt_i64_e32 vcc, s[26:27], v[18:19]
	s_orn2_b64 s[42:43], vcc, exec
.LBB817_101:
	s_or_b64 exec, exec, s[38:39]
.LBB817_102:
	s_and_b64 s[38:39], s[42:43], exec
.LBB817_103:
	s_or_b64 exec, exec, s[40:41]
	v_cmp_gt_u32_e32 vcc, s48, v24
	s_and_saveexec_b64 s[40:41], vcc
	s_cbranch_execz .LBB817_114
; %bb.104:
	s_and_b64 vcc, exec, s[4:5]
	s_mov_b64 s[42:43], 0
	s_cbranch_vccnz .LBB817_113
; %bb.105:
	v_mul_lo_u32 v16, v7, s26
	v_mul_lo_u32 v17, v6, s27
	v_mad_u64_u32 v[12:13], s[6:7], v6, s26, 0
	v_add3_u32 v13, v13, v17, v16
	v_mul_lo_u32 v16, v9, s26
	v_mul_lo_u32 v17, v8, s27
	v_mad_u64_u32 v[20:21], s[6:7], v8, s26, 0
	v_add3_u32 v21, v21, v17, v16
	v_lshlrev_b64 v[16:17], 3, v[12:13]
	v_mov_b32_e32 v12, s17
	v_add_co_u32_e32 v18, vcc, s16, v16
	v_addc_co_u32_e64 v19, s[6:7], v12, v17, vcc
	v_lshlrev_b64 v[12:13], 3, v[20:21]
	v_mov_b32_e32 v16, s17
	v_add_co_u32_e64 v20, s[6:7], s16, v12
	v_addc_co_u32_e64 v21, s[8:9], v16, v13, s[6:7]
	global_load_dwordx2 v[28:29], v[18:19], off
	global_load_dwordx2 v[30:31], v[20:21], off
	s_mov_b64 s[42:43], -1
	s_waitcnt vmcnt(0)
	v_cmp_eq_f64_e64 s[8:9], v[28:29], v[30:31]
	s_and_saveexec_b64 s[36:37], s[8:9]
	s_cbranch_execz .LBB817_112
; %bb.106:
	v_mov_b32_e32 v12, s17
	v_addc_co_u32_e64 v13, s[6:7], v13, v12, s[6:7]
	v_add_co_u32_e64 v12, s[6:7], 8, v20
	v_mov_b32_e32 v16, s17
	v_addc_co_u32_e64 v13, s[6:7], 0, v13, s[6:7]
	v_addc_co_u32_e32 v17, vcc, v17, v16, vcc
	v_add_co_u32_e32 v16, vcc, 8, v18
	s_add_u32 s6, s26, -1
	v_addc_co_u32_e32 v17, vcc, 0, v17, vcc
	s_addc_u32 s7, s27, -1
	s_mov_b64 s[8:9], 0
	s_mov_b64 s[44:45], 0
                                        ; implicit-def: $sgpr42_sgpr43
	s_branch .LBB817_109
.LBB817_107:                            ;   in Loop: Header=BB817_109 Depth=1
	global_load_dwordx2 v[18:19], v[16:17], off
	global_load_dwordx2 v[20:21], v[12:13], off
	v_add_co_u32_e32 v12, vcc, 8, v12
	v_addc_co_u32_e32 v13, vcc, 0, v13, vcc
	v_add_co_u32_e32 v16, vcc, 8, v16
	v_addc_co_u32_e32 v17, vcc, 0, v17, vcc
	s_add_u32 s44, s44, 1
	s_addc_u32 s45, s45, 0
	s_andn2_b64 s[42:43], s[42:43], exec
	s_waitcnt vmcnt(0)
	v_cmp_neq_f64_e32 vcc, v[18:19], v[20:21]
	s_and_b64 s[46:47], vcc, exec
	s_or_b64 s[42:43], s[42:43], s[46:47]
.LBB817_108:                            ;   in Loop: Header=BB817_109 Depth=1
	s_and_b64 s[46:47], exec, s[42:43]
	s_or_b64 s[8:9], s[46:47], s[8:9]
	v_pk_mov_b32 v[18:19], s[44:45], s[44:45] op_sel:[0,1]
	s_andn2_b64 exec, exec, s[8:9]
	s_cbranch_execz .LBB817_111
.LBB817_109:                            ; =>This Inner Loop Header: Depth=1
	s_or_b64 s[42:43], s[42:43], exec
	s_cmp_eq_u64 s[6:7], s[44:45]
	s_cbranch_scc0 .LBB817_107
; %bb.110:                              ;   in Loop: Header=BB817_109 Depth=1
                                        ; implicit-def: $vgpr12_vgpr13
                                        ; implicit-def: $vgpr16_vgpr17
	s_mov_b64 s[44:45], s[26:27]
	s_branch .LBB817_108
.LBB817_111:
	s_or_b64 exec, exec, s[8:9]
	v_cmp_gt_i64_e32 vcc, s[26:27], v[18:19]
	s_orn2_b64 s[42:43], vcc, exec
.LBB817_112:
	s_or_b64 exec, exec, s[36:37]
.LBB817_113:
	s_and_b64 s[36:37], s[42:43], exec
.LBB817_114:
	s_or_b64 exec, exec, s[40:41]
	s_waitcnt lgkmcnt(0)
	s_barrier
	s_and_saveexec_b64 s[6:7], s[2:3]
	s_cbranch_execz .LBB817_116
; %bb.115:
	v_add_u32_e32 v12, -8, v27
	s_waitcnt vmcnt(0)
	ds_read_b64 v[14:15], v12
.LBB817_116:
	s_or_b64 exec, exec, s[6:7]
	v_cndmask_b32_e64 v13, 0, 1, s[14:15]
	v_cndmask_b32_e64 v12, 0, 1, s[38:39]
	;; [unrolled: 1-line block ×3, first 2 shown]
	v_lshlrev_b16_e32 v13, 8, v13
	v_cmp_gt_u32_e32 vcc, s48, v1
	v_lshlrev_b16_e32 v20, 8, v16
	v_or_b32_sdwa v21, v12, v13 dst_sel:WORD_1 dst_unused:UNUSED_PAD src0_sel:DWORD src1_sel:DWORD
	s_mov_b64 s[36:37], 0
	s_and_saveexec_b64 s[8:9], vcc
	s_cbranch_execz .LBB817_127
; %bb.117:
	s_and_b64 vcc, exec, s[4:5]
	s_cbranch_vccnz .LBB817_126
; %bb.118:
	s_waitcnt vmcnt(0) lgkmcnt(0)
	v_mul_lo_u32 v15, v15, s26
	v_mul_lo_u32 v16, v14, s27
	v_mad_u64_u32 v[12:13], s[4:5], v14, s26, 0
	v_add3_u32 v13, v13, v16, v15
	v_mul_lo_u32 v14, v7, s26
	v_mul_lo_u32 v15, v6, s27
	v_mad_u64_u32 v[18:19], s[4:5], v6, s26, 0
	v_add3_u32 v19, v19, v15, v14
	v_lshlrev_b64 v[14:15], 3, v[12:13]
	v_mov_b32_e32 v12, s17
	v_add_co_u32_e32 v16, vcc, s16, v14
	v_addc_co_u32_e64 v17, s[4:5], v12, v15, vcc
	v_lshlrev_b64 v[12:13], 3, v[18:19]
	v_mov_b32_e32 v14, s17
	v_add_co_u32_e64 v18, s[4:5], s16, v12
	v_addc_co_u32_e64 v19, s[6:7], v14, v13, s[4:5]
	global_load_dwordx2 v[28:29], v[16:17], off
	global_load_dwordx2 v[30:31], v[18:19], off
	s_mov_b64 s[36:37], -1
	s_waitcnt vmcnt(0)
	v_cmp_eq_f64_e64 s[6:7], v[28:29], v[30:31]
	s_and_saveexec_b64 s[14:15], s[6:7]
	s_cbranch_execz .LBB817_125
; %bb.119:
	v_mov_b32_e32 v12, s17
	v_addc_co_u32_e64 v13, s[4:5], v13, v12, s[4:5]
	v_add_co_u32_e64 v12, s[4:5], 8, v18
	v_mov_b32_e32 v14, s17
	v_addc_co_u32_e64 v13, s[4:5], 0, v13, s[4:5]
	v_addc_co_u32_e32 v15, vcc, v15, v14, vcc
	v_add_co_u32_e32 v14, vcc, 8, v16
	s_add_u32 s4, s26, -1
	v_addc_co_u32_e32 v15, vcc, 0, v15, vcc
	s_addc_u32 s5, s27, -1
	s_mov_b64 s[6:7], 0
	s_mov_b64 s[38:39], 0
                                        ; implicit-def: $sgpr36_sgpr37
	s_branch .LBB817_122
.LBB817_120:                            ;   in Loop: Header=BB817_122 Depth=1
	global_load_dwordx2 v[16:17], v[14:15], off
	global_load_dwordx2 v[18:19], v[12:13], off
	v_add_co_u32_e32 v12, vcc, 8, v12
	v_addc_co_u32_e32 v13, vcc, 0, v13, vcc
	v_add_co_u32_e32 v14, vcc, 8, v14
	v_addc_co_u32_e32 v15, vcc, 0, v15, vcc
	s_add_u32 s38, s38, 1
	s_addc_u32 s39, s39, 0
	s_andn2_b64 s[36:37], s[36:37], exec
	s_waitcnt vmcnt(0)
	v_cmp_neq_f64_e32 vcc, v[16:17], v[18:19]
	s_and_b64 s[40:41], vcc, exec
	s_or_b64 s[36:37], s[36:37], s[40:41]
.LBB817_121:                            ;   in Loop: Header=BB817_122 Depth=1
	s_and_b64 s[40:41], exec, s[36:37]
	s_or_b64 s[6:7], s[40:41], s[6:7]
	v_pk_mov_b32 v[16:17], s[38:39], s[38:39] op_sel:[0,1]
	s_andn2_b64 exec, exec, s[6:7]
	s_cbranch_execz .LBB817_124
.LBB817_122:                            ; =>This Inner Loop Header: Depth=1
	s_or_b64 s[36:37], s[36:37], exec
	s_cmp_eq_u64 s[4:5], s[38:39]
	s_cbranch_scc0 .LBB817_120
; %bb.123:                              ;   in Loop: Header=BB817_122 Depth=1
                                        ; implicit-def: $vgpr12_vgpr13
                                        ; implicit-def: $vgpr14_vgpr15
	s_mov_b64 s[38:39], s[26:27]
	s_branch .LBB817_121
.LBB817_124:
	s_or_b64 exec, exec, s[6:7]
	v_cmp_gt_i64_e32 vcc, s[26:27], v[16:17]
	s_orn2_b64 s[36:37], vcc, exec
.LBB817_125:
	s_or_b64 exec, exec, s[14:15]
.LBB817_126:
	s_and_b64 s[36:37], s[36:37], exec
.LBB817_127:
	s_or_b64 exec, exec, s[8:9]
	v_cndmask_b32_e64 v13, 0, 1, s[10:11]
	v_or_b32_e32 v16, v20, v21
.LBB817_128:
	s_mov_b64 s[14:15], -1
	s_cbranch_execnz .LBB817_237
.LBB817_129:
	v_lshlrev_b32_e32 v12, 5, v0
	v_sub_u32_e32 v26, v26, v12
	s_mov_b64 s[36:37], 0
	v_cmp_gt_i64_e64 s[10:11], s[26:27], 0
	s_and_b64 vcc, exec, s[30:31]
	ds_write_b64 v26, v[10:11]
	s_cbranch_vccz .LBB817_137
; %bb.130:
	s_waitcnt vmcnt(0) lgkmcnt(1)
	v_mul_lo_u32 v14, v5, s26
	v_mul_lo_u32 v15, v4, s27
	v_mad_u64_u32 v[12:13], s[4:5], v4, s26, 0
	v_add3_u32 v13, v13, v15, v14
	v_cndmask_b32_e64 v14, 0, 1, s[10:11]
	v_cmp_ne_u32_e64 s[4:5], 1, v14
	s_andn2_b64 vcc, exec, s[10:11]
	v_lshlrev_b64 v[12:13], 3, v[12:13]
	s_cbranch_vccnz .LBB817_140
; %bb.131:
	v_mul_lo_u32 v16, v11, s26
	v_mul_lo_u32 v17, v10, s27
	v_mad_u64_u32 v[14:15], s[6:7], v10, s26, 0
	v_add3_u32 v15, v15, v17, v16
	v_mov_b32_e32 v17, s17
	v_add_co_u32_e32 v16, vcc, s16, v12
	v_addc_co_u32_e64 v17, s[6:7], v17, v13, vcc
	v_lshlrev_b64 v[14:15], 3, v[14:15]
	v_mov_b32_e32 v19, s17
	v_add_co_u32_e64 v18, s[6:7], s16, v14
	v_addc_co_u32_e64 v19, s[8:9], v19, v15, s[6:7]
	global_load_dwordx2 v[20:21], v[16:17], off
	global_load_dwordx2 v[28:29], v[18:19], off
	s_mov_b64 s[36:37], -1
	s_waitcnt vmcnt(0)
	v_cmp_eq_f64_e64 s[8:9], v[20:21], v[28:29]
	s_and_saveexec_b64 s[38:39], s[8:9]
	s_cbranch_execz .LBB817_139
; %bb.132:
	v_mov_b32_e32 v14, s17
	v_addc_co_u32_e64 v15, s[6:7], v15, v14, s[6:7]
	v_add_co_u32_e64 v14, s[6:7], 8, v18
	v_mov_b32_e32 v17, s17
	v_addc_co_u32_e64 v15, s[6:7], 0, v15, s[6:7]
	v_addc_co_u32_e32 v17, vcc, v13, v17, vcc
	v_add_co_u32_e32 v16, vcc, 8, v16
	s_add_u32 s6, s26, -1
	v_addc_co_u32_e32 v17, vcc, 0, v17, vcc
	s_addc_u32 s7, s27, -1
	s_mov_b64 s[8:9], 0
	s_mov_b64 s[40:41], 0
                                        ; implicit-def: $sgpr36_sgpr37
	s_branch .LBB817_135
.LBB817_133:                            ;   in Loop: Header=BB817_135 Depth=1
	global_load_dwordx2 v[18:19], v[16:17], off
	global_load_dwordx2 v[20:21], v[14:15], off
	v_add_co_u32_e32 v14, vcc, 8, v14
	v_addc_co_u32_e32 v15, vcc, 0, v15, vcc
	v_add_co_u32_e32 v16, vcc, 8, v16
	v_addc_co_u32_e32 v17, vcc, 0, v17, vcc
	s_add_u32 s40, s40, 1
	s_addc_u32 s41, s41, 0
	s_andn2_b64 s[36:37], s[36:37], exec
	s_waitcnt vmcnt(0)
	v_cmp_neq_f64_e32 vcc, v[18:19], v[20:21]
	s_and_b64 s[42:43], vcc, exec
	s_or_b64 s[36:37], s[36:37], s[42:43]
.LBB817_134:                            ;   in Loop: Header=BB817_135 Depth=1
	s_and_b64 s[42:43], exec, s[36:37]
	s_or_b64 s[8:9], s[42:43], s[8:9]
	v_pk_mov_b32 v[18:19], s[40:41], s[40:41] op_sel:[0,1]
	s_andn2_b64 exec, exec, s[8:9]
	s_cbranch_execz .LBB817_138
.LBB817_135:                            ; =>This Inner Loop Header: Depth=1
	s_or_b64 s[36:37], s[36:37], exec
	s_cmp_eq_u64 s[6:7], s[40:41]
	s_cbranch_scc0 .LBB817_133
; %bb.136:                              ;   in Loop: Header=BB817_135 Depth=1
                                        ; implicit-def: $vgpr14_vgpr15
                                        ; implicit-def: $vgpr16_vgpr17
	s_mov_b64 s[40:41], s[26:27]
	s_branch .LBB817_134
.LBB817_137:
                                        ; implicit-def: $sgpr36_sgpr37
                                        ; implicit-def: $vgpr13
                                        ; implicit-def: $vgpr16
	s_cbranch_execnz .LBB817_179
	s_branch .LBB817_237
.LBB817_138:
	s_or_b64 exec, exec, s[8:9]
	v_cmp_gt_i64_e32 vcc, s[26:27], v[18:19]
	s_orn2_b64 s[36:37], vcc, exec
.LBB817_139:
	s_or_b64 exec, exec, s[38:39]
.LBB817_140:
	v_mul_lo_u32 v16, v3, s26
	v_mul_lo_u32 v17, v2, s27
	v_mad_u64_u32 v[14:15], s[6:7], v2, s26, 0
	v_add3_u32 v15, v15, v17, v16
	s_mov_b64 s[38:39], 0
	s_and_b64 vcc, exec, s[4:5]
	v_lshlrev_b64 v[14:15], 3, v[14:15]
	s_mov_b64 s[40:41], 0
	s_cbranch_vccnz .LBB817_149
; %bb.141:
	v_mov_b32_e32 v17, s17
	v_add_co_u32_e32 v16, vcc, s16, v14
	v_addc_co_u32_e64 v17, s[6:7], v17, v15, vcc
	v_mov_b32_e32 v19, s17
	v_add_co_u32_e64 v18, s[6:7], s16, v12
	v_addc_co_u32_e64 v19, s[8:9], v19, v13, s[6:7]
	global_load_dwordx2 v[20:21], v[16:17], off
	global_load_dwordx2 v[28:29], v[18:19], off
	s_mov_b64 s[40:41], -1
	s_waitcnt vmcnt(0)
	v_cmp_eq_f64_e64 s[8:9], v[20:21], v[28:29]
	s_and_saveexec_b64 s[42:43], s[8:9]
	s_cbranch_execz .LBB817_148
; %bb.142:
	v_mov_b32_e32 v12, s17
	v_addc_co_u32_e64 v13, s[6:7], v13, v12, s[6:7]
	v_add_co_u32_e64 v12, s[6:7], 8, v18
	v_mov_b32_e32 v17, s17
	v_addc_co_u32_e64 v13, s[6:7], 0, v13, s[6:7]
	v_addc_co_u32_e32 v17, vcc, v15, v17, vcc
	v_add_co_u32_e32 v16, vcc, 8, v16
	s_add_u32 s6, s26, -1
	v_addc_co_u32_e32 v17, vcc, 0, v17, vcc
	s_addc_u32 s7, s27, -1
	s_mov_b64 s[8:9], 0
	s_mov_b64 s[44:45], 0
                                        ; implicit-def: $sgpr40_sgpr41
	s_branch .LBB817_145
.LBB817_143:                            ;   in Loop: Header=BB817_145 Depth=1
	global_load_dwordx2 v[18:19], v[16:17], off
	global_load_dwordx2 v[20:21], v[12:13], off
	v_add_co_u32_e32 v12, vcc, 8, v12
	v_addc_co_u32_e32 v13, vcc, 0, v13, vcc
	v_add_co_u32_e32 v16, vcc, 8, v16
	v_addc_co_u32_e32 v17, vcc, 0, v17, vcc
	s_add_u32 s44, s44, 1
	s_addc_u32 s45, s45, 0
	s_andn2_b64 s[40:41], s[40:41], exec
	s_waitcnt vmcnt(0)
	v_cmp_neq_f64_e32 vcc, v[18:19], v[20:21]
	s_and_b64 s[46:47], vcc, exec
	s_or_b64 s[40:41], s[40:41], s[46:47]
.LBB817_144:                            ;   in Loop: Header=BB817_145 Depth=1
	s_and_b64 s[46:47], exec, s[40:41]
	s_or_b64 s[8:9], s[46:47], s[8:9]
	v_pk_mov_b32 v[18:19], s[44:45], s[44:45] op_sel:[0,1]
	s_andn2_b64 exec, exec, s[8:9]
	s_cbranch_execz .LBB817_147
.LBB817_145:                            ; =>This Inner Loop Header: Depth=1
	s_or_b64 s[40:41], s[40:41], exec
	s_cmp_eq_u64 s[6:7], s[44:45]
	s_cbranch_scc0 .LBB817_143
; %bb.146:                              ;   in Loop: Header=BB817_145 Depth=1
                                        ; implicit-def: $vgpr12_vgpr13
                                        ; implicit-def: $vgpr16_vgpr17
	s_mov_b64 s[44:45], s[26:27]
	s_branch .LBB817_144
.LBB817_147:
	s_or_b64 exec, exec, s[8:9]
	v_cmp_gt_i64_e32 vcc, s[26:27], v[18:19]
	s_orn2_b64 s[40:41], vcc, exec
.LBB817_148:
	s_or_b64 exec, exec, s[42:43]
.LBB817_149:
	v_mul_lo_u32 v16, v9, s26
	v_mul_lo_u32 v17, v8, s27
	v_mad_u64_u32 v[12:13], s[6:7], v8, s26, 0
	v_add3_u32 v13, v13, v17, v16
	s_and_b64 vcc, exec, s[4:5]
	v_lshlrev_b64 v[12:13], 3, v[12:13]
	s_cbranch_vccnz .LBB817_158
; %bb.150:
	v_mov_b32_e32 v17, s17
	v_add_co_u32_e32 v16, vcc, s16, v12
	v_addc_co_u32_e64 v17, s[6:7], v17, v13, vcc
	v_mov_b32_e32 v19, s17
	v_add_co_u32_e64 v18, s[6:7], s16, v14
	v_addc_co_u32_e64 v19, s[8:9], v19, v15, s[6:7]
	global_load_dwordx2 v[20:21], v[16:17], off
	global_load_dwordx2 v[28:29], v[18:19], off
	s_mov_b64 s[38:39], -1
	s_waitcnt vmcnt(0)
	v_cmp_eq_f64_e64 s[8:9], v[20:21], v[28:29]
	s_and_saveexec_b64 s[42:43], s[8:9]
	s_cbranch_execz .LBB817_157
; %bb.151:
	v_mov_b32_e32 v14, s17
	v_addc_co_u32_e64 v15, s[6:7], v15, v14, s[6:7]
	v_add_co_u32_e64 v14, s[6:7], 8, v18
	v_mov_b32_e32 v17, s17
	v_addc_co_u32_e64 v15, s[6:7], 0, v15, s[6:7]
	v_addc_co_u32_e32 v17, vcc, v13, v17, vcc
	v_add_co_u32_e32 v16, vcc, 8, v16
	s_add_u32 s6, s26, -1
	v_addc_co_u32_e32 v17, vcc, 0, v17, vcc
	s_addc_u32 s7, s27, -1
	s_mov_b64 s[8:9], 0
	s_mov_b64 s[44:45], 0
                                        ; implicit-def: $sgpr38_sgpr39
	s_branch .LBB817_154
.LBB817_152:                            ;   in Loop: Header=BB817_154 Depth=1
	global_load_dwordx2 v[18:19], v[16:17], off
	global_load_dwordx2 v[20:21], v[14:15], off
	v_add_co_u32_e32 v14, vcc, 8, v14
	v_addc_co_u32_e32 v15, vcc, 0, v15, vcc
	v_add_co_u32_e32 v16, vcc, 8, v16
	v_addc_co_u32_e32 v17, vcc, 0, v17, vcc
	s_add_u32 s44, s44, 1
	s_addc_u32 s45, s45, 0
	s_andn2_b64 s[38:39], s[38:39], exec
	s_waitcnt vmcnt(0)
	v_cmp_neq_f64_e32 vcc, v[18:19], v[20:21]
	s_and_b64 s[46:47], vcc, exec
	s_or_b64 s[38:39], s[38:39], s[46:47]
.LBB817_153:                            ;   in Loop: Header=BB817_154 Depth=1
	s_and_b64 s[46:47], exec, s[38:39]
	s_or_b64 s[8:9], s[46:47], s[8:9]
	v_pk_mov_b32 v[18:19], s[44:45], s[44:45] op_sel:[0,1]
	s_andn2_b64 exec, exec, s[8:9]
	s_cbranch_execz .LBB817_156
.LBB817_154:                            ; =>This Inner Loop Header: Depth=1
	s_or_b64 s[38:39], s[38:39], exec
	s_cmp_eq_u64 s[6:7], s[44:45]
	s_cbranch_scc0 .LBB817_152
; %bb.155:                              ;   in Loop: Header=BB817_154 Depth=1
                                        ; implicit-def: $vgpr14_vgpr15
                                        ; implicit-def: $vgpr16_vgpr17
	s_mov_b64 s[44:45], s[26:27]
	s_branch .LBB817_153
.LBB817_156:
	s_or_b64 exec, exec, s[8:9]
	v_cmp_gt_i64_e32 vcc, s[26:27], v[18:19]
	s_orn2_b64 s[38:39], vcc, exec
.LBB817_157:
	s_or_b64 exec, exec, s[42:43]
.LBB817_158:
	v_mul_lo_u32 v16, v7, s26
	v_mul_lo_u32 v17, v6, s27
	v_mad_u64_u32 v[14:15], s[6:7], v6, s26, 0
	v_add3_u32 v15, v15, v17, v16
	s_and_b64 vcc, exec, s[4:5]
	s_mov_b64 s[44:45], 0
	s_cbranch_vccnz .LBB817_167
; %bb.159:
	v_lshlrev_b64 v[16:17], 3, v[14:15]
	v_mov_b32_e32 v19, s17
	v_add_co_u32_e32 v18, vcc, s16, v16
	v_addc_co_u32_e64 v19, s[6:7], v19, v17, vcc
	v_mov_b32_e32 v16, s17
	v_add_co_u32_e64 v20, s[6:7], s16, v12
	v_addc_co_u32_e64 v21, s[8:9], v16, v13, s[6:7]
	global_load_dwordx2 v[28:29], v[18:19], off
	global_load_dwordx2 v[30:31], v[20:21], off
	s_mov_b64 s[44:45], -1
	s_waitcnt vmcnt(0)
	v_cmp_eq_f64_e64 s[8:9], v[28:29], v[30:31]
	s_and_saveexec_b64 s[42:43], s[8:9]
	s_cbranch_execz .LBB817_166
; %bb.160:
	v_mov_b32_e32 v12, s17
	v_addc_co_u32_e64 v13, s[6:7], v13, v12, s[6:7]
	v_add_co_u32_e64 v12, s[6:7], 8, v20
	v_mov_b32_e32 v16, s17
	v_addc_co_u32_e64 v13, s[6:7], 0, v13, s[6:7]
	v_addc_co_u32_e32 v17, vcc, v17, v16, vcc
	v_add_co_u32_e32 v16, vcc, 8, v18
	s_add_u32 s6, s26, -1
	v_addc_co_u32_e32 v17, vcc, 0, v17, vcc
	s_addc_u32 s7, s27, -1
	s_mov_b64 s[8:9], 0
	s_mov_b64 s[46:47], 0
                                        ; implicit-def: $sgpr44_sgpr45
	s_branch .LBB817_163
.LBB817_161:                            ;   in Loop: Header=BB817_163 Depth=1
	global_load_dwordx2 v[18:19], v[16:17], off
	global_load_dwordx2 v[20:21], v[12:13], off
	v_add_co_u32_e32 v12, vcc, 8, v12
	v_addc_co_u32_e32 v13, vcc, 0, v13, vcc
	v_add_co_u32_e32 v16, vcc, 8, v16
	v_addc_co_u32_e32 v17, vcc, 0, v17, vcc
	s_add_u32 s46, s46, 1
	s_addc_u32 s47, s47, 0
	s_andn2_b64 s[44:45], s[44:45], exec
	s_waitcnt vmcnt(0)
	v_cmp_neq_f64_e32 vcc, v[18:19], v[20:21]
	s_and_b64 s[50:51], vcc, exec
	s_or_b64 s[44:45], s[44:45], s[50:51]
.LBB817_162:                            ;   in Loop: Header=BB817_163 Depth=1
	s_and_b64 s[50:51], exec, s[44:45]
	s_or_b64 s[8:9], s[50:51], s[8:9]
	v_pk_mov_b32 v[18:19], s[46:47], s[46:47] op_sel:[0,1]
	s_andn2_b64 exec, exec, s[8:9]
	s_cbranch_execz .LBB817_165
.LBB817_163:                            ; =>This Inner Loop Header: Depth=1
	s_or_b64 s[44:45], s[44:45], exec
	s_cmp_eq_u64 s[6:7], s[46:47]
	s_cbranch_scc0 .LBB817_161
; %bb.164:                              ;   in Loop: Header=BB817_163 Depth=1
                                        ; implicit-def: $vgpr12_vgpr13
                                        ; implicit-def: $vgpr16_vgpr17
	s_mov_b64 s[46:47], s[26:27]
	s_branch .LBB817_162
.LBB817_165:
	s_or_b64 exec, exec, s[8:9]
	v_cmp_gt_i64_e32 vcc, s[26:27], v[18:19]
	s_orn2_b64 s[44:45], vcc, exec
.LBB817_166:
	s_or_b64 exec, exec, s[42:43]
.LBB817_167:
	v_cndmask_b32_e64 v13, 0, 1, s[40:41]
	v_cndmask_b32_e64 v16, 0, 1, s[44:45]
	;; [unrolled: 1-line block ×3, first 2 shown]
	v_lshlrev_b16_e32 v16, 8, v16
	v_lshlrev_b16_e32 v13, 8, v13
	v_or_b32_e32 v16, 1, v16
	v_or_b32_sdwa v12, v12, v13 dst_sel:WORD_1 dst_unused:UNUSED_PAD src0_sel:DWORD src1_sel:DWORD
	v_or_b32_sdwa v12, v16, v12 dst_sel:DWORD dst_unused:UNUSED_PAD src0_sel:WORD_0 src1_sel:DWORD
	v_cndmask_b32_e64 v13, 0, 1, s[36:37]
	s_waitcnt lgkmcnt(0)
	s_barrier
	s_waitcnt lgkmcnt(0)
                                        ; implicit-def: $sgpr36_sgpr37
                                        ; implicit-def: $vgpr16
	s_and_saveexec_b64 s[6:7], s[2:3]
	s_xor_b64 s[8:9], exec, s[6:7]
	s_cbranch_execz .LBB817_178
; %bb.168:
	s_mov_b32 s42, 0x3020104
	s_and_b64 vcc, exec, s[4:5]
	s_mov_b64 s[38:39], 0
	s_cbranch_vccnz .LBB817_177
; %bb.169:
	v_add_u32_e32 v16, -8, v26
	ds_read_b64 v[16:17], v16
	v_mov_b32_e32 v19, s17
	v_lshlrev_b64 v[14:15], 3, v[14:15]
	s_mov_b64 s[38:39], -1
	s_waitcnt lgkmcnt(0)
	v_mul_lo_u32 v18, v17, s26
	v_mul_lo_u32 v20, v16, s27
	v_mad_u64_u32 v[16:17], s[4:5], v16, s26, 0
	v_add3_u32 v17, v17, v20, v18
	v_lshlrev_b64 v[16:17], 3, v[16:17]
	v_add_co_u32_e32 v18, vcc, s16, v16
	v_addc_co_u32_e64 v19, s[4:5], v19, v17, vcc
	v_mov_b32_e32 v16, s17
	v_add_co_u32_e64 v20, s[4:5], s16, v14
	v_addc_co_u32_e64 v21, s[6:7], v16, v15, s[4:5]
	global_load_dwordx2 v[28:29], v[18:19], off
	global_load_dwordx2 v[30:31], v[20:21], off
	s_waitcnt vmcnt(0)
	v_cmp_eq_f64_e64 s[6:7], v[28:29], v[30:31]
	s_and_saveexec_b64 s[36:37], s[6:7]
	s_cbranch_execz .LBB817_176
; %bb.170:
	v_mov_b32_e32 v14, s17
	v_addc_co_u32_e64 v15, s[4:5], v15, v14, s[4:5]
	v_add_co_u32_e64 v14, s[4:5], 8, v20
	v_mov_b32_e32 v16, s17
	v_addc_co_u32_e64 v15, s[4:5], 0, v15, s[4:5]
	v_addc_co_u32_e32 v17, vcc, v17, v16, vcc
	v_add_co_u32_e32 v16, vcc, 8, v18
	s_add_u32 s4, s26, -1
	v_addc_co_u32_e32 v17, vcc, 0, v17, vcc
	s_addc_u32 s5, s27, -1
	s_mov_b64 s[6:7], 0
	s_mov_b64 s[40:41], 0
                                        ; implicit-def: $sgpr38_sgpr39
	s_branch .LBB817_173
.LBB817_171:                            ;   in Loop: Header=BB817_173 Depth=1
	global_load_dwordx2 v[18:19], v[16:17], off
	global_load_dwordx2 v[20:21], v[14:15], off
	v_add_co_u32_e32 v14, vcc, 8, v14
	v_addc_co_u32_e32 v15, vcc, 0, v15, vcc
	v_add_co_u32_e32 v16, vcc, 8, v16
	v_addc_co_u32_e32 v17, vcc, 0, v17, vcc
	s_add_u32 s40, s40, 1
	s_addc_u32 s41, s41, 0
	s_andn2_b64 s[38:39], s[38:39], exec
	s_waitcnt vmcnt(0)
	v_cmp_neq_f64_e32 vcc, v[18:19], v[20:21]
	s_and_b64 s[44:45], vcc, exec
	s_or_b64 s[38:39], s[38:39], s[44:45]
.LBB817_172:                            ;   in Loop: Header=BB817_173 Depth=1
	s_and_b64 s[44:45], exec, s[38:39]
	s_or_b64 s[6:7], s[44:45], s[6:7]
	v_pk_mov_b32 v[18:19], s[40:41], s[40:41] op_sel:[0,1]
	s_andn2_b64 exec, exec, s[6:7]
	s_cbranch_execz .LBB817_175
.LBB817_173:                            ; =>This Inner Loop Header: Depth=1
	s_or_b64 s[38:39], s[38:39], exec
	s_cmp_eq_u64 s[4:5], s[40:41]
	s_cbranch_scc0 .LBB817_171
; %bb.174:                              ;   in Loop: Header=BB817_173 Depth=1
                                        ; implicit-def: $vgpr14_vgpr15
                                        ; implicit-def: $vgpr16_vgpr17
	s_mov_b64 s[40:41], s[26:27]
	s_branch .LBB817_172
.LBB817_175:
	s_or_b64 exec, exec, s[6:7]
	v_cmp_gt_i64_e32 vcc, s[26:27], v[18:19]
	s_orn2_b64 s[38:39], vcc, exec
.LBB817_176:
	s_or_b64 exec, exec, s[36:37]
.LBB817_177:
	v_perm_b32 v16, v12, v12, s42
	s_and_b64 s[36:37], s[38:39], exec
	s_or_b64 s[14:15], s[14:15], exec
.LBB817_178:
	s_or_b64 exec, exec, s[8:9]
	s_branch .LBB817_237
.LBB817_179:
	v_cmp_gt_u32_e32 vcc, s48, v23
	s_mov_b64 s[36:37], 0
	s_mov_b64 s[8:9], 0
	s_and_saveexec_b64 s[38:39], vcc
	s_cbranch_execz .LBB817_190
; %bb.180:
	s_andn2_b64 vcc, exec, s[10:11]
	s_mov_b64 s[40:41], 0
	s_cbranch_vccnz .LBB817_189
; %bb.181:
	s_waitcnt vmcnt(0) lgkmcnt(1)
	v_mul_lo_u32 v14, v5, s26
	v_mul_lo_u32 v15, v4, s27
	v_mad_u64_u32 v[12:13], s[4:5], v4, s26, 0
	v_add3_u32 v13, v13, v15, v14
	v_mul_lo_u32 v14, v11, s26
	v_mul_lo_u32 v15, v10, s27
	v_mad_u64_u32 v[18:19], s[4:5], v10, s26, 0
	v_add3_u32 v19, v19, v15, v14
	v_lshlrev_b64 v[14:15], 3, v[12:13]
	v_mov_b32_e32 v12, s17
	v_add_co_u32_e32 v16, vcc, s16, v14
	v_addc_co_u32_e64 v17, s[4:5], v12, v15, vcc
	v_lshlrev_b64 v[12:13], 3, v[18:19]
	v_mov_b32_e32 v14, s17
	v_add_co_u32_e64 v18, s[4:5], s16, v12
	v_addc_co_u32_e64 v19, s[6:7], v14, v13, s[4:5]
	global_load_dwordx2 v[20:21], v[16:17], off
	global_load_dwordx2 v[28:29], v[18:19], off
	s_mov_b64 s[40:41], -1
	s_waitcnt vmcnt(0)
	v_cmp_eq_f64_e64 s[6:7], v[20:21], v[28:29]
	s_and_saveexec_b64 s[8:9], s[6:7]
	s_cbranch_execz .LBB817_188
; %bb.182:
	v_mov_b32_e32 v12, s17
	v_addc_co_u32_e64 v13, s[4:5], v13, v12, s[4:5]
	v_add_co_u32_e64 v12, s[4:5], 8, v18
	v_mov_b32_e32 v14, s17
	v_addc_co_u32_e64 v13, s[4:5], 0, v13, s[4:5]
	v_addc_co_u32_e32 v15, vcc, v15, v14, vcc
	v_add_co_u32_e32 v14, vcc, 8, v16
	s_add_u32 s4, s26, -1
	v_addc_co_u32_e32 v15, vcc, 0, v15, vcc
	s_addc_u32 s5, s27, -1
	s_mov_b64 s[6:7], 0
	s_mov_b64 s[42:43], 0
                                        ; implicit-def: $sgpr40_sgpr41
	s_branch .LBB817_185
.LBB817_183:                            ;   in Loop: Header=BB817_185 Depth=1
	global_load_dwordx2 v[16:17], v[14:15], off
	global_load_dwordx2 v[18:19], v[12:13], off
	v_add_co_u32_e32 v12, vcc, 8, v12
	v_addc_co_u32_e32 v13, vcc, 0, v13, vcc
	v_add_co_u32_e32 v14, vcc, 8, v14
	v_addc_co_u32_e32 v15, vcc, 0, v15, vcc
	s_add_u32 s42, s42, 1
	s_addc_u32 s43, s43, 0
	s_andn2_b64 s[40:41], s[40:41], exec
	s_waitcnt vmcnt(0)
	v_cmp_neq_f64_e32 vcc, v[16:17], v[18:19]
	s_and_b64 s[44:45], vcc, exec
	s_or_b64 s[40:41], s[40:41], s[44:45]
.LBB817_184:                            ;   in Loop: Header=BB817_185 Depth=1
	s_and_b64 s[44:45], exec, s[40:41]
	s_or_b64 s[6:7], s[44:45], s[6:7]
	v_pk_mov_b32 v[16:17], s[42:43], s[42:43] op_sel:[0,1]
	s_andn2_b64 exec, exec, s[6:7]
	s_cbranch_execz .LBB817_187
.LBB817_185:                            ; =>This Inner Loop Header: Depth=1
	s_or_b64 s[40:41], s[40:41], exec
	s_cmp_eq_u64 s[4:5], s[42:43]
	s_cbranch_scc0 .LBB817_183
; %bb.186:                              ;   in Loop: Header=BB817_185 Depth=1
                                        ; implicit-def: $vgpr12_vgpr13
                                        ; implicit-def: $vgpr14_vgpr15
	s_mov_b64 s[42:43], s[26:27]
	s_branch .LBB817_184
.LBB817_187:
	s_or_b64 exec, exec, s[6:7]
	v_cmp_gt_i64_e32 vcc, s[26:27], v[16:17]
	s_orn2_b64 s[40:41], vcc, exec
.LBB817_188:
	s_or_b64 exec, exec, s[8:9]
.LBB817_189:
	s_and_b64 s[8:9], s[40:41], exec
.LBB817_190:
	s_or_b64 exec, exec, s[38:39]
	v_cmp_gt_u32_e32 vcc, s48, v25
	s_and_saveexec_b64 s[38:39], vcc
	s_cbranch_execz .LBB817_201
; %bb.191:
	s_andn2_b64 vcc, exec, s[10:11]
	s_mov_b64 s[40:41], 0
	s_cbranch_vccnz .LBB817_200
; %bb.192:
	s_waitcnt vmcnt(0) lgkmcnt(1)
	v_mul_lo_u32 v14, v3, s26
	v_mul_lo_u32 v15, v2, s27
	v_mad_u64_u32 v[12:13], s[4:5], v2, s26, 0
	v_add3_u32 v13, v13, v15, v14
	v_mul_lo_u32 v14, v5, s26
	v_mul_lo_u32 v15, v4, s27
	v_mad_u64_u32 v[18:19], s[4:5], v4, s26, 0
	v_add3_u32 v19, v19, v15, v14
	v_lshlrev_b64 v[14:15], 3, v[12:13]
	v_mov_b32_e32 v12, s17
	v_add_co_u32_e32 v16, vcc, s16, v14
	v_addc_co_u32_e64 v17, s[4:5], v12, v15, vcc
	v_lshlrev_b64 v[12:13], 3, v[18:19]
	v_mov_b32_e32 v14, s17
	v_add_co_u32_e64 v18, s[4:5], s16, v12
	v_addc_co_u32_e64 v19, s[6:7], v14, v13, s[4:5]
	global_load_dwordx2 v[20:21], v[16:17], off
	global_load_dwordx2 v[28:29], v[18:19], off
	s_mov_b64 s[40:41], -1
	s_waitcnt vmcnt(0)
	v_cmp_eq_f64_e64 s[6:7], v[20:21], v[28:29]
	s_and_saveexec_b64 s[36:37], s[6:7]
	s_cbranch_execz .LBB817_199
; %bb.193:
	v_mov_b32_e32 v12, s17
	v_addc_co_u32_e64 v13, s[4:5], v13, v12, s[4:5]
	v_add_co_u32_e64 v12, s[4:5], 8, v18
	v_mov_b32_e32 v14, s17
	v_addc_co_u32_e64 v13, s[4:5], 0, v13, s[4:5]
	v_addc_co_u32_e32 v15, vcc, v15, v14, vcc
	v_add_co_u32_e32 v14, vcc, 8, v16
	s_add_u32 s4, s26, -1
	v_addc_co_u32_e32 v15, vcc, 0, v15, vcc
	s_addc_u32 s5, s27, -1
	s_mov_b64 s[6:7], 0
	s_mov_b64 s[42:43], 0
                                        ; implicit-def: $sgpr40_sgpr41
	s_branch .LBB817_196
.LBB817_194:                            ;   in Loop: Header=BB817_196 Depth=1
	global_load_dwordx2 v[16:17], v[14:15], off
	global_load_dwordx2 v[18:19], v[12:13], off
	v_add_co_u32_e32 v12, vcc, 8, v12
	v_addc_co_u32_e32 v13, vcc, 0, v13, vcc
	v_add_co_u32_e32 v14, vcc, 8, v14
	v_addc_co_u32_e32 v15, vcc, 0, v15, vcc
	s_add_u32 s42, s42, 1
	s_addc_u32 s43, s43, 0
	s_andn2_b64 s[40:41], s[40:41], exec
	s_waitcnt vmcnt(0)
	v_cmp_neq_f64_e32 vcc, v[16:17], v[18:19]
	s_and_b64 s[44:45], vcc, exec
	s_or_b64 s[40:41], s[40:41], s[44:45]
.LBB817_195:                            ;   in Loop: Header=BB817_196 Depth=1
	s_and_b64 s[44:45], exec, s[40:41]
	s_or_b64 s[6:7], s[44:45], s[6:7]
	v_pk_mov_b32 v[16:17], s[42:43], s[42:43] op_sel:[0,1]
	s_andn2_b64 exec, exec, s[6:7]
	s_cbranch_execz .LBB817_198
.LBB817_196:                            ; =>This Inner Loop Header: Depth=1
	s_or_b64 s[40:41], s[40:41], exec
	s_cmp_eq_u64 s[4:5], s[42:43]
	s_cbranch_scc0 .LBB817_194
; %bb.197:                              ;   in Loop: Header=BB817_196 Depth=1
                                        ; implicit-def: $vgpr12_vgpr13
                                        ; implicit-def: $vgpr14_vgpr15
	s_mov_b64 s[42:43], s[26:27]
	s_branch .LBB817_195
.LBB817_198:
	s_or_b64 exec, exec, s[6:7]
	v_cmp_gt_i64_e32 vcc, s[26:27], v[16:17]
	s_orn2_b64 s[40:41], vcc, exec
.LBB817_199:
	s_or_b64 exec, exec, s[36:37]
.LBB817_200:
	s_and_b64 s[36:37], s[40:41], exec
.LBB817_201:
	s_or_b64 exec, exec, s[38:39]
	v_cmp_gt_u32_e32 vcc, s48, v22
	s_mov_b64 s[38:39], 0
	s_mov_b64 s[40:41], 0
	s_and_saveexec_b64 s[42:43], vcc
	s_cbranch_execz .LBB817_212
; %bb.202:
	s_andn2_b64 vcc, exec, s[10:11]
	s_mov_b64 s[44:45], 0
	s_cbranch_vccnz .LBB817_211
; %bb.203:
	s_waitcnt vmcnt(0) lgkmcnt(1)
	v_mul_lo_u32 v14, v9, s26
	v_mul_lo_u32 v15, v8, s27
	v_mad_u64_u32 v[12:13], s[4:5], v8, s26, 0
	v_add3_u32 v13, v13, v15, v14
	v_mul_lo_u32 v14, v3, s26
	v_mul_lo_u32 v15, v2, s27
	v_mad_u64_u32 v[18:19], s[4:5], v2, s26, 0
	v_add3_u32 v19, v19, v15, v14
	v_lshlrev_b64 v[14:15], 3, v[12:13]
	v_mov_b32_e32 v12, s17
	v_add_co_u32_e32 v16, vcc, s16, v14
	v_addc_co_u32_e64 v17, s[4:5], v12, v15, vcc
	v_lshlrev_b64 v[12:13], 3, v[18:19]
	v_mov_b32_e32 v14, s17
	v_add_co_u32_e64 v18, s[4:5], s16, v12
	v_addc_co_u32_e64 v19, s[6:7], v14, v13, s[4:5]
	global_load_dwordx2 v[20:21], v[16:17], off
	global_load_dwordx2 v[28:29], v[18:19], off
	s_mov_b64 s[44:45], -1
	s_waitcnt vmcnt(0)
	v_cmp_eq_f64_e64 s[6:7], v[20:21], v[28:29]
	s_and_saveexec_b64 s[40:41], s[6:7]
	s_cbranch_execz .LBB817_210
; %bb.204:
	v_mov_b32_e32 v12, s17
	v_addc_co_u32_e64 v13, s[4:5], v13, v12, s[4:5]
	v_add_co_u32_e64 v12, s[4:5], 8, v18
	v_mov_b32_e32 v14, s17
	v_addc_co_u32_e64 v13, s[4:5], 0, v13, s[4:5]
	v_addc_co_u32_e32 v15, vcc, v15, v14, vcc
	v_add_co_u32_e32 v14, vcc, 8, v16
	s_add_u32 s4, s26, -1
	v_addc_co_u32_e32 v15, vcc, 0, v15, vcc
	s_addc_u32 s5, s27, -1
	s_mov_b64 s[6:7], 0
	s_mov_b64 s[46:47], 0
                                        ; implicit-def: $sgpr44_sgpr45
	s_branch .LBB817_207
.LBB817_205:                            ;   in Loop: Header=BB817_207 Depth=1
	global_load_dwordx2 v[16:17], v[14:15], off
	global_load_dwordx2 v[18:19], v[12:13], off
	v_add_co_u32_e32 v12, vcc, 8, v12
	v_addc_co_u32_e32 v13, vcc, 0, v13, vcc
	v_add_co_u32_e32 v14, vcc, 8, v14
	v_addc_co_u32_e32 v15, vcc, 0, v15, vcc
	s_add_u32 s46, s46, 1
	s_addc_u32 s47, s47, 0
	s_andn2_b64 s[44:45], s[44:45], exec
	s_waitcnt vmcnt(0)
	v_cmp_neq_f64_e32 vcc, v[16:17], v[18:19]
	s_and_b64 s[50:51], vcc, exec
	s_or_b64 s[44:45], s[44:45], s[50:51]
.LBB817_206:                            ;   in Loop: Header=BB817_207 Depth=1
	s_and_b64 s[50:51], exec, s[44:45]
	s_or_b64 s[6:7], s[50:51], s[6:7]
	v_pk_mov_b32 v[16:17], s[46:47], s[46:47] op_sel:[0,1]
	s_andn2_b64 exec, exec, s[6:7]
	s_cbranch_execz .LBB817_209
.LBB817_207:                            ; =>This Inner Loop Header: Depth=1
	s_or_b64 s[44:45], s[44:45], exec
	s_cmp_eq_u64 s[4:5], s[46:47]
	s_cbranch_scc0 .LBB817_205
; %bb.208:                              ;   in Loop: Header=BB817_207 Depth=1
                                        ; implicit-def: $vgpr12_vgpr13
                                        ; implicit-def: $vgpr14_vgpr15
	s_mov_b64 s[46:47], s[26:27]
	s_branch .LBB817_206
.LBB817_209:
	s_or_b64 exec, exec, s[6:7]
	v_cmp_gt_i64_e32 vcc, s[26:27], v[16:17]
	s_orn2_b64 s[44:45], vcc, exec
.LBB817_210:
	s_or_b64 exec, exec, s[40:41]
.LBB817_211:
	s_and_b64 s[40:41], s[44:45], exec
.LBB817_212:
	s_or_b64 exec, exec, s[42:43]
	v_cmp_gt_u32_e32 vcc, s48, v24
	s_and_saveexec_b64 s[42:43], vcc
	s_cbranch_execz .LBB817_223
; %bb.213:
	s_andn2_b64 vcc, exec, s[10:11]
	s_mov_b64 s[44:45], 0
	s_cbranch_vccnz .LBB817_222
; %bb.214:
	s_waitcnt vmcnt(0) lgkmcnt(1)
	v_mul_lo_u32 v14, v7, s26
	v_mul_lo_u32 v15, v6, s27
	v_mad_u64_u32 v[12:13], s[4:5], v6, s26, 0
	v_add3_u32 v13, v13, v15, v14
	v_mul_lo_u32 v14, v9, s26
	v_mul_lo_u32 v15, v8, s27
	v_mad_u64_u32 v[18:19], s[4:5], v8, s26, 0
	v_add3_u32 v19, v19, v15, v14
	v_lshlrev_b64 v[14:15], 3, v[12:13]
	v_mov_b32_e32 v12, s17
	v_add_co_u32_e32 v16, vcc, s16, v14
	v_addc_co_u32_e64 v17, s[4:5], v12, v15, vcc
	v_lshlrev_b64 v[12:13], 3, v[18:19]
	v_mov_b32_e32 v14, s17
	v_add_co_u32_e64 v18, s[4:5], s16, v12
	v_addc_co_u32_e64 v19, s[6:7], v14, v13, s[4:5]
	global_load_dwordx2 v[20:21], v[16:17], off
	global_load_dwordx2 v[28:29], v[18:19], off
	s_mov_b64 s[44:45], -1
	s_waitcnt vmcnt(0)
	v_cmp_eq_f64_e64 s[6:7], v[20:21], v[28:29]
	s_and_saveexec_b64 s[38:39], s[6:7]
	s_cbranch_execz .LBB817_221
; %bb.215:
	v_mov_b32_e32 v12, s17
	v_addc_co_u32_e64 v13, s[4:5], v13, v12, s[4:5]
	v_add_co_u32_e64 v12, s[4:5], 8, v18
	v_mov_b32_e32 v14, s17
	v_addc_co_u32_e64 v13, s[4:5], 0, v13, s[4:5]
	v_addc_co_u32_e32 v15, vcc, v15, v14, vcc
	v_add_co_u32_e32 v14, vcc, 8, v16
	s_add_u32 s4, s26, -1
	v_addc_co_u32_e32 v15, vcc, 0, v15, vcc
	s_addc_u32 s5, s27, -1
	s_mov_b64 s[6:7], 0
	s_mov_b64 s[46:47], 0
                                        ; implicit-def: $sgpr44_sgpr45
	s_branch .LBB817_218
.LBB817_216:                            ;   in Loop: Header=BB817_218 Depth=1
	global_load_dwordx2 v[16:17], v[14:15], off
	global_load_dwordx2 v[18:19], v[12:13], off
	v_add_co_u32_e32 v12, vcc, 8, v12
	v_addc_co_u32_e32 v13, vcc, 0, v13, vcc
	v_add_co_u32_e32 v14, vcc, 8, v14
	v_addc_co_u32_e32 v15, vcc, 0, v15, vcc
	s_add_u32 s46, s46, 1
	s_addc_u32 s47, s47, 0
	s_andn2_b64 s[44:45], s[44:45], exec
	s_waitcnt vmcnt(0)
	v_cmp_neq_f64_e32 vcc, v[16:17], v[18:19]
	s_and_b64 s[50:51], vcc, exec
	s_or_b64 s[44:45], s[44:45], s[50:51]
.LBB817_217:                            ;   in Loop: Header=BB817_218 Depth=1
	s_and_b64 s[50:51], exec, s[44:45]
	s_or_b64 s[6:7], s[50:51], s[6:7]
	v_pk_mov_b32 v[16:17], s[46:47], s[46:47] op_sel:[0,1]
	s_andn2_b64 exec, exec, s[6:7]
	s_cbranch_execz .LBB817_220
.LBB817_218:                            ; =>This Inner Loop Header: Depth=1
	s_or_b64 s[44:45], s[44:45], exec
	s_cmp_eq_u64 s[4:5], s[46:47]
	s_cbranch_scc0 .LBB817_216
; %bb.219:                              ;   in Loop: Header=BB817_218 Depth=1
                                        ; implicit-def: $vgpr12_vgpr13
                                        ; implicit-def: $vgpr14_vgpr15
	s_mov_b64 s[46:47], s[26:27]
	s_branch .LBB817_217
.LBB817_220:
	s_or_b64 exec, exec, s[6:7]
	v_cmp_gt_i64_e32 vcc, s[26:27], v[16:17]
	s_orn2_b64 s[44:45], vcc, exec
.LBB817_221:
	s_or_b64 exec, exec, s[38:39]
.LBB817_222:
	s_and_b64 s[38:39], s[44:45], exec
.LBB817_223:
	s_or_b64 exec, exec, s[42:43]
	v_cndmask_b32_e64 v13, 0, 1, s[36:37]
	s_waitcnt vmcnt(0) lgkmcnt(1)
	v_cndmask_b32_e64 v14, 0, 1, s[38:39]
	v_cndmask_b32_e64 v12, 0, 1, s[40:41]
	v_lshlrev_b16_e32 v14, 8, v14
	v_lshlrev_b16_e32 v13, 8, v13
	v_or_b32_e32 v14, 1, v14
	v_or_b32_sdwa v12, v12, v13 dst_sel:WORD_1 dst_unused:UNUSED_PAD src0_sel:DWORD src1_sel:DWORD
	v_or_b32_sdwa v12, v14, v12 dst_sel:DWORD dst_unused:UNUSED_PAD src0_sel:WORD_0 src1_sel:DWORD
	v_cndmask_b32_e64 v13, 0, 1, s[8:9]
	s_waitcnt lgkmcnt(0)
	s_barrier
	s_waitcnt lgkmcnt(0)
                                        ; implicit-def: $sgpr36_sgpr37
                                        ; implicit-def: $vgpr16
	s_and_saveexec_b64 s[6:7], s[2:3]
	s_cbranch_execz .LBB817_236
; %bb.224:
	v_cmp_gt_u32_e32 vcc, s48, v1
	s_mov_b32 s38, 0x3020104
	s_mov_b64 s[2:3], 0
	s_and_saveexec_b64 s[8:9], vcc
	s_cbranch_execz .LBB817_235
; %bb.225:
	s_andn2_b64 vcc, exec, s[10:11]
	s_mov_b64 s[36:37], 0
	s_cbranch_vccnz .LBB817_234
; %bb.226:
	v_add_u32_e32 v14, -8, v26
	ds_read_b64 v[14:15], v14
	v_mul_lo_u32 v16, v7, s26
	v_mad_u64_u32 v[20:21], s[2:3], v6, s26, 0
	s_mov_b64 s[36:37], -1
	s_waitcnt lgkmcnt(0)
	v_mul_lo_u32 v17, v15, s26
	v_mul_lo_u32 v18, v14, s27
	v_mad_u64_u32 v[14:15], s[2:3], v14, s26, 0
	v_add3_u32 v15, v15, v18, v17
	v_mul_lo_u32 v17, v6, s27
	v_add3_u32 v21, v21, v17, v16
	v_lshlrev_b64 v[16:17], 3, v[14:15]
	v_mov_b32_e32 v14, s17
	v_add_co_u32_e32 v18, vcc, s16, v16
	v_addc_co_u32_e64 v19, s[2:3], v14, v17, vcc
	v_lshlrev_b64 v[14:15], 3, v[20:21]
	v_mov_b32_e32 v16, s17
	v_add_co_u32_e64 v20, s[2:3], s16, v14
	v_addc_co_u32_e64 v21, s[4:5], v16, v15, s[2:3]
	global_load_dwordx2 v[26:27], v[18:19], off
	global_load_dwordx2 v[28:29], v[20:21], off
	s_waitcnt vmcnt(0)
	v_cmp_eq_f64_e64 s[4:5], v[26:27], v[28:29]
	s_and_saveexec_b64 s[10:11], s[4:5]
	s_cbranch_execz .LBB817_233
; %bb.227:
	v_mov_b32_e32 v14, s17
	v_addc_co_u32_e64 v15, s[2:3], v15, v14, s[2:3]
	v_add_co_u32_e64 v14, s[2:3], 8, v20
	v_mov_b32_e32 v16, s17
	v_addc_co_u32_e64 v15, s[2:3], 0, v15, s[2:3]
	v_addc_co_u32_e32 v17, vcc, v17, v16, vcc
	v_add_co_u32_e32 v16, vcc, 8, v18
	s_add_u32 s2, s26, -1
	v_addc_co_u32_e32 v17, vcc, 0, v17, vcc
	s_addc_u32 s3, s27, -1
	s_mov_b64 s[4:5], 0
	s_mov_b64 s[36:37], 0
                                        ; implicit-def: $sgpr16_sgpr17
	s_branch .LBB817_230
.LBB817_228:                            ;   in Loop: Header=BB817_230 Depth=1
	global_load_dwordx2 v[18:19], v[16:17], off
	global_load_dwordx2 v[20:21], v[14:15], off
	v_add_co_u32_e32 v14, vcc, 8, v14
	v_addc_co_u32_e32 v15, vcc, 0, v15, vcc
	v_add_co_u32_e32 v16, vcc, 8, v16
	v_addc_co_u32_e32 v17, vcc, 0, v17, vcc
	s_add_u32 s36, s36, 1
	s_addc_u32 s37, s37, 0
	s_andn2_b64 s[16:17], s[16:17], exec
	s_waitcnt vmcnt(0)
	v_cmp_neq_f64_e32 vcc, v[18:19], v[20:21]
	s_and_b64 s[40:41], vcc, exec
	s_or_b64 s[16:17], s[16:17], s[40:41]
.LBB817_229:                            ;   in Loop: Header=BB817_230 Depth=1
	s_and_b64 s[40:41], exec, s[16:17]
	s_or_b64 s[4:5], s[40:41], s[4:5]
	v_pk_mov_b32 v[18:19], s[36:37], s[36:37] op_sel:[0,1]
	s_andn2_b64 exec, exec, s[4:5]
	s_cbranch_execz .LBB817_232
.LBB817_230:                            ; =>This Inner Loop Header: Depth=1
	s_or_b64 s[16:17], s[16:17], exec
	s_cmp_eq_u64 s[2:3], s[36:37]
	s_cbranch_scc0 .LBB817_228
; %bb.231:                              ;   in Loop: Header=BB817_230 Depth=1
                                        ; implicit-def: $vgpr14_vgpr15
                                        ; implicit-def: $vgpr16_vgpr17
	s_mov_b64 s[36:37], s[26:27]
	s_branch .LBB817_229
.LBB817_232:
	s_or_b64 exec, exec, s[4:5]
	v_cmp_gt_i64_e32 vcc, s[26:27], v[18:19]
	s_orn2_b64 s[36:37], vcc, exec
.LBB817_233:
	s_or_b64 exec, exec, s[10:11]
.LBB817_234:
	s_and_b64 s[2:3], s[36:37], exec
.LBB817_235:
	s_or_b64 exec, exec, s[8:9]
	v_perm_b32 v16, v12, v12, s38
	s_and_b64 s[36:37], s[2:3], exec
	s_or_b64 s[14:15], s[14:15], exec
.LBB817_236:
	s_or_b64 exec, exec, s[6:7]
.LBB817_237:
	s_and_saveexec_b64 s[2:3], s[14:15]
	s_cbranch_execz .LBB817_239
; %bb.238:
	s_waitcnt vmcnt(0) lgkmcnt(0)
	v_lshrrev_b32_e32 v14, 24, v16
	s_movk_i32 s4, 0xff
	v_lshlrev_b16_e32 v14, 8, v14
	v_and_b32_sdwa v15, v16, s4 dst_sel:DWORD dst_unused:UNUSED_PAD src0_sel:WORD_1 src1_sel:DWORD
	v_or_b32_sdwa v14, v15, v14 dst_sel:WORD_1 dst_unused:UNUSED_PAD src0_sel:DWORD src1_sel:DWORD
	v_mov_b32_e32 v15, 8
	v_cndmask_b32_e64 v12, 0, 1, s[36:37]
	v_lshrrev_b32_sdwa v15, v15, v16 dst_sel:BYTE_1 dst_unused:UNUSED_PAD src0_sel:DWORD src1_sel:DWORD
	v_or_b32_e32 v12, v12, v15
	s_mov_b32 s4, 0xffff
	v_or_b32_sdwa v12, v12, v14 dst_sel:DWORD dst_unused:UNUSED_PAD src0_sel:WORD_0 src1_sel:DWORD
	v_and_b32_sdwa v13, s4, v13 dst_sel:DWORD dst_unused:UNUSED_PAD src0_sel:DWORD src1_sel:BYTE_0
.LBB817_239:
	s_or_b64 exec, exec, s[2:3]
	s_andn2_b64 vcc, exec, s[12:13]
	s_cbranch_vccnz .LBB817_241
; %bb.240:
	v_cmp_gt_u32_e32 vcc, s48, v1
	v_cndmask_b32_e32 v1, 0, v12, vcc
	v_and_b32_e32 v1, 0xffff00ff, v1
	v_cmp_gt_u32_e64 s[2:3], s48, v24
	v_cndmask_b32_e64 v1, v1, v12, s[2:3]
	s_waitcnt vmcnt(0) lgkmcnt(0)
	v_lshrrev_b32_e32 v14, 24, v1
	s_mov_b32 s4, 0x40c0100
	v_perm_b32 v1, v14, v1, s4
	v_cmp_gt_u32_e64 s[4:5], s48, v22
	v_cmp_gt_u32_e64 s[6:7], s48, v25
	v_cndmask_b32_e64 v1, v1, v12, s[4:5]
	s_or_b64 s[4:5], s[6:7], s[4:5]
	s_or_b64 s[2:3], s[4:5], s[2:3]
	s_or_b64 vcc, s[2:3], vcc
	v_and_b32_e32 v1, 0xffffff, v1
	v_cndmask_b32_e32 v14, 0, v13, vcc
	v_cndmask_b32_e64 v1, v1, v12, s[6:7]
	v_and_b32_e32 v14, 0xffffff00, v14
	v_cmp_gt_u32_e32 vcc, s48, v23
	v_cndmask_b32_e32 v1, v1, v12, vcc
	v_cndmask_b32_e32 v12, v14, v13, vcc
	s_mov_b32 s2, 0x3020104
	v_and_b32_e32 v13, 0xff, v12
	v_perm_b32 v12, v1, v1, s2
.LBB817_241:
	v_and_b32_e32 v1, 0xff, v12
	v_bfe_u32 v25, v12, 8, 8
	v_bfe_u32 v27, v12, 16, 8
	s_waitcnt vmcnt(0) lgkmcnt(0)
	v_alignbit_b32 v14, v13, v12, 24
	v_and_b32_e32 v28, 0xff, v14
	v_and_b32_e32 v14, 0xff, v13
	v_add3_u32 v15, v25, v1, v27
	v_add3_u32 v31, v15, v28, v14
	v_mbcnt_lo_u32_b32 v14, -1, 0
	v_mbcnt_hi_u32_b32 v29, -1, v14
	v_and_b32_e32 v14, 15, v29
	v_cmp_eq_u32_e64 s[14:15], 0, v14
	v_cmp_lt_u32_e64 s[12:13], 1, v14
	v_cmp_lt_u32_e64 s[10:11], 3, v14
	;; [unrolled: 1-line block ×3, first 2 shown]
	v_and_b32_e32 v14, 16, v29
	v_cmp_eq_u32_e64 s[6:7], 0, v14
	v_or_b32_e32 v14, 63, v0
	v_cmp_lt_u32_e64 s[2:3], 31, v29
	v_lshrrev_b32_e32 v30, 6, v0
	v_cmp_eq_u32_e64 s[4:5], v14, v0
	s_and_b64 vcc, exec, s[34:35]
	s_barrier
	s_cbranch_vccz .LBB817_272
; %bb.242:
	v_mov_b32_dpp v14, v31 row_shr:1 row_mask:0xf bank_mask:0xf
	v_cndmask_b32_e64 v14, v14, 0, s[14:15]
	v_add_u32_e32 v14, v14, v31
	s_nop 1
	v_mov_b32_dpp v15, v14 row_shr:2 row_mask:0xf bank_mask:0xf
	v_cndmask_b32_e64 v15, 0, v15, s[12:13]
	v_add_u32_e32 v14, v14, v15
	s_nop 1
	;; [unrolled: 4-line block ×4, first 2 shown]
	v_mov_b32_dpp v15, v14 row_bcast:15 row_mask:0xf bank_mask:0xf
	v_cndmask_b32_e64 v15, v15, 0, s[6:7]
	v_add_u32_e32 v14, v14, v15
	s_nop 1
	v_mov_b32_dpp v15, v14 row_bcast:31 row_mask:0xf bank_mask:0xf
	v_cndmask_b32_e64 v15, 0, v15, s[2:3]
	v_add_u32_e32 v14, v14, v15
	s_and_saveexec_b64 s[16:17], s[4:5]
	s_cbranch_execz .LBB817_244
; %bb.243:
	v_lshlrev_b32_e32 v15, 2, v30
	ds_write_b32 v15, v14
.LBB817_244:
	s_or_b64 exec, exec, s[16:17]
	v_cmp_gt_u32_e32 vcc, 4, v0
	s_waitcnt lgkmcnt(0)
	s_barrier
	s_and_saveexec_b64 s[16:17], vcc
	s_cbranch_execz .LBB817_246
; %bb.245:
	v_lshlrev_b32_e32 v15, 2, v0
	ds_read_b32 v16, v15
	v_and_b32_e32 v17, 3, v29
	v_cmp_ne_u32_e32 vcc, 0, v17
	s_waitcnt lgkmcnt(0)
	v_mov_b32_dpp v18, v16 row_shr:1 row_mask:0xf bank_mask:0xf
	v_cndmask_b32_e32 v18, 0, v18, vcc
	v_add_u32_e32 v16, v18, v16
	v_cmp_lt_u32_e32 vcc, 1, v17
	s_nop 0
	v_mov_b32_dpp v18, v16 row_shr:2 row_mask:0xf bank_mask:0xf
	v_cndmask_b32_e32 v17, 0, v18, vcc
	v_add_u32_e32 v16, v16, v17
	ds_write_b32 v15, v16
.LBB817_246:
	s_or_b64 exec, exec, s[16:17]
	v_cmp_gt_u32_e32 vcc, 64, v0
	v_cmp_lt_u32_e64 s[16:17], 63, v0
	s_waitcnt lgkmcnt(0)
	s_barrier
	s_waitcnt lgkmcnt(0)
                                        ; implicit-def: $vgpr24
	s_and_saveexec_b64 s[26:27], s[16:17]
	s_cbranch_execz .LBB817_248
; %bb.247:
	v_lshl_add_u32 v15, v30, 2, -4
	ds_read_b32 v24, v15
	s_waitcnt lgkmcnt(0)
	v_add_u32_e32 v14, v24, v14
.LBB817_248:
	s_or_b64 exec, exec, s[26:27]
	v_add_u32_e32 v15, -1, v29
	v_and_b32_e32 v16, 64, v29
	v_cmp_lt_i32_e64 s[16:17], v15, v16
	v_cndmask_b32_e64 v15, v15, v29, s[16:17]
	v_lshlrev_b32_e32 v15, 2, v15
	ds_bpermute_b32 v26, v15, v14
	v_cmp_eq_u32_e64 s[16:17], 0, v29
	s_and_saveexec_b64 s[26:27], vcc
	s_cbranch_execz .LBB817_271
; %bb.249:
	v_mov_b32_e32 v23, 0
	ds_read_b32 v14, v23 offset:12
	s_and_saveexec_b64 s[34:35], s[16:17]
	s_cbranch_execz .LBB817_251
; %bb.250:
	s_add_i32 s36, s33, 64
	s_mov_b32 s37, 0
	s_lshl_b64 s[36:37], s[36:37], 3
	s_add_u32 s36, s18, s36
	v_mov_b32_e32 v15, 1
	s_addc_u32 s37, s19, s37
	s_waitcnt lgkmcnt(0)
	global_store_dwordx2 v23, v[14:15], s[36:37]
.LBB817_251:
	s_or_b64 exec, exec, s[34:35]
	v_xad_u32 v16, v29, -1, s33
	v_add_u32_e32 v22, 64, v16
	v_lshlrev_b64 v[18:19], 3, v[22:23]
	v_mov_b32_e32 v15, s19
	v_add_co_u32_e32 v18, vcc, s18, v18
	v_addc_co_u32_e32 v19, vcc, v15, v19, vcc
	global_load_dwordx2 v[20:21], v[18:19], off glc
	s_waitcnt vmcnt(0)
	v_cmp_eq_u16_sdwa s[36:37], v21, v23 src0_sel:BYTE_0 src1_sel:DWORD
	s_and_saveexec_b64 s[34:35], s[36:37]
	s_cbranch_execz .LBB817_257
; %bb.252:
	s_mov_b32 s38, 1
	s_mov_b64 s[36:37], 0
	v_mov_b32_e32 v15, 0
.LBB817_253:                            ; =>This Loop Header: Depth=1
                                        ;     Child Loop BB817_254 Depth 2
	s_max_u32 s39, s38, 1
.LBB817_254:                            ;   Parent Loop BB817_253 Depth=1
                                        ; =>  This Inner Loop Header: Depth=2
	s_add_i32 s39, s39, -1
	s_cmp_eq_u32 s39, 0
	s_sleep 1
	s_cbranch_scc0 .LBB817_254
; %bb.255:                              ;   in Loop: Header=BB817_253 Depth=1
	global_load_dwordx2 v[20:21], v[18:19], off glc
	s_cmp_lt_u32 s38, 32
	s_cselect_b64 s[40:41], -1, 0
	s_cmp_lg_u64 s[40:41], 0
	s_addc_u32 s38, s38, 0
	s_waitcnt vmcnt(0)
	v_cmp_ne_u16_sdwa s[40:41], v21, v15 src0_sel:BYTE_0 src1_sel:DWORD
	s_or_b64 s[36:37], s[40:41], s[36:37]
	s_andn2_b64 exec, exec, s[36:37]
	s_cbranch_execnz .LBB817_253
; %bb.256:
	s_or_b64 exec, exec, s[36:37]
.LBB817_257:
	s_or_b64 exec, exec, s[34:35]
	v_and_b32_e32 v32, 63, v29
	v_mov_b32_e32 v15, 2
	v_cmp_ne_u32_e32 vcc, 63, v32
	v_cmp_eq_u16_sdwa s[34:35], v21, v15 src0_sel:BYTE_0 src1_sel:DWORD
	v_lshlrev_b64 v[18:19], v29, -1
	v_addc_co_u32_e32 v23, vcc, 0, v29, vcc
	v_and_b32_e32 v17, s35, v19
	v_lshlrev_b32_e32 v33, 2, v23
	v_or_b32_e32 v17, 0x80000000, v17
	ds_bpermute_b32 v23, v33, v20
	v_and_b32_e32 v22, s34, v18
	v_ffbl_b32_e32 v17, v17
	v_add_u32_e32 v17, 32, v17
	v_ffbl_b32_e32 v22, v22
	v_min_u32_e32 v17, v22, v17
	v_cmp_lt_u32_e32 vcc, v32, v17
	s_waitcnt lgkmcnt(0)
	v_cndmask_b32_e32 v22, 0, v23, vcc
	v_cmp_gt_u32_e32 vcc, 62, v32
	v_add_u32_e32 v20, v22, v20
	v_cndmask_b32_e64 v22, 0, 1, vcc
	v_lshlrev_b32_e32 v22, 1, v22
	v_add_lshl_u32 v34, v22, v29, 2
	ds_bpermute_b32 v22, v34, v20
	v_add_u32_e32 v35, 2, v32
	v_cmp_le_u32_e32 vcc, v35, v17
	v_add_u32_e32 v37, 4, v32
	v_add_u32_e32 v39, 8, v32
	s_waitcnt lgkmcnt(0)
	v_cndmask_b32_e32 v22, 0, v22, vcc
	v_cmp_gt_u32_e32 vcc, 60, v32
	v_add_u32_e32 v20, v20, v22
	v_cndmask_b32_e64 v22, 0, 1, vcc
	v_lshlrev_b32_e32 v22, 2, v22
	v_add_lshl_u32 v36, v22, v29, 2
	ds_bpermute_b32 v22, v36, v20
	v_cmp_le_u32_e32 vcc, v37, v17
	v_add_u32_e32 v42, 16, v32
	v_add_u32_e32 v44, 32, v32
	s_waitcnt lgkmcnt(0)
	v_cndmask_b32_e32 v22, 0, v22, vcc
	v_cmp_gt_u32_e32 vcc, 56, v32
	v_add_u32_e32 v20, v20, v22
	v_cndmask_b32_e64 v22, 0, 1, vcc
	v_lshlrev_b32_e32 v22, 3, v22
	v_add_lshl_u32 v38, v22, v29, 2
	ds_bpermute_b32 v22, v38, v20
	v_cmp_le_u32_e32 vcc, v39, v17
	s_waitcnt lgkmcnt(0)
	v_cndmask_b32_e32 v22, 0, v22, vcc
	v_cmp_gt_u32_e32 vcc, 48, v32
	v_add_u32_e32 v20, v20, v22
	v_cndmask_b32_e64 v22, 0, 1, vcc
	v_lshlrev_b32_e32 v22, 4, v22
	v_add_lshl_u32 v41, v22, v29, 2
	ds_bpermute_b32 v22, v41, v20
	v_cmp_le_u32_e32 vcc, v42, v17
	;; [unrolled: 9-line block ×3, first 2 shown]
	s_waitcnt lgkmcnt(0)
	v_cndmask_b32_e32 v17, 0, v22, vcc
	v_add_u32_e32 v20, v20, v17
	v_mov_b32_e32 v17, 0
	s_branch .LBB817_259
.LBB817_258:                            ;   in Loop: Header=BB817_259 Depth=1
	s_or_b64 exec, exec, s[34:35]
	v_cmp_eq_u16_sdwa s[34:35], v21, v15 src0_sel:BYTE_0 src1_sel:DWORD
	v_and_b32_e32 v22, s35, v19
	v_or_b32_e32 v22, 0x80000000, v22
	ds_bpermute_b32 v45, v33, v20
	v_and_b32_e32 v23, s34, v18
	v_ffbl_b32_e32 v22, v22
	v_add_u32_e32 v22, 32, v22
	v_ffbl_b32_e32 v23, v23
	v_min_u32_e32 v22, v23, v22
	v_cmp_lt_u32_e32 vcc, v32, v22
	s_waitcnt lgkmcnt(0)
	v_cndmask_b32_e32 v23, 0, v45, vcc
	v_add_u32_e32 v20, v23, v20
	ds_bpermute_b32 v23, v34, v20
	v_cmp_le_u32_e32 vcc, v35, v22
	v_subrev_u32_e32 v16, 64, v16
	s_waitcnt lgkmcnt(0)
	v_cndmask_b32_e32 v23, 0, v23, vcc
	v_add_u32_e32 v20, v20, v23
	ds_bpermute_b32 v23, v36, v20
	v_cmp_le_u32_e32 vcc, v37, v22
	s_waitcnt lgkmcnt(0)
	v_cndmask_b32_e32 v23, 0, v23, vcc
	v_add_u32_e32 v20, v20, v23
	ds_bpermute_b32 v23, v38, v20
	v_cmp_le_u32_e32 vcc, v39, v22
	;; [unrolled: 5-line block ×4, first 2 shown]
	s_waitcnt lgkmcnt(0)
	v_cndmask_b32_e32 v22, 0, v23, vcc
	v_add3_u32 v20, v22, v40, v20
.LBB817_259:                            ; =>This Loop Header: Depth=1
                                        ;     Child Loop BB817_262 Depth 2
                                        ;       Child Loop BB817_263 Depth 3
	v_cmp_ne_u16_sdwa s[34:35], v21, v15 src0_sel:BYTE_0 src1_sel:DWORD
	v_cndmask_b32_e64 v21, 0, 1, s[34:35]
	;;#ASMSTART
	;;#ASMEND
	v_cmp_ne_u32_e32 vcc, 0, v21
	s_cmp_lg_u64 vcc, exec
	v_mov_b32_e32 v40, v20
	s_cbranch_scc1 .LBB817_266
; %bb.260:                              ;   in Loop: Header=BB817_259 Depth=1
	v_lshlrev_b64 v[20:21], 3, v[16:17]
	v_mov_b32_e32 v23, s19
	v_add_co_u32_e32 v22, vcc, s18, v20
	v_addc_co_u32_e32 v23, vcc, v23, v21, vcc
	global_load_dwordx2 v[20:21], v[22:23], off glc
	s_waitcnt vmcnt(0)
	v_cmp_eq_u16_sdwa s[36:37], v21, v17 src0_sel:BYTE_0 src1_sel:DWORD
	s_and_saveexec_b64 s[34:35], s[36:37]
	s_cbranch_execz .LBB817_258
; %bb.261:                              ;   in Loop: Header=BB817_259 Depth=1
	s_mov_b32 s38, 1
	s_mov_b64 s[36:37], 0
.LBB817_262:                            ;   Parent Loop BB817_259 Depth=1
                                        ; =>  This Loop Header: Depth=2
                                        ;       Child Loop BB817_263 Depth 3
	s_max_u32 s39, s38, 1
.LBB817_263:                            ;   Parent Loop BB817_259 Depth=1
                                        ;     Parent Loop BB817_262 Depth=2
                                        ; =>    This Inner Loop Header: Depth=3
	s_add_i32 s39, s39, -1
	s_cmp_eq_u32 s39, 0
	s_sleep 1
	s_cbranch_scc0 .LBB817_263
; %bb.264:                              ;   in Loop: Header=BB817_262 Depth=2
	global_load_dwordx2 v[20:21], v[22:23], off glc
	s_cmp_lt_u32 s38, 32
	s_cselect_b64 s[40:41], -1, 0
	s_cmp_lg_u64 s[40:41], 0
	s_addc_u32 s38, s38, 0
	s_waitcnt vmcnt(0)
	v_cmp_ne_u16_sdwa s[40:41], v21, v17 src0_sel:BYTE_0 src1_sel:DWORD
	s_or_b64 s[36:37], s[40:41], s[36:37]
	s_andn2_b64 exec, exec, s[36:37]
	s_cbranch_execnz .LBB817_262
; %bb.265:                              ;   in Loop: Header=BB817_259 Depth=1
	s_or_b64 exec, exec, s[36:37]
	s_branch .LBB817_258
.LBB817_266:                            ;   in Loop: Header=BB817_259 Depth=1
                                        ; implicit-def: $vgpr20
                                        ; implicit-def: $vgpr21
	s_cbranch_execz .LBB817_259
; %bb.267:
	s_and_saveexec_b64 s[34:35], s[16:17]
	s_cbranch_execz .LBB817_269
; %bb.268:
	s_add_i32 s36, s33, 64
	s_mov_b32 s37, 0
	s_lshl_b64 s[36:37], s[36:37], 3
	s_add_u32 s36, s18, s36
	v_add_u32_e32 v16, v40, v14
	v_mov_b32_e32 v17, 2
	s_addc_u32 s37, s19, s37
	v_mov_b32_e32 v15, 0
	s_movk_i32 s33, 0x2800
	global_store_dwordx2 v15, v[16:17], s[36:37]
	v_add_u32_e64 v15, s33, 0
	ds_write2_b32 v15, v14, v40 offset1:2
.LBB817_269:
	s_or_b64 exec, exec, s[34:35]
	s_and_b64 exec, exec, s[0:1]
	s_cbranch_execz .LBB817_271
; %bb.270:
	v_mov_b32_e32 v14, 0
	ds_write_b32 v14, v40 offset:12
.LBB817_271:
	s_or_b64 exec, exec, s[26:27]
	v_mov_b32_e32 v14, 0
	s_waitcnt lgkmcnt(0)
	s_barrier
	ds_read_b32 v14, v14 offset:12
	v_cndmask_b32_e64 v15, v26, v24, s[16:17]
	v_cndmask_b32_e64 v15, v15, 0, s[0:1]
	s_movk_i32 s16, 0x2800
	s_waitcnt lgkmcnt(0)
	v_add_u32_e32 v26, v14, v15
	v_add_u32_e64 v14, s16, 0
	s_barrier
	ds_read2_b32 v[14:15], v14 offset1:2
	v_add_u32_e32 v24, v26, v1
	v_add_u32_e32 v22, v24, v25
	v_add_u32_e32 v20, v22, v27
	v_add_u32_e32 v18, v20, v28
	v_lshrrev_b64 v[16:17], 24, v[12:13]
	s_branch .LBB817_282
.LBB817_272:
                                        ; implicit-def: $vgpr18
                                        ; implicit-def: $vgpr20
                                        ; implicit-def: $vgpr22
                                        ; implicit-def: $vgpr24
                                        ; implicit-def: $vgpr26
                                        ; implicit-def: $vgpr15
	v_lshrrev_b64 v[16:17], 24, v[12:13]
	s_cbranch_execz .LBB817_282
; %bb.273:
	s_waitcnt lgkmcnt(0)
	v_mov_b32_dpp v14, v31 row_shr:1 row_mask:0xf bank_mask:0xf
	v_cndmask_b32_e64 v14, v14, 0, s[14:15]
	v_add_u32_e32 v14, v14, v31
	s_nop 1
	v_mov_b32_dpp v15, v14 row_shr:2 row_mask:0xf bank_mask:0xf
	v_cndmask_b32_e64 v15, 0, v15, s[12:13]
	v_add_u32_e32 v14, v14, v15
	s_nop 1
	;; [unrolled: 4-line block ×4, first 2 shown]
	v_mov_b32_dpp v15, v14 row_bcast:15 row_mask:0xf bank_mask:0xf
	v_cndmask_b32_e64 v15, v15, 0, s[6:7]
	v_add_u32_e32 v14, v14, v15
	s_nop 1
	v_mov_b32_dpp v15, v14 row_bcast:31 row_mask:0xf bank_mask:0xf
	v_cndmask_b32_e64 v15, 0, v15, s[2:3]
	v_add_u32_e32 v14, v14, v15
	s_and_saveexec_b64 s[2:3], s[4:5]
	s_cbranch_execz .LBB817_275
; %bb.274:
	v_lshlrev_b32_e32 v15, 2, v30
	ds_write_b32 v15, v14
.LBB817_275:
	s_or_b64 exec, exec, s[2:3]
	v_cmp_gt_u32_e32 vcc, 4, v0
	s_waitcnt lgkmcnt(0)
	s_barrier
	s_and_saveexec_b64 s[2:3], vcc
	s_cbranch_execz .LBB817_277
; %bb.276:
	v_lshlrev_b32_e32 v15, 2, v0
	ds_read_b32 v17, v15
	v_and_b32_e32 v18, 3, v29
	v_cmp_ne_u32_e32 vcc, 0, v18
	s_waitcnt lgkmcnt(0)
	v_mov_b32_dpp v19, v17 row_shr:1 row_mask:0xf bank_mask:0xf
	v_cndmask_b32_e32 v19, 0, v19, vcc
	v_add_u32_e32 v17, v19, v17
	v_cmp_lt_u32_e32 vcc, 1, v18
	s_nop 0
	v_mov_b32_dpp v19, v17 row_shr:2 row_mask:0xf bank_mask:0xf
	v_cndmask_b32_e32 v18, 0, v19, vcc
	v_add_u32_e32 v17, v17, v18
	ds_write_b32 v15, v17
.LBB817_277:
	s_or_b64 exec, exec, s[2:3]
	v_cmp_lt_u32_e32 vcc, 63, v0
	v_mov_b32_e32 v15, 0
	v_mov_b32_e32 v17, 0
	s_waitcnt lgkmcnt(0)
	s_barrier
	s_and_saveexec_b64 s[2:3], vcc
	s_cbranch_execz .LBB817_279
; %bb.278:
	v_lshl_add_u32 v17, v30, 2, -4
	ds_read_b32 v17, v17
.LBB817_279:
	s_or_b64 exec, exec, s[2:3]
	v_add_u32_e32 v18, -1, v29
	v_and_b32_e32 v19, 64, v29
	v_cmp_lt_i32_e32 vcc, v18, v19
	v_cndmask_b32_e32 v18, v18, v29, vcc
	s_waitcnt lgkmcnt(0)
	v_add_u32_e32 v14, v17, v14
	v_lshlrev_b32_e32 v18, 2, v18
	ds_bpermute_b32 v18, v18, v14
	ds_read_b32 v14, v15 offset:12
	s_and_saveexec_b64 s[2:3], s[0:1]
	s_cbranch_execz .LBB817_281
; %bb.280:
	v_mov_b32_e32 v19, 0
	v_mov_b32_e32 v15, 2
	s_waitcnt lgkmcnt(0)
	global_store_dwordx2 v19, v[14:15], s[18:19] offset:512
.LBB817_281:
	s_or_b64 exec, exec, s[2:3]
	v_cmp_eq_u32_e32 vcc, 0, v29
	s_waitcnt lgkmcnt(1)
	v_cndmask_b32_e32 v17, v18, v17, vcc
	v_cndmask_b32_e64 v26, v17, 0, s[0:1]
	v_add_u32_e32 v24, v26, v1
	v_add_u32_e32 v22, v24, v25
	;; [unrolled: 1-line block ×3, first 2 shown]
	v_mov_b32_e32 v15, 0
	v_add_u32_e32 v18, v20, v28
	s_waitcnt lgkmcnt(0)
	s_barrier
.LBB817_282:
	s_movk_i32 s2, 0x101
	s_waitcnt lgkmcnt(0)
	v_cmp_gt_u32_e32 vcc, s2, v14
	v_lshrrev_b32_e32 v1, 8, v12
	s_mov_b64 s[2:3], -1
	s_cbranch_vccnz .LBB817_286
; %bb.283:
	s_and_b64 vcc, exec, s[2:3]
	s_cbranch_vccnz .LBB817_302
.LBB817_284:
	s_and_b64 s[0:1], s[0:1], s[24:25]
	s_and_saveexec_b64 s[2:3], s[0:1]
	s_cbranch_execnz .LBB817_316
.LBB817_285:
	s_endpgm
.LBB817_286:
	v_add_u32_e32 v17, v15, v14
	v_cmp_lt_u32_e32 vcc, v26, v17
	s_or_b64 s[4:5], s[30:31], vcc
	s_and_saveexec_b64 s[2:3], s[4:5]
	s_cbranch_execz .LBB817_289
; %bb.287:
	v_and_b32_e32 v19, 1, v12
	v_cmp_eq_u32_e32 vcc, 1, v19
	s_and_b64 exec, exec, vcc
	s_cbranch_execz .LBB817_289
; %bb.288:
	s_lshl_b64 s[4:5], s[22:23], 3
	s_add_u32 s4, s28, s4
	v_mov_b32_e32 v27, 0
	s_addc_u32 s5, s29, s5
	v_lshlrev_b64 v[28:29], 3, v[26:27]
	v_mov_b32_e32 v19, s5
	v_add_co_u32_e32 v28, vcc, s4, v28
	v_addc_co_u32_e32 v29, vcc, v19, v29, vcc
	global_store_dwordx2 v[28:29], v[6:7], off
.LBB817_289:
	s_or_b64 exec, exec, s[2:3]
	v_cmp_lt_u32_e32 vcc, v24, v17
	s_or_b64 s[4:5], s[30:31], vcc
	s_and_saveexec_b64 s[2:3], s[4:5]
	s_cbranch_execz .LBB817_292
; %bb.290:
	v_and_b32_e32 v19, 1, v1
	v_cmp_eq_u32_e32 vcc, 1, v19
	s_and_b64 exec, exec, vcc
	s_cbranch_execz .LBB817_292
; %bb.291:
	s_lshl_b64 s[4:5], s[22:23], 3
	s_add_u32 s4, s28, s4
	v_mov_b32_e32 v25, 0
	s_addc_u32 s5, s29, s5
	v_lshlrev_b64 v[28:29], 3, v[24:25]
	v_mov_b32_e32 v19, s5
	v_add_co_u32_e32 v28, vcc, s4, v28
	v_addc_co_u32_e32 v29, vcc, v19, v29, vcc
	global_store_dwordx2 v[28:29], v[8:9], off
.LBB817_292:
	s_or_b64 exec, exec, s[2:3]
	v_cmp_lt_u32_e32 vcc, v22, v17
	s_or_b64 s[4:5], s[30:31], vcc
	s_and_saveexec_b64 s[2:3], s[4:5]
	s_cbranch_execz .LBB817_295
; %bb.293:
	v_mov_b32_e32 v19, 1
	v_and_b32_sdwa v19, v19, v12 dst_sel:DWORD dst_unused:UNUSED_PAD src0_sel:DWORD src1_sel:WORD_1
	v_cmp_eq_u32_e32 vcc, 1, v19
	s_and_b64 exec, exec, vcc
	s_cbranch_execz .LBB817_295
; %bb.294:
	s_lshl_b64 s[4:5], s[22:23], 3
	s_add_u32 s4, s28, s4
	v_mov_b32_e32 v23, 0
	s_addc_u32 s5, s29, s5
	v_lshlrev_b64 v[28:29], 3, v[22:23]
	v_mov_b32_e32 v19, s5
	v_add_co_u32_e32 v28, vcc, s4, v28
	v_addc_co_u32_e32 v29, vcc, v19, v29, vcc
	global_store_dwordx2 v[28:29], v[2:3], off
.LBB817_295:
	s_or_b64 exec, exec, s[2:3]
	v_cmp_lt_u32_e32 vcc, v20, v17
	s_or_b64 s[4:5], s[30:31], vcc
	s_and_saveexec_b64 s[2:3], s[4:5]
	s_cbranch_execz .LBB817_298
; %bb.296:
	v_and_b32_e32 v19, 1, v16
	v_cmp_eq_u32_e32 vcc, 1, v19
	s_and_b64 exec, exec, vcc
	s_cbranch_execz .LBB817_298
; %bb.297:
	s_lshl_b64 s[4:5], s[22:23], 3
	s_add_u32 s4, s28, s4
	v_mov_b32_e32 v21, 0
	s_addc_u32 s5, s29, s5
	v_lshlrev_b64 v[28:29], 3, v[20:21]
	v_mov_b32_e32 v19, s5
	v_add_co_u32_e32 v28, vcc, s4, v28
	v_addc_co_u32_e32 v29, vcc, v19, v29, vcc
	global_store_dwordx2 v[28:29], v[4:5], off
.LBB817_298:
	s_or_b64 exec, exec, s[2:3]
	v_cmp_lt_u32_e32 vcc, v18, v17
	s_or_b64 s[4:5], s[30:31], vcc
	s_and_saveexec_b64 s[2:3], s[4:5]
	s_cbranch_execz .LBB817_301
; %bb.299:
	v_and_b32_e32 v17, 1, v13
	v_cmp_eq_u32_e32 vcc, 1, v17
	s_and_b64 exec, exec, vcc
	s_cbranch_execz .LBB817_301
; %bb.300:
	s_lshl_b64 s[4:5], s[22:23], 3
	s_add_u32 s4, s28, s4
	v_mov_b32_e32 v19, 0
	s_addc_u32 s5, s29, s5
	v_lshlrev_b64 v[28:29], 3, v[18:19]
	v_mov_b32_e32 v17, s5
	v_add_co_u32_e32 v28, vcc, s4, v28
	v_addc_co_u32_e32 v29, vcc, v17, v29, vcc
	global_store_dwordx2 v[28:29], v[10:11], off
.LBB817_301:
	s_or_b64 exec, exec, s[2:3]
	s_branch .LBB817_284
.LBB817_302:
	v_and_b32_e32 v17, 1, v12
	v_cmp_eq_u32_e32 vcc, 1, v17
	s_and_saveexec_b64 s[2:3], vcc
	s_cbranch_execz .LBB817_304
; %bb.303:
	v_sub_u32_e32 v17, v26, v15
	v_lshlrev_b32_e32 v17, 3, v17
	ds_write_b64 v17, v[6:7]
.LBB817_304:
	s_or_b64 exec, exec, s[2:3]
	v_and_b32_e32 v1, 1, v1
	v_cmp_eq_u32_e32 vcc, 1, v1
	s_and_saveexec_b64 s[2:3], vcc
	s_cbranch_execz .LBB817_306
; %bb.305:
	v_sub_u32_e32 v1, v24, v15
	v_lshlrev_b32_e32 v1, 3, v1
	ds_write_b64 v1, v[8:9]
.LBB817_306:
	s_or_b64 exec, exec, s[2:3]
	v_mov_b32_e32 v1, 1
	v_and_b32_sdwa v1, v1, v12 dst_sel:DWORD dst_unused:UNUSED_PAD src0_sel:DWORD src1_sel:WORD_1
	v_cmp_eq_u32_e32 vcc, 1, v1
	s_and_saveexec_b64 s[2:3], vcc
	s_cbranch_execz .LBB817_308
; %bb.307:
	v_sub_u32_e32 v1, v22, v15
	v_lshlrev_b32_e32 v1, 3, v1
	ds_write_b64 v1, v[2:3]
.LBB817_308:
	s_or_b64 exec, exec, s[2:3]
	v_and_b32_e32 v1, 1, v16
	v_cmp_eq_u32_e32 vcc, 1, v1
	s_and_saveexec_b64 s[2:3], vcc
	s_cbranch_execz .LBB817_310
; %bb.309:
	v_sub_u32_e32 v1, v20, v15
	v_lshlrev_b32_e32 v1, 3, v1
	ds_write_b64 v1, v[4:5]
.LBB817_310:
	s_or_b64 exec, exec, s[2:3]
	v_and_b32_e32 v1, 1, v13
	v_cmp_eq_u32_e32 vcc, 1, v1
	s_and_saveexec_b64 s[2:3], vcc
	s_cbranch_execz .LBB817_312
; %bb.311:
	v_sub_u32_e32 v1, v18, v15
	v_lshlrev_b32_e32 v1, 3, v1
	ds_write_b64 v1, v[10:11]
.LBB817_312:
	s_or_b64 exec, exec, s[2:3]
	v_cmp_lt_u32_e32 vcc, v0, v14
	s_waitcnt lgkmcnt(0)
	s_barrier
	s_and_saveexec_b64 s[2:3], vcc
	s_cbranch_execz .LBB817_315
; %bb.313:
	v_mov_b32_e32 v1, 0
	v_mov_b32_e32 v2, v15
	;; [unrolled: 1-line block ×3, first 2 shown]
	v_lshlrev_b64 v[2:3], 3, v[2:3]
	v_mov_b32_e32 v4, s29
	v_add_co_u32_e32 v2, vcc, s28, v2
	v_addc_co_u32_e32 v3, vcc, v4, v3, vcc
	s_lshl_b64 s[4:5], s[22:23], 3
	v_mov_b32_e32 v4, s5
	v_add_co_u32_e32 v2, vcc, s4, v2
	v_addc_co_u32_e32 v3, vcc, v3, v4, vcc
	v_lshlrev_b32_e32 v4, 3, v0
	s_mov_b64 s[4:5], 0
.LBB817_314:                            ; =>This Inner Loop Header: Depth=1
	ds_read_b64 v[6:7], v4
	v_lshlrev_b64 v[8:9], 3, v[0:1]
	v_add_co_u32_e32 v8, vcc, v2, v8
	v_add_u32_e32 v0, 0x100, v0
	v_addc_co_u32_e32 v9, vcc, v3, v9, vcc
	v_cmp_ge_u32_e32 vcc, v0, v14
	v_add_u32_e32 v4, 0x800, v4
	s_or_b64 s[4:5], vcc, s[4:5]
	s_waitcnt lgkmcnt(0)
	global_store_dwordx2 v[8:9], v[6:7], off
	s_andn2_b64 exec, exec, s[4:5]
	s_cbranch_execnz .LBB817_314
.LBB817_315:
	s_or_b64 exec, exec, s[2:3]
	s_and_b64 s[0:1], s[0:1], s[24:25]
	s_and_saveexec_b64 s[2:3], s[0:1]
	s_cbranch_execz .LBB817_285
.LBB817_316:
	v_mov_b32_e32 v0, s23
	v_add_co_u32_e32 v1, vcc, s22, v14
	v_addc_co_u32_e32 v3, vcc, 0, v0, vcc
	v_add_co_u32_e32 v0, vcc, v1, v15
	v_mov_b32_e32 v2, 0
	v_addc_co_u32_e32 v1, vcc, 0, v3, vcc
	global_store_dwordx2 v2, v[0:1], s[20:21]
	s_endpgm
	.section	.rodata,"a",@progbits
	.p2align	6, 0x0
	.amdhsa_kernel _ZN7rocprim17ROCPRIM_400000_NS6detail17trampoline_kernelINS0_14default_configENS1_25partition_config_selectorILNS1_17partition_subalgoE8ElNS0_10empty_typeEbEEZZNS1_14partition_implILS5_8ELb0ES3_jPlPS6_PKS6_NS0_5tupleIJS9_S6_EEENSD_IJSA_SA_EEENS0_18inequality_wrapperIZN2at6native12_GLOBAL__N_124unique_dim_cuda_templateIdEESt5tupleIJNSH_6TensorESM_SM_EERKSM_lbbbEUlllE0_EEPmJS6_EEE10hipError_tPvRmT3_T4_T5_T6_T7_T9_mT8_P12ihipStream_tbDpT10_ENKUlT_T0_E_clISt17integral_constantIbLb1EES1C_EEDaS17_S18_EUlS17_E_NS1_11comp_targetILNS1_3genE4ELNS1_11target_archE910ELNS1_3gpuE8ELNS1_3repE0EEENS1_30default_config_static_selectorELNS0_4arch9wavefront6targetE1EEEvT1_
		.amdhsa_group_segment_fixed_size 10252
		.amdhsa_private_segment_fixed_size 0
		.amdhsa_kernarg_size 136
		.amdhsa_user_sgpr_count 6
		.amdhsa_user_sgpr_private_segment_buffer 1
		.amdhsa_user_sgpr_dispatch_ptr 0
		.amdhsa_user_sgpr_queue_ptr 0
		.amdhsa_user_sgpr_kernarg_segment_ptr 1
		.amdhsa_user_sgpr_dispatch_id 0
		.amdhsa_user_sgpr_flat_scratch_init 0
		.amdhsa_user_sgpr_kernarg_preload_length 0
		.amdhsa_user_sgpr_kernarg_preload_offset 0
		.amdhsa_user_sgpr_private_segment_size 0
		.amdhsa_uses_dynamic_stack 0
		.amdhsa_system_sgpr_private_segment_wavefront_offset 0
		.amdhsa_system_sgpr_workgroup_id_x 1
		.amdhsa_system_sgpr_workgroup_id_y 0
		.amdhsa_system_sgpr_workgroup_id_z 0
		.amdhsa_system_sgpr_workgroup_info 0
		.amdhsa_system_vgpr_workitem_id 0
		.amdhsa_next_free_vgpr 46
		.amdhsa_next_free_sgpr 52
		.amdhsa_accum_offset 48
		.amdhsa_reserve_vcc 1
		.amdhsa_reserve_flat_scratch 0
		.amdhsa_float_round_mode_32 0
		.amdhsa_float_round_mode_16_64 0
		.amdhsa_float_denorm_mode_32 3
		.amdhsa_float_denorm_mode_16_64 3
		.amdhsa_dx10_clamp 1
		.amdhsa_ieee_mode 1
		.amdhsa_fp16_overflow 0
		.amdhsa_tg_split 0
		.amdhsa_exception_fp_ieee_invalid_op 0
		.amdhsa_exception_fp_denorm_src 0
		.amdhsa_exception_fp_ieee_div_zero 0
		.amdhsa_exception_fp_ieee_overflow 0
		.amdhsa_exception_fp_ieee_underflow 0
		.amdhsa_exception_fp_ieee_inexact 0
		.amdhsa_exception_int_div_zero 0
	.end_amdhsa_kernel
	.section	.text._ZN7rocprim17ROCPRIM_400000_NS6detail17trampoline_kernelINS0_14default_configENS1_25partition_config_selectorILNS1_17partition_subalgoE8ElNS0_10empty_typeEbEEZZNS1_14partition_implILS5_8ELb0ES3_jPlPS6_PKS6_NS0_5tupleIJS9_S6_EEENSD_IJSA_SA_EEENS0_18inequality_wrapperIZN2at6native12_GLOBAL__N_124unique_dim_cuda_templateIdEESt5tupleIJNSH_6TensorESM_SM_EERKSM_lbbbEUlllE0_EEPmJS6_EEE10hipError_tPvRmT3_T4_T5_T6_T7_T9_mT8_P12ihipStream_tbDpT10_ENKUlT_T0_E_clISt17integral_constantIbLb1EES1C_EEDaS17_S18_EUlS17_E_NS1_11comp_targetILNS1_3genE4ELNS1_11target_archE910ELNS1_3gpuE8ELNS1_3repE0EEENS1_30default_config_static_selectorELNS0_4arch9wavefront6targetE1EEEvT1_,"axG",@progbits,_ZN7rocprim17ROCPRIM_400000_NS6detail17trampoline_kernelINS0_14default_configENS1_25partition_config_selectorILNS1_17partition_subalgoE8ElNS0_10empty_typeEbEEZZNS1_14partition_implILS5_8ELb0ES3_jPlPS6_PKS6_NS0_5tupleIJS9_S6_EEENSD_IJSA_SA_EEENS0_18inequality_wrapperIZN2at6native12_GLOBAL__N_124unique_dim_cuda_templateIdEESt5tupleIJNSH_6TensorESM_SM_EERKSM_lbbbEUlllE0_EEPmJS6_EEE10hipError_tPvRmT3_T4_T5_T6_T7_T9_mT8_P12ihipStream_tbDpT10_ENKUlT_T0_E_clISt17integral_constantIbLb1EES1C_EEDaS17_S18_EUlS17_E_NS1_11comp_targetILNS1_3genE4ELNS1_11target_archE910ELNS1_3gpuE8ELNS1_3repE0EEENS1_30default_config_static_selectorELNS0_4arch9wavefront6targetE1EEEvT1_,comdat
.Lfunc_end817:
	.size	_ZN7rocprim17ROCPRIM_400000_NS6detail17trampoline_kernelINS0_14default_configENS1_25partition_config_selectorILNS1_17partition_subalgoE8ElNS0_10empty_typeEbEEZZNS1_14partition_implILS5_8ELb0ES3_jPlPS6_PKS6_NS0_5tupleIJS9_S6_EEENSD_IJSA_SA_EEENS0_18inequality_wrapperIZN2at6native12_GLOBAL__N_124unique_dim_cuda_templateIdEESt5tupleIJNSH_6TensorESM_SM_EERKSM_lbbbEUlllE0_EEPmJS6_EEE10hipError_tPvRmT3_T4_T5_T6_T7_T9_mT8_P12ihipStream_tbDpT10_ENKUlT_T0_E_clISt17integral_constantIbLb1EES1C_EEDaS17_S18_EUlS17_E_NS1_11comp_targetILNS1_3genE4ELNS1_11target_archE910ELNS1_3gpuE8ELNS1_3repE0EEENS1_30default_config_static_selectorELNS0_4arch9wavefront6targetE1EEEvT1_, .Lfunc_end817-_ZN7rocprim17ROCPRIM_400000_NS6detail17trampoline_kernelINS0_14default_configENS1_25partition_config_selectorILNS1_17partition_subalgoE8ElNS0_10empty_typeEbEEZZNS1_14partition_implILS5_8ELb0ES3_jPlPS6_PKS6_NS0_5tupleIJS9_S6_EEENSD_IJSA_SA_EEENS0_18inequality_wrapperIZN2at6native12_GLOBAL__N_124unique_dim_cuda_templateIdEESt5tupleIJNSH_6TensorESM_SM_EERKSM_lbbbEUlllE0_EEPmJS6_EEE10hipError_tPvRmT3_T4_T5_T6_T7_T9_mT8_P12ihipStream_tbDpT10_ENKUlT_T0_E_clISt17integral_constantIbLb1EES1C_EEDaS17_S18_EUlS17_E_NS1_11comp_targetILNS1_3genE4ELNS1_11target_archE910ELNS1_3gpuE8ELNS1_3repE0EEENS1_30default_config_static_selectorELNS0_4arch9wavefront6targetE1EEEvT1_
                                        ; -- End function
	.section	.AMDGPU.csdata,"",@progbits
; Kernel info:
; codeLenInByte = 11652
; NumSgprs: 56
; NumVgprs: 46
; NumAgprs: 0
; TotalNumVgprs: 46
; ScratchSize: 0
; MemoryBound: 1
; FloatMode: 240
; IeeeMode: 1
; LDSByteSize: 10252 bytes/workgroup (compile time only)
; SGPRBlocks: 6
; VGPRBlocks: 5
; NumSGPRsForWavesPerEU: 56
; NumVGPRsForWavesPerEU: 46
; AccumOffset: 48
; Occupancy: 6
; WaveLimiterHint : 1
; COMPUTE_PGM_RSRC2:SCRATCH_EN: 0
; COMPUTE_PGM_RSRC2:USER_SGPR: 6
; COMPUTE_PGM_RSRC2:TRAP_HANDLER: 0
; COMPUTE_PGM_RSRC2:TGID_X_EN: 1
; COMPUTE_PGM_RSRC2:TGID_Y_EN: 0
; COMPUTE_PGM_RSRC2:TGID_Z_EN: 0
; COMPUTE_PGM_RSRC2:TIDIG_COMP_CNT: 0
; COMPUTE_PGM_RSRC3_GFX90A:ACCUM_OFFSET: 11
; COMPUTE_PGM_RSRC3_GFX90A:TG_SPLIT: 0
	.section	.text._ZN7rocprim17ROCPRIM_400000_NS6detail17trampoline_kernelINS0_14default_configENS1_25partition_config_selectorILNS1_17partition_subalgoE8ElNS0_10empty_typeEbEEZZNS1_14partition_implILS5_8ELb0ES3_jPlPS6_PKS6_NS0_5tupleIJS9_S6_EEENSD_IJSA_SA_EEENS0_18inequality_wrapperIZN2at6native12_GLOBAL__N_124unique_dim_cuda_templateIdEESt5tupleIJNSH_6TensorESM_SM_EERKSM_lbbbEUlllE0_EEPmJS6_EEE10hipError_tPvRmT3_T4_T5_T6_T7_T9_mT8_P12ihipStream_tbDpT10_ENKUlT_T0_E_clISt17integral_constantIbLb1EES1C_EEDaS17_S18_EUlS17_E_NS1_11comp_targetILNS1_3genE3ELNS1_11target_archE908ELNS1_3gpuE7ELNS1_3repE0EEENS1_30default_config_static_selectorELNS0_4arch9wavefront6targetE1EEEvT1_,"axG",@progbits,_ZN7rocprim17ROCPRIM_400000_NS6detail17trampoline_kernelINS0_14default_configENS1_25partition_config_selectorILNS1_17partition_subalgoE8ElNS0_10empty_typeEbEEZZNS1_14partition_implILS5_8ELb0ES3_jPlPS6_PKS6_NS0_5tupleIJS9_S6_EEENSD_IJSA_SA_EEENS0_18inequality_wrapperIZN2at6native12_GLOBAL__N_124unique_dim_cuda_templateIdEESt5tupleIJNSH_6TensorESM_SM_EERKSM_lbbbEUlllE0_EEPmJS6_EEE10hipError_tPvRmT3_T4_T5_T6_T7_T9_mT8_P12ihipStream_tbDpT10_ENKUlT_T0_E_clISt17integral_constantIbLb1EES1C_EEDaS17_S18_EUlS17_E_NS1_11comp_targetILNS1_3genE3ELNS1_11target_archE908ELNS1_3gpuE7ELNS1_3repE0EEENS1_30default_config_static_selectorELNS0_4arch9wavefront6targetE1EEEvT1_,comdat
	.globl	_ZN7rocprim17ROCPRIM_400000_NS6detail17trampoline_kernelINS0_14default_configENS1_25partition_config_selectorILNS1_17partition_subalgoE8ElNS0_10empty_typeEbEEZZNS1_14partition_implILS5_8ELb0ES3_jPlPS6_PKS6_NS0_5tupleIJS9_S6_EEENSD_IJSA_SA_EEENS0_18inequality_wrapperIZN2at6native12_GLOBAL__N_124unique_dim_cuda_templateIdEESt5tupleIJNSH_6TensorESM_SM_EERKSM_lbbbEUlllE0_EEPmJS6_EEE10hipError_tPvRmT3_T4_T5_T6_T7_T9_mT8_P12ihipStream_tbDpT10_ENKUlT_T0_E_clISt17integral_constantIbLb1EES1C_EEDaS17_S18_EUlS17_E_NS1_11comp_targetILNS1_3genE3ELNS1_11target_archE908ELNS1_3gpuE7ELNS1_3repE0EEENS1_30default_config_static_selectorELNS0_4arch9wavefront6targetE1EEEvT1_ ; -- Begin function _ZN7rocprim17ROCPRIM_400000_NS6detail17trampoline_kernelINS0_14default_configENS1_25partition_config_selectorILNS1_17partition_subalgoE8ElNS0_10empty_typeEbEEZZNS1_14partition_implILS5_8ELb0ES3_jPlPS6_PKS6_NS0_5tupleIJS9_S6_EEENSD_IJSA_SA_EEENS0_18inequality_wrapperIZN2at6native12_GLOBAL__N_124unique_dim_cuda_templateIdEESt5tupleIJNSH_6TensorESM_SM_EERKSM_lbbbEUlllE0_EEPmJS6_EEE10hipError_tPvRmT3_T4_T5_T6_T7_T9_mT8_P12ihipStream_tbDpT10_ENKUlT_T0_E_clISt17integral_constantIbLb1EES1C_EEDaS17_S18_EUlS17_E_NS1_11comp_targetILNS1_3genE3ELNS1_11target_archE908ELNS1_3gpuE7ELNS1_3repE0EEENS1_30default_config_static_selectorELNS0_4arch9wavefront6targetE1EEEvT1_
	.p2align	8
	.type	_ZN7rocprim17ROCPRIM_400000_NS6detail17trampoline_kernelINS0_14default_configENS1_25partition_config_selectorILNS1_17partition_subalgoE8ElNS0_10empty_typeEbEEZZNS1_14partition_implILS5_8ELb0ES3_jPlPS6_PKS6_NS0_5tupleIJS9_S6_EEENSD_IJSA_SA_EEENS0_18inequality_wrapperIZN2at6native12_GLOBAL__N_124unique_dim_cuda_templateIdEESt5tupleIJNSH_6TensorESM_SM_EERKSM_lbbbEUlllE0_EEPmJS6_EEE10hipError_tPvRmT3_T4_T5_T6_T7_T9_mT8_P12ihipStream_tbDpT10_ENKUlT_T0_E_clISt17integral_constantIbLb1EES1C_EEDaS17_S18_EUlS17_E_NS1_11comp_targetILNS1_3genE3ELNS1_11target_archE908ELNS1_3gpuE7ELNS1_3repE0EEENS1_30default_config_static_selectorELNS0_4arch9wavefront6targetE1EEEvT1_,@function
_ZN7rocprim17ROCPRIM_400000_NS6detail17trampoline_kernelINS0_14default_configENS1_25partition_config_selectorILNS1_17partition_subalgoE8ElNS0_10empty_typeEbEEZZNS1_14partition_implILS5_8ELb0ES3_jPlPS6_PKS6_NS0_5tupleIJS9_S6_EEENSD_IJSA_SA_EEENS0_18inequality_wrapperIZN2at6native12_GLOBAL__N_124unique_dim_cuda_templateIdEESt5tupleIJNSH_6TensorESM_SM_EERKSM_lbbbEUlllE0_EEPmJS6_EEE10hipError_tPvRmT3_T4_T5_T6_T7_T9_mT8_P12ihipStream_tbDpT10_ENKUlT_T0_E_clISt17integral_constantIbLb1EES1C_EEDaS17_S18_EUlS17_E_NS1_11comp_targetILNS1_3genE3ELNS1_11target_archE908ELNS1_3gpuE7ELNS1_3repE0EEENS1_30default_config_static_selectorELNS0_4arch9wavefront6targetE1EEEvT1_: ; @_ZN7rocprim17ROCPRIM_400000_NS6detail17trampoline_kernelINS0_14default_configENS1_25partition_config_selectorILNS1_17partition_subalgoE8ElNS0_10empty_typeEbEEZZNS1_14partition_implILS5_8ELb0ES3_jPlPS6_PKS6_NS0_5tupleIJS9_S6_EEENSD_IJSA_SA_EEENS0_18inequality_wrapperIZN2at6native12_GLOBAL__N_124unique_dim_cuda_templateIdEESt5tupleIJNSH_6TensorESM_SM_EERKSM_lbbbEUlllE0_EEPmJS6_EEE10hipError_tPvRmT3_T4_T5_T6_T7_T9_mT8_P12ihipStream_tbDpT10_ENKUlT_T0_E_clISt17integral_constantIbLb1EES1C_EEDaS17_S18_EUlS17_E_NS1_11comp_targetILNS1_3genE3ELNS1_11target_archE908ELNS1_3gpuE7ELNS1_3repE0EEENS1_30default_config_static_selectorELNS0_4arch9wavefront6targetE1EEEvT1_
; %bb.0:
	.section	.rodata,"a",@progbits
	.p2align	6, 0x0
	.amdhsa_kernel _ZN7rocprim17ROCPRIM_400000_NS6detail17trampoline_kernelINS0_14default_configENS1_25partition_config_selectorILNS1_17partition_subalgoE8ElNS0_10empty_typeEbEEZZNS1_14partition_implILS5_8ELb0ES3_jPlPS6_PKS6_NS0_5tupleIJS9_S6_EEENSD_IJSA_SA_EEENS0_18inequality_wrapperIZN2at6native12_GLOBAL__N_124unique_dim_cuda_templateIdEESt5tupleIJNSH_6TensorESM_SM_EERKSM_lbbbEUlllE0_EEPmJS6_EEE10hipError_tPvRmT3_T4_T5_T6_T7_T9_mT8_P12ihipStream_tbDpT10_ENKUlT_T0_E_clISt17integral_constantIbLb1EES1C_EEDaS17_S18_EUlS17_E_NS1_11comp_targetILNS1_3genE3ELNS1_11target_archE908ELNS1_3gpuE7ELNS1_3repE0EEENS1_30default_config_static_selectorELNS0_4arch9wavefront6targetE1EEEvT1_
		.amdhsa_group_segment_fixed_size 0
		.amdhsa_private_segment_fixed_size 0
		.amdhsa_kernarg_size 136
		.amdhsa_user_sgpr_count 6
		.amdhsa_user_sgpr_private_segment_buffer 1
		.amdhsa_user_sgpr_dispatch_ptr 0
		.amdhsa_user_sgpr_queue_ptr 0
		.amdhsa_user_sgpr_kernarg_segment_ptr 1
		.amdhsa_user_sgpr_dispatch_id 0
		.amdhsa_user_sgpr_flat_scratch_init 0
		.amdhsa_user_sgpr_kernarg_preload_length 0
		.amdhsa_user_sgpr_kernarg_preload_offset 0
		.amdhsa_user_sgpr_private_segment_size 0
		.amdhsa_uses_dynamic_stack 0
		.amdhsa_system_sgpr_private_segment_wavefront_offset 0
		.amdhsa_system_sgpr_workgroup_id_x 1
		.amdhsa_system_sgpr_workgroup_id_y 0
		.amdhsa_system_sgpr_workgroup_id_z 0
		.amdhsa_system_sgpr_workgroup_info 0
		.amdhsa_system_vgpr_workitem_id 0
		.amdhsa_next_free_vgpr 1
		.amdhsa_next_free_sgpr 0
		.amdhsa_accum_offset 4
		.amdhsa_reserve_vcc 0
		.amdhsa_reserve_flat_scratch 0
		.amdhsa_float_round_mode_32 0
		.amdhsa_float_round_mode_16_64 0
		.amdhsa_float_denorm_mode_32 3
		.amdhsa_float_denorm_mode_16_64 3
		.amdhsa_dx10_clamp 1
		.amdhsa_ieee_mode 1
		.amdhsa_fp16_overflow 0
		.amdhsa_tg_split 0
		.amdhsa_exception_fp_ieee_invalid_op 0
		.amdhsa_exception_fp_denorm_src 0
		.amdhsa_exception_fp_ieee_div_zero 0
		.amdhsa_exception_fp_ieee_overflow 0
		.amdhsa_exception_fp_ieee_underflow 0
		.amdhsa_exception_fp_ieee_inexact 0
		.amdhsa_exception_int_div_zero 0
	.end_amdhsa_kernel
	.section	.text._ZN7rocprim17ROCPRIM_400000_NS6detail17trampoline_kernelINS0_14default_configENS1_25partition_config_selectorILNS1_17partition_subalgoE8ElNS0_10empty_typeEbEEZZNS1_14partition_implILS5_8ELb0ES3_jPlPS6_PKS6_NS0_5tupleIJS9_S6_EEENSD_IJSA_SA_EEENS0_18inequality_wrapperIZN2at6native12_GLOBAL__N_124unique_dim_cuda_templateIdEESt5tupleIJNSH_6TensorESM_SM_EERKSM_lbbbEUlllE0_EEPmJS6_EEE10hipError_tPvRmT3_T4_T5_T6_T7_T9_mT8_P12ihipStream_tbDpT10_ENKUlT_T0_E_clISt17integral_constantIbLb1EES1C_EEDaS17_S18_EUlS17_E_NS1_11comp_targetILNS1_3genE3ELNS1_11target_archE908ELNS1_3gpuE7ELNS1_3repE0EEENS1_30default_config_static_selectorELNS0_4arch9wavefront6targetE1EEEvT1_,"axG",@progbits,_ZN7rocprim17ROCPRIM_400000_NS6detail17trampoline_kernelINS0_14default_configENS1_25partition_config_selectorILNS1_17partition_subalgoE8ElNS0_10empty_typeEbEEZZNS1_14partition_implILS5_8ELb0ES3_jPlPS6_PKS6_NS0_5tupleIJS9_S6_EEENSD_IJSA_SA_EEENS0_18inequality_wrapperIZN2at6native12_GLOBAL__N_124unique_dim_cuda_templateIdEESt5tupleIJNSH_6TensorESM_SM_EERKSM_lbbbEUlllE0_EEPmJS6_EEE10hipError_tPvRmT3_T4_T5_T6_T7_T9_mT8_P12ihipStream_tbDpT10_ENKUlT_T0_E_clISt17integral_constantIbLb1EES1C_EEDaS17_S18_EUlS17_E_NS1_11comp_targetILNS1_3genE3ELNS1_11target_archE908ELNS1_3gpuE7ELNS1_3repE0EEENS1_30default_config_static_selectorELNS0_4arch9wavefront6targetE1EEEvT1_,comdat
.Lfunc_end818:
	.size	_ZN7rocprim17ROCPRIM_400000_NS6detail17trampoline_kernelINS0_14default_configENS1_25partition_config_selectorILNS1_17partition_subalgoE8ElNS0_10empty_typeEbEEZZNS1_14partition_implILS5_8ELb0ES3_jPlPS6_PKS6_NS0_5tupleIJS9_S6_EEENSD_IJSA_SA_EEENS0_18inequality_wrapperIZN2at6native12_GLOBAL__N_124unique_dim_cuda_templateIdEESt5tupleIJNSH_6TensorESM_SM_EERKSM_lbbbEUlllE0_EEPmJS6_EEE10hipError_tPvRmT3_T4_T5_T6_T7_T9_mT8_P12ihipStream_tbDpT10_ENKUlT_T0_E_clISt17integral_constantIbLb1EES1C_EEDaS17_S18_EUlS17_E_NS1_11comp_targetILNS1_3genE3ELNS1_11target_archE908ELNS1_3gpuE7ELNS1_3repE0EEENS1_30default_config_static_selectorELNS0_4arch9wavefront6targetE1EEEvT1_, .Lfunc_end818-_ZN7rocprim17ROCPRIM_400000_NS6detail17trampoline_kernelINS0_14default_configENS1_25partition_config_selectorILNS1_17partition_subalgoE8ElNS0_10empty_typeEbEEZZNS1_14partition_implILS5_8ELb0ES3_jPlPS6_PKS6_NS0_5tupleIJS9_S6_EEENSD_IJSA_SA_EEENS0_18inequality_wrapperIZN2at6native12_GLOBAL__N_124unique_dim_cuda_templateIdEESt5tupleIJNSH_6TensorESM_SM_EERKSM_lbbbEUlllE0_EEPmJS6_EEE10hipError_tPvRmT3_T4_T5_T6_T7_T9_mT8_P12ihipStream_tbDpT10_ENKUlT_T0_E_clISt17integral_constantIbLb1EES1C_EEDaS17_S18_EUlS17_E_NS1_11comp_targetILNS1_3genE3ELNS1_11target_archE908ELNS1_3gpuE7ELNS1_3repE0EEENS1_30default_config_static_selectorELNS0_4arch9wavefront6targetE1EEEvT1_
                                        ; -- End function
	.section	.AMDGPU.csdata,"",@progbits
; Kernel info:
; codeLenInByte = 0
; NumSgprs: 4
; NumVgprs: 0
; NumAgprs: 0
; TotalNumVgprs: 0
; ScratchSize: 0
; MemoryBound: 0
; FloatMode: 240
; IeeeMode: 1
; LDSByteSize: 0 bytes/workgroup (compile time only)
; SGPRBlocks: 0
; VGPRBlocks: 0
; NumSGPRsForWavesPerEU: 4
; NumVGPRsForWavesPerEU: 1
; AccumOffset: 4
; Occupancy: 8
; WaveLimiterHint : 0
; COMPUTE_PGM_RSRC2:SCRATCH_EN: 0
; COMPUTE_PGM_RSRC2:USER_SGPR: 6
; COMPUTE_PGM_RSRC2:TRAP_HANDLER: 0
; COMPUTE_PGM_RSRC2:TGID_X_EN: 1
; COMPUTE_PGM_RSRC2:TGID_Y_EN: 0
; COMPUTE_PGM_RSRC2:TGID_Z_EN: 0
; COMPUTE_PGM_RSRC2:TIDIG_COMP_CNT: 0
; COMPUTE_PGM_RSRC3_GFX90A:ACCUM_OFFSET: 0
; COMPUTE_PGM_RSRC3_GFX90A:TG_SPLIT: 0
	.section	.text._ZN7rocprim17ROCPRIM_400000_NS6detail17trampoline_kernelINS0_14default_configENS1_25partition_config_selectorILNS1_17partition_subalgoE8ElNS0_10empty_typeEbEEZZNS1_14partition_implILS5_8ELb0ES3_jPlPS6_PKS6_NS0_5tupleIJS9_S6_EEENSD_IJSA_SA_EEENS0_18inequality_wrapperIZN2at6native12_GLOBAL__N_124unique_dim_cuda_templateIdEESt5tupleIJNSH_6TensorESM_SM_EERKSM_lbbbEUlllE0_EEPmJS6_EEE10hipError_tPvRmT3_T4_T5_T6_T7_T9_mT8_P12ihipStream_tbDpT10_ENKUlT_T0_E_clISt17integral_constantIbLb1EES1C_EEDaS17_S18_EUlS17_E_NS1_11comp_targetILNS1_3genE2ELNS1_11target_archE906ELNS1_3gpuE6ELNS1_3repE0EEENS1_30default_config_static_selectorELNS0_4arch9wavefront6targetE1EEEvT1_,"axG",@progbits,_ZN7rocprim17ROCPRIM_400000_NS6detail17trampoline_kernelINS0_14default_configENS1_25partition_config_selectorILNS1_17partition_subalgoE8ElNS0_10empty_typeEbEEZZNS1_14partition_implILS5_8ELb0ES3_jPlPS6_PKS6_NS0_5tupleIJS9_S6_EEENSD_IJSA_SA_EEENS0_18inequality_wrapperIZN2at6native12_GLOBAL__N_124unique_dim_cuda_templateIdEESt5tupleIJNSH_6TensorESM_SM_EERKSM_lbbbEUlllE0_EEPmJS6_EEE10hipError_tPvRmT3_T4_T5_T6_T7_T9_mT8_P12ihipStream_tbDpT10_ENKUlT_T0_E_clISt17integral_constantIbLb1EES1C_EEDaS17_S18_EUlS17_E_NS1_11comp_targetILNS1_3genE2ELNS1_11target_archE906ELNS1_3gpuE6ELNS1_3repE0EEENS1_30default_config_static_selectorELNS0_4arch9wavefront6targetE1EEEvT1_,comdat
	.globl	_ZN7rocprim17ROCPRIM_400000_NS6detail17trampoline_kernelINS0_14default_configENS1_25partition_config_selectorILNS1_17partition_subalgoE8ElNS0_10empty_typeEbEEZZNS1_14partition_implILS5_8ELb0ES3_jPlPS6_PKS6_NS0_5tupleIJS9_S6_EEENSD_IJSA_SA_EEENS0_18inequality_wrapperIZN2at6native12_GLOBAL__N_124unique_dim_cuda_templateIdEESt5tupleIJNSH_6TensorESM_SM_EERKSM_lbbbEUlllE0_EEPmJS6_EEE10hipError_tPvRmT3_T4_T5_T6_T7_T9_mT8_P12ihipStream_tbDpT10_ENKUlT_T0_E_clISt17integral_constantIbLb1EES1C_EEDaS17_S18_EUlS17_E_NS1_11comp_targetILNS1_3genE2ELNS1_11target_archE906ELNS1_3gpuE6ELNS1_3repE0EEENS1_30default_config_static_selectorELNS0_4arch9wavefront6targetE1EEEvT1_ ; -- Begin function _ZN7rocprim17ROCPRIM_400000_NS6detail17trampoline_kernelINS0_14default_configENS1_25partition_config_selectorILNS1_17partition_subalgoE8ElNS0_10empty_typeEbEEZZNS1_14partition_implILS5_8ELb0ES3_jPlPS6_PKS6_NS0_5tupleIJS9_S6_EEENSD_IJSA_SA_EEENS0_18inequality_wrapperIZN2at6native12_GLOBAL__N_124unique_dim_cuda_templateIdEESt5tupleIJNSH_6TensorESM_SM_EERKSM_lbbbEUlllE0_EEPmJS6_EEE10hipError_tPvRmT3_T4_T5_T6_T7_T9_mT8_P12ihipStream_tbDpT10_ENKUlT_T0_E_clISt17integral_constantIbLb1EES1C_EEDaS17_S18_EUlS17_E_NS1_11comp_targetILNS1_3genE2ELNS1_11target_archE906ELNS1_3gpuE6ELNS1_3repE0EEENS1_30default_config_static_selectorELNS0_4arch9wavefront6targetE1EEEvT1_
	.p2align	8
	.type	_ZN7rocprim17ROCPRIM_400000_NS6detail17trampoline_kernelINS0_14default_configENS1_25partition_config_selectorILNS1_17partition_subalgoE8ElNS0_10empty_typeEbEEZZNS1_14partition_implILS5_8ELb0ES3_jPlPS6_PKS6_NS0_5tupleIJS9_S6_EEENSD_IJSA_SA_EEENS0_18inequality_wrapperIZN2at6native12_GLOBAL__N_124unique_dim_cuda_templateIdEESt5tupleIJNSH_6TensorESM_SM_EERKSM_lbbbEUlllE0_EEPmJS6_EEE10hipError_tPvRmT3_T4_T5_T6_T7_T9_mT8_P12ihipStream_tbDpT10_ENKUlT_T0_E_clISt17integral_constantIbLb1EES1C_EEDaS17_S18_EUlS17_E_NS1_11comp_targetILNS1_3genE2ELNS1_11target_archE906ELNS1_3gpuE6ELNS1_3repE0EEENS1_30default_config_static_selectorELNS0_4arch9wavefront6targetE1EEEvT1_,@function
_ZN7rocprim17ROCPRIM_400000_NS6detail17trampoline_kernelINS0_14default_configENS1_25partition_config_selectorILNS1_17partition_subalgoE8ElNS0_10empty_typeEbEEZZNS1_14partition_implILS5_8ELb0ES3_jPlPS6_PKS6_NS0_5tupleIJS9_S6_EEENSD_IJSA_SA_EEENS0_18inequality_wrapperIZN2at6native12_GLOBAL__N_124unique_dim_cuda_templateIdEESt5tupleIJNSH_6TensorESM_SM_EERKSM_lbbbEUlllE0_EEPmJS6_EEE10hipError_tPvRmT3_T4_T5_T6_T7_T9_mT8_P12ihipStream_tbDpT10_ENKUlT_T0_E_clISt17integral_constantIbLb1EES1C_EEDaS17_S18_EUlS17_E_NS1_11comp_targetILNS1_3genE2ELNS1_11target_archE906ELNS1_3gpuE6ELNS1_3repE0EEENS1_30default_config_static_selectorELNS0_4arch9wavefront6targetE1EEEvT1_: ; @_ZN7rocprim17ROCPRIM_400000_NS6detail17trampoline_kernelINS0_14default_configENS1_25partition_config_selectorILNS1_17partition_subalgoE8ElNS0_10empty_typeEbEEZZNS1_14partition_implILS5_8ELb0ES3_jPlPS6_PKS6_NS0_5tupleIJS9_S6_EEENSD_IJSA_SA_EEENS0_18inequality_wrapperIZN2at6native12_GLOBAL__N_124unique_dim_cuda_templateIdEESt5tupleIJNSH_6TensorESM_SM_EERKSM_lbbbEUlllE0_EEPmJS6_EEE10hipError_tPvRmT3_T4_T5_T6_T7_T9_mT8_P12ihipStream_tbDpT10_ENKUlT_T0_E_clISt17integral_constantIbLb1EES1C_EEDaS17_S18_EUlS17_E_NS1_11comp_targetILNS1_3genE2ELNS1_11target_archE906ELNS1_3gpuE6ELNS1_3repE0EEENS1_30default_config_static_selectorELNS0_4arch9wavefront6targetE1EEEvT1_
; %bb.0:
	.section	.rodata,"a",@progbits
	.p2align	6, 0x0
	.amdhsa_kernel _ZN7rocprim17ROCPRIM_400000_NS6detail17trampoline_kernelINS0_14default_configENS1_25partition_config_selectorILNS1_17partition_subalgoE8ElNS0_10empty_typeEbEEZZNS1_14partition_implILS5_8ELb0ES3_jPlPS6_PKS6_NS0_5tupleIJS9_S6_EEENSD_IJSA_SA_EEENS0_18inequality_wrapperIZN2at6native12_GLOBAL__N_124unique_dim_cuda_templateIdEESt5tupleIJNSH_6TensorESM_SM_EERKSM_lbbbEUlllE0_EEPmJS6_EEE10hipError_tPvRmT3_T4_T5_T6_T7_T9_mT8_P12ihipStream_tbDpT10_ENKUlT_T0_E_clISt17integral_constantIbLb1EES1C_EEDaS17_S18_EUlS17_E_NS1_11comp_targetILNS1_3genE2ELNS1_11target_archE906ELNS1_3gpuE6ELNS1_3repE0EEENS1_30default_config_static_selectorELNS0_4arch9wavefront6targetE1EEEvT1_
		.amdhsa_group_segment_fixed_size 0
		.amdhsa_private_segment_fixed_size 0
		.amdhsa_kernarg_size 136
		.amdhsa_user_sgpr_count 6
		.amdhsa_user_sgpr_private_segment_buffer 1
		.amdhsa_user_sgpr_dispatch_ptr 0
		.amdhsa_user_sgpr_queue_ptr 0
		.amdhsa_user_sgpr_kernarg_segment_ptr 1
		.amdhsa_user_sgpr_dispatch_id 0
		.amdhsa_user_sgpr_flat_scratch_init 0
		.amdhsa_user_sgpr_kernarg_preload_length 0
		.amdhsa_user_sgpr_kernarg_preload_offset 0
		.amdhsa_user_sgpr_private_segment_size 0
		.amdhsa_uses_dynamic_stack 0
		.amdhsa_system_sgpr_private_segment_wavefront_offset 0
		.amdhsa_system_sgpr_workgroup_id_x 1
		.amdhsa_system_sgpr_workgroup_id_y 0
		.amdhsa_system_sgpr_workgroup_id_z 0
		.amdhsa_system_sgpr_workgroup_info 0
		.amdhsa_system_vgpr_workitem_id 0
		.amdhsa_next_free_vgpr 1
		.amdhsa_next_free_sgpr 0
		.amdhsa_accum_offset 4
		.amdhsa_reserve_vcc 0
		.amdhsa_reserve_flat_scratch 0
		.amdhsa_float_round_mode_32 0
		.amdhsa_float_round_mode_16_64 0
		.amdhsa_float_denorm_mode_32 3
		.amdhsa_float_denorm_mode_16_64 3
		.amdhsa_dx10_clamp 1
		.amdhsa_ieee_mode 1
		.amdhsa_fp16_overflow 0
		.amdhsa_tg_split 0
		.amdhsa_exception_fp_ieee_invalid_op 0
		.amdhsa_exception_fp_denorm_src 0
		.amdhsa_exception_fp_ieee_div_zero 0
		.amdhsa_exception_fp_ieee_overflow 0
		.amdhsa_exception_fp_ieee_underflow 0
		.amdhsa_exception_fp_ieee_inexact 0
		.amdhsa_exception_int_div_zero 0
	.end_amdhsa_kernel
	.section	.text._ZN7rocprim17ROCPRIM_400000_NS6detail17trampoline_kernelINS0_14default_configENS1_25partition_config_selectorILNS1_17partition_subalgoE8ElNS0_10empty_typeEbEEZZNS1_14partition_implILS5_8ELb0ES3_jPlPS6_PKS6_NS0_5tupleIJS9_S6_EEENSD_IJSA_SA_EEENS0_18inequality_wrapperIZN2at6native12_GLOBAL__N_124unique_dim_cuda_templateIdEESt5tupleIJNSH_6TensorESM_SM_EERKSM_lbbbEUlllE0_EEPmJS6_EEE10hipError_tPvRmT3_T4_T5_T6_T7_T9_mT8_P12ihipStream_tbDpT10_ENKUlT_T0_E_clISt17integral_constantIbLb1EES1C_EEDaS17_S18_EUlS17_E_NS1_11comp_targetILNS1_3genE2ELNS1_11target_archE906ELNS1_3gpuE6ELNS1_3repE0EEENS1_30default_config_static_selectorELNS0_4arch9wavefront6targetE1EEEvT1_,"axG",@progbits,_ZN7rocprim17ROCPRIM_400000_NS6detail17trampoline_kernelINS0_14default_configENS1_25partition_config_selectorILNS1_17partition_subalgoE8ElNS0_10empty_typeEbEEZZNS1_14partition_implILS5_8ELb0ES3_jPlPS6_PKS6_NS0_5tupleIJS9_S6_EEENSD_IJSA_SA_EEENS0_18inequality_wrapperIZN2at6native12_GLOBAL__N_124unique_dim_cuda_templateIdEESt5tupleIJNSH_6TensorESM_SM_EERKSM_lbbbEUlllE0_EEPmJS6_EEE10hipError_tPvRmT3_T4_T5_T6_T7_T9_mT8_P12ihipStream_tbDpT10_ENKUlT_T0_E_clISt17integral_constantIbLb1EES1C_EEDaS17_S18_EUlS17_E_NS1_11comp_targetILNS1_3genE2ELNS1_11target_archE906ELNS1_3gpuE6ELNS1_3repE0EEENS1_30default_config_static_selectorELNS0_4arch9wavefront6targetE1EEEvT1_,comdat
.Lfunc_end819:
	.size	_ZN7rocprim17ROCPRIM_400000_NS6detail17trampoline_kernelINS0_14default_configENS1_25partition_config_selectorILNS1_17partition_subalgoE8ElNS0_10empty_typeEbEEZZNS1_14partition_implILS5_8ELb0ES3_jPlPS6_PKS6_NS0_5tupleIJS9_S6_EEENSD_IJSA_SA_EEENS0_18inequality_wrapperIZN2at6native12_GLOBAL__N_124unique_dim_cuda_templateIdEESt5tupleIJNSH_6TensorESM_SM_EERKSM_lbbbEUlllE0_EEPmJS6_EEE10hipError_tPvRmT3_T4_T5_T6_T7_T9_mT8_P12ihipStream_tbDpT10_ENKUlT_T0_E_clISt17integral_constantIbLb1EES1C_EEDaS17_S18_EUlS17_E_NS1_11comp_targetILNS1_3genE2ELNS1_11target_archE906ELNS1_3gpuE6ELNS1_3repE0EEENS1_30default_config_static_selectorELNS0_4arch9wavefront6targetE1EEEvT1_, .Lfunc_end819-_ZN7rocprim17ROCPRIM_400000_NS6detail17trampoline_kernelINS0_14default_configENS1_25partition_config_selectorILNS1_17partition_subalgoE8ElNS0_10empty_typeEbEEZZNS1_14partition_implILS5_8ELb0ES3_jPlPS6_PKS6_NS0_5tupleIJS9_S6_EEENSD_IJSA_SA_EEENS0_18inequality_wrapperIZN2at6native12_GLOBAL__N_124unique_dim_cuda_templateIdEESt5tupleIJNSH_6TensorESM_SM_EERKSM_lbbbEUlllE0_EEPmJS6_EEE10hipError_tPvRmT3_T4_T5_T6_T7_T9_mT8_P12ihipStream_tbDpT10_ENKUlT_T0_E_clISt17integral_constantIbLb1EES1C_EEDaS17_S18_EUlS17_E_NS1_11comp_targetILNS1_3genE2ELNS1_11target_archE906ELNS1_3gpuE6ELNS1_3repE0EEENS1_30default_config_static_selectorELNS0_4arch9wavefront6targetE1EEEvT1_
                                        ; -- End function
	.section	.AMDGPU.csdata,"",@progbits
; Kernel info:
; codeLenInByte = 0
; NumSgprs: 4
; NumVgprs: 0
; NumAgprs: 0
; TotalNumVgprs: 0
; ScratchSize: 0
; MemoryBound: 0
; FloatMode: 240
; IeeeMode: 1
; LDSByteSize: 0 bytes/workgroup (compile time only)
; SGPRBlocks: 0
; VGPRBlocks: 0
; NumSGPRsForWavesPerEU: 4
; NumVGPRsForWavesPerEU: 1
; AccumOffset: 4
; Occupancy: 8
; WaveLimiterHint : 0
; COMPUTE_PGM_RSRC2:SCRATCH_EN: 0
; COMPUTE_PGM_RSRC2:USER_SGPR: 6
; COMPUTE_PGM_RSRC2:TRAP_HANDLER: 0
; COMPUTE_PGM_RSRC2:TGID_X_EN: 1
; COMPUTE_PGM_RSRC2:TGID_Y_EN: 0
; COMPUTE_PGM_RSRC2:TGID_Z_EN: 0
; COMPUTE_PGM_RSRC2:TIDIG_COMP_CNT: 0
; COMPUTE_PGM_RSRC3_GFX90A:ACCUM_OFFSET: 0
; COMPUTE_PGM_RSRC3_GFX90A:TG_SPLIT: 0
	.section	.text._ZN7rocprim17ROCPRIM_400000_NS6detail17trampoline_kernelINS0_14default_configENS1_25partition_config_selectorILNS1_17partition_subalgoE8ElNS0_10empty_typeEbEEZZNS1_14partition_implILS5_8ELb0ES3_jPlPS6_PKS6_NS0_5tupleIJS9_S6_EEENSD_IJSA_SA_EEENS0_18inequality_wrapperIZN2at6native12_GLOBAL__N_124unique_dim_cuda_templateIdEESt5tupleIJNSH_6TensorESM_SM_EERKSM_lbbbEUlllE0_EEPmJS6_EEE10hipError_tPvRmT3_T4_T5_T6_T7_T9_mT8_P12ihipStream_tbDpT10_ENKUlT_T0_E_clISt17integral_constantIbLb1EES1C_EEDaS17_S18_EUlS17_E_NS1_11comp_targetILNS1_3genE10ELNS1_11target_archE1200ELNS1_3gpuE4ELNS1_3repE0EEENS1_30default_config_static_selectorELNS0_4arch9wavefront6targetE1EEEvT1_,"axG",@progbits,_ZN7rocprim17ROCPRIM_400000_NS6detail17trampoline_kernelINS0_14default_configENS1_25partition_config_selectorILNS1_17partition_subalgoE8ElNS0_10empty_typeEbEEZZNS1_14partition_implILS5_8ELb0ES3_jPlPS6_PKS6_NS0_5tupleIJS9_S6_EEENSD_IJSA_SA_EEENS0_18inequality_wrapperIZN2at6native12_GLOBAL__N_124unique_dim_cuda_templateIdEESt5tupleIJNSH_6TensorESM_SM_EERKSM_lbbbEUlllE0_EEPmJS6_EEE10hipError_tPvRmT3_T4_T5_T6_T7_T9_mT8_P12ihipStream_tbDpT10_ENKUlT_T0_E_clISt17integral_constantIbLb1EES1C_EEDaS17_S18_EUlS17_E_NS1_11comp_targetILNS1_3genE10ELNS1_11target_archE1200ELNS1_3gpuE4ELNS1_3repE0EEENS1_30default_config_static_selectorELNS0_4arch9wavefront6targetE1EEEvT1_,comdat
	.globl	_ZN7rocprim17ROCPRIM_400000_NS6detail17trampoline_kernelINS0_14default_configENS1_25partition_config_selectorILNS1_17partition_subalgoE8ElNS0_10empty_typeEbEEZZNS1_14partition_implILS5_8ELb0ES3_jPlPS6_PKS6_NS0_5tupleIJS9_S6_EEENSD_IJSA_SA_EEENS0_18inequality_wrapperIZN2at6native12_GLOBAL__N_124unique_dim_cuda_templateIdEESt5tupleIJNSH_6TensorESM_SM_EERKSM_lbbbEUlllE0_EEPmJS6_EEE10hipError_tPvRmT3_T4_T5_T6_T7_T9_mT8_P12ihipStream_tbDpT10_ENKUlT_T0_E_clISt17integral_constantIbLb1EES1C_EEDaS17_S18_EUlS17_E_NS1_11comp_targetILNS1_3genE10ELNS1_11target_archE1200ELNS1_3gpuE4ELNS1_3repE0EEENS1_30default_config_static_selectorELNS0_4arch9wavefront6targetE1EEEvT1_ ; -- Begin function _ZN7rocprim17ROCPRIM_400000_NS6detail17trampoline_kernelINS0_14default_configENS1_25partition_config_selectorILNS1_17partition_subalgoE8ElNS0_10empty_typeEbEEZZNS1_14partition_implILS5_8ELb0ES3_jPlPS6_PKS6_NS0_5tupleIJS9_S6_EEENSD_IJSA_SA_EEENS0_18inequality_wrapperIZN2at6native12_GLOBAL__N_124unique_dim_cuda_templateIdEESt5tupleIJNSH_6TensorESM_SM_EERKSM_lbbbEUlllE0_EEPmJS6_EEE10hipError_tPvRmT3_T4_T5_T6_T7_T9_mT8_P12ihipStream_tbDpT10_ENKUlT_T0_E_clISt17integral_constantIbLb1EES1C_EEDaS17_S18_EUlS17_E_NS1_11comp_targetILNS1_3genE10ELNS1_11target_archE1200ELNS1_3gpuE4ELNS1_3repE0EEENS1_30default_config_static_selectorELNS0_4arch9wavefront6targetE1EEEvT1_
	.p2align	8
	.type	_ZN7rocprim17ROCPRIM_400000_NS6detail17trampoline_kernelINS0_14default_configENS1_25partition_config_selectorILNS1_17partition_subalgoE8ElNS0_10empty_typeEbEEZZNS1_14partition_implILS5_8ELb0ES3_jPlPS6_PKS6_NS0_5tupleIJS9_S6_EEENSD_IJSA_SA_EEENS0_18inequality_wrapperIZN2at6native12_GLOBAL__N_124unique_dim_cuda_templateIdEESt5tupleIJNSH_6TensorESM_SM_EERKSM_lbbbEUlllE0_EEPmJS6_EEE10hipError_tPvRmT3_T4_T5_T6_T7_T9_mT8_P12ihipStream_tbDpT10_ENKUlT_T0_E_clISt17integral_constantIbLb1EES1C_EEDaS17_S18_EUlS17_E_NS1_11comp_targetILNS1_3genE10ELNS1_11target_archE1200ELNS1_3gpuE4ELNS1_3repE0EEENS1_30default_config_static_selectorELNS0_4arch9wavefront6targetE1EEEvT1_,@function
_ZN7rocprim17ROCPRIM_400000_NS6detail17trampoline_kernelINS0_14default_configENS1_25partition_config_selectorILNS1_17partition_subalgoE8ElNS0_10empty_typeEbEEZZNS1_14partition_implILS5_8ELb0ES3_jPlPS6_PKS6_NS0_5tupleIJS9_S6_EEENSD_IJSA_SA_EEENS0_18inequality_wrapperIZN2at6native12_GLOBAL__N_124unique_dim_cuda_templateIdEESt5tupleIJNSH_6TensorESM_SM_EERKSM_lbbbEUlllE0_EEPmJS6_EEE10hipError_tPvRmT3_T4_T5_T6_T7_T9_mT8_P12ihipStream_tbDpT10_ENKUlT_T0_E_clISt17integral_constantIbLb1EES1C_EEDaS17_S18_EUlS17_E_NS1_11comp_targetILNS1_3genE10ELNS1_11target_archE1200ELNS1_3gpuE4ELNS1_3repE0EEENS1_30default_config_static_selectorELNS0_4arch9wavefront6targetE1EEEvT1_: ; @_ZN7rocprim17ROCPRIM_400000_NS6detail17trampoline_kernelINS0_14default_configENS1_25partition_config_selectorILNS1_17partition_subalgoE8ElNS0_10empty_typeEbEEZZNS1_14partition_implILS5_8ELb0ES3_jPlPS6_PKS6_NS0_5tupleIJS9_S6_EEENSD_IJSA_SA_EEENS0_18inequality_wrapperIZN2at6native12_GLOBAL__N_124unique_dim_cuda_templateIdEESt5tupleIJNSH_6TensorESM_SM_EERKSM_lbbbEUlllE0_EEPmJS6_EEE10hipError_tPvRmT3_T4_T5_T6_T7_T9_mT8_P12ihipStream_tbDpT10_ENKUlT_T0_E_clISt17integral_constantIbLb1EES1C_EEDaS17_S18_EUlS17_E_NS1_11comp_targetILNS1_3genE10ELNS1_11target_archE1200ELNS1_3gpuE4ELNS1_3repE0EEENS1_30default_config_static_selectorELNS0_4arch9wavefront6targetE1EEEvT1_
; %bb.0:
	.section	.rodata,"a",@progbits
	.p2align	6, 0x0
	.amdhsa_kernel _ZN7rocprim17ROCPRIM_400000_NS6detail17trampoline_kernelINS0_14default_configENS1_25partition_config_selectorILNS1_17partition_subalgoE8ElNS0_10empty_typeEbEEZZNS1_14partition_implILS5_8ELb0ES3_jPlPS6_PKS6_NS0_5tupleIJS9_S6_EEENSD_IJSA_SA_EEENS0_18inequality_wrapperIZN2at6native12_GLOBAL__N_124unique_dim_cuda_templateIdEESt5tupleIJNSH_6TensorESM_SM_EERKSM_lbbbEUlllE0_EEPmJS6_EEE10hipError_tPvRmT3_T4_T5_T6_T7_T9_mT8_P12ihipStream_tbDpT10_ENKUlT_T0_E_clISt17integral_constantIbLb1EES1C_EEDaS17_S18_EUlS17_E_NS1_11comp_targetILNS1_3genE10ELNS1_11target_archE1200ELNS1_3gpuE4ELNS1_3repE0EEENS1_30default_config_static_selectorELNS0_4arch9wavefront6targetE1EEEvT1_
		.amdhsa_group_segment_fixed_size 0
		.amdhsa_private_segment_fixed_size 0
		.amdhsa_kernarg_size 136
		.amdhsa_user_sgpr_count 6
		.amdhsa_user_sgpr_private_segment_buffer 1
		.amdhsa_user_sgpr_dispatch_ptr 0
		.amdhsa_user_sgpr_queue_ptr 0
		.amdhsa_user_sgpr_kernarg_segment_ptr 1
		.amdhsa_user_sgpr_dispatch_id 0
		.amdhsa_user_sgpr_flat_scratch_init 0
		.amdhsa_user_sgpr_kernarg_preload_length 0
		.amdhsa_user_sgpr_kernarg_preload_offset 0
		.amdhsa_user_sgpr_private_segment_size 0
		.amdhsa_uses_dynamic_stack 0
		.amdhsa_system_sgpr_private_segment_wavefront_offset 0
		.amdhsa_system_sgpr_workgroup_id_x 1
		.amdhsa_system_sgpr_workgroup_id_y 0
		.amdhsa_system_sgpr_workgroup_id_z 0
		.amdhsa_system_sgpr_workgroup_info 0
		.amdhsa_system_vgpr_workitem_id 0
		.amdhsa_next_free_vgpr 1
		.amdhsa_next_free_sgpr 0
		.amdhsa_accum_offset 4
		.amdhsa_reserve_vcc 0
		.amdhsa_reserve_flat_scratch 0
		.amdhsa_float_round_mode_32 0
		.amdhsa_float_round_mode_16_64 0
		.amdhsa_float_denorm_mode_32 3
		.amdhsa_float_denorm_mode_16_64 3
		.amdhsa_dx10_clamp 1
		.amdhsa_ieee_mode 1
		.amdhsa_fp16_overflow 0
		.amdhsa_tg_split 0
		.amdhsa_exception_fp_ieee_invalid_op 0
		.amdhsa_exception_fp_denorm_src 0
		.amdhsa_exception_fp_ieee_div_zero 0
		.amdhsa_exception_fp_ieee_overflow 0
		.amdhsa_exception_fp_ieee_underflow 0
		.amdhsa_exception_fp_ieee_inexact 0
		.amdhsa_exception_int_div_zero 0
	.end_amdhsa_kernel
	.section	.text._ZN7rocprim17ROCPRIM_400000_NS6detail17trampoline_kernelINS0_14default_configENS1_25partition_config_selectorILNS1_17partition_subalgoE8ElNS0_10empty_typeEbEEZZNS1_14partition_implILS5_8ELb0ES3_jPlPS6_PKS6_NS0_5tupleIJS9_S6_EEENSD_IJSA_SA_EEENS0_18inequality_wrapperIZN2at6native12_GLOBAL__N_124unique_dim_cuda_templateIdEESt5tupleIJNSH_6TensorESM_SM_EERKSM_lbbbEUlllE0_EEPmJS6_EEE10hipError_tPvRmT3_T4_T5_T6_T7_T9_mT8_P12ihipStream_tbDpT10_ENKUlT_T0_E_clISt17integral_constantIbLb1EES1C_EEDaS17_S18_EUlS17_E_NS1_11comp_targetILNS1_3genE10ELNS1_11target_archE1200ELNS1_3gpuE4ELNS1_3repE0EEENS1_30default_config_static_selectorELNS0_4arch9wavefront6targetE1EEEvT1_,"axG",@progbits,_ZN7rocprim17ROCPRIM_400000_NS6detail17trampoline_kernelINS0_14default_configENS1_25partition_config_selectorILNS1_17partition_subalgoE8ElNS0_10empty_typeEbEEZZNS1_14partition_implILS5_8ELb0ES3_jPlPS6_PKS6_NS0_5tupleIJS9_S6_EEENSD_IJSA_SA_EEENS0_18inequality_wrapperIZN2at6native12_GLOBAL__N_124unique_dim_cuda_templateIdEESt5tupleIJNSH_6TensorESM_SM_EERKSM_lbbbEUlllE0_EEPmJS6_EEE10hipError_tPvRmT3_T4_T5_T6_T7_T9_mT8_P12ihipStream_tbDpT10_ENKUlT_T0_E_clISt17integral_constantIbLb1EES1C_EEDaS17_S18_EUlS17_E_NS1_11comp_targetILNS1_3genE10ELNS1_11target_archE1200ELNS1_3gpuE4ELNS1_3repE0EEENS1_30default_config_static_selectorELNS0_4arch9wavefront6targetE1EEEvT1_,comdat
.Lfunc_end820:
	.size	_ZN7rocprim17ROCPRIM_400000_NS6detail17trampoline_kernelINS0_14default_configENS1_25partition_config_selectorILNS1_17partition_subalgoE8ElNS0_10empty_typeEbEEZZNS1_14partition_implILS5_8ELb0ES3_jPlPS6_PKS6_NS0_5tupleIJS9_S6_EEENSD_IJSA_SA_EEENS0_18inequality_wrapperIZN2at6native12_GLOBAL__N_124unique_dim_cuda_templateIdEESt5tupleIJNSH_6TensorESM_SM_EERKSM_lbbbEUlllE0_EEPmJS6_EEE10hipError_tPvRmT3_T4_T5_T6_T7_T9_mT8_P12ihipStream_tbDpT10_ENKUlT_T0_E_clISt17integral_constantIbLb1EES1C_EEDaS17_S18_EUlS17_E_NS1_11comp_targetILNS1_3genE10ELNS1_11target_archE1200ELNS1_3gpuE4ELNS1_3repE0EEENS1_30default_config_static_selectorELNS0_4arch9wavefront6targetE1EEEvT1_, .Lfunc_end820-_ZN7rocprim17ROCPRIM_400000_NS6detail17trampoline_kernelINS0_14default_configENS1_25partition_config_selectorILNS1_17partition_subalgoE8ElNS0_10empty_typeEbEEZZNS1_14partition_implILS5_8ELb0ES3_jPlPS6_PKS6_NS0_5tupleIJS9_S6_EEENSD_IJSA_SA_EEENS0_18inequality_wrapperIZN2at6native12_GLOBAL__N_124unique_dim_cuda_templateIdEESt5tupleIJNSH_6TensorESM_SM_EERKSM_lbbbEUlllE0_EEPmJS6_EEE10hipError_tPvRmT3_T4_T5_T6_T7_T9_mT8_P12ihipStream_tbDpT10_ENKUlT_T0_E_clISt17integral_constantIbLb1EES1C_EEDaS17_S18_EUlS17_E_NS1_11comp_targetILNS1_3genE10ELNS1_11target_archE1200ELNS1_3gpuE4ELNS1_3repE0EEENS1_30default_config_static_selectorELNS0_4arch9wavefront6targetE1EEEvT1_
                                        ; -- End function
	.section	.AMDGPU.csdata,"",@progbits
; Kernel info:
; codeLenInByte = 0
; NumSgprs: 4
; NumVgprs: 0
; NumAgprs: 0
; TotalNumVgprs: 0
; ScratchSize: 0
; MemoryBound: 0
; FloatMode: 240
; IeeeMode: 1
; LDSByteSize: 0 bytes/workgroup (compile time only)
; SGPRBlocks: 0
; VGPRBlocks: 0
; NumSGPRsForWavesPerEU: 4
; NumVGPRsForWavesPerEU: 1
; AccumOffset: 4
; Occupancy: 8
; WaveLimiterHint : 0
; COMPUTE_PGM_RSRC2:SCRATCH_EN: 0
; COMPUTE_PGM_RSRC2:USER_SGPR: 6
; COMPUTE_PGM_RSRC2:TRAP_HANDLER: 0
; COMPUTE_PGM_RSRC2:TGID_X_EN: 1
; COMPUTE_PGM_RSRC2:TGID_Y_EN: 0
; COMPUTE_PGM_RSRC2:TGID_Z_EN: 0
; COMPUTE_PGM_RSRC2:TIDIG_COMP_CNT: 0
; COMPUTE_PGM_RSRC3_GFX90A:ACCUM_OFFSET: 0
; COMPUTE_PGM_RSRC3_GFX90A:TG_SPLIT: 0
	.section	.text._ZN7rocprim17ROCPRIM_400000_NS6detail17trampoline_kernelINS0_14default_configENS1_25partition_config_selectorILNS1_17partition_subalgoE8ElNS0_10empty_typeEbEEZZNS1_14partition_implILS5_8ELb0ES3_jPlPS6_PKS6_NS0_5tupleIJS9_S6_EEENSD_IJSA_SA_EEENS0_18inequality_wrapperIZN2at6native12_GLOBAL__N_124unique_dim_cuda_templateIdEESt5tupleIJNSH_6TensorESM_SM_EERKSM_lbbbEUlllE0_EEPmJS6_EEE10hipError_tPvRmT3_T4_T5_T6_T7_T9_mT8_P12ihipStream_tbDpT10_ENKUlT_T0_E_clISt17integral_constantIbLb1EES1C_EEDaS17_S18_EUlS17_E_NS1_11comp_targetILNS1_3genE9ELNS1_11target_archE1100ELNS1_3gpuE3ELNS1_3repE0EEENS1_30default_config_static_selectorELNS0_4arch9wavefront6targetE1EEEvT1_,"axG",@progbits,_ZN7rocprim17ROCPRIM_400000_NS6detail17trampoline_kernelINS0_14default_configENS1_25partition_config_selectorILNS1_17partition_subalgoE8ElNS0_10empty_typeEbEEZZNS1_14partition_implILS5_8ELb0ES3_jPlPS6_PKS6_NS0_5tupleIJS9_S6_EEENSD_IJSA_SA_EEENS0_18inequality_wrapperIZN2at6native12_GLOBAL__N_124unique_dim_cuda_templateIdEESt5tupleIJNSH_6TensorESM_SM_EERKSM_lbbbEUlllE0_EEPmJS6_EEE10hipError_tPvRmT3_T4_T5_T6_T7_T9_mT8_P12ihipStream_tbDpT10_ENKUlT_T0_E_clISt17integral_constantIbLb1EES1C_EEDaS17_S18_EUlS17_E_NS1_11comp_targetILNS1_3genE9ELNS1_11target_archE1100ELNS1_3gpuE3ELNS1_3repE0EEENS1_30default_config_static_selectorELNS0_4arch9wavefront6targetE1EEEvT1_,comdat
	.globl	_ZN7rocprim17ROCPRIM_400000_NS6detail17trampoline_kernelINS0_14default_configENS1_25partition_config_selectorILNS1_17partition_subalgoE8ElNS0_10empty_typeEbEEZZNS1_14partition_implILS5_8ELb0ES3_jPlPS6_PKS6_NS0_5tupleIJS9_S6_EEENSD_IJSA_SA_EEENS0_18inequality_wrapperIZN2at6native12_GLOBAL__N_124unique_dim_cuda_templateIdEESt5tupleIJNSH_6TensorESM_SM_EERKSM_lbbbEUlllE0_EEPmJS6_EEE10hipError_tPvRmT3_T4_T5_T6_T7_T9_mT8_P12ihipStream_tbDpT10_ENKUlT_T0_E_clISt17integral_constantIbLb1EES1C_EEDaS17_S18_EUlS17_E_NS1_11comp_targetILNS1_3genE9ELNS1_11target_archE1100ELNS1_3gpuE3ELNS1_3repE0EEENS1_30default_config_static_selectorELNS0_4arch9wavefront6targetE1EEEvT1_ ; -- Begin function _ZN7rocprim17ROCPRIM_400000_NS6detail17trampoline_kernelINS0_14default_configENS1_25partition_config_selectorILNS1_17partition_subalgoE8ElNS0_10empty_typeEbEEZZNS1_14partition_implILS5_8ELb0ES3_jPlPS6_PKS6_NS0_5tupleIJS9_S6_EEENSD_IJSA_SA_EEENS0_18inequality_wrapperIZN2at6native12_GLOBAL__N_124unique_dim_cuda_templateIdEESt5tupleIJNSH_6TensorESM_SM_EERKSM_lbbbEUlllE0_EEPmJS6_EEE10hipError_tPvRmT3_T4_T5_T6_T7_T9_mT8_P12ihipStream_tbDpT10_ENKUlT_T0_E_clISt17integral_constantIbLb1EES1C_EEDaS17_S18_EUlS17_E_NS1_11comp_targetILNS1_3genE9ELNS1_11target_archE1100ELNS1_3gpuE3ELNS1_3repE0EEENS1_30default_config_static_selectorELNS0_4arch9wavefront6targetE1EEEvT1_
	.p2align	8
	.type	_ZN7rocprim17ROCPRIM_400000_NS6detail17trampoline_kernelINS0_14default_configENS1_25partition_config_selectorILNS1_17partition_subalgoE8ElNS0_10empty_typeEbEEZZNS1_14partition_implILS5_8ELb0ES3_jPlPS6_PKS6_NS0_5tupleIJS9_S6_EEENSD_IJSA_SA_EEENS0_18inequality_wrapperIZN2at6native12_GLOBAL__N_124unique_dim_cuda_templateIdEESt5tupleIJNSH_6TensorESM_SM_EERKSM_lbbbEUlllE0_EEPmJS6_EEE10hipError_tPvRmT3_T4_T5_T6_T7_T9_mT8_P12ihipStream_tbDpT10_ENKUlT_T0_E_clISt17integral_constantIbLb1EES1C_EEDaS17_S18_EUlS17_E_NS1_11comp_targetILNS1_3genE9ELNS1_11target_archE1100ELNS1_3gpuE3ELNS1_3repE0EEENS1_30default_config_static_selectorELNS0_4arch9wavefront6targetE1EEEvT1_,@function
_ZN7rocprim17ROCPRIM_400000_NS6detail17trampoline_kernelINS0_14default_configENS1_25partition_config_selectorILNS1_17partition_subalgoE8ElNS0_10empty_typeEbEEZZNS1_14partition_implILS5_8ELb0ES3_jPlPS6_PKS6_NS0_5tupleIJS9_S6_EEENSD_IJSA_SA_EEENS0_18inequality_wrapperIZN2at6native12_GLOBAL__N_124unique_dim_cuda_templateIdEESt5tupleIJNSH_6TensorESM_SM_EERKSM_lbbbEUlllE0_EEPmJS6_EEE10hipError_tPvRmT3_T4_T5_T6_T7_T9_mT8_P12ihipStream_tbDpT10_ENKUlT_T0_E_clISt17integral_constantIbLb1EES1C_EEDaS17_S18_EUlS17_E_NS1_11comp_targetILNS1_3genE9ELNS1_11target_archE1100ELNS1_3gpuE3ELNS1_3repE0EEENS1_30default_config_static_selectorELNS0_4arch9wavefront6targetE1EEEvT1_: ; @_ZN7rocprim17ROCPRIM_400000_NS6detail17trampoline_kernelINS0_14default_configENS1_25partition_config_selectorILNS1_17partition_subalgoE8ElNS0_10empty_typeEbEEZZNS1_14partition_implILS5_8ELb0ES3_jPlPS6_PKS6_NS0_5tupleIJS9_S6_EEENSD_IJSA_SA_EEENS0_18inequality_wrapperIZN2at6native12_GLOBAL__N_124unique_dim_cuda_templateIdEESt5tupleIJNSH_6TensorESM_SM_EERKSM_lbbbEUlllE0_EEPmJS6_EEE10hipError_tPvRmT3_T4_T5_T6_T7_T9_mT8_P12ihipStream_tbDpT10_ENKUlT_T0_E_clISt17integral_constantIbLb1EES1C_EEDaS17_S18_EUlS17_E_NS1_11comp_targetILNS1_3genE9ELNS1_11target_archE1100ELNS1_3gpuE3ELNS1_3repE0EEENS1_30default_config_static_selectorELNS0_4arch9wavefront6targetE1EEEvT1_
; %bb.0:
	.section	.rodata,"a",@progbits
	.p2align	6, 0x0
	.amdhsa_kernel _ZN7rocprim17ROCPRIM_400000_NS6detail17trampoline_kernelINS0_14default_configENS1_25partition_config_selectorILNS1_17partition_subalgoE8ElNS0_10empty_typeEbEEZZNS1_14partition_implILS5_8ELb0ES3_jPlPS6_PKS6_NS0_5tupleIJS9_S6_EEENSD_IJSA_SA_EEENS0_18inequality_wrapperIZN2at6native12_GLOBAL__N_124unique_dim_cuda_templateIdEESt5tupleIJNSH_6TensorESM_SM_EERKSM_lbbbEUlllE0_EEPmJS6_EEE10hipError_tPvRmT3_T4_T5_T6_T7_T9_mT8_P12ihipStream_tbDpT10_ENKUlT_T0_E_clISt17integral_constantIbLb1EES1C_EEDaS17_S18_EUlS17_E_NS1_11comp_targetILNS1_3genE9ELNS1_11target_archE1100ELNS1_3gpuE3ELNS1_3repE0EEENS1_30default_config_static_selectorELNS0_4arch9wavefront6targetE1EEEvT1_
		.amdhsa_group_segment_fixed_size 0
		.amdhsa_private_segment_fixed_size 0
		.amdhsa_kernarg_size 136
		.amdhsa_user_sgpr_count 6
		.amdhsa_user_sgpr_private_segment_buffer 1
		.amdhsa_user_sgpr_dispatch_ptr 0
		.amdhsa_user_sgpr_queue_ptr 0
		.amdhsa_user_sgpr_kernarg_segment_ptr 1
		.amdhsa_user_sgpr_dispatch_id 0
		.amdhsa_user_sgpr_flat_scratch_init 0
		.amdhsa_user_sgpr_kernarg_preload_length 0
		.amdhsa_user_sgpr_kernarg_preload_offset 0
		.amdhsa_user_sgpr_private_segment_size 0
		.amdhsa_uses_dynamic_stack 0
		.amdhsa_system_sgpr_private_segment_wavefront_offset 0
		.amdhsa_system_sgpr_workgroup_id_x 1
		.amdhsa_system_sgpr_workgroup_id_y 0
		.amdhsa_system_sgpr_workgroup_id_z 0
		.amdhsa_system_sgpr_workgroup_info 0
		.amdhsa_system_vgpr_workitem_id 0
		.amdhsa_next_free_vgpr 1
		.amdhsa_next_free_sgpr 0
		.amdhsa_accum_offset 4
		.amdhsa_reserve_vcc 0
		.amdhsa_reserve_flat_scratch 0
		.amdhsa_float_round_mode_32 0
		.amdhsa_float_round_mode_16_64 0
		.amdhsa_float_denorm_mode_32 3
		.amdhsa_float_denorm_mode_16_64 3
		.amdhsa_dx10_clamp 1
		.amdhsa_ieee_mode 1
		.amdhsa_fp16_overflow 0
		.amdhsa_tg_split 0
		.amdhsa_exception_fp_ieee_invalid_op 0
		.amdhsa_exception_fp_denorm_src 0
		.amdhsa_exception_fp_ieee_div_zero 0
		.amdhsa_exception_fp_ieee_overflow 0
		.amdhsa_exception_fp_ieee_underflow 0
		.amdhsa_exception_fp_ieee_inexact 0
		.amdhsa_exception_int_div_zero 0
	.end_amdhsa_kernel
	.section	.text._ZN7rocprim17ROCPRIM_400000_NS6detail17trampoline_kernelINS0_14default_configENS1_25partition_config_selectorILNS1_17partition_subalgoE8ElNS0_10empty_typeEbEEZZNS1_14partition_implILS5_8ELb0ES3_jPlPS6_PKS6_NS0_5tupleIJS9_S6_EEENSD_IJSA_SA_EEENS0_18inequality_wrapperIZN2at6native12_GLOBAL__N_124unique_dim_cuda_templateIdEESt5tupleIJNSH_6TensorESM_SM_EERKSM_lbbbEUlllE0_EEPmJS6_EEE10hipError_tPvRmT3_T4_T5_T6_T7_T9_mT8_P12ihipStream_tbDpT10_ENKUlT_T0_E_clISt17integral_constantIbLb1EES1C_EEDaS17_S18_EUlS17_E_NS1_11comp_targetILNS1_3genE9ELNS1_11target_archE1100ELNS1_3gpuE3ELNS1_3repE0EEENS1_30default_config_static_selectorELNS0_4arch9wavefront6targetE1EEEvT1_,"axG",@progbits,_ZN7rocprim17ROCPRIM_400000_NS6detail17trampoline_kernelINS0_14default_configENS1_25partition_config_selectorILNS1_17partition_subalgoE8ElNS0_10empty_typeEbEEZZNS1_14partition_implILS5_8ELb0ES3_jPlPS6_PKS6_NS0_5tupleIJS9_S6_EEENSD_IJSA_SA_EEENS0_18inequality_wrapperIZN2at6native12_GLOBAL__N_124unique_dim_cuda_templateIdEESt5tupleIJNSH_6TensorESM_SM_EERKSM_lbbbEUlllE0_EEPmJS6_EEE10hipError_tPvRmT3_T4_T5_T6_T7_T9_mT8_P12ihipStream_tbDpT10_ENKUlT_T0_E_clISt17integral_constantIbLb1EES1C_EEDaS17_S18_EUlS17_E_NS1_11comp_targetILNS1_3genE9ELNS1_11target_archE1100ELNS1_3gpuE3ELNS1_3repE0EEENS1_30default_config_static_selectorELNS0_4arch9wavefront6targetE1EEEvT1_,comdat
.Lfunc_end821:
	.size	_ZN7rocprim17ROCPRIM_400000_NS6detail17trampoline_kernelINS0_14default_configENS1_25partition_config_selectorILNS1_17partition_subalgoE8ElNS0_10empty_typeEbEEZZNS1_14partition_implILS5_8ELb0ES3_jPlPS6_PKS6_NS0_5tupleIJS9_S6_EEENSD_IJSA_SA_EEENS0_18inequality_wrapperIZN2at6native12_GLOBAL__N_124unique_dim_cuda_templateIdEESt5tupleIJNSH_6TensorESM_SM_EERKSM_lbbbEUlllE0_EEPmJS6_EEE10hipError_tPvRmT3_T4_T5_T6_T7_T9_mT8_P12ihipStream_tbDpT10_ENKUlT_T0_E_clISt17integral_constantIbLb1EES1C_EEDaS17_S18_EUlS17_E_NS1_11comp_targetILNS1_3genE9ELNS1_11target_archE1100ELNS1_3gpuE3ELNS1_3repE0EEENS1_30default_config_static_selectorELNS0_4arch9wavefront6targetE1EEEvT1_, .Lfunc_end821-_ZN7rocprim17ROCPRIM_400000_NS6detail17trampoline_kernelINS0_14default_configENS1_25partition_config_selectorILNS1_17partition_subalgoE8ElNS0_10empty_typeEbEEZZNS1_14partition_implILS5_8ELb0ES3_jPlPS6_PKS6_NS0_5tupleIJS9_S6_EEENSD_IJSA_SA_EEENS0_18inequality_wrapperIZN2at6native12_GLOBAL__N_124unique_dim_cuda_templateIdEESt5tupleIJNSH_6TensorESM_SM_EERKSM_lbbbEUlllE0_EEPmJS6_EEE10hipError_tPvRmT3_T4_T5_T6_T7_T9_mT8_P12ihipStream_tbDpT10_ENKUlT_T0_E_clISt17integral_constantIbLb1EES1C_EEDaS17_S18_EUlS17_E_NS1_11comp_targetILNS1_3genE9ELNS1_11target_archE1100ELNS1_3gpuE3ELNS1_3repE0EEENS1_30default_config_static_selectorELNS0_4arch9wavefront6targetE1EEEvT1_
                                        ; -- End function
	.section	.AMDGPU.csdata,"",@progbits
; Kernel info:
; codeLenInByte = 0
; NumSgprs: 4
; NumVgprs: 0
; NumAgprs: 0
; TotalNumVgprs: 0
; ScratchSize: 0
; MemoryBound: 0
; FloatMode: 240
; IeeeMode: 1
; LDSByteSize: 0 bytes/workgroup (compile time only)
; SGPRBlocks: 0
; VGPRBlocks: 0
; NumSGPRsForWavesPerEU: 4
; NumVGPRsForWavesPerEU: 1
; AccumOffset: 4
; Occupancy: 8
; WaveLimiterHint : 0
; COMPUTE_PGM_RSRC2:SCRATCH_EN: 0
; COMPUTE_PGM_RSRC2:USER_SGPR: 6
; COMPUTE_PGM_RSRC2:TRAP_HANDLER: 0
; COMPUTE_PGM_RSRC2:TGID_X_EN: 1
; COMPUTE_PGM_RSRC2:TGID_Y_EN: 0
; COMPUTE_PGM_RSRC2:TGID_Z_EN: 0
; COMPUTE_PGM_RSRC2:TIDIG_COMP_CNT: 0
; COMPUTE_PGM_RSRC3_GFX90A:ACCUM_OFFSET: 0
; COMPUTE_PGM_RSRC3_GFX90A:TG_SPLIT: 0
	.section	.text._ZN7rocprim17ROCPRIM_400000_NS6detail17trampoline_kernelINS0_14default_configENS1_25partition_config_selectorILNS1_17partition_subalgoE8ElNS0_10empty_typeEbEEZZNS1_14partition_implILS5_8ELb0ES3_jPlPS6_PKS6_NS0_5tupleIJS9_S6_EEENSD_IJSA_SA_EEENS0_18inequality_wrapperIZN2at6native12_GLOBAL__N_124unique_dim_cuda_templateIdEESt5tupleIJNSH_6TensorESM_SM_EERKSM_lbbbEUlllE0_EEPmJS6_EEE10hipError_tPvRmT3_T4_T5_T6_T7_T9_mT8_P12ihipStream_tbDpT10_ENKUlT_T0_E_clISt17integral_constantIbLb1EES1C_EEDaS17_S18_EUlS17_E_NS1_11comp_targetILNS1_3genE8ELNS1_11target_archE1030ELNS1_3gpuE2ELNS1_3repE0EEENS1_30default_config_static_selectorELNS0_4arch9wavefront6targetE1EEEvT1_,"axG",@progbits,_ZN7rocprim17ROCPRIM_400000_NS6detail17trampoline_kernelINS0_14default_configENS1_25partition_config_selectorILNS1_17partition_subalgoE8ElNS0_10empty_typeEbEEZZNS1_14partition_implILS5_8ELb0ES3_jPlPS6_PKS6_NS0_5tupleIJS9_S6_EEENSD_IJSA_SA_EEENS0_18inequality_wrapperIZN2at6native12_GLOBAL__N_124unique_dim_cuda_templateIdEESt5tupleIJNSH_6TensorESM_SM_EERKSM_lbbbEUlllE0_EEPmJS6_EEE10hipError_tPvRmT3_T4_T5_T6_T7_T9_mT8_P12ihipStream_tbDpT10_ENKUlT_T0_E_clISt17integral_constantIbLb1EES1C_EEDaS17_S18_EUlS17_E_NS1_11comp_targetILNS1_3genE8ELNS1_11target_archE1030ELNS1_3gpuE2ELNS1_3repE0EEENS1_30default_config_static_selectorELNS0_4arch9wavefront6targetE1EEEvT1_,comdat
	.globl	_ZN7rocprim17ROCPRIM_400000_NS6detail17trampoline_kernelINS0_14default_configENS1_25partition_config_selectorILNS1_17partition_subalgoE8ElNS0_10empty_typeEbEEZZNS1_14partition_implILS5_8ELb0ES3_jPlPS6_PKS6_NS0_5tupleIJS9_S6_EEENSD_IJSA_SA_EEENS0_18inequality_wrapperIZN2at6native12_GLOBAL__N_124unique_dim_cuda_templateIdEESt5tupleIJNSH_6TensorESM_SM_EERKSM_lbbbEUlllE0_EEPmJS6_EEE10hipError_tPvRmT3_T4_T5_T6_T7_T9_mT8_P12ihipStream_tbDpT10_ENKUlT_T0_E_clISt17integral_constantIbLb1EES1C_EEDaS17_S18_EUlS17_E_NS1_11comp_targetILNS1_3genE8ELNS1_11target_archE1030ELNS1_3gpuE2ELNS1_3repE0EEENS1_30default_config_static_selectorELNS0_4arch9wavefront6targetE1EEEvT1_ ; -- Begin function _ZN7rocprim17ROCPRIM_400000_NS6detail17trampoline_kernelINS0_14default_configENS1_25partition_config_selectorILNS1_17partition_subalgoE8ElNS0_10empty_typeEbEEZZNS1_14partition_implILS5_8ELb0ES3_jPlPS6_PKS6_NS0_5tupleIJS9_S6_EEENSD_IJSA_SA_EEENS0_18inequality_wrapperIZN2at6native12_GLOBAL__N_124unique_dim_cuda_templateIdEESt5tupleIJNSH_6TensorESM_SM_EERKSM_lbbbEUlllE0_EEPmJS6_EEE10hipError_tPvRmT3_T4_T5_T6_T7_T9_mT8_P12ihipStream_tbDpT10_ENKUlT_T0_E_clISt17integral_constantIbLb1EES1C_EEDaS17_S18_EUlS17_E_NS1_11comp_targetILNS1_3genE8ELNS1_11target_archE1030ELNS1_3gpuE2ELNS1_3repE0EEENS1_30default_config_static_selectorELNS0_4arch9wavefront6targetE1EEEvT1_
	.p2align	8
	.type	_ZN7rocprim17ROCPRIM_400000_NS6detail17trampoline_kernelINS0_14default_configENS1_25partition_config_selectorILNS1_17partition_subalgoE8ElNS0_10empty_typeEbEEZZNS1_14partition_implILS5_8ELb0ES3_jPlPS6_PKS6_NS0_5tupleIJS9_S6_EEENSD_IJSA_SA_EEENS0_18inequality_wrapperIZN2at6native12_GLOBAL__N_124unique_dim_cuda_templateIdEESt5tupleIJNSH_6TensorESM_SM_EERKSM_lbbbEUlllE0_EEPmJS6_EEE10hipError_tPvRmT3_T4_T5_T6_T7_T9_mT8_P12ihipStream_tbDpT10_ENKUlT_T0_E_clISt17integral_constantIbLb1EES1C_EEDaS17_S18_EUlS17_E_NS1_11comp_targetILNS1_3genE8ELNS1_11target_archE1030ELNS1_3gpuE2ELNS1_3repE0EEENS1_30default_config_static_selectorELNS0_4arch9wavefront6targetE1EEEvT1_,@function
_ZN7rocprim17ROCPRIM_400000_NS6detail17trampoline_kernelINS0_14default_configENS1_25partition_config_selectorILNS1_17partition_subalgoE8ElNS0_10empty_typeEbEEZZNS1_14partition_implILS5_8ELb0ES3_jPlPS6_PKS6_NS0_5tupleIJS9_S6_EEENSD_IJSA_SA_EEENS0_18inequality_wrapperIZN2at6native12_GLOBAL__N_124unique_dim_cuda_templateIdEESt5tupleIJNSH_6TensorESM_SM_EERKSM_lbbbEUlllE0_EEPmJS6_EEE10hipError_tPvRmT3_T4_T5_T6_T7_T9_mT8_P12ihipStream_tbDpT10_ENKUlT_T0_E_clISt17integral_constantIbLb1EES1C_EEDaS17_S18_EUlS17_E_NS1_11comp_targetILNS1_3genE8ELNS1_11target_archE1030ELNS1_3gpuE2ELNS1_3repE0EEENS1_30default_config_static_selectorELNS0_4arch9wavefront6targetE1EEEvT1_: ; @_ZN7rocprim17ROCPRIM_400000_NS6detail17trampoline_kernelINS0_14default_configENS1_25partition_config_selectorILNS1_17partition_subalgoE8ElNS0_10empty_typeEbEEZZNS1_14partition_implILS5_8ELb0ES3_jPlPS6_PKS6_NS0_5tupleIJS9_S6_EEENSD_IJSA_SA_EEENS0_18inequality_wrapperIZN2at6native12_GLOBAL__N_124unique_dim_cuda_templateIdEESt5tupleIJNSH_6TensorESM_SM_EERKSM_lbbbEUlllE0_EEPmJS6_EEE10hipError_tPvRmT3_T4_T5_T6_T7_T9_mT8_P12ihipStream_tbDpT10_ENKUlT_T0_E_clISt17integral_constantIbLb1EES1C_EEDaS17_S18_EUlS17_E_NS1_11comp_targetILNS1_3genE8ELNS1_11target_archE1030ELNS1_3gpuE2ELNS1_3repE0EEENS1_30default_config_static_selectorELNS0_4arch9wavefront6targetE1EEEvT1_
; %bb.0:
	.section	.rodata,"a",@progbits
	.p2align	6, 0x0
	.amdhsa_kernel _ZN7rocprim17ROCPRIM_400000_NS6detail17trampoline_kernelINS0_14default_configENS1_25partition_config_selectorILNS1_17partition_subalgoE8ElNS0_10empty_typeEbEEZZNS1_14partition_implILS5_8ELb0ES3_jPlPS6_PKS6_NS0_5tupleIJS9_S6_EEENSD_IJSA_SA_EEENS0_18inequality_wrapperIZN2at6native12_GLOBAL__N_124unique_dim_cuda_templateIdEESt5tupleIJNSH_6TensorESM_SM_EERKSM_lbbbEUlllE0_EEPmJS6_EEE10hipError_tPvRmT3_T4_T5_T6_T7_T9_mT8_P12ihipStream_tbDpT10_ENKUlT_T0_E_clISt17integral_constantIbLb1EES1C_EEDaS17_S18_EUlS17_E_NS1_11comp_targetILNS1_3genE8ELNS1_11target_archE1030ELNS1_3gpuE2ELNS1_3repE0EEENS1_30default_config_static_selectorELNS0_4arch9wavefront6targetE1EEEvT1_
		.amdhsa_group_segment_fixed_size 0
		.amdhsa_private_segment_fixed_size 0
		.amdhsa_kernarg_size 136
		.amdhsa_user_sgpr_count 6
		.amdhsa_user_sgpr_private_segment_buffer 1
		.amdhsa_user_sgpr_dispatch_ptr 0
		.amdhsa_user_sgpr_queue_ptr 0
		.amdhsa_user_sgpr_kernarg_segment_ptr 1
		.amdhsa_user_sgpr_dispatch_id 0
		.amdhsa_user_sgpr_flat_scratch_init 0
		.amdhsa_user_sgpr_kernarg_preload_length 0
		.amdhsa_user_sgpr_kernarg_preload_offset 0
		.amdhsa_user_sgpr_private_segment_size 0
		.amdhsa_uses_dynamic_stack 0
		.amdhsa_system_sgpr_private_segment_wavefront_offset 0
		.amdhsa_system_sgpr_workgroup_id_x 1
		.amdhsa_system_sgpr_workgroup_id_y 0
		.amdhsa_system_sgpr_workgroup_id_z 0
		.amdhsa_system_sgpr_workgroup_info 0
		.amdhsa_system_vgpr_workitem_id 0
		.amdhsa_next_free_vgpr 1
		.amdhsa_next_free_sgpr 0
		.amdhsa_accum_offset 4
		.amdhsa_reserve_vcc 0
		.amdhsa_reserve_flat_scratch 0
		.amdhsa_float_round_mode_32 0
		.amdhsa_float_round_mode_16_64 0
		.amdhsa_float_denorm_mode_32 3
		.amdhsa_float_denorm_mode_16_64 3
		.amdhsa_dx10_clamp 1
		.amdhsa_ieee_mode 1
		.amdhsa_fp16_overflow 0
		.amdhsa_tg_split 0
		.amdhsa_exception_fp_ieee_invalid_op 0
		.amdhsa_exception_fp_denorm_src 0
		.amdhsa_exception_fp_ieee_div_zero 0
		.amdhsa_exception_fp_ieee_overflow 0
		.amdhsa_exception_fp_ieee_underflow 0
		.amdhsa_exception_fp_ieee_inexact 0
		.amdhsa_exception_int_div_zero 0
	.end_amdhsa_kernel
	.section	.text._ZN7rocprim17ROCPRIM_400000_NS6detail17trampoline_kernelINS0_14default_configENS1_25partition_config_selectorILNS1_17partition_subalgoE8ElNS0_10empty_typeEbEEZZNS1_14partition_implILS5_8ELb0ES3_jPlPS6_PKS6_NS0_5tupleIJS9_S6_EEENSD_IJSA_SA_EEENS0_18inequality_wrapperIZN2at6native12_GLOBAL__N_124unique_dim_cuda_templateIdEESt5tupleIJNSH_6TensorESM_SM_EERKSM_lbbbEUlllE0_EEPmJS6_EEE10hipError_tPvRmT3_T4_T5_T6_T7_T9_mT8_P12ihipStream_tbDpT10_ENKUlT_T0_E_clISt17integral_constantIbLb1EES1C_EEDaS17_S18_EUlS17_E_NS1_11comp_targetILNS1_3genE8ELNS1_11target_archE1030ELNS1_3gpuE2ELNS1_3repE0EEENS1_30default_config_static_selectorELNS0_4arch9wavefront6targetE1EEEvT1_,"axG",@progbits,_ZN7rocprim17ROCPRIM_400000_NS6detail17trampoline_kernelINS0_14default_configENS1_25partition_config_selectorILNS1_17partition_subalgoE8ElNS0_10empty_typeEbEEZZNS1_14partition_implILS5_8ELb0ES3_jPlPS6_PKS6_NS0_5tupleIJS9_S6_EEENSD_IJSA_SA_EEENS0_18inequality_wrapperIZN2at6native12_GLOBAL__N_124unique_dim_cuda_templateIdEESt5tupleIJNSH_6TensorESM_SM_EERKSM_lbbbEUlllE0_EEPmJS6_EEE10hipError_tPvRmT3_T4_T5_T6_T7_T9_mT8_P12ihipStream_tbDpT10_ENKUlT_T0_E_clISt17integral_constantIbLb1EES1C_EEDaS17_S18_EUlS17_E_NS1_11comp_targetILNS1_3genE8ELNS1_11target_archE1030ELNS1_3gpuE2ELNS1_3repE0EEENS1_30default_config_static_selectorELNS0_4arch9wavefront6targetE1EEEvT1_,comdat
.Lfunc_end822:
	.size	_ZN7rocprim17ROCPRIM_400000_NS6detail17trampoline_kernelINS0_14default_configENS1_25partition_config_selectorILNS1_17partition_subalgoE8ElNS0_10empty_typeEbEEZZNS1_14partition_implILS5_8ELb0ES3_jPlPS6_PKS6_NS0_5tupleIJS9_S6_EEENSD_IJSA_SA_EEENS0_18inequality_wrapperIZN2at6native12_GLOBAL__N_124unique_dim_cuda_templateIdEESt5tupleIJNSH_6TensorESM_SM_EERKSM_lbbbEUlllE0_EEPmJS6_EEE10hipError_tPvRmT3_T4_T5_T6_T7_T9_mT8_P12ihipStream_tbDpT10_ENKUlT_T0_E_clISt17integral_constantIbLb1EES1C_EEDaS17_S18_EUlS17_E_NS1_11comp_targetILNS1_3genE8ELNS1_11target_archE1030ELNS1_3gpuE2ELNS1_3repE0EEENS1_30default_config_static_selectorELNS0_4arch9wavefront6targetE1EEEvT1_, .Lfunc_end822-_ZN7rocprim17ROCPRIM_400000_NS6detail17trampoline_kernelINS0_14default_configENS1_25partition_config_selectorILNS1_17partition_subalgoE8ElNS0_10empty_typeEbEEZZNS1_14partition_implILS5_8ELb0ES3_jPlPS6_PKS6_NS0_5tupleIJS9_S6_EEENSD_IJSA_SA_EEENS0_18inequality_wrapperIZN2at6native12_GLOBAL__N_124unique_dim_cuda_templateIdEESt5tupleIJNSH_6TensorESM_SM_EERKSM_lbbbEUlllE0_EEPmJS6_EEE10hipError_tPvRmT3_T4_T5_T6_T7_T9_mT8_P12ihipStream_tbDpT10_ENKUlT_T0_E_clISt17integral_constantIbLb1EES1C_EEDaS17_S18_EUlS17_E_NS1_11comp_targetILNS1_3genE8ELNS1_11target_archE1030ELNS1_3gpuE2ELNS1_3repE0EEENS1_30default_config_static_selectorELNS0_4arch9wavefront6targetE1EEEvT1_
                                        ; -- End function
	.section	.AMDGPU.csdata,"",@progbits
; Kernel info:
; codeLenInByte = 0
; NumSgprs: 4
; NumVgprs: 0
; NumAgprs: 0
; TotalNumVgprs: 0
; ScratchSize: 0
; MemoryBound: 0
; FloatMode: 240
; IeeeMode: 1
; LDSByteSize: 0 bytes/workgroup (compile time only)
; SGPRBlocks: 0
; VGPRBlocks: 0
; NumSGPRsForWavesPerEU: 4
; NumVGPRsForWavesPerEU: 1
; AccumOffset: 4
; Occupancy: 8
; WaveLimiterHint : 0
; COMPUTE_PGM_RSRC2:SCRATCH_EN: 0
; COMPUTE_PGM_RSRC2:USER_SGPR: 6
; COMPUTE_PGM_RSRC2:TRAP_HANDLER: 0
; COMPUTE_PGM_RSRC2:TGID_X_EN: 1
; COMPUTE_PGM_RSRC2:TGID_Y_EN: 0
; COMPUTE_PGM_RSRC2:TGID_Z_EN: 0
; COMPUTE_PGM_RSRC2:TIDIG_COMP_CNT: 0
; COMPUTE_PGM_RSRC3_GFX90A:ACCUM_OFFSET: 0
; COMPUTE_PGM_RSRC3_GFX90A:TG_SPLIT: 0
	.section	.text._ZN7rocprim17ROCPRIM_400000_NS6detail17trampoline_kernelINS0_14default_configENS1_25partition_config_selectorILNS1_17partition_subalgoE8ElNS0_10empty_typeEbEEZZNS1_14partition_implILS5_8ELb0ES3_jPlPS6_PKS6_NS0_5tupleIJS9_S6_EEENSD_IJSA_SA_EEENS0_18inequality_wrapperIZN2at6native12_GLOBAL__N_124unique_dim_cuda_templateIdEESt5tupleIJNSH_6TensorESM_SM_EERKSM_lbbbEUlllE0_EEPmJS6_EEE10hipError_tPvRmT3_T4_T5_T6_T7_T9_mT8_P12ihipStream_tbDpT10_ENKUlT_T0_E_clISt17integral_constantIbLb1EES1B_IbLb0EEEEDaS17_S18_EUlS17_E_NS1_11comp_targetILNS1_3genE0ELNS1_11target_archE4294967295ELNS1_3gpuE0ELNS1_3repE0EEENS1_30default_config_static_selectorELNS0_4arch9wavefront6targetE1EEEvT1_,"axG",@progbits,_ZN7rocprim17ROCPRIM_400000_NS6detail17trampoline_kernelINS0_14default_configENS1_25partition_config_selectorILNS1_17partition_subalgoE8ElNS0_10empty_typeEbEEZZNS1_14partition_implILS5_8ELb0ES3_jPlPS6_PKS6_NS0_5tupleIJS9_S6_EEENSD_IJSA_SA_EEENS0_18inequality_wrapperIZN2at6native12_GLOBAL__N_124unique_dim_cuda_templateIdEESt5tupleIJNSH_6TensorESM_SM_EERKSM_lbbbEUlllE0_EEPmJS6_EEE10hipError_tPvRmT3_T4_T5_T6_T7_T9_mT8_P12ihipStream_tbDpT10_ENKUlT_T0_E_clISt17integral_constantIbLb1EES1B_IbLb0EEEEDaS17_S18_EUlS17_E_NS1_11comp_targetILNS1_3genE0ELNS1_11target_archE4294967295ELNS1_3gpuE0ELNS1_3repE0EEENS1_30default_config_static_selectorELNS0_4arch9wavefront6targetE1EEEvT1_,comdat
	.globl	_ZN7rocprim17ROCPRIM_400000_NS6detail17trampoline_kernelINS0_14default_configENS1_25partition_config_selectorILNS1_17partition_subalgoE8ElNS0_10empty_typeEbEEZZNS1_14partition_implILS5_8ELb0ES3_jPlPS6_PKS6_NS0_5tupleIJS9_S6_EEENSD_IJSA_SA_EEENS0_18inequality_wrapperIZN2at6native12_GLOBAL__N_124unique_dim_cuda_templateIdEESt5tupleIJNSH_6TensorESM_SM_EERKSM_lbbbEUlllE0_EEPmJS6_EEE10hipError_tPvRmT3_T4_T5_T6_T7_T9_mT8_P12ihipStream_tbDpT10_ENKUlT_T0_E_clISt17integral_constantIbLb1EES1B_IbLb0EEEEDaS17_S18_EUlS17_E_NS1_11comp_targetILNS1_3genE0ELNS1_11target_archE4294967295ELNS1_3gpuE0ELNS1_3repE0EEENS1_30default_config_static_selectorELNS0_4arch9wavefront6targetE1EEEvT1_ ; -- Begin function _ZN7rocprim17ROCPRIM_400000_NS6detail17trampoline_kernelINS0_14default_configENS1_25partition_config_selectorILNS1_17partition_subalgoE8ElNS0_10empty_typeEbEEZZNS1_14partition_implILS5_8ELb0ES3_jPlPS6_PKS6_NS0_5tupleIJS9_S6_EEENSD_IJSA_SA_EEENS0_18inequality_wrapperIZN2at6native12_GLOBAL__N_124unique_dim_cuda_templateIdEESt5tupleIJNSH_6TensorESM_SM_EERKSM_lbbbEUlllE0_EEPmJS6_EEE10hipError_tPvRmT3_T4_T5_T6_T7_T9_mT8_P12ihipStream_tbDpT10_ENKUlT_T0_E_clISt17integral_constantIbLb1EES1B_IbLb0EEEEDaS17_S18_EUlS17_E_NS1_11comp_targetILNS1_3genE0ELNS1_11target_archE4294967295ELNS1_3gpuE0ELNS1_3repE0EEENS1_30default_config_static_selectorELNS0_4arch9wavefront6targetE1EEEvT1_
	.p2align	8
	.type	_ZN7rocprim17ROCPRIM_400000_NS6detail17trampoline_kernelINS0_14default_configENS1_25partition_config_selectorILNS1_17partition_subalgoE8ElNS0_10empty_typeEbEEZZNS1_14partition_implILS5_8ELb0ES3_jPlPS6_PKS6_NS0_5tupleIJS9_S6_EEENSD_IJSA_SA_EEENS0_18inequality_wrapperIZN2at6native12_GLOBAL__N_124unique_dim_cuda_templateIdEESt5tupleIJNSH_6TensorESM_SM_EERKSM_lbbbEUlllE0_EEPmJS6_EEE10hipError_tPvRmT3_T4_T5_T6_T7_T9_mT8_P12ihipStream_tbDpT10_ENKUlT_T0_E_clISt17integral_constantIbLb1EES1B_IbLb0EEEEDaS17_S18_EUlS17_E_NS1_11comp_targetILNS1_3genE0ELNS1_11target_archE4294967295ELNS1_3gpuE0ELNS1_3repE0EEENS1_30default_config_static_selectorELNS0_4arch9wavefront6targetE1EEEvT1_,@function
_ZN7rocprim17ROCPRIM_400000_NS6detail17trampoline_kernelINS0_14default_configENS1_25partition_config_selectorILNS1_17partition_subalgoE8ElNS0_10empty_typeEbEEZZNS1_14partition_implILS5_8ELb0ES3_jPlPS6_PKS6_NS0_5tupleIJS9_S6_EEENSD_IJSA_SA_EEENS0_18inequality_wrapperIZN2at6native12_GLOBAL__N_124unique_dim_cuda_templateIdEESt5tupleIJNSH_6TensorESM_SM_EERKSM_lbbbEUlllE0_EEPmJS6_EEE10hipError_tPvRmT3_T4_T5_T6_T7_T9_mT8_P12ihipStream_tbDpT10_ENKUlT_T0_E_clISt17integral_constantIbLb1EES1B_IbLb0EEEEDaS17_S18_EUlS17_E_NS1_11comp_targetILNS1_3genE0ELNS1_11target_archE4294967295ELNS1_3gpuE0ELNS1_3repE0EEENS1_30default_config_static_selectorELNS0_4arch9wavefront6targetE1EEEvT1_: ; @_ZN7rocprim17ROCPRIM_400000_NS6detail17trampoline_kernelINS0_14default_configENS1_25partition_config_selectorILNS1_17partition_subalgoE8ElNS0_10empty_typeEbEEZZNS1_14partition_implILS5_8ELb0ES3_jPlPS6_PKS6_NS0_5tupleIJS9_S6_EEENSD_IJSA_SA_EEENS0_18inequality_wrapperIZN2at6native12_GLOBAL__N_124unique_dim_cuda_templateIdEESt5tupleIJNSH_6TensorESM_SM_EERKSM_lbbbEUlllE0_EEPmJS6_EEE10hipError_tPvRmT3_T4_T5_T6_T7_T9_mT8_P12ihipStream_tbDpT10_ENKUlT_T0_E_clISt17integral_constantIbLb1EES1B_IbLb0EEEEDaS17_S18_EUlS17_E_NS1_11comp_targetILNS1_3genE0ELNS1_11target_archE4294967295ELNS1_3gpuE0ELNS1_3repE0EEENS1_30default_config_static_selectorELNS0_4arch9wavefront6targetE1EEEvT1_
; %bb.0:
	.section	.rodata,"a",@progbits
	.p2align	6, 0x0
	.amdhsa_kernel _ZN7rocprim17ROCPRIM_400000_NS6detail17trampoline_kernelINS0_14default_configENS1_25partition_config_selectorILNS1_17partition_subalgoE8ElNS0_10empty_typeEbEEZZNS1_14partition_implILS5_8ELb0ES3_jPlPS6_PKS6_NS0_5tupleIJS9_S6_EEENSD_IJSA_SA_EEENS0_18inequality_wrapperIZN2at6native12_GLOBAL__N_124unique_dim_cuda_templateIdEESt5tupleIJNSH_6TensorESM_SM_EERKSM_lbbbEUlllE0_EEPmJS6_EEE10hipError_tPvRmT3_T4_T5_T6_T7_T9_mT8_P12ihipStream_tbDpT10_ENKUlT_T0_E_clISt17integral_constantIbLb1EES1B_IbLb0EEEEDaS17_S18_EUlS17_E_NS1_11comp_targetILNS1_3genE0ELNS1_11target_archE4294967295ELNS1_3gpuE0ELNS1_3repE0EEENS1_30default_config_static_selectorELNS0_4arch9wavefront6targetE1EEEvT1_
		.amdhsa_group_segment_fixed_size 0
		.amdhsa_private_segment_fixed_size 0
		.amdhsa_kernarg_size 120
		.amdhsa_user_sgpr_count 6
		.amdhsa_user_sgpr_private_segment_buffer 1
		.amdhsa_user_sgpr_dispatch_ptr 0
		.amdhsa_user_sgpr_queue_ptr 0
		.amdhsa_user_sgpr_kernarg_segment_ptr 1
		.amdhsa_user_sgpr_dispatch_id 0
		.amdhsa_user_sgpr_flat_scratch_init 0
		.amdhsa_user_sgpr_kernarg_preload_length 0
		.amdhsa_user_sgpr_kernarg_preload_offset 0
		.amdhsa_user_sgpr_private_segment_size 0
		.amdhsa_uses_dynamic_stack 0
		.amdhsa_system_sgpr_private_segment_wavefront_offset 0
		.amdhsa_system_sgpr_workgroup_id_x 1
		.amdhsa_system_sgpr_workgroup_id_y 0
		.amdhsa_system_sgpr_workgroup_id_z 0
		.amdhsa_system_sgpr_workgroup_info 0
		.amdhsa_system_vgpr_workitem_id 0
		.amdhsa_next_free_vgpr 1
		.amdhsa_next_free_sgpr 0
		.amdhsa_accum_offset 4
		.amdhsa_reserve_vcc 0
		.amdhsa_reserve_flat_scratch 0
		.amdhsa_float_round_mode_32 0
		.amdhsa_float_round_mode_16_64 0
		.amdhsa_float_denorm_mode_32 3
		.amdhsa_float_denorm_mode_16_64 3
		.amdhsa_dx10_clamp 1
		.amdhsa_ieee_mode 1
		.amdhsa_fp16_overflow 0
		.amdhsa_tg_split 0
		.amdhsa_exception_fp_ieee_invalid_op 0
		.amdhsa_exception_fp_denorm_src 0
		.amdhsa_exception_fp_ieee_div_zero 0
		.amdhsa_exception_fp_ieee_overflow 0
		.amdhsa_exception_fp_ieee_underflow 0
		.amdhsa_exception_fp_ieee_inexact 0
		.amdhsa_exception_int_div_zero 0
	.end_amdhsa_kernel
	.section	.text._ZN7rocprim17ROCPRIM_400000_NS6detail17trampoline_kernelINS0_14default_configENS1_25partition_config_selectorILNS1_17partition_subalgoE8ElNS0_10empty_typeEbEEZZNS1_14partition_implILS5_8ELb0ES3_jPlPS6_PKS6_NS0_5tupleIJS9_S6_EEENSD_IJSA_SA_EEENS0_18inequality_wrapperIZN2at6native12_GLOBAL__N_124unique_dim_cuda_templateIdEESt5tupleIJNSH_6TensorESM_SM_EERKSM_lbbbEUlllE0_EEPmJS6_EEE10hipError_tPvRmT3_T4_T5_T6_T7_T9_mT8_P12ihipStream_tbDpT10_ENKUlT_T0_E_clISt17integral_constantIbLb1EES1B_IbLb0EEEEDaS17_S18_EUlS17_E_NS1_11comp_targetILNS1_3genE0ELNS1_11target_archE4294967295ELNS1_3gpuE0ELNS1_3repE0EEENS1_30default_config_static_selectorELNS0_4arch9wavefront6targetE1EEEvT1_,"axG",@progbits,_ZN7rocprim17ROCPRIM_400000_NS6detail17trampoline_kernelINS0_14default_configENS1_25partition_config_selectorILNS1_17partition_subalgoE8ElNS0_10empty_typeEbEEZZNS1_14partition_implILS5_8ELb0ES3_jPlPS6_PKS6_NS0_5tupleIJS9_S6_EEENSD_IJSA_SA_EEENS0_18inequality_wrapperIZN2at6native12_GLOBAL__N_124unique_dim_cuda_templateIdEESt5tupleIJNSH_6TensorESM_SM_EERKSM_lbbbEUlllE0_EEPmJS6_EEE10hipError_tPvRmT3_T4_T5_T6_T7_T9_mT8_P12ihipStream_tbDpT10_ENKUlT_T0_E_clISt17integral_constantIbLb1EES1B_IbLb0EEEEDaS17_S18_EUlS17_E_NS1_11comp_targetILNS1_3genE0ELNS1_11target_archE4294967295ELNS1_3gpuE0ELNS1_3repE0EEENS1_30default_config_static_selectorELNS0_4arch9wavefront6targetE1EEEvT1_,comdat
.Lfunc_end823:
	.size	_ZN7rocprim17ROCPRIM_400000_NS6detail17trampoline_kernelINS0_14default_configENS1_25partition_config_selectorILNS1_17partition_subalgoE8ElNS0_10empty_typeEbEEZZNS1_14partition_implILS5_8ELb0ES3_jPlPS6_PKS6_NS0_5tupleIJS9_S6_EEENSD_IJSA_SA_EEENS0_18inequality_wrapperIZN2at6native12_GLOBAL__N_124unique_dim_cuda_templateIdEESt5tupleIJNSH_6TensorESM_SM_EERKSM_lbbbEUlllE0_EEPmJS6_EEE10hipError_tPvRmT3_T4_T5_T6_T7_T9_mT8_P12ihipStream_tbDpT10_ENKUlT_T0_E_clISt17integral_constantIbLb1EES1B_IbLb0EEEEDaS17_S18_EUlS17_E_NS1_11comp_targetILNS1_3genE0ELNS1_11target_archE4294967295ELNS1_3gpuE0ELNS1_3repE0EEENS1_30default_config_static_selectorELNS0_4arch9wavefront6targetE1EEEvT1_, .Lfunc_end823-_ZN7rocprim17ROCPRIM_400000_NS6detail17trampoline_kernelINS0_14default_configENS1_25partition_config_selectorILNS1_17partition_subalgoE8ElNS0_10empty_typeEbEEZZNS1_14partition_implILS5_8ELb0ES3_jPlPS6_PKS6_NS0_5tupleIJS9_S6_EEENSD_IJSA_SA_EEENS0_18inequality_wrapperIZN2at6native12_GLOBAL__N_124unique_dim_cuda_templateIdEESt5tupleIJNSH_6TensorESM_SM_EERKSM_lbbbEUlllE0_EEPmJS6_EEE10hipError_tPvRmT3_T4_T5_T6_T7_T9_mT8_P12ihipStream_tbDpT10_ENKUlT_T0_E_clISt17integral_constantIbLb1EES1B_IbLb0EEEEDaS17_S18_EUlS17_E_NS1_11comp_targetILNS1_3genE0ELNS1_11target_archE4294967295ELNS1_3gpuE0ELNS1_3repE0EEENS1_30default_config_static_selectorELNS0_4arch9wavefront6targetE1EEEvT1_
                                        ; -- End function
	.section	.AMDGPU.csdata,"",@progbits
; Kernel info:
; codeLenInByte = 0
; NumSgprs: 4
; NumVgprs: 0
; NumAgprs: 0
; TotalNumVgprs: 0
; ScratchSize: 0
; MemoryBound: 0
; FloatMode: 240
; IeeeMode: 1
; LDSByteSize: 0 bytes/workgroup (compile time only)
; SGPRBlocks: 0
; VGPRBlocks: 0
; NumSGPRsForWavesPerEU: 4
; NumVGPRsForWavesPerEU: 1
; AccumOffset: 4
; Occupancy: 8
; WaveLimiterHint : 0
; COMPUTE_PGM_RSRC2:SCRATCH_EN: 0
; COMPUTE_PGM_RSRC2:USER_SGPR: 6
; COMPUTE_PGM_RSRC2:TRAP_HANDLER: 0
; COMPUTE_PGM_RSRC2:TGID_X_EN: 1
; COMPUTE_PGM_RSRC2:TGID_Y_EN: 0
; COMPUTE_PGM_RSRC2:TGID_Z_EN: 0
; COMPUTE_PGM_RSRC2:TIDIG_COMP_CNT: 0
; COMPUTE_PGM_RSRC3_GFX90A:ACCUM_OFFSET: 0
; COMPUTE_PGM_RSRC3_GFX90A:TG_SPLIT: 0
	.section	.text._ZN7rocprim17ROCPRIM_400000_NS6detail17trampoline_kernelINS0_14default_configENS1_25partition_config_selectorILNS1_17partition_subalgoE8ElNS0_10empty_typeEbEEZZNS1_14partition_implILS5_8ELb0ES3_jPlPS6_PKS6_NS0_5tupleIJS9_S6_EEENSD_IJSA_SA_EEENS0_18inequality_wrapperIZN2at6native12_GLOBAL__N_124unique_dim_cuda_templateIdEESt5tupleIJNSH_6TensorESM_SM_EERKSM_lbbbEUlllE0_EEPmJS6_EEE10hipError_tPvRmT3_T4_T5_T6_T7_T9_mT8_P12ihipStream_tbDpT10_ENKUlT_T0_E_clISt17integral_constantIbLb1EES1B_IbLb0EEEEDaS17_S18_EUlS17_E_NS1_11comp_targetILNS1_3genE5ELNS1_11target_archE942ELNS1_3gpuE9ELNS1_3repE0EEENS1_30default_config_static_selectorELNS0_4arch9wavefront6targetE1EEEvT1_,"axG",@progbits,_ZN7rocprim17ROCPRIM_400000_NS6detail17trampoline_kernelINS0_14default_configENS1_25partition_config_selectorILNS1_17partition_subalgoE8ElNS0_10empty_typeEbEEZZNS1_14partition_implILS5_8ELb0ES3_jPlPS6_PKS6_NS0_5tupleIJS9_S6_EEENSD_IJSA_SA_EEENS0_18inequality_wrapperIZN2at6native12_GLOBAL__N_124unique_dim_cuda_templateIdEESt5tupleIJNSH_6TensorESM_SM_EERKSM_lbbbEUlllE0_EEPmJS6_EEE10hipError_tPvRmT3_T4_T5_T6_T7_T9_mT8_P12ihipStream_tbDpT10_ENKUlT_T0_E_clISt17integral_constantIbLb1EES1B_IbLb0EEEEDaS17_S18_EUlS17_E_NS1_11comp_targetILNS1_3genE5ELNS1_11target_archE942ELNS1_3gpuE9ELNS1_3repE0EEENS1_30default_config_static_selectorELNS0_4arch9wavefront6targetE1EEEvT1_,comdat
	.globl	_ZN7rocprim17ROCPRIM_400000_NS6detail17trampoline_kernelINS0_14default_configENS1_25partition_config_selectorILNS1_17partition_subalgoE8ElNS0_10empty_typeEbEEZZNS1_14partition_implILS5_8ELb0ES3_jPlPS6_PKS6_NS0_5tupleIJS9_S6_EEENSD_IJSA_SA_EEENS0_18inequality_wrapperIZN2at6native12_GLOBAL__N_124unique_dim_cuda_templateIdEESt5tupleIJNSH_6TensorESM_SM_EERKSM_lbbbEUlllE0_EEPmJS6_EEE10hipError_tPvRmT3_T4_T5_T6_T7_T9_mT8_P12ihipStream_tbDpT10_ENKUlT_T0_E_clISt17integral_constantIbLb1EES1B_IbLb0EEEEDaS17_S18_EUlS17_E_NS1_11comp_targetILNS1_3genE5ELNS1_11target_archE942ELNS1_3gpuE9ELNS1_3repE0EEENS1_30default_config_static_selectorELNS0_4arch9wavefront6targetE1EEEvT1_ ; -- Begin function _ZN7rocprim17ROCPRIM_400000_NS6detail17trampoline_kernelINS0_14default_configENS1_25partition_config_selectorILNS1_17partition_subalgoE8ElNS0_10empty_typeEbEEZZNS1_14partition_implILS5_8ELb0ES3_jPlPS6_PKS6_NS0_5tupleIJS9_S6_EEENSD_IJSA_SA_EEENS0_18inequality_wrapperIZN2at6native12_GLOBAL__N_124unique_dim_cuda_templateIdEESt5tupleIJNSH_6TensorESM_SM_EERKSM_lbbbEUlllE0_EEPmJS6_EEE10hipError_tPvRmT3_T4_T5_T6_T7_T9_mT8_P12ihipStream_tbDpT10_ENKUlT_T0_E_clISt17integral_constantIbLb1EES1B_IbLb0EEEEDaS17_S18_EUlS17_E_NS1_11comp_targetILNS1_3genE5ELNS1_11target_archE942ELNS1_3gpuE9ELNS1_3repE0EEENS1_30default_config_static_selectorELNS0_4arch9wavefront6targetE1EEEvT1_
	.p2align	8
	.type	_ZN7rocprim17ROCPRIM_400000_NS6detail17trampoline_kernelINS0_14default_configENS1_25partition_config_selectorILNS1_17partition_subalgoE8ElNS0_10empty_typeEbEEZZNS1_14partition_implILS5_8ELb0ES3_jPlPS6_PKS6_NS0_5tupleIJS9_S6_EEENSD_IJSA_SA_EEENS0_18inequality_wrapperIZN2at6native12_GLOBAL__N_124unique_dim_cuda_templateIdEESt5tupleIJNSH_6TensorESM_SM_EERKSM_lbbbEUlllE0_EEPmJS6_EEE10hipError_tPvRmT3_T4_T5_T6_T7_T9_mT8_P12ihipStream_tbDpT10_ENKUlT_T0_E_clISt17integral_constantIbLb1EES1B_IbLb0EEEEDaS17_S18_EUlS17_E_NS1_11comp_targetILNS1_3genE5ELNS1_11target_archE942ELNS1_3gpuE9ELNS1_3repE0EEENS1_30default_config_static_selectorELNS0_4arch9wavefront6targetE1EEEvT1_,@function
_ZN7rocprim17ROCPRIM_400000_NS6detail17trampoline_kernelINS0_14default_configENS1_25partition_config_selectorILNS1_17partition_subalgoE8ElNS0_10empty_typeEbEEZZNS1_14partition_implILS5_8ELb0ES3_jPlPS6_PKS6_NS0_5tupleIJS9_S6_EEENSD_IJSA_SA_EEENS0_18inequality_wrapperIZN2at6native12_GLOBAL__N_124unique_dim_cuda_templateIdEESt5tupleIJNSH_6TensorESM_SM_EERKSM_lbbbEUlllE0_EEPmJS6_EEE10hipError_tPvRmT3_T4_T5_T6_T7_T9_mT8_P12ihipStream_tbDpT10_ENKUlT_T0_E_clISt17integral_constantIbLb1EES1B_IbLb0EEEEDaS17_S18_EUlS17_E_NS1_11comp_targetILNS1_3genE5ELNS1_11target_archE942ELNS1_3gpuE9ELNS1_3repE0EEENS1_30default_config_static_selectorELNS0_4arch9wavefront6targetE1EEEvT1_: ; @_ZN7rocprim17ROCPRIM_400000_NS6detail17trampoline_kernelINS0_14default_configENS1_25partition_config_selectorILNS1_17partition_subalgoE8ElNS0_10empty_typeEbEEZZNS1_14partition_implILS5_8ELb0ES3_jPlPS6_PKS6_NS0_5tupleIJS9_S6_EEENSD_IJSA_SA_EEENS0_18inequality_wrapperIZN2at6native12_GLOBAL__N_124unique_dim_cuda_templateIdEESt5tupleIJNSH_6TensorESM_SM_EERKSM_lbbbEUlllE0_EEPmJS6_EEE10hipError_tPvRmT3_T4_T5_T6_T7_T9_mT8_P12ihipStream_tbDpT10_ENKUlT_T0_E_clISt17integral_constantIbLb1EES1B_IbLb0EEEEDaS17_S18_EUlS17_E_NS1_11comp_targetILNS1_3genE5ELNS1_11target_archE942ELNS1_3gpuE9ELNS1_3repE0EEENS1_30default_config_static_selectorELNS0_4arch9wavefront6targetE1EEEvT1_
; %bb.0:
	.section	.rodata,"a",@progbits
	.p2align	6, 0x0
	.amdhsa_kernel _ZN7rocprim17ROCPRIM_400000_NS6detail17trampoline_kernelINS0_14default_configENS1_25partition_config_selectorILNS1_17partition_subalgoE8ElNS0_10empty_typeEbEEZZNS1_14partition_implILS5_8ELb0ES3_jPlPS6_PKS6_NS0_5tupleIJS9_S6_EEENSD_IJSA_SA_EEENS0_18inequality_wrapperIZN2at6native12_GLOBAL__N_124unique_dim_cuda_templateIdEESt5tupleIJNSH_6TensorESM_SM_EERKSM_lbbbEUlllE0_EEPmJS6_EEE10hipError_tPvRmT3_T4_T5_T6_T7_T9_mT8_P12ihipStream_tbDpT10_ENKUlT_T0_E_clISt17integral_constantIbLb1EES1B_IbLb0EEEEDaS17_S18_EUlS17_E_NS1_11comp_targetILNS1_3genE5ELNS1_11target_archE942ELNS1_3gpuE9ELNS1_3repE0EEENS1_30default_config_static_selectorELNS0_4arch9wavefront6targetE1EEEvT1_
		.amdhsa_group_segment_fixed_size 0
		.amdhsa_private_segment_fixed_size 0
		.amdhsa_kernarg_size 120
		.amdhsa_user_sgpr_count 6
		.amdhsa_user_sgpr_private_segment_buffer 1
		.amdhsa_user_sgpr_dispatch_ptr 0
		.amdhsa_user_sgpr_queue_ptr 0
		.amdhsa_user_sgpr_kernarg_segment_ptr 1
		.amdhsa_user_sgpr_dispatch_id 0
		.amdhsa_user_sgpr_flat_scratch_init 0
		.amdhsa_user_sgpr_kernarg_preload_length 0
		.amdhsa_user_sgpr_kernarg_preload_offset 0
		.amdhsa_user_sgpr_private_segment_size 0
		.amdhsa_uses_dynamic_stack 0
		.amdhsa_system_sgpr_private_segment_wavefront_offset 0
		.amdhsa_system_sgpr_workgroup_id_x 1
		.amdhsa_system_sgpr_workgroup_id_y 0
		.amdhsa_system_sgpr_workgroup_id_z 0
		.amdhsa_system_sgpr_workgroup_info 0
		.amdhsa_system_vgpr_workitem_id 0
		.amdhsa_next_free_vgpr 1
		.amdhsa_next_free_sgpr 0
		.amdhsa_accum_offset 4
		.amdhsa_reserve_vcc 0
		.amdhsa_reserve_flat_scratch 0
		.amdhsa_float_round_mode_32 0
		.amdhsa_float_round_mode_16_64 0
		.amdhsa_float_denorm_mode_32 3
		.amdhsa_float_denorm_mode_16_64 3
		.amdhsa_dx10_clamp 1
		.amdhsa_ieee_mode 1
		.amdhsa_fp16_overflow 0
		.amdhsa_tg_split 0
		.amdhsa_exception_fp_ieee_invalid_op 0
		.amdhsa_exception_fp_denorm_src 0
		.amdhsa_exception_fp_ieee_div_zero 0
		.amdhsa_exception_fp_ieee_overflow 0
		.amdhsa_exception_fp_ieee_underflow 0
		.amdhsa_exception_fp_ieee_inexact 0
		.amdhsa_exception_int_div_zero 0
	.end_amdhsa_kernel
	.section	.text._ZN7rocprim17ROCPRIM_400000_NS6detail17trampoline_kernelINS0_14default_configENS1_25partition_config_selectorILNS1_17partition_subalgoE8ElNS0_10empty_typeEbEEZZNS1_14partition_implILS5_8ELb0ES3_jPlPS6_PKS6_NS0_5tupleIJS9_S6_EEENSD_IJSA_SA_EEENS0_18inequality_wrapperIZN2at6native12_GLOBAL__N_124unique_dim_cuda_templateIdEESt5tupleIJNSH_6TensorESM_SM_EERKSM_lbbbEUlllE0_EEPmJS6_EEE10hipError_tPvRmT3_T4_T5_T6_T7_T9_mT8_P12ihipStream_tbDpT10_ENKUlT_T0_E_clISt17integral_constantIbLb1EES1B_IbLb0EEEEDaS17_S18_EUlS17_E_NS1_11comp_targetILNS1_3genE5ELNS1_11target_archE942ELNS1_3gpuE9ELNS1_3repE0EEENS1_30default_config_static_selectorELNS0_4arch9wavefront6targetE1EEEvT1_,"axG",@progbits,_ZN7rocprim17ROCPRIM_400000_NS6detail17trampoline_kernelINS0_14default_configENS1_25partition_config_selectorILNS1_17partition_subalgoE8ElNS0_10empty_typeEbEEZZNS1_14partition_implILS5_8ELb0ES3_jPlPS6_PKS6_NS0_5tupleIJS9_S6_EEENSD_IJSA_SA_EEENS0_18inequality_wrapperIZN2at6native12_GLOBAL__N_124unique_dim_cuda_templateIdEESt5tupleIJNSH_6TensorESM_SM_EERKSM_lbbbEUlllE0_EEPmJS6_EEE10hipError_tPvRmT3_T4_T5_T6_T7_T9_mT8_P12ihipStream_tbDpT10_ENKUlT_T0_E_clISt17integral_constantIbLb1EES1B_IbLb0EEEEDaS17_S18_EUlS17_E_NS1_11comp_targetILNS1_3genE5ELNS1_11target_archE942ELNS1_3gpuE9ELNS1_3repE0EEENS1_30default_config_static_selectorELNS0_4arch9wavefront6targetE1EEEvT1_,comdat
.Lfunc_end824:
	.size	_ZN7rocprim17ROCPRIM_400000_NS6detail17trampoline_kernelINS0_14default_configENS1_25partition_config_selectorILNS1_17partition_subalgoE8ElNS0_10empty_typeEbEEZZNS1_14partition_implILS5_8ELb0ES3_jPlPS6_PKS6_NS0_5tupleIJS9_S6_EEENSD_IJSA_SA_EEENS0_18inequality_wrapperIZN2at6native12_GLOBAL__N_124unique_dim_cuda_templateIdEESt5tupleIJNSH_6TensorESM_SM_EERKSM_lbbbEUlllE0_EEPmJS6_EEE10hipError_tPvRmT3_T4_T5_T6_T7_T9_mT8_P12ihipStream_tbDpT10_ENKUlT_T0_E_clISt17integral_constantIbLb1EES1B_IbLb0EEEEDaS17_S18_EUlS17_E_NS1_11comp_targetILNS1_3genE5ELNS1_11target_archE942ELNS1_3gpuE9ELNS1_3repE0EEENS1_30default_config_static_selectorELNS0_4arch9wavefront6targetE1EEEvT1_, .Lfunc_end824-_ZN7rocprim17ROCPRIM_400000_NS6detail17trampoline_kernelINS0_14default_configENS1_25partition_config_selectorILNS1_17partition_subalgoE8ElNS0_10empty_typeEbEEZZNS1_14partition_implILS5_8ELb0ES3_jPlPS6_PKS6_NS0_5tupleIJS9_S6_EEENSD_IJSA_SA_EEENS0_18inequality_wrapperIZN2at6native12_GLOBAL__N_124unique_dim_cuda_templateIdEESt5tupleIJNSH_6TensorESM_SM_EERKSM_lbbbEUlllE0_EEPmJS6_EEE10hipError_tPvRmT3_T4_T5_T6_T7_T9_mT8_P12ihipStream_tbDpT10_ENKUlT_T0_E_clISt17integral_constantIbLb1EES1B_IbLb0EEEEDaS17_S18_EUlS17_E_NS1_11comp_targetILNS1_3genE5ELNS1_11target_archE942ELNS1_3gpuE9ELNS1_3repE0EEENS1_30default_config_static_selectorELNS0_4arch9wavefront6targetE1EEEvT1_
                                        ; -- End function
	.section	.AMDGPU.csdata,"",@progbits
; Kernel info:
; codeLenInByte = 0
; NumSgprs: 4
; NumVgprs: 0
; NumAgprs: 0
; TotalNumVgprs: 0
; ScratchSize: 0
; MemoryBound: 0
; FloatMode: 240
; IeeeMode: 1
; LDSByteSize: 0 bytes/workgroup (compile time only)
; SGPRBlocks: 0
; VGPRBlocks: 0
; NumSGPRsForWavesPerEU: 4
; NumVGPRsForWavesPerEU: 1
; AccumOffset: 4
; Occupancy: 8
; WaveLimiterHint : 0
; COMPUTE_PGM_RSRC2:SCRATCH_EN: 0
; COMPUTE_PGM_RSRC2:USER_SGPR: 6
; COMPUTE_PGM_RSRC2:TRAP_HANDLER: 0
; COMPUTE_PGM_RSRC2:TGID_X_EN: 1
; COMPUTE_PGM_RSRC2:TGID_Y_EN: 0
; COMPUTE_PGM_RSRC2:TGID_Z_EN: 0
; COMPUTE_PGM_RSRC2:TIDIG_COMP_CNT: 0
; COMPUTE_PGM_RSRC3_GFX90A:ACCUM_OFFSET: 0
; COMPUTE_PGM_RSRC3_GFX90A:TG_SPLIT: 0
	.section	.text._ZN7rocprim17ROCPRIM_400000_NS6detail17trampoline_kernelINS0_14default_configENS1_25partition_config_selectorILNS1_17partition_subalgoE8ElNS0_10empty_typeEbEEZZNS1_14partition_implILS5_8ELb0ES3_jPlPS6_PKS6_NS0_5tupleIJS9_S6_EEENSD_IJSA_SA_EEENS0_18inequality_wrapperIZN2at6native12_GLOBAL__N_124unique_dim_cuda_templateIdEESt5tupleIJNSH_6TensorESM_SM_EERKSM_lbbbEUlllE0_EEPmJS6_EEE10hipError_tPvRmT3_T4_T5_T6_T7_T9_mT8_P12ihipStream_tbDpT10_ENKUlT_T0_E_clISt17integral_constantIbLb1EES1B_IbLb0EEEEDaS17_S18_EUlS17_E_NS1_11comp_targetILNS1_3genE4ELNS1_11target_archE910ELNS1_3gpuE8ELNS1_3repE0EEENS1_30default_config_static_selectorELNS0_4arch9wavefront6targetE1EEEvT1_,"axG",@progbits,_ZN7rocprim17ROCPRIM_400000_NS6detail17trampoline_kernelINS0_14default_configENS1_25partition_config_selectorILNS1_17partition_subalgoE8ElNS0_10empty_typeEbEEZZNS1_14partition_implILS5_8ELb0ES3_jPlPS6_PKS6_NS0_5tupleIJS9_S6_EEENSD_IJSA_SA_EEENS0_18inequality_wrapperIZN2at6native12_GLOBAL__N_124unique_dim_cuda_templateIdEESt5tupleIJNSH_6TensorESM_SM_EERKSM_lbbbEUlllE0_EEPmJS6_EEE10hipError_tPvRmT3_T4_T5_T6_T7_T9_mT8_P12ihipStream_tbDpT10_ENKUlT_T0_E_clISt17integral_constantIbLb1EES1B_IbLb0EEEEDaS17_S18_EUlS17_E_NS1_11comp_targetILNS1_3genE4ELNS1_11target_archE910ELNS1_3gpuE8ELNS1_3repE0EEENS1_30default_config_static_selectorELNS0_4arch9wavefront6targetE1EEEvT1_,comdat
	.globl	_ZN7rocprim17ROCPRIM_400000_NS6detail17trampoline_kernelINS0_14default_configENS1_25partition_config_selectorILNS1_17partition_subalgoE8ElNS0_10empty_typeEbEEZZNS1_14partition_implILS5_8ELb0ES3_jPlPS6_PKS6_NS0_5tupleIJS9_S6_EEENSD_IJSA_SA_EEENS0_18inequality_wrapperIZN2at6native12_GLOBAL__N_124unique_dim_cuda_templateIdEESt5tupleIJNSH_6TensorESM_SM_EERKSM_lbbbEUlllE0_EEPmJS6_EEE10hipError_tPvRmT3_T4_T5_T6_T7_T9_mT8_P12ihipStream_tbDpT10_ENKUlT_T0_E_clISt17integral_constantIbLb1EES1B_IbLb0EEEEDaS17_S18_EUlS17_E_NS1_11comp_targetILNS1_3genE4ELNS1_11target_archE910ELNS1_3gpuE8ELNS1_3repE0EEENS1_30default_config_static_selectorELNS0_4arch9wavefront6targetE1EEEvT1_ ; -- Begin function _ZN7rocprim17ROCPRIM_400000_NS6detail17trampoline_kernelINS0_14default_configENS1_25partition_config_selectorILNS1_17partition_subalgoE8ElNS0_10empty_typeEbEEZZNS1_14partition_implILS5_8ELb0ES3_jPlPS6_PKS6_NS0_5tupleIJS9_S6_EEENSD_IJSA_SA_EEENS0_18inequality_wrapperIZN2at6native12_GLOBAL__N_124unique_dim_cuda_templateIdEESt5tupleIJNSH_6TensorESM_SM_EERKSM_lbbbEUlllE0_EEPmJS6_EEE10hipError_tPvRmT3_T4_T5_T6_T7_T9_mT8_P12ihipStream_tbDpT10_ENKUlT_T0_E_clISt17integral_constantIbLb1EES1B_IbLb0EEEEDaS17_S18_EUlS17_E_NS1_11comp_targetILNS1_3genE4ELNS1_11target_archE910ELNS1_3gpuE8ELNS1_3repE0EEENS1_30default_config_static_selectorELNS0_4arch9wavefront6targetE1EEEvT1_
	.p2align	8
	.type	_ZN7rocprim17ROCPRIM_400000_NS6detail17trampoline_kernelINS0_14default_configENS1_25partition_config_selectorILNS1_17partition_subalgoE8ElNS0_10empty_typeEbEEZZNS1_14partition_implILS5_8ELb0ES3_jPlPS6_PKS6_NS0_5tupleIJS9_S6_EEENSD_IJSA_SA_EEENS0_18inequality_wrapperIZN2at6native12_GLOBAL__N_124unique_dim_cuda_templateIdEESt5tupleIJNSH_6TensorESM_SM_EERKSM_lbbbEUlllE0_EEPmJS6_EEE10hipError_tPvRmT3_T4_T5_T6_T7_T9_mT8_P12ihipStream_tbDpT10_ENKUlT_T0_E_clISt17integral_constantIbLb1EES1B_IbLb0EEEEDaS17_S18_EUlS17_E_NS1_11comp_targetILNS1_3genE4ELNS1_11target_archE910ELNS1_3gpuE8ELNS1_3repE0EEENS1_30default_config_static_selectorELNS0_4arch9wavefront6targetE1EEEvT1_,@function
_ZN7rocprim17ROCPRIM_400000_NS6detail17trampoline_kernelINS0_14default_configENS1_25partition_config_selectorILNS1_17partition_subalgoE8ElNS0_10empty_typeEbEEZZNS1_14partition_implILS5_8ELb0ES3_jPlPS6_PKS6_NS0_5tupleIJS9_S6_EEENSD_IJSA_SA_EEENS0_18inequality_wrapperIZN2at6native12_GLOBAL__N_124unique_dim_cuda_templateIdEESt5tupleIJNSH_6TensorESM_SM_EERKSM_lbbbEUlllE0_EEPmJS6_EEE10hipError_tPvRmT3_T4_T5_T6_T7_T9_mT8_P12ihipStream_tbDpT10_ENKUlT_T0_E_clISt17integral_constantIbLb1EES1B_IbLb0EEEEDaS17_S18_EUlS17_E_NS1_11comp_targetILNS1_3genE4ELNS1_11target_archE910ELNS1_3gpuE8ELNS1_3repE0EEENS1_30default_config_static_selectorELNS0_4arch9wavefront6targetE1EEEvT1_: ; @_ZN7rocprim17ROCPRIM_400000_NS6detail17trampoline_kernelINS0_14default_configENS1_25partition_config_selectorILNS1_17partition_subalgoE8ElNS0_10empty_typeEbEEZZNS1_14partition_implILS5_8ELb0ES3_jPlPS6_PKS6_NS0_5tupleIJS9_S6_EEENSD_IJSA_SA_EEENS0_18inequality_wrapperIZN2at6native12_GLOBAL__N_124unique_dim_cuda_templateIdEESt5tupleIJNSH_6TensorESM_SM_EERKSM_lbbbEUlllE0_EEPmJS6_EEE10hipError_tPvRmT3_T4_T5_T6_T7_T9_mT8_P12ihipStream_tbDpT10_ENKUlT_T0_E_clISt17integral_constantIbLb1EES1B_IbLb0EEEEDaS17_S18_EUlS17_E_NS1_11comp_targetILNS1_3genE4ELNS1_11target_archE910ELNS1_3gpuE8ELNS1_3repE0EEENS1_30default_config_static_selectorELNS0_4arch9wavefront6targetE1EEEvT1_
; %bb.0:
	s_load_dwordx8 s[20:27], s[4:5], 0x40
	s_load_dwordx4 s[0:3], s[4:5], 0x8
	s_load_dwordx4 s[28:31], s[4:5], 0x60
	s_load_dword s7, s[4:5], 0x70
	s_waitcnt lgkmcnt(0)
	v_mov_b32_e32 v2, s24
	s_lshl_b64 s[8:9], s[2:3], 3
	s_add_u32 s12, s0, s8
	s_mul_i32 s8, s7, 0x500
	s_addc_u32 s13, s1, s9
	s_add_i32 s1, s8, s2
	s_add_i32 s10, s7, -1
	s_sub_i32 s7, s24, s1
	s_add_u32 s8, s2, s8
	s_addc_u32 s9, s3, 0
	v_mov_b32_e32 v3, s25
	s_cmp_eq_u32 s6, s10
	s_load_dwordx2 s[22:23], s[22:23], 0x0
	v_cmp_ge_u64_e32 vcc, s[8:9], v[2:3]
	s_cselect_b64 s[24:25], -1, 0
	s_mul_i32 s0, s6, 0x500
	s_mov_b32 s1, 0
	s_and_b64 s[10:11], s[24:25], vcc
	s_xor_b64 s[34:35], s[10:11], -1
	s_lshl_b64 s[0:1], s[0:1], 3
	s_add_u32 s0, s12, s0
	s_mov_b64 s[8:9], -1
	s_addc_u32 s1, s13, s1
	s_and_b64 vcc, exec, s[34:35]
	s_cbranch_vccz .LBB825_2
; %bb.1:
	v_lshlrev_b32_e32 v1, 3, v0
	v_mov_b32_e32 v2, s1
	v_add_co_u32_e32 v12, vcc, s0, v1
	v_addc_co_u32_e32 v13, vcc, 0, v2, vcc
	v_add_co_u32_e32 v2, vcc, 0x1000, v12
	v_addc_co_u32_e32 v3, vcc, 0, v13, vcc
	global_load_dwordx2 v[4:5], v1, s[0:1]
	global_load_dwordx2 v[6:7], v1, s[0:1] offset:2048
	global_load_dwordx2 v[8:9], v[2:3], off
	global_load_dwordx2 v[10:11], v[2:3], off offset:2048
	v_add_co_u32_e32 v2, vcc, 0x2000, v12
	v_addc_co_u32_e32 v3, vcc, 0, v13, vcc
	global_load_dwordx2 v[2:3], v[2:3], off
	s_mov_b64 s[8:9], 0
	s_waitcnt vmcnt(3)
	ds_write2st64_b64 v1, v[4:5], v[6:7] offset1:4
	s_waitcnt vmcnt(1)
	ds_write2st64_b64 v1, v[8:9], v[10:11] offset0:8 offset1:12
	s_waitcnt vmcnt(0)
	ds_write_b64 v1, v[2:3] offset:8192
	s_waitcnt lgkmcnt(0)
	s_barrier
.LBB825_2:
	s_andn2_b64 vcc, exec, s[8:9]
	s_addk_i32 s7, 0x500
	s_cbranch_vccnz .LBB825_14
; %bb.3:
	v_cmp_gt_u32_e32 vcc, s7, v0
                                        ; implicit-def: $vgpr2_vgpr3_vgpr4_vgpr5_vgpr6_vgpr7_vgpr8_vgpr9_vgpr10_vgpr11_vgpr12_vgpr13_vgpr14_vgpr15_vgpr16_vgpr17
	s_and_saveexec_b64 s[8:9], vcc
	s_cbranch_execz .LBB825_5
; %bb.4:
	v_lshlrev_b32_e32 v1, 3, v0
	global_load_dwordx2 v[2:3], v1, s[0:1]
.LBB825_5:
	s_or_b64 exec, exec, s[8:9]
	v_or_b32_e32 v1, 0x100, v0
	v_cmp_gt_u32_e32 vcc, s7, v1
	s_and_saveexec_b64 s[8:9], vcc
	s_cbranch_execz .LBB825_7
; %bb.6:
	v_lshlrev_b32_e32 v1, 3, v0
	global_load_dwordx2 v[4:5], v1, s[0:1] offset:2048
.LBB825_7:
	s_or_b64 exec, exec, s[8:9]
	v_or_b32_e32 v1, 0x200, v0
	v_cmp_gt_u32_e32 vcc, s7, v1
	s_and_saveexec_b64 s[8:9], vcc
	s_cbranch_execz .LBB825_9
; %bb.8:
	v_lshlrev_b32_e32 v1, 3, v1
	global_load_dwordx2 v[6:7], v1, s[0:1]
.LBB825_9:
	s_or_b64 exec, exec, s[8:9]
	v_or_b32_e32 v1, 0x300, v0
	v_cmp_gt_u32_e32 vcc, s7, v1
	s_and_saveexec_b64 s[8:9], vcc
	s_cbranch_execz .LBB825_11
; %bb.10:
	v_lshlrev_b32_e32 v1, 3, v1
	global_load_dwordx2 v[8:9], v1, s[0:1]
.LBB825_11:
	;; [unrolled: 9-line block ×3, first 2 shown]
	s_or_b64 exec, exec, s[8:9]
	v_lshlrev_b32_e32 v1, 3, v0
	s_waitcnt vmcnt(0)
	ds_write2st64_b64 v1, v[2:3], v[4:5] offset1:4
	ds_write2st64_b64 v1, v[6:7], v[8:9] offset0:8 offset1:12
	ds_write_b64 v1, v[10:11] offset:8192
	s_waitcnt lgkmcnt(0)
	s_barrier
.LBB825_14:
	v_mul_u32_u24_e32 v1, 5, v0
	v_lshlrev_b32_e32 v20, 3, v1
	s_waitcnt lgkmcnt(0)
	ds_read2_b64 v[6:9], v20 offset1:1
	ds_read2_b64 v[2:5], v20 offset0:2 offset1:3
	ds_read_b64 v[10:11], v20 offset:32
	s_cmp_lg_u32 s6, 0
	s_cselect_b64 s[16:17], -1, 0
	s_cmp_lg_u64 s[2:3], 0
	s_cselect_b64 s[2:3], -1, 0
	s_or_b64 s[2:3], s[16:17], s[2:3]
	v_mad_u32_u24 v24, v0, 5, 1
	v_mad_u32_u24 v22, v0, 5, 2
	;; [unrolled: 1-line block ×4, first 2 shown]
	s_mov_b64 s[12:13], 0
	s_and_b64 vcc, exec, s[2:3]
	v_cmp_gt_i64_e64 s[2:3], s[26:27], 0
	s_waitcnt lgkmcnt(0)
	s_barrier
	s_cbranch_vccz .LBB825_23
; %bb.15:
	s_add_u32 s0, s0, -8
	s_addc_u32 s1, s1, -1
	s_load_dwordx2 s[12:13], s[0:1], 0x0
	v_cndmask_b32_e64 v12, 0, 1, s[2:3]
	v_lshlrev_b32_e32 v21, 3, v0
	s_mov_b64 s[14:15], 0
	s_and_b64 vcc, exec, s[34:35]
	v_cmp_ne_u32_e64 s[0:1], 1, v12
	ds_write_b64 v21, v[10:11]
	s_cbranch_vccz .LBB825_24
; %bb.16:
	v_mul_lo_u32 v14, v5, s26
	v_mul_lo_u32 v15, v4, s27
	v_mad_u64_u32 v[12:13], s[2:3], v4, s26, 0
	v_add3_u32 v13, v13, v15, v14
	s_and_b64 vcc, exec, s[0:1]
	v_lshlrev_b64 v[12:13], 3, v[12:13]
	s_cbranch_vccnz .LBB825_27
; %bb.17:
	v_mul_lo_u32 v16, v11, s26
	v_mul_lo_u32 v17, v10, s27
	v_mad_u64_u32 v[14:15], s[2:3], v10, s26, 0
	v_add3_u32 v15, v15, v17, v16
	v_mov_b32_e32 v17, s29
	v_add_co_u32_e32 v16, vcc, s28, v12
	v_addc_co_u32_e64 v17, s[2:3], v17, v13, vcc
	v_lshlrev_b64 v[14:15], 3, v[14:15]
	v_mov_b32_e32 v19, s29
	v_add_co_u32_e64 v18, s[2:3], s28, v14
	v_addc_co_u32_e64 v19, s[8:9], v19, v15, s[2:3]
	global_load_dwordx2 v[26:27], v[16:17], off
	global_load_dwordx2 v[28:29], v[18:19], off
	s_mov_b64 s[14:15], -1
	s_waitcnt vmcnt(0)
	v_cmp_eq_f64_e64 s[8:9], v[26:27], v[28:29]
	s_and_saveexec_b64 s[18:19], s[8:9]
	s_cbranch_execz .LBB825_26
; %bb.18:
	v_mov_b32_e32 v14, s29
	v_addc_co_u32_e64 v15, s[2:3], v15, v14, s[2:3]
	v_add_co_u32_e64 v14, s[2:3], 8, v18
	v_mov_b32_e32 v17, s29
	v_addc_co_u32_e64 v15, s[2:3], 0, v15, s[2:3]
	v_addc_co_u32_e32 v17, vcc, v13, v17, vcc
	v_add_co_u32_e32 v16, vcc, 8, v16
	s_add_u32 s2, s26, -1
	v_addc_co_u32_e32 v17, vcc, 0, v17, vcc
	s_addc_u32 s3, s27, -1
	s_mov_b64 s[8:9], 0
	s_mov_b64 s[36:37], 0
                                        ; implicit-def: $sgpr14_sgpr15
	s_branch .LBB825_21
.LBB825_19:                             ;   in Loop: Header=BB825_21 Depth=1
	global_load_dwordx2 v[18:19], v[16:17], off
	global_load_dwordx2 v[26:27], v[14:15], off
	v_add_co_u32_e32 v14, vcc, 8, v14
	v_addc_co_u32_e32 v15, vcc, 0, v15, vcc
	v_add_co_u32_e32 v16, vcc, 8, v16
	v_addc_co_u32_e32 v17, vcc, 0, v17, vcc
	s_add_u32 s36, s36, 1
	s_addc_u32 s37, s37, 0
	s_andn2_b64 s[14:15], s[14:15], exec
	s_waitcnt vmcnt(0)
	v_cmp_neq_f64_e32 vcc, v[18:19], v[26:27]
	s_and_b64 s[38:39], vcc, exec
	s_or_b64 s[14:15], s[14:15], s[38:39]
.LBB825_20:                             ;   in Loop: Header=BB825_21 Depth=1
	s_and_b64 s[38:39], exec, s[14:15]
	s_or_b64 s[8:9], s[38:39], s[8:9]
	v_pk_mov_b32 v[18:19], s[36:37], s[36:37] op_sel:[0,1]
	s_andn2_b64 exec, exec, s[8:9]
	s_cbranch_execz .LBB825_25
.LBB825_21:                             ; =>This Inner Loop Header: Depth=1
	s_or_b64 s[14:15], s[14:15], exec
	s_cmp_eq_u64 s[2:3], s[36:37]
	s_cbranch_scc0 .LBB825_19
; %bb.22:                               ;   in Loop: Header=BB825_21 Depth=1
                                        ; implicit-def: $vgpr14_vgpr15
                                        ; implicit-def: $vgpr16_vgpr17
	s_mov_b64 s[36:37], s[26:27]
	s_branch .LBB825_20
.LBB825_23:
                                        ; implicit-def: $sgpr18_sgpr19
                                        ; implicit-def: $vgpr13
                                        ; implicit-def: $vgpr16
	s_branch .LBB825_125
.LBB825_24:
                                        ; implicit-def: $sgpr18_sgpr19
                                        ; implicit-def: $vgpr13
                                        ; implicit-def: $vgpr16
	s_cbranch_execnz .LBB825_66
	s_branch .LBB825_124
.LBB825_25:
	s_or_b64 exec, exec, s[8:9]
	v_cmp_gt_i64_e32 vcc, s[26:27], v[18:19]
	s_orn2_b64 s[14:15], vcc, exec
.LBB825_26:
	s_or_b64 exec, exec, s[18:19]
.LBB825_27:
	v_mul_lo_u32 v16, v3, s26
	v_mul_lo_u32 v17, v2, s27
	v_mad_u64_u32 v[14:15], s[2:3], v2, s26, 0
	v_add3_u32 v15, v15, v17, v16
	s_mov_b64 s[18:19], 0
	s_and_b64 vcc, exec, s[0:1]
	v_lshlrev_b64 v[16:17], 3, v[14:15]
	s_mov_b64 s[36:37], 0
	s_cbranch_vccnz .LBB825_36
; %bb.28:
	v_mov_b32_e32 v15, s29
	v_add_co_u32_e32 v14, vcc, s28, v16
	v_addc_co_u32_e64 v15, s[2:3], v15, v17, vcc
	v_mov_b32_e32 v19, s29
	v_add_co_u32_e64 v18, s[2:3], s28, v12
	v_addc_co_u32_e64 v19, s[8:9], v19, v13, s[2:3]
	global_load_dwordx2 v[26:27], v[14:15], off
	global_load_dwordx2 v[28:29], v[18:19], off
	s_mov_b64 s[36:37], -1
	s_waitcnt vmcnt(0)
	v_cmp_eq_f64_e64 s[8:9], v[26:27], v[28:29]
	s_and_saveexec_b64 s[38:39], s[8:9]
	s_cbranch_execz .LBB825_35
; %bb.29:
	v_mov_b32_e32 v12, s29
	v_addc_co_u32_e64 v13, s[2:3], v13, v12, s[2:3]
	v_add_co_u32_e64 v12, s[2:3], 8, v18
	v_mov_b32_e32 v15, s29
	v_addc_co_u32_e64 v13, s[2:3], 0, v13, s[2:3]
	v_addc_co_u32_e32 v15, vcc, v17, v15, vcc
	v_add_co_u32_e32 v14, vcc, 8, v14
	s_add_u32 s2, s26, -1
	v_addc_co_u32_e32 v15, vcc, 0, v15, vcc
	s_addc_u32 s3, s27, -1
	s_mov_b64 s[8:9], 0
	s_mov_b64 s[40:41], 0
                                        ; implicit-def: $sgpr36_sgpr37
	s_branch .LBB825_32
.LBB825_30:                             ;   in Loop: Header=BB825_32 Depth=1
	global_load_dwordx2 v[18:19], v[14:15], off
	global_load_dwordx2 v[26:27], v[12:13], off
	v_add_co_u32_e32 v12, vcc, 8, v12
	v_addc_co_u32_e32 v13, vcc, 0, v13, vcc
	v_add_co_u32_e32 v14, vcc, 8, v14
	v_addc_co_u32_e32 v15, vcc, 0, v15, vcc
	s_add_u32 s40, s40, 1
	s_addc_u32 s41, s41, 0
	s_andn2_b64 s[36:37], s[36:37], exec
	s_waitcnt vmcnt(0)
	v_cmp_neq_f64_e32 vcc, v[18:19], v[26:27]
	s_and_b64 s[42:43], vcc, exec
	s_or_b64 s[36:37], s[36:37], s[42:43]
.LBB825_31:                             ;   in Loop: Header=BB825_32 Depth=1
	s_and_b64 s[42:43], exec, s[36:37]
	s_or_b64 s[8:9], s[42:43], s[8:9]
	v_pk_mov_b32 v[18:19], s[40:41], s[40:41] op_sel:[0,1]
	s_andn2_b64 exec, exec, s[8:9]
	s_cbranch_execz .LBB825_34
.LBB825_32:                             ; =>This Inner Loop Header: Depth=1
	s_or_b64 s[36:37], s[36:37], exec
	s_cmp_eq_u64 s[2:3], s[40:41]
	s_cbranch_scc0 .LBB825_30
; %bb.33:                               ;   in Loop: Header=BB825_32 Depth=1
                                        ; implicit-def: $vgpr12_vgpr13
                                        ; implicit-def: $vgpr14_vgpr15
	s_mov_b64 s[40:41], s[26:27]
	s_branch .LBB825_31
.LBB825_34:
	s_or_b64 exec, exec, s[8:9]
	v_cmp_gt_i64_e32 vcc, s[26:27], v[18:19]
	s_orn2_b64 s[36:37], vcc, exec
.LBB825_35:
	s_or_b64 exec, exec, s[38:39]
.LBB825_36:
	v_mul_lo_u32 v14, v9, s26
	v_mul_lo_u32 v15, v8, s27
	v_mad_u64_u32 v[12:13], s[2:3], v8, s26, 0
	v_add3_u32 v13, v13, v15, v14
	s_and_b64 vcc, exec, s[0:1]
	v_lshlrev_b64 v[14:15], 3, v[12:13]
	s_cbranch_vccnz .LBB825_45
; %bb.37:
	v_mov_b32_e32 v12, s29
	v_add_co_u32_e32 v18, vcc, s28, v14
	v_addc_co_u32_e64 v19, s[2:3], v12, v15, vcc
	v_mov_b32_e32 v13, s29
	v_add_co_u32_e64 v12, s[2:3], s28, v16
	v_addc_co_u32_e64 v13, s[8:9], v13, v17, s[2:3]
	global_load_dwordx2 v[26:27], v[18:19], off
	global_load_dwordx2 v[28:29], v[12:13], off
	s_mov_b64 s[18:19], -1
	s_waitcnt vmcnt(0)
	v_cmp_eq_f64_e64 s[8:9], v[26:27], v[28:29]
	s_and_saveexec_b64 s[38:39], s[8:9]
	s_cbranch_execz .LBB825_44
; %bb.38:
	v_mov_b32_e32 v13, s29
	v_addc_co_u32_e64 v13, s[2:3], v17, v13, s[2:3]
	v_add_co_u32_e64 v12, s[2:3], 8, v12
	v_mov_b32_e32 v16, s29
	v_addc_co_u32_e64 v13, s[2:3], 0, v13, s[2:3]
	v_addc_co_u32_e32 v17, vcc, v15, v16, vcc
	v_add_co_u32_e32 v16, vcc, 8, v18
	s_add_u32 s2, s26, -1
	v_addc_co_u32_e32 v17, vcc, 0, v17, vcc
	s_addc_u32 s3, s27, -1
	s_mov_b64 s[8:9], 0
	s_mov_b64 s[40:41], 0
                                        ; implicit-def: $sgpr18_sgpr19
	s_branch .LBB825_41
.LBB825_39:                             ;   in Loop: Header=BB825_41 Depth=1
	global_load_dwordx2 v[18:19], v[16:17], off
	global_load_dwordx2 v[26:27], v[12:13], off
	v_add_co_u32_e32 v12, vcc, 8, v12
	v_addc_co_u32_e32 v13, vcc, 0, v13, vcc
	v_add_co_u32_e32 v16, vcc, 8, v16
	v_addc_co_u32_e32 v17, vcc, 0, v17, vcc
	s_add_u32 s40, s40, 1
	s_addc_u32 s41, s41, 0
	s_andn2_b64 s[18:19], s[18:19], exec
	s_waitcnt vmcnt(0)
	v_cmp_neq_f64_e32 vcc, v[18:19], v[26:27]
	s_and_b64 s[42:43], vcc, exec
	s_or_b64 s[18:19], s[18:19], s[42:43]
.LBB825_40:                             ;   in Loop: Header=BB825_41 Depth=1
	s_and_b64 s[42:43], exec, s[18:19]
	s_or_b64 s[8:9], s[42:43], s[8:9]
	v_pk_mov_b32 v[18:19], s[40:41], s[40:41] op_sel:[0,1]
	s_andn2_b64 exec, exec, s[8:9]
	s_cbranch_execz .LBB825_43
.LBB825_41:                             ; =>This Inner Loop Header: Depth=1
	s_or_b64 s[18:19], s[18:19], exec
	s_cmp_eq_u64 s[2:3], s[40:41]
	s_cbranch_scc0 .LBB825_39
; %bb.42:                               ;   in Loop: Header=BB825_41 Depth=1
                                        ; implicit-def: $vgpr12_vgpr13
                                        ; implicit-def: $vgpr16_vgpr17
	s_mov_b64 s[40:41], s[26:27]
	s_branch .LBB825_40
.LBB825_43:
	s_or_b64 exec, exec, s[8:9]
	v_cmp_gt_i64_e32 vcc, s[26:27], v[18:19]
	s_orn2_b64 s[18:19], vcc, exec
.LBB825_44:
	s_or_b64 exec, exec, s[38:39]
.LBB825_45:
	v_mul_lo_u32 v16, v7, s26
	v_mul_lo_u32 v17, v6, s27
	v_mad_u64_u32 v[12:13], s[2:3], v6, s26, 0
	v_add3_u32 v13, v13, v17, v16
	s_mov_b64 s[40:41], 0
	s_and_b64 vcc, exec, s[0:1]
	v_lshlrev_b64 v[12:13], 3, v[12:13]
	s_cbranch_vccnz .LBB825_54
; %bb.46:
	v_mov_b32_e32 v17, s29
	v_add_co_u32_e32 v16, vcc, s28, v12
	v_addc_co_u32_e64 v17, s[2:3], v17, v13, vcc
	v_mov_b32_e32 v19, s29
	v_add_co_u32_e64 v18, s[2:3], s28, v14
	v_addc_co_u32_e64 v19, s[8:9], v19, v15, s[2:3]
	global_load_dwordx2 v[26:27], v[16:17], off
	global_load_dwordx2 v[28:29], v[18:19], off
	s_mov_b64 s[40:41], -1
	s_waitcnt vmcnt(0)
	v_cmp_eq_f64_e64 s[8:9], v[26:27], v[28:29]
	s_and_saveexec_b64 s[38:39], s[8:9]
	s_cbranch_execz .LBB825_53
; %bb.47:
	v_mov_b32_e32 v14, s29
	v_addc_co_u32_e64 v15, s[2:3], v15, v14, s[2:3]
	v_add_co_u32_e64 v14, s[2:3], 8, v18
	v_mov_b32_e32 v17, s29
	v_addc_co_u32_e64 v15, s[2:3], 0, v15, s[2:3]
	v_addc_co_u32_e32 v17, vcc, v13, v17, vcc
	v_add_co_u32_e32 v16, vcc, 8, v16
	s_add_u32 s2, s26, -1
	v_addc_co_u32_e32 v17, vcc, 0, v17, vcc
	s_addc_u32 s3, s27, -1
	s_mov_b64 s[8:9], 0
	s_mov_b64 s[42:43], 0
                                        ; implicit-def: $sgpr40_sgpr41
	s_branch .LBB825_50
.LBB825_48:                             ;   in Loop: Header=BB825_50 Depth=1
	global_load_dwordx2 v[18:19], v[16:17], off
	global_load_dwordx2 v[26:27], v[14:15], off
	v_add_co_u32_e32 v14, vcc, 8, v14
	v_addc_co_u32_e32 v15, vcc, 0, v15, vcc
	v_add_co_u32_e32 v16, vcc, 8, v16
	v_addc_co_u32_e32 v17, vcc, 0, v17, vcc
	s_add_u32 s42, s42, 1
	s_addc_u32 s43, s43, 0
	s_andn2_b64 s[40:41], s[40:41], exec
	s_waitcnt vmcnt(0)
	v_cmp_neq_f64_e32 vcc, v[18:19], v[26:27]
	s_and_b64 s[44:45], vcc, exec
	s_or_b64 s[40:41], s[40:41], s[44:45]
.LBB825_49:                             ;   in Loop: Header=BB825_50 Depth=1
	s_and_b64 s[44:45], exec, s[40:41]
	s_or_b64 s[8:9], s[44:45], s[8:9]
	v_pk_mov_b32 v[18:19], s[42:43], s[42:43] op_sel:[0,1]
	s_andn2_b64 exec, exec, s[8:9]
	s_cbranch_execz .LBB825_52
.LBB825_50:                             ; =>This Inner Loop Header: Depth=1
	s_or_b64 s[40:41], s[40:41], exec
	s_cmp_eq_u64 s[2:3], s[42:43]
	s_cbranch_scc0 .LBB825_48
; %bb.51:                               ;   in Loop: Header=BB825_50 Depth=1
                                        ; implicit-def: $vgpr14_vgpr15
                                        ; implicit-def: $vgpr16_vgpr17
	s_mov_b64 s[42:43], s[26:27]
	s_branch .LBB825_49
.LBB825_52:
	s_or_b64 exec, exec, s[8:9]
	v_cmp_gt_i64_e32 vcc, s[26:27], v[18:19]
	s_orn2_b64 s[40:41], vcc, exec
.LBB825_53:
	s_or_b64 exec, exec, s[38:39]
.LBB825_54:
	v_cmp_ne_u32_e32 vcc, 0, v0
	s_waitcnt lgkmcnt(0)
	v_pk_mov_b32 v[14:15], s[12:13], s[12:13] op_sel:[0,1]
	s_barrier
	s_and_saveexec_b64 s[2:3], vcc
	s_cbranch_execz .LBB825_56
; %bb.55:
	v_add_u32_e32 v14, -8, v21
	ds_read_b64 v[14:15], v14
.LBB825_56:
	s_or_b64 exec, exec, s[2:3]
	v_cndmask_b32_e64 v17, 0, 1, s[36:37]
	v_cndmask_b32_e64 v16, 0, 1, s[18:19]
	;; [unrolled: 1-line block ×3, first 2 shown]
	v_lshlrev_b16_e32 v17, 8, v17
	v_lshlrev_b16_e32 v26, 8, v18
	v_or_b32_sdwa v27, v16, v17 dst_sel:WORD_1 dst_unused:UNUSED_PAD src0_sel:DWORD src1_sel:DWORD
	s_mov_b64 s[36:37], 0
	s_and_b64 vcc, exec, s[0:1]
	s_mov_b64 s[18:19], 0
	s_cbranch_vccnz .LBB825_65
; %bb.57:
	s_waitcnt lgkmcnt(0)
	v_mul_lo_u32 v16, v15, s26
	v_mul_lo_u32 v17, v14, s27
	v_mad_u64_u32 v[14:15], s[2:3], v14, s26, 0
	v_add3_u32 v15, v15, v17, v16
	v_lshlrev_b64 v[14:15], 3, v[14:15]
	v_mov_b32_e32 v17, s29
	v_add_co_u32_e32 v16, vcc, s28, v14
	v_addc_co_u32_e64 v17, s[2:3], v17, v15, vcc
	v_mov_b32_e32 v14, s29
	v_add_co_u32_e64 v18, s[2:3], s28, v12
	v_addc_co_u32_e64 v19, s[8:9], v14, v13, s[2:3]
	global_load_dwordx2 v[28:29], v[16:17], off
	global_load_dwordx2 v[30:31], v[18:19], off
	s_mov_b64 s[18:19], -1
	s_waitcnt vmcnt(0)
	v_cmp_eq_f64_e64 s[8:9], v[28:29], v[30:31]
	s_and_saveexec_b64 s[38:39], s[8:9]
	s_cbranch_execz .LBB825_64
; %bb.58:
	v_mov_b32_e32 v12, s29
	v_addc_co_u32_e64 v13, s[2:3], v13, v12, s[2:3]
	v_add_co_u32_e64 v12, s[2:3], 8, v18
	v_mov_b32_e32 v14, s29
	v_addc_co_u32_e64 v13, s[2:3], 0, v13, s[2:3]
	v_addc_co_u32_e32 v15, vcc, v15, v14, vcc
	v_add_co_u32_e32 v14, vcc, 8, v16
	s_add_u32 s2, s26, -1
	v_addc_co_u32_e32 v15, vcc, 0, v15, vcc
	s_addc_u32 s3, s27, -1
	s_mov_b64 s[8:9], 0
	s_mov_b64 s[40:41], 0
                                        ; implicit-def: $sgpr18_sgpr19
	s_branch .LBB825_61
.LBB825_59:                             ;   in Loop: Header=BB825_61 Depth=1
	global_load_dwordx2 v[16:17], v[14:15], off
	global_load_dwordx2 v[18:19], v[12:13], off
	v_add_co_u32_e32 v12, vcc, 8, v12
	v_addc_co_u32_e32 v13, vcc, 0, v13, vcc
	v_add_co_u32_e32 v14, vcc, 8, v14
	v_addc_co_u32_e32 v15, vcc, 0, v15, vcc
	s_add_u32 s40, s40, 1
	s_addc_u32 s41, s41, 0
	s_andn2_b64 s[18:19], s[18:19], exec
	s_waitcnt vmcnt(0)
	v_cmp_neq_f64_e32 vcc, v[16:17], v[18:19]
	s_and_b64 s[42:43], vcc, exec
	s_or_b64 s[18:19], s[18:19], s[42:43]
.LBB825_60:                             ;   in Loop: Header=BB825_61 Depth=1
	s_and_b64 s[42:43], exec, s[18:19]
	s_or_b64 s[8:9], s[42:43], s[8:9]
	v_pk_mov_b32 v[16:17], s[40:41], s[40:41] op_sel:[0,1]
	s_andn2_b64 exec, exec, s[8:9]
	s_cbranch_execz .LBB825_63
.LBB825_61:                             ; =>This Inner Loop Header: Depth=1
	s_or_b64 s[18:19], s[18:19], exec
	s_cmp_eq_u64 s[2:3], s[40:41]
	s_cbranch_scc0 .LBB825_59
; %bb.62:                               ;   in Loop: Header=BB825_61 Depth=1
                                        ; implicit-def: $vgpr12_vgpr13
                                        ; implicit-def: $vgpr14_vgpr15
	s_mov_b64 s[40:41], s[26:27]
	s_branch .LBB825_60
.LBB825_63:
	s_or_b64 exec, exec, s[8:9]
	v_cmp_gt_i64_e32 vcc, s[26:27], v[16:17]
	s_orn2_b64 s[18:19], vcc, exec
.LBB825_64:
	s_or_b64 exec, exec, s[38:39]
.LBB825_65:
	v_cndmask_b32_e64 v13, 0, 1, s[14:15]
	v_or_b32_e32 v16, v26, v27
	s_and_b64 vcc, exec, s[36:37]
	s_cbranch_vccz .LBB825_124
.LBB825_66:
	v_cmp_gt_u32_e32 vcc, s7, v23
	s_mov_b64 s[18:19], 0
	s_mov_b64 s[14:15], 0
	s_and_saveexec_b64 s[36:37], vcc
	s_cbranch_execz .LBB825_77
; %bb.67:
	s_and_b64 vcc, exec, s[0:1]
	s_mov_b64 s[38:39], 0
	s_cbranch_vccnz .LBB825_76
; %bb.68:
	s_waitcnt lgkmcnt(0)
	v_mul_lo_u32 v14, v5, s26
	v_mul_lo_u32 v15, v4, s27
	v_mad_u64_u32 v[12:13], s[2:3], v4, s26, 0
	v_add3_u32 v13, v13, v15, v14
	v_mul_lo_u32 v14, v11, s26
	v_mul_lo_u32 v15, v10, s27
	v_mad_u64_u32 v[18:19], s[2:3], v10, s26, 0
	v_add3_u32 v19, v19, v15, v14
	v_lshlrev_b64 v[14:15], 3, v[12:13]
	v_mov_b32_e32 v12, s29
	v_add_co_u32_e32 v16, vcc, s28, v14
	v_addc_co_u32_e64 v17, s[2:3], v12, v15, vcc
	v_lshlrev_b64 v[12:13], 3, v[18:19]
	v_mov_b32_e32 v14, s29
	v_add_co_u32_e64 v18, s[2:3], s28, v12
	v_addc_co_u32_e64 v19, s[8:9], v14, v13, s[2:3]
	global_load_dwordx2 v[26:27], v[16:17], off
	global_load_dwordx2 v[28:29], v[18:19], off
	s_mov_b64 s[38:39], -1
	s_waitcnt vmcnt(0)
	v_cmp_eq_f64_e64 s[8:9], v[26:27], v[28:29]
	s_and_saveexec_b64 s[14:15], s[8:9]
	s_cbranch_execz .LBB825_75
; %bb.69:
	v_mov_b32_e32 v12, s29
	v_addc_co_u32_e64 v13, s[2:3], v13, v12, s[2:3]
	v_add_co_u32_e64 v12, s[2:3], 8, v18
	v_mov_b32_e32 v14, s29
	v_addc_co_u32_e64 v13, s[2:3], 0, v13, s[2:3]
	v_addc_co_u32_e32 v15, vcc, v15, v14, vcc
	v_add_co_u32_e32 v14, vcc, 8, v16
	s_add_u32 s2, s26, -1
	v_addc_co_u32_e32 v15, vcc, 0, v15, vcc
	s_addc_u32 s3, s27, -1
	s_mov_b64 s[8:9], 0
	s_mov_b64 s[40:41], 0
                                        ; implicit-def: $sgpr38_sgpr39
	s_branch .LBB825_72
.LBB825_70:                             ;   in Loop: Header=BB825_72 Depth=1
	global_load_dwordx2 v[16:17], v[14:15], off
	global_load_dwordx2 v[18:19], v[12:13], off
	v_add_co_u32_e32 v12, vcc, 8, v12
	v_addc_co_u32_e32 v13, vcc, 0, v13, vcc
	v_add_co_u32_e32 v14, vcc, 8, v14
	v_addc_co_u32_e32 v15, vcc, 0, v15, vcc
	s_add_u32 s40, s40, 1
	s_addc_u32 s41, s41, 0
	s_andn2_b64 s[38:39], s[38:39], exec
	s_waitcnt vmcnt(0)
	v_cmp_neq_f64_e32 vcc, v[16:17], v[18:19]
	s_and_b64 s[42:43], vcc, exec
	s_or_b64 s[38:39], s[38:39], s[42:43]
.LBB825_71:                             ;   in Loop: Header=BB825_72 Depth=1
	s_and_b64 s[42:43], exec, s[38:39]
	s_or_b64 s[8:9], s[42:43], s[8:9]
	v_pk_mov_b32 v[16:17], s[40:41], s[40:41] op_sel:[0,1]
	s_andn2_b64 exec, exec, s[8:9]
	s_cbranch_execz .LBB825_74
.LBB825_72:                             ; =>This Inner Loop Header: Depth=1
	s_or_b64 s[38:39], s[38:39], exec
	s_cmp_eq_u64 s[2:3], s[40:41]
	s_cbranch_scc0 .LBB825_70
; %bb.73:                               ;   in Loop: Header=BB825_72 Depth=1
                                        ; implicit-def: $vgpr12_vgpr13
                                        ; implicit-def: $vgpr14_vgpr15
	s_mov_b64 s[40:41], s[26:27]
	s_branch .LBB825_71
.LBB825_74:
	s_or_b64 exec, exec, s[8:9]
	v_cmp_gt_i64_e32 vcc, s[26:27], v[16:17]
	s_orn2_b64 s[38:39], vcc, exec
.LBB825_75:
	s_or_b64 exec, exec, s[14:15]
.LBB825_76:
	s_and_b64 s[14:15], s[38:39], exec
.LBB825_77:
	s_or_b64 exec, exec, s[36:37]
	v_cmp_gt_u32_e32 vcc, s7, v25
	s_and_saveexec_b64 s[36:37], vcc
	s_cbranch_execz .LBB825_88
; %bb.78:
	s_and_b64 vcc, exec, s[0:1]
	s_mov_b64 s[38:39], 0
	s_cbranch_vccnz .LBB825_87
; %bb.79:
	s_waitcnt lgkmcnt(0)
	v_mul_lo_u32 v14, v3, s26
	v_mul_lo_u32 v15, v2, s27
	v_mad_u64_u32 v[12:13], s[2:3], v2, s26, 0
	v_add3_u32 v13, v13, v15, v14
	v_mul_lo_u32 v14, v5, s26
	v_mul_lo_u32 v15, v4, s27
	v_mad_u64_u32 v[18:19], s[2:3], v4, s26, 0
	v_add3_u32 v19, v19, v15, v14
	v_lshlrev_b64 v[14:15], 3, v[12:13]
	v_mov_b32_e32 v12, s29
	v_add_co_u32_e32 v16, vcc, s28, v14
	v_addc_co_u32_e64 v17, s[2:3], v12, v15, vcc
	v_lshlrev_b64 v[12:13], 3, v[18:19]
	v_mov_b32_e32 v14, s29
	v_add_co_u32_e64 v18, s[2:3], s28, v12
	v_addc_co_u32_e64 v19, s[8:9], v14, v13, s[2:3]
	global_load_dwordx2 v[26:27], v[16:17], off
	global_load_dwordx2 v[28:29], v[18:19], off
	s_mov_b64 s[38:39], -1
	s_waitcnt vmcnt(0)
	v_cmp_eq_f64_e64 s[8:9], v[26:27], v[28:29]
	s_and_saveexec_b64 s[18:19], s[8:9]
	s_cbranch_execz .LBB825_86
; %bb.80:
	v_mov_b32_e32 v12, s29
	v_addc_co_u32_e64 v13, s[2:3], v13, v12, s[2:3]
	v_add_co_u32_e64 v12, s[2:3], 8, v18
	v_mov_b32_e32 v14, s29
	v_addc_co_u32_e64 v13, s[2:3], 0, v13, s[2:3]
	v_addc_co_u32_e32 v15, vcc, v15, v14, vcc
	v_add_co_u32_e32 v14, vcc, 8, v16
	s_add_u32 s2, s26, -1
	v_addc_co_u32_e32 v15, vcc, 0, v15, vcc
	s_addc_u32 s3, s27, -1
	s_mov_b64 s[8:9], 0
	s_mov_b64 s[40:41], 0
                                        ; implicit-def: $sgpr38_sgpr39
	s_branch .LBB825_83
.LBB825_81:                             ;   in Loop: Header=BB825_83 Depth=1
	global_load_dwordx2 v[16:17], v[14:15], off
	global_load_dwordx2 v[18:19], v[12:13], off
	v_add_co_u32_e32 v12, vcc, 8, v12
	v_addc_co_u32_e32 v13, vcc, 0, v13, vcc
	v_add_co_u32_e32 v14, vcc, 8, v14
	v_addc_co_u32_e32 v15, vcc, 0, v15, vcc
	s_add_u32 s40, s40, 1
	s_addc_u32 s41, s41, 0
	s_andn2_b64 s[38:39], s[38:39], exec
	s_waitcnt vmcnt(0)
	v_cmp_neq_f64_e32 vcc, v[16:17], v[18:19]
	s_and_b64 s[42:43], vcc, exec
	s_or_b64 s[38:39], s[38:39], s[42:43]
.LBB825_82:                             ;   in Loop: Header=BB825_83 Depth=1
	s_and_b64 s[42:43], exec, s[38:39]
	s_or_b64 s[8:9], s[42:43], s[8:9]
	v_pk_mov_b32 v[16:17], s[40:41], s[40:41] op_sel:[0,1]
	s_andn2_b64 exec, exec, s[8:9]
	s_cbranch_execz .LBB825_85
.LBB825_83:                             ; =>This Inner Loop Header: Depth=1
	s_or_b64 s[38:39], s[38:39], exec
	s_cmp_eq_u64 s[2:3], s[40:41]
	s_cbranch_scc0 .LBB825_81
; %bb.84:                               ;   in Loop: Header=BB825_83 Depth=1
                                        ; implicit-def: $vgpr12_vgpr13
                                        ; implicit-def: $vgpr14_vgpr15
	s_mov_b64 s[40:41], s[26:27]
	s_branch .LBB825_82
.LBB825_85:
	s_or_b64 exec, exec, s[8:9]
	v_cmp_gt_i64_e32 vcc, s[26:27], v[16:17]
	s_orn2_b64 s[38:39], vcc, exec
.LBB825_86:
	s_or_b64 exec, exec, s[18:19]
.LBB825_87:
	s_and_b64 s[18:19], s[38:39], exec
.LBB825_88:
	s_or_b64 exec, exec, s[36:37]
	v_cmp_gt_u32_e32 vcc, s7, v22
	s_mov_b64 s[36:37], 0
	s_mov_b64 s[38:39], 0
	s_and_saveexec_b64 s[40:41], vcc
	s_cbranch_execz .LBB825_99
; %bb.89:
	s_and_b64 vcc, exec, s[0:1]
	s_mov_b64 s[42:43], 0
	s_cbranch_vccnz .LBB825_98
; %bb.90:
	s_waitcnt lgkmcnt(0)
	v_mul_lo_u32 v14, v9, s26
	v_mul_lo_u32 v15, v8, s27
	v_mad_u64_u32 v[12:13], s[2:3], v8, s26, 0
	v_add3_u32 v13, v13, v15, v14
	v_mul_lo_u32 v14, v3, s26
	v_mul_lo_u32 v15, v2, s27
	v_mad_u64_u32 v[18:19], s[2:3], v2, s26, 0
	v_add3_u32 v19, v19, v15, v14
	v_lshlrev_b64 v[14:15], 3, v[12:13]
	v_mov_b32_e32 v12, s29
	v_add_co_u32_e32 v16, vcc, s28, v14
	v_addc_co_u32_e64 v17, s[2:3], v12, v15, vcc
	v_lshlrev_b64 v[12:13], 3, v[18:19]
	v_mov_b32_e32 v14, s29
	v_add_co_u32_e64 v18, s[2:3], s28, v12
	v_addc_co_u32_e64 v19, s[8:9], v14, v13, s[2:3]
	global_load_dwordx2 v[26:27], v[16:17], off
	global_load_dwordx2 v[28:29], v[18:19], off
	s_mov_b64 s[42:43], -1
	s_waitcnt vmcnt(0)
	v_cmp_eq_f64_e64 s[8:9], v[26:27], v[28:29]
	s_and_saveexec_b64 s[38:39], s[8:9]
	s_cbranch_execz .LBB825_97
; %bb.91:
	v_mov_b32_e32 v12, s29
	v_addc_co_u32_e64 v13, s[2:3], v13, v12, s[2:3]
	v_add_co_u32_e64 v12, s[2:3], 8, v18
	v_mov_b32_e32 v14, s29
	v_addc_co_u32_e64 v13, s[2:3], 0, v13, s[2:3]
	v_addc_co_u32_e32 v15, vcc, v15, v14, vcc
	v_add_co_u32_e32 v14, vcc, 8, v16
	s_add_u32 s2, s26, -1
	v_addc_co_u32_e32 v15, vcc, 0, v15, vcc
	s_addc_u32 s3, s27, -1
	s_mov_b64 s[8:9], 0
	s_mov_b64 s[44:45], 0
                                        ; implicit-def: $sgpr42_sgpr43
	s_branch .LBB825_94
.LBB825_92:                             ;   in Loop: Header=BB825_94 Depth=1
	global_load_dwordx2 v[16:17], v[14:15], off
	global_load_dwordx2 v[18:19], v[12:13], off
	v_add_co_u32_e32 v12, vcc, 8, v12
	v_addc_co_u32_e32 v13, vcc, 0, v13, vcc
	v_add_co_u32_e32 v14, vcc, 8, v14
	v_addc_co_u32_e32 v15, vcc, 0, v15, vcc
	s_add_u32 s44, s44, 1
	s_addc_u32 s45, s45, 0
	s_andn2_b64 s[42:43], s[42:43], exec
	s_waitcnt vmcnt(0)
	v_cmp_neq_f64_e32 vcc, v[16:17], v[18:19]
	s_and_b64 s[46:47], vcc, exec
	s_or_b64 s[42:43], s[42:43], s[46:47]
.LBB825_93:                             ;   in Loop: Header=BB825_94 Depth=1
	s_and_b64 s[46:47], exec, s[42:43]
	s_or_b64 s[8:9], s[46:47], s[8:9]
	v_pk_mov_b32 v[16:17], s[44:45], s[44:45] op_sel:[0,1]
	s_andn2_b64 exec, exec, s[8:9]
	s_cbranch_execz .LBB825_96
.LBB825_94:                             ; =>This Inner Loop Header: Depth=1
	s_or_b64 s[42:43], s[42:43], exec
	s_cmp_eq_u64 s[2:3], s[44:45]
	s_cbranch_scc0 .LBB825_92
; %bb.95:                               ;   in Loop: Header=BB825_94 Depth=1
                                        ; implicit-def: $vgpr12_vgpr13
                                        ; implicit-def: $vgpr14_vgpr15
	s_mov_b64 s[44:45], s[26:27]
	s_branch .LBB825_93
.LBB825_96:
	s_or_b64 exec, exec, s[8:9]
	v_cmp_gt_i64_e32 vcc, s[26:27], v[16:17]
	s_orn2_b64 s[42:43], vcc, exec
.LBB825_97:
	s_or_b64 exec, exec, s[38:39]
.LBB825_98:
	s_and_b64 s[38:39], s[42:43], exec
.LBB825_99:
	s_or_b64 exec, exec, s[40:41]
	v_cmp_gt_u32_e32 vcc, s7, v24
	s_and_saveexec_b64 s[40:41], vcc
	s_cbranch_execz .LBB825_110
; %bb.100:
	s_and_b64 vcc, exec, s[0:1]
	s_mov_b64 s[42:43], 0
	s_cbranch_vccnz .LBB825_109
; %bb.101:
	s_waitcnt lgkmcnt(0)
	v_mul_lo_u32 v14, v7, s26
	v_mul_lo_u32 v15, v6, s27
	v_mad_u64_u32 v[12:13], s[2:3], v6, s26, 0
	v_add3_u32 v13, v13, v15, v14
	v_mul_lo_u32 v14, v9, s26
	v_mul_lo_u32 v15, v8, s27
	v_mad_u64_u32 v[18:19], s[2:3], v8, s26, 0
	v_add3_u32 v19, v19, v15, v14
	v_lshlrev_b64 v[14:15], 3, v[12:13]
	v_mov_b32_e32 v12, s29
	v_add_co_u32_e32 v16, vcc, s28, v14
	v_addc_co_u32_e64 v17, s[2:3], v12, v15, vcc
	v_lshlrev_b64 v[12:13], 3, v[18:19]
	v_mov_b32_e32 v14, s29
	v_add_co_u32_e64 v18, s[2:3], s28, v12
	v_addc_co_u32_e64 v19, s[8:9], v14, v13, s[2:3]
	global_load_dwordx2 v[26:27], v[16:17], off
	global_load_dwordx2 v[28:29], v[18:19], off
	s_mov_b64 s[42:43], -1
	s_waitcnt vmcnt(0)
	v_cmp_eq_f64_e64 s[8:9], v[26:27], v[28:29]
	s_and_saveexec_b64 s[36:37], s[8:9]
	s_cbranch_execz .LBB825_108
; %bb.102:
	v_mov_b32_e32 v12, s29
	v_addc_co_u32_e64 v13, s[2:3], v13, v12, s[2:3]
	v_add_co_u32_e64 v12, s[2:3], 8, v18
	v_mov_b32_e32 v14, s29
	v_addc_co_u32_e64 v13, s[2:3], 0, v13, s[2:3]
	v_addc_co_u32_e32 v15, vcc, v15, v14, vcc
	v_add_co_u32_e32 v14, vcc, 8, v16
	s_add_u32 s2, s26, -1
	v_addc_co_u32_e32 v15, vcc, 0, v15, vcc
	s_addc_u32 s3, s27, -1
	s_mov_b64 s[8:9], 0
	s_mov_b64 s[44:45], 0
                                        ; implicit-def: $sgpr42_sgpr43
	s_branch .LBB825_105
.LBB825_103:                            ;   in Loop: Header=BB825_105 Depth=1
	global_load_dwordx2 v[16:17], v[14:15], off
	global_load_dwordx2 v[18:19], v[12:13], off
	v_add_co_u32_e32 v12, vcc, 8, v12
	v_addc_co_u32_e32 v13, vcc, 0, v13, vcc
	v_add_co_u32_e32 v14, vcc, 8, v14
	v_addc_co_u32_e32 v15, vcc, 0, v15, vcc
	s_add_u32 s44, s44, 1
	s_addc_u32 s45, s45, 0
	s_andn2_b64 s[42:43], s[42:43], exec
	s_waitcnt vmcnt(0)
	v_cmp_neq_f64_e32 vcc, v[16:17], v[18:19]
	s_and_b64 s[46:47], vcc, exec
	s_or_b64 s[42:43], s[42:43], s[46:47]
.LBB825_104:                            ;   in Loop: Header=BB825_105 Depth=1
	s_and_b64 s[46:47], exec, s[42:43]
	s_or_b64 s[8:9], s[46:47], s[8:9]
	v_pk_mov_b32 v[16:17], s[44:45], s[44:45] op_sel:[0,1]
	s_andn2_b64 exec, exec, s[8:9]
	s_cbranch_execz .LBB825_107
.LBB825_105:                            ; =>This Inner Loop Header: Depth=1
	s_or_b64 s[42:43], s[42:43], exec
	s_cmp_eq_u64 s[2:3], s[44:45]
	s_cbranch_scc0 .LBB825_103
; %bb.106:                              ;   in Loop: Header=BB825_105 Depth=1
                                        ; implicit-def: $vgpr12_vgpr13
                                        ; implicit-def: $vgpr14_vgpr15
	s_mov_b64 s[44:45], s[26:27]
	s_branch .LBB825_104
.LBB825_107:
	s_or_b64 exec, exec, s[8:9]
	v_cmp_gt_i64_e32 vcc, s[26:27], v[16:17]
	s_orn2_b64 s[42:43], vcc, exec
.LBB825_108:
	s_or_b64 exec, exec, s[36:37]
.LBB825_109:
	s_and_b64 s[36:37], s[42:43], exec
.LBB825_110:
	s_or_b64 exec, exec, s[40:41]
	v_cmp_ne_u32_e32 vcc, 0, v0
	s_waitcnt lgkmcnt(0)
	v_pk_mov_b32 v[12:13], s[12:13], s[12:13] op_sel:[0,1]
	s_barrier
	s_and_saveexec_b64 s[2:3], vcc
	s_cbranch_execz .LBB825_112
; %bb.111:
	v_add_u32_e32 v12, -8, v21
	ds_read_b64 v[12:13], v12
.LBB825_112:
	s_or_b64 exec, exec, s[2:3]
	v_cndmask_b32_e64 v15, 0, 1, s[18:19]
	v_cndmask_b32_e64 v14, 0, 1, s[38:39]
	;; [unrolled: 1-line block ×3, first 2 shown]
	v_lshlrev_b16_e32 v15, 8, v15
	v_cmp_gt_u32_e32 vcc, s7, v1
	v_lshlrev_b16_e32 v21, 8, v16
	v_or_b32_sdwa v26, v14, v15 dst_sel:WORD_1 dst_unused:UNUSED_PAD src0_sel:DWORD src1_sel:DWORD
	s_mov_b64 s[18:19], 0
	s_and_saveexec_b64 s[8:9], vcc
	s_cbranch_execz .LBB825_123
; %bb.113:
	s_and_b64 vcc, exec, s[0:1]
	s_cbranch_vccnz .LBB825_122
; %bb.114:
	s_waitcnt lgkmcnt(0)
	v_mul_lo_u32 v14, v13, s26
	v_mul_lo_u32 v15, v12, s27
	v_mad_u64_u32 v[12:13], s[0:1], v12, s26, 0
	v_add3_u32 v13, v13, v15, v14
	v_mul_lo_u32 v14, v7, s26
	v_mul_lo_u32 v15, v6, s27
	v_mad_u64_u32 v[18:19], s[0:1], v6, s26, 0
	v_add3_u32 v19, v19, v15, v14
	v_lshlrev_b64 v[14:15], 3, v[12:13]
	v_mov_b32_e32 v12, s29
	v_add_co_u32_e32 v16, vcc, s28, v14
	v_addc_co_u32_e64 v17, s[0:1], v12, v15, vcc
	v_lshlrev_b64 v[12:13], 3, v[18:19]
	v_mov_b32_e32 v14, s29
	v_add_co_u32_e64 v18, s[0:1], s28, v12
	v_addc_co_u32_e64 v19, s[2:3], v14, v13, s[0:1]
	global_load_dwordx2 v[28:29], v[16:17], off
	global_load_dwordx2 v[30:31], v[18:19], off
	s_mov_b64 s[18:19], -1
	s_waitcnt vmcnt(0)
	v_cmp_eq_f64_e64 s[2:3], v[28:29], v[30:31]
	s_and_saveexec_b64 s[12:13], s[2:3]
	s_cbranch_execz .LBB825_121
; %bb.115:
	v_mov_b32_e32 v12, s29
	v_addc_co_u32_e64 v13, s[0:1], v13, v12, s[0:1]
	v_add_co_u32_e64 v12, s[0:1], 8, v18
	v_mov_b32_e32 v14, s29
	v_addc_co_u32_e64 v13, s[0:1], 0, v13, s[0:1]
	v_addc_co_u32_e32 v15, vcc, v15, v14, vcc
	v_add_co_u32_e32 v14, vcc, 8, v16
	s_add_u32 s0, s26, -1
	v_addc_co_u32_e32 v15, vcc, 0, v15, vcc
	s_addc_u32 s1, s27, -1
	s_mov_b64 s[2:3], 0
	s_mov_b64 s[36:37], 0
                                        ; implicit-def: $sgpr18_sgpr19
	s_branch .LBB825_118
.LBB825_116:                            ;   in Loop: Header=BB825_118 Depth=1
	global_load_dwordx2 v[16:17], v[14:15], off
	global_load_dwordx2 v[18:19], v[12:13], off
	v_add_co_u32_e32 v12, vcc, 8, v12
	v_addc_co_u32_e32 v13, vcc, 0, v13, vcc
	v_add_co_u32_e32 v14, vcc, 8, v14
	v_addc_co_u32_e32 v15, vcc, 0, v15, vcc
	s_add_u32 s36, s36, 1
	s_addc_u32 s37, s37, 0
	s_andn2_b64 s[18:19], s[18:19], exec
	s_waitcnt vmcnt(0)
	v_cmp_neq_f64_e32 vcc, v[16:17], v[18:19]
	s_and_b64 s[38:39], vcc, exec
	s_or_b64 s[18:19], s[18:19], s[38:39]
.LBB825_117:                            ;   in Loop: Header=BB825_118 Depth=1
	s_and_b64 s[38:39], exec, s[18:19]
	s_or_b64 s[2:3], s[38:39], s[2:3]
	v_pk_mov_b32 v[16:17], s[36:37], s[36:37] op_sel:[0,1]
	s_andn2_b64 exec, exec, s[2:3]
	s_cbranch_execz .LBB825_120
.LBB825_118:                            ; =>This Inner Loop Header: Depth=1
	s_or_b64 s[18:19], s[18:19], exec
	s_cmp_eq_u64 s[0:1], s[36:37]
	s_cbranch_scc0 .LBB825_116
; %bb.119:                              ;   in Loop: Header=BB825_118 Depth=1
                                        ; implicit-def: $vgpr12_vgpr13
                                        ; implicit-def: $vgpr14_vgpr15
	s_mov_b64 s[36:37], s[26:27]
	s_branch .LBB825_117
.LBB825_120:
	s_or_b64 exec, exec, s[2:3]
	v_cmp_gt_i64_e32 vcc, s[26:27], v[16:17]
	s_orn2_b64 s[18:19], vcc, exec
.LBB825_121:
	s_or_b64 exec, exec, s[12:13]
.LBB825_122:
	s_and_b64 s[18:19], s[18:19], exec
.LBB825_123:
	s_or_b64 exec, exec, s[8:9]
	s_waitcnt lgkmcnt(0)
	v_cndmask_b32_e64 v13, 0, 1, s[14:15]
	v_or_b32_e32 v16, v21, v26
.LBB825_124:
	s_waitcnt lgkmcnt(0)
	s_mov_b64 s[12:13], -1
	s_cbranch_execnz .LBB825_233
.LBB825_125:
	v_lshlrev_b32_e32 v12, 5, v0
	v_sub_u32_e32 v26, v20, v12
	s_mov_b64 s[18:19], 0
	v_cmp_gt_i64_e64 s[14:15], s[26:27], 0
	s_and_b64 vcc, exec, s[34:35]
	ds_write_b64 v26, v[10:11]
	s_cbranch_vccz .LBB825_133
; %bb.126:
	v_mul_lo_u32 v14, v5, s26
	v_mul_lo_u32 v15, v4, s27
	v_mad_u64_u32 v[12:13], s[0:1], v4, s26, 0
	v_add3_u32 v13, v13, v15, v14
	v_cndmask_b32_e64 v14, 0, 1, s[14:15]
	v_cmp_ne_u32_e64 s[0:1], 1, v14
	s_andn2_b64 vcc, exec, s[14:15]
	v_lshlrev_b64 v[12:13], 3, v[12:13]
	s_cbranch_vccnz .LBB825_136
; %bb.127:
	v_mul_lo_u32 v16, v11, s26
	v_mul_lo_u32 v17, v10, s27
	v_mad_u64_u32 v[14:15], s[2:3], v10, s26, 0
	v_add3_u32 v15, v15, v17, v16
	v_mov_b32_e32 v17, s29
	v_add_co_u32_e32 v16, vcc, s28, v12
	v_addc_co_u32_e64 v17, s[2:3], v17, v13, vcc
	v_lshlrev_b64 v[14:15], 3, v[14:15]
	v_mov_b32_e32 v19, s29
	v_add_co_u32_e64 v18, s[2:3], s28, v14
	v_addc_co_u32_e64 v19, s[8:9], v19, v15, s[2:3]
	global_load_dwordx2 v[20:21], v[16:17], off
	global_load_dwordx2 v[28:29], v[18:19], off
	s_mov_b64 s[18:19], -1
	s_waitcnt vmcnt(0)
	v_cmp_eq_f64_e64 s[8:9], v[20:21], v[28:29]
	s_and_saveexec_b64 s[36:37], s[8:9]
	s_cbranch_execz .LBB825_135
; %bb.128:
	v_mov_b32_e32 v14, s29
	v_addc_co_u32_e64 v15, s[2:3], v15, v14, s[2:3]
	v_add_co_u32_e64 v14, s[2:3], 8, v18
	v_mov_b32_e32 v17, s29
	v_addc_co_u32_e64 v15, s[2:3], 0, v15, s[2:3]
	v_addc_co_u32_e32 v17, vcc, v13, v17, vcc
	v_add_co_u32_e32 v16, vcc, 8, v16
	s_add_u32 s2, s26, -1
	v_addc_co_u32_e32 v17, vcc, 0, v17, vcc
	s_addc_u32 s3, s27, -1
	s_mov_b64 s[8:9], 0
	s_mov_b64 s[38:39], 0
                                        ; implicit-def: $sgpr18_sgpr19
	s_branch .LBB825_131
.LBB825_129:                            ;   in Loop: Header=BB825_131 Depth=1
	global_load_dwordx2 v[18:19], v[16:17], off
	global_load_dwordx2 v[20:21], v[14:15], off
	v_add_co_u32_e32 v14, vcc, 8, v14
	v_addc_co_u32_e32 v15, vcc, 0, v15, vcc
	v_add_co_u32_e32 v16, vcc, 8, v16
	v_addc_co_u32_e32 v17, vcc, 0, v17, vcc
	s_add_u32 s38, s38, 1
	s_addc_u32 s39, s39, 0
	s_andn2_b64 s[18:19], s[18:19], exec
	s_waitcnt vmcnt(0)
	v_cmp_neq_f64_e32 vcc, v[18:19], v[20:21]
	s_and_b64 s[40:41], vcc, exec
	s_or_b64 s[18:19], s[18:19], s[40:41]
.LBB825_130:                            ;   in Loop: Header=BB825_131 Depth=1
	s_and_b64 s[40:41], exec, s[18:19]
	s_or_b64 s[8:9], s[40:41], s[8:9]
	v_pk_mov_b32 v[18:19], s[38:39], s[38:39] op_sel:[0,1]
	s_andn2_b64 exec, exec, s[8:9]
	s_cbranch_execz .LBB825_134
.LBB825_131:                            ; =>This Inner Loop Header: Depth=1
	s_or_b64 s[18:19], s[18:19], exec
	s_cmp_eq_u64 s[2:3], s[38:39]
	s_cbranch_scc0 .LBB825_129
; %bb.132:                              ;   in Loop: Header=BB825_131 Depth=1
                                        ; implicit-def: $vgpr14_vgpr15
                                        ; implicit-def: $vgpr16_vgpr17
	s_mov_b64 s[38:39], s[26:27]
	s_branch .LBB825_130
.LBB825_133:
                                        ; implicit-def: $sgpr18_sgpr19
                                        ; implicit-def: $vgpr13
                                        ; implicit-def: $vgpr16
	s_cbranch_execnz .LBB825_175
	s_branch .LBB825_233
.LBB825_134:
	s_or_b64 exec, exec, s[8:9]
	v_cmp_gt_i64_e32 vcc, s[26:27], v[18:19]
	s_orn2_b64 s[18:19], vcc, exec
.LBB825_135:
	s_or_b64 exec, exec, s[36:37]
.LBB825_136:
	v_mul_lo_u32 v16, v3, s26
	v_mul_lo_u32 v17, v2, s27
	v_mad_u64_u32 v[14:15], s[2:3], v2, s26, 0
	v_add3_u32 v15, v15, v17, v16
	s_mov_b64 s[36:37], 0
	s_and_b64 vcc, exec, s[0:1]
	v_lshlrev_b64 v[14:15], 3, v[14:15]
	s_mov_b64 s[38:39], 0
	s_cbranch_vccnz .LBB825_145
; %bb.137:
	v_mov_b32_e32 v17, s29
	v_add_co_u32_e32 v16, vcc, s28, v14
	v_addc_co_u32_e64 v17, s[2:3], v17, v15, vcc
	v_mov_b32_e32 v19, s29
	v_add_co_u32_e64 v18, s[2:3], s28, v12
	v_addc_co_u32_e64 v19, s[8:9], v19, v13, s[2:3]
	global_load_dwordx2 v[20:21], v[16:17], off
	global_load_dwordx2 v[28:29], v[18:19], off
	s_mov_b64 s[38:39], -1
	s_waitcnt vmcnt(0)
	v_cmp_eq_f64_e64 s[8:9], v[20:21], v[28:29]
	s_and_saveexec_b64 s[40:41], s[8:9]
	s_cbranch_execz .LBB825_144
; %bb.138:
	v_mov_b32_e32 v12, s29
	v_addc_co_u32_e64 v13, s[2:3], v13, v12, s[2:3]
	v_add_co_u32_e64 v12, s[2:3], 8, v18
	v_mov_b32_e32 v17, s29
	v_addc_co_u32_e64 v13, s[2:3], 0, v13, s[2:3]
	v_addc_co_u32_e32 v17, vcc, v15, v17, vcc
	v_add_co_u32_e32 v16, vcc, 8, v16
	s_add_u32 s2, s26, -1
	v_addc_co_u32_e32 v17, vcc, 0, v17, vcc
	s_addc_u32 s3, s27, -1
	s_mov_b64 s[8:9], 0
	s_mov_b64 s[42:43], 0
                                        ; implicit-def: $sgpr38_sgpr39
	s_branch .LBB825_141
.LBB825_139:                            ;   in Loop: Header=BB825_141 Depth=1
	global_load_dwordx2 v[18:19], v[16:17], off
	global_load_dwordx2 v[20:21], v[12:13], off
	v_add_co_u32_e32 v12, vcc, 8, v12
	v_addc_co_u32_e32 v13, vcc, 0, v13, vcc
	v_add_co_u32_e32 v16, vcc, 8, v16
	v_addc_co_u32_e32 v17, vcc, 0, v17, vcc
	s_add_u32 s42, s42, 1
	s_addc_u32 s43, s43, 0
	s_andn2_b64 s[38:39], s[38:39], exec
	s_waitcnt vmcnt(0)
	v_cmp_neq_f64_e32 vcc, v[18:19], v[20:21]
	s_and_b64 s[44:45], vcc, exec
	s_or_b64 s[38:39], s[38:39], s[44:45]
.LBB825_140:                            ;   in Loop: Header=BB825_141 Depth=1
	s_and_b64 s[44:45], exec, s[38:39]
	s_or_b64 s[8:9], s[44:45], s[8:9]
	v_pk_mov_b32 v[18:19], s[42:43], s[42:43] op_sel:[0,1]
	s_andn2_b64 exec, exec, s[8:9]
	s_cbranch_execz .LBB825_143
.LBB825_141:                            ; =>This Inner Loop Header: Depth=1
	s_or_b64 s[38:39], s[38:39], exec
	s_cmp_eq_u64 s[2:3], s[42:43]
	s_cbranch_scc0 .LBB825_139
; %bb.142:                              ;   in Loop: Header=BB825_141 Depth=1
                                        ; implicit-def: $vgpr12_vgpr13
                                        ; implicit-def: $vgpr16_vgpr17
	s_mov_b64 s[42:43], s[26:27]
	s_branch .LBB825_140
.LBB825_143:
	s_or_b64 exec, exec, s[8:9]
	v_cmp_gt_i64_e32 vcc, s[26:27], v[18:19]
	s_orn2_b64 s[38:39], vcc, exec
.LBB825_144:
	s_or_b64 exec, exec, s[40:41]
.LBB825_145:
	v_mul_lo_u32 v16, v9, s26
	v_mul_lo_u32 v17, v8, s27
	v_mad_u64_u32 v[12:13], s[2:3], v8, s26, 0
	v_add3_u32 v13, v13, v17, v16
	s_and_b64 vcc, exec, s[0:1]
	v_lshlrev_b64 v[12:13], 3, v[12:13]
	s_cbranch_vccnz .LBB825_154
; %bb.146:
	v_mov_b32_e32 v17, s29
	v_add_co_u32_e32 v16, vcc, s28, v12
	v_addc_co_u32_e64 v17, s[2:3], v17, v13, vcc
	v_mov_b32_e32 v19, s29
	v_add_co_u32_e64 v18, s[2:3], s28, v14
	v_addc_co_u32_e64 v19, s[8:9], v19, v15, s[2:3]
	global_load_dwordx2 v[20:21], v[16:17], off
	global_load_dwordx2 v[28:29], v[18:19], off
	s_mov_b64 s[36:37], -1
	s_waitcnt vmcnt(0)
	v_cmp_eq_f64_e64 s[8:9], v[20:21], v[28:29]
	s_and_saveexec_b64 s[40:41], s[8:9]
	s_cbranch_execz .LBB825_153
; %bb.147:
	v_mov_b32_e32 v14, s29
	v_addc_co_u32_e64 v15, s[2:3], v15, v14, s[2:3]
	v_add_co_u32_e64 v14, s[2:3], 8, v18
	v_mov_b32_e32 v17, s29
	v_addc_co_u32_e64 v15, s[2:3], 0, v15, s[2:3]
	v_addc_co_u32_e32 v17, vcc, v13, v17, vcc
	v_add_co_u32_e32 v16, vcc, 8, v16
	s_add_u32 s2, s26, -1
	v_addc_co_u32_e32 v17, vcc, 0, v17, vcc
	s_addc_u32 s3, s27, -1
	s_mov_b64 s[8:9], 0
	s_mov_b64 s[42:43], 0
                                        ; implicit-def: $sgpr36_sgpr37
	s_branch .LBB825_150
.LBB825_148:                            ;   in Loop: Header=BB825_150 Depth=1
	global_load_dwordx2 v[18:19], v[16:17], off
	global_load_dwordx2 v[20:21], v[14:15], off
	v_add_co_u32_e32 v14, vcc, 8, v14
	v_addc_co_u32_e32 v15, vcc, 0, v15, vcc
	v_add_co_u32_e32 v16, vcc, 8, v16
	v_addc_co_u32_e32 v17, vcc, 0, v17, vcc
	s_add_u32 s42, s42, 1
	s_addc_u32 s43, s43, 0
	s_andn2_b64 s[36:37], s[36:37], exec
	s_waitcnt vmcnt(0)
	v_cmp_neq_f64_e32 vcc, v[18:19], v[20:21]
	s_and_b64 s[44:45], vcc, exec
	s_or_b64 s[36:37], s[36:37], s[44:45]
.LBB825_149:                            ;   in Loop: Header=BB825_150 Depth=1
	s_and_b64 s[44:45], exec, s[36:37]
	s_or_b64 s[8:9], s[44:45], s[8:9]
	v_pk_mov_b32 v[18:19], s[42:43], s[42:43] op_sel:[0,1]
	s_andn2_b64 exec, exec, s[8:9]
	s_cbranch_execz .LBB825_152
.LBB825_150:                            ; =>This Inner Loop Header: Depth=1
	s_or_b64 s[36:37], s[36:37], exec
	s_cmp_eq_u64 s[2:3], s[42:43]
	s_cbranch_scc0 .LBB825_148
; %bb.151:                              ;   in Loop: Header=BB825_150 Depth=1
                                        ; implicit-def: $vgpr14_vgpr15
                                        ; implicit-def: $vgpr16_vgpr17
	s_mov_b64 s[42:43], s[26:27]
	s_branch .LBB825_149
.LBB825_152:
	s_or_b64 exec, exec, s[8:9]
	v_cmp_gt_i64_e32 vcc, s[26:27], v[18:19]
	s_orn2_b64 s[36:37], vcc, exec
.LBB825_153:
	s_or_b64 exec, exec, s[40:41]
.LBB825_154:
	v_mul_lo_u32 v16, v7, s26
	v_mul_lo_u32 v17, v6, s27
	v_mad_u64_u32 v[14:15], s[2:3], v6, s26, 0
	v_add3_u32 v15, v15, v17, v16
	s_and_b64 vcc, exec, s[0:1]
	s_mov_b64 s[42:43], 0
	s_cbranch_vccnz .LBB825_163
; %bb.155:
	v_lshlrev_b64 v[16:17], 3, v[14:15]
	v_mov_b32_e32 v19, s29
	v_add_co_u32_e32 v18, vcc, s28, v16
	v_addc_co_u32_e64 v19, s[2:3], v19, v17, vcc
	v_mov_b32_e32 v16, s29
	v_add_co_u32_e64 v20, s[2:3], s28, v12
	v_addc_co_u32_e64 v21, s[8:9], v16, v13, s[2:3]
	global_load_dwordx2 v[28:29], v[18:19], off
	global_load_dwordx2 v[30:31], v[20:21], off
	s_mov_b64 s[42:43], -1
	s_waitcnt vmcnt(0)
	v_cmp_eq_f64_e64 s[8:9], v[28:29], v[30:31]
	s_and_saveexec_b64 s[40:41], s[8:9]
	s_cbranch_execz .LBB825_162
; %bb.156:
	v_mov_b32_e32 v12, s29
	v_addc_co_u32_e64 v13, s[2:3], v13, v12, s[2:3]
	v_add_co_u32_e64 v12, s[2:3], 8, v20
	v_mov_b32_e32 v16, s29
	v_addc_co_u32_e64 v13, s[2:3], 0, v13, s[2:3]
	v_addc_co_u32_e32 v17, vcc, v17, v16, vcc
	v_add_co_u32_e32 v16, vcc, 8, v18
	s_add_u32 s2, s26, -1
	v_addc_co_u32_e32 v17, vcc, 0, v17, vcc
	s_addc_u32 s3, s27, -1
	s_mov_b64 s[8:9], 0
	s_mov_b64 s[44:45], 0
                                        ; implicit-def: $sgpr42_sgpr43
	s_branch .LBB825_159
.LBB825_157:                            ;   in Loop: Header=BB825_159 Depth=1
	global_load_dwordx2 v[18:19], v[16:17], off
	global_load_dwordx2 v[20:21], v[12:13], off
	v_add_co_u32_e32 v12, vcc, 8, v12
	v_addc_co_u32_e32 v13, vcc, 0, v13, vcc
	v_add_co_u32_e32 v16, vcc, 8, v16
	v_addc_co_u32_e32 v17, vcc, 0, v17, vcc
	s_add_u32 s44, s44, 1
	s_addc_u32 s45, s45, 0
	s_andn2_b64 s[42:43], s[42:43], exec
	s_waitcnt vmcnt(0)
	v_cmp_neq_f64_e32 vcc, v[18:19], v[20:21]
	s_and_b64 s[46:47], vcc, exec
	s_or_b64 s[42:43], s[42:43], s[46:47]
.LBB825_158:                            ;   in Loop: Header=BB825_159 Depth=1
	s_and_b64 s[46:47], exec, s[42:43]
	s_or_b64 s[8:9], s[46:47], s[8:9]
	v_pk_mov_b32 v[18:19], s[44:45], s[44:45] op_sel:[0,1]
	s_andn2_b64 exec, exec, s[8:9]
	s_cbranch_execz .LBB825_161
.LBB825_159:                            ; =>This Inner Loop Header: Depth=1
	s_or_b64 s[42:43], s[42:43], exec
	s_cmp_eq_u64 s[2:3], s[44:45]
	s_cbranch_scc0 .LBB825_157
; %bb.160:                              ;   in Loop: Header=BB825_159 Depth=1
                                        ; implicit-def: $vgpr12_vgpr13
                                        ; implicit-def: $vgpr16_vgpr17
	s_mov_b64 s[44:45], s[26:27]
	s_branch .LBB825_158
.LBB825_161:
	s_or_b64 exec, exec, s[8:9]
	v_cmp_gt_i64_e32 vcc, s[26:27], v[18:19]
	s_orn2_b64 s[42:43], vcc, exec
.LBB825_162:
	s_or_b64 exec, exec, s[40:41]
.LBB825_163:
	v_cndmask_b32_e64 v13, 0, 1, s[38:39]
	v_cndmask_b32_e64 v16, 0, 1, s[42:43]
	;; [unrolled: 1-line block ×3, first 2 shown]
	v_lshlrev_b16_e32 v16, 8, v16
	v_lshlrev_b16_e32 v13, 8, v13
	v_or_b32_e32 v16, 1, v16
	v_or_b32_sdwa v12, v12, v13 dst_sel:WORD_1 dst_unused:UNUSED_PAD src0_sel:DWORD src1_sel:DWORD
	v_or_b32_sdwa v12, v16, v12 dst_sel:DWORD dst_unused:UNUSED_PAD src0_sel:WORD_0 src1_sel:DWORD
	v_cndmask_b32_e64 v13, 0, 1, s[18:19]
	v_cmp_ne_u32_e32 vcc, 0, v0
	s_waitcnt lgkmcnt(0)
	s_barrier
	s_waitcnt lgkmcnt(0)
                                        ; implicit-def: $sgpr18_sgpr19
                                        ; implicit-def: $vgpr16
	s_and_saveexec_b64 s[2:3], vcc
	s_xor_b64 s[8:9], exec, s[2:3]
	s_cbranch_execz .LBB825_174
; %bb.164:
	s_mov_b32 s33, 0x3020104
	s_and_b64 vcc, exec, s[0:1]
	s_mov_b64 s[36:37], 0
	s_cbranch_vccnz .LBB825_173
; %bb.165:
	v_add_u32_e32 v16, -8, v26
	ds_read_b64 v[16:17], v16
	v_mov_b32_e32 v19, s29
	v_lshlrev_b64 v[14:15], 3, v[14:15]
	s_mov_b64 s[36:37], -1
	s_waitcnt lgkmcnt(0)
	v_mul_lo_u32 v18, v17, s26
	v_mul_lo_u32 v20, v16, s27
	v_mad_u64_u32 v[16:17], s[0:1], v16, s26, 0
	v_add3_u32 v17, v17, v20, v18
	v_lshlrev_b64 v[16:17], 3, v[16:17]
	v_add_co_u32_e32 v18, vcc, s28, v16
	v_addc_co_u32_e64 v19, s[0:1], v19, v17, vcc
	v_mov_b32_e32 v16, s29
	v_add_co_u32_e64 v20, s[0:1], s28, v14
	v_addc_co_u32_e64 v21, s[2:3], v16, v15, s[0:1]
	global_load_dwordx2 v[28:29], v[18:19], off
	global_load_dwordx2 v[30:31], v[20:21], off
	s_waitcnt vmcnt(0)
	v_cmp_eq_f64_e64 s[2:3], v[28:29], v[30:31]
	s_and_saveexec_b64 s[18:19], s[2:3]
	s_cbranch_execz .LBB825_172
; %bb.166:
	v_mov_b32_e32 v14, s29
	v_addc_co_u32_e64 v15, s[0:1], v15, v14, s[0:1]
	v_add_co_u32_e64 v14, s[0:1], 8, v20
	v_mov_b32_e32 v16, s29
	v_addc_co_u32_e64 v15, s[0:1], 0, v15, s[0:1]
	v_addc_co_u32_e32 v17, vcc, v17, v16, vcc
	v_add_co_u32_e32 v16, vcc, 8, v18
	s_add_u32 s0, s26, -1
	v_addc_co_u32_e32 v17, vcc, 0, v17, vcc
	s_addc_u32 s1, s27, -1
	s_mov_b64 s[2:3], 0
	s_mov_b64 s[38:39], 0
                                        ; implicit-def: $sgpr36_sgpr37
	s_branch .LBB825_169
.LBB825_167:                            ;   in Loop: Header=BB825_169 Depth=1
	global_load_dwordx2 v[18:19], v[16:17], off
	global_load_dwordx2 v[20:21], v[14:15], off
	v_add_co_u32_e32 v14, vcc, 8, v14
	v_addc_co_u32_e32 v15, vcc, 0, v15, vcc
	v_add_co_u32_e32 v16, vcc, 8, v16
	v_addc_co_u32_e32 v17, vcc, 0, v17, vcc
	s_add_u32 s38, s38, 1
	s_addc_u32 s39, s39, 0
	s_andn2_b64 s[36:37], s[36:37], exec
	s_waitcnt vmcnt(0)
	v_cmp_neq_f64_e32 vcc, v[18:19], v[20:21]
	s_and_b64 s[40:41], vcc, exec
	s_or_b64 s[36:37], s[36:37], s[40:41]
.LBB825_168:                            ;   in Loop: Header=BB825_169 Depth=1
	s_and_b64 s[40:41], exec, s[36:37]
	s_or_b64 s[2:3], s[40:41], s[2:3]
	v_pk_mov_b32 v[18:19], s[38:39], s[38:39] op_sel:[0,1]
	s_andn2_b64 exec, exec, s[2:3]
	s_cbranch_execz .LBB825_171
.LBB825_169:                            ; =>This Inner Loop Header: Depth=1
	s_or_b64 s[36:37], s[36:37], exec
	s_cmp_eq_u64 s[0:1], s[38:39]
	s_cbranch_scc0 .LBB825_167
; %bb.170:                              ;   in Loop: Header=BB825_169 Depth=1
                                        ; implicit-def: $vgpr14_vgpr15
                                        ; implicit-def: $vgpr16_vgpr17
	s_mov_b64 s[38:39], s[26:27]
	s_branch .LBB825_168
.LBB825_171:
	s_or_b64 exec, exec, s[2:3]
	v_cmp_gt_i64_e32 vcc, s[26:27], v[18:19]
	s_orn2_b64 s[36:37], vcc, exec
.LBB825_172:
	s_or_b64 exec, exec, s[18:19]
.LBB825_173:
	v_perm_b32 v16, v12, v12, s33
	s_and_b64 s[18:19], s[36:37], exec
	s_or_b64 s[12:13], s[12:13], exec
.LBB825_174:
	s_or_b64 exec, exec, s[8:9]
	s_branch .LBB825_233
.LBB825_175:
	v_cmp_gt_u32_e32 vcc, s7, v23
	s_mov_b64 s[18:19], 0
	s_mov_b64 s[8:9], 0
	s_and_saveexec_b64 s[36:37], vcc
	s_cbranch_execz .LBB825_186
; %bb.176:
	s_andn2_b64 vcc, exec, s[14:15]
	s_mov_b64 s[38:39], 0
	s_cbranch_vccnz .LBB825_185
; %bb.177:
	v_mul_lo_u32 v14, v5, s26
	v_mul_lo_u32 v15, v4, s27
	v_mad_u64_u32 v[12:13], s[0:1], v4, s26, 0
	v_add3_u32 v13, v13, v15, v14
	v_mul_lo_u32 v14, v11, s26
	v_mul_lo_u32 v15, v10, s27
	v_mad_u64_u32 v[18:19], s[0:1], v10, s26, 0
	v_add3_u32 v19, v19, v15, v14
	v_lshlrev_b64 v[14:15], 3, v[12:13]
	v_mov_b32_e32 v12, s29
	v_add_co_u32_e32 v16, vcc, s28, v14
	v_addc_co_u32_e64 v17, s[0:1], v12, v15, vcc
	v_lshlrev_b64 v[12:13], 3, v[18:19]
	v_mov_b32_e32 v14, s29
	v_add_co_u32_e64 v18, s[0:1], s28, v12
	v_addc_co_u32_e64 v19, s[2:3], v14, v13, s[0:1]
	global_load_dwordx2 v[20:21], v[16:17], off
	global_load_dwordx2 v[28:29], v[18:19], off
	s_mov_b64 s[38:39], -1
	s_waitcnt vmcnt(0)
	v_cmp_eq_f64_e64 s[2:3], v[20:21], v[28:29]
	s_and_saveexec_b64 s[8:9], s[2:3]
	s_cbranch_execz .LBB825_184
; %bb.178:
	v_mov_b32_e32 v12, s29
	v_addc_co_u32_e64 v13, s[0:1], v13, v12, s[0:1]
	v_add_co_u32_e64 v12, s[0:1], 8, v18
	v_mov_b32_e32 v14, s29
	v_addc_co_u32_e64 v13, s[0:1], 0, v13, s[0:1]
	v_addc_co_u32_e32 v15, vcc, v15, v14, vcc
	v_add_co_u32_e32 v14, vcc, 8, v16
	s_add_u32 s0, s26, -1
	v_addc_co_u32_e32 v15, vcc, 0, v15, vcc
	s_addc_u32 s1, s27, -1
	s_mov_b64 s[2:3], 0
	s_mov_b64 s[40:41], 0
                                        ; implicit-def: $sgpr38_sgpr39
	s_branch .LBB825_181
.LBB825_179:                            ;   in Loop: Header=BB825_181 Depth=1
	global_load_dwordx2 v[16:17], v[14:15], off
	global_load_dwordx2 v[18:19], v[12:13], off
	v_add_co_u32_e32 v12, vcc, 8, v12
	v_addc_co_u32_e32 v13, vcc, 0, v13, vcc
	v_add_co_u32_e32 v14, vcc, 8, v14
	v_addc_co_u32_e32 v15, vcc, 0, v15, vcc
	s_add_u32 s40, s40, 1
	s_addc_u32 s41, s41, 0
	s_andn2_b64 s[38:39], s[38:39], exec
	s_waitcnt vmcnt(0)
	v_cmp_neq_f64_e32 vcc, v[16:17], v[18:19]
	s_and_b64 s[42:43], vcc, exec
	s_or_b64 s[38:39], s[38:39], s[42:43]
.LBB825_180:                            ;   in Loop: Header=BB825_181 Depth=1
	s_and_b64 s[42:43], exec, s[38:39]
	s_or_b64 s[2:3], s[42:43], s[2:3]
	v_pk_mov_b32 v[16:17], s[40:41], s[40:41] op_sel:[0,1]
	s_andn2_b64 exec, exec, s[2:3]
	s_cbranch_execz .LBB825_183
.LBB825_181:                            ; =>This Inner Loop Header: Depth=1
	s_or_b64 s[38:39], s[38:39], exec
	s_cmp_eq_u64 s[0:1], s[40:41]
	s_cbranch_scc0 .LBB825_179
; %bb.182:                              ;   in Loop: Header=BB825_181 Depth=1
                                        ; implicit-def: $vgpr12_vgpr13
                                        ; implicit-def: $vgpr14_vgpr15
	s_mov_b64 s[40:41], s[26:27]
	s_branch .LBB825_180
.LBB825_183:
	s_or_b64 exec, exec, s[2:3]
	v_cmp_gt_i64_e32 vcc, s[26:27], v[16:17]
	s_orn2_b64 s[38:39], vcc, exec
.LBB825_184:
	s_or_b64 exec, exec, s[8:9]
.LBB825_185:
	s_and_b64 s[8:9], s[38:39], exec
.LBB825_186:
	s_or_b64 exec, exec, s[36:37]
	v_cmp_gt_u32_e32 vcc, s7, v25
	s_and_saveexec_b64 s[36:37], vcc
	s_cbranch_execz .LBB825_197
; %bb.187:
	s_andn2_b64 vcc, exec, s[14:15]
	s_mov_b64 s[38:39], 0
	s_cbranch_vccnz .LBB825_196
; %bb.188:
	v_mul_lo_u32 v14, v3, s26
	v_mul_lo_u32 v15, v2, s27
	v_mad_u64_u32 v[12:13], s[0:1], v2, s26, 0
	v_add3_u32 v13, v13, v15, v14
	v_mul_lo_u32 v14, v5, s26
	v_mul_lo_u32 v15, v4, s27
	v_mad_u64_u32 v[18:19], s[0:1], v4, s26, 0
	v_add3_u32 v19, v19, v15, v14
	v_lshlrev_b64 v[14:15], 3, v[12:13]
	v_mov_b32_e32 v12, s29
	v_add_co_u32_e32 v16, vcc, s28, v14
	v_addc_co_u32_e64 v17, s[0:1], v12, v15, vcc
	v_lshlrev_b64 v[12:13], 3, v[18:19]
	v_mov_b32_e32 v14, s29
	v_add_co_u32_e64 v18, s[0:1], s28, v12
	v_addc_co_u32_e64 v19, s[2:3], v14, v13, s[0:1]
	global_load_dwordx2 v[20:21], v[16:17], off
	global_load_dwordx2 v[28:29], v[18:19], off
	s_mov_b64 s[38:39], -1
	s_waitcnt vmcnt(0)
	v_cmp_eq_f64_e64 s[2:3], v[20:21], v[28:29]
	s_and_saveexec_b64 s[18:19], s[2:3]
	s_cbranch_execz .LBB825_195
; %bb.189:
	v_mov_b32_e32 v12, s29
	v_addc_co_u32_e64 v13, s[0:1], v13, v12, s[0:1]
	v_add_co_u32_e64 v12, s[0:1], 8, v18
	v_mov_b32_e32 v14, s29
	v_addc_co_u32_e64 v13, s[0:1], 0, v13, s[0:1]
	v_addc_co_u32_e32 v15, vcc, v15, v14, vcc
	v_add_co_u32_e32 v14, vcc, 8, v16
	s_add_u32 s0, s26, -1
	v_addc_co_u32_e32 v15, vcc, 0, v15, vcc
	s_addc_u32 s1, s27, -1
	s_mov_b64 s[2:3], 0
	s_mov_b64 s[40:41], 0
                                        ; implicit-def: $sgpr38_sgpr39
	s_branch .LBB825_192
.LBB825_190:                            ;   in Loop: Header=BB825_192 Depth=1
	global_load_dwordx2 v[16:17], v[14:15], off
	global_load_dwordx2 v[18:19], v[12:13], off
	v_add_co_u32_e32 v12, vcc, 8, v12
	v_addc_co_u32_e32 v13, vcc, 0, v13, vcc
	v_add_co_u32_e32 v14, vcc, 8, v14
	v_addc_co_u32_e32 v15, vcc, 0, v15, vcc
	s_add_u32 s40, s40, 1
	s_addc_u32 s41, s41, 0
	s_andn2_b64 s[38:39], s[38:39], exec
	s_waitcnt vmcnt(0)
	v_cmp_neq_f64_e32 vcc, v[16:17], v[18:19]
	s_and_b64 s[42:43], vcc, exec
	s_or_b64 s[38:39], s[38:39], s[42:43]
.LBB825_191:                            ;   in Loop: Header=BB825_192 Depth=1
	s_and_b64 s[42:43], exec, s[38:39]
	s_or_b64 s[2:3], s[42:43], s[2:3]
	v_pk_mov_b32 v[16:17], s[40:41], s[40:41] op_sel:[0,1]
	s_andn2_b64 exec, exec, s[2:3]
	s_cbranch_execz .LBB825_194
.LBB825_192:                            ; =>This Inner Loop Header: Depth=1
	s_or_b64 s[38:39], s[38:39], exec
	s_cmp_eq_u64 s[0:1], s[40:41]
	s_cbranch_scc0 .LBB825_190
; %bb.193:                              ;   in Loop: Header=BB825_192 Depth=1
                                        ; implicit-def: $vgpr12_vgpr13
                                        ; implicit-def: $vgpr14_vgpr15
	s_mov_b64 s[40:41], s[26:27]
	s_branch .LBB825_191
.LBB825_194:
	s_or_b64 exec, exec, s[2:3]
	v_cmp_gt_i64_e32 vcc, s[26:27], v[16:17]
	s_orn2_b64 s[38:39], vcc, exec
.LBB825_195:
	s_or_b64 exec, exec, s[18:19]
.LBB825_196:
	s_and_b64 s[18:19], s[38:39], exec
.LBB825_197:
	s_or_b64 exec, exec, s[36:37]
	v_cmp_gt_u32_e32 vcc, s7, v22
	s_mov_b64 s[36:37], 0
	s_mov_b64 s[38:39], 0
	s_and_saveexec_b64 s[40:41], vcc
	s_cbranch_execz .LBB825_208
; %bb.198:
	s_andn2_b64 vcc, exec, s[14:15]
	s_mov_b64 s[42:43], 0
	s_cbranch_vccnz .LBB825_207
; %bb.199:
	v_mul_lo_u32 v14, v9, s26
	v_mul_lo_u32 v15, v8, s27
	v_mad_u64_u32 v[12:13], s[0:1], v8, s26, 0
	v_add3_u32 v13, v13, v15, v14
	v_mul_lo_u32 v14, v3, s26
	v_mul_lo_u32 v15, v2, s27
	v_mad_u64_u32 v[18:19], s[0:1], v2, s26, 0
	v_add3_u32 v19, v19, v15, v14
	v_lshlrev_b64 v[14:15], 3, v[12:13]
	v_mov_b32_e32 v12, s29
	v_add_co_u32_e32 v16, vcc, s28, v14
	v_addc_co_u32_e64 v17, s[0:1], v12, v15, vcc
	v_lshlrev_b64 v[12:13], 3, v[18:19]
	v_mov_b32_e32 v14, s29
	v_add_co_u32_e64 v18, s[0:1], s28, v12
	v_addc_co_u32_e64 v19, s[2:3], v14, v13, s[0:1]
	global_load_dwordx2 v[20:21], v[16:17], off
	global_load_dwordx2 v[28:29], v[18:19], off
	s_mov_b64 s[42:43], -1
	s_waitcnt vmcnt(0)
	v_cmp_eq_f64_e64 s[2:3], v[20:21], v[28:29]
	s_and_saveexec_b64 s[38:39], s[2:3]
	s_cbranch_execz .LBB825_206
; %bb.200:
	v_mov_b32_e32 v12, s29
	v_addc_co_u32_e64 v13, s[0:1], v13, v12, s[0:1]
	v_add_co_u32_e64 v12, s[0:1], 8, v18
	v_mov_b32_e32 v14, s29
	v_addc_co_u32_e64 v13, s[0:1], 0, v13, s[0:1]
	v_addc_co_u32_e32 v15, vcc, v15, v14, vcc
	v_add_co_u32_e32 v14, vcc, 8, v16
	s_add_u32 s0, s26, -1
	v_addc_co_u32_e32 v15, vcc, 0, v15, vcc
	s_addc_u32 s1, s27, -1
	s_mov_b64 s[2:3], 0
	s_mov_b64 s[44:45], 0
                                        ; implicit-def: $sgpr42_sgpr43
	s_branch .LBB825_203
.LBB825_201:                            ;   in Loop: Header=BB825_203 Depth=1
	global_load_dwordx2 v[16:17], v[14:15], off
	global_load_dwordx2 v[18:19], v[12:13], off
	v_add_co_u32_e32 v12, vcc, 8, v12
	v_addc_co_u32_e32 v13, vcc, 0, v13, vcc
	v_add_co_u32_e32 v14, vcc, 8, v14
	v_addc_co_u32_e32 v15, vcc, 0, v15, vcc
	s_add_u32 s44, s44, 1
	s_addc_u32 s45, s45, 0
	s_andn2_b64 s[42:43], s[42:43], exec
	s_waitcnt vmcnt(0)
	v_cmp_neq_f64_e32 vcc, v[16:17], v[18:19]
	s_and_b64 s[46:47], vcc, exec
	s_or_b64 s[42:43], s[42:43], s[46:47]
.LBB825_202:                            ;   in Loop: Header=BB825_203 Depth=1
	s_and_b64 s[46:47], exec, s[42:43]
	s_or_b64 s[2:3], s[46:47], s[2:3]
	v_pk_mov_b32 v[16:17], s[44:45], s[44:45] op_sel:[0,1]
	s_andn2_b64 exec, exec, s[2:3]
	s_cbranch_execz .LBB825_205
.LBB825_203:                            ; =>This Inner Loop Header: Depth=1
	s_or_b64 s[42:43], s[42:43], exec
	s_cmp_eq_u64 s[0:1], s[44:45]
	s_cbranch_scc0 .LBB825_201
; %bb.204:                              ;   in Loop: Header=BB825_203 Depth=1
                                        ; implicit-def: $vgpr12_vgpr13
                                        ; implicit-def: $vgpr14_vgpr15
	s_mov_b64 s[44:45], s[26:27]
	s_branch .LBB825_202
.LBB825_205:
	s_or_b64 exec, exec, s[2:3]
	v_cmp_gt_i64_e32 vcc, s[26:27], v[16:17]
	s_orn2_b64 s[42:43], vcc, exec
.LBB825_206:
	s_or_b64 exec, exec, s[38:39]
.LBB825_207:
	s_and_b64 s[38:39], s[42:43], exec
.LBB825_208:
	s_or_b64 exec, exec, s[40:41]
	v_cmp_gt_u32_e32 vcc, s7, v24
	s_and_saveexec_b64 s[40:41], vcc
	s_cbranch_execz .LBB825_219
; %bb.209:
	s_andn2_b64 vcc, exec, s[14:15]
	s_mov_b64 s[42:43], 0
	s_cbranch_vccnz .LBB825_218
; %bb.210:
	v_mul_lo_u32 v14, v7, s26
	v_mul_lo_u32 v15, v6, s27
	v_mad_u64_u32 v[12:13], s[0:1], v6, s26, 0
	v_add3_u32 v13, v13, v15, v14
	v_mul_lo_u32 v14, v9, s26
	v_mul_lo_u32 v15, v8, s27
	v_mad_u64_u32 v[18:19], s[0:1], v8, s26, 0
	v_add3_u32 v19, v19, v15, v14
	v_lshlrev_b64 v[14:15], 3, v[12:13]
	v_mov_b32_e32 v12, s29
	v_add_co_u32_e32 v16, vcc, s28, v14
	v_addc_co_u32_e64 v17, s[0:1], v12, v15, vcc
	v_lshlrev_b64 v[12:13], 3, v[18:19]
	v_mov_b32_e32 v14, s29
	v_add_co_u32_e64 v18, s[0:1], s28, v12
	v_addc_co_u32_e64 v19, s[2:3], v14, v13, s[0:1]
	global_load_dwordx2 v[20:21], v[16:17], off
	global_load_dwordx2 v[28:29], v[18:19], off
	s_mov_b64 s[42:43], -1
	s_waitcnt vmcnt(0)
	v_cmp_eq_f64_e64 s[2:3], v[20:21], v[28:29]
	s_and_saveexec_b64 s[36:37], s[2:3]
	s_cbranch_execz .LBB825_217
; %bb.211:
	v_mov_b32_e32 v12, s29
	v_addc_co_u32_e64 v13, s[0:1], v13, v12, s[0:1]
	v_add_co_u32_e64 v12, s[0:1], 8, v18
	v_mov_b32_e32 v14, s29
	v_addc_co_u32_e64 v13, s[0:1], 0, v13, s[0:1]
	v_addc_co_u32_e32 v15, vcc, v15, v14, vcc
	v_add_co_u32_e32 v14, vcc, 8, v16
	s_add_u32 s0, s26, -1
	v_addc_co_u32_e32 v15, vcc, 0, v15, vcc
	s_addc_u32 s1, s27, -1
	s_mov_b64 s[2:3], 0
	s_mov_b64 s[44:45], 0
                                        ; implicit-def: $sgpr42_sgpr43
	s_branch .LBB825_214
.LBB825_212:                            ;   in Loop: Header=BB825_214 Depth=1
	global_load_dwordx2 v[16:17], v[14:15], off
	global_load_dwordx2 v[18:19], v[12:13], off
	v_add_co_u32_e32 v12, vcc, 8, v12
	v_addc_co_u32_e32 v13, vcc, 0, v13, vcc
	v_add_co_u32_e32 v14, vcc, 8, v14
	v_addc_co_u32_e32 v15, vcc, 0, v15, vcc
	s_add_u32 s44, s44, 1
	s_addc_u32 s45, s45, 0
	s_andn2_b64 s[42:43], s[42:43], exec
	s_waitcnt vmcnt(0)
	v_cmp_neq_f64_e32 vcc, v[16:17], v[18:19]
	s_and_b64 s[46:47], vcc, exec
	s_or_b64 s[42:43], s[42:43], s[46:47]
.LBB825_213:                            ;   in Loop: Header=BB825_214 Depth=1
	s_and_b64 s[46:47], exec, s[42:43]
	s_or_b64 s[2:3], s[46:47], s[2:3]
	v_pk_mov_b32 v[16:17], s[44:45], s[44:45] op_sel:[0,1]
	s_andn2_b64 exec, exec, s[2:3]
	s_cbranch_execz .LBB825_216
.LBB825_214:                            ; =>This Inner Loop Header: Depth=1
	s_or_b64 s[42:43], s[42:43], exec
	s_cmp_eq_u64 s[0:1], s[44:45]
	s_cbranch_scc0 .LBB825_212
; %bb.215:                              ;   in Loop: Header=BB825_214 Depth=1
                                        ; implicit-def: $vgpr12_vgpr13
                                        ; implicit-def: $vgpr14_vgpr15
	s_mov_b64 s[44:45], s[26:27]
	s_branch .LBB825_213
.LBB825_216:
	s_or_b64 exec, exec, s[2:3]
	v_cmp_gt_i64_e32 vcc, s[26:27], v[16:17]
	s_orn2_b64 s[42:43], vcc, exec
.LBB825_217:
	s_or_b64 exec, exec, s[36:37]
.LBB825_218:
	s_and_b64 s[36:37], s[42:43], exec
.LBB825_219:
	s_or_b64 exec, exec, s[40:41]
	v_cndmask_b32_e64 v13, 0, 1, s[18:19]
	v_cndmask_b32_e64 v14, 0, 1, s[36:37]
	v_cndmask_b32_e64 v12, 0, 1, s[38:39]
	v_lshlrev_b16_e32 v14, 8, v14
	v_lshlrev_b16_e32 v13, 8, v13
	v_or_b32_e32 v14, 1, v14
	v_or_b32_sdwa v12, v12, v13 dst_sel:WORD_1 dst_unused:UNUSED_PAD src0_sel:DWORD src1_sel:DWORD
	v_or_b32_sdwa v12, v14, v12 dst_sel:DWORD dst_unused:UNUSED_PAD src0_sel:WORD_0 src1_sel:DWORD
	v_cndmask_b32_e64 v13, 0, 1, s[8:9]
	v_cmp_ne_u32_e32 vcc, 0, v0
	s_waitcnt lgkmcnt(0)
	s_barrier
	s_waitcnt lgkmcnt(0)
                                        ; implicit-def: $sgpr18_sgpr19
                                        ; implicit-def: $vgpr16
	s_and_saveexec_b64 s[8:9], vcc
	s_cbranch_execz .LBB825_232
; %bb.220:
	v_cmp_gt_u32_e32 vcc, s7, v1
	s_mov_b32 s33, 0x3020104
	s_mov_b64 s[0:1], 0
	s_and_saveexec_b64 s[18:19], vcc
	s_cbranch_execz .LBB825_231
; %bb.221:
	s_andn2_b64 vcc, exec, s[14:15]
	s_mov_b64 s[36:37], 0
	s_cbranch_vccnz .LBB825_230
; %bb.222:
	v_add_u32_e32 v14, -8, v26
	ds_read_b64 v[14:15], v14
	v_mul_lo_u32 v16, v7, s26
	v_mad_u64_u32 v[20:21], s[0:1], v6, s26, 0
	s_mov_b64 s[36:37], -1
	s_waitcnt lgkmcnt(0)
	v_mul_lo_u32 v17, v15, s26
	v_mul_lo_u32 v18, v14, s27
	v_mad_u64_u32 v[14:15], s[0:1], v14, s26, 0
	v_add3_u32 v15, v15, v18, v17
	v_mul_lo_u32 v17, v6, s27
	v_add3_u32 v21, v21, v17, v16
	v_lshlrev_b64 v[16:17], 3, v[14:15]
	v_mov_b32_e32 v14, s29
	v_add_co_u32_e32 v18, vcc, s28, v16
	v_addc_co_u32_e64 v19, s[0:1], v14, v17, vcc
	v_lshlrev_b64 v[14:15], 3, v[20:21]
	v_mov_b32_e32 v16, s29
	v_add_co_u32_e64 v20, s[0:1], s28, v14
	v_addc_co_u32_e64 v21, s[2:3], v16, v15, s[0:1]
	global_load_dwordx2 v[26:27], v[18:19], off
	global_load_dwordx2 v[28:29], v[20:21], off
	s_waitcnt vmcnt(0)
	v_cmp_eq_f64_e64 s[2:3], v[26:27], v[28:29]
	s_and_saveexec_b64 s[14:15], s[2:3]
	s_cbranch_execz .LBB825_229
; %bb.223:
	v_mov_b32_e32 v14, s29
	v_addc_co_u32_e64 v15, s[0:1], v15, v14, s[0:1]
	v_add_co_u32_e64 v14, s[0:1], 8, v20
	v_mov_b32_e32 v16, s29
	v_addc_co_u32_e64 v15, s[0:1], 0, v15, s[0:1]
	v_addc_co_u32_e32 v17, vcc, v17, v16, vcc
	v_add_co_u32_e32 v16, vcc, 8, v18
	s_add_u32 s0, s26, -1
	v_addc_co_u32_e32 v17, vcc, 0, v17, vcc
	s_addc_u32 s1, s27, -1
	s_mov_b64 s[2:3], 0
	s_mov_b64 s[36:37], 0
                                        ; implicit-def: $sgpr28_sgpr29
	s_branch .LBB825_226
.LBB825_224:                            ;   in Loop: Header=BB825_226 Depth=1
	global_load_dwordx2 v[18:19], v[16:17], off
	global_load_dwordx2 v[20:21], v[14:15], off
	v_add_co_u32_e32 v14, vcc, 8, v14
	v_addc_co_u32_e32 v15, vcc, 0, v15, vcc
	v_add_co_u32_e32 v16, vcc, 8, v16
	v_addc_co_u32_e32 v17, vcc, 0, v17, vcc
	s_add_u32 s36, s36, 1
	s_addc_u32 s37, s37, 0
	s_andn2_b64 s[28:29], s[28:29], exec
	s_waitcnt vmcnt(0)
	v_cmp_neq_f64_e32 vcc, v[18:19], v[20:21]
	s_and_b64 s[38:39], vcc, exec
	s_or_b64 s[28:29], s[28:29], s[38:39]
.LBB825_225:                            ;   in Loop: Header=BB825_226 Depth=1
	s_and_b64 s[38:39], exec, s[28:29]
	s_or_b64 s[2:3], s[38:39], s[2:3]
	v_pk_mov_b32 v[18:19], s[36:37], s[36:37] op_sel:[0,1]
	s_andn2_b64 exec, exec, s[2:3]
	s_cbranch_execz .LBB825_228
.LBB825_226:                            ; =>This Inner Loop Header: Depth=1
	s_or_b64 s[28:29], s[28:29], exec
	s_cmp_eq_u64 s[0:1], s[36:37]
	s_cbranch_scc0 .LBB825_224
; %bb.227:                              ;   in Loop: Header=BB825_226 Depth=1
                                        ; implicit-def: $vgpr14_vgpr15
                                        ; implicit-def: $vgpr16_vgpr17
	s_mov_b64 s[36:37], s[26:27]
	s_branch .LBB825_225
.LBB825_228:
	s_or_b64 exec, exec, s[2:3]
	v_cmp_gt_i64_e32 vcc, s[26:27], v[18:19]
	s_orn2_b64 s[36:37], vcc, exec
.LBB825_229:
	s_or_b64 exec, exec, s[14:15]
.LBB825_230:
	s_and_b64 s[0:1], s[36:37], exec
.LBB825_231:
	s_or_b64 exec, exec, s[18:19]
	v_perm_b32 v16, v12, v12, s33
	s_and_b64 s[18:19], s[0:1], exec
	s_or_b64 s[12:13], s[12:13], exec
.LBB825_232:
	s_or_b64 exec, exec, s[8:9]
.LBB825_233:
	s_and_saveexec_b64 s[0:1], s[12:13]
	s_cbranch_execz .LBB825_235
; %bb.234:
	v_lshrrev_b32_e32 v14, 24, v16
	s_movk_i32 s2, 0xff
	v_lshlrev_b16_e32 v14, 8, v14
	v_and_b32_sdwa v15, v16, s2 dst_sel:DWORD dst_unused:UNUSED_PAD src0_sel:WORD_1 src1_sel:DWORD
	v_or_b32_sdwa v14, v15, v14 dst_sel:WORD_1 dst_unused:UNUSED_PAD src0_sel:DWORD src1_sel:DWORD
	v_mov_b32_e32 v15, 8
	v_cndmask_b32_e64 v12, 0, 1, s[18:19]
	v_lshrrev_b32_sdwa v15, v15, v16 dst_sel:BYTE_1 dst_unused:UNUSED_PAD src0_sel:DWORD src1_sel:DWORD
	v_or_b32_e32 v12, v12, v15
	s_mov_b32 s2, 0xffff
	v_or_b32_sdwa v12, v12, v14 dst_sel:DWORD dst_unused:UNUSED_PAD src0_sel:WORD_0 src1_sel:DWORD
	v_and_b32_sdwa v13, s2, v13 dst_sel:DWORD dst_unused:UNUSED_PAD src0_sel:DWORD src1_sel:BYTE_0
.LBB825_235:
	s_or_b64 exec, exec, s[0:1]
	s_andn2_b64 vcc, exec, s[10:11]
	s_cbranch_vccnz .LBB825_237
; %bb.236:
	v_cmp_gt_u32_e32 vcc, s7, v1
	v_cndmask_b32_e32 v1, 0, v12, vcc
	v_and_b32_e32 v1, 0xffff00ff, v1
	v_cmp_gt_u32_e64 s[0:1], s7, v24
	v_cndmask_b32_e64 v1, v1, v12, s[0:1]
	v_lshrrev_b32_e32 v14, 24, v1
	s_mov_b32 s2, 0x40c0100
	v_perm_b32 v1, v14, v1, s2
	v_cmp_gt_u32_e64 s[2:3], s7, v22
	v_cmp_gt_u32_e64 s[8:9], s7, v25
	v_cndmask_b32_e64 v1, v1, v12, s[2:3]
	s_or_b64 s[2:3], s[8:9], s[2:3]
	s_or_b64 s[0:1], s[2:3], s[0:1]
	s_or_b64 vcc, s[0:1], vcc
	v_and_b32_e32 v1, 0xffffff, v1
	v_cndmask_b32_e32 v14, 0, v13, vcc
	v_cndmask_b32_e64 v1, v1, v12, s[8:9]
	v_and_b32_e32 v14, 0xffffff00, v14
	v_cmp_gt_u32_e32 vcc, s7, v23
	v_cndmask_b32_e32 v1, v1, v12, vcc
	v_cndmask_b32_e32 v12, v14, v13, vcc
	s_mov_b32 s0, 0x3020104
	v_and_b32_e32 v13, 0xff, v12
	v_perm_b32 v12, v1, v1, s0
.LBB825_237:
	v_and_b32_e32 v1, 0xff, v12
	v_bfe_u32 v25, v12, 8, 8
	v_bfe_u32 v27, v12, 16, 8
	v_alignbit_b32 v14, v13, v12, 24
	v_and_b32_e32 v28, 0xff, v14
	v_and_b32_e32 v14, 0xff, v13
	v_add3_u32 v15, v25, v1, v27
	v_add3_u32 v31, v15, v28, v14
	v_mbcnt_lo_u32_b32 v14, -1, 0
	v_mbcnt_hi_u32_b32 v29, -1, v14
	v_and_b32_e32 v14, 15, v29
	v_cmp_eq_u32_e64 s[14:15], 0, v14
	v_cmp_lt_u32_e64 s[12:13], 1, v14
	v_cmp_lt_u32_e64 s[10:11], 3, v14
	v_cmp_lt_u32_e64 s[8:9], 7, v14
	v_and_b32_e32 v14, 16, v29
	v_cmp_eq_u32_e64 s[18:19], 0, v14
	v_or_b32_e32 v14, 63, v0
	v_cmp_lt_u32_e64 s[0:1], 31, v29
	v_lshrrev_b32_e32 v30, 6, v0
	v_cmp_eq_u32_e64 s[2:3], v14, v0
	s_and_b64 vcc, exec, s[16:17]
	s_waitcnt lgkmcnt(0)
	s_barrier
	s_cbranch_vccz .LBB825_268
; %bb.238:
	v_mov_b32_dpp v14, v31 row_shr:1 row_mask:0xf bank_mask:0xf
	v_cndmask_b32_e64 v14, v14, 0, s[14:15]
	v_add_u32_e32 v14, v14, v31
	s_nop 1
	v_mov_b32_dpp v15, v14 row_shr:2 row_mask:0xf bank_mask:0xf
	v_cndmask_b32_e64 v15, 0, v15, s[12:13]
	v_add_u32_e32 v14, v14, v15
	s_nop 1
	;; [unrolled: 4-line block ×4, first 2 shown]
	v_mov_b32_dpp v15, v14 row_bcast:15 row_mask:0xf bank_mask:0xf
	v_cndmask_b32_e64 v15, v15, 0, s[18:19]
	v_add_u32_e32 v14, v14, v15
	s_nop 1
	v_mov_b32_dpp v15, v14 row_bcast:31 row_mask:0xf bank_mask:0xf
	v_cndmask_b32_e64 v15, 0, v15, s[0:1]
	v_add_u32_e32 v14, v14, v15
	s_and_saveexec_b64 s[16:17], s[2:3]
	s_cbranch_execz .LBB825_240
; %bb.239:
	v_lshlrev_b32_e32 v15, 2, v30
	ds_write_b32 v15, v14
.LBB825_240:
	s_or_b64 exec, exec, s[16:17]
	v_cmp_gt_u32_e32 vcc, 4, v0
	s_waitcnt lgkmcnt(0)
	s_barrier
	s_and_saveexec_b64 s[16:17], vcc
	s_cbranch_execz .LBB825_242
; %bb.241:
	v_lshlrev_b32_e32 v15, 2, v0
	ds_read_b32 v16, v15
	v_and_b32_e32 v17, 3, v29
	v_cmp_ne_u32_e32 vcc, 0, v17
	s_waitcnt lgkmcnt(0)
	v_mov_b32_dpp v18, v16 row_shr:1 row_mask:0xf bank_mask:0xf
	v_cndmask_b32_e32 v18, 0, v18, vcc
	v_add_u32_e32 v16, v18, v16
	v_cmp_lt_u32_e32 vcc, 1, v17
	s_nop 0
	v_mov_b32_dpp v18, v16 row_shr:2 row_mask:0xf bank_mask:0xf
	v_cndmask_b32_e32 v17, 0, v18, vcc
	v_add_u32_e32 v16, v16, v17
	ds_write_b32 v15, v16
.LBB825_242:
	s_or_b64 exec, exec, s[16:17]
	v_cmp_gt_u32_e32 vcc, 64, v0
	v_cmp_lt_u32_e64 s[16:17], 63, v0
	s_waitcnt lgkmcnt(0)
	s_barrier
	s_waitcnt lgkmcnt(0)
                                        ; implicit-def: $vgpr24
	s_and_saveexec_b64 s[26:27], s[16:17]
	s_cbranch_execz .LBB825_244
; %bb.243:
	v_lshl_add_u32 v15, v30, 2, -4
	ds_read_b32 v24, v15
	s_waitcnt lgkmcnt(0)
	v_add_u32_e32 v14, v24, v14
.LBB825_244:
	s_or_b64 exec, exec, s[26:27]
	v_add_u32_e32 v15, -1, v29
	v_and_b32_e32 v16, 64, v29
	v_cmp_lt_i32_e64 s[16:17], v15, v16
	v_cndmask_b32_e64 v15, v15, v29, s[16:17]
	v_lshlrev_b32_e32 v15, 2, v15
	ds_bpermute_b32 v26, v15, v14
	v_cmp_eq_u32_e64 s[16:17], 0, v29
	s_and_saveexec_b64 s[26:27], vcc
	s_cbranch_execz .LBB825_267
; %bb.245:
	v_mov_b32_e32 v23, 0
	ds_read_b32 v14, v23 offset:12
	s_and_saveexec_b64 s[28:29], s[16:17]
	s_cbranch_execz .LBB825_247
; %bb.246:
	s_add_i32 s36, s6, 64
	s_mov_b32 s37, 0
	s_lshl_b64 s[36:37], s[36:37], 3
	s_add_u32 s36, s30, s36
	v_mov_b32_e32 v15, 1
	s_addc_u32 s37, s31, s37
	s_waitcnt lgkmcnt(0)
	global_store_dwordx2 v23, v[14:15], s[36:37]
.LBB825_247:
	s_or_b64 exec, exec, s[28:29]
	v_xad_u32 v16, v29, -1, s6
	v_add_u32_e32 v22, 64, v16
	v_lshlrev_b64 v[18:19], 3, v[22:23]
	v_mov_b32_e32 v15, s31
	v_add_co_u32_e32 v18, vcc, s30, v18
	v_addc_co_u32_e32 v19, vcc, v15, v19, vcc
	global_load_dwordx2 v[20:21], v[18:19], off glc
	s_waitcnt vmcnt(0)
	v_cmp_eq_u16_sdwa s[36:37], v21, v23 src0_sel:BYTE_0 src1_sel:DWORD
	s_and_saveexec_b64 s[28:29], s[36:37]
	s_cbranch_execz .LBB825_253
; %bb.248:
	s_mov_b32 s7, 1
	s_mov_b64 s[36:37], 0
	v_mov_b32_e32 v15, 0
.LBB825_249:                            ; =>This Loop Header: Depth=1
                                        ;     Child Loop BB825_250 Depth 2
	s_max_u32 s33, s7, 1
.LBB825_250:                            ;   Parent Loop BB825_249 Depth=1
                                        ; =>  This Inner Loop Header: Depth=2
	s_add_i32 s33, s33, -1
	s_cmp_eq_u32 s33, 0
	s_sleep 1
	s_cbranch_scc0 .LBB825_250
; %bb.251:                              ;   in Loop: Header=BB825_249 Depth=1
	global_load_dwordx2 v[20:21], v[18:19], off glc
	s_cmp_lt_u32 s7, 32
	s_cselect_b64 s[38:39], -1, 0
	s_cmp_lg_u64 s[38:39], 0
	s_addc_u32 s7, s7, 0
	s_waitcnt vmcnt(0)
	v_cmp_ne_u16_sdwa s[38:39], v21, v15 src0_sel:BYTE_0 src1_sel:DWORD
	s_or_b64 s[36:37], s[38:39], s[36:37]
	s_andn2_b64 exec, exec, s[36:37]
	s_cbranch_execnz .LBB825_249
; %bb.252:
	s_or_b64 exec, exec, s[36:37]
.LBB825_253:
	s_or_b64 exec, exec, s[28:29]
	v_and_b32_e32 v32, 63, v29
	v_mov_b32_e32 v15, 2
	v_cmp_ne_u32_e32 vcc, 63, v32
	v_cmp_eq_u16_sdwa s[28:29], v21, v15 src0_sel:BYTE_0 src1_sel:DWORD
	v_lshlrev_b64 v[18:19], v29, -1
	v_addc_co_u32_e32 v23, vcc, 0, v29, vcc
	v_and_b32_e32 v17, s29, v19
	v_lshlrev_b32_e32 v33, 2, v23
	v_or_b32_e32 v17, 0x80000000, v17
	ds_bpermute_b32 v23, v33, v20
	v_and_b32_e32 v22, s28, v18
	v_ffbl_b32_e32 v17, v17
	v_add_u32_e32 v17, 32, v17
	v_ffbl_b32_e32 v22, v22
	v_min_u32_e32 v17, v22, v17
	v_cmp_lt_u32_e32 vcc, v32, v17
	s_waitcnt lgkmcnt(0)
	v_cndmask_b32_e32 v22, 0, v23, vcc
	v_cmp_gt_u32_e32 vcc, 62, v32
	v_add_u32_e32 v20, v22, v20
	v_cndmask_b32_e64 v22, 0, 1, vcc
	v_lshlrev_b32_e32 v22, 1, v22
	v_add_lshl_u32 v34, v22, v29, 2
	ds_bpermute_b32 v22, v34, v20
	v_add_u32_e32 v35, 2, v32
	v_cmp_le_u32_e32 vcc, v35, v17
	v_add_u32_e32 v37, 4, v32
	v_add_u32_e32 v39, 8, v32
	s_waitcnt lgkmcnt(0)
	v_cndmask_b32_e32 v22, 0, v22, vcc
	v_cmp_gt_u32_e32 vcc, 60, v32
	v_add_u32_e32 v20, v20, v22
	v_cndmask_b32_e64 v22, 0, 1, vcc
	v_lshlrev_b32_e32 v22, 2, v22
	v_add_lshl_u32 v36, v22, v29, 2
	ds_bpermute_b32 v22, v36, v20
	v_cmp_le_u32_e32 vcc, v37, v17
	v_add_u32_e32 v42, 16, v32
	v_add_u32_e32 v44, 32, v32
	s_waitcnt lgkmcnt(0)
	v_cndmask_b32_e32 v22, 0, v22, vcc
	v_cmp_gt_u32_e32 vcc, 56, v32
	v_add_u32_e32 v20, v20, v22
	v_cndmask_b32_e64 v22, 0, 1, vcc
	v_lshlrev_b32_e32 v22, 3, v22
	v_add_lshl_u32 v38, v22, v29, 2
	ds_bpermute_b32 v22, v38, v20
	v_cmp_le_u32_e32 vcc, v39, v17
	s_waitcnt lgkmcnt(0)
	v_cndmask_b32_e32 v22, 0, v22, vcc
	v_cmp_gt_u32_e32 vcc, 48, v32
	v_add_u32_e32 v20, v20, v22
	v_cndmask_b32_e64 v22, 0, 1, vcc
	v_lshlrev_b32_e32 v22, 4, v22
	v_add_lshl_u32 v41, v22, v29, 2
	ds_bpermute_b32 v22, v41, v20
	v_cmp_le_u32_e32 vcc, v42, v17
	s_waitcnt lgkmcnt(0)
	v_cndmask_b32_e32 v22, 0, v22, vcc
	v_cmp_gt_u32_e32 vcc, 32, v32
	v_add_u32_e32 v20, v20, v22
	v_cndmask_b32_e64 v22, 0, 1, vcc
	v_lshlrev_b32_e32 v22, 5, v22
	v_add_lshl_u32 v43, v22, v29, 2
	ds_bpermute_b32 v22, v43, v20
	v_cmp_le_u32_e32 vcc, v44, v17
	s_waitcnt lgkmcnt(0)
	v_cndmask_b32_e32 v17, 0, v22, vcc
	v_add_u32_e32 v20, v20, v17
	v_mov_b32_e32 v17, 0
	s_branch .LBB825_255
.LBB825_254:                            ;   in Loop: Header=BB825_255 Depth=1
	s_or_b64 exec, exec, s[28:29]
	v_cmp_eq_u16_sdwa s[28:29], v21, v15 src0_sel:BYTE_0 src1_sel:DWORD
	v_and_b32_e32 v22, s29, v19
	v_or_b32_e32 v22, 0x80000000, v22
	ds_bpermute_b32 v45, v33, v20
	v_and_b32_e32 v23, s28, v18
	v_ffbl_b32_e32 v22, v22
	v_add_u32_e32 v22, 32, v22
	v_ffbl_b32_e32 v23, v23
	v_min_u32_e32 v22, v23, v22
	v_cmp_lt_u32_e32 vcc, v32, v22
	s_waitcnt lgkmcnt(0)
	v_cndmask_b32_e32 v23, 0, v45, vcc
	v_add_u32_e32 v20, v23, v20
	ds_bpermute_b32 v23, v34, v20
	v_cmp_le_u32_e32 vcc, v35, v22
	v_subrev_u32_e32 v16, 64, v16
	s_waitcnt lgkmcnt(0)
	v_cndmask_b32_e32 v23, 0, v23, vcc
	v_add_u32_e32 v20, v20, v23
	ds_bpermute_b32 v23, v36, v20
	v_cmp_le_u32_e32 vcc, v37, v22
	s_waitcnt lgkmcnt(0)
	v_cndmask_b32_e32 v23, 0, v23, vcc
	v_add_u32_e32 v20, v20, v23
	ds_bpermute_b32 v23, v38, v20
	v_cmp_le_u32_e32 vcc, v39, v22
	;; [unrolled: 5-line block ×4, first 2 shown]
	s_waitcnt lgkmcnt(0)
	v_cndmask_b32_e32 v22, 0, v23, vcc
	v_add3_u32 v20, v22, v40, v20
.LBB825_255:                            ; =>This Loop Header: Depth=1
                                        ;     Child Loop BB825_258 Depth 2
                                        ;       Child Loop BB825_259 Depth 3
	v_cmp_ne_u16_sdwa s[28:29], v21, v15 src0_sel:BYTE_0 src1_sel:DWORD
	v_cndmask_b32_e64 v21, 0, 1, s[28:29]
	;;#ASMSTART
	;;#ASMEND
	v_cmp_ne_u32_e32 vcc, 0, v21
	s_cmp_lg_u64 vcc, exec
	v_mov_b32_e32 v40, v20
	s_cbranch_scc1 .LBB825_262
; %bb.256:                              ;   in Loop: Header=BB825_255 Depth=1
	v_lshlrev_b64 v[20:21], 3, v[16:17]
	v_mov_b32_e32 v23, s31
	v_add_co_u32_e32 v22, vcc, s30, v20
	v_addc_co_u32_e32 v23, vcc, v23, v21, vcc
	global_load_dwordx2 v[20:21], v[22:23], off glc
	s_waitcnt vmcnt(0)
	v_cmp_eq_u16_sdwa s[36:37], v21, v17 src0_sel:BYTE_0 src1_sel:DWORD
	s_and_saveexec_b64 s[28:29], s[36:37]
	s_cbranch_execz .LBB825_254
; %bb.257:                              ;   in Loop: Header=BB825_255 Depth=1
	s_mov_b32 s7, 1
	s_mov_b64 s[36:37], 0
.LBB825_258:                            ;   Parent Loop BB825_255 Depth=1
                                        ; =>  This Loop Header: Depth=2
                                        ;       Child Loop BB825_259 Depth 3
	s_max_u32 s33, s7, 1
.LBB825_259:                            ;   Parent Loop BB825_255 Depth=1
                                        ;     Parent Loop BB825_258 Depth=2
                                        ; =>    This Inner Loop Header: Depth=3
	s_add_i32 s33, s33, -1
	s_cmp_eq_u32 s33, 0
	s_sleep 1
	s_cbranch_scc0 .LBB825_259
; %bb.260:                              ;   in Loop: Header=BB825_258 Depth=2
	global_load_dwordx2 v[20:21], v[22:23], off glc
	s_cmp_lt_u32 s7, 32
	s_cselect_b64 s[38:39], -1, 0
	s_cmp_lg_u64 s[38:39], 0
	s_addc_u32 s7, s7, 0
	s_waitcnt vmcnt(0)
	v_cmp_ne_u16_sdwa s[38:39], v21, v17 src0_sel:BYTE_0 src1_sel:DWORD
	s_or_b64 s[36:37], s[38:39], s[36:37]
	s_andn2_b64 exec, exec, s[36:37]
	s_cbranch_execnz .LBB825_258
; %bb.261:                              ;   in Loop: Header=BB825_255 Depth=1
	s_or_b64 exec, exec, s[36:37]
	s_branch .LBB825_254
.LBB825_262:                            ;   in Loop: Header=BB825_255 Depth=1
                                        ; implicit-def: $vgpr20
                                        ; implicit-def: $vgpr21
	s_cbranch_execz .LBB825_255
; %bb.263:
	s_and_saveexec_b64 s[28:29], s[16:17]
	s_cbranch_execz .LBB825_265
; %bb.264:
	s_add_i32 s6, s6, 64
	s_mov_b32 s7, 0
	s_lshl_b64 s[6:7], s[6:7], 3
	s_add_u32 s6, s30, s6
	v_add_u32_e32 v16, v40, v14
	v_mov_b32_e32 v17, 2
	s_addc_u32 s7, s31, s7
	v_mov_b32_e32 v15, 0
	global_store_dwordx2 v15, v[16:17], s[6:7]
	s_movk_i32 s6, 0x2800
	v_add_u32_e64 v15, s6, 0
	ds_write2_b32 v15, v14, v40 offset1:2
.LBB825_265:
	s_or_b64 exec, exec, s[28:29]
	v_cmp_eq_u32_e32 vcc, 0, v0
	s_and_b64 exec, exec, vcc
	s_cbranch_execz .LBB825_267
; %bb.266:
	v_mov_b32_e32 v14, 0
	ds_write_b32 v14, v40 offset:12
.LBB825_267:
	s_or_b64 exec, exec, s[26:27]
	v_mov_b32_e32 v14, 0
	s_waitcnt lgkmcnt(0)
	s_barrier
	ds_read_b32 v14, v14 offset:12
	v_cndmask_b32_e64 v15, v26, v24, s[16:17]
	v_cmp_ne_u32_e32 vcc, 0, v0
	v_cndmask_b32_e32 v15, 0, v15, vcc
	s_movk_i32 s6, 0x2800
	s_waitcnt lgkmcnt(0)
	v_add_u32_e32 v26, v14, v15
	v_add_u32_e64 v14, s6, 0
	s_barrier
	ds_read2_b32 v[14:15], v14 offset1:2
	v_add_u32_e32 v24, v26, v1
	v_add_u32_e32 v22, v24, v25
	;; [unrolled: 1-line block ×4, first 2 shown]
	s_load_dwordx2 s[4:5], s[4:5], 0x28
	v_lshrrev_b64 v[16:17], 24, v[12:13]
	s_branch .LBB825_278
.LBB825_268:
                                        ; implicit-def: $vgpr18
                                        ; implicit-def: $vgpr20
                                        ; implicit-def: $vgpr22
                                        ; implicit-def: $vgpr24
                                        ; implicit-def: $vgpr26
                                        ; implicit-def: $vgpr15
	s_load_dwordx2 s[4:5], s[4:5], 0x28
	v_lshrrev_b64 v[16:17], 24, v[12:13]
	s_cbranch_execz .LBB825_278
; %bb.269:
	s_waitcnt lgkmcnt(0)
	v_mov_b32_dpp v14, v31 row_shr:1 row_mask:0xf bank_mask:0xf
	v_cndmask_b32_e64 v14, v14, 0, s[14:15]
	v_add_u32_e32 v14, v14, v31
	s_nop 1
	v_mov_b32_dpp v15, v14 row_shr:2 row_mask:0xf bank_mask:0xf
	v_cndmask_b32_e64 v15, 0, v15, s[12:13]
	v_add_u32_e32 v14, v14, v15
	s_nop 1
	;; [unrolled: 4-line block ×4, first 2 shown]
	v_mov_b32_dpp v15, v14 row_bcast:15 row_mask:0xf bank_mask:0xf
	v_cndmask_b32_e64 v15, v15, 0, s[18:19]
	v_add_u32_e32 v14, v14, v15
	s_nop 1
	v_mov_b32_dpp v15, v14 row_bcast:31 row_mask:0xf bank_mask:0xf
	v_cndmask_b32_e64 v15, 0, v15, s[0:1]
	v_add_u32_e32 v14, v14, v15
	s_and_saveexec_b64 s[0:1], s[2:3]
	s_cbranch_execz .LBB825_271
; %bb.270:
	v_lshlrev_b32_e32 v15, 2, v30
	ds_write_b32 v15, v14
.LBB825_271:
	s_or_b64 exec, exec, s[0:1]
	v_cmp_gt_u32_e32 vcc, 4, v0
	s_waitcnt lgkmcnt(0)
	s_barrier
	s_and_saveexec_b64 s[0:1], vcc
	s_cbranch_execz .LBB825_273
; %bb.272:
	v_lshlrev_b32_e32 v15, 2, v0
	ds_read_b32 v17, v15
	v_and_b32_e32 v18, 3, v29
	v_cmp_ne_u32_e32 vcc, 0, v18
	s_waitcnt lgkmcnt(0)
	v_mov_b32_dpp v19, v17 row_shr:1 row_mask:0xf bank_mask:0xf
	v_cndmask_b32_e32 v19, 0, v19, vcc
	v_add_u32_e32 v17, v19, v17
	v_cmp_lt_u32_e32 vcc, 1, v18
	s_nop 0
	v_mov_b32_dpp v19, v17 row_shr:2 row_mask:0xf bank_mask:0xf
	v_cndmask_b32_e32 v18, 0, v19, vcc
	v_add_u32_e32 v17, v17, v18
	ds_write_b32 v15, v17
.LBB825_273:
	s_or_b64 exec, exec, s[0:1]
	v_cmp_lt_u32_e32 vcc, 63, v0
	v_mov_b32_e32 v15, 0
	v_mov_b32_e32 v17, 0
	s_waitcnt lgkmcnt(0)
	s_barrier
	s_and_saveexec_b64 s[0:1], vcc
	s_cbranch_execz .LBB825_275
; %bb.274:
	v_lshl_add_u32 v17, v30, 2, -4
	ds_read_b32 v17, v17
.LBB825_275:
	s_or_b64 exec, exec, s[0:1]
	v_add_u32_e32 v18, -1, v29
	v_and_b32_e32 v19, 64, v29
	v_cmp_lt_i32_e32 vcc, v18, v19
	v_cndmask_b32_e32 v18, v18, v29, vcc
	s_waitcnt lgkmcnt(0)
	v_add_u32_e32 v14, v17, v14
	v_lshlrev_b32_e32 v18, 2, v18
	ds_bpermute_b32 v18, v18, v14
	ds_read_b32 v14, v15 offset:12
	v_cmp_eq_u32_e32 vcc, 0, v0
	s_and_saveexec_b64 s[0:1], vcc
	s_cbranch_execz .LBB825_277
; %bb.276:
	v_mov_b32_e32 v19, 0
	v_mov_b32_e32 v15, 2
	s_waitcnt lgkmcnt(0)
	global_store_dwordx2 v19, v[14:15], s[30:31] offset:512
.LBB825_277:
	s_or_b64 exec, exec, s[0:1]
	v_cmp_eq_u32_e64 s[0:1], 0, v29
	s_waitcnt lgkmcnt(1)
	v_cndmask_b32_e64 v17, v18, v17, s[0:1]
	v_cndmask_b32_e64 v26, v17, 0, vcc
	v_add_u32_e32 v24, v26, v1
	v_add_u32_e32 v22, v24, v25
	;; [unrolled: 1-line block ×3, first 2 shown]
	v_mov_b32_e32 v15, 0
	v_add_u32_e32 v18, v20, v28
	s_waitcnt lgkmcnt(0)
	s_barrier
.LBB825_278:
	s_movk_i32 s0, 0x101
	s_waitcnt lgkmcnt(0)
	v_cmp_gt_u32_e32 vcc, s0, v14
	v_lshrrev_b32_e32 v1, 8, v12
	s_mov_b64 s[0:1], -1
	s_cbranch_vccnz .LBB825_282
; %bb.279:
	s_and_b64 vcc, exec, s[0:1]
	s_cbranch_vccnz .LBB825_298
.LBB825_280:
	v_cmp_eq_u32_e32 vcc, 0, v0
	s_and_b64 s[0:1], vcc, s[24:25]
	s_and_saveexec_b64 s[2:3], s[0:1]
	s_cbranch_execnz .LBB825_312
.LBB825_281:
	s_endpgm
.LBB825_282:
	v_add_u32_e32 v17, v15, v14
	v_cmp_lt_u32_e32 vcc, v26, v17
	s_or_b64 s[2:3], s[34:35], vcc
	s_and_saveexec_b64 s[0:1], s[2:3]
	s_cbranch_execz .LBB825_285
; %bb.283:
	v_and_b32_e32 v19, 1, v12
	v_cmp_eq_u32_e32 vcc, 1, v19
	s_and_b64 exec, exec, vcc
	s_cbranch_execz .LBB825_285
; %bb.284:
	s_lshl_b64 s[2:3], s[22:23], 3
	s_add_u32 s2, s4, s2
	v_mov_b32_e32 v27, 0
	s_addc_u32 s3, s5, s3
	v_lshlrev_b64 v[28:29], 3, v[26:27]
	v_mov_b32_e32 v19, s3
	v_add_co_u32_e32 v28, vcc, s2, v28
	v_addc_co_u32_e32 v29, vcc, v19, v29, vcc
	global_store_dwordx2 v[28:29], v[6:7], off
.LBB825_285:
	s_or_b64 exec, exec, s[0:1]
	v_cmp_lt_u32_e32 vcc, v24, v17
	s_or_b64 s[2:3], s[34:35], vcc
	s_and_saveexec_b64 s[0:1], s[2:3]
	s_cbranch_execz .LBB825_288
; %bb.286:
	v_and_b32_e32 v19, 1, v1
	v_cmp_eq_u32_e32 vcc, 1, v19
	s_and_b64 exec, exec, vcc
	s_cbranch_execz .LBB825_288
; %bb.287:
	s_lshl_b64 s[2:3], s[22:23], 3
	s_add_u32 s2, s4, s2
	v_mov_b32_e32 v25, 0
	s_addc_u32 s3, s5, s3
	v_lshlrev_b64 v[28:29], 3, v[24:25]
	v_mov_b32_e32 v19, s3
	v_add_co_u32_e32 v28, vcc, s2, v28
	v_addc_co_u32_e32 v29, vcc, v19, v29, vcc
	global_store_dwordx2 v[28:29], v[8:9], off
.LBB825_288:
	s_or_b64 exec, exec, s[0:1]
	v_cmp_lt_u32_e32 vcc, v22, v17
	s_or_b64 s[2:3], s[34:35], vcc
	s_and_saveexec_b64 s[0:1], s[2:3]
	s_cbranch_execz .LBB825_291
; %bb.289:
	v_mov_b32_e32 v19, 1
	v_and_b32_sdwa v19, v19, v12 dst_sel:DWORD dst_unused:UNUSED_PAD src0_sel:DWORD src1_sel:WORD_1
	v_cmp_eq_u32_e32 vcc, 1, v19
	s_and_b64 exec, exec, vcc
	s_cbranch_execz .LBB825_291
; %bb.290:
	s_lshl_b64 s[2:3], s[22:23], 3
	s_add_u32 s2, s4, s2
	v_mov_b32_e32 v23, 0
	s_addc_u32 s3, s5, s3
	v_lshlrev_b64 v[28:29], 3, v[22:23]
	v_mov_b32_e32 v19, s3
	v_add_co_u32_e32 v28, vcc, s2, v28
	v_addc_co_u32_e32 v29, vcc, v19, v29, vcc
	global_store_dwordx2 v[28:29], v[2:3], off
.LBB825_291:
	s_or_b64 exec, exec, s[0:1]
	v_cmp_lt_u32_e32 vcc, v20, v17
	s_or_b64 s[2:3], s[34:35], vcc
	s_and_saveexec_b64 s[0:1], s[2:3]
	s_cbranch_execz .LBB825_294
; %bb.292:
	v_and_b32_e32 v19, 1, v16
	v_cmp_eq_u32_e32 vcc, 1, v19
	s_and_b64 exec, exec, vcc
	s_cbranch_execz .LBB825_294
; %bb.293:
	s_lshl_b64 s[2:3], s[22:23], 3
	s_add_u32 s2, s4, s2
	v_mov_b32_e32 v21, 0
	s_addc_u32 s3, s5, s3
	v_lshlrev_b64 v[28:29], 3, v[20:21]
	v_mov_b32_e32 v19, s3
	v_add_co_u32_e32 v28, vcc, s2, v28
	v_addc_co_u32_e32 v29, vcc, v19, v29, vcc
	global_store_dwordx2 v[28:29], v[4:5], off
.LBB825_294:
	s_or_b64 exec, exec, s[0:1]
	v_cmp_lt_u32_e32 vcc, v18, v17
	s_or_b64 s[2:3], s[34:35], vcc
	s_and_saveexec_b64 s[0:1], s[2:3]
	s_cbranch_execz .LBB825_297
; %bb.295:
	v_and_b32_e32 v17, 1, v13
	v_cmp_eq_u32_e32 vcc, 1, v17
	s_and_b64 exec, exec, vcc
	s_cbranch_execz .LBB825_297
; %bb.296:
	s_lshl_b64 s[2:3], s[22:23], 3
	s_add_u32 s2, s4, s2
	v_mov_b32_e32 v19, 0
	s_addc_u32 s3, s5, s3
	v_lshlrev_b64 v[28:29], 3, v[18:19]
	v_mov_b32_e32 v17, s3
	v_add_co_u32_e32 v28, vcc, s2, v28
	v_addc_co_u32_e32 v29, vcc, v17, v29, vcc
	global_store_dwordx2 v[28:29], v[10:11], off
.LBB825_297:
	s_or_b64 exec, exec, s[0:1]
	s_branch .LBB825_280
.LBB825_298:
	v_and_b32_e32 v17, 1, v12
	v_cmp_eq_u32_e32 vcc, 1, v17
	s_and_saveexec_b64 s[0:1], vcc
	s_cbranch_execz .LBB825_300
; %bb.299:
	v_sub_u32_e32 v17, v26, v15
	v_lshlrev_b32_e32 v17, 3, v17
	ds_write_b64 v17, v[6:7]
.LBB825_300:
	s_or_b64 exec, exec, s[0:1]
	v_and_b32_e32 v1, 1, v1
	v_cmp_eq_u32_e32 vcc, 1, v1
	s_and_saveexec_b64 s[0:1], vcc
	s_cbranch_execz .LBB825_302
; %bb.301:
	v_sub_u32_e32 v1, v24, v15
	v_lshlrev_b32_e32 v1, 3, v1
	ds_write_b64 v1, v[8:9]
.LBB825_302:
	s_or_b64 exec, exec, s[0:1]
	v_mov_b32_e32 v1, 1
	v_and_b32_sdwa v1, v1, v12 dst_sel:DWORD dst_unused:UNUSED_PAD src0_sel:DWORD src1_sel:WORD_1
	v_cmp_eq_u32_e32 vcc, 1, v1
	s_and_saveexec_b64 s[0:1], vcc
	s_cbranch_execz .LBB825_304
; %bb.303:
	v_sub_u32_e32 v1, v22, v15
	v_lshlrev_b32_e32 v1, 3, v1
	ds_write_b64 v1, v[2:3]
.LBB825_304:
	s_or_b64 exec, exec, s[0:1]
	v_and_b32_e32 v1, 1, v16
	v_cmp_eq_u32_e32 vcc, 1, v1
	s_and_saveexec_b64 s[0:1], vcc
	s_cbranch_execz .LBB825_306
; %bb.305:
	v_sub_u32_e32 v1, v20, v15
	v_lshlrev_b32_e32 v1, 3, v1
	ds_write_b64 v1, v[4:5]
.LBB825_306:
	s_or_b64 exec, exec, s[0:1]
	v_and_b32_e32 v1, 1, v13
	v_cmp_eq_u32_e32 vcc, 1, v1
	s_and_saveexec_b64 s[0:1], vcc
	s_cbranch_execz .LBB825_308
; %bb.307:
	v_sub_u32_e32 v1, v18, v15
	v_lshlrev_b32_e32 v1, 3, v1
	ds_write_b64 v1, v[10:11]
.LBB825_308:
	s_or_b64 exec, exec, s[0:1]
	v_cmp_lt_u32_e32 vcc, v0, v14
	s_waitcnt lgkmcnt(0)
	s_barrier
	s_and_saveexec_b64 s[0:1], vcc
	s_cbranch_execz .LBB825_311
; %bb.309:
	v_mov_b32_e32 v3, 0
	v_mov_b32_e32 v2, v15
	v_lshlrev_b64 v[4:5], 3, v[2:3]
	v_mov_b32_e32 v1, s5
	v_add_co_u32_e32 v2, vcc, s4, v4
	v_addc_co_u32_e32 v4, vcc, v1, v5, vcc
	s_lshl_b64 s[2:3], s[22:23], 3
	v_mov_b32_e32 v5, s3
	v_add_co_u32_e32 v1, vcc, s2, v2
	v_addc_co_u32_e32 v4, vcc, v4, v5, vcc
	v_lshlrev_b32_e32 v5, 3, v0
	s_mov_b64 s[2:3], 0
	v_mov_b32_e32 v2, v0
.LBB825_310:                            ; =>This Inner Loop Header: Depth=1
	ds_read_b64 v[6:7], v5
	v_lshlrev_b64 v[8:9], 3, v[2:3]
	v_add_co_u32_e32 v8, vcc, v1, v8
	v_add_u32_e32 v2, 0x100, v2
	v_addc_co_u32_e32 v9, vcc, v4, v9, vcc
	v_cmp_ge_u32_e32 vcc, v2, v14
	v_add_u32_e32 v5, 0x800, v5
	s_or_b64 s[2:3], vcc, s[2:3]
	s_waitcnt lgkmcnt(0)
	global_store_dwordx2 v[8:9], v[6:7], off
	s_andn2_b64 exec, exec, s[2:3]
	s_cbranch_execnz .LBB825_310
.LBB825_311:
	s_or_b64 exec, exec, s[0:1]
	v_cmp_eq_u32_e32 vcc, 0, v0
	s_and_b64 s[0:1], vcc, s[24:25]
	s_and_saveexec_b64 s[2:3], s[0:1]
	s_cbranch_execz .LBB825_281
.LBB825_312:
	v_mov_b32_e32 v0, s23
	v_add_co_u32_e32 v1, vcc, s22, v14
	v_addc_co_u32_e32 v3, vcc, 0, v0, vcc
	v_add_co_u32_e32 v0, vcc, v1, v15
	v_mov_b32_e32 v2, 0
	v_addc_co_u32_e32 v1, vcc, 0, v3, vcc
	global_store_dwordx2 v2, v[0:1], s[20:21]
	s_endpgm
	.section	.rodata,"a",@progbits
	.p2align	6, 0x0
	.amdhsa_kernel _ZN7rocprim17ROCPRIM_400000_NS6detail17trampoline_kernelINS0_14default_configENS1_25partition_config_selectorILNS1_17partition_subalgoE8ElNS0_10empty_typeEbEEZZNS1_14partition_implILS5_8ELb0ES3_jPlPS6_PKS6_NS0_5tupleIJS9_S6_EEENSD_IJSA_SA_EEENS0_18inequality_wrapperIZN2at6native12_GLOBAL__N_124unique_dim_cuda_templateIdEESt5tupleIJNSH_6TensorESM_SM_EERKSM_lbbbEUlllE0_EEPmJS6_EEE10hipError_tPvRmT3_T4_T5_T6_T7_T9_mT8_P12ihipStream_tbDpT10_ENKUlT_T0_E_clISt17integral_constantIbLb1EES1B_IbLb0EEEEDaS17_S18_EUlS17_E_NS1_11comp_targetILNS1_3genE4ELNS1_11target_archE910ELNS1_3gpuE8ELNS1_3repE0EEENS1_30default_config_static_selectorELNS0_4arch9wavefront6targetE1EEEvT1_
		.amdhsa_group_segment_fixed_size 10252
		.amdhsa_private_segment_fixed_size 0
		.amdhsa_kernarg_size 120
		.amdhsa_user_sgpr_count 6
		.amdhsa_user_sgpr_private_segment_buffer 1
		.amdhsa_user_sgpr_dispatch_ptr 0
		.amdhsa_user_sgpr_queue_ptr 0
		.amdhsa_user_sgpr_kernarg_segment_ptr 1
		.amdhsa_user_sgpr_dispatch_id 0
		.amdhsa_user_sgpr_flat_scratch_init 0
		.amdhsa_user_sgpr_kernarg_preload_length 0
		.amdhsa_user_sgpr_kernarg_preload_offset 0
		.amdhsa_user_sgpr_private_segment_size 0
		.amdhsa_uses_dynamic_stack 0
		.amdhsa_system_sgpr_private_segment_wavefront_offset 0
		.amdhsa_system_sgpr_workgroup_id_x 1
		.amdhsa_system_sgpr_workgroup_id_y 0
		.amdhsa_system_sgpr_workgroup_id_z 0
		.amdhsa_system_sgpr_workgroup_info 0
		.amdhsa_system_vgpr_workitem_id 0
		.amdhsa_next_free_vgpr 46
		.amdhsa_next_free_sgpr 48
		.amdhsa_accum_offset 48
		.amdhsa_reserve_vcc 1
		.amdhsa_reserve_flat_scratch 0
		.amdhsa_float_round_mode_32 0
		.amdhsa_float_round_mode_16_64 0
		.amdhsa_float_denorm_mode_32 3
		.amdhsa_float_denorm_mode_16_64 3
		.amdhsa_dx10_clamp 1
		.amdhsa_ieee_mode 1
		.amdhsa_fp16_overflow 0
		.amdhsa_tg_split 0
		.amdhsa_exception_fp_ieee_invalid_op 0
		.amdhsa_exception_fp_denorm_src 0
		.amdhsa_exception_fp_ieee_div_zero 0
		.amdhsa_exception_fp_ieee_overflow 0
		.amdhsa_exception_fp_ieee_underflow 0
		.amdhsa_exception_fp_ieee_inexact 0
		.amdhsa_exception_int_div_zero 0
	.end_amdhsa_kernel
	.section	.text._ZN7rocprim17ROCPRIM_400000_NS6detail17trampoline_kernelINS0_14default_configENS1_25partition_config_selectorILNS1_17partition_subalgoE8ElNS0_10empty_typeEbEEZZNS1_14partition_implILS5_8ELb0ES3_jPlPS6_PKS6_NS0_5tupleIJS9_S6_EEENSD_IJSA_SA_EEENS0_18inequality_wrapperIZN2at6native12_GLOBAL__N_124unique_dim_cuda_templateIdEESt5tupleIJNSH_6TensorESM_SM_EERKSM_lbbbEUlllE0_EEPmJS6_EEE10hipError_tPvRmT3_T4_T5_T6_T7_T9_mT8_P12ihipStream_tbDpT10_ENKUlT_T0_E_clISt17integral_constantIbLb1EES1B_IbLb0EEEEDaS17_S18_EUlS17_E_NS1_11comp_targetILNS1_3genE4ELNS1_11target_archE910ELNS1_3gpuE8ELNS1_3repE0EEENS1_30default_config_static_selectorELNS0_4arch9wavefront6targetE1EEEvT1_,"axG",@progbits,_ZN7rocprim17ROCPRIM_400000_NS6detail17trampoline_kernelINS0_14default_configENS1_25partition_config_selectorILNS1_17partition_subalgoE8ElNS0_10empty_typeEbEEZZNS1_14partition_implILS5_8ELb0ES3_jPlPS6_PKS6_NS0_5tupleIJS9_S6_EEENSD_IJSA_SA_EEENS0_18inequality_wrapperIZN2at6native12_GLOBAL__N_124unique_dim_cuda_templateIdEESt5tupleIJNSH_6TensorESM_SM_EERKSM_lbbbEUlllE0_EEPmJS6_EEE10hipError_tPvRmT3_T4_T5_T6_T7_T9_mT8_P12ihipStream_tbDpT10_ENKUlT_T0_E_clISt17integral_constantIbLb1EES1B_IbLb0EEEEDaS17_S18_EUlS17_E_NS1_11comp_targetILNS1_3genE4ELNS1_11target_archE910ELNS1_3gpuE8ELNS1_3repE0EEENS1_30default_config_static_selectorELNS0_4arch9wavefront6targetE1EEEvT1_,comdat
.Lfunc_end825:
	.size	_ZN7rocprim17ROCPRIM_400000_NS6detail17trampoline_kernelINS0_14default_configENS1_25partition_config_selectorILNS1_17partition_subalgoE8ElNS0_10empty_typeEbEEZZNS1_14partition_implILS5_8ELb0ES3_jPlPS6_PKS6_NS0_5tupleIJS9_S6_EEENSD_IJSA_SA_EEENS0_18inequality_wrapperIZN2at6native12_GLOBAL__N_124unique_dim_cuda_templateIdEESt5tupleIJNSH_6TensorESM_SM_EERKSM_lbbbEUlllE0_EEPmJS6_EEE10hipError_tPvRmT3_T4_T5_T6_T7_T9_mT8_P12ihipStream_tbDpT10_ENKUlT_T0_E_clISt17integral_constantIbLb1EES1B_IbLb0EEEEDaS17_S18_EUlS17_E_NS1_11comp_targetILNS1_3genE4ELNS1_11target_archE910ELNS1_3gpuE8ELNS1_3repE0EEENS1_30default_config_static_selectorELNS0_4arch9wavefront6targetE1EEEvT1_, .Lfunc_end825-_ZN7rocprim17ROCPRIM_400000_NS6detail17trampoline_kernelINS0_14default_configENS1_25partition_config_selectorILNS1_17partition_subalgoE8ElNS0_10empty_typeEbEEZZNS1_14partition_implILS5_8ELb0ES3_jPlPS6_PKS6_NS0_5tupleIJS9_S6_EEENSD_IJSA_SA_EEENS0_18inequality_wrapperIZN2at6native12_GLOBAL__N_124unique_dim_cuda_templateIdEESt5tupleIJNSH_6TensorESM_SM_EERKSM_lbbbEUlllE0_EEPmJS6_EEE10hipError_tPvRmT3_T4_T5_T6_T7_T9_mT8_P12ihipStream_tbDpT10_ENKUlT_T0_E_clISt17integral_constantIbLb1EES1B_IbLb0EEEEDaS17_S18_EUlS17_E_NS1_11comp_targetILNS1_3genE4ELNS1_11target_archE910ELNS1_3gpuE8ELNS1_3repE0EEENS1_30default_config_static_selectorELNS0_4arch9wavefront6targetE1EEEvT1_
                                        ; -- End function
	.section	.AMDGPU.csdata,"",@progbits
; Kernel info:
; codeLenInByte = 11456
; NumSgprs: 52
; NumVgprs: 46
; NumAgprs: 0
; TotalNumVgprs: 46
; ScratchSize: 0
; MemoryBound: 1
; FloatMode: 240
; IeeeMode: 1
; LDSByteSize: 10252 bytes/workgroup (compile time only)
; SGPRBlocks: 6
; VGPRBlocks: 5
; NumSGPRsForWavesPerEU: 52
; NumVGPRsForWavesPerEU: 46
; AccumOffset: 48
; Occupancy: 6
; WaveLimiterHint : 1
; COMPUTE_PGM_RSRC2:SCRATCH_EN: 0
; COMPUTE_PGM_RSRC2:USER_SGPR: 6
; COMPUTE_PGM_RSRC2:TRAP_HANDLER: 0
; COMPUTE_PGM_RSRC2:TGID_X_EN: 1
; COMPUTE_PGM_RSRC2:TGID_Y_EN: 0
; COMPUTE_PGM_RSRC2:TGID_Z_EN: 0
; COMPUTE_PGM_RSRC2:TIDIG_COMP_CNT: 0
; COMPUTE_PGM_RSRC3_GFX90A:ACCUM_OFFSET: 11
; COMPUTE_PGM_RSRC3_GFX90A:TG_SPLIT: 0
	.section	.text._ZN7rocprim17ROCPRIM_400000_NS6detail17trampoline_kernelINS0_14default_configENS1_25partition_config_selectorILNS1_17partition_subalgoE8ElNS0_10empty_typeEbEEZZNS1_14partition_implILS5_8ELb0ES3_jPlPS6_PKS6_NS0_5tupleIJS9_S6_EEENSD_IJSA_SA_EEENS0_18inequality_wrapperIZN2at6native12_GLOBAL__N_124unique_dim_cuda_templateIdEESt5tupleIJNSH_6TensorESM_SM_EERKSM_lbbbEUlllE0_EEPmJS6_EEE10hipError_tPvRmT3_T4_T5_T6_T7_T9_mT8_P12ihipStream_tbDpT10_ENKUlT_T0_E_clISt17integral_constantIbLb1EES1B_IbLb0EEEEDaS17_S18_EUlS17_E_NS1_11comp_targetILNS1_3genE3ELNS1_11target_archE908ELNS1_3gpuE7ELNS1_3repE0EEENS1_30default_config_static_selectorELNS0_4arch9wavefront6targetE1EEEvT1_,"axG",@progbits,_ZN7rocprim17ROCPRIM_400000_NS6detail17trampoline_kernelINS0_14default_configENS1_25partition_config_selectorILNS1_17partition_subalgoE8ElNS0_10empty_typeEbEEZZNS1_14partition_implILS5_8ELb0ES3_jPlPS6_PKS6_NS0_5tupleIJS9_S6_EEENSD_IJSA_SA_EEENS0_18inequality_wrapperIZN2at6native12_GLOBAL__N_124unique_dim_cuda_templateIdEESt5tupleIJNSH_6TensorESM_SM_EERKSM_lbbbEUlllE0_EEPmJS6_EEE10hipError_tPvRmT3_T4_T5_T6_T7_T9_mT8_P12ihipStream_tbDpT10_ENKUlT_T0_E_clISt17integral_constantIbLb1EES1B_IbLb0EEEEDaS17_S18_EUlS17_E_NS1_11comp_targetILNS1_3genE3ELNS1_11target_archE908ELNS1_3gpuE7ELNS1_3repE0EEENS1_30default_config_static_selectorELNS0_4arch9wavefront6targetE1EEEvT1_,comdat
	.globl	_ZN7rocprim17ROCPRIM_400000_NS6detail17trampoline_kernelINS0_14default_configENS1_25partition_config_selectorILNS1_17partition_subalgoE8ElNS0_10empty_typeEbEEZZNS1_14partition_implILS5_8ELb0ES3_jPlPS6_PKS6_NS0_5tupleIJS9_S6_EEENSD_IJSA_SA_EEENS0_18inequality_wrapperIZN2at6native12_GLOBAL__N_124unique_dim_cuda_templateIdEESt5tupleIJNSH_6TensorESM_SM_EERKSM_lbbbEUlllE0_EEPmJS6_EEE10hipError_tPvRmT3_T4_T5_T6_T7_T9_mT8_P12ihipStream_tbDpT10_ENKUlT_T0_E_clISt17integral_constantIbLb1EES1B_IbLb0EEEEDaS17_S18_EUlS17_E_NS1_11comp_targetILNS1_3genE3ELNS1_11target_archE908ELNS1_3gpuE7ELNS1_3repE0EEENS1_30default_config_static_selectorELNS0_4arch9wavefront6targetE1EEEvT1_ ; -- Begin function _ZN7rocprim17ROCPRIM_400000_NS6detail17trampoline_kernelINS0_14default_configENS1_25partition_config_selectorILNS1_17partition_subalgoE8ElNS0_10empty_typeEbEEZZNS1_14partition_implILS5_8ELb0ES3_jPlPS6_PKS6_NS0_5tupleIJS9_S6_EEENSD_IJSA_SA_EEENS0_18inequality_wrapperIZN2at6native12_GLOBAL__N_124unique_dim_cuda_templateIdEESt5tupleIJNSH_6TensorESM_SM_EERKSM_lbbbEUlllE0_EEPmJS6_EEE10hipError_tPvRmT3_T4_T5_T6_T7_T9_mT8_P12ihipStream_tbDpT10_ENKUlT_T0_E_clISt17integral_constantIbLb1EES1B_IbLb0EEEEDaS17_S18_EUlS17_E_NS1_11comp_targetILNS1_3genE3ELNS1_11target_archE908ELNS1_3gpuE7ELNS1_3repE0EEENS1_30default_config_static_selectorELNS0_4arch9wavefront6targetE1EEEvT1_
	.p2align	8
	.type	_ZN7rocprim17ROCPRIM_400000_NS6detail17trampoline_kernelINS0_14default_configENS1_25partition_config_selectorILNS1_17partition_subalgoE8ElNS0_10empty_typeEbEEZZNS1_14partition_implILS5_8ELb0ES3_jPlPS6_PKS6_NS0_5tupleIJS9_S6_EEENSD_IJSA_SA_EEENS0_18inequality_wrapperIZN2at6native12_GLOBAL__N_124unique_dim_cuda_templateIdEESt5tupleIJNSH_6TensorESM_SM_EERKSM_lbbbEUlllE0_EEPmJS6_EEE10hipError_tPvRmT3_T4_T5_T6_T7_T9_mT8_P12ihipStream_tbDpT10_ENKUlT_T0_E_clISt17integral_constantIbLb1EES1B_IbLb0EEEEDaS17_S18_EUlS17_E_NS1_11comp_targetILNS1_3genE3ELNS1_11target_archE908ELNS1_3gpuE7ELNS1_3repE0EEENS1_30default_config_static_selectorELNS0_4arch9wavefront6targetE1EEEvT1_,@function
_ZN7rocprim17ROCPRIM_400000_NS6detail17trampoline_kernelINS0_14default_configENS1_25partition_config_selectorILNS1_17partition_subalgoE8ElNS0_10empty_typeEbEEZZNS1_14partition_implILS5_8ELb0ES3_jPlPS6_PKS6_NS0_5tupleIJS9_S6_EEENSD_IJSA_SA_EEENS0_18inequality_wrapperIZN2at6native12_GLOBAL__N_124unique_dim_cuda_templateIdEESt5tupleIJNSH_6TensorESM_SM_EERKSM_lbbbEUlllE0_EEPmJS6_EEE10hipError_tPvRmT3_T4_T5_T6_T7_T9_mT8_P12ihipStream_tbDpT10_ENKUlT_T0_E_clISt17integral_constantIbLb1EES1B_IbLb0EEEEDaS17_S18_EUlS17_E_NS1_11comp_targetILNS1_3genE3ELNS1_11target_archE908ELNS1_3gpuE7ELNS1_3repE0EEENS1_30default_config_static_selectorELNS0_4arch9wavefront6targetE1EEEvT1_: ; @_ZN7rocprim17ROCPRIM_400000_NS6detail17trampoline_kernelINS0_14default_configENS1_25partition_config_selectorILNS1_17partition_subalgoE8ElNS0_10empty_typeEbEEZZNS1_14partition_implILS5_8ELb0ES3_jPlPS6_PKS6_NS0_5tupleIJS9_S6_EEENSD_IJSA_SA_EEENS0_18inequality_wrapperIZN2at6native12_GLOBAL__N_124unique_dim_cuda_templateIdEESt5tupleIJNSH_6TensorESM_SM_EERKSM_lbbbEUlllE0_EEPmJS6_EEE10hipError_tPvRmT3_T4_T5_T6_T7_T9_mT8_P12ihipStream_tbDpT10_ENKUlT_T0_E_clISt17integral_constantIbLb1EES1B_IbLb0EEEEDaS17_S18_EUlS17_E_NS1_11comp_targetILNS1_3genE3ELNS1_11target_archE908ELNS1_3gpuE7ELNS1_3repE0EEENS1_30default_config_static_selectorELNS0_4arch9wavefront6targetE1EEEvT1_
; %bb.0:
	.section	.rodata,"a",@progbits
	.p2align	6, 0x0
	.amdhsa_kernel _ZN7rocprim17ROCPRIM_400000_NS6detail17trampoline_kernelINS0_14default_configENS1_25partition_config_selectorILNS1_17partition_subalgoE8ElNS0_10empty_typeEbEEZZNS1_14partition_implILS5_8ELb0ES3_jPlPS6_PKS6_NS0_5tupleIJS9_S6_EEENSD_IJSA_SA_EEENS0_18inequality_wrapperIZN2at6native12_GLOBAL__N_124unique_dim_cuda_templateIdEESt5tupleIJNSH_6TensorESM_SM_EERKSM_lbbbEUlllE0_EEPmJS6_EEE10hipError_tPvRmT3_T4_T5_T6_T7_T9_mT8_P12ihipStream_tbDpT10_ENKUlT_T0_E_clISt17integral_constantIbLb1EES1B_IbLb0EEEEDaS17_S18_EUlS17_E_NS1_11comp_targetILNS1_3genE3ELNS1_11target_archE908ELNS1_3gpuE7ELNS1_3repE0EEENS1_30default_config_static_selectorELNS0_4arch9wavefront6targetE1EEEvT1_
		.amdhsa_group_segment_fixed_size 0
		.amdhsa_private_segment_fixed_size 0
		.amdhsa_kernarg_size 120
		.amdhsa_user_sgpr_count 6
		.amdhsa_user_sgpr_private_segment_buffer 1
		.amdhsa_user_sgpr_dispatch_ptr 0
		.amdhsa_user_sgpr_queue_ptr 0
		.amdhsa_user_sgpr_kernarg_segment_ptr 1
		.amdhsa_user_sgpr_dispatch_id 0
		.amdhsa_user_sgpr_flat_scratch_init 0
		.amdhsa_user_sgpr_kernarg_preload_length 0
		.amdhsa_user_sgpr_kernarg_preload_offset 0
		.amdhsa_user_sgpr_private_segment_size 0
		.amdhsa_uses_dynamic_stack 0
		.amdhsa_system_sgpr_private_segment_wavefront_offset 0
		.amdhsa_system_sgpr_workgroup_id_x 1
		.amdhsa_system_sgpr_workgroup_id_y 0
		.amdhsa_system_sgpr_workgroup_id_z 0
		.amdhsa_system_sgpr_workgroup_info 0
		.amdhsa_system_vgpr_workitem_id 0
		.amdhsa_next_free_vgpr 1
		.amdhsa_next_free_sgpr 0
		.amdhsa_accum_offset 4
		.amdhsa_reserve_vcc 0
		.amdhsa_reserve_flat_scratch 0
		.amdhsa_float_round_mode_32 0
		.amdhsa_float_round_mode_16_64 0
		.amdhsa_float_denorm_mode_32 3
		.amdhsa_float_denorm_mode_16_64 3
		.amdhsa_dx10_clamp 1
		.amdhsa_ieee_mode 1
		.amdhsa_fp16_overflow 0
		.amdhsa_tg_split 0
		.amdhsa_exception_fp_ieee_invalid_op 0
		.amdhsa_exception_fp_denorm_src 0
		.amdhsa_exception_fp_ieee_div_zero 0
		.amdhsa_exception_fp_ieee_overflow 0
		.amdhsa_exception_fp_ieee_underflow 0
		.amdhsa_exception_fp_ieee_inexact 0
		.amdhsa_exception_int_div_zero 0
	.end_amdhsa_kernel
	.section	.text._ZN7rocprim17ROCPRIM_400000_NS6detail17trampoline_kernelINS0_14default_configENS1_25partition_config_selectorILNS1_17partition_subalgoE8ElNS0_10empty_typeEbEEZZNS1_14partition_implILS5_8ELb0ES3_jPlPS6_PKS6_NS0_5tupleIJS9_S6_EEENSD_IJSA_SA_EEENS0_18inequality_wrapperIZN2at6native12_GLOBAL__N_124unique_dim_cuda_templateIdEESt5tupleIJNSH_6TensorESM_SM_EERKSM_lbbbEUlllE0_EEPmJS6_EEE10hipError_tPvRmT3_T4_T5_T6_T7_T9_mT8_P12ihipStream_tbDpT10_ENKUlT_T0_E_clISt17integral_constantIbLb1EES1B_IbLb0EEEEDaS17_S18_EUlS17_E_NS1_11comp_targetILNS1_3genE3ELNS1_11target_archE908ELNS1_3gpuE7ELNS1_3repE0EEENS1_30default_config_static_selectorELNS0_4arch9wavefront6targetE1EEEvT1_,"axG",@progbits,_ZN7rocprim17ROCPRIM_400000_NS6detail17trampoline_kernelINS0_14default_configENS1_25partition_config_selectorILNS1_17partition_subalgoE8ElNS0_10empty_typeEbEEZZNS1_14partition_implILS5_8ELb0ES3_jPlPS6_PKS6_NS0_5tupleIJS9_S6_EEENSD_IJSA_SA_EEENS0_18inequality_wrapperIZN2at6native12_GLOBAL__N_124unique_dim_cuda_templateIdEESt5tupleIJNSH_6TensorESM_SM_EERKSM_lbbbEUlllE0_EEPmJS6_EEE10hipError_tPvRmT3_T4_T5_T6_T7_T9_mT8_P12ihipStream_tbDpT10_ENKUlT_T0_E_clISt17integral_constantIbLb1EES1B_IbLb0EEEEDaS17_S18_EUlS17_E_NS1_11comp_targetILNS1_3genE3ELNS1_11target_archE908ELNS1_3gpuE7ELNS1_3repE0EEENS1_30default_config_static_selectorELNS0_4arch9wavefront6targetE1EEEvT1_,comdat
.Lfunc_end826:
	.size	_ZN7rocprim17ROCPRIM_400000_NS6detail17trampoline_kernelINS0_14default_configENS1_25partition_config_selectorILNS1_17partition_subalgoE8ElNS0_10empty_typeEbEEZZNS1_14partition_implILS5_8ELb0ES3_jPlPS6_PKS6_NS0_5tupleIJS9_S6_EEENSD_IJSA_SA_EEENS0_18inequality_wrapperIZN2at6native12_GLOBAL__N_124unique_dim_cuda_templateIdEESt5tupleIJNSH_6TensorESM_SM_EERKSM_lbbbEUlllE0_EEPmJS6_EEE10hipError_tPvRmT3_T4_T5_T6_T7_T9_mT8_P12ihipStream_tbDpT10_ENKUlT_T0_E_clISt17integral_constantIbLb1EES1B_IbLb0EEEEDaS17_S18_EUlS17_E_NS1_11comp_targetILNS1_3genE3ELNS1_11target_archE908ELNS1_3gpuE7ELNS1_3repE0EEENS1_30default_config_static_selectorELNS0_4arch9wavefront6targetE1EEEvT1_, .Lfunc_end826-_ZN7rocprim17ROCPRIM_400000_NS6detail17trampoline_kernelINS0_14default_configENS1_25partition_config_selectorILNS1_17partition_subalgoE8ElNS0_10empty_typeEbEEZZNS1_14partition_implILS5_8ELb0ES3_jPlPS6_PKS6_NS0_5tupleIJS9_S6_EEENSD_IJSA_SA_EEENS0_18inequality_wrapperIZN2at6native12_GLOBAL__N_124unique_dim_cuda_templateIdEESt5tupleIJNSH_6TensorESM_SM_EERKSM_lbbbEUlllE0_EEPmJS6_EEE10hipError_tPvRmT3_T4_T5_T6_T7_T9_mT8_P12ihipStream_tbDpT10_ENKUlT_T0_E_clISt17integral_constantIbLb1EES1B_IbLb0EEEEDaS17_S18_EUlS17_E_NS1_11comp_targetILNS1_3genE3ELNS1_11target_archE908ELNS1_3gpuE7ELNS1_3repE0EEENS1_30default_config_static_selectorELNS0_4arch9wavefront6targetE1EEEvT1_
                                        ; -- End function
	.section	.AMDGPU.csdata,"",@progbits
; Kernel info:
; codeLenInByte = 0
; NumSgprs: 4
; NumVgprs: 0
; NumAgprs: 0
; TotalNumVgprs: 0
; ScratchSize: 0
; MemoryBound: 0
; FloatMode: 240
; IeeeMode: 1
; LDSByteSize: 0 bytes/workgroup (compile time only)
; SGPRBlocks: 0
; VGPRBlocks: 0
; NumSGPRsForWavesPerEU: 4
; NumVGPRsForWavesPerEU: 1
; AccumOffset: 4
; Occupancy: 8
; WaveLimiterHint : 0
; COMPUTE_PGM_RSRC2:SCRATCH_EN: 0
; COMPUTE_PGM_RSRC2:USER_SGPR: 6
; COMPUTE_PGM_RSRC2:TRAP_HANDLER: 0
; COMPUTE_PGM_RSRC2:TGID_X_EN: 1
; COMPUTE_PGM_RSRC2:TGID_Y_EN: 0
; COMPUTE_PGM_RSRC2:TGID_Z_EN: 0
; COMPUTE_PGM_RSRC2:TIDIG_COMP_CNT: 0
; COMPUTE_PGM_RSRC3_GFX90A:ACCUM_OFFSET: 0
; COMPUTE_PGM_RSRC3_GFX90A:TG_SPLIT: 0
	.section	.text._ZN7rocprim17ROCPRIM_400000_NS6detail17trampoline_kernelINS0_14default_configENS1_25partition_config_selectorILNS1_17partition_subalgoE8ElNS0_10empty_typeEbEEZZNS1_14partition_implILS5_8ELb0ES3_jPlPS6_PKS6_NS0_5tupleIJS9_S6_EEENSD_IJSA_SA_EEENS0_18inequality_wrapperIZN2at6native12_GLOBAL__N_124unique_dim_cuda_templateIdEESt5tupleIJNSH_6TensorESM_SM_EERKSM_lbbbEUlllE0_EEPmJS6_EEE10hipError_tPvRmT3_T4_T5_T6_T7_T9_mT8_P12ihipStream_tbDpT10_ENKUlT_T0_E_clISt17integral_constantIbLb1EES1B_IbLb0EEEEDaS17_S18_EUlS17_E_NS1_11comp_targetILNS1_3genE2ELNS1_11target_archE906ELNS1_3gpuE6ELNS1_3repE0EEENS1_30default_config_static_selectorELNS0_4arch9wavefront6targetE1EEEvT1_,"axG",@progbits,_ZN7rocprim17ROCPRIM_400000_NS6detail17trampoline_kernelINS0_14default_configENS1_25partition_config_selectorILNS1_17partition_subalgoE8ElNS0_10empty_typeEbEEZZNS1_14partition_implILS5_8ELb0ES3_jPlPS6_PKS6_NS0_5tupleIJS9_S6_EEENSD_IJSA_SA_EEENS0_18inequality_wrapperIZN2at6native12_GLOBAL__N_124unique_dim_cuda_templateIdEESt5tupleIJNSH_6TensorESM_SM_EERKSM_lbbbEUlllE0_EEPmJS6_EEE10hipError_tPvRmT3_T4_T5_T6_T7_T9_mT8_P12ihipStream_tbDpT10_ENKUlT_T0_E_clISt17integral_constantIbLb1EES1B_IbLb0EEEEDaS17_S18_EUlS17_E_NS1_11comp_targetILNS1_3genE2ELNS1_11target_archE906ELNS1_3gpuE6ELNS1_3repE0EEENS1_30default_config_static_selectorELNS0_4arch9wavefront6targetE1EEEvT1_,comdat
	.globl	_ZN7rocprim17ROCPRIM_400000_NS6detail17trampoline_kernelINS0_14default_configENS1_25partition_config_selectorILNS1_17partition_subalgoE8ElNS0_10empty_typeEbEEZZNS1_14partition_implILS5_8ELb0ES3_jPlPS6_PKS6_NS0_5tupleIJS9_S6_EEENSD_IJSA_SA_EEENS0_18inequality_wrapperIZN2at6native12_GLOBAL__N_124unique_dim_cuda_templateIdEESt5tupleIJNSH_6TensorESM_SM_EERKSM_lbbbEUlllE0_EEPmJS6_EEE10hipError_tPvRmT3_T4_T5_T6_T7_T9_mT8_P12ihipStream_tbDpT10_ENKUlT_T0_E_clISt17integral_constantIbLb1EES1B_IbLb0EEEEDaS17_S18_EUlS17_E_NS1_11comp_targetILNS1_3genE2ELNS1_11target_archE906ELNS1_3gpuE6ELNS1_3repE0EEENS1_30default_config_static_selectorELNS0_4arch9wavefront6targetE1EEEvT1_ ; -- Begin function _ZN7rocprim17ROCPRIM_400000_NS6detail17trampoline_kernelINS0_14default_configENS1_25partition_config_selectorILNS1_17partition_subalgoE8ElNS0_10empty_typeEbEEZZNS1_14partition_implILS5_8ELb0ES3_jPlPS6_PKS6_NS0_5tupleIJS9_S6_EEENSD_IJSA_SA_EEENS0_18inequality_wrapperIZN2at6native12_GLOBAL__N_124unique_dim_cuda_templateIdEESt5tupleIJNSH_6TensorESM_SM_EERKSM_lbbbEUlllE0_EEPmJS6_EEE10hipError_tPvRmT3_T4_T5_T6_T7_T9_mT8_P12ihipStream_tbDpT10_ENKUlT_T0_E_clISt17integral_constantIbLb1EES1B_IbLb0EEEEDaS17_S18_EUlS17_E_NS1_11comp_targetILNS1_3genE2ELNS1_11target_archE906ELNS1_3gpuE6ELNS1_3repE0EEENS1_30default_config_static_selectorELNS0_4arch9wavefront6targetE1EEEvT1_
	.p2align	8
	.type	_ZN7rocprim17ROCPRIM_400000_NS6detail17trampoline_kernelINS0_14default_configENS1_25partition_config_selectorILNS1_17partition_subalgoE8ElNS0_10empty_typeEbEEZZNS1_14partition_implILS5_8ELb0ES3_jPlPS6_PKS6_NS0_5tupleIJS9_S6_EEENSD_IJSA_SA_EEENS0_18inequality_wrapperIZN2at6native12_GLOBAL__N_124unique_dim_cuda_templateIdEESt5tupleIJNSH_6TensorESM_SM_EERKSM_lbbbEUlllE0_EEPmJS6_EEE10hipError_tPvRmT3_T4_T5_T6_T7_T9_mT8_P12ihipStream_tbDpT10_ENKUlT_T0_E_clISt17integral_constantIbLb1EES1B_IbLb0EEEEDaS17_S18_EUlS17_E_NS1_11comp_targetILNS1_3genE2ELNS1_11target_archE906ELNS1_3gpuE6ELNS1_3repE0EEENS1_30default_config_static_selectorELNS0_4arch9wavefront6targetE1EEEvT1_,@function
_ZN7rocprim17ROCPRIM_400000_NS6detail17trampoline_kernelINS0_14default_configENS1_25partition_config_selectorILNS1_17partition_subalgoE8ElNS0_10empty_typeEbEEZZNS1_14partition_implILS5_8ELb0ES3_jPlPS6_PKS6_NS0_5tupleIJS9_S6_EEENSD_IJSA_SA_EEENS0_18inequality_wrapperIZN2at6native12_GLOBAL__N_124unique_dim_cuda_templateIdEESt5tupleIJNSH_6TensorESM_SM_EERKSM_lbbbEUlllE0_EEPmJS6_EEE10hipError_tPvRmT3_T4_T5_T6_T7_T9_mT8_P12ihipStream_tbDpT10_ENKUlT_T0_E_clISt17integral_constantIbLb1EES1B_IbLb0EEEEDaS17_S18_EUlS17_E_NS1_11comp_targetILNS1_3genE2ELNS1_11target_archE906ELNS1_3gpuE6ELNS1_3repE0EEENS1_30default_config_static_selectorELNS0_4arch9wavefront6targetE1EEEvT1_: ; @_ZN7rocprim17ROCPRIM_400000_NS6detail17trampoline_kernelINS0_14default_configENS1_25partition_config_selectorILNS1_17partition_subalgoE8ElNS0_10empty_typeEbEEZZNS1_14partition_implILS5_8ELb0ES3_jPlPS6_PKS6_NS0_5tupleIJS9_S6_EEENSD_IJSA_SA_EEENS0_18inequality_wrapperIZN2at6native12_GLOBAL__N_124unique_dim_cuda_templateIdEESt5tupleIJNSH_6TensorESM_SM_EERKSM_lbbbEUlllE0_EEPmJS6_EEE10hipError_tPvRmT3_T4_T5_T6_T7_T9_mT8_P12ihipStream_tbDpT10_ENKUlT_T0_E_clISt17integral_constantIbLb1EES1B_IbLb0EEEEDaS17_S18_EUlS17_E_NS1_11comp_targetILNS1_3genE2ELNS1_11target_archE906ELNS1_3gpuE6ELNS1_3repE0EEENS1_30default_config_static_selectorELNS0_4arch9wavefront6targetE1EEEvT1_
; %bb.0:
	.section	.rodata,"a",@progbits
	.p2align	6, 0x0
	.amdhsa_kernel _ZN7rocprim17ROCPRIM_400000_NS6detail17trampoline_kernelINS0_14default_configENS1_25partition_config_selectorILNS1_17partition_subalgoE8ElNS0_10empty_typeEbEEZZNS1_14partition_implILS5_8ELb0ES3_jPlPS6_PKS6_NS0_5tupleIJS9_S6_EEENSD_IJSA_SA_EEENS0_18inequality_wrapperIZN2at6native12_GLOBAL__N_124unique_dim_cuda_templateIdEESt5tupleIJNSH_6TensorESM_SM_EERKSM_lbbbEUlllE0_EEPmJS6_EEE10hipError_tPvRmT3_T4_T5_T6_T7_T9_mT8_P12ihipStream_tbDpT10_ENKUlT_T0_E_clISt17integral_constantIbLb1EES1B_IbLb0EEEEDaS17_S18_EUlS17_E_NS1_11comp_targetILNS1_3genE2ELNS1_11target_archE906ELNS1_3gpuE6ELNS1_3repE0EEENS1_30default_config_static_selectorELNS0_4arch9wavefront6targetE1EEEvT1_
		.amdhsa_group_segment_fixed_size 0
		.amdhsa_private_segment_fixed_size 0
		.amdhsa_kernarg_size 120
		.amdhsa_user_sgpr_count 6
		.amdhsa_user_sgpr_private_segment_buffer 1
		.amdhsa_user_sgpr_dispatch_ptr 0
		.amdhsa_user_sgpr_queue_ptr 0
		.amdhsa_user_sgpr_kernarg_segment_ptr 1
		.amdhsa_user_sgpr_dispatch_id 0
		.amdhsa_user_sgpr_flat_scratch_init 0
		.amdhsa_user_sgpr_kernarg_preload_length 0
		.amdhsa_user_sgpr_kernarg_preload_offset 0
		.amdhsa_user_sgpr_private_segment_size 0
		.amdhsa_uses_dynamic_stack 0
		.amdhsa_system_sgpr_private_segment_wavefront_offset 0
		.amdhsa_system_sgpr_workgroup_id_x 1
		.amdhsa_system_sgpr_workgroup_id_y 0
		.amdhsa_system_sgpr_workgroup_id_z 0
		.amdhsa_system_sgpr_workgroup_info 0
		.amdhsa_system_vgpr_workitem_id 0
		.amdhsa_next_free_vgpr 1
		.amdhsa_next_free_sgpr 0
		.amdhsa_accum_offset 4
		.amdhsa_reserve_vcc 0
		.amdhsa_reserve_flat_scratch 0
		.amdhsa_float_round_mode_32 0
		.amdhsa_float_round_mode_16_64 0
		.amdhsa_float_denorm_mode_32 3
		.amdhsa_float_denorm_mode_16_64 3
		.amdhsa_dx10_clamp 1
		.amdhsa_ieee_mode 1
		.amdhsa_fp16_overflow 0
		.amdhsa_tg_split 0
		.amdhsa_exception_fp_ieee_invalid_op 0
		.amdhsa_exception_fp_denorm_src 0
		.amdhsa_exception_fp_ieee_div_zero 0
		.amdhsa_exception_fp_ieee_overflow 0
		.amdhsa_exception_fp_ieee_underflow 0
		.amdhsa_exception_fp_ieee_inexact 0
		.amdhsa_exception_int_div_zero 0
	.end_amdhsa_kernel
	.section	.text._ZN7rocprim17ROCPRIM_400000_NS6detail17trampoline_kernelINS0_14default_configENS1_25partition_config_selectorILNS1_17partition_subalgoE8ElNS0_10empty_typeEbEEZZNS1_14partition_implILS5_8ELb0ES3_jPlPS6_PKS6_NS0_5tupleIJS9_S6_EEENSD_IJSA_SA_EEENS0_18inequality_wrapperIZN2at6native12_GLOBAL__N_124unique_dim_cuda_templateIdEESt5tupleIJNSH_6TensorESM_SM_EERKSM_lbbbEUlllE0_EEPmJS6_EEE10hipError_tPvRmT3_T4_T5_T6_T7_T9_mT8_P12ihipStream_tbDpT10_ENKUlT_T0_E_clISt17integral_constantIbLb1EES1B_IbLb0EEEEDaS17_S18_EUlS17_E_NS1_11comp_targetILNS1_3genE2ELNS1_11target_archE906ELNS1_3gpuE6ELNS1_3repE0EEENS1_30default_config_static_selectorELNS0_4arch9wavefront6targetE1EEEvT1_,"axG",@progbits,_ZN7rocprim17ROCPRIM_400000_NS6detail17trampoline_kernelINS0_14default_configENS1_25partition_config_selectorILNS1_17partition_subalgoE8ElNS0_10empty_typeEbEEZZNS1_14partition_implILS5_8ELb0ES3_jPlPS6_PKS6_NS0_5tupleIJS9_S6_EEENSD_IJSA_SA_EEENS0_18inequality_wrapperIZN2at6native12_GLOBAL__N_124unique_dim_cuda_templateIdEESt5tupleIJNSH_6TensorESM_SM_EERKSM_lbbbEUlllE0_EEPmJS6_EEE10hipError_tPvRmT3_T4_T5_T6_T7_T9_mT8_P12ihipStream_tbDpT10_ENKUlT_T0_E_clISt17integral_constantIbLb1EES1B_IbLb0EEEEDaS17_S18_EUlS17_E_NS1_11comp_targetILNS1_3genE2ELNS1_11target_archE906ELNS1_3gpuE6ELNS1_3repE0EEENS1_30default_config_static_selectorELNS0_4arch9wavefront6targetE1EEEvT1_,comdat
.Lfunc_end827:
	.size	_ZN7rocprim17ROCPRIM_400000_NS6detail17trampoline_kernelINS0_14default_configENS1_25partition_config_selectorILNS1_17partition_subalgoE8ElNS0_10empty_typeEbEEZZNS1_14partition_implILS5_8ELb0ES3_jPlPS6_PKS6_NS0_5tupleIJS9_S6_EEENSD_IJSA_SA_EEENS0_18inequality_wrapperIZN2at6native12_GLOBAL__N_124unique_dim_cuda_templateIdEESt5tupleIJNSH_6TensorESM_SM_EERKSM_lbbbEUlllE0_EEPmJS6_EEE10hipError_tPvRmT3_T4_T5_T6_T7_T9_mT8_P12ihipStream_tbDpT10_ENKUlT_T0_E_clISt17integral_constantIbLb1EES1B_IbLb0EEEEDaS17_S18_EUlS17_E_NS1_11comp_targetILNS1_3genE2ELNS1_11target_archE906ELNS1_3gpuE6ELNS1_3repE0EEENS1_30default_config_static_selectorELNS0_4arch9wavefront6targetE1EEEvT1_, .Lfunc_end827-_ZN7rocprim17ROCPRIM_400000_NS6detail17trampoline_kernelINS0_14default_configENS1_25partition_config_selectorILNS1_17partition_subalgoE8ElNS0_10empty_typeEbEEZZNS1_14partition_implILS5_8ELb0ES3_jPlPS6_PKS6_NS0_5tupleIJS9_S6_EEENSD_IJSA_SA_EEENS0_18inequality_wrapperIZN2at6native12_GLOBAL__N_124unique_dim_cuda_templateIdEESt5tupleIJNSH_6TensorESM_SM_EERKSM_lbbbEUlllE0_EEPmJS6_EEE10hipError_tPvRmT3_T4_T5_T6_T7_T9_mT8_P12ihipStream_tbDpT10_ENKUlT_T0_E_clISt17integral_constantIbLb1EES1B_IbLb0EEEEDaS17_S18_EUlS17_E_NS1_11comp_targetILNS1_3genE2ELNS1_11target_archE906ELNS1_3gpuE6ELNS1_3repE0EEENS1_30default_config_static_selectorELNS0_4arch9wavefront6targetE1EEEvT1_
                                        ; -- End function
	.section	.AMDGPU.csdata,"",@progbits
; Kernel info:
; codeLenInByte = 0
; NumSgprs: 4
; NumVgprs: 0
; NumAgprs: 0
; TotalNumVgprs: 0
; ScratchSize: 0
; MemoryBound: 0
; FloatMode: 240
; IeeeMode: 1
; LDSByteSize: 0 bytes/workgroup (compile time only)
; SGPRBlocks: 0
; VGPRBlocks: 0
; NumSGPRsForWavesPerEU: 4
; NumVGPRsForWavesPerEU: 1
; AccumOffset: 4
; Occupancy: 8
; WaveLimiterHint : 0
; COMPUTE_PGM_RSRC2:SCRATCH_EN: 0
; COMPUTE_PGM_RSRC2:USER_SGPR: 6
; COMPUTE_PGM_RSRC2:TRAP_HANDLER: 0
; COMPUTE_PGM_RSRC2:TGID_X_EN: 1
; COMPUTE_PGM_RSRC2:TGID_Y_EN: 0
; COMPUTE_PGM_RSRC2:TGID_Z_EN: 0
; COMPUTE_PGM_RSRC2:TIDIG_COMP_CNT: 0
; COMPUTE_PGM_RSRC3_GFX90A:ACCUM_OFFSET: 0
; COMPUTE_PGM_RSRC3_GFX90A:TG_SPLIT: 0
	.section	.text._ZN7rocprim17ROCPRIM_400000_NS6detail17trampoline_kernelINS0_14default_configENS1_25partition_config_selectorILNS1_17partition_subalgoE8ElNS0_10empty_typeEbEEZZNS1_14partition_implILS5_8ELb0ES3_jPlPS6_PKS6_NS0_5tupleIJS9_S6_EEENSD_IJSA_SA_EEENS0_18inequality_wrapperIZN2at6native12_GLOBAL__N_124unique_dim_cuda_templateIdEESt5tupleIJNSH_6TensorESM_SM_EERKSM_lbbbEUlllE0_EEPmJS6_EEE10hipError_tPvRmT3_T4_T5_T6_T7_T9_mT8_P12ihipStream_tbDpT10_ENKUlT_T0_E_clISt17integral_constantIbLb1EES1B_IbLb0EEEEDaS17_S18_EUlS17_E_NS1_11comp_targetILNS1_3genE10ELNS1_11target_archE1200ELNS1_3gpuE4ELNS1_3repE0EEENS1_30default_config_static_selectorELNS0_4arch9wavefront6targetE1EEEvT1_,"axG",@progbits,_ZN7rocprim17ROCPRIM_400000_NS6detail17trampoline_kernelINS0_14default_configENS1_25partition_config_selectorILNS1_17partition_subalgoE8ElNS0_10empty_typeEbEEZZNS1_14partition_implILS5_8ELb0ES3_jPlPS6_PKS6_NS0_5tupleIJS9_S6_EEENSD_IJSA_SA_EEENS0_18inequality_wrapperIZN2at6native12_GLOBAL__N_124unique_dim_cuda_templateIdEESt5tupleIJNSH_6TensorESM_SM_EERKSM_lbbbEUlllE0_EEPmJS6_EEE10hipError_tPvRmT3_T4_T5_T6_T7_T9_mT8_P12ihipStream_tbDpT10_ENKUlT_T0_E_clISt17integral_constantIbLb1EES1B_IbLb0EEEEDaS17_S18_EUlS17_E_NS1_11comp_targetILNS1_3genE10ELNS1_11target_archE1200ELNS1_3gpuE4ELNS1_3repE0EEENS1_30default_config_static_selectorELNS0_4arch9wavefront6targetE1EEEvT1_,comdat
	.globl	_ZN7rocprim17ROCPRIM_400000_NS6detail17trampoline_kernelINS0_14default_configENS1_25partition_config_selectorILNS1_17partition_subalgoE8ElNS0_10empty_typeEbEEZZNS1_14partition_implILS5_8ELb0ES3_jPlPS6_PKS6_NS0_5tupleIJS9_S6_EEENSD_IJSA_SA_EEENS0_18inequality_wrapperIZN2at6native12_GLOBAL__N_124unique_dim_cuda_templateIdEESt5tupleIJNSH_6TensorESM_SM_EERKSM_lbbbEUlllE0_EEPmJS6_EEE10hipError_tPvRmT3_T4_T5_T6_T7_T9_mT8_P12ihipStream_tbDpT10_ENKUlT_T0_E_clISt17integral_constantIbLb1EES1B_IbLb0EEEEDaS17_S18_EUlS17_E_NS1_11comp_targetILNS1_3genE10ELNS1_11target_archE1200ELNS1_3gpuE4ELNS1_3repE0EEENS1_30default_config_static_selectorELNS0_4arch9wavefront6targetE1EEEvT1_ ; -- Begin function _ZN7rocprim17ROCPRIM_400000_NS6detail17trampoline_kernelINS0_14default_configENS1_25partition_config_selectorILNS1_17partition_subalgoE8ElNS0_10empty_typeEbEEZZNS1_14partition_implILS5_8ELb0ES3_jPlPS6_PKS6_NS0_5tupleIJS9_S6_EEENSD_IJSA_SA_EEENS0_18inequality_wrapperIZN2at6native12_GLOBAL__N_124unique_dim_cuda_templateIdEESt5tupleIJNSH_6TensorESM_SM_EERKSM_lbbbEUlllE0_EEPmJS6_EEE10hipError_tPvRmT3_T4_T5_T6_T7_T9_mT8_P12ihipStream_tbDpT10_ENKUlT_T0_E_clISt17integral_constantIbLb1EES1B_IbLb0EEEEDaS17_S18_EUlS17_E_NS1_11comp_targetILNS1_3genE10ELNS1_11target_archE1200ELNS1_3gpuE4ELNS1_3repE0EEENS1_30default_config_static_selectorELNS0_4arch9wavefront6targetE1EEEvT1_
	.p2align	8
	.type	_ZN7rocprim17ROCPRIM_400000_NS6detail17trampoline_kernelINS0_14default_configENS1_25partition_config_selectorILNS1_17partition_subalgoE8ElNS0_10empty_typeEbEEZZNS1_14partition_implILS5_8ELb0ES3_jPlPS6_PKS6_NS0_5tupleIJS9_S6_EEENSD_IJSA_SA_EEENS0_18inequality_wrapperIZN2at6native12_GLOBAL__N_124unique_dim_cuda_templateIdEESt5tupleIJNSH_6TensorESM_SM_EERKSM_lbbbEUlllE0_EEPmJS6_EEE10hipError_tPvRmT3_T4_T5_T6_T7_T9_mT8_P12ihipStream_tbDpT10_ENKUlT_T0_E_clISt17integral_constantIbLb1EES1B_IbLb0EEEEDaS17_S18_EUlS17_E_NS1_11comp_targetILNS1_3genE10ELNS1_11target_archE1200ELNS1_3gpuE4ELNS1_3repE0EEENS1_30default_config_static_selectorELNS0_4arch9wavefront6targetE1EEEvT1_,@function
_ZN7rocprim17ROCPRIM_400000_NS6detail17trampoline_kernelINS0_14default_configENS1_25partition_config_selectorILNS1_17partition_subalgoE8ElNS0_10empty_typeEbEEZZNS1_14partition_implILS5_8ELb0ES3_jPlPS6_PKS6_NS0_5tupleIJS9_S6_EEENSD_IJSA_SA_EEENS0_18inequality_wrapperIZN2at6native12_GLOBAL__N_124unique_dim_cuda_templateIdEESt5tupleIJNSH_6TensorESM_SM_EERKSM_lbbbEUlllE0_EEPmJS6_EEE10hipError_tPvRmT3_T4_T5_T6_T7_T9_mT8_P12ihipStream_tbDpT10_ENKUlT_T0_E_clISt17integral_constantIbLb1EES1B_IbLb0EEEEDaS17_S18_EUlS17_E_NS1_11comp_targetILNS1_3genE10ELNS1_11target_archE1200ELNS1_3gpuE4ELNS1_3repE0EEENS1_30default_config_static_selectorELNS0_4arch9wavefront6targetE1EEEvT1_: ; @_ZN7rocprim17ROCPRIM_400000_NS6detail17trampoline_kernelINS0_14default_configENS1_25partition_config_selectorILNS1_17partition_subalgoE8ElNS0_10empty_typeEbEEZZNS1_14partition_implILS5_8ELb0ES3_jPlPS6_PKS6_NS0_5tupleIJS9_S6_EEENSD_IJSA_SA_EEENS0_18inequality_wrapperIZN2at6native12_GLOBAL__N_124unique_dim_cuda_templateIdEESt5tupleIJNSH_6TensorESM_SM_EERKSM_lbbbEUlllE0_EEPmJS6_EEE10hipError_tPvRmT3_T4_T5_T6_T7_T9_mT8_P12ihipStream_tbDpT10_ENKUlT_T0_E_clISt17integral_constantIbLb1EES1B_IbLb0EEEEDaS17_S18_EUlS17_E_NS1_11comp_targetILNS1_3genE10ELNS1_11target_archE1200ELNS1_3gpuE4ELNS1_3repE0EEENS1_30default_config_static_selectorELNS0_4arch9wavefront6targetE1EEEvT1_
; %bb.0:
	.section	.rodata,"a",@progbits
	.p2align	6, 0x0
	.amdhsa_kernel _ZN7rocprim17ROCPRIM_400000_NS6detail17trampoline_kernelINS0_14default_configENS1_25partition_config_selectorILNS1_17partition_subalgoE8ElNS0_10empty_typeEbEEZZNS1_14partition_implILS5_8ELb0ES3_jPlPS6_PKS6_NS0_5tupleIJS9_S6_EEENSD_IJSA_SA_EEENS0_18inequality_wrapperIZN2at6native12_GLOBAL__N_124unique_dim_cuda_templateIdEESt5tupleIJNSH_6TensorESM_SM_EERKSM_lbbbEUlllE0_EEPmJS6_EEE10hipError_tPvRmT3_T4_T5_T6_T7_T9_mT8_P12ihipStream_tbDpT10_ENKUlT_T0_E_clISt17integral_constantIbLb1EES1B_IbLb0EEEEDaS17_S18_EUlS17_E_NS1_11comp_targetILNS1_3genE10ELNS1_11target_archE1200ELNS1_3gpuE4ELNS1_3repE0EEENS1_30default_config_static_selectorELNS0_4arch9wavefront6targetE1EEEvT1_
		.amdhsa_group_segment_fixed_size 0
		.amdhsa_private_segment_fixed_size 0
		.amdhsa_kernarg_size 120
		.amdhsa_user_sgpr_count 6
		.amdhsa_user_sgpr_private_segment_buffer 1
		.amdhsa_user_sgpr_dispatch_ptr 0
		.amdhsa_user_sgpr_queue_ptr 0
		.amdhsa_user_sgpr_kernarg_segment_ptr 1
		.amdhsa_user_sgpr_dispatch_id 0
		.amdhsa_user_sgpr_flat_scratch_init 0
		.amdhsa_user_sgpr_kernarg_preload_length 0
		.amdhsa_user_sgpr_kernarg_preload_offset 0
		.amdhsa_user_sgpr_private_segment_size 0
		.amdhsa_uses_dynamic_stack 0
		.amdhsa_system_sgpr_private_segment_wavefront_offset 0
		.amdhsa_system_sgpr_workgroup_id_x 1
		.amdhsa_system_sgpr_workgroup_id_y 0
		.amdhsa_system_sgpr_workgroup_id_z 0
		.amdhsa_system_sgpr_workgroup_info 0
		.amdhsa_system_vgpr_workitem_id 0
		.amdhsa_next_free_vgpr 1
		.amdhsa_next_free_sgpr 0
		.amdhsa_accum_offset 4
		.amdhsa_reserve_vcc 0
		.amdhsa_reserve_flat_scratch 0
		.amdhsa_float_round_mode_32 0
		.amdhsa_float_round_mode_16_64 0
		.amdhsa_float_denorm_mode_32 3
		.amdhsa_float_denorm_mode_16_64 3
		.amdhsa_dx10_clamp 1
		.amdhsa_ieee_mode 1
		.amdhsa_fp16_overflow 0
		.amdhsa_tg_split 0
		.amdhsa_exception_fp_ieee_invalid_op 0
		.amdhsa_exception_fp_denorm_src 0
		.amdhsa_exception_fp_ieee_div_zero 0
		.amdhsa_exception_fp_ieee_overflow 0
		.amdhsa_exception_fp_ieee_underflow 0
		.amdhsa_exception_fp_ieee_inexact 0
		.amdhsa_exception_int_div_zero 0
	.end_amdhsa_kernel
	.section	.text._ZN7rocprim17ROCPRIM_400000_NS6detail17trampoline_kernelINS0_14default_configENS1_25partition_config_selectorILNS1_17partition_subalgoE8ElNS0_10empty_typeEbEEZZNS1_14partition_implILS5_8ELb0ES3_jPlPS6_PKS6_NS0_5tupleIJS9_S6_EEENSD_IJSA_SA_EEENS0_18inequality_wrapperIZN2at6native12_GLOBAL__N_124unique_dim_cuda_templateIdEESt5tupleIJNSH_6TensorESM_SM_EERKSM_lbbbEUlllE0_EEPmJS6_EEE10hipError_tPvRmT3_T4_T5_T6_T7_T9_mT8_P12ihipStream_tbDpT10_ENKUlT_T0_E_clISt17integral_constantIbLb1EES1B_IbLb0EEEEDaS17_S18_EUlS17_E_NS1_11comp_targetILNS1_3genE10ELNS1_11target_archE1200ELNS1_3gpuE4ELNS1_3repE0EEENS1_30default_config_static_selectorELNS0_4arch9wavefront6targetE1EEEvT1_,"axG",@progbits,_ZN7rocprim17ROCPRIM_400000_NS6detail17trampoline_kernelINS0_14default_configENS1_25partition_config_selectorILNS1_17partition_subalgoE8ElNS0_10empty_typeEbEEZZNS1_14partition_implILS5_8ELb0ES3_jPlPS6_PKS6_NS0_5tupleIJS9_S6_EEENSD_IJSA_SA_EEENS0_18inequality_wrapperIZN2at6native12_GLOBAL__N_124unique_dim_cuda_templateIdEESt5tupleIJNSH_6TensorESM_SM_EERKSM_lbbbEUlllE0_EEPmJS6_EEE10hipError_tPvRmT3_T4_T5_T6_T7_T9_mT8_P12ihipStream_tbDpT10_ENKUlT_T0_E_clISt17integral_constantIbLb1EES1B_IbLb0EEEEDaS17_S18_EUlS17_E_NS1_11comp_targetILNS1_3genE10ELNS1_11target_archE1200ELNS1_3gpuE4ELNS1_3repE0EEENS1_30default_config_static_selectorELNS0_4arch9wavefront6targetE1EEEvT1_,comdat
.Lfunc_end828:
	.size	_ZN7rocprim17ROCPRIM_400000_NS6detail17trampoline_kernelINS0_14default_configENS1_25partition_config_selectorILNS1_17partition_subalgoE8ElNS0_10empty_typeEbEEZZNS1_14partition_implILS5_8ELb0ES3_jPlPS6_PKS6_NS0_5tupleIJS9_S6_EEENSD_IJSA_SA_EEENS0_18inequality_wrapperIZN2at6native12_GLOBAL__N_124unique_dim_cuda_templateIdEESt5tupleIJNSH_6TensorESM_SM_EERKSM_lbbbEUlllE0_EEPmJS6_EEE10hipError_tPvRmT3_T4_T5_T6_T7_T9_mT8_P12ihipStream_tbDpT10_ENKUlT_T0_E_clISt17integral_constantIbLb1EES1B_IbLb0EEEEDaS17_S18_EUlS17_E_NS1_11comp_targetILNS1_3genE10ELNS1_11target_archE1200ELNS1_3gpuE4ELNS1_3repE0EEENS1_30default_config_static_selectorELNS0_4arch9wavefront6targetE1EEEvT1_, .Lfunc_end828-_ZN7rocprim17ROCPRIM_400000_NS6detail17trampoline_kernelINS0_14default_configENS1_25partition_config_selectorILNS1_17partition_subalgoE8ElNS0_10empty_typeEbEEZZNS1_14partition_implILS5_8ELb0ES3_jPlPS6_PKS6_NS0_5tupleIJS9_S6_EEENSD_IJSA_SA_EEENS0_18inequality_wrapperIZN2at6native12_GLOBAL__N_124unique_dim_cuda_templateIdEESt5tupleIJNSH_6TensorESM_SM_EERKSM_lbbbEUlllE0_EEPmJS6_EEE10hipError_tPvRmT3_T4_T5_T6_T7_T9_mT8_P12ihipStream_tbDpT10_ENKUlT_T0_E_clISt17integral_constantIbLb1EES1B_IbLb0EEEEDaS17_S18_EUlS17_E_NS1_11comp_targetILNS1_3genE10ELNS1_11target_archE1200ELNS1_3gpuE4ELNS1_3repE0EEENS1_30default_config_static_selectorELNS0_4arch9wavefront6targetE1EEEvT1_
                                        ; -- End function
	.section	.AMDGPU.csdata,"",@progbits
; Kernel info:
; codeLenInByte = 0
; NumSgprs: 4
; NumVgprs: 0
; NumAgprs: 0
; TotalNumVgprs: 0
; ScratchSize: 0
; MemoryBound: 0
; FloatMode: 240
; IeeeMode: 1
; LDSByteSize: 0 bytes/workgroup (compile time only)
; SGPRBlocks: 0
; VGPRBlocks: 0
; NumSGPRsForWavesPerEU: 4
; NumVGPRsForWavesPerEU: 1
; AccumOffset: 4
; Occupancy: 8
; WaveLimiterHint : 0
; COMPUTE_PGM_RSRC2:SCRATCH_EN: 0
; COMPUTE_PGM_RSRC2:USER_SGPR: 6
; COMPUTE_PGM_RSRC2:TRAP_HANDLER: 0
; COMPUTE_PGM_RSRC2:TGID_X_EN: 1
; COMPUTE_PGM_RSRC2:TGID_Y_EN: 0
; COMPUTE_PGM_RSRC2:TGID_Z_EN: 0
; COMPUTE_PGM_RSRC2:TIDIG_COMP_CNT: 0
; COMPUTE_PGM_RSRC3_GFX90A:ACCUM_OFFSET: 0
; COMPUTE_PGM_RSRC3_GFX90A:TG_SPLIT: 0
	.section	.text._ZN7rocprim17ROCPRIM_400000_NS6detail17trampoline_kernelINS0_14default_configENS1_25partition_config_selectorILNS1_17partition_subalgoE8ElNS0_10empty_typeEbEEZZNS1_14partition_implILS5_8ELb0ES3_jPlPS6_PKS6_NS0_5tupleIJS9_S6_EEENSD_IJSA_SA_EEENS0_18inequality_wrapperIZN2at6native12_GLOBAL__N_124unique_dim_cuda_templateIdEESt5tupleIJNSH_6TensorESM_SM_EERKSM_lbbbEUlllE0_EEPmJS6_EEE10hipError_tPvRmT3_T4_T5_T6_T7_T9_mT8_P12ihipStream_tbDpT10_ENKUlT_T0_E_clISt17integral_constantIbLb1EES1B_IbLb0EEEEDaS17_S18_EUlS17_E_NS1_11comp_targetILNS1_3genE9ELNS1_11target_archE1100ELNS1_3gpuE3ELNS1_3repE0EEENS1_30default_config_static_selectorELNS0_4arch9wavefront6targetE1EEEvT1_,"axG",@progbits,_ZN7rocprim17ROCPRIM_400000_NS6detail17trampoline_kernelINS0_14default_configENS1_25partition_config_selectorILNS1_17partition_subalgoE8ElNS0_10empty_typeEbEEZZNS1_14partition_implILS5_8ELb0ES3_jPlPS6_PKS6_NS0_5tupleIJS9_S6_EEENSD_IJSA_SA_EEENS0_18inequality_wrapperIZN2at6native12_GLOBAL__N_124unique_dim_cuda_templateIdEESt5tupleIJNSH_6TensorESM_SM_EERKSM_lbbbEUlllE0_EEPmJS6_EEE10hipError_tPvRmT3_T4_T5_T6_T7_T9_mT8_P12ihipStream_tbDpT10_ENKUlT_T0_E_clISt17integral_constantIbLb1EES1B_IbLb0EEEEDaS17_S18_EUlS17_E_NS1_11comp_targetILNS1_3genE9ELNS1_11target_archE1100ELNS1_3gpuE3ELNS1_3repE0EEENS1_30default_config_static_selectorELNS0_4arch9wavefront6targetE1EEEvT1_,comdat
	.globl	_ZN7rocprim17ROCPRIM_400000_NS6detail17trampoline_kernelINS0_14default_configENS1_25partition_config_selectorILNS1_17partition_subalgoE8ElNS0_10empty_typeEbEEZZNS1_14partition_implILS5_8ELb0ES3_jPlPS6_PKS6_NS0_5tupleIJS9_S6_EEENSD_IJSA_SA_EEENS0_18inequality_wrapperIZN2at6native12_GLOBAL__N_124unique_dim_cuda_templateIdEESt5tupleIJNSH_6TensorESM_SM_EERKSM_lbbbEUlllE0_EEPmJS6_EEE10hipError_tPvRmT3_T4_T5_T6_T7_T9_mT8_P12ihipStream_tbDpT10_ENKUlT_T0_E_clISt17integral_constantIbLb1EES1B_IbLb0EEEEDaS17_S18_EUlS17_E_NS1_11comp_targetILNS1_3genE9ELNS1_11target_archE1100ELNS1_3gpuE3ELNS1_3repE0EEENS1_30default_config_static_selectorELNS0_4arch9wavefront6targetE1EEEvT1_ ; -- Begin function _ZN7rocprim17ROCPRIM_400000_NS6detail17trampoline_kernelINS0_14default_configENS1_25partition_config_selectorILNS1_17partition_subalgoE8ElNS0_10empty_typeEbEEZZNS1_14partition_implILS5_8ELb0ES3_jPlPS6_PKS6_NS0_5tupleIJS9_S6_EEENSD_IJSA_SA_EEENS0_18inequality_wrapperIZN2at6native12_GLOBAL__N_124unique_dim_cuda_templateIdEESt5tupleIJNSH_6TensorESM_SM_EERKSM_lbbbEUlllE0_EEPmJS6_EEE10hipError_tPvRmT3_T4_T5_T6_T7_T9_mT8_P12ihipStream_tbDpT10_ENKUlT_T0_E_clISt17integral_constantIbLb1EES1B_IbLb0EEEEDaS17_S18_EUlS17_E_NS1_11comp_targetILNS1_3genE9ELNS1_11target_archE1100ELNS1_3gpuE3ELNS1_3repE0EEENS1_30default_config_static_selectorELNS0_4arch9wavefront6targetE1EEEvT1_
	.p2align	8
	.type	_ZN7rocprim17ROCPRIM_400000_NS6detail17trampoline_kernelINS0_14default_configENS1_25partition_config_selectorILNS1_17partition_subalgoE8ElNS0_10empty_typeEbEEZZNS1_14partition_implILS5_8ELb0ES3_jPlPS6_PKS6_NS0_5tupleIJS9_S6_EEENSD_IJSA_SA_EEENS0_18inequality_wrapperIZN2at6native12_GLOBAL__N_124unique_dim_cuda_templateIdEESt5tupleIJNSH_6TensorESM_SM_EERKSM_lbbbEUlllE0_EEPmJS6_EEE10hipError_tPvRmT3_T4_T5_T6_T7_T9_mT8_P12ihipStream_tbDpT10_ENKUlT_T0_E_clISt17integral_constantIbLb1EES1B_IbLb0EEEEDaS17_S18_EUlS17_E_NS1_11comp_targetILNS1_3genE9ELNS1_11target_archE1100ELNS1_3gpuE3ELNS1_3repE0EEENS1_30default_config_static_selectorELNS0_4arch9wavefront6targetE1EEEvT1_,@function
_ZN7rocprim17ROCPRIM_400000_NS6detail17trampoline_kernelINS0_14default_configENS1_25partition_config_selectorILNS1_17partition_subalgoE8ElNS0_10empty_typeEbEEZZNS1_14partition_implILS5_8ELb0ES3_jPlPS6_PKS6_NS0_5tupleIJS9_S6_EEENSD_IJSA_SA_EEENS0_18inequality_wrapperIZN2at6native12_GLOBAL__N_124unique_dim_cuda_templateIdEESt5tupleIJNSH_6TensorESM_SM_EERKSM_lbbbEUlllE0_EEPmJS6_EEE10hipError_tPvRmT3_T4_T5_T6_T7_T9_mT8_P12ihipStream_tbDpT10_ENKUlT_T0_E_clISt17integral_constantIbLb1EES1B_IbLb0EEEEDaS17_S18_EUlS17_E_NS1_11comp_targetILNS1_3genE9ELNS1_11target_archE1100ELNS1_3gpuE3ELNS1_3repE0EEENS1_30default_config_static_selectorELNS0_4arch9wavefront6targetE1EEEvT1_: ; @_ZN7rocprim17ROCPRIM_400000_NS6detail17trampoline_kernelINS0_14default_configENS1_25partition_config_selectorILNS1_17partition_subalgoE8ElNS0_10empty_typeEbEEZZNS1_14partition_implILS5_8ELb0ES3_jPlPS6_PKS6_NS0_5tupleIJS9_S6_EEENSD_IJSA_SA_EEENS0_18inequality_wrapperIZN2at6native12_GLOBAL__N_124unique_dim_cuda_templateIdEESt5tupleIJNSH_6TensorESM_SM_EERKSM_lbbbEUlllE0_EEPmJS6_EEE10hipError_tPvRmT3_T4_T5_T6_T7_T9_mT8_P12ihipStream_tbDpT10_ENKUlT_T0_E_clISt17integral_constantIbLb1EES1B_IbLb0EEEEDaS17_S18_EUlS17_E_NS1_11comp_targetILNS1_3genE9ELNS1_11target_archE1100ELNS1_3gpuE3ELNS1_3repE0EEENS1_30default_config_static_selectorELNS0_4arch9wavefront6targetE1EEEvT1_
; %bb.0:
	.section	.rodata,"a",@progbits
	.p2align	6, 0x0
	.amdhsa_kernel _ZN7rocprim17ROCPRIM_400000_NS6detail17trampoline_kernelINS0_14default_configENS1_25partition_config_selectorILNS1_17partition_subalgoE8ElNS0_10empty_typeEbEEZZNS1_14partition_implILS5_8ELb0ES3_jPlPS6_PKS6_NS0_5tupleIJS9_S6_EEENSD_IJSA_SA_EEENS0_18inequality_wrapperIZN2at6native12_GLOBAL__N_124unique_dim_cuda_templateIdEESt5tupleIJNSH_6TensorESM_SM_EERKSM_lbbbEUlllE0_EEPmJS6_EEE10hipError_tPvRmT3_T4_T5_T6_T7_T9_mT8_P12ihipStream_tbDpT10_ENKUlT_T0_E_clISt17integral_constantIbLb1EES1B_IbLb0EEEEDaS17_S18_EUlS17_E_NS1_11comp_targetILNS1_3genE9ELNS1_11target_archE1100ELNS1_3gpuE3ELNS1_3repE0EEENS1_30default_config_static_selectorELNS0_4arch9wavefront6targetE1EEEvT1_
		.amdhsa_group_segment_fixed_size 0
		.amdhsa_private_segment_fixed_size 0
		.amdhsa_kernarg_size 120
		.amdhsa_user_sgpr_count 6
		.amdhsa_user_sgpr_private_segment_buffer 1
		.amdhsa_user_sgpr_dispatch_ptr 0
		.amdhsa_user_sgpr_queue_ptr 0
		.amdhsa_user_sgpr_kernarg_segment_ptr 1
		.amdhsa_user_sgpr_dispatch_id 0
		.amdhsa_user_sgpr_flat_scratch_init 0
		.amdhsa_user_sgpr_kernarg_preload_length 0
		.amdhsa_user_sgpr_kernarg_preload_offset 0
		.amdhsa_user_sgpr_private_segment_size 0
		.amdhsa_uses_dynamic_stack 0
		.amdhsa_system_sgpr_private_segment_wavefront_offset 0
		.amdhsa_system_sgpr_workgroup_id_x 1
		.amdhsa_system_sgpr_workgroup_id_y 0
		.amdhsa_system_sgpr_workgroup_id_z 0
		.amdhsa_system_sgpr_workgroup_info 0
		.amdhsa_system_vgpr_workitem_id 0
		.amdhsa_next_free_vgpr 1
		.amdhsa_next_free_sgpr 0
		.amdhsa_accum_offset 4
		.amdhsa_reserve_vcc 0
		.amdhsa_reserve_flat_scratch 0
		.amdhsa_float_round_mode_32 0
		.amdhsa_float_round_mode_16_64 0
		.amdhsa_float_denorm_mode_32 3
		.amdhsa_float_denorm_mode_16_64 3
		.amdhsa_dx10_clamp 1
		.amdhsa_ieee_mode 1
		.amdhsa_fp16_overflow 0
		.amdhsa_tg_split 0
		.amdhsa_exception_fp_ieee_invalid_op 0
		.amdhsa_exception_fp_denorm_src 0
		.amdhsa_exception_fp_ieee_div_zero 0
		.amdhsa_exception_fp_ieee_overflow 0
		.amdhsa_exception_fp_ieee_underflow 0
		.amdhsa_exception_fp_ieee_inexact 0
		.amdhsa_exception_int_div_zero 0
	.end_amdhsa_kernel
	.section	.text._ZN7rocprim17ROCPRIM_400000_NS6detail17trampoline_kernelINS0_14default_configENS1_25partition_config_selectorILNS1_17partition_subalgoE8ElNS0_10empty_typeEbEEZZNS1_14partition_implILS5_8ELb0ES3_jPlPS6_PKS6_NS0_5tupleIJS9_S6_EEENSD_IJSA_SA_EEENS0_18inequality_wrapperIZN2at6native12_GLOBAL__N_124unique_dim_cuda_templateIdEESt5tupleIJNSH_6TensorESM_SM_EERKSM_lbbbEUlllE0_EEPmJS6_EEE10hipError_tPvRmT3_T4_T5_T6_T7_T9_mT8_P12ihipStream_tbDpT10_ENKUlT_T0_E_clISt17integral_constantIbLb1EES1B_IbLb0EEEEDaS17_S18_EUlS17_E_NS1_11comp_targetILNS1_3genE9ELNS1_11target_archE1100ELNS1_3gpuE3ELNS1_3repE0EEENS1_30default_config_static_selectorELNS0_4arch9wavefront6targetE1EEEvT1_,"axG",@progbits,_ZN7rocprim17ROCPRIM_400000_NS6detail17trampoline_kernelINS0_14default_configENS1_25partition_config_selectorILNS1_17partition_subalgoE8ElNS0_10empty_typeEbEEZZNS1_14partition_implILS5_8ELb0ES3_jPlPS6_PKS6_NS0_5tupleIJS9_S6_EEENSD_IJSA_SA_EEENS0_18inequality_wrapperIZN2at6native12_GLOBAL__N_124unique_dim_cuda_templateIdEESt5tupleIJNSH_6TensorESM_SM_EERKSM_lbbbEUlllE0_EEPmJS6_EEE10hipError_tPvRmT3_T4_T5_T6_T7_T9_mT8_P12ihipStream_tbDpT10_ENKUlT_T0_E_clISt17integral_constantIbLb1EES1B_IbLb0EEEEDaS17_S18_EUlS17_E_NS1_11comp_targetILNS1_3genE9ELNS1_11target_archE1100ELNS1_3gpuE3ELNS1_3repE0EEENS1_30default_config_static_selectorELNS0_4arch9wavefront6targetE1EEEvT1_,comdat
.Lfunc_end829:
	.size	_ZN7rocprim17ROCPRIM_400000_NS6detail17trampoline_kernelINS0_14default_configENS1_25partition_config_selectorILNS1_17partition_subalgoE8ElNS0_10empty_typeEbEEZZNS1_14partition_implILS5_8ELb0ES3_jPlPS6_PKS6_NS0_5tupleIJS9_S6_EEENSD_IJSA_SA_EEENS0_18inequality_wrapperIZN2at6native12_GLOBAL__N_124unique_dim_cuda_templateIdEESt5tupleIJNSH_6TensorESM_SM_EERKSM_lbbbEUlllE0_EEPmJS6_EEE10hipError_tPvRmT3_T4_T5_T6_T7_T9_mT8_P12ihipStream_tbDpT10_ENKUlT_T0_E_clISt17integral_constantIbLb1EES1B_IbLb0EEEEDaS17_S18_EUlS17_E_NS1_11comp_targetILNS1_3genE9ELNS1_11target_archE1100ELNS1_3gpuE3ELNS1_3repE0EEENS1_30default_config_static_selectorELNS0_4arch9wavefront6targetE1EEEvT1_, .Lfunc_end829-_ZN7rocprim17ROCPRIM_400000_NS6detail17trampoline_kernelINS0_14default_configENS1_25partition_config_selectorILNS1_17partition_subalgoE8ElNS0_10empty_typeEbEEZZNS1_14partition_implILS5_8ELb0ES3_jPlPS6_PKS6_NS0_5tupleIJS9_S6_EEENSD_IJSA_SA_EEENS0_18inequality_wrapperIZN2at6native12_GLOBAL__N_124unique_dim_cuda_templateIdEESt5tupleIJNSH_6TensorESM_SM_EERKSM_lbbbEUlllE0_EEPmJS6_EEE10hipError_tPvRmT3_T4_T5_T6_T7_T9_mT8_P12ihipStream_tbDpT10_ENKUlT_T0_E_clISt17integral_constantIbLb1EES1B_IbLb0EEEEDaS17_S18_EUlS17_E_NS1_11comp_targetILNS1_3genE9ELNS1_11target_archE1100ELNS1_3gpuE3ELNS1_3repE0EEENS1_30default_config_static_selectorELNS0_4arch9wavefront6targetE1EEEvT1_
                                        ; -- End function
	.section	.AMDGPU.csdata,"",@progbits
; Kernel info:
; codeLenInByte = 0
; NumSgprs: 4
; NumVgprs: 0
; NumAgprs: 0
; TotalNumVgprs: 0
; ScratchSize: 0
; MemoryBound: 0
; FloatMode: 240
; IeeeMode: 1
; LDSByteSize: 0 bytes/workgroup (compile time only)
; SGPRBlocks: 0
; VGPRBlocks: 0
; NumSGPRsForWavesPerEU: 4
; NumVGPRsForWavesPerEU: 1
; AccumOffset: 4
; Occupancy: 8
; WaveLimiterHint : 0
; COMPUTE_PGM_RSRC2:SCRATCH_EN: 0
; COMPUTE_PGM_RSRC2:USER_SGPR: 6
; COMPUTE_PGM_RSRC2:TRAP_HANDLER: 0
; COMPUTE_PGM_RSRC2:TGID_X_EN: 1
; COMPUTE_PGM_RSRC2:TGID_Y_EN: 0
; COMPUTE_PGM_RSRC2:TGID_Z_EN: 0
; COMPUTE_PGM_RSRC2:TIDIG_COMP_CNT: 0
; COMPUTE_PGM_RSRC3_GFX90A:ACCUM_OFFSET: 0
; COMPUTE_PGM_RSRC3_GFX90A:TG_SPLIT: 0
	.section	.text._ZN7rocprim17ROCPRIM_400000_NS6detail17trampoline_kernelINS0_14default_configENS1_25partition_config_selectorILNS1_17partition_subalgoE8ElNS0_10empty_typeEbEEZZNS1_14partition_implILS5_8ELb0ES3_jPlPS6_PKS6_NS0_5tupleIJS9_S6_EEENSD_IJSA_SA_EEENS0_18inequality_wrapperIZN2at6native12_GLOBAL__N_124unique_dim_cuda_templateIdEESt5tupleIJNSH_6TensorESM_SM_EERKSM_lbbbEUlllE0_EEPmJS6_EEE10hipError_tPvRmT3_T4_T5_T6_T7_T9_mT8_P12ihipStream_tbDpT10_ENKUlT_T0_E_clISt17integral_constantIbLb1EES1B_IbLb0EEEEDaS17_S18_EUlS17_E_NS1_11comp_targetILNS1_3genE8ELNS1_11target_archE1030ELNS1_3gpuE2ELNS1_3repE0EEENS1_30default_config_static_selectorELNS0_4arch9wavefront6targetE1EEEvT1_,"axG",@progbits,_ZN7rocprim17ROCPRIM_400000_NS6detail17trampoline_kernelINS0_14default_configENS1_25partition_config_selectorILNS1_17partition_subalgoE8ElNS0_10empty_typeEbEEZZNS1_14partition_implILS5_8ELb0ES3_jPlPS6_PKS6_NS0_5tupleIJS9_S6_EEENSD_IJSA_SA_EEENS0_18inequality_wrapperIZN2at6native12_GLOBAL__N_124unique_dim_cuda_templateIdEESt5tupleIJNSH_6TensorESM_SM_EERKSM_lbbbEUlllE0_EEPmJS6_EEE10hipError_tPvRmT3_T4_T5_T6_T7_T9_mT8_P12ihipStream_tbDpT10_ENKUlT_T0_E_clISt17integral_constantIbLb1EES1B_IbLb0EEEEDaS17_S18_EUlS17_E_NS1_11comp_targetILNS1_3genE8ELNS1_11target_archE1030ELNS1_3gpuE2ELNS1_3repE0EEENS1_30default_config_static_selectorELNS0_4arch9wavefront6targetE1EEEvT1_,comdat
	.globl	_ZN7rocprim17ROCPRIM_400000_NS6detail17trampoline_kernelINS0_14default_configENS1_25partition_config_selectorILNS1_17partition_subalgoE8ElNS0_10empty_typeEbEEZZNS1_14partition_implILS5_8ELb0ES3_jPlPS6_PKS6_NS0_5tupleIJS9_S6_EEENSD_IJSA_SA_EEENS0_18inequality_wrapperIZN2at6native12_GLOBAL__N_124unique_dim_cuda_templateIdEESt5tupleIJNSH_6TensorESM_SM_EERKSM_lbbbEUlllE0_EEPmJS6_EEE10hipError_tPvRmT3_T4_T5_T6_T7_T9_mT8_P12ihipStream_tbDpT10_ENKUlT_T0_E_clISt17integral_constantIbLb1EES1B_IbLb0EEEEDaS17_S18_EUlS17_E_NS1_11comp_targetILNS1_3genE8ELNS1_11target_archE1030ELNS1_3gpuE2ELNS1_3repE0EEENS1_30default_config_static_selectorELNS0_4arch9wavefront6targetE1EEEvT1_ ; -- Begin function _ZN7rocprim17ROCPRIM_400000_NS6detail17trampoline_kernelINS0_14default_configENS1_25partition_config_selectorILNS1_17partition_subalgoE8ElNS0_10empty_typeEbEEZZNS1_14partition_implILS5_8ELb0ES3_jPlPS6_PKS6_NS0_5tupleIJS9_S6_EEENSD_IJSA_SA_EEENS0_18inequality_wrapperIZN2at6native12_GLOBAL__N_124unique_dim_cuda_templateIdEESt5tupleIJNSH_6TensorESM_SM_EERKSM_lbbbEUlllE0_EEPmJS6_EEE10hipError_tPvRmT3_T4_T5_T6_T7_T9_mT8_P12ihipStream_tbDpT10_ENKUlT_T0_E_clISt17integral_constantIbLb1EES1B_IbLb0EEEEDaS17_S18_EUlS17_E_NS1_11comp_targetILNS1_3genE8ELNS1_11target_archE1030ELNS1_3gpuE2ELNS1_3repE0EEENS1_30default_config_static_selectorELNS0_4arch9wavefront6targetE1EEEvT1_
	.p2align	8
	.type	_ZN7rocprim17ROCPRIM_400000_NS6detail17trampoline_kernelINS0_14default_configENS1_25partition_config_selectorILNS1_17partition_subalgoE8ElNS0_10empty_typeEbEEZZNS1_14partition_implILS5_8ELb0ES3_jPlPS6_PKS6_NS0_5tupleIJS9_S6_EEENSD_IJSA_SA_EEENS0_18inequality_wrapperIZN2at6native12_GLOBAL__N_124unique_dim_cuda_templateIdEESt5tupleIJNSH_6TensorESM_SM_EERKSM_lbbbEUlllE0_EEPmJS6_EEE10hipError_tPvRmT3_T4_T5_T6_T7_T9_mT8_P12ihipStream_tbDpT10_ENKUlT_T0_E_clISt17integral_constantIbLb1EES1B_IbLb0EEEEDaS17_S18_EUlS17_E_NS1_11comp_targetILNS1_3genE8ELNS1_11target_archE1030ELNS1_3gpuE2ELNS1_3repE0EEENS1_30default_config_static_selectorELNS0_4arch9wavefront6targetE1EEEvT1_,@function
_ZN7rocprim17ROCPRIM_400000_NS6detail17trampoline_kernelINS0_14default_configENS1_25partition_config_selectorILNS1_17partition_subalgoE8ElNS0_10empty_typeEbEEZZNS1_14partition_implILS5_8ELb0ES3_jPlPS6_PKS6_NS0_5tupleIJS9_S6_EEENSD_IJSA_SA_EEENS0_18inequality_wrapperIZN2at6native12_GLOBAL__N_124unique_dim_cuda_templateIdEESt5tupleIJNSH_6TensorESM_SM_EERKSM_lbbbEUlllE0_EEPmJS6_EEE10hipError_tPvRmT3_T4_T5_T6_T7_T9_mT8_P12ihipStream_tbDpT10_ENKUlT_T0_E_clISt17integral_constantIbLb1EES1B_IbLb0EEEEDaS17_S18_EUlS17_E_NS1_11comp_targetILNS1_3genE8ELNS1_11target_archE1030ELNS1_3gpuE2ELNS1_3repE0EEENS1_30default_config_static_selectorELNS0_4arch9wavefront6targetE1EEEvT1_: ; @_ZN7rocprim17ROCPRIM_400000_NS6detail17trampoline_kernelINS0_14default_configENS1_25partition_config_selectorILNS1_17partition_subalgoE8ElNS0_10empty_typeEbEEZZNS1_14partition_implILS5_8ELb0ES3_jPlPS6_PKS6_NS0_5tupleIJS9_S6_EEENSD_IJSA_SA_EEENS0_18inequality_wrapperIZN2at6native12_GLOBAL__N_124unique_dim_cuda_templateIdEESt5tupleIJNSH_6TensorESM_SM_EERKSM_lbbbEUlllE0_EEPmJS6_EEE10hipError_tPvRmT3_T4_T5_T6_T7_T9_mT8_P12ihipStream_tbDpT10_ENKUlT_T0_E_clISt17integral_constantIbLb1EES1B_IbLb0EEEEDaS17_S18_EUlS17_E_NS1_11comp_targetILNS1_3genE8ELNS1_11target_archE1030ELNS1_3gpuE2ELNS1_3repE0EEENS1_30default_config_static_selectorELNS0_4arch9wavefront6targetE1EEEvT1_
; %bb.0:
	.section	.rodata,"a",@progbits
	.p2align	6, 0x0
	.amdhsa_kernel _ZN7rocprim17ROCPRIM_400000_NS6detail17trampoline_kernelINS0_14default_configENS1_25partition_config_selectorILNS1_17partition_subalgoE8ElNS0_10empty_typeEbEEZZNS1_14partition_implILS5_8ELb0ES3_jPlPS6_PKS6_NS0_5tupleIJS9_S6_EEENSD_IJSA_SA_EEENS0_18inequality_wrapperIZN2at6native12_GLOBAL__N_124unique_dim_cuda_templateIdEESt5tupleIJNSH_6TensorESM_SM_EERKSM_lbbbEUlllE0_EEPmJS6_EEE10hipError_tPvRmT3_T4_T5_T6_T7_T9_mT8_P12ihipStream_tbDpT10_ENKUlT_T0_E_clISt17integral_constantIbLb1EES1B_IbLb0EEEEDaS17_S18_EUlS17_E_NS1_11comp_targetILNS1_3genE8ELNS1_11target_archE1030ELNS1_3gpuE2ELNS1_3repE0EEENS1_30default_config_static_selectorELNS0_4arch9wavefront6targetE1EEEvT1_
		.amdhsa_group_segment_fixed_size 0
		.amdhsa_private_segment_fixed_size 0
		.amdhsa_kernarg_size 120
		.amdhsa_user_sgpr_count 6
		.amdhsa_user_sgpr_private_segment_buffer 1
		.amdhsa_user_sgpr_dispatch_ptr 0
		.amdhsa_user_sgpr_queue_ptr 0
		.amdhsa_user_sgpr_kernarg_segment_ptr 1
		.amdhsa_user_sgpr_dispatch_id 0
		.amdhsa_user_sgpr_flat_scratch_init 0
		.amdhsa_user_sgpr_kernarg_preload_length 0
		.amdhsa_user_sgpr_kernarg_preload_offset 0
		.amdhsa_user_sgpr_private_segment_size 0
		.amdhsa_uses_dynamic_stack 0
		.amdhsa_system_sgpr_private_segment_wavefront_offset 0
		.amdhsa_system_sgpr_workgroup_id_x 1
		.amdhsa_system_sgpr_workgroup_id_y 0
		.amdhsa_system_sgpr_workgroup_id_z 0
		.amdhsa_system_sgpr_workgroup_info 0
		.amdhsa_system_vgpr_workitem_id 0
		.amdhsa_next_free_vgpr 1
		.amdhsa_next_free_sgpr 0
		.amdhsa_accum_offset 4
		.amdhsa_reserve_vcc 0
		.amdhsa_reserve_flat_scratch 0
		.amdhsa_float_round_mode_32 0
		.amdhsa_float_round_mode_16_64 0
		.amdhsa_float_denorm_mode_32 3
		.amdhsa_float_denorm_mode_16_64 3
		.amdhsa_dx10_clamp 1
		.amdhsa_ieee_mode 1
		.amdhsa_fp16_overflow 0
		.amdhsa_tg_split 0
		.amdhsa_exception_fp_ieee_invalid_op 0
		.amdhsa_exception_fp_denorm_src 0
		.amdhsa_exception_fp_ieee_div_zero 0
		.amdhsa_exception_fp_ieee_overflow 0
		.amdhsa_exception_fp_ieee_underflow 0
		.amdhsa_exception_fp_ieee_inexact 0
		.amdhsa_exception_int_div_zero 0
	.end_amdhsa_kernel
	.section	.text._ZN7rocprim17ROCPRIM_400000_NS6detail17trampoline_kernelINS0_14default_configENS1_25partition_config_selectorILNS1_17partition_subalgoE8ElNS0_10empty_typeEbEEZZNS1_14partition_implILS5_8ELb0ES3_jPlPS6_PKS6_NS0_5tupleIJS9_S6_EEENSD_IJSA_SA_EEENS0_18inequality_wrapperIZN2at6native12_GLOBAL__N_124unique_dim_cuda_templateIdEESt5tupleIJNSH_6TensorESM_SM_EERKSM_lbbbEUlllE0_EEPmJS6_EEE10hipError_tPvRmT3_T4_T5_T6_T7_T9_mT8_P12ihipStream_tbDpT10_ENKUlT_T0_E_clISt17integral_constantIbLb1EES1B_IbLb0EEEEDaS17_S18_EUlS17_E_NS1_11comp_targetILNS1_3genE8ELNS1_11target_archE1030ELNS1_3gpuE2ELNS1_3repE0EEENS1_30default_config_static_selectorELNS0_4arch9wavefront6targetE1EEEvT1_,"axG",@progbits,_ZN7rocprim17ROCPRIM_400000_NS6detail17trampoline_kernelINS0_14default_configENS1_25partition_config_selectorILNS1_17partition_subalgoE8ElNS0_10empty_typeEbEEZZNS1_14partition_implILS5_8ELb0ES3_jPlPS6_PKS6_NS0_5tupleIJS9_S6_EEENSD_IJSA_SA_EEENS0_18inequality_wrapperIZN2at6native12_GLOBAL__N_124unique_dim_cuda_templateIdEESt5tupleIJNSH_6TensorESM_SM_EERKSM_lbbbEUlllE0_EEPmJS6_EEE10hipError_tPvRmT3_T4_T5_T6_T7_T9_mT8_P12ihipStream_tbDpT10_ENKUlT_T0_E_clISt17integral_constantIbLb1EES1B_IbLb0EEEEDaS17_S18_EUlS17_E_NS1_11comp_targetILNS1_3genE8ELNS1_11target_archE1030ELNS1_3gpuE2ELNS1_3repE0EEENS1_30default_config_static_selectorELNS0_4arch9wavefront6targetE1EEEvT1_,comdat
.Lfunc_end830:
	.size	_ZN7rocprim17ROCPRIM_400000_NS6detail17trampoline_kernelINS0_14default_configENS1_25partition_config_selectorILNS1_17partition_subalgoE8ElNS0_10empty_typeEbEEZZNS1_14partition_implILS5_8ELb0ES3_jPlPS6_PKS6_NS0_5tupleIJS9_S6_EEENSD_IJSA_SA_EEENS0_18inequality_wrapperIZN2at6native12_GLOBAL__N_124unique_dim_cuda_templateIdEESt5tupleIJNSH_6TensorESM_SM_EERKSM_lbbbEUlllE0_EEPmJS6_EEE10hipError_tPvRmT3_T4_T5_T6_T7_T9_mT8_P12ihipStream_tbDpT10_ENKUlT_T0_E_clISt17integral_constantIbLb1EES1B_IbLb0EEEEDaS17_S18_EUlS17_E_NS1_11comp_targetILNS1_3genE8ELNS1_11target_archE1030ELNS1_3gpuE2ELNS1_3repE0EEENS1_30default_config_static_selectorELNS0_4arch9wavefront6targetE1EEEvT1_, .Lfunc_end830-_ZN7rocprim17ROCPRIM_400000_NS6detail17trampoline_kernelINS0_14default_configENS1_25partition_config_selectorILNS1_17partition_subalgoE8ElNS0_10empty_typeEbEEZZNS1_14partition_implILS5_8ELb0ES3_jPlPS6_PKS6_NS0_5tupleIJS9_S6_EEENSD_IJSA_SA_EEENS0_18inequality_wrapperIZN2at6native12_GLOBAL__N_124unique_dim_cuda_templateIdEESt5tupleIJNSH_6TensorESM_SM_EERKSM_lbbbEUlllE0_EEPmJS6_EEE10hipError_tPvRmT3_T4_T5_T6_T7_T9_mT8_P12ihipStream_tbDpT10_ENKUlT_T0_E_clISt17integral_constantIbLb1EES1B_IbLb0EEEEDaS17_S18_EUlS17_E_NS1_11comp_targetILNS1_3genE8ELNS1_11target_archE1030ELNS1_3gpuE2ELNS1_3repE0EEENS1_30default_config_static_selectorELNS0_4arch9wavefront6targetE1EEEvT1_
                                        ; -- End function
	.section	.AMDGPU.csdata,"",@progbits
; Kernel info:
; codeLenInByte = 0
; NumSgprs: 4
; NumVgprs: 0
; NumAgprs: 0
; TotalNumVgprs: 0
; ScratchSize: 0
; MemoryBound: 0
; FloatMode: 240
; IeeeMode: 1
; LDSByteSize: 0 bytes/workgroup (compile time only)
; SGPRBlocks: 0
; VGPRBlocks: 0
; NumSGPRsForWavesPerEU: 4
; NumVGPRsForWavesPerEU: 1
; AccumOffset: 4
; Occupancy: 8
; WaveLimiterHint : 0
; COMPUTE_PGM_RSRC2:SCRATCH_EN: 0
; COMPUTE_PGM_RSRC2:USER_SGPR: 6
; COMPUTE_PGM_RSRC2:TRAP_HANDLER: 0
; COMPUTE_PGM_RSRC2:TGID_X_EN: 1
; COMPUTE_PGM_RSRC2:TGID_Y_EN: 0
; COMPUTE_PGM_RSRC2:TGID_Z_EN: 0
; COMPUTE_PGM_RSRC2:TIDIG_COMP_CNT: 0
; COMPUTE_PGM_RSRC3_GFX90A:ACCUM_OFFSET: 0
; COMPUTE_PGM_RSRC3_GFX90A:TG_SPLIT: 0
	.section	.text._ZN7rocprim17ROCPRIM_400000_NS6detail17trampoline_kernelINS0_14default_configENS1_25partition_config_selectorILNS1_17partition_subalgoE8ElNS0_10empty_typeEbEEZZNS1_14partition_implILS5_8ELb0ES3_jPlPS6_PKS6_NS0_5tupleIJS9_S6_EEENSD_IJSA_SA_EEENS0_18inequality_wrapperIZN2at6native12_GLOBAL__N_124unique_dim_cuda_templateIdEESt5tupleIJNSH_6TensorESM_SM_EERKSM_lbbbEUlllE0_EEPmJS6_EEE10hipError_tPvRmT3_T4_T5_T6_T7_T9_mT8_P12ihipStream_tbDpT10_ENKUlT_T0_E_clISt17integral_constantIbLb0EES1B_IbLb1EEEEDaS17_S18_EUlS17_E_NS1_11comp_targetILNS1_3genE0ELNS1_11target_archE4294967295ELNS1_3gpuE0ELNS1_3repE0EEENS1_30default_config_static_selectorELNS0_4arch9wavefront6targetE1EEEvT1_,"axG",@progbits,_ZN7rocprim17ROCPRIM_400000_NS6detail17trampoline_kernelINS0_14default_configENS1_25partition_config_selectorILNS1_17partition_subalgoE8ElNS0_10empty_typeEbEEZZNS1_14partition_implILS5_8ELb0ES3_jPlPS6_PKS6_NS0_5tupleIJS9_S6_EEENSD_IJSA_SA_EEENS0_18inequality_wrapperIZN2at6native12_GLOBAL__N_124unique_dim_cuda_templateIdEESt5tupleIJNSH_6TensorESM_SM_EERKSM_lbbbEUlllE0_EEPmJS6_EEE10hipError_tPvRmT3_T4_T5_T6_T7_T9_mT8_P12ihipStream_tbDpT10_ENKUlT_T0_E_clISt17integral_constantIbLb0EES1B_IbLb1EEEEDaS17_S18_EUlS17_E_NS1_11comp_targetILNS1_3genE0ELNS1_11target_archE4294967295ELNS1_3gpuE0ELNS1_3repE0EEENS1_30default_config_static_selectorELNS0_4arch9wavefront6targetE1EEEvT1_,comdat
	.globl	_ZN7rocprim17ROCPRIM_400000_NS6detail17trampoline_kernelINS0_14default_configENS1_25partition_config_selectorILNS1_17partition_subalgoE8ElNS0_10empty_typeEbEEZZNS1_14partition_implILS5_8ELb0ES3_jPlPS6_PKS6_NS0_5tupleIJS9_S6_EEENSD_IJSA_SA_EEENS0_18inequality_wrapperIZN2at6native12_GLOBAL__N_124unique_dim_cuda_templateIdEESt5tupleIJNSH_6TensorESM_SM_EERKSM_lbbbEUlllE0_EEPmJS6_EEE10hipError_tPvRmT3_T4_T5_T6_T7_T9_mT8_P12ihipStream_tbDpT10_ENKUlT_T0_E_clISt17integral_constantIbLb0EES1B_IbLb1EEEEDaS17_S18_EUlS17_E_NS1_11comp_targetILNS1_3genE0ELNS1_11target_archE4294967295ELNS1_3gpuE0ELNS1_3repE0EEENS1_30default_config_static_selectorELNS0_4arch9wavefront6targetE1EEEvT1_ ; -- Begin function _ZN7rocprim17ROCPRIM_400000_NS6detail17trampoline_kernelINS0_14default_configENS1_25partition_config_selectorILNS1_17partition_subalgoE8ElNS0_10empty_typeEbEEZZNS1_14partition_implILS5_8ELb0ES3_jPlPS6_PKS6_NS0_5tupleIJS9_S6_EEENSD_IJSA_SA_EEENS0_18inequality_wrapperIZN2at6native12_GLOBAL__N_124unique_dim_cuda_templateIdEESt5tupleIJNSH_6TensorESM_SM_EERKSM_lbbbEUlllE0_EEPmJS6_EEE10hipError_tPvRmT3_T4_T5_T6_T7_T9_mT8_P12ihipStream_tbDpT10_ENKUlT_T0_E_clISt17integral_constantIbLb0EES1B_IbLb1EEEEDaS17_S18_EUlS17_E_NS1_11comp_targetILNS1_3genE0ELNS1_11target_archE4294967295ELNS1_3gpuE0ELNS1_3repE0EEENS1_30default_config_static_selectorELNS0_4arch9wavefront6targetE1EEEvT1_
	.p2align	8
	.type	_ZN7rocprim17ROCPRIM_400000_NS6detail17trampoline_kernelINS0_14default_configENS1_25partition_config_selectorILNS1_17partition_subalgoE8ElNS0_10empty_typeEbEEZZNS1_14partition_implILS5_8ELb0ES3_jPlPS6_PKS6_NS0_5tupleIJS9_S6_EEENSD_IJSA_SA_EEENS0_18inequality_wrapperIZN2at6native12_GLOBAL__N_124unique_dim_cuda_templateIdEESt5tupleIJNSH_6TensorESM_SM_EERKSM_lbbbEUlllE0_EEPmJS6_EEE10hipError_tPvRmT3_T4_T5_T6_T7_T9_mT8_P12ihipStream_tbDpT10_ENKUlT_T0_E_clISt17integral_constantIbLb0EES1B_IbLb1EEEEDaS17_S18_EUlS17_E_NS1_11comp_targetILNS1_3genE0ELNS1_11target_archE4294967295ELNS1_3gpuE0ELNS1_3repE0EEENS1_30default_config_static_selectorELNS0_4arch9wavefront6targetE1EEEvT1_,@function
_ZN7rocprim17ROCPRIM_400000_NS6detail17trampoline_kernelINS0_14default_configENS1_25partition_config_selectorILNS1_17partition_subalgoE8ElNS0_10empty_typeEbEEZZNS1_14partition_implILS5_8ELb0ES3_jPlPS6_PKS6_NS0_5tupleIJS9_S6_EEENSD_IJSA_SA_EEENS0_18inequality_wrapperIZN2at6native12_GLOBAL__N_124unique_dim_cuda_templateIdEESt5tupleIJNSH_6TensorESM_SM_EERKSM_lbbbEUlllE0_EEPmJS6_EEE10hipError_tPvRmT3_T4_T5_T6_T7_T9_mT8_P12ihipStream_tbDpT10_ENKUlT_T0_E_clISt17integral_constantIbLb0EES1B_IbLb1EEEEDaS17_S18_EUlS17_E_NS1_11comp_targetILNS1_3genE0ELNS1_11target_archE4294967295ELNS1_3gpuE0ELNS1_3repE0EEENS1_30default_config_static_selectorELNS0_4arch9wavefront6targetE1EEEvT1_: ; @_ZN7rocprim17ROCPRIM_400000_NS6detail17trampoline_kernelINS0_14default_configENS1_25partition_config_selectorILNS1_17partition_subalgoE8ElNS0_10empty_typeEbEEZZNS1_14partition_implILS5_8ELb0ES3_jPlPS6_PKS6_NS0_5tupleIJS9_S6_EEENSD_IJSA_SA_EEENS0_18inequality_wrapperIZN2at6native12_GLOBAL__N_124unique_dim_cuda_templateIdEESt5tupleIJNSH_6TensorESM_SM_EERKSM_lbbbEUlllE0_EEPmJS6_EEE10hipError_tPvRmT3_T4_T5_T6_T7_T9_mT8_P12ihipStream_tbDpT10_ENKUlT_T0_E_clISt17integral_constantIbLb0EES1B_IbLb1EEEEDaS17_S18_EUlS17_E_NS1_11comp_targetILNS1_3genE0ELNS1_11target_archE4294967295ELNS1_3gpuE0ELNS1_3repE0EEENS1_30default_config_static_selectorELNS0_4arch9wavefront6targetE1EEEvT1_
; %bb.0:
	.section	.rodata,"a",@progbits
	.p2align	6, 0x0
	.amdhsa_kernel _ZN7rocprim17ROCPRIM_400000_NS6detail17trampoline_kernelINS0_14default_configENS1_25partition_config_selectorILNS1_17partition_subalgoE8ElNS0_10empty_typeEbEEZZNS1_14partition_implILS5_8ELb0ES3_jPlPS6_PKS6_NS0_5tupleIJS9_S6_EEENSD_IJSA_SA_EEENS0_18inequality_wrapperIZN2at6native12_GLOBAL__N_124unique_dim_cuda_templateIdEESt5tupleIJNSH_6TensorESM_SM_EERKSM_lbbbEUlllE0_EEPmJS6_EEE10hipError_tPvRmT3_T4_T5_T6_T7_T9_mT8_P12ihipStream_tbDpT10_ENKUlT_T0_E_clISt17integral_constantIbLb0EES1B_IbLb1EEEEDaS17_S18_EUlS17_E_NS1_11comp_targetILNS1_3genE0ELNS1_11target_archE4294967295ELNS1_3gpuE0ELNS1_3repE0EEENS1_30default_config_static_selectorELNS0_4arch9wavefront6targetE1EEEvT1_
		.amdhsa_group_segment_fixed_size 0
		.amdhsa_private_segment_fixed_size 0
		.amdhsa_kernarg_size 136
		.amdhsa_user_sgpr_count 6
		.amdhsa_user_sgpr_private_segment_buffer 1
		.amdhsa_user_sgpr_dispatch_ptr 0
		.amdhsa_user_sgpr_queue_ptr 0
		.amdhsa_user_sgpr_kernarg_segment_ptr 1
		.amdhsa_user_sgpr_dispatch_id 0
		.amdhsa_user_sgpr_flat_scratch_init 0
		.amdhsa_user_sgpr_kernarg_preload_length 0
		.amdhsa_user_sgpr_kernarg_preload_offset 0
		.amdhsa_user_sgpr_private_segment_size 0
		.amdhsa_uses_dynamic_stack 0
		.amdhsa_system_sgpr_private_segment_wavefront_offset 0
		.amdhsa_system_sgpr_workgroup_id_x 1
		.amdhsa_system_sgpr_workgroup_id_y 0
		.amdhsa_system_sgpr_workgroup_id_z 0
		.amdhsa_system_sgpr_workgroup_info 0
		.amdhsa_system_vgpr_workitem_id 0
		.amdhsa_next_free_vgpr 1
		.amdhsa_next_free_sgpr 0
		.amdhsa_accum_offset 4
		.amdhsa_reserve_vcc 0
		.amdhsa_reserve_flat_scratch 0
		.amdhsa_float_round_mode_32 0
		.amdhsa_float_round_mode_16_64 0
		.amdhsa_float_denorm_mode_32 3
		.amdhsa_float_denorm_mode_16_64 3
		.amdhsa_dx10_clamp 1
		.amdhsa_ieee_mode 1
		.amdhsa_fp16_overflow 0
		.amdhsa_tg_split 0
		.amdhsa_exception_fp_ieee_invalid_op 0
		.amdhsa_exception_fp_denorm_src 0
		.amdhsa_exception_fp_ieee_div_zero 0
		.amdhsa_exception_fp_ieee_overflow 0
		.amdhsa_exception_fp_ieee_underflow 0
		.amdhsa_exception_fp_ieee_inexact 0
		.amdhsa_exception_int_div_zero 0
	.end_amdhsa_kernel
	.section	.text._ZN7rocprim17ROCPRIM_400000_NS6detail17trampoline_kernelINS0_14default_configENS1_25partition_config_selectorILNS1_17partition_subalgoE8ElNS0_10empty_typeEbEEZZNS1_14partition_implILS5_8ELb0ES3_jPlPS6_PKS6_NS0_5tupleIJS9_S6_EEENSD_IJSA_SA_EEENS0_18inequality_wrapperIZN2at6native12_GLOBAL__N_124unique_dim_cuda_templateIdEESt5tupleIJNSH_6TensorESM_SM_EERKSM_lbbbEUlllE0_EEPmJS6_EEE10hipError_tPvRmT3_T4_T5_T6_T7_T9_mT8_P12ihipStream_tbDpT10_ENKUlT_T0_E_clISt17integral_constantIbLb0EES1B_IbLb1EEEEDaS17_S18_EUlS17_E_NS1_11comp_targetILNS1_3genE0ELNS1_11target_archE4294967295ELNS1_3gpuE0ELNS1_3repE0EEENS1_30default_config_static_selectorELNS0_4arch9wavefront6targetE1EEEvT1_,"axG",@progbits,_ZN7rocprim17ROCPRIM_400000_NS6detail17trampoline_kernelINS0_14default_configENS1_25partition_config_selectorILNS1_17partition_subalgoE8ElNS0_10empty_typeEbEEZZNS1_14partition_implILS5_8ELb0ES3_jPlPS6_PKS6_NS0_5tupleIJS9_S6_EEENSD_IJSA_SA_EEENS0_18inequality_wrapperIZN2at6native12_GLOBAL__N_124unique_dim_cuda_templateIdEESt5tupleIJNSH_6TensorESM_SM_EERKSM_lbbbEUlllE0_EEPmJS6_EEE10hipError_tPvRmT3_T4_T5_T6_T7_T9_mT8_P12ihipStream_tbDpT10_ENKUlT_T0_E_clISt17integral_constantIbLb0EES1B_IbLb1EEEEDaS17_S18_EUlS17_E_NS1_11comp_targetILNS1_3genE0ELNS1_11target_archE4294967295ELNS1_3gpuE0ELNS1_3repE0EEENS1_30default_config_static_selectorELNS0_4arch9wavefront6targetE1EEEvT1_,comdat
.Lfunc_end831:
	.size	_ZN7rocprim17ROCPRIM_400000_NS6detail17trampoline_kernelINS0_14default_configENS1_25partition_config_selectorILNS1_17partition_subalgoE8ElNS0_10empty_typeEbEEZZNS1_14partition_implILS5_8ELb0ES3_jPlPS6_PKS6_NS0_5tupleIJS9_S6_EEENSD_IJSA_SA_EEENS0_18inequality_wrapperIZN2at6native12_GLOBAL__N_124unique_dim_cuda_templateIdEESt5tupleIJNSH_6TensorESM_SM_EERKSM_lbbbEUlllE0_EEPmJS6_EEE10hipError_tPvRmT3_T4_T5_T6_T7_T9_mT8_P12ihipStream_tbDpT10_ENKUlT_T0_E_clISt17integral_constantIbLb0EES1B_IbLb1EEEEDaS17_S18_EUlS17_E_NS1_11comp_targetILNS1_3genE0ELNS1_11target_archE4294967295ELNS1_3gpuE0ELNS1_3repE0EEENS1_30default_config_static_selectorELNS0_4arch9wavefront6targetE1EEEvT1_, .Lfunc_end831-_ZN7rocprim17ROCPRIM_400000_NS6detail17trampoline_kernelINS0_14default_configENS1_25partition_config_selectorILNS1_17partition_subalgoE8ElNS0_10empty_typeEbEEZZNS1_14partition_implILS5_8ELb0ES3_jPlPS6_PKS6_NS0_5tupleIJS9_S6_EEENSD_IJSA_SA_EEENS0_18inequality_wrapperIZN2at6native12_GLOBAL__N_124unique_dim_cuda_templateIdEESt5tupleIJNSH_6TensorESM_SM_EERKSM_lbbbEUlllE0_EEPmJS6_EEE10hipError_tPvRmT3_T4_T5_T6_T7_T9_mT8_P12ihipStream_tbDpT10_ENKUlT_T0_E_clISt17integral_constantIbLb0EES1B_IbLb1EEEEDaS17_S18_EUlS17_E_NS1_11comp_targetILNS1_3genE0ELNS1_11target_archE4294967295ELNS1_3gpuE0ELNS1_3repE0EEENS1_30default_config_static_selectorELNS0_4arch9wavefront6targetE1EEEvT1_
                                        ; -- End function
	.section	.AMDGPU.csdata,"",@progbits
; Kernel info:
; codeLenInByte = 0
; NumSgprs: 4
; NumVgprs: 0
; NumAgprs: 0
; TotalNumVgprs: 0
; ScratchSize: 0
; MemoryBound: 0
; FloatMode: 240
; IeeeMode: 1
; LDSByteSize: 0 bytes/workgroup (compile time only)
; SGPRBlocks: 0
; VGPRBlocks: 0
; NumSGPRsForWavesPerEU: 4
; NumVGPRsForWavesPerEU: 1
; AccumOffset: 4
; Occupancy: 8
; WaveLimiterHint : 0
; COMPUTE_PGM_RSRC2:SCRATCH_EN: 0
; COMPUTE_PGM_RSRC2:USER_SGPR: 6
; COMPUTE_PGM_RSRC2:TRAP_HANDLER: 0
; COMPUTE_PGM_RSRC2:TGID_X_EN: 1
; COMPUTE_PGM_RSRC2:TGID_Y_EN: 0
; COMPUTE_PGM_RSRC2:TGID_Z_EN: 0
; COMPUTE_PGM_RSRC2:TIDIG_COMP_CNT: 0
; COMPUTE_PGM_RSRC3_GFX90A:ACCUM_OFFSET: 0
; COMPUTE_PGM_RSRC3_GFX90A:TG_SPLIT: 0
	.section	.text._ZN7rocprim17ROCPRIM_400000_NS6detail17trampoline_kernelINS0_14default_configENS1_25partition_config_selectorILNS1_17partition_subalgoE8ElNS0_10empty_typeEbEEZZNS1_14partition_implILS5_8ELb0ES3_jPlPS6_PKS6_NS0_5tupleIJS9_S6_EEENSD_IJSA_SA_EEENS0_18inequality_wrapperIZN2at6native12_GLOBAL__N_124unique_dim_cuda_templateIdEESt5tupleIJNSH_6TensorESM_SM_EERKSM_lbbbEUlllE0_EEPmJS6_EEE10hipError_tPvRmT3_T4_T5_T6_T7_T9_mT8_P12ihipStream_tbDpT10_ENKUlT_T0_E_clISt17integral_constantIbLb0EES1B_IbLb1EEEEDaS17_S18_EUlS17_E_NS1_11comp_targetILNS1_3genE5ELNS1_11target_archE942ELNS1_3gpuE9ELNS1_3repE0EEENS1_30default_config_static_selectorELNS0_4arch9wavefront6targetE1EEEvT1_,"axG",@progbits,_ZN7rocprim17ROCPRIM_400000_NS6detail17trampoline_kernelINS0_14default_configENS1_25partition_config_selectorILNS1_17partition_subalgoE8ElNS0_10empty_typeEbEEZZNS1_14partition_implILS5_8ELb0ES3_jPlPS6_PKS6_NS0_5tupleIJS9_S6_EEENSD_IJSA_SA_EEENS0_18inequality_wrapperIZN2at6native12_GLOBAL__N_124unique_dim_cuda_templateIdEESt5tupleIJNSH_6TensorESM_SM_EERKSM_lbbbEUlllE0_EEPmJS6_EEE10hipError_tPvRmT3_T4_T5_T6_T7_T9_mT8_P12ihipStream_tbDpT10_ENKUlT_T0_E_clISt17integral_constantIbLb0EES1B_IbLb1EEEEDaS17_S18_EUlS17_E_NS1_11comp_targetILNS1_3genE5ELNS1_11target_archE942ELNS1_3gpuE9ELNS1_3repE0EEENS1_30default_config_static_selectorELNS0_4arch9wavefront6targetE1EEEvT1_,comdat
	.globl	_ZN7rocprim17ROCPRIM_400000_NS6detail17trampoline_kernelINS0_14default_configENS1_25partition_config_selectorILNS1_17partition_subalgoE8ElNS0_10empty_typeEbEEZZNS1_14partition_implILS5_8ELb0ES3_jPlPS6_PKS6_NS0_5tupleIJS9_S6_EEENSD_IJSA_SA_EEENS0_18inequality_wrapperIZN2at6native12_GLOBAL__N_124unique_dim_cuda_templateIdEESt5tupleIJNSH_6TensorESM_SM_EERKSM_lbbbEUlllE0_EEPmJS6_EEE10hipError_tPvRmT3_T4_T5_T6_T7_T9_mT8_P12ihipStream_tbDpT10_ENKUlT_T0_E_clISt17integral_constantIbLb0EES1B_IbLb1EEEEDaS17_S18_EUlS17_E_NS1_11comp_targetILNS1_3genE5ELNS1_11target_archE942ELNS1_3gpuE9ELNS1_3repE0EEENS1_30default_config_static_selectorELNS0_4arch9wavefront6targetE1EEEvT1_ ; -- Begin function _ZN7rocprim17ROCPRIM_400000_NS6detail17trampoline_kernelINS0_14default_configENS1_25partition_config_selectorILNS1_17partition_subalgoE8ElNS0_10empty_typeEbEEZZNS1_14partition_implILS5_8ELb0ES3_jPlPS6_PKS6_NS0_5tupleIJS9_S6_EEENSD_IJSA_SA_EEENS0_18inequality_wrapperIZN2at6native12_GLOBAL__N_124unique_dim_cuda_templateIdEESt5tupleIJNSH_6TensorESM_SM_EERKSM_lbbbEUlllE0_EEPmJS6_EEE10hipError_tPvRmT3_T4_T5_T6_T7_T9_mT8_P12ihipStream_tbDpT10_ENKUlT_T0_E_clISt17integral_constantIbLb0EES1B_IbLb1EEEEDaS17_S18_EUlS17_E_NS1_11comp_targetILNS1_3genE5ELNS1_11target_archE942ELNS1_3gpuE9ELNS1_3repE0EEENS1_30default_config_static_selectorELNS0_4arch9wavefront6targetE1EEEvT1_
	.p2align	8
	.type	_ZN7rocprim17ROCPRIM_400000_NS6detail17trampoline_kernelINS0_14default_configENS1_25partition_config_selectorILNS1_17partition_subalgoE8ElNS0_10empty_typeEbEEZZNS1_14partition_implILS5_8ELb0ES3_jPlPS6_PKS6_NS0_5tupleIJS9_S6_EEENSD_IJSA_SA_EEENS0_18inequality_wrapperIZN2at6native12_GLOBAL__N_124unique_dim_cuda_templateIdEESt5tupleIJNSH_6TensorESM_SM_EERKSM_lbbbEUlllE0_EEPmJS6_EEE10hipError_tPvRmT3_T4_T5_T6_T7_T9_mT8_P12ihipStream_tbDpT10_ENKUlT_T0_E_clISt17integral_constantIbLb0EES1B_IbLb1EEEEDaS17_S18_EUlS17_E_NS1_11comp_targetILNS1_3genE5ELNS1_11target_archE942ELNS1_3gpuE9ELNS1_3repE0EEENS1_30default_config_static_selectorELNS0_4arch9wavefront6targetE1EEEvT1_,@function
_ZN7rocprim17ROCPRIM_400000_NS6detail17trampoline_kernelINS0_14default_configENS1_25partition_config_selectorILNS1_17partition_subalgoE8ElNS0_10empty_typeEbEEZZNS1_14partition_implILS5_8ELb0ES3_jPlPS6_PKS6_NS0_5tupleIJS9_S6_EEENSD_IJSA_SA_EEENS0_18inequality_wrapperIZN2at6native12_GLOBAL__N_124unique_dim_cuda_templateIdEESt5tupleIJNSH_6TensorESM_SM_EERKSM_lbbbEUlllE0_EEPmJS6_EEE10hipError_tPvRmT3_T4_T5_T6_T7_T9_mT8_P12ihipStream_tbDpT10_ENKUlT_T0_E_clISt17integral_constantIbLb0EES1B_IbLb1EEEEDaS17_S18_EUlS17_E_NS1_11comp_targetILNS1_3genE5ELNS1_11target_archE942ELNS1_3gpuE9ELNS1_3repE0EEENS1_30default_config_static_selectorELNS0_4arch9wavefront6targetE1EEEvT1_: ; @_ZN7rocprim17ROCPRIM_400000_NS6detail17trampoline_kernelINS0_14default_configENS1_25partition_config_selectorILNS1_17partition_subalgoE8ElNS0_10empty_typeEbEEZZNS1_14partition_implILS5_8ELb0ES3_jPlPS6_PKS6_NS0_5tupleIJS9_S6_EEENSD_IJSA_SA_EEENS0_18inequality_wrapperIZN2at6native12_GLOBAL__N_124unique_dim_cuda_templateIdEESt5tupleIJNSH_6TensorESM_SM_EERKSM_lbbbEUlllE0_EEPmJS6_EEE10hipError_tPvRmT3_T4_T5_T6_T7_T9_mT8_P12ihipStream_tbDpT10_ENKUlT_T0_E_clISt17integral_constantIbLb0EES1B_IbLb1EEEEDaS17_S18_EUlS17_E_NS1_11comp_targetILNS1_3genE5ELNS1_11target_archE942ELNS1_3gpuE9ELNS1_3repE0EEENS1_30default_config_static_selectorELNS0_4arch9wavefront6targetE1EEEvT1_
; %bb.0:
	.section	.rodata,"a",@progbits
	.p2align	6, 0x0
	.amdhsa_kernel _ZN7rocprim17ROCPRIM_400000_NS6detail17trampoline_kernelINS0_14default_configENS1_25partition_config_selectorILNS1_17partition_subalgoE8ElNS0_10empty_typeEbEEZZNS1_14partition_implILS5_8ELb0ES3_jPlPS6_PKS6_NS0_5tupleIJS9_S6_EEENSD_IJSA_SA_EEENS0_18inequality_wrapperIZN2at6native12_GLOBAL__N_124unique_dim_cuda_templateIdEESt5tupleIJNSH_6TensorESM_SM_EERKSM_lbbbEUlllE0_EEPmJS6_EEE10hipError_tPvRmT3_T4_T5_T6_T7_T9_mT8_P12ihipStream_tbDpT10_ENKUlT_T0_E_clISt17integral_constantIbLb0EES1B_IbLb1EEEEDaS17_S18_EUlS17_E_NS1_11comp_targetILNS1_3genE5ELNS1_11target_archE942ELNS1_3gpuE9ELNS1_3repE0EEENS1_30default_config_static_selectorELNS0_4arch9wavefront6targetE1EEEvT1_
		.amdhsa_group_segment_fixed_size 0
		.amdhsa_private_segment_fixed_size 0
		.amdhsa_kernarg_size 136
		.amdhsa_user_sgpr_count 6
		.amdhsa_user_sgpr_private_segment_buffer 1
		.amdhsa_user_sgpr_dispatch_ptr 0
		.amdhsa_user_sgpr_queue_ptr 0
		.amdhsa_user_sgpr_kernarg_segment_ptr 1
		.amdhsa_user_sgpr_dispatch_id 0
		.amdhsa_user_sgpr_flat_scratch_init 0
		.amdhsa_user_sgpr_kernarg_preload_length 0
		.amdhsa_user_sgpr_kernarg_preload_offset 0
		.amdhsa_user_sgpr_private_segment_size 0
		.amdhsa_uses_dynamic_stack 0
		.amdhsa_system_sgpr_private_segment_wavefront_offset 0
		.amdhsa_system_sgpr_workgroup_id_x 1
		.amdhsa_system_sgpr_workgroup_id_y 0
		.amdhsa_system_sgpr_workgroup_id_z 0
		.amdhsa_system_sgpr_workgroup_info 0
		.amdhsa_system_vgpr_workitem_id 0
		.amdhsa_next_free_vgpr 1
		.amdhsa_next_free_sgpr 0
		.amdhsa_accum_offset 4
		.amdhsa_reserve_vcc 0
		.amdhsa_reserve_flat_scratch 0
		.amdhsa_float_round_mode_32 0
		.amdhsa_float_round_mode_16_64 0
		.amdhsa_float_denorm_mode_32 3
		.amdhsa_float_denorm_mode_16_64 3
		.amdhsa_dx10_clamp 1
		.amdhsa_ieee_mode 1
		.amdhsa_fp16_overflow 0
		.amdhsa_tg_split 0
		.amdhsa_exception_fp_ieee_invalid_op 0
		.amdhsa_exception_fp_denorm_src 0
		.amdhsa_exception_fp_ieee_div_zero 0
		.amdhsa_exception_fp_ieee_overflow 0
		.amdhsa_exception_fp_ieee_underflow 0
		.amdhsa_exception_fp_ieee_inexact 0
		.amdhsa_exception_int_div_zero 0
	.end_amdhsa_kernel
	.section	.text._ZN7rocprim17ROCPRIM_400000_NS6detail17trampoline_kernelINS0_14default_configENS1_25partition_config_selectorILNS1_17partition_subalgoE8ElNS0_10empty_typeEbEEZZNS1_14partition_implILS5_8ELb0ES3_jPlPS6_PKS6_NS0_5tupleIJS9_S6_EEENSD_IJSA_SA_EEENS0_18inequality_wrapperIZN2at6native12_GLOBAL__N_124unique_dim_cuda_templateIdEESt5tupleIJNSH_6TensorESM_SM_EERKSM_lbbbEUlllE0_EEPmJS6_EEE10hipError_tPvRmT3_T4_T5_T6_T7_T9_mT8_P12ihipStream_tbDpT10_ENKUlT_T0_E_clISt17integral_constantIbLb0EES1B_IbLb1EEEEDaS17_S18_EUlS17_E_NS1_11comp_targetILNS1_3genE5ELNS1_11target_archE942ELNS1_3gpuE9ELNS1_3repE0EEENS1_30default_config_static_selectorELNS0_4arch9wavefront6targetE1EEEvT1_,"axG",@progbits,_ZN7rocprim17ROCPRIM_400000_NS6detail17trampoline_kernelINS0_14default_configENS1_25partition_config_selectorILNS1_17partition_subalgoE8ElNS0_10empty_typeEbEEZZNS1_14partition_implILS5_8ELb0ES3_jPlPS6_PKS6_NS0_5tupleIJS9_S6_EEENSD_IJSA_SA_EEENS0_18inequality_wrapperIZN2at6native12_GLOBAL__N_124unique_dim_cuda_templateIdEESt5tupleIJNSH_6TensorESM_SM_EERKSM_lbbbEUlllE0_EEPmJS6_EEE10hipError_tPvRmT3_T4_T5_T6_T7_T9_mT8_P12ihipStream_tbDpT10_ENKUlT_T0_E_clISt17integral_constantIbLb0EES1B_IbLb1EEEEDaS17_S18_EUlS17_E_NS1_11comp_targetILNS1_3genE5ELNS1_11target_archE942ELNS1_3gpuE9ELNS1_3repE0EEENS1_30default_config_static_selectorELNS0_4arch9wavefront6targetE1EEEvT1_,comdat
.Lfunc_end832:
	.size	_ZN7rocprim17ROCPRIM_400000_NS6detail17trampoline_kernelINS0_14default_configENS1_25partition_config_selectorILNS1_17partition_subalgoE8ElNS0_10empty_typeEbEEZZNS1_14partition_implILS5_8ELb0ES3_jPlPS6_PKS6_NS0_5tupleIJS9_S6_EEENSD_IJSA_SA_EEENS0_18inequality_wrapperIZN2at6native12_GLOBAL__N_124unique_dim_cuda_templateIdEESt5tupleIJNSH_6TensorESM_SM_EERKSM_lbbbEUlllE0_EEPmJS6_EEE10hipError_tPvRmT3_T4_T5_T6_T7_T9_mT8_P12ihipStream_tbDpT10_ENKUlT_T0_E_clISt17integral_constantIbLb0EES1B_IbLb1EEEEDaS17_S18_EUlS17_E_NS1_11comp_targetILNS1_3genE5ELNS1_11target_archE942ELNS1_3gpuE9ELNS1_3repE0EEENS1_30default_config_static_selectorELNS0_4arch9wavefront6targetE1EEEvT1_, .Lfunc_end832-_ZN7rocprim17ROCPRIM_400000_NS6detail17trampoline_kernelINS0_14default_configENS1_25partition_config_selectorILNS1_17partition_subalgoE8ElNS0_10empty_typeEbEEZZNS1_14partition_implILS5_8ELb0ES3_jPlPS6_PKS6_NS0_5tupleIJS9_S6_EEENSD_IJSA_SA_EEENS0_18inequality_wrapperIZN2at6native12_GLOBAL__N_124unique_dim_cuda_templateIdEESt5tupleIJNSH_6TensorESM_SM_EERKSM_lbbbEUlllE0_EEPmJS6_EEE10hipError_tPvRmT3_T4_T5_T6_T7_T9_mT8_P12ihipStream_tbDpT10_ENKUlT_T0_E_clISt17integral_constantIbLb0EES1B_IbLb1EEEEDaS17_S18_EUlS17_E_NS1_11comp_targetILNS1_3genE5ELNS1_11target_archE942ELNS1_3gpuE9ELNS1_3repE0EEENS1_30default_config_static_selectorELNS0_4arch9wavefront6targetE1EEEvT1_
                                        ; -- End function
	.section	.AMDGPU.csdata,"",@progbits
; Kernel info:
; codeLenInByte = 0
; NumSgprs: 4
; NumVgprs: 0
; NumAgprs: 0
; TotalNumVgprs: 0
; ScratchSize: 0
; MemoryBound: 0
; FloatMode: 240
; IeeeMode: 1
; LDSByteSize: 0 bytes/workgroup (compile time only)
; SGPRBlocks: 0
; VGPRBlocks: 0
; NumSGPRsForWavesPerEU: 4
; NumVGPRsForWavesPerEU: 1
; AccumOffset: 4
; Occupancy: 8
; WaveLimiterHint : 0
; COMPUTE_PGM_RSRC2:SCRATCH_EN: 0
; COMPUTE_PGM_RSRC2:USER_SGPR: 6
; COMPUTE_PGM_RSRC2:TRAP_HANDLER: 0
; COMPUTE_PGM_RSRC2:TGID_X_EN: 1
; COMPUTE_PGM_RSRC2:TGID_Y_EN: 0
; COMPUTE_PGM_RSRC2:TGID_Z_EN: 0
; COMPUTE_PGM_RSRC2:TIDIG_COMP_CNT: 0
; COMPUTE_PGM_RSRC3_GFX90A:ACCUM_OFFSET: 0
; COMPUTE_PGM_RSRC3_GFX90A:TG_SPLIT: 0
	.section	.text._ZN7rocprim17ROCPRIM_400000_NS6detail17trampoline_kernelINS0_14default_configENS1_25partition_config_selectorILNS1_17partition_subalgoE8ElNS0_10empty_typeEbEEZZNS1_14partition_implILS5_8ELb0ES3_jPlPS6_PKS6_NS0_5tupleIJS9_S6_EEENSD_IJSA_SA_EEENS0_18inequality_wrapperIZN2at6native12_GLOBAL__N_124unique_dim_cuda_templateIdEESt5tupleIJNSH_6TensorESM_SM_EERKSM_lbbbEUlllE0_EEPmJS6_EEE10hipError_tPvRmT3_T4_T5_T6_T7_T9_mT8_P12ihipStream_tbDpT10_ENKUlT_T0_E_clISt17integral_constantIbLb0EES1B_IbLb1EEEEDaS17_S18_EUlS17_E_NS1_11comp_targetILNS1_3genE4ELNS1_11target_archE910ELNS1_3gpuE8ELNS1_3repE0EEENS1_30default_config_static_selectorELNS0_4arch9wavefront6targetE1EEEvT1_,"axG",@progbits,_ZN7rocprim17ROCPRIM_400000_NS6detail17trampoline_kernelINS0_14default_configENS1_25partition_config_selectorILNS1_17partition_subalgoE8ElNS0_10empty_typeEbEEZZNS1_14partition_implILS5_8ELb0ES3_jPlPS6_PKS6_NS0_5tupleIJS9_S6_EEENSD_IJSA_SA_EEENS0_18inequality_wrapperIZN2at6native12_GLOBAL__N_124unique_dim_cuda_templateIdEESt5tupleIJNSH_6TensorESM_SM_EERKSM_lbbbEUlllE0_EEPmJS6_EEE10hipError_tPvRmT3_T4_T5_T6_T7_T9_mT8_P12ihipStream_tbDpT10_ENKUlT_T0_E_clISt17integral_constantIbLb0EES1B_IbLb1EEEEDaS17_S18_EUlS17_E_NS1_11comp_targetILNS1_3genE4ELNS1_11target_archE910ELNS1_3gpuE8ELNS1_3repE0EEENS1_30default_config_static_selectorELNS0_4arch9wavefront6targetE1EEEvT1_,comdat
	.globl	_ZN7rocprim17ROCPRIM_400000_NS6detail17trampoline_kernelINS0_14default_configENS1_25partition_config_selectorILNS1_17partition_subalgoE8ElNS0_10empty_typeEbEEZZNS1_14partition_implILS5_8ELb0ES3_jPlPS6_PKS6_NS0_5tupleIJS9_S6_EEENSD_IJSA_SA_EEENS0_18inequality_wrapperIZN2at6native12_GLOBAL__N_124unique_dim_cuda_templateIdEESt5tupleIJNSH_6TensorESM_SM_EERKSM_lbbbEUlllE0_EEPmJS6_EEE10hipError_tPvRmT3_T4_T5_T6_T7_T9_mT8_P12ihipStream_tbDpT10_ENKUlT_T0_E_clISt17integral_constantIbLb0EES1B_IbLb1EEEEDaS17_S18_EUlS17_E_NS1_11comp_targetILNS1_3genE4ELNS1_11target_archE910ELNS1_3gpuE8ELNS1_3repE0EEENS1_30default_config_static_selectorELNS0_4arch9wavefront6targetE1EEEvT1_ ; -- Begin function _ZN7rocprim17ROCPRIM_400000_NS6detail17trampoline_kernelINS0_14default_configENS1_25partition_config_selectorILNS1_17partition_subalgoE8ElNS0_10empty_typeEbEEZZNS1_14partition_implILS5_8ELb0ES3_jPlPS6_PKS6_NS0_5tupleIJS9_S6_EEENSD_IJSA_SA_EEENS0_18inequality_wrapperIZN2at6native12_GLOBAL__N_124unique_dim_cuda_templateIdEESt5tupleIJNSH_6TensorESM_SM_EERKSM_lbbbEUlllE0_EEPmJS6_EEE10hipError_tPvRmT3_T4_T5_T6_T7_T9_mT8_P12ihipStream_tbDpT10_ENKUlT_T0_E_clISt17integral_constantIbLb0EES1B_IbLb1EEEEDaS17_S18_EUlS17_E_NS1_11comp_targetILNS1_3genE4ELNS1_11target_archE910ELNS1_3gpuE8ELNS1_3repE0EEENS1_30default_config_static_selectorELNS0_4arch9wavefront6targetE1EEEvT1_
	.p2align	8
	.type	_ZN7rocprim17ROCPRIM_400000_NS6detail17trampoline_kernelINS0_14default_configENS1_25partition_config_selectorILNS1_17partition_subalgoE8ElNS0_10empty_typeEbEEZZNS1_14partition_implILS5_8ELb0ES3_jPlPS6_PKS6_NS0_5tupleIJS9_S6_EEENSD_IJSA_SA_EEENS0_18inequality_wrapperIZN2at6native12_GLOBAL__N_124unique_dim_cuda_templateIdEESt5tupleIJNSH_6TensorESM_SM_EERKSM_lbbbEUlllE0_EEPmJS6_EEE10hipError_tPvRmT3_T4_T5_T6_T7_T9_mT8_P12ihipStream_tbDpT10_ENKUlT_T0_E_clISt17integral_constantIbLb0EES1B_IbLb1EEEEDaS17_S18_EUlS17_E_NS1_11comp_targetILNS1_3genE4ELNS1_11target_archE910ELNS1_3gpuE8ELNS1_3repE0EEENS1_30default_config_static_selectorELNS0_4arch9wavefront6targetE1EEEvT1_,@function
_ZN7rocprim17ROCPRIM_400000_NS6detail17trampoline_kernelINS0_14default_configENS1_25partition_config_selectorILNS1_17partition_subalgoE8ElNS0_10empty_typeEbEEZZNS1_14partition_implILS5_8ELb0ES3_jPlPS6_PKS6_NS0_5tupleIJS9_S6_EEENSD_IJSA_SA_EEENS0_18inequality_wrapperIZN2at6native12_GLOBAL__N_124unique_dim_cuda_templateIdEESt5tupleIJNSH_6TensorESM_SM_EERKSM_lbbbEUlllE0_EEPmJS6_EEE10hipError_tPvRmT3_T4_T5_T6_T7_T9_mT8_P12ihipStream_tbDpT10_ENKUlT_T0_E_clISt17integral_constantIbLb0EES1B_IbLb1EEEEDaS17_S18_EUlS17_E_NS1_11comp_targetILNS1_3genE4ELNS1_11target_archE910ELNS1_3gpuE8ELNS1_3repE0EEENS1_30default_config_static_selectorELNS0_4arch9wavefront6targetE1EEEvT1_: ; @_ZN7rocprim17ROCPRIM_400000_NS6detail17trampoline_kernelINS0_14default_configENS1_25partition_config_selectorILNS1_17partition_subalgoE8ElNS0_10empty_typeEbEEZZNS1_14partition_implILS5_8ELb0ES3_jPlPS6_PKS6_NS0_5tupleIJS9_S6_EEENSD_IJSA_SA_EEENS0_18inequality_wrapperIZN2at6native12_GLOBAL__N_124unique_dim_cuda_templateIdEESt5tupleIJNSH_6TensorESM_SM_EERKSM_lbbbEUlllE0_EEPmJS6_EEE10hipError_tPvRmT3_T4_T5_T6_T7_T9_mT8_P12ihipStream_tbDpT10_ENKUlT_T0_E_clISt17integral_constantIbLb0EES1B_IbLb1EEEEDaS17_S18_EUlS17_E_NS1_11comp_targetILNS1_3genE4ELNS1_11target_archE910ELNS1_3gpuE8ELNS1_3repE0EEENS1_30default_config_static_selectorELNS0_4arch9wavefront6targetE1EEEvT1_
; %bb.0:
	s_load_dwordx2 s[28:29], s[4:5], 0x28
	s_load_dwordx8 s[20:27], s[4:5], 0x40
	s_load_dwordx4 s[16:19], s[4:5], 0x60
	v_cmp_ne_u32_e64 s[2:3], 0, v0
	v_cmp_eq_u32_e64 s[0:1], 0, v0
	s_and_saveexec_b64 s[6:7], s[0:1]
	s_cbranch_execz .LBB833_4
; %bb.1:
	s_mov_b64 s[10:11], exec
	v_mbcnt_lo_u32_b32 v1, s10, 0
	v_mbcnt_hi_u32_b32 v1, s11, v1
	v_cmp_eq_u32_e32 vcc, 0, v1
                                        ; implicit-def: $vgpr2
	s_and_saveexec_b64 s[8:9], vcc
	s_cbranch_execz .LBB833_3
; %bb.2:
	s_load_dwordx2 s[12:13], s[4:5], 0x78
	s_bcnt1_i32_b64 s10, s[10:11]
	v_mov_b32_e32 v2, 0
	v_mov_b32_e32 v3, s10
	s_waitcnt lgkmcnt(0)
	global_atomic_add v2, v2, v3, s[12:13] glc
.LBB833_3:
	s_or_b64 exec, exec, s[8:9]
	s_waitcnt vmcnt(0)
	v_readfirstlane_b32 s8, v2
	v_add_u32_e32 v1, s8, v1
	v_mov_b32_e32 v2, 0
	ds_write_b32 v2, v1
.LBB833_4:
	s_or_b64 exec, exec, s[6:7]
	v_mov_b32_e32 v3, 0
	s_load_dwordx4 s[8:11], s[4:5], 0x8
	s_load_dword s12, s[4:5], 0x70
	s_waitcnt lgkmcnt(0)
	s_barrier
	ds_read_b32 v1, v3
	s_waitcnt lgkmcnt(0)
	s_barrier
	global_load_dwordx2 v[4:5], v3, s[22:23]
	s_lshl_b64 s[4:5], s[10:11], 3
	s_mul_i32 s14, s12, 0x500
	s_add_u32 s8, s8, s4
	s_addc_u32 s4, s9, s5
	s_add_i32 s5, s14, s10
	s_add_i32 s12, s12, -1
	s_sub_i32 s48, s24, s5
	v_mov_b32_e32 v8, s4
	s_add_u32 s4, s10, s14
	s_addc_u32 s5, s11, 0
	v_readfirstlane_b32 s33, v1
	v_mov_b32_e32 v6, s24
	v_mov_b32_e32 v7, s25
	s_movk_i32 s13, 0x500
	s_cmp_eq_u32 s33, s12
	v_mul_lo_u32 v2, v1, s13
	v_cmp_ge_u64_e32 vcc, s[4:5], v[6:7]
	s_cselect_b64 s[24:25], -1, 0
	v_lshlrev_b64 v[2:3], 3, v[2:3]
	s_and_b64 s[12:13], vcc, s[24:25]
	v_add_co_u32_e64 v18, s[4:5], s8, v2
	s_xor_b64 s[30:31], s[12:13], -1
	s_mov_b64 s[6:7], -1
	v_addc_co_u32_e64 v19, s[4:5], v8, v3, s[4:5]
	s_and_b64 vcc, exec, s[30:31]
	s_waitcnt vmcnt(0)
	v_readfirstlane_b32 s22, v4
	v_readfirstlane_b32 s23, v5
	s_cbranch_vccz .LBB833_6
; %bb.5:
	v_lshlrev_b32_e32 v1, 3, v0
	v_add_co_u32_e32 v12, vcc, v18, v1
	v_addc_co_u32_e32 v13, vcc, 0, v19, vcc
	v_add_co_u32_e32 v2, vcc, 0x1000, v12
	v_readfirstlane_b32 s4, v18
	v_readfirstlane_b32 s5, v19
	v_addc_co_u32_e32 v3, vcc, 0, v13, vcc
	s_nop 3
	global_load_dwordx2 v[4:5], v1, s[4:5]
	global_load_dwordx2 v[6:7], v1, s[4:5] offset:2048
	global_load_dwordx2 v[8:9], v[2:3], off
	global_load_dwordx2 v[10:11], v[2:3], off offset:2048
	v_add_co_u32_e32 v2, vcc, 0x2000, v12
	v_addc_co_u32_e32 v3, vcc, 0, v13, vcc
	global_load_dwordx2 v[2:3], v[2:3], off
	s_mov_b64 s[6:7], 0
	s_waitcnt vmcnt(3)
	ds_write2st64_b64 v1, v[4:5], v[6:7] offset1:4
	s_waitcnt vmcnt(1)
	ds_write2st64_b64 v1, v[8:9], v[10:11] offset0:8 offset1:12
	s_waitcnt vmcnt(0)
	ds_write_b64 v1, v[2:3] offset:8192
	s_waitcnt lgkmcnt(0)
	s_barrier
.LBB833_6:
	s_andn2_b64 vcc, exec, s[6:7]
	s_addk_i32 s48, 0x500
	s_cbranch_vccnz .LBB833_18
; %bb.7:
	v_cmp_gt_u32_e32 vcc, s48, v0
                                        ; implicit-def: $vgpr2_vgpr3_vgpr4_vgpr5_vgpr6_vgpr7_vgpr8_vgpr9_vgpr10_vgpr11_vgpr12_vgpr13_vgpr14_vgpr15_vgpr16_vgpr17
	s_and_saveexec_b64 s[4:5], vcc
	s_cbranch_execz .LBB833_9
; %bb.8:
	v_lshlrev_b32_e32 v1, 3, v0
	v_readfirstlane_b32 s6, v18
	v_readfirstlane_b32 s7, v19
	s_nop 4
	global_load_dwordx2 v[2:3], v1, s[6:7]
.LBB833_9:
	s_or_b64 exec, exec, s[4:5]
	v_or_b32_e32 v1, 0x100, v0
	v_cmp_gt_u32_e32 vcc, s48, v1
	s_and_saveexec_b64 s[4:5], vcc
	s_cbranch_execz .LBB833_11
; %bb.10:
	v_lshlrev_b32_e32 v1, 3, v0
	v_readfirstlane_b32 s6, v18
	v_readfirstlane_b32 s7, v19
	s_nop 4
	global_load_dwordx2 v[4:5], v1, s[6:7] offset:2048
.LBB833_11:
	s_or_b64 exec, exec, s[4:5]
	v_or_b32_e32 v1, 0x200, v0
	v_cmp_gt_u32_e32 vcc, s48, v1
	s_and_saveexec_b64 s[4:5], vcc
	s_cbranch_execz .LBB833_13
; %bb.12:
	v_lshlrev_b32_e32 v1, 3, v1
	v_readfirstlane_b32 s6, v18
	v_readfirstlane_b32 s7, v19
	s_nop 4
	global_load_dwordx2 v[6:7], v1, s[6:7]
.LBB833_13:
	s_or_b64 exec, exec, s[4:5]
	v_or_b32_e32 v1, 0x300, v0
	v_cmp_gt_u32_e32 vcc, s48, v1
	s_and_saveexec_b64 s[4:5], vcc
	s_cbranch_execz .LBB833_15
; %bb.14:
	v_lshlrev_b32_e32 v1, 3, v1
	v_readfirstlane_b32 s6, v18
	v_readfirstlane_b32 s7, v19
	s_nop 4
	global_load_dwordx2 v[8:9], v1, s[6:7]
.LBB833_15:
	;; [unrolled: 12-line block ×3, first 2 shown]
	s_or_b64 exec, exec, s[4:5]
	v_lshlrev_b32_e32 v1, 3, v0
	s_waitcnt vmcnt(0)
	ds_write2st64_b64 v1, v[2:3], v[4:5] offset1:4
	ds_write2st64_b64 v1, v[6:7], v[8:9] offset0:8 offset1:12
	ds_write_b64 v1, v[10:11] offset:8192
	s_waitcnt lgkmcnt(0)
	s_barrier
.LBB833_18:
	v_mul_u32_u24_e32 v1, 5, v0
	v_lshlrev_b32_e32 v26, 3, v1
	ds_read2_b64 v[6:9], v26 offset1:1
	ds_read2_b64 v[2:5], v26 offset0:2 offset1:3
	ds_read_b64 v[10:11], v26 offset:32
	s_cmp_lg_u32 s33, 0
	s_cselect_b64 s[34:35], -1, 0
	s_cmp_lg_u64 s[10:11], 0
	s_cselect_b64 s[4:5], -1, 0
	s_or_b64 s[4:5], s[4:5], s[34:35]
	v_mad_u32_u24 v24, v0, 5, 1
	v_mad_u32_u24 v22, v0, 5, 2
	;; [unrolled: 1-line block ×4, first 2 shown]
	s_mov_b64 s[14:15], 0
	s_and_b64 vcc, exec, s[4:5]
	v_cmp_gt_i64_e64 s[4:5], s[26:27], 0
	s_waitcnt lgkmcnt(0)
	s_barrier
	s_cbranch_vccz .LBB833_27
; %bb.19:
	global_load_dwordx2 v[14:15], v[18:19], off offset:-8
	v_cndmask_b32_e64 v12, 0, 1, s[4:5]
	v_lshlrev_b32_e32 v27, 3, v0
	s_mov_b64 s[10:11], 0
	s_and_b64 vcc, exec, s[30:31]
	v_cmp_ne_u32_e64 s[4:5], 1, v12
	ds_write_b64 v27, v[10:11]
	s_cbranch_vccz .LBB833_28
; %bb.20:
	v_mul_lo_u32 v16, v5, s26
	v_mul_lo_u32 v17, v4, s27
	v_mad_u64_u32 v[12:13], s[6:7], v4, s26, 0
	v_add3_u32 v13, v13, v17, v16
	s_and_b64 vcc, exec, s[4:5]
	v_lshlrev_b64 v[12:13], 3, v[12:13]
	s_cbranch_vccnz .LBB833_31
; %bb.21:
	v_mul_lo_u32 v18, v11, s26
	v_mul_lo_u32 v19, v10, s27
	v_mad_u64_u32 v[16:17], s[6:7], v10, s26, 0
	v_add3_u32 v17, v17, v19, v18
	v_mov_b32_e32 v19, s17
	v_add_co_u32_e32 v18, vcc, s16, v12
	v_addc_co_u32_e64 v19, s[6:7], v19, v13, vcc
	v_lshlrev_b64 v[16:17], 3, v[16:17]
	v_mov_b32_e32 v21, s17
	v_add_co_u32_e64 v20, s[6:7], s16, v16
	v_addc_co_u32_e64 v21, s[8:9], v21, v17, s[6:7]
	global_load_dwordx2 v[28:29], v[18:19], off
	global_load_dwordx2 v[30:31], v[20:21], off
	s_mov_b64 s[10:11], -1
	s_waitcnt vmcnt(0)
	v_cmp_eq_f64_e64 s[8:9], v[28:29], v[30:31]
	s_and_saveexec_b64 s[14:15], s[8:9]
	s_cbranch_execz .LBB833_30
; %bb.22:
	v_mov_b32_e32 v16, s17
	v_addc_co_u32_e64 v17, s[6:7], v17, v16, s[6:7]
	v_add_co_u32_e64 v16, s[6:7], 8, v20
	v_mov_b32_e32 v19, s17
	v_addc_co_u32_e64 v17, s[6:7], 0, v17, s[6:7]
	v_addc_co_u32_e32 v19, vcc, v13, v19, vcc
	v_add_co_u32_e32 v18, vcc, 8, v18
	s_add_u32 s6, s26, -1
	v_addc_co_u32_e32 v19, vcc, 0, v19, vcc
	s_addc_u32 s7, s27, -1
	s_mov_b64 s[8:9], 0
	s_mov_b64 s[36:37], 0
                                        ; implicit-def: $sgpr10_sgpr11
	s_branch .LBB833_25
.LBB833_23:                             ;   in Loop: Header=BB833_25 Depth=1
	global_load_dwordx2 v[20:21], v[18:19], off
	global_load_dwordx2 v[28:29], v[16:17], off
	v_add_co_u32_e32 v16, vcc, 8, v16
	v_addc_co_u32_e32 v17, vcc, 0, v17, vcc
	v_add_co_u32_e32 v18, vcc, 8, v18
	v_addc_co_u32_e32 v19, vcc, 0, v19, vcc
	s_add_u32 s36, s36, 1
	s_addc_u32 s37, s37, 0
	s_andn2_b64 s[10:11], s[10:11], exec
	s_waitcnt vmcnt(0)
	v_cmp_neq_f64_e32 vcc, v[20:21], v[28:29]
	s_and_b64 s[38:39], vcc, exec
	s_or_b64 s[10:11], s[10:11], s[38:39]
.LBB833_24:                             ;   in Loop: Header=BB833_25 Depth=1
	s_and_b64 s[38:39], exec, s[10:11]
	s_or_b64 s[8:9], s[38:39], s[8:9]
	v_pk_mov_b32 v[20:21], s[36:37], s[36:37] op_sel:[0,1]
	s_andn2_b64 exec, exec, s[8:9]
	s_cbranch_execz .LBB833_29
.LBB833_25:                             ; =>This Inner Loop Header: Depth=1
	s_or_b64 s[10:11], s[10:11], exec
	s_cmp_eq_u64 s[6:7], s[36:37]
	s_cbranch_scc0 .LBB833_23
; %bb.26:                               ;   in Loop: Header=BB833_25 Depth=1
                                        ; implicit-def: $vgpr16_vgpr17
                                        ; implicit-def: $vgpr18_vgpr19
	s_mov_b64 s[36:37], s[26:27]
	s_branch .LBB833_24
.LBB833_27:
                                        ; implicit-def: $sgpr36_sgpr37
                                        ; implicit-def: $vgpr13
                                        ; implicit-def: $vgpr16
	s_branch .LBB833_129
.LBB833_28:
                                        ; implicit-def: $sgpr36_sgpr37
                                        ; implicit-def: $vgpr13
                                        ; implicit-def: $vgpr16
	s_cbranch_execnz .LBB833_70
	s_branch .LBB833_128
.LBB833_29:
	s_or_b64 exec, exec, s[8:9]
	v_cmp_gt_i64_e32 vcc, s[26:27], v[20:21]
	s_orn2_b64 s[10:11], vcc, exec
.LBB833_30:
	s_or_b64 exec, exec, s[14:15]
.LBB833_31:
	v_mul_lo_u32 v18, v3, s26
	v_mul_lo_u32 v19, v2, s27
	v_mad_u64_u32 v[16:17], s[6:7], v2, s26, 0
	v_add3_u32 v17, v17, v19, v18
	s_mov_b64 s[14:15], 0
	s_and_b64 vcc, exec, s[4:5]
	v_lshlrev_b64 v[18:19], 3, v[16:17]
	s_mov_b64 s[36:37], 0
	s_cbranch_vccnz .LBB833_40
; %bb.32:
	v_mov_b32_e32 v17, s17
	v_add_co_u32_e32 v16, vcc, s16, v18
	v_addc_co_u32_e64 v17, s[6:7], v17, v19, vcc
	v_mov_b32_e32 v21, s17
	v_add_co_u32_e64 v20, s[6:7], s16, v12
	v_addc_co_u32_e64 v21, s[8:9], v21, v13, s[6:7]
	global_load_dwordx2 v[28:29], v[16:17], off
	global_load_dwordx2 v[30:31], v[20:21], off
	s_mov_b64 s[36:37], -1
	s_waitcnt vmcnt(0)
	v_cmp_eq_f64_e64 s[8:9], v[28:29], v[30:31]
	s_and_saveexec_b64 s[38:39], s[8:9]
	s_cbranch_execz .LBB833_39
; %bb.33:
	v_mov_b32_e32 v12, s17
	v_addc_co_u32_e64 v13, s[6:7], v13, v12, s[6:7]
	v_add_co_u32_e64 v12, s[6:7], 8, v20
	v_mov_b32_e32 v17, s17
	v_addc_co_u32_e64 v13, s[6:7], 0, v13, s[6:7]
	v_addc_co_u32_e32 v17, vcc, v19, v17, vcc
	v_add_co_u32_e32 v16, vcc, 8, v16
	s_add_u32 s6, s26, -1
	v_addc_co_u32_e32 v17, vcc, 0, v17, vcc
	s_addc_u32 s7, s27, -1
	s_mov_b64 s[8:9], 0
	s_mov_b64 s[40:41], 0
                                        ; implicit-def: $sgpr36_sgpr37
	s_branch .LBB833_36
.LBB833_34:                             ;   in Loop: Header=BB833_36 Depth=1
	global_load_dwordx2 v[20:21], v[16:17], off
	global_load_dwordx2 v[28:29], v[12:13], off
	v_add_co_u32_e32 v12, vcc, 8, v12
	v_addc_co_u32_e32 v13, vcc, 0, v13, vcc
	v_add_co_u32_e32 v16, vcc, 8, v16
	v_addc_co_u32_e32 v17, vcc, 0, v17, vcc
	s_add_u32 s40, s40, 1
	s_addc_u32 s41, s41, 0
	s_andn2_b64 s[36:37], s[36:37], exec
	s_waitcnt vmcnt(0)
	v_cmp_neq_f64_e32 vcc, v[20:21], v[28:29]
	s_and_b64 s[42:43], vcc, exec
	s_or_b64 s[36:37], s[36:37], s[42:43]
.LBB833_35:                             ;   in Loop: Header=BB833_36 Depth=1
	s_and_b64 s[42:43], exec, s[36:37]
	s_or_b64 s[8:9], s[42:43], s[8:9]
	v_pk_mov_b32 v[20:21], s[40:41], s[40:41] op_sel:[0,1]
	s_andn2_b64 exec, exec, s[8:9]
	s_cbranch_execz .LBB833_38
.LBB833_36:                             ; =>This Inner Loop Header: Depth=1
	s_or_b64 s[36:37], s[36:37], exec
	s_cmp_eq_u64 s[6:7], s[40:41]
	s_cbranch_scc0 .LBB833_34
; %bb.37:                               ;   in Loop: Header=BB833_36 Depth=1
                                        ; implicit-def: $vgpr12_vgpr13
                                        ; implicit-def: $vgpr16_vgpr17
	s_mov_b64 s[40:41], s[26:27]
	s_branch .LBB833_35
.LBB833_38:
	s_or_b64 exec, exec, s[8:9]
	v_cmp_gt_i64_e32 vcc, s[26:27], v[20:21]
	s_orn2_b64 s[36:37], vcc, exec
.LBB833_39:
	s_or_b64 exec, exec, s[38:39]
.LBB833_40:
	v_mul_lo_u32 v16, v9, s26
	v_mul_lo_u32 v17, v8, s27
	v_mad_u64_u32 v[12:13], s[6:7], v8, s26, 0
	v_add3_u32 v13, v13, v17, v16
	s_and_b64 vcc, exec, s[4:5]
	v_lshlrev_b64 v[16:17], 3, v[12:13]
	s_cbranch_vccnz .LBB833_49
; %bb.41:
	v_mov_b32_e32 v12, s17
	v_add_co_u32_e32 v20, vcc, s16, v16
	v_addc_co_u32_e64 v21, s[6:7], v12, v17, vcc
	v_mov_b32_e32 v13, s17
	v_add_co_u32_e64 v12, s[6:7], s16, v18
	v_addc_co_u32_e64 v13, s[8:9], v13, v19, s[6:7]
	global_load_dwordx2 v[28:29], v[20:21], off
	global_load_dwordx2 v[30:31], v[12:13], off
	s_mov_b64 s[14:15], -1
	s_waitcnt vmcnt(0)
	v_cmp_eq_f64_e64 s[8:9], v[28:29], v[30:31]
	s_and_saveexec_b64 s[38:39], s[8:9]
	s_cbranch_execz .LBB833_48
; %bb.42:
	v_mov_b32_e32 v13, s17
	v_addc_co_u32_e64 v13, s[6:7], v19, v13, s[6:7]
	v_add_co_u32_e64 v12, s[6:7], 8, v12
	v_mov_b32_e32 v18, s17
	v_addc_co_u32_e64 v13, s[6:7], 0, v13, s[6:7]
	v_addc_co_u32_e32 v19, vcc, v17, v18, vcc
	v_add_co_u32_e32 v18, vcc, 8, v20
	s_add_u32 s6, s26, -1
	v_addc_co_u32_e32 v19, vcc, 0, v19, vcc
	s_addc_u32 s7, s27, -1
	s_mov_b64 s[8:9], 0
	s_mov_b64 s[40:41], 0
                                        ; implicit-def: $sgpr14_sgpr15
	s_branch .LBB833_45
.LBB833_43:                             ;   in Loop: Header=BB833_45 Depth=1
	global_load_dwordx2 v[20:21], v[18:19], off
	global_load_dwordx2 v[28:29], v[12:13], off
	v_add_co_u32_e32 v12, vcc, 8, v12
	v_addc_co_u32_e32 v13, vcc, 0, v13, vcc
	v_add_co_u32_e32 v18, vcc, 8, v18
	v_addc_co_u32_e32 v19, vcc, 0, v19, vcc
	s_add_u32 s40, s40, 1
	s_addc_u32 s41, s41, 0
	s_andn2_b64 s[14:15], s[14:15], exec
	s_waitcnt vmcnt(0)
	v_cmp_neq_f64_e32 vcc, v[20:21], v[28:29]
	s_and_b64 s[42:43], vcc, exec
	s_or_b64 s[14:15], s[14:15], s[42:43]
.LBB833_44:                             ;   in Loop: Header=BB833_45 Depth=1
	s_and_b64 s[42:43], exec, s[14:15]
	s_or_b64 s[8:9], s[42:43], s[8:9]
	v_pk_mov_b32 v[20:21], s[40:41], s[40:41] op_sel:[0,1]
	s_andn2_b64 exec, exec, s[8:9]
	s_cbranch_execz .LBB833_47
.LBB833_45:                             ; =>This Inner Loop Header: Depth=1
	s_or_b64 s[14:15], s[14:15], exec
	s_cmp_eq_u64 s[6:7], s[40:41]
	s_cbranch_scc0 .LBB833_43
; %bb.46:                               ;   in Loop: Header=BB833_45 Depth=1
                                        ; implicit-def: $vgpr12_vgpr13
                                        ; implicit-def: $vgpr18_vgpr19
	s_mov_b64 s[40:41], s[26:27]
	s_branch .LBB833_44
.LBB833_47:
	s_or_b64 exec, exec, s[8:9]
	v_cmp_gt_i64_e32 vcc, s[26:27], v[20:21]
	s_orn2_b64 s[14:15], vcc, exec
.LBB833_48:
	s_or_b64 exec, exec, s[38:39]
.LBB833_49:
	v_mul_lo_u32 v18, v7, s26
	v_mul_lo_u32 v19, v6, s27
	v_mad_u64_u32 v[12:13], s[6:7], v6, s26, 0
	v_add3_u32 v13, v13, v19, v18
	s_mov_b64 s[40:41], 0
	s_and_b64 vcc, exec, s[4:5]
	v_lshlrev_b64 v[12:13], 3, v[12:13]
	s_cbranch_vccnz .LBB833_58
; %bb.50:
	v_mov_b32_e32 v19, s17
	v_add_co_u32_e32 v18, vcc, s16, v12
	v_addc_co_u32_e64 v19, s[6:7], v19, v13, vcc
	v_mov_b32_e32 v21, s17
	v_add_co_u32_e64 v20, s[6:7], s16, v16
	v_addc_co_u32_e64 v21, s[8:9], v21, v17, s[6:7]
	global_load_dwordx2 v[28:29], v[18:19], off
	global_load_dwordx2 v[30:31], v[20:21], off
	s_mov_b64 s[40:41], -1
	s_waitcnt vmcnt(0)
	v_cmp_eq_f64_e64 s[8:9], v[28:29], v[30:31]
	s_and_saveexec_b64 s[38:39], s[8:9]
	s_cbranch_execz .LBB833_57
; %bb.51:
	v_mov_b32_e32 v16, s17
	v_addc_co_u32_e64 v17, s[6:7], v17, v16, s[6:7]
	v_add_co_u32_e64 v16, s[6:7], 8, v20
	v_mov_b32_e32 v19, s17
	v_addc_co_u32_e64 v17, s[6:7], 0, v17, s[6:7]
	v_addc_co_u32_e32 v19, vcc, v13, v19, vcc
	v_add_co_u32_e32 v18, vcc, 8, v18
	s_add_u32 s6, s26, -1
	v_addc_co_u32_e32 v19, vcc, 0, v19, vcc
	s_addc_u32 s7, s27, -1
	s_mov_b64 s[8:9], 0
	s_mov_b64 s[42:43], 0
                                        ; implicit-def: $sgpr40_sgpr41
	s_branch .LBB833_54
.LBB833_52:                             ;   in Loop: Header=BB833_54 Depth=1
	global_load_dwordx2 v[20:21], v[18:19], off
	global_load_dwordx2 v[28:29], v[16:17], off
	v_add_co_u32_e32 v16, vcc, 8, v16
	v_addc_co_u32_e32 v17, vcc, 0, v17, vcc
	v_add_co_u32_e32 v18, vcc, 8, v18
	v_addc_co_u32_e32 v19, vcc, 0, v19, vcc
	s_add_u32 s42, s42, 1
	s_addc_u32 s43, s43, 0
	s_andn2_b64 s[40:41], s[40:41], exec
	s_waitcnt vmcnt(0)
	v_cmp_neq_f64_e32 vcc, v[20:21], v[28:29]
	s_and_b64 s[44:45], vcc, exec
	s_or_b64 s[40:41], s[40:41], s[44:45]
.LBB833_53:                             ;   in Loop: Header=BB833_54 Depth=1
	s_and_b64 s[44:45], exec, s[40:41]
	s_or_b64 s[8:9], s[44:45], s[8:9]
	v_pk_mov_b32 v[20:21], s[42:43], s[42:43] op_sel:[0,1]
	s_andn2_b64 exec, exec, s[8:9]
	s_cbranch_execz .LBB833_56
.LBB833_54:                             ; =>This Inner Loop Header: Depth=1
	s_or_b64 s[40:41], s[40:41], exec
	s_cmp_eq_u64 s[6:7], s[42:43]
	s_cbranch_scc0 .LBB833_52
; %bb.55:                               ;   in Loop: Header=BB833_54 Depth=1
                                        ; implicit-def: $vgpr16_vgpr17
                                        ; implicit-def: $vgpr18_vgpr19
	s_mov_b64 s[42:43], s[26:27]
	s_branch .LBB833_53
.LBB833_56:
	s_or_b64 exec, exec, s[8:9]
	v_cmp_gt_i64_e32 vcc, s[26:27], v[20:21]
	s_orn2_b64 s[40:41], vcc, exec
.LBB833_57:
	s_or_b64 exec, exec, s[38:39]
.LBB833_58:
	s_waitcnt vmcnt(0)
	v_pk_mov_b32 v[16:17], v[14:15], v[14:15] op_sel:[0,1]
	s_waitcnt lgkmcnt(0)
	s_barrier
	s_and_saveexec_b64 s[6:7], s[2:3]
	s_cbranch_execz .LBB833_60
; %bb.59:
	v_add_u32_e32 v16, -8, v27
	ds_read_b64 v[16:17], v16
.LBB833_60:
	s_or_b64 exec, exec, s[6:7]
	v_cndmask_b32_e64 v19, 0, 1, s[36:37]
	v_cndmask_b32_e64 v18, 0, 1, s[14:15]
	;; [unrolled: 1-line block ×3, first 2 shown]
	v_lshlrev_b16_e32 v19, 8, v19
	v_lshlrev_b16_e32 v28, 8, v20
	v_or_b32_sdwa v29, v18, v19 dst_sel:WORD_1 dst_unused:UNUSED_PAD src0_sel:DWORD src1_sel:DWORD
	s_mov_b64 s[14:15], 0
	s_and_b64 vcc, exec, s[4:5]
	s_mov_b64 s[36:37], 0
	s_cbranch_vccnz .LBB833_69
; %bb.61:
	s_waitcnt lgkmcnt(0)
	v_mul_lo_u32 v18, v17, s26
	v_mul_lo_u32 v19, v16, s27
	v_mad_u64_u32 v[16:17], s[6:7], v16, s26, 0
	v_add3_u32 v17, v17, v19, v18
	v_lshlrev_b64 v[16:17], 3, v[16:17]
	v_mov_b32_e32 v19, s17
	v_add_co_u32_e32 v18, vcc, s16, v16
	v_addc_co_u32_e64 v19, s[6:7], v19, v17, vcc
	v_mov_b32_e32 v16, s17
	v_add_co_u32_e64 v20, s[6:7], s16, v12
	v_addc_co_u32_e64 v21, s[8:9], v16, v13, s[6:7]
	global_load_dwordx2 v[30:31], v[18:19], off
	global_load_dwordx2 v[32:33], v[20:21], off
	s_mov_b64 s[36:37], -1
	s_waitcnt vmcnt(0)
	v_cmp_eq_f64_e64 s[8:9], v[30:31], v[32:33]
	s_and_saveexec_b64 s[38:39], s[8:9]
	s_cbranch_execz .LBB833_68
; %bb.62:
	v_mov_b32_e32 v12, s17
	v_addc_co_u32_e64 v13, s[6:7], v13, v12, s[6:7]
	v_add_co_u32_e64 v12, s[6:7], 8, v20
	v_mov_b32_e32 v16, s17
	v_addc_co_u32_e64 v13, s[6:7], 0, v13, s[6:7]
	v_addc_co_u32_e32 v17, vcc, v17, v16, vcc
	v_add_co_u32_e32 v16, vcc, 8, v18
	s_add_u32 s6, s26, -1
	v_addc_co_u32_e32 v17, vcc, 0, v17, vcc
	s_addc_u32 s7, s27, -1
	s_mov_b64 s[8:9], 0
	s_mov_b64 s[40:41], 0
                                        ; implicit-def: $sgpr36_sgpr37
	s_branch .LBB833_65
.LBB833_63:                             ;   in Loop: Header=BB833_65 Depth=1
	global_load_dwordx2 v[18:19], v[16:17], off
	global_load_dwordx2 v[20:21], v[12:13], off
	v_add_co_u32_e32 v12, vcc, 8, v12
	v_addc_co_u32_e32 v13, vcc, 0, v13, vcc
	v_add_co_u32_e32 v16, vcc, 8, v16
	v_addc_co_u32_e32 v17, vcc, 0, v17, vcc
	s_add_u32 s40, s40, 1
	s_addc_u32 s41, s41, 0
	s_andn2_b64 s[36:37], s[36:37], exec
	s_waitcnt vmcnt(0)
	v_cmp_neq_f64_e32 vcc, v[18:19], v[20:21]
	s_and_b64 s[42:43], vcc, exec
	s_or_b64 s[36:37], s[36:37], s[42:43]
.LBB833_64:                             ;   in Loop: Header=BB833_65 Depth=1
	s_and_b64 s[42:43], exec, s[36:37]
	s_or_b64 s[8:9], s[42:43], s[8:9]
	v_pk_mov_b32 v[18:19], s[40:41], s[40:41] op_sel:[0,1]
	s_andn2_b64 exec, exec, s[8:9]
	s_cbranch_execz .LBB833_67
.LBB833_65:                             ; =>This Inner Loop Header: Depth=1
	s_or_b64 s[36:37], s[36:37], exec
	s_cmp_eq_u64 s[6:7], s[40:41]
	s_cbranch_scc0 .LBB833_63
; %bb.66:                               ;   in Loop: Header=BB833_65 Depth=1
                                        ; implicit-def: $vgpr12_vgpr13
                                        ; implicit-def: $vgpr16_vgpr17
	s_mov_b64 s[40:41], s[26:27]
	s_branch .LBB833_64
.LBB833_67:
	s_or_b64 exec, exec, s[8:9]
	v_cmp_gt_i64_e32 vcc, s[26:27], v[18:19]
	s_orn2_b64 s[36:37], vcc, exec
.LBB833_68:
	s_or_b64 exec, exec, s[38:39]
.LBB833_69:
	v_cndmask_b32_e64 v13, 0, 1, s[10:11]
	s_waitcnt lgkmcnt(0)
	v_or_b32_e32 v16, v28, v29
	s_and_b64 vcc, exec, s[14:15]
	s_cbranch_vccz .LBB833_128
.LBB833_70:
	v_cmp_gt_u32_e32 vcc, s48, v23
	s_mov_b64 s[14:15], 0
	s_mov_b64 s[10:11], 0
	s_and_saveexec_b64 s[36:37], vcc
	s_cbranch_execz .LBB833_81
; %bb.71:
	s_and_b64 vcc, exec, s[4:5]
	s_mov_b64 s[38:39], 0
	s_cbranch_vccnz .LBB833_80
; %bb.72:
	v_mul_lo_u32 v16, v5, s26
	v_mul_lo_u32 v17, v4, s27
	v_mad_u64_u32 v[12:13], s[6:7], v4, s26, 0
	v_add3_u32 v13, v13, v17, v16
	v_mul_lo_u32 v16, v11, s26
	v_mul_lo_u32 v17, v10, s27
	v_mad_u64_u32 v[20:21], s[6:7], v10, s26, 0
	v_add3_u32 v21, v21, v17, v16
	v_lshlrev_b64 v[16:17], 3, v[12:13]
	v_mov_b32_e32 v12, s17
	v_add_co_u32_e32 v18, vcc, s16, v16
	v_addc_co_u32_e64 v19, s[6:7], v12, v17, vcc
	v_lshlrev_b64 v[12:13], 3, v[20:21]
	v_mov_b32_e32 v16, s17
	v_add_co_u32_e64 v20, s[6:7], s16, v12
	v_addc_co_u32_e64 v21, s[8:9], v16, v13, s[6:7]
	global_load_dwordx2 v[28:29], v[18:19], off
	global_load_dwordx2 v[30:31], v[20:21], off
	s_mov_b64 s[38:39], -1
	s_waitcnt vmcnt(0)
	v_cmp_eq_f64_e64 s[8:9], v[28:29], v[30:31]
	s_and_saveexec_b64 s[10:11], s[8:9]
	s_cbranch_execz .LBB833_79
; %bb.73:
	v_mov_b32_e32 v12, s17
	v_addc_co_u32_e64 v13, s[6:7], v13, v12, s[6:7]
	v_add_co_u32_e64 v12, s[6:7], 8, v20
	v_mov_b32_e32 v16, s17
	v_addc_co_u32_e64 v13, s[6:7], 0, v13, s[6:7]
	v_addc_co_u32_e32 v17, vcc, v17, v16, vcc
	v_add_co_u32_e32 v16, vcc, 8, v18
	s_add_u32 s6, s26, -1
	v_addc_co_u32_e32 v17, vcc, 0, v17, vcc
	s_addc_u32 s7, s27, -1
	s_mov_b64 s[8:9], 0
	s_mov_b64 s[40:41], 0
                                        ; implicit-def: $sgpr38_sgpr39
	s_branch .LBB833_76
.LBB833_74:                             ;   in Loop: Header=BB833_76 Depth=1
	global_load_dwordx2 v[18:19], v[16:17], off
	global_load_dwordx2 v[20:21], v[12:13], off
	v_add_co_u32_e32 v12, vcc, 8, v12
	v_addc_co_u32_e32 v13, vcc, 0, v13, vcc
	v_add_co_u32_e32 v16, vcc, 8, v16
	v_addc_co_u32_e32 v17, vcc, 0, v17, vcc
	s_add_u32 s40, s40, 1
	s_addc_u32 s41, s41, 0
	s_andn2_b64 s[38:39], s[38:39], exec
	s_waitcnt vmcnt(0)
	v_cmp_neq_f64_e32 vcc, v[18:19], v[20:21]
	s_and_b64 s[42:43], vcc, exec
	s_or_b64 s[38:39], s[38:39], s[42:43]
.LBB833_75:                             ;   in Loop: Header=BB833_76 Depth=1
	s_and_b64 s[42:43], exec, s[38:39]
	s_or_b64 s[8:9], s[42:43], s[8:9]
	v_pk_mov_b32 v[18:19], s[40:41], s[40:41] op_sel:[0,1]
	s_andn2_b64 exec, exec, s[8:9]
	s_cbranch_execz .LBB833_78
.LBB833_76:                             ; =>This Inner Loop Header: Depth=1
	s_or_b64 s[38:39], s[38:39], exec
	s_cmp_eq_u64 s[6:7], s[40:41]
	s_cbranch_scc0 .LBB833_74
; %bb.77:                               ;   in Loop: Header=BB833_76 Depth=1
                                        ; implicit-def: $vgpr12_vgpr13
                                        ; implicit-def: $vgpr16_vgpr17
	s_mov_b64 s[40:41], s[26:27]
	s_branch .LBB833_75
.LBB833_78:
	s_or_b64 exec, exec, s[8:9]
	v_cmp_gt_i64_e32 vcc, s[26:27], v[18:19]
	s_orn2_b64 s[38:39], vcc, exec
.LBB833_79:
	s_or_b64 exec, exec, s[10:11]
.LBB833_80:
	s_and_b64 s[10:11], s[38:39], exec
.LBB833_81:
	s_or_b64 exec, exec, s[36:37]
	v_cmp_gt_u32_e32 vcc, s48, v25
	s_and_saveexec_b64 s[36:37], vcc
	s_cbranch_execz .LBB833_92
; %bb.82:
	s_and_b64 vcc, exec, s[4:5]
	s_mov_b64 s[38:39], 0
	s_cbranch_vccnz .LBB833_91
; %bb.83:
	v_mul_lo_u32 v16, v3, s26
	v_mul_lo_u32 v17, v2, s27
	v_mad_u64_u32 v[12:13], s[6:7], v2, s26, 0
	v_add3_u32 v13, v13, v17, v16
	v_mul_lo_u32 v16, v5, s26
	v_mul_lo_u32 v17, v4, s27
	v_mad_u64_u32 v[20:21], s[6:7], v4, s26, 0
	v_add3_u32 v21, v21, v17, v16
	v_lshlrev_b64 v[16:17], 3, v[12:13]
	v_mov_b32_e32 v12, s17
	v_add_co_u32_e32 v18, vcc, s16, v16
	v_addc_co_u32_e64 v19, s[6:7], v12, v17, vcc
	v_lshlrev_b64 v[12:13], 3, v[20:21]
	v_mov_b32_e32 v16, s17
	v_add_co_u32_e64 v20, s[6:7], s16, v12
	v_addc_co_u32_e64 v21, s[8:9], v16, v13, s[6:7]
	global_load_dwordx2 v[28:29], v[18:19], off
	global_load_dwordx2 v[30:31], v[20:21], off
	s_mov_b64 s[38:39], -1
	s_waitcnt vmcnt(0)
	v_cmp_eq_f64_e64 s[8:9], v[28:29], v[30:31]
	s_and_saveexec_b64 s[14:15], s[8:9]
	s_cbranch_execz .LBB833_90
; %bb.84:
	v_mov_b32_e32 v12, s17
	v_addc_co_u32_e64 v13, s[6:7], v13, v12, s[6:7]
	v_add_co_u32_e64 v12, s[6:7], 8, v20
	v_mov_b32_e32 v16, s17
	v_addc_co_u32_e64 v13, s[6:7], 0, v13, s[6:7]
	v_addc_co_u32_e32 v17, vcc, v17, v16, vcc
	v_add_co_u32_e32 v16, vcc, 8, v18
	s_add_u32 s6, s26, -1
	v_addc_co_u32_e32 v17, vcc, 0, v17, vcc
	s_addc_u32 s7, s27, -1
	s_mov_b64 s[8:9], 0
	s_mov_b64 s[40:41], 0
                                        ; implicit-def: $sgpr38_sgpr39
	s_branch .LBB833_87
.LBB833_85:                             ;   in Loop: Header=BB833_87 Depth=1
	global_load_dwordx2 v[18:19], v[16:17], off
	global_load_dwordx2 v[20:21], v[12:13], off
	v_add_co_u32_e32 v12, vcc, 8, v12
	v_addc_co_u32_e32 v13, vcc, 0, v13, vcc
	v_add_co_u32_e32 v16, vcc, 8, v16
	v_addc_co_u32_e32 v17, vcc, 0, v17, vcc
	s_add_u32 s40, s40, 1
	s_addc_u32 s41, s41, 0
	s_andn2_b64 s[38:39], s[38:39], exec
	s_waitcnt vmcnt(0)
	v_cmp_neq_f64_e32 vcc, v[18:19], v[20:21]
	s_and_b64 s[42:43], vcc, exec
	s_or_b64 s[38:39], s[38:39], s[42:43]
.LBB833_86:                             ;   in Loop: Header=BB833_87 Depth=1
	s_and_b64 s[42:43], exec, s[38:39]
	s_or_b64 s[8:9], s[42:43], s[8:9]
	v_pk_mov_b32 v[18:19], s[40:41], s[40:41] op_sel:[0,1]
	s_andn2_b64 exec, exec, s[8:9]
	s_cbranch_execz .LBB833_89
.LBB833_87:                             ; =>This Inner Loop Header: Depth=1
	s_or_b64 s[38:39], s[38:39], exec
	s_cmp_eq_u64 s[6:7], s[40:41]
	s_cbranch_scc0 .LBB833_85
; %bb.88:                               ;   in Loop: Header=BB833_87 Depth=1
                                        ; implicit-def: $vgpr12_vgpr13
                                        ; implicit-def: $vgpr16_vgpr17
	s_mov_b64 s[40:41], s[26:27]
	s_branch .LBB833_86
.LBB833_89:
	s_or_b64 exec, exec, s[8:9]
	v_cmp_gt_i64_e32 vcc, s[26:27], v[18:19]
	s_orn2_b64 s[38:39], vcc, exec
.LBB833_90:
	s_or_b64 exec, exec, s[14:15]
.LBB833_91:
	s_and_b64 s[14:15], s[38:39], exec
.LBB833_92:
	s_or_b64 exec, exec, s[36:37]
	v_cmp_gt_u32_e32 vcc, s48, v22
	s_mov_b64 s[36:37], 0
	s_mov_b64 s[38:39], 0
	s_and_saveexec_b64 s[40:41], vcc
	s_cbranch_execz .LBB833_103
; %bb.93:
	s_and_b64 vcc, exec, s[4:5]
	s_mov_b64 s[42:43], 0
	s_cbranch_vccnz .LBB833_102
; %bb.94:
	v_mul_lo_u32 v16, v9, s26
	v_mul_lo_u32 v17, v8, s27
	v_mad_u64_u32 v[12:13], s[6:7], v8, s26, 0
	v_add3_u32 v13, v13, v17, v16
	v_mul_lo_u32 v16, v3, s26
	v_mul_lo_u32 v17, v2, s27
	v_mad_u64_u32 v[20:21], s[6:7], v2, s26, 0
	v_add3_u32 v21, v21, v17, v16
	v_lshlrev_b64 v[16:17], 3, v[12:13]
	v_mov_b32_e32 v12, s17
	v_add_co_u32_e32 v18, vcc, s16, v16
	v_addc_co_u32_e64 v19, s[6:7], v12, v17, vcc
	v_lshlrev_b64 v[12:13], 3, v[20:21]
	v_mov_b32_e32 v16, s17
	v_add_co_u32_e64 v20, s[6:7], s16, v12
	v_addc_co_u32_e64 v21, s[8:9], v16, v13, s[6:7]
	global_load_dwordx2 v[28:29], v[18:19], off
	global_load_dwordx2 v[30:31], v[20:21], off
	s_mov_b64 s[42:43], -1
	s_waitcnt vmcnt(0)
	v_cmp_eq_f64_e64 s[8:9], v[28:29], v[30:31]
	s_and_saveexec_b64 s[38:39], s[8:9]
	s_cbranch_execz .LBB833_101
; %bb.95:
	v_mov_b32_e32 v12, s17
	v_addc_co_u32_e64 v13, s[6:7], v13, v12, s[6:7]
	v_add_co_u32_e64 v12, s[6:7], 8, v20
	v_mov_b32_e32 v16, s17
	v_addc_co_u32_e64 v13, s[6:7], 0, v13, s[6:7]
	v_addc_co_u32_e32 v17, vcc, v17, v16, vcc
	v_add_co_u32_e32 v16, vcc, 8, v18
	s_add_u32 s6, s26, -1
	v_addc_co_u32_e32 v17, vcc, 0, v17, vcc
	s_addc_u32 s7, s27, -1
	s_mov_b64 s[8:9], 0
	s_mov_b64 s[44:45], 0
                                        ; implicit-def: $sgpr42_sgpr43
	s_branch .LBB833_98
.LBB833_96:                             ;   in Loop: Header=BB833_98 Depth=1
	global_load_dwordx2 v[18:19], v[16:17], off
	global_load_dwordx2 v[20:21], v[12:13], off
	v_add_co_u32_e32 v12, vcc, 8, v12
	v_addc_co_u32_e32 v13, vcc, 0, v13, vcc
	v_add_co_u32_e32 v16, vcc, 8, v16
	v_addc_co_u32_e32 v17, vcc, 0, v17, vcc
	s_add_u32 s44, s44, 1
	s_addc_u32 s45, s45, 0
	s_andn2_b64 s[42:43], s[42:43], exec
	s_waitcnt vmcnt(0)
	v_cmp_neq_f64_e32 vcc, v[18:19], v[20:21]
	s_and_b64 s[46:47], vcc, exec
	s_or_b64 s[42:43], s[42:43], s[46:47]
.LBB833_97:                             ;   in Loop: Header=BB833_98 Depth=1
	s_and_b64 s[46:47], exec, s[42:43]
	s_or_b64 s[8:9], s[46:47], s[8:9]
	v_pk_mov_b32 v[18:19], s[44:45], s[44:45] op_sel:[0,1]
	s_andn2_b64 exec, exec, s[8:9]
	s_cbranch_execz .LBB833_100
.LBB833_98:                             ; =>This Inner Loop Header: Depth=1
	s_or_b64 s[42:43], s[42:43], exec
	s_cmp_eq_u64 s[6:7], s[44:45]
	s_cbranch_scc0 .LBB833_96
; %bb.99:                               ;   in Loop: Header=BB833_98 Depth=1
                                        ; implicit-def: $vgpr12_vgpr13
                                        ; implicit-def: $vgpr16_vgpr17
	s_mov_b64 s[44:45], s[26:27]
	s_branch .LBB833_97
.LBB833_100:
	s_or_b64 exec, exec, s[8:9]
	v_cmp_gt_i64_e32 vcc, s[26:27], v[18:19]
	s_orn2_b64 s[42:43], vcc, exec
.LBB833_101:
	s_or_b64 exec, exec, s[38:39]
.LBB833_102:
	s_and_b64 s[38:39], s[42:43], exec
.LBB833_103:
	s_or_b64 exec, exec, s[40:41]
	v_cmp_gt_u32_e32 vcc, s48, v24
	s_and_saveexec_b64 s[40:41], vcc
	s_cbranch_execz .LBB833_114
; %bb.104:
	s_and_b64 vcc, exec, s[4:5]
	s_mov_b64 s[42:43], 0
	s_cbranch_vccnz .LBB833_113
; %bb.105:
	v_mul_lo_u32 v16, v7, s26
	v_mul_lo_u32 v17, v6, s27
	v_mad_u64_u32 v[12:13], s[6:7], v6, s26, 0
	v_add3_u32 v13, v13, v17, v16
	v_mul_lo_u32 v16, v9, s26
	v_mul_lo_u32 v17, v8, s27
	v_mad_u64_u32 v[20:21], s[6:7], v8, s26, 0
	v_add3_u32 v21, v21, v17, v16
	v_lshlrev_b64 v[16:17], 3, v[12:13]
	v_mov_b32_e32 v12, s17
	v_add_co_u32_e32 v18, vcc, s16, v16
	v_addc_co_u32_e64 v19, s[6:7], v12, v17, vcc
	v_lshlrev_b64 v[12:13], 3, v[20:21]
	v_mov_b32_e32 v16, s17
	v_add_co_u32_e64 v20, s[6:7], s16, v12
	v_addc_co_u32_e64 v21, s[8:9], v16, v13, s[6:7]
	global_load_dwordx2 v[28:29], v[18:19], off
	global_load_dwordx2 v[30:31], v[20:21], off
	s_mov_b64 s[42:43], -1
	s_waitcnt vmcnt(0)
	v_cmp_eq_f64_e64 s[8:9], v[28:29], v[30:31]
	s_and_saveexec_b64 s[36:37], s[8:9]
	s_cbranch_execz .LBB833_112
; %bb.106:
	v_mov_b32_e32 v12, s17
	v_addc_co_u32_e64 v13, s[6:7], v13, v12, s[6:7]
	v_add_co_u32_e64 v12, s[6:7], 8, v20
	v_mov_b32_e32 v16, s17
	v_addc_co_u32_e64 v13, s[6:7], 0, v13, s[6:7]
	v_addc_co_u32_e32 v17, vcc, v17, v16, vcc
	v_add_co_u32_e32 v16, vcc, 8, v18
	s_add_u32 s6, s26, -1
	v_addc_co_u32_e32 v17, vcc, 0, v17, vcc
	s_addc_u32 s7, s27, -1
	s_mov_b64 s[8:9], 0
	s_mov_b64 s[44:45], 0
                                        ; implicit-def: $sgpr42_sgpr43
	s_branch .LBB833_109
.LBB833_107:                            ;   in Loop: Header=BB833_109 Depth=1
	global_load_dwordx2 v[18:19], v[16:17], off
	global_load_dwordx2 v[20:21], v[12:13], off
	v_add_co_u32_e32 v12, vcc, 8, v12
	v_addc_co_u32_e32 v13, vcc, 0, v13, vcc
	v_add_co_u32_e32 v16, vcc, 8, v16
	v_addc_co_u32_e32 v17, vcc, 0, v17, vcc
	s_add_u32 s44, s44, 1
	s_addc_u32 s45, s45, 0
	s_andn2_b64 s[42:43], s[42:43], exec
	s_waitcnt vmcnt(0)
	v_cmp_neq_f64_e32 vcc, v[18:19], v[20:21]
	s_and_b64 s[46:47], vcc, exec
	s_or_b64 s[42:43], s[42:43], s[46:47]
.LBB833_108:                            ;   in Loop: Header=BB833_109 Depth=1
	s_and_b64 s[46:47], exec, s[42:43]
	s_or_b64 s[8:9], s[46:47], s[8:9]
	v_pk_mov_b32 v[18:19], s[44:45], s[44:45] op_sel:[0,1]
	s_andn2_b64 exec, exec, s[8:9]
	s_cbranch_execz .LBB833_111
.LBB833_109:                            ; =>This Inner Loop Header: Depth=1
	s_or_b64 s[42:43], s[42:43], exec
	s_cmp_eq_u64 s[6:7], s[44:45]
	s_cbranch_scc0 .LBB833_107
; %bb.110:                              ;   in Loop: Header=BB833_109 Depth=1
                                        ; implicit-def: $vgpr12_vgpr13
                                        ; implicit-def: $vgpr16_vgpr17
	s_mov_b64 s[44:45], s[26:27]
	s_branch .LBB833_108
.LBB833_111:
	s_or_b64 exec, exec, s[8:9]
	v_cmp_gt_i64_e32 vcc, s[26:27], v[18:19]
	s_orn2_b64 s[42:43], vcc, exec
.LBB833_112:
	s_or_b64 exec, exec, s[36:37]
.LBB833_113:
	s_and_b64 s[36:37], s[42:43], exec
.LBB833_114:
	s_or_b64 exec, exec, s[40:41]
	s_waitcnt lgkmcnt(0)
	s_barrier
	s_and_saveexec_b64 s[6:7], s[2:3]
	s_cbranch_execz .LBB833_116
; %bb.115:
	v_add_u32_e32 v12, -8, v27
	s_waitcnt vmcnt(0)
	ds_read_b64 v[14:15], v12
.LBB833_116:
	s_or_b64 exec, exec, s[6:7]
	v_cndmask_b32_e64 v13, 0, 1, s[14:15]
	v_cndmask_b32_e64 v12, 0, 1, s[38:39]
	;; [unrolled: 1-line block ×3, first 2 shown]
	v_lshlrev_b16_e32 v13, 8, v13
	v_cmp_gt_u32_e32 vcc, s48, v1
	v_lshlrev_b16_e32 v20, 8, v16
	v_or_b32_sdwa v21, v12, v13 dst_sel:WORD_1 dst_unused:UNUSED_PAD src0_sel:DWORD src1_sel:DWORD
	s_mov_b64 s[36:37], 0
	s_and_saveexec_b64 s[8:9], vcc
	s_cbranch_execz .LBB833_127
; %bb.117:
	s_and_b64 vcc, exec, s[4:5]
	s_cbranch_vccnz .LBB833_126
; %bb.118:
	s_waitcnt vmcnt(0) lgkmcnt(0)
	v_mul_lo_u32 v15, v15, s26
	v_mul_lo_u32 v16, v14, s27
	v_mad_u64_u32 v[12:13], s[4:5], v14, s26, 0
	v_add3_u32 v13, v13, v16, v15
	v_mul_lo_u32 v14, v7, s26
	v_mul_lo_u32 v15, v6, s27
	v_mad_u64_u32 v[18:19], s[4:5], v6, s26, 0
	v_add3_u32 v19, v19, v15, v14
	v_lshlrev_b64 v[14:15], 3, v[12:13]
	v_mov_b32_e32 v12, s17
	v_add_co_u32_e32 v16, vcc, s16, v14
	v_addc_co_u32_e64 v17, s[4:5], v12, v15, vcc
	v_lshlrev_b64 v[12:13], 3, v[18:19]
	v_mov_b32_e32 v14, s17
	v_add_co_u32_e64 v18, s[4:5], s16, v12
	v_addc_co_u32_e64 v19, s[6:7], v14, v13, s[4:5]
	global_load_dwordx2 v[28:29], v[16:17], off
	global_load_dwordx2 v[30:31], v[18:19], off
	s_mov_b64 s[36:37], -1
	s_waitcnt vmcnt(0)
	v_cmp_eq_f64_e64 s[6:7], v[28:29], v[30:31]
	s_and_saveexec_b64 s[14:15], s[6:7]
	s_cbranch_execz .LBB833_125
; %bb.119:
	v_mov_b32_e32 v12, s17
	v_addc_co_u32_e64 v13, s[4:5], v13, v12, s[4:5]
	v_add_co_u32_e64 v12, s[4:5], 8, v18
	v_mov_b32_e32 v14, s17
	v_addc_co_u32_e64 v13, s[4:5], 0, v13, s[4:5]
	v_addc_co_u32_e32 v15, vcc, v15, v14, vcc
	v_add_co_u32_e32 v14, vcc, 8, v16
	s_add_u32 s4, s26, -1
	v_addc_co_u32_e32 v15, vcc, 0, v15, vcc
	s_addc_u32 s5, s27, -1
	s_mov_b64 s[6:7], 0
	s_mov_b64 s[38:39], 0
                                        ; implicit-def: $sgpr36_sgpr37
	s_branch .LBB833_122
.LBB833_120:                            ;   in Loop: Header=BB833_122 Depth=1
	global_load_dwordx2 v[16:17], v[14:15], off
	global_load_dwordx2 v[18:19], v[12:13], off
	v_add_co_u32_e32 v12, vcc, 8, v12
	v_addc_co_u32_e32 v13, vcc, 0, v13, vcc
	v_add_co_u32_e32 v14, vcc, 8, v14
	v_addc_co_u32_e32 v15, vcc, 0, v15, vcc
	s_add_u32 s38, s38, 1
	s_addc_u32 s39, s39, 0
	s_andn2_b64 s[36:37], s[36:37], exec
	s_waitcnt vmcnt(0)
	v_cmp_neq_f64_e32 vcc, v[16:17], v[18:19]
	s_and_b64 s[40:41], vcc, exec
	s_or_b64 s[36:37], s[36:37], s[40:41]
.LBB833_121:                            ;   in Loop: Header=BB833_122 Depth=1
	s_and_b64 s[40:41], exec, s[36:37]
	s_or_b64 s[6:7], s[40:41], s[6:7]
	v_pk_mov_b32 v[16:17], s[38:39], s[38:39] op_sel:[0,1]
	s_andn2_b64 exec, exec, s[6:7]
	s_cbranch_execz .LBB833_124
.LBB833_122:                            ; =>This Inner Loop Header: Depth=1
	s_or_b64 s[36:37], s[36:37], exec
	s_cmp_eq_u64 s[4:5], s[38:39]
	s_cbranch_scc0 .LBB833_120
; %bb.123:                              ;   in Loop: Header=BB833_122 Depth=1
                                        ; implicit-def: $vgpr12_vgpr13
                                        ; implicit-def: $vgpr14_vgpr15
	s_mov_b64 s[38:39], s[26:27]
	s_branch .LBB833_121
.LBB833_124:
	s_or_b64 exec, exec, s[6:7]
	v_cmp_gt_i64_e32 vcc, s[26:27], v[16:17]
	s_orn2_b64 s[36:37], vcc, exec
.LBB833_125:
	s_or_b64 exec, exec, s[14:15]
.LBB833_126:
	s_and_b64 s[36:37], s[36:37], exec
.LBB833_127:
	s_or_b64 exec, exec, s[8:9]
	v_cndmask_b32_e64 v13, 0, 1, s[10:11]
	v_or_b32_e32 v16, v20, v21
.LBB833_128:
	s_mov_b64 s[14:15], -1
	s_cbranch_execnz .LBB833_237
.LBB833_129:
	v_lshlrev_b32_e32 v12, 5, v0
	v_sub_u32_e32 v26, v26, v12
	s_mov_b64 s[36:37], 0
	v_cmp_gt_i64_e64 s[10:11], s[26:27], 0
	s_and_b64 vcc, exec, s[30:31]
	ds_write_b64 v26, v[10:11]
	s_cbranch_vccz .LBB833_137
; %bb.130:
	s_waitcnt vmcnt(0) lgkmcnt(1)
	v_mul_lo_u32 v14, v5, s26
	v_mul_lo_u32 v15, v4, s27
	v_mad_u64_u32 v[12:13], s[4:5], v4, s26, 0
	v_add3_u32 v13, v13, v15, v14
	v_cndmask_b32_e64 v14, 0, 1, s[10:11]
	v_cmp_ne_u32_e64 s[4:5], 1, v14
	s_andn2_b64 vcc, exec, s[10:11]
	v_lshlrev_b64 v[12:13], 3, v[12:13]
	s_cbranch_vccnz .LBB833_140
; %bb.131:
	v_mul_lo_u32 v16, v11, s26
	v_mul_lo_u32 v17, v10, s27
	v_mad_u64_u32 v[14:15], s[6:7], v10, s26, 0
	v_add3_u32 v15, v15, v17, v16
	v_mov_b32_e32 v17, s17
	v_add_co_u32_e32 v16, vcc, s16, v12
	v_addc_co_u32_e64 v17, s[6:7], v17, v13, vcc
	v_lshlrev_b64 v[14:15], 3, v[14:15]
	v_mov_b32_e32 v19, s17
	v_add_co_u32_e64 v18, s[6:7], s16, v14
	v_addc_co_u32_e64 v19, s[8:9], v19, v15, s[6:7]
	global_load_dwordx2 v[20:21], v[16:17], off
	global_load_dwordx2 v[28:29], v[18:19], off
	s_mov_b64 s[36:37], -1
	s_waitcnt vmcnt(0)
	v_cmp_eq_f64_e64 s[8:9], v[20:21], v[28:29]
	s_and_saveexec_b64 s[38:39], s[8:9]
	s_cbranch_execz .LBB833_139
; %bb.132:
	v_mov_b32_e32 v14, s17
	v_addc_co_u32_e64 v15, s[6:7], v15, v14, s[6:7]
	v_add_co_u32_e64 v14, s[6:7], 8, v18
	v_mov_b32_e32 v17, s17
	v_addc_co_u32_e64 v15, s[6:7], 0, v15, s[6:7]
	v_addc_co_u32_e32 v17, vcc, v13, v17, vcc
	v_add_co_u32_e32 v16, vcc, 8, v16
	s_add_u32 s6, s26, -1
	v_addc_co_u32_e32 v17, vcc, 0, v17, vcc
	s_addc_u32 s7, s27, -1
	s_mov_b64 s[8:9], 0
	s_mov_b64 s[40:41], 0
                                        ; implicit-def: $sgpr36_sgpr37
	s_branch .LBB833_135
.LBB833_133:                            ;   in Loop: Header=BB833_135 Depth=1
	global_load_dwordx2 v[18:19], v[16:17], off
	global_load_dwordx2 v[20:21], v[14:15], off
	v_add_co_u32_e32 v14, vcc, 8, v14
	v_addc_co_u32_e32 v15, vcc, 0, v15, vcc
	v_add_co_u32_e32 v16, vcc, 8, v16
	v_addc_co_u32_e32 v17, vcc, 0, v17, vcc
	s_add_u32 s40, s40, 1
	s_addc_u32 s41, s41, 0
	s_andn2_b64 s[36:37], s[36:37], exec
	s_waitcnt vmcnt(0)
	v_cmp_neq_f64_e32 vcc, v[18:19], v[20:21]
	s_and_b64 s[42:43], vcc, exec
	s_or_b64 s[36:37], s[36:37], s[42:43]
.LBB833_134:                            ;   in Loop: Header=BB833_135 Depth=1
	s_and_b64 s[42:43], exec, s[36:37]
	s_or_b64 s[8:9], s[42:43], s[8:9]
	v_pk_mov_b32 v[18:19], s[40:41], s[40:41] op_sel:[0,1]
	s_andn2_b64 exec, exec, s[8:9]
	s_cbranch_execz .LBB833_138
.LBB833_135:                            ; =>This Inner Loop Header: Depth=1
	s_or_b64 s[36:37], s[36:37], exec
	s_cmp_eq_u64 s[6:7], s[40:41]
	s_cbranch_scc0 .LBB833_133
; %bb.136:                              ;   in Loop: Header=BB833_135 Depth=1
                                        ; implicit-def: $vgpr14_vgpr15
                                        ; implicit-def: $vgpr16_vgpr17
	s_mov_b64 s[40:41], s[26:27]
	s_branch .LBB833_134
.LBB833_137:
                                        ; implicit-def: $sgpr36_sgpr37
                                        ; implicit-def: $vgpr13
                                        ; implicit-def: $vgpr16
	s_cbranch_execnz .LBB833_179
	s_branch .LBB833_237
.LBB833_138:
	s_or_b64 exec, exec, s[8:9]
	v_cmp_gt_i64_e32 vcc, s[26:27], v[18:19]
	s_orn2_b64 s[36:37], vcc, exec
.LBB833_139:
	s_or_b64 exec, exec, s[38:39]
.LBB833_140:
	v_mul_lo_u32 v16, v3, s26
	v_mul_lo_u32 v17, v2, s27
	v_mad_u64_u32 v[14:15], s[6:7], v2, s26, 0
	v_add3_u32 v15, v15, v17, v16
	s_mov_b64 s[38:39], 0
	s_and_b64 vcc, exec, s[4:5]
	v_lshlrev_b64 v[14:15], 3, v[14:15]
	s_mov_b64 s[40:41], 0
	s_cbranch_vccnz .LBB833_149
; %bb.141:
	v_mov_b32_e32 v17, s17
	v_add_co_u32_e32 v16, vcc, s16, v14
	v_addc_co_u32_e64 v17, s[6:7], v17, v15, vcc
	v_mov_b32_e32 v19, s17
	v_add_co_u32_e64 v18, s[6:7], s16, v12
	v_addc_co_u32_e64 v19, s[8:9], v19, v13, s[6:7]
	global_load_dwordx2 v[20:21], v[16:17], off
	global_load_dwordx2 v[28:29], v[18:19], off
	s_mov_b64 s[40:41], -1
	s_waitcnt vmcnt(0)
	v_cmp_eq_f64_e64 s[8:9], v[20:21], v[28:29]
	s_and_saveexec_b64 s[42:43], s[8:9]
	s_cbranch_execz .LBB833_148
; %bb.142:
	v_mov_b32_e32 v12, s17
	v_addc_co_u32_e64 v13, s[6:7], v13, v12, s[6:7]
	v_add_co_u32_e64 v12, s[6:7], 8, v18
	v_mov_b32_e32 v17, s17
	v_addc_co_u32_e64 v13, s[6:7], 0, v13, s[6:7]
	v_addc_co_u32_e32 v17, vcc, v15, v17, vcc
	v_add_co_u32_e32 v16, vcc, 8, v16
	s_add_u32 s6, s26, -1
	v_addc_co_u32_e32 v17, vcc, 0, v17, vcc
	s_addc_u32 s7, s27, -1
	s_mov_b64 s[8:9], 0
	s_mov_b64 s[44:45], 0
                                        ; implicit-def: $sgpr40_sgpr41
	s_branch .LBB833_145
.LBB833_143:                            ;   in Loop: Header=BB833_145 Depth=1
	global_load_dwordx2 v[18:19], v[16:17], off
	global_load_dwordx2 v[20:21], v[12:13], off
	v_add_co_u32_e32 v12, vcc, 8, v12
	v_addc_co_u32_e32 v13, vcc, 0, v13, vcc
	v_add_co_u32_e32 v16, vcc, 8, v16
	v_addc_co_u32_e32 v17, vcc, 0, v17, vcc
	s_add_u32 s44, s44, 1
	s_addc_u32 s45, s45, 0
	s_andn2_b64 s[40:41], s[40:41], exec
	s_waitcnt vmcnt(0)
	v_cmp_neq_f64_e32 vcc, v[18:19], v[20:21]
	s_and_b64 s[46:47], vcc, exec
	s_or_b64 s[40:41], s[40:41], s[46:47]
.LBB833_144:                            ;   in Loop: Header=BB833_145 Depth=1
	s_and_b64 s[46:47], exec, s[40:41]
	s_or_b64 s[8:9], s[46:47], s[8:9]
	v_pk_mov_b32 v[18:19], s[44:45], s[44:45] op_sel:[0,1]
	s_andn2_b64 exec, exec, s[8:9]
	s_cbranch_execz .LBB833_147
.LBB833_145:                            ; =>This Inner Loop Header: Depth=1
	s_or_b64 s[40:41], s[40:41], exec
	s_cmp_eq_u64 s[6:7], s[44:45]
	s_cbranch_scc0 .LBB833_143
; %bb.146:                              ;   in Loop: Header=BB833_145 Depth=1
                                        ; implicit-def: $vgpr12_vgpr13
                                        ; implicit-def: $vgpr16_vgpr17
	s_mov_b64 s[44:45], s[26:27]
	s_branch .LBB833_144
.LBB833_147:
	s_or_b64 exec, exec, s[8:9]
	v_cmp_gt_i64_e32 vcc, s[26:27], v[18:19]
	s_orn2_b64 s[40:41], vcc, exec
.LBB833_148:
	s_or_b64 exec, exec, s[42:43]
.LBB833_149:
	v_mul_lo_u32 v16, v9, s26
	v_mul_lo_u32 v17, v8, s27
	v_mad_u64_u32 v[12:13], s[6:7], v8, s26, 0
	v_add3_u32 v13, v13, v17, v16
	s_and_b64 vcc, exec, s[4:5]
	v_lshlrev_b64 v[12:13], 3, v[12:13]
	s_cbranch_vccnz .LBB833_158
; %bb.150:
	v_mov_b32_e32 v17, s17
	v_add_co_u32_e32 v16, vcc, s16, v12
	v_addc_co_u32_e64 v17, s[6:7], v17, v13, vcc
	v_mov_b32_e32 v19, s17
	v_add_co_u32_e64 v18, s[6:7], s16, v14
	v_addc_co_u32_e64 v19, s[8:9], v19, v15, s[6:7]
	global_load_dwordx2 v[20:21], v[16:17], off
	global_load_dwordx2 v[28:29], v[18:19], off
	s_mov_b64 s[38:39], -1
	s_waitcnt vmcnt(0)
	v_cmp_eq_f64_e64 s[8:9], v[20:21], v[28:29]
	s_and_saveexec_b64 s[42:43], s[8:9]
	s_cbranch_execz .LBB833_157
; %bb.151:
	v_mov_b32_e32 v14, s17
	v_addc_co_u32_e64 v15, s[6:7], v15, v14, s[6:7]
	v_add_co_u32_e64 v14, s[6:7], 8, v18
	v_mov_b32_e32 v17, s17
	v_addc_co_u32_e64 v15, s[6:7], 0, v15, s[6:7]
	v_addc_co_u32_e32 v17, vcc, v13, v17, vcc
	v_add_co_u32_e32 v16, vcc, 8, v16
	s_add_u32 s6, s26, -1
	v_addc_co_u32_e32 v17, vcc, 0, v17, vcc
	s_addc_u32 s7, s27, -1
	s_mov_b64 s[8:9], 0
	s_mov_b64 s[44:45], 0
                                        ; implicit-def: $sgpr38_sgpr39
	s_branch .LBB833_154
.LBB833_152:                            ;   in Loop: Header=BB833_154 Depth=1
	global_load_dwordx2 v[18:19], v[16:17], off
	global_load_dwordx2 v[20:21], v[14:15], off
	v_add_co_u32_e32 v14, vcc, 8, v14
	v_addc_co_u32_e32 v15, vcc, 0, v15, vcc
	v_add_co_u32_e32 v16, vcc, 8, v16
	v_addc_co_u32_e32 v17, vcc, 0, v17, vcc
	s_add_u32 s44, s44, 1
	s_addc_u32 s45, s45, 0
	s_andn2_b64 s[38:39], s[38:39], exec
	s_waitcnt vmcnt(0)
	v_cmp_neq_f64_e32 vcc, v[18:19], v[20:21]
	s_and_b64 s[46:47], vcc, exec
	s_or_b64 s[38:39], s[38:39], s[46:47]
.LBB833_153:                            ;   in Loop: Header=BB833_154 Depth=1
	s_and_b64 s[46:47], exec, s[38:39]
	s_or_b64 s[8:9], s[46:47], s[8:9]
	v_pk_mov_b32 v[18:19], s[44:45], s[44:45] op_sel:[0,1]
	s_andn2_b64 exec, exec, s[8:9]
	s_cbranch_execz .LBB833_156
.LBB833_154:                            ; =>This Inner Loop Header: Depth=1
	s_or_b64 s[38:39], s[38:39], exec
	s_cmp_eq_u64 s[6:7], s[44:45]
	s_cbranch_scc0 .LBB833_152
; %bb.155:                              ;   in Loop: Header=BB833_154 Depth=1
                                        ; implicit-def: $vgpr14_vgpr15
                                        ; implicit-def: $vgpr16_vgpr17
	s_mov_b64 s[44:45], s[26:27]
	s_branch .LBB833_153
.LBB833_156:
	s_or_b64 exec, exec, s[8:9]
	v_cmp_gt_i64_e32 vcc, s[26:27], v[18:19]
	s_orn2_b64 s[38:39], vcc, exec
.LBB833_157:
	s_or_b64 exec, exec, s[42:43]
.LBB833_158:
	v_mul_lo_u32 v16, v7, s26
	v_mul_lo_u32 v17, v6, s27
	v_mad_u64_u32 v[14:15], s[6:7], v6, s26, 0
	v_add3_u32 v15, v15, v17, v16
	s_and_b64 vcc, exec, s[4:5]
	s_mov_b64 s[44:45], 0
	s_cbranch_vccnz .LBB833_167
; %bb.159:
	v_lshlrev_b64 v[16:17], 3, v[14:15]
	v_mov_b32_e32 v19, s17
	v_add_co_u32_e32 v18, vcc, s16, v16
	v_addc_co_u32_e64 v19, s[6:7], v19, v17, vcc
	v_mov_b32_e32 v16, s17
	v_add_co_u32_e64 v20, s[6:7], s16, v12
	v_addc_co_u32_e64 v21, s[8:9], v16, v13, s[6:7]
	global_load_dwordx2 v[28:29], v[18:19], off
	global_load_dwordx2 v[30:31], v[20:21], off
	s_mov_b64 s[44:45], -1
	s_waitcnt vmcnt(0)
	v_cmp_eq_f64_e64 s[8:9], v[28:29], v[30:31]
	s_and_saveexec_b64 s[42:43], s[8:9]
	s_cbranch_execz .LBB833_166
; %bb.160:
	v_mov_b32_e32 v12, s17
	v_addc_co_u32_e64 v13, s[6:7], v13, v12, s[6:7]
	v_add_co_u32_e64 v12, s[6:7], 8, v20
	v_mov_b32_e32 v16, s17
	v_addc_co_u32_e64 v13, s[6:7], 0, v13, s[6:7]
	v_addc_co_u32_e32 v17, vcc, v17, v16, vcc
	v_add_co_u32_e32 v16, vcc, 8, v18
	s_add_u32 s6, s26, -1
	v_addc_co_u32_e32 v17, vcc, 0, v17, vcc
	s_addc_u32 s7, s27, -1
	s_mov_b64 s[8:9], 0
	s_mov_b64 s[46:47], 0
                                        ; implicit-def: $sgpr44_sgpr45
	s_branch .LBB833_163
.LBB833_161:                            ;   in Loop: Header=BB833_163 Depth=1
	global_load_dwordx2 v[18:19], v[16:17], off
	global_load_dwordx2 v[20:21], v[12:13], off
	v_add_co_u32_e32 v12, vcc, 8, v12
	v_addc_co_u32_e32 v13, vcc, 0, v13, vcc
	v_add_co_u32_e32 v16, vcc, 8, v16
	v_addc_co_u32_e32 v17, vcc, 0, v17, vcc
	s_add_u32 s46, s46, 1
	s_addc_u32 s47, s47, 0
	s_andn2_b64 s[44:45], s[44:45], exec
	s_waitcnt vmcnt(0)
	v_cmp_neq_f64_e32 vcc, v[18:19], v[20:21]
	s_and_b64 s[50:51], vcc, exec
	s_or_b64 s[44:45], s[44:45], s[50:51]
.LBB833_162:                            ;   in Loop: Header=BB833_163 Depth=1
	s_and_b64 s[50:51], exec, s[44:45]
	s_or_b64 s[8:9], s[50:51], s[8:9]
	v_pk_mov_b32 v[18:19], s[46:47], s[46:47] op_sel:[0,1]
	s_andn2_b64 exec, exec, s[8:9]
	s_cbranch_execz .LBB833_165
.LBB833_163:                            ; =>This Inner Loop Header: Depth=1
	s_or_b64 s[44:45], s[44:45], exec
	s_cmp_eq_u64 s[6:7], s[46:47]
	s_cbranch_scc0 .LBB833_161
; %bb.164:                              ;   in Loop: Header=BB833_163 Depth=1
                                        ; implicit-def: $vgpr12_vgpr13
                                        ; implicit-def: $vgpr16_vgpr17
	s_mov_b64 s[46:47], s[26:27]
	s_branch .LBB833_162
.LBB833_165:
	s_or_b64 exec, exec, s[8:9]
	v_cmp_gt_i64_e32 vcc, s[26:27], v[18:19]
	s_orn2_b64 s[44:45], vcc, exec
.LBB833_166:
	s_or_b64 exec, exec, s[42:43]
.LBB833_167:
	v_cndmask_b32_e64 v13, 0, 1, s[40:41]
	v_cndmask_b32_e64 v16, 0, 1, s[44:45]
	;; [unrolled: 1-line block ×3, first 2 shown]
	v_lshlrev_b16_e32 v16, 8, v16
	v_lshlrev_b16_e32 v13, 8, v13
	v_or_b32_e32 v16, 1, v16
	v_or_b32_sdwa v12, v12, v13 dst_sel:WORD_1 dst_unused:UNUSED_PAD src0_sel:DWORD src1_sel:DWORD
	v_or_b32_sdwa v12, v16, v12 dst_sel:DWORD dst_unused:UNUSED_PAD src0_sel:WORD_0 src1_sel:DWORD
	v_cndmask_b32_e64 v13, 0, 1, s[36:37]
	s_waitcnt lgkmcnt(0)
	s_barrier
	s_waitcnt lgkmcnt(0)
                                        ; implicit-def: $sgpr36_sgpr37
                                        ; implicit-def: $vgpr16
	s_and_saveexec_b64 s[6:7], s[2:3]
	s_xor_b64 s[8:9], exec, s[6:7]
	s_cbranch_execz .LBB833_178
; %bb.168:
	s_mov_b32 s42, 0x3020104
	s_and_b64 vcc, exec, s[4:5]
	s_mov_b64 s[38:39], 0
	s_cbranch_vccnz .LBB833_177
; %bb.169:
	v_add_u32_e32 v16, -8, v26
	ds_read_b64 v[16:17], v16
	v_mov_b32_e32 v19, s17
	v_lshlrev_b64 v[14:15], 3, v[14:15]
	s_mov_b64 s[38:39], -1
	s_waitcnt lgkmcnt(0)
	v_mul_lo_u32 v18, v17, s26
	v_mul_lo_u32 v20, v16, s27
	v_mad_u64_u32 v[16:17], s[4:5], v16, s26, 0
	v_add3_u32 v17, v17, v20, v18
	v_lshlrev_b64 v[16:17], 3, v[16:17]
	v_add_co_u32_e32 v18, vcc, s16, v16
	v_addc_co_u32_e64 v19, s[4:5], v19, v17, vcc
	v_mov_b32_e32 v16, s17
	v_add_co_u32_e64 v20, s[4:5], s16, v14
	v_addc_co_u32_e64 v21, s[6:7], v16, v15, s[4:5]
	global_load_dwordx2 v[28:29], v[18:19], off
	global_load_dwordx2 v[30:31], v[20:21], off
	s_waitcnt vmcnt(0)
	v_cmp_eq_f64_e64 s[6:7], v[28:29], v[30:31]
	s_and_saveexec_b64 s[36:37], s[6:7]
	s_cbranch_execz .LBB833_176
; %bb.170:
	v_mov_b32_e32 v14, s17
	v_addc_co_u32_e64 v15, s[4:5], v15, v14, s[4:5]
	v_add_co_u32_e64 v14, s[4:5], 8, v20
	v_mov_b32_e32 v16, s17
	v_addc_co_u32_e64 v15, s[4:5], 0, v15, s[4:5]
	v_addc_co_u32_e32 v17, vcc, v17, v16, vcc
	v_add_co_u32_e32 v16, vcc, 8, v18
	s_add_u32 s4, s26, -1
	v_addc_co_u32_e32 v17, vcc, 0, v17, vcc
	s_addc_u32 s5, s27, -1
	s_mov_b64 s[6:7], 0
	s_mov_b64 s[40:41], 0
                                        ; implicit-def: $sgpr38_sgpr39
	s_branch .LBB833_173
.LBB833_171:                            ;   in Loop: Header=BB833_173 Depth=1
	global_load_dwordx2 v[18:19], v[16:17], off
	global_load_dwordx2 v[20:21], v[14:15], off
	v_add_co_u32_e32 v14, vcc, 8, v14
	v_addc_co_u32_e32 v15, vcc, 0, v15, vcc
	v_add_co_u32_e32 v16, vcc, 8, v16
	v_addc_co_u32_e32 v17, vcc, 0, v17, vcc
	s_add_u32 s40, s40, 1
	s_addc_u32 s41, s41, 0
	s_andn2_b64 s[38:39], s[38:39], exec
	s_waitcnt vmcnt(0)
	v_cmp_neq_f64_e32 vcc, v[18:19], v[20:21]
	s_and_b64 s[44:45], vcc, exec
	s_or_b64 s[38:39], s[38:39], s[44:45]
.LBB833_172:                            ;   in Loop: Header=BB833_173 Depth=1
	s_and_b64 s[44:45], exec, s[38:39]
	s_or_b64 s[6:7], s[44:45], s[6:7]
	v_pk_mov_b32 v[18:19], s[40:41], s[40:41] op_sel:[0,1]
	s_andn2_b64 exec, exec, s[6:7]
	s_cbranch_execz .LBB833_175
.LBB833_173:                            ; =>This Inner Loop Header: Depth=1
	s_or_b64 s[38:39], s[38:39], exec
	s_cmp_eq_u64 s[4:5], s[40:41]
	s_cbranch_scc0 .LBB833_171
; %bb.174:                              ;   in Loop: Header=BB833_173 Depth=1
                                        ; implicit-def: $vgpr14_vgpr15
                                        ; implicit-def: $vgpr16_vgpr17
	s_mov_b64 s[40:41], s[26:27]
	s_branch .LBB833_172
.LBB833_175:
	s_or_b64 exec, exec, s[6:7]
	v_cmp_gt_i64_e32 vcc, s[26:27], v[18:19]
	s_orn2_b64 s[38:39], vcc, exec
.LBB833_176:
	s_or_b64 exec, exec, s[36:37]
.LBB833_177:
	v_perm_b32 v16, v12, v12, s42
	s_and_b64 s[36:37], s[38:39], exec
	s_or_b64 s[14:15], s[14:15], exec
.LBB833_178:
	s_or_b64 exec, exec, s[8:9]
	s_branch .LBB833_237
.LBB833_179:
	v_cmp_gt_u32_e32 vcc, s48, v23
	s_mov_b64 s[36:37], 0
	s_mov_b64 s[8:9], 0
	s_and_saveexec_b64 s[38:39], vcc
	s_cbranch_execz .LBB833_190
; %bb.180:
	s_andn2_b64 vcc, exec, s[10:11]
	s_mov_b64 s[40:41], 0
	s_cbranch_vccnz .LBB833_189
; %bb.181:
	s_waitcnt vmcnt(0) lgkmcnt(1)
	v_mul_lo_u32 v14, v5, s26
	v_mul_lo_u32 v15, v4, s27
	v_mad_u64_u32 v[12:13], s[4:5], v4, s26, 0
	v_add3_u32 v13, v13, v15, v14
	v_mul_lo_u32 v14, v11, s26
	v_mul_lo_u32 v15, v10, s27
	v_mad_u64_u32 v[18:19], s[4:5], v10, s26, 0
	v_add3_u32 v19, v19, v15, v14
	v_lshlrev_b64 v[14:15], 3, v[12:13]
	v_mov_b32_e32 v12, s17
	v_add_co_u32_e32 v16, vcc, s16, v14
	v_addc_co_u32_e64 v17, s[4:5], v12, v15, vcc
	v_lshlrev_b64 v[12:13], 3, v[18:19]
	v_mov_b32_e32 v14, s17
	v_add_co_u32_e64 v18, s[4:5], s16, v12
	v_addc_co_u32_e64 v19, s[6:7], v14, v13, s[4:5]
	global_load_dwordx2 v[20:21], v[16:17], off
	global_load_dwordx2 v[28:29], v[18:19], off
	s_mov_b64 s[40:41], -1
	s_waitcnt vmcnt(0)
	v_cmp_eq_f64_e64 s[6:7], v[20:21], v[28:29]
	s_and_saveexec_b64 s[8:9], s[6:7]
	s_cbranch_execz .LBB833_188
; %bb.182:
	v_mov_b32_e32 v12, s17
	v_addc_co_u32_e64 v13, s[4:5], v13, v12, s[4:5]
	v_add_co_u32_e64 v12, s[4:5], 8, v18
	v_mov_b32_e32 v14, s17
	v_addc_co_u32_e64 v13, s[4:5], 0, v13, s[4:5]
	v_addc_co_u32_e32 v15, vcc, v15, v14, vcc
	v_add_co_u32_e32 v14, vcc, 8, v16
	s_add_u32 s4, s26, -1
	v_addc_co_u32_e32 v15, vcc, 0, v15, vcc
	s_addc_u32 s5, s27, -1
	s_mov_b64 s[6:7], 0
	s_mov_b64 s[42:43], 0
                                        ; implicit-def: $sgpr40_sgpr41
	s_branch .LBB833_185
.LBB833_183:                            ;   in Loop: Header=BB833_185 Depth=1
	global_load_dwordx2 v[16:17], v[14:15], off
	global_load_dwordx2 v[18:19], v[12:13], off
	v_add_co_u32_e32 v12, vcc, 8, v12
	v_addc_co_u32_e32 v13, vcc, 0, v13, vcc
	v_add_co_u32_e32 v14, vcc, 8, v14
	v_addc_co_u32_e32 v15, vcc, 0, v15, vcc
	s_add_u32 s42, s42, 1
	s_addc_u32 s43, s43, 0
	s_andn2_b64 s[40:41], s[40:41], exec
	s_waitcnt vmcnt(0)
	v_cmp_neq_f64_e32 vcc, v[16:17], v[18:19]
	s_and_b64 s[44:45], vcc, exec
	s_or_b64 s[40:41], s[40:41], s[44:45]
.LBB833_184:                            ;   in Loop: Header=BB833_185 Depth=1
	s_and_b64 s[44:45], exec, s[40:41]
	s_or_b64 s[6:7], s[44:45], s[6:7]
	v_pk_mov_b32 v[16:17], s[42:43], s[42:43] op_sel:[0,1]
	s_andn2_b64 exec, exec, s[6:7]
	s_cbranch_execz .LBB833_187
.LBB833_185:                            ; =>This Inner Loop Header: Depth=1
	s_or_b64 s[40:41], s[40:41], exec
	s_cmp_eq_u64 s[4:5], s[42:43]
	s_cbranch_scc0 .LBB833_183
; %bb.186:                              ;   in Loop: Header=BB833_185 Depth=1
                                        ; implicit-def: $vgpr12_vgpr13
                                        ; implicit-def: $vgpr14_vgpr15
	s_mov_b64 s[42:43], s[26:27]
	s_branch .LBB833_184
.LBB833_187:
	s_or_b64 exec, exec, s[6:7]
	v_cmp_gt_i64_e32 vcc, s[26:27], v[16:17]
	s_orn2_b64 s[40:41], vcc, exec
.LBB833_188:
	s_or_b64 exec, exec, s[8:9]
.LBB833_189:
	s_and_b64 s[8:9], s[40:41], exec
.LBB833_190:
	s_or_b64 exec, exec, s[38:39]
	v_cmp_gt_u32_e32 vcc, s48, v25
	s_and_saveexec_b64 s[38:39], vcc
	s_cbranch_execz .LBB833_201
; %bb.191:
	s_andn2_b64 vcc, exec, s[10:11]
	s_mov_b64 s[40:41], 0
	s_cbranch_vccnz .LBB833_200
; %bb.192:
	s_waitcnt vmcnt(0) lgkmcnt(1)
	v_mul_lo_u32 v14, v3, s26
	v_mul_lo_u32 v15, v2, s27
	v_mad_u64_u32 v[12:13], s[4:5], v2, s26, 0
	v_add3_u32 v13, v13, v15, v14
	v_mul_lo_u32 v14, v5, s26
	v_mul_lo_u32 v15, v4, s27
	v_mad_u64_u32 v[18:19], s[4:5], v4, s26, 0
	v_add3_u32 v19, v19, v15, v14
	v_lshlrev_b64 v[14:15], 3, v[12:13]
	v_mov_b32_e32 v12, s17
	v_add_co_u32_e32 v16, vcc, s16, v14
	v_addc_co_u32_e64 v17, s[4:5], v12, v15, vcc
	v_lshlrev_b64 v[12:13], 3, v[18:19]
	v_mov_b32_e32 v14, s17
	v_add_co_u32_e64 v18, s[4:5], s16, v12
	v_addc_co_u32_e64 v19, s[6:7], v14, v13, s[4:5]
	global_load_dwordx2 v[20:21], v[16:17], off
	global_load_dwordx2 v[28:29], v[18:19], off
	s_mov_b64 s[40:41], -1
	s_waitcnt vmcnt(0)
	v_cmp_eq_f64_e64 s[6:7], v[20:21], v[28:29]
	s_and_saveexec_b64 s[36:37], s[6:7]
	s_cbranch_execz .LBB833_199
; %bb.193:
	v_mov_b32_e32 v12, s17
	v_addc_co_u32_e64 v13, s[4:5], v13, v12, s[4:5]
	v_add_co_u32_e64 v12, s[4:5], 8, v18
	v_mov_b32_e32 v14, s17
	v_addc_co_u32_e64 v13, s[4:5], 0, v13, s[4:5]
	v_addc_co_u32_e32 v15, vcc, v15, v14, vcc
	v_add_co_u32_e32 v14, vcc, 8, v16
	s_add_u32 s4, s26, -1
	v_addc_co_u32_e32 v15, vcc, 0, v15, vcc
	s_addc_u32 s5, s27, -1
	s_mov_b64 s[6:7], 0
	s_mov_b64 s[42:43], 0
                                        ; implicit-def: $sgpr40_sgpr41
	s_branch .LBB833_196
.LBB833_194:                            ;   in Loop: Header=BB833_196 Depth=1
	global_load_dwordx2 v[16:17], v[14:15], off
	global_load_dwordx2 v[18:19], v[12:13], off
	v_add_co_u32_e32 v12, vcc, 8, v12
	v_addc_co_u32_e32 v13, vcc, 0, v13, vcc
	v_add_co_u32_e32 v14, vcc, 8, v14
	v_addc_co_u32_e32 v15, vcc, 0, v15, vcc
	s_add_u32 s42, s42, 1
	s_addc_u32 s43, s43, 0
	s_andn2_b64 s[40:41], s[40:41], exec
	s_waitcnt vmcnt(0)
	v_cmp_neq_f64_e32 vcc, v[16:17], v[18:19]
	s_and_b64 s[44:45], vcc, exec
	s_or_b64 s[40:41], s[40:41], s[44:45]
.LBB833_195:                            ;   in Loop: Header=BB833_196 Depth=1
	s_and_b64 s[44:45], exec, s[40:41]
	s_or_b64 s[6:7], s[44:45], s[6:7]
	v_pk_mov_b32 v[16:17], s[42:43], s[42:43] op_sel:[0,1]
	s_andn2_b64 exec, exec, s[6:7]
	s_cbranch_execz .LBB833_198
.LBB833_196:                            ; =>This Inner Loop Header: Depth=1
	s_or_b64 s[40:41], s[40:41], exec
	s_cmp_eq_u64 s[4:5], s[42:43]
	s_cbranch_scc0 .LBB833_194
; %bb.197:                              ;   in Loop: Header=BB833_196 Depth=1
                                        ; implicit-def: $vgpr12_vgpr13
                                        ; implicit-def: $vgpr14_vgpr15
	s_mov_b64 s[42:43], s[26:27]
	s_branch .LBB833_195
.LBB833_198:
	s_or_b64 exec, exec, s[6:7]
	v_cmp_gt_i64_e32 vcc, s[26:27], v[16:17]
	s_orn2_b64 s[40:41], vcc, exec
.LBB833_199:
	s_or_b64 exec, exec, s[36:37]
.LBB833_200:
	s_and_b64 s[36:37], s[40:41], exec
.LBB833_201:
	s_or_b64 exec, exec, s[38:39]
	v_cmp_gt_u32_e32 vcc, s48, v22
	s_mov_b64 s[38:39], 0
	s_mov_b64 s[40:41], 0
	s_and_saveexec_b64 s[42:43], vcc
	s_cbranch_execz .LBB833_212
; %bb.202:
	s_andn2_b64 vcc, exec, s[10:11]
	s_mov_b64 s[44:45], 0
	s_cbranch_vccnz .LBB833_211
; %bb.203:
	s_waitcnt vmcnt(0) lgkmcnt(1)
	v_mul_lo_u32 v14, v9, s26
	v_mul_lo_u32 v15, v8, s27
	v_mad_u64_u32 v[12:13], s[4:5], v8, s26, 0
	v_add3_u32 v13, v13, v15, v14
	v_mul_lo_u32 v14, v3, s26
	v_mul_lo_u32 v15, v2, s27
	v_mad_u64_u32 v[18:19], s[4:5], v2, s26, 0
	v_add3_u32 v19, v19, v15, v14
	v_lshlrev_b64 v[14:15], 3, v[12:13]
	v_mov_b32_e32 v12, s17
	v_add_co_u32_e32 v16, vcc, s16, v14
	v_addc_co_u32_e64 v17, s[4:5], v12, v15, vcc
	v_lshlrev_b64 v[12:13], 3, v[18:19]
	v_mov_b32_e32 v14, s17
	v_add_co_u32_e64 v18, s[4:5], s16, v12
	v_addc_co_u32_e64 v19, s[6:7], v14, v13, s[4:5]
	global_load_dwordx2 v[20:21], v[16:17], off
	global_load_dwordx2 v[28:29], v[18:19], off
	s_mov_b64 s[44:45], -1
	s_waitcnt vmcnt(0)
	v_cmp_eq_f64_e64 s[6:7], v[20:21], v[28:29]
	s_and_saveexec_b64 s[40:41], s[6:7]
	s_cbranch_execz .LBB833_210
; %bb.204:
	v_mov_b32_e32 v12, s17
	v_addc_co_u32_e64 v13, s[4:5], v13, v12, s[4:5]
	v_add_co_u32_e64 v12, s[4:5], 8, v18
	v_mov_b32_e32 v14, s17
	v_addc_co_u32_e64 v13, s[4:5], 0, v13, s[4:5]
	v_addc_co_u32_e32 v15, vcc, v15, v14, vcc
	v_add_co_u32_e32 v14, vcc, 8, v16
	s_add_u32 s4, s26, -1
	v_addc_co_u32_e32 v15, vcc, 0, v15, vcc
	s_addc_u32 s5, s27, -1
	s_mov_b64 s[6:7], 0
	s_mov_b64 s[46:47], 0
                                        ; implicit-def: $sgpr44_sgpr45
	s_branch .LBB833_207
.LBB833_205:                            ;   in Loop: Header=BB833_207 Depth=1
	global_load_dwordx2 v[16:17], v[14:15], off
	global_load_dwordx2 v[18:19], v[12:13], off
	v_add_co_u32_e32 v12, vcc, 8, v12
	v_addc_co_u32_e32 v13, vcc, 0, v13, vcc
	v_add_co_u32_e32 v14, vcc, 8, v14
	v_addc_co_u32_e32 v15, vcc, 0, v15, vcc
	s_add_u32 s46, s46, 1
	s_addc_u32 s47, s47, 0
	s_andn2_b64 s[44:45], s[44:45], exec
	s_waitcnt vmcnt(0)
	v_cmp_neq_f64_e32 vcc, v[16:17], v[18:19]
	s_and_b64 s[50:51], vcc, exec
	s_or_b64 s[44:45], s[44:45], s[50:51]
.LBB833_206:                            ;   in Loop: Header=BB833_207 Depth=1
	s_and_b64 s[50:51], exec, s[44:45]
	s_or_b64 s[6:7], s[50:51], s[6:7]
	v_pk_mov_b32 v[16:17], s[46:47], s[46:47] op_sel:[0,1]
	s_andn2_b64 exec, exec, s[6:7]
	s_cbranch_execz .LBB833_209
.LBB833_207:                            ; =>This Inner Loop Header: Depth=1
	s_or_b64 s[44:45], s[44:45], exec
	s_cmp_eq_u64 s[4:5], s[46:47]
	s_cbranch_scc0 .LBB833_205
; %bb.208:                              ;   in Loop: Header=BB833_207 Depth=1
                                        ; implicit-def: $vgpr12_vgpr13
                                        ; implicit-def: $vgpr14_vgpr15
	s_mov_b64 s[46:47], s[26:27]
	s_branch .LBB833_206
.LBB833_209:
	s_or_b64 exec, exec, s[6:7]
	v_cmp_gt_i64_e32 vcc, s[26:27], v[16:17]
	s_orn2_b64 s[44:45], vcc, exec
.LBB833_210:
	s_or_b64 exec, exec, s[40:41]
.LBB833_211:
	s_and_b64 s[40:41], s[44:45], exec
.LBB833_212:
	s_or_b64 exec, exec, s[42:43]
	v_cmp_gt_u32_e32 vcc, s48, v24
	s_and_saveexec_b64 s[42:43], vcc
	s_cbranch_execz .LBB833_223
; %bb.213:
	s_andn2_b64 vcc, exec, s[10:11]
	s_mov_b64 s[44:45], 0
	s_cbranch_vccnz .LBB833_222
; %bb.214:
	s_waitcnt vmcnt(0) lgkmcnt(1)
	v_mul_lo_u32 v14, v7, s26
	v_mul_lo_u32 v15, v6, s27
	v_mad_u64_u32 v[12:13], s[4:5], v6, s26, 0
	v_add3_u32 v13, v13, v15, v14
	v_mul_lo_u32 v14, v9, s26
	v_mul_lo_u32 v15, v8, s27
	v_mad_u64_u32 v[18:19], s[4:5], v8, s26, 0
	v_add3_u32 v19, v19, v15, v14
	v_lshlrev_b64 v[14:15], 3, v[12:13]
	v_mov_b32_e32 v12, s17
	v_add_co_u32_e32 v16, vcc, s16, v14
	v_addc_co_u32_e64 v17, s[4:5], v12, v15, vcc
	v_lshlrev_b64 v[12:13], 3, v[18:19]
	v_mov_b32_e32 v14, s17
	v_add_co_u32_e64 v18, s[4:5], s16, v12
	v_addc_co_u32_e64 v19, s[6:7], v14, v13, s[4:5]
	global_load_dwordx2 v[20:21], v[16:17], off
	global_load_dwordx2 v[28:29], v[18:19], off
	s_mov_b64 s[44:45], -1
	s_waitcnt vmcnt(0)
	v_cmp_eq_f64_e64 s[6:7], v[20:21], v[28:29]
	s_and_saveexec_b64 s[38:39], s[6:7]
	s_cbranch_execz .LBB833_221
; %bb.215:
	v_mov_b32_e32 v12, s17
	v_addc_co_u32_e64 v13, s[4:5], v13, v12, s[4:5]
	v_add_co_u32_e64 v12, s[4:5], 8, v18
	v_mov_b32_e32 v14, s17
	v_addc_co_u32_e64 v13, s[4:5], 0, v13, s[4:5]
	v_addc_co_u32_e32 v15, vcc, v15, v14, vcc
	v_add_co_u32_e32 v14, vcc, 8, v16
	s_add_u32 s4, s26, -1
	v_addc_co_u32_e32 v15, vcc, 0, v15, vcc
	s_addc_u32 s5, s27, -1
	s_mov_b64 s[6:7], 0
	s_mov_b64 s[46:47], 0
                                        ; implicit-def: $sgpr44_sgpr45
	s_branch .LBB833_218
.LBB833_216:                            ;   in Loop: Header=BB833_218 Depth=1
	global_load_dwordx2 v[16:17], v[14:15], off
	global_load_dwordx2 v[18:19], v[12:13], off
	v_add_co_u32_e32 v12, vcc, 8, v12
	v_addc_co_u32_e32 v13, vcc, 0, v13, vcc
	v_add_co_u32_e32 v14, vcc, 8, v14
	v_addc_co_u32_e32 v15, vcc, 0, v15, vcc
	s_add_u32 s46, s46, 1
	s_addc_u32 s47, s47, 0
	s_andn2_b64 s[44:45], s[44:45], exec
	s_waitcnt vmcnt(0)
	v_cmp_neq_f64_e32 vcc, v[16:17], v[18:19]
	s_and_b64 s[50:51], vcc, exec
	s_or_b64 s[44:45], s[44:45], s[50:51]
.LBB833_217:                            ;   in Loop: Header=BB833_218 Depth=1
	s_and_b64 s[50:51], exec, s[44:45]
	s_or_b64 s[6:7], s[50:51], s[6:7]
	v_pk_mov_b32 v[16:17], s[46:47], s[46:47] op_sel:[0,1]
	s_andn2_b64 exec, exec, s[6:7]
	s_cbranch_execz .LBB833_220
.LBB833_218:                            ; =>This Inner Loop Header: Depth=1
	s_or_b64 s[44:45], s[44:45], exec
	s_cmp_eq_u64 s[4:5], s[46:47]
	s_cbranch_scc0 .LBB833_216
; %bb.219:                              ;   in Loop: Header=BB833_218 Depth=1
                                        ; implicit-def: $vgpr12_vgpr13
                                        ; implicit-def: $vgpr14_vgpr15
	s_mov_b64 s[46:47], s[26:27]
	s_branch .LBB833_217
.LBB833_220:
	s_or_b64 exec, exec, s[6:7]
	v_cmp_gt_i64_e32 vcc, s[26:27], v[16:17]
	s_orn2_b64 s[44:45], vcc, exec
.LBB833_221:
	s_or_b64 exec, exec, s[38:39]
.LBB833_222:
	s_and_b64 s[38:39], s[44:45], exec
.LBB833_223:
	s_or_b64 exec, exec, s[42:43]
	v_cndmask_b32_e64 v13, 0, 1, s[36:37]
	s_waitcnt vmcnt(0) lgkmcnt(1)
	v_cndmask_b32_e64 v14, 0, 1, s[38:39]
	v_cndmask_b32_e64 v12, 0, 1, s[40:41]
	v_lshlrev_b16_e32 v14, 8, v14
	v_lshlrev_b16_e32 v13, 8, v13
	v_or_b32_e32 v14, 1, v14
	v_or_b32_sdwa v12, v12, v13 dst_sel:WORD_1 dst_unused:UNUSED_PAD src0_sel:DWORD src1_sel:DWORD
	v_or_b32_sdwa v12, v14, v12 dst_sel:DWORD dst_unused:UNUSED_PAD src0_sel:WORD_0 src1_sel:DWORD
	v_cndmask_b32_e64 v13, 0, 1, s[8:9]
	s_waitcnt lgkmcnt(0)
	s_barrier
	s_waitcnt lgkmcnt(0)
                                        ; implicit-def: $sgpr36_sgpr37
                                        ; implicit-def: $vgpr16
	s_and_saveexec_b64 s[6:7], s[2:3]
	s_cbranch_execz .LBB833_236
; %bb.224:
	v_cmp_gt_u32_e32 vcc, s48, v1
	s_mov_b32 s38, 0x3020104
	s_mov_b64 s[2:3], 0
	s_and_saveexec_b64 s[8:9], vcc
	s_cbranch_execz .LBB833_235
; %bb.225:
	s_andn2_b64 vcc, exec, s[10:11]
	s_mov_b64 s[36:37], 0
	s_cbranch_vccnz .LBB833_234
; %bb.226:
	v_add_u32_e32 v14, -8, v26
	ds_read_b64 v[14:15], v14
	v_mul_lo_u32 v16, v7, s26
	v_mad_u64_u32 v[20:21], s[2:3], v6, s26, 0
	s_mov_b64 s[36:37], -1
	s_waitcnt lgkmcnt(0)
	v_mul_lo_u32 v17, v15, s26
	v_mul_lo_u32 v18, v14, s27
	v_mad_u64_u32 v[14:15], s[2:3], v14, s26, 0
	v_add3_u32 v15, v15, v18, v17
	v_mul_lo_u32 v17, v6, s27
	v_add3_u32 v21, v21, v17, v16
	v_lshlrev_b64 v[16:17], 3, v[14:15]
	v_mov_b32_e32 v14, s17
	v_add_co_u32_e32 v18, vcc, s16, v16
	v_addc_co_u32_e64 v19, s[2:3], v14, v17, vcc
	v_lshlrev_b64 v[14:15], 3, v[20:21]
	v_mov_b32_e32 v16, s17
	v_add_co_u32_e64 v20, s[2:3], s16, v14
	v_addc_co_u32_e64 v21, s[4:5], v16, v15, s[2:3]
	global_load_dwordx2 v[26:27], v[18:19], off
	global_load_dwordx2 v[28:29], v[20:21], off
	s_waitcnt vmcnt(0)
	v_cmp_eq_f64_e64 s[4:5], v[26:27], v[28:29]
	s_and_saveexec_b64 s[10:11], s[4:5]
	s_cbranch_execz .LBB833_233
; %bb.227:
	v_mov_b32_e32 v14, s17
	v_addc_co_u32_e64 v15, s[2:3], v15, v14, s[2:3]
	v_add_co_u32_e64 v14, s[2:3], 8, v20
	v_mov_b32_e32 v16, s17
	v_addc_co_u32_e64 v15, s[2:3], 0, v15, s[2:3]
	v_addc_co_u32_e32 v17, vcc, v17, v16, vcc
	v_add_co_u32_e32 v16, vcc, 8, v18
	s_add_u32 s2, s26, -1
	v_addc_co_u32_e32 v17, vcc, 0, v17, vcc
	s_addc_u32 s3, s27, -1
	s_mov_b64 s[4:5], 0
	s_mov_b64 s[36:37], 0
                                        ; implicit-def: $sgpr16_sgpr17
	s_branch .LBB833_230
.LBB833_228:                            ;   in Loop: Header=BB833_230 Depth=1
	global_load_dwordx2 v[18:19], v[16:17], off
	global_load_dwordx2 v[20:21], v[14:15], off
	v_add_co_u32_e32 v14, vcc, 8, v14
	v_addc_co_u32_e32 v15, vcc, 0, v15, vcc
	v_add_co_u32_e32 v16, vcc, 8, v16
	v_addc_co_u32_e32 v17, vcc, 0, v17, vcc
	s_add_u32 s36, s36, 1
	s_addc_u32 s37, s37, 0
	s_andn2_b64 s[16:17], s[16:17], exec
	s_waitcnt vmcnt(0)
	v_cmp_neq_f64_e32 vcc, v[18:19], v[20:21]
	s_and_b64 s[40:41], vcc, exec
	s_or_b64 s[16:17], s[16:17], s[40:41]
.LBB833_229:                            ;   in Loop: Header=BB833_230 Depth=1
	s_and_b64 s[40:41], exec, s[16:17]
	s_or_b64 s[4:5], s[40:41], s[4:5]
	v_pk_mov_b32 v[18:19], s[36:37], s[36:37] op_sel:[0,1]
	s_andn2_b64 exec, exec, s[4:5]
	s_cbranch_execz .LBB833_232
.LBB833_230:                            ; =>This Inner Loop Header: Depth=1
	s_or_b64 s[16:17], s[16:17], exec
	s_cmp_eq_u64 s[2:3], s[36:37]
	s_cbranch_scc0 .LBB833_228
; %bb.231:                              ;   in Loop: Header=BB833_230 Depth=1
                                        ; implicit-def: $vgpr14_vgpr15
                                        ; implicit-def: $vgpr16_vgpr17
	s_mov_b64 s[36:37], s[26:27]
	s_branch .LBB833_229
.LBB833_232:
	s_or_b64 exec, exec, s[4:5]
	v_cmp_gt_i64_e32 vcc, s[26:27], v[18:19]
	s_orn2_b64 s[36:37], vcc, exec
.LBB833_233:
	s_or_b64 exec, exec, s[10:11]
.LBB833_234:
	s_and_b64 s[2:3], s[36:37], exec
.LBB833_235:
	s_or_b64 exec, exec, s[8:9]
	v_perm_b32 v16, v12, v12, s38
	s_and_b64 s[36:37], s[2:3], exec
	s_or_b64 s[14:15], s[14:15], exec
.LBB833_236:
	s_or_b64 exec, exec, s[6:7]
.LBB833_237:
	s_and_saveexec_b64 s[2:3], s[14:15]
	s_cbranch_execz .LBB833_239
; %bb.238:
	s_waitcnt vmcnt(0) lgkmcnt(0)
	v_lshrrev_b32_e32 v14, 24, v16
	s_movk_i32 s4, 0xff
	v_lshlrev_b16_e32 v14, 8, v14
	v_and_b32_sdwa v15, v16, s4 dst_sel:DWORD dst_unused:UNUSED_PAD src0_sel:WORD_1 src1_sel:DWORD
	v_or_b32_sdwa v14, v15, v14 dst_sel:WORD_1 dst_unused:UNUSED_PAD src0_sel:DWORD src1_sel:DWORD
	v_mov_b32_e32 v15, 8
	v_cndmask_b32_e64 v12, 0, 1, s[36:37]
	v_lshrrev_b32_sdwa v15, v15, v16 dst_sel:BYTE_1 dst_unused:UNUSED_PAD src0_sel:DWORD src1_sel:DWORD
	v_or_b32_e32 v12, v12, v15
	s_mov_b32 s4, 0xffff
	v_or_b32_sdwa v12, v12, v14 dst_sel:DWORD dst_unused:UNUSED_PAD src0_sel:WORD_0 src1_sel:DWORD
	v_and_b32_sdwa v13, s4, v13 dst_sel:DWORD dst_unused:UNUSED_PAD src0_sel:DWORD src1_sel:BYTE_0
.LBB833_239:
	s_or_b64 exec, exec, s[2:3]
	s_andn2_b64 vcc, exec, s[12:13]
	s_cbranch_vccnz .LBB833_241
; %bb.240:
	v_cmp_gt_u32_e32 vcc, s48, v1
	v_cndmask_b32_e32 v1, 0, v12, vcc
	v_and_b32_e32 v1, 0xffff00ff, v1
	v_cmp_gt_u32_e64 s[2:3], s48, v24
	v_cndmask_b32_e64 v1, v1, v12, s[2:3]
	s_waitcnt vmcnt(0) lgkmcnt(0)
	v_lshrrev_b32_e32 v14, 24, v1
	s_mov_b32 s4, 0x40c0100
	v_perm_b32 v1, v14, v1, s4
	v_cmp_gt_u32_e64 s[4:5], s48, v22
	v_cmp_gt_u32_e64 s[6:7], s48, v25
	v_cndmask_b32_e64 v1, v1, v12, s[4:5]
	s_or_b64 s[4:5], s[6:7], s[4:5]
	s_or_b64 s[2:3], s[4:5], s[2:3]
	s_or_b64 vcc, s[2:3], vcc
	v_and_b32_e32 v1, 0xffffff, v1
	v_cndmask_b32_e32 v14, 0, v13, vcc
	v_cndmask_b32_e64 v1, v1, v12, s[6:7]
	v_and_b32_e32 v14, 0xffffff00, v14
	v_cmp_gt_u32_e32 vcc, s48, v23
	v_cndmask_b32_e32 v1, v1, v12, vcc
	v_cndmask_b32_e32 v12, v14, v13, vcc
	s_mov_b32 s2, 0x3020104
	v_and_b32_e32 v13, 0xff, v12
	v_perm_b32 v12, v1, v1, s2
.LBB833_241:
	v_and_b32_e32 v1, 0xff, v12
	v_bfe_u32 v25, v12, 8, 8
	v_bfe_u32 v27, v12, 16, 8
	s_waitcnt vmcnt(0) lgkmcnt(0)
	v_alignbit_b32 v14, v13, v12, 24
	v_and_b32_e32 v28, 0xff, v14
	v_and_b32_e32 v14, 0xff, v13
	v_add3_u32 v15, v25, v1, v27
	v_add3_u32 v31, v15, v28, v14
	v_mbcnt_lo_u32_b32 v14, -1, 0
	v_mbcnt_hi_u32_b32 v29, -1, v14
	v_and_b32_e32 v14, 15, v29
	v_cmp_eq_u32_e64 s[14:15], 0, v14
	v_cmp_lt_u32_e64 s[12:13], 1, v14
	v_cmp_lt_u32_e64 s[10:11], 3, v14
	;; [unrolled: 1-line block ×3, first 2 shown]
	v_and_b32_e32 v14, 16, v29
	v_cmp_eq_u32_e64 s[6:7], 0, v14
	v_or_b32_e32 v14, 63, v0
	v_cmp_lt_u32_e64 s[2:3], 31, v29
	v_lshrrev_b32_e32 v30, 6, v0
	v_cmp_eq_u32_e64 s[4:5], v14, v0
	s_and_b64 vcc, exec, s[34:35]
	s_barrier
	s_cbranch_vccz .LBB833_268
; %bb.242:
	v_mov_b32_dpp v14, v31 row_shr:1 row_mask:0xf bank_mask:0xf
	v_cndmask_b32_e64 v14, v14, 0, s[14:15]
	v_add_u32_e32 v14, v14, v31
	s_nop 1
	v_mov_b32_dpp v15, v14 row_shr:2 row_mask:0xf bank_mask:0xf
	v_cndmask_b32_e64 v15, 0, v15, s[12:13]
	v_add_u32_e32 v14, v14, v15
	s_nop 1
	;; [unrolled: 4-line block ×4, first 2 shown]
	v_mov_b32_dpp v15, v14 row_bcast:15 row_mask:0xf bank_mask:0xf
	v_cndmask_b32_e64 v15, v15, 0, s[6:7]
	v_add_u32_e32 v14, v14, v15
	s_nop 1
	v_mov_b32_dpp v15, v14 row_bcast:31 row_mask:0xf bank_mask:0xf
	v_cndmask_b32_e64 v15, 0, v15, s[2:3]
	v_add_u32_e32 v14, v14, v15
	s_and_saveexec_b64 s[16:17], s[4:5]
	s_cbranch_execz .LBB833_244
; %bb.243:
	v_lshlrev_b32_e32 v15, 2, v30
	ds_write_b32 v15, v14
.LBB833_244:
	s_or_b64 exec, exec, s[16:17]
	v_cmp_gt_u32_e32 vcc, 4, v0
	s_waitcnt lgkmcnt(0)
	s_barrier
	s_and_saveexec_b64 s[16:17], vcc
	s_cbranch_execz .LBB833_246
; %bb.245:
	v_lshlrev_b32_e32 v15, 2, v0
	ds_read_b32 v16, v15
	v_and_b32_e32 v17, 3, v29
	v_cmp_ne_u32_e32 vcc, 0, v17
	s_waitcnt lgkmcnt(0)
	v_mov_b32_dpp v18, v16 row_shr:1 row_mask:0xf bank_mask:0xf
	v_cndmask_b32_e32 v18, 0, v18, vcc
	v_add_u32_e32 v16, v18, v16
	v_cmp_lt_u32_e32 vcc, 1, v17
	s_nop 0
	v_mov_b32_dpp v18, v16 row_shr:2 row_mask:0xf bank_mask:0xf
	v_cndmask_b32_e32 v17, 0, v18, vcc
	v_add_u32_e32 v16, v16, v17
	ds_write_b32 v15, v16
.LBB833_246:
	s_or_b64 exec, exec, s[16:17]
	v_cmp_gt_u32_e32 vcc, 64, v0
	v_cmp_lt_u32_e64 s[16:17], 63, v0
	s_waitcnt lgkmcnt(0)
	s_barrier
	s_waitcnt lgkmcnt(0)
                                        ; implicit-def: $vgpr24
	s_and_saveexec_b64 s[26:27], s[16:17]
	s_cbranch_execz .LBB833_248
; %bb.247:
	v_lshl_add_u32 v15, v30, 2, -4
	ds_read_b32 v24, v15
	s_waitcnt lgkmcnt(0)
	v_add_u32_e32 v14, v24, v14
.LBB833_248:
	s_or_b64 exec, exec, s[26:27]
	v_add_u32_e32 v15, -1, v29
	v_and_b32_e32 v16, 64, v29
	v_cmp_lt_i32_e64 s[16:17], v15, v16
	v_cndmask_b32_e64 v15, v15, v29, s[16:17]
	v_lshlrev_b32_e32 v15, 2, v15
	ds_bpermute_b32 v26, v15, v14
	v_cmp_eq_u32_e64 s[16:17], 0, v29
	s_and_saveexec_b64 s[26:27], vcc
	s_cbranch_execz .LBB833_267
; %bb.249:
	v_mov_b32_e32 v21, 0
	ds_read_b32 v14, v21 offset:12
	s_and_saveexec_b64 s[34:35], s[16:17]
	s_cbranch_execz .LBB833_251
; %bb.250:
	s_add_i32 s36, s33, 64
	s_mov_b32 s37, 0
	s_lshl_b64 s[36:37], s[36:37], 3
	s_add_u32 s36, s18, s36
	v_mov_b32_e32 v15, 1
	s_addc_u32 s37, s19, s37
	s_waitcnt lgkmcnt(0)
	global_store_dwordx2 v21, v[14:15], s[36:37]
.LBB833_251:
	s_or_b64 exec, exec, s[34:35]
	v_xad_u32 v16, v29, -1, s33
	v_add_u32_e32 v20, 64, v16
	v_lshlrev_b64 v[18:19], 3, v[20:21]
	v_mov_b32_e32 v15, s19
	v_add_co_u32_e32 v22, vcc, s18, v18
	v_addc_co_u32_e32 v23, vcc, v15, v19, vcc
	global_load_dwordx2 v[18:19], v[22:23], off glc
	s_waitcnt vmcnt(0)
	v_cmp_eq_u16_sdwa s[36:37], v19, v21 src0_sel:BYTE_0 src1_sel:DWORD
	s_and_saveexec_b64 s[34:35], s[36:37]
	s_cbranch_execz .LBB833_255
; %bb.252:
	s_mov_b64 s[36:37], 0
	v_mov_b32_e32 v15, 0
.LBB833_253:                            ; =>This Inner Loop Header: Depth=1
	global_load_dwordx2 v[18:19], v[22:23], off glc
	s_waitcnt vmcnt(0)
	v_cmp_ne_u16_sdwa s[38:39], v19, v15 src0_sel:BYTE_0 src1_sel:DWORD
	s_or_b64 s[36:37], s[38:39], s[36:37]
	s_andn2_b64 exec, exec, s[36:37]
	s_cbranch_execnz .LBB833_253
; %bb.254:
	s_or_b64 exec, exec, s[36:37]
.LBB833_255:
	s_or_b64 exec, exec, s[34:35]
	v_and_b32_e32 v32, 63, v29
	v_mov_b32_e32 v15, 2
	v_cmp_ne_u32_e32 vcc, 63, v32
	v_cmp_eq_u16_sdwa s[34:35], v19, v15 src0_sel:BYTE_0 src1_sel:DWORD
	v_lshlrev_b64 v[20:21], v29, -1
	v_addc_co_u32_e32 v23, vcc, 0, v29, vcc
	v_and_b32_e32 v17, s35, v21
	v_lshlrev_b32_e32 v33, 2, v23
	v_or_b32_e32 v17, 0x80000000, v17
	ds_bpermute_b32 v23, v33, v18
	v_and_b32_e32 v22, s34, v20
	v_ffbl_b32_e32 v17, v17
	v_add_u32_e32 v17, 32, v17
	v_ffbl_b32_e32 v22, v22
	v_min_u32_e32 v17, v22, v17
	v_cmp_lt_u32_e32 vcc, v32, v17
	s_waitcnt lgkmcnt(0)
	v_cndmask_b32_e32 v22, 0, v23, vcc
	v_cmp_gt_u32_e32 vcc, 62, v32
	v_add_u32_e32 v18, v22, v18
	v_cndmask_b32_e64 v22, 0, 1, vcc
	v_lshlrev_b32_e32 v22, 1, v22
	v_add_lshl_u32 v34, v22, v29, 2
	ds_bpermute_b32 v22, v34, v18
	v_add_u32_e32 v35, 2, v32
	v_cmp_le_u32_e32 vcc, v35, v17
	v_add_u32_e32 v37, 4, v32
	v_add_u32_e32 v39, 8, v32
	s_waitcnt lgkmcnt(0)
	v_cndmask_b32_e32 v22, 0, v22, vcc
	v_cmp_gt_u32_e32 vcc, 60, v32
	v_add_u32_e32 v18, v18, v22
	v_cndmask_b32_e64 v22, 0, 1, vcc
	v_lshlrev_b32_e32 v22, 2, v22
	v_add_lshl_u32 v36, v22, v29, 2
	ds_bpermute_b32 v22, v36, v18
	v_cmp_le_u32_e32 vcc, v37, v17
	v_add_u32_e32 v42, 16, v32
	v_add_u32_e32 v44, 32, v32
	s_waitcnt lgkmcnt(0)
	v_cndmask_b32_e32 v22, 0, v22, vcc
	v_cmp_gt_u32_e32 vcc, 56, v32
	v_add_u32_e32 v18, v18, v22
	v_cndmask_b32_e64 v22, 0, 1, vcc
	v_lshlrev_b32_e32 v22, 3, v22
	v_add_lshl_u32 v38, v22, v29, 2
	ds_bpermute_b32 v22, v38, v18
	v_cmp_le_u32_e32 vcc, v39, v17
	s_waitcnt lgkmcnt(0)
	v_cndmask_b32_e32 v22, 0, v22, vcc
	v_cmp_gt_u32_e32 vcc, 48, v32
	v_add_u32_e32 v18, v18, v22
	v_cndmask_b32_e64 v22, 0, 1, vcc
	v_lshlrev_b32_e32 v22, 4, v22
	v_add_lshl_u32 v41, v22, v29, 2
	ds_bpermute_b32 v22, v41, v18
	v_cmp_le_u32_e32 vcc, v42, v17
	;; [unrolled: 9-line block ×3, first 2 shown]
	s_waitcnt lgkmcnt(0)
	v_cndmask_b32_e32 v17, 0, v22, vcc
	v_add_u32_e32 v18, v18, v17
	v_mov_b32_e32 v17, 0
	s_branch .LBB833_257
.LBB833_256:                            ;   in Loop: Header=BB833_257 Depth=1
	s_or_b64 exec, exec, s[34:35]
	v_cmp_eq_u16_sdwa s[34:35], v19, v15 src0_sel:BYTE_0 src1_sel:DWORD
	v_and_b32_e32 v22, s35, v21
	v_or_b32_e32 v22, 0x80000000, v22
	ds_bpermute_b32 v45, v33, v18
	v_and_b32_e32 v23, s34, v20
	v_ffbl_b32_e32 v22, v22
	v_add_u32_e32 v22, 32, v22
	v_ffbl_b32_e32 v23, v23
	v_min_u32_e32 v22, v23, v22
	v_cmp_lt_u32_e32 vcc, v32, v22
	s_waitcnt lgkmcnt(0)
	v_cndmask_b32_e32 v23, 0, v45, vcc
	v_add_u32_e32 v18, v23, v18
	ds_bpermute_b32 v23, v34, v18
	v_cmp_le_u32_e32 vcc, v35, v22
	v_subrev_u32_e32 v16, 64, v16
	s_waitcnt lgkmcnt(0)
	v_cndmask_b32_e32 v23, 0, v23, vcc
	v_add_u32_e32 v18, v18, v23
	ds_bpermute_b32 v23, v36, v18
	v_cmp_le_u32_e32 vcc, v37, v22
	s_waitcnt lgkmcnt(0)
	v_cndmask_b32_e32 v23, 0, v23, vcc
	v_add_u32_e32 v18, v18, v23
	ds_bpermute_b32 v23, v38, v18
	v_cmp_le_u32_e32 vcc, v39, v22
	;; [unrolled: 5-line block ×4, first 2 shown]
	s_waitcnt lgkmcnt(0)
	v_cndmask_b32_e32 v22, 0, v23, vcc
	v_add3_u32 v18, v22, v40, v18
.LBB833_257:                            ; =>This Loop Header: Depth=1
                                        ;     Child Loop BB833_260 Depth 2
	v_cmp_ne_u16_sdwa s[34:35], v19, v15 src0_sel:BYTE_0 src1_sel:DWORD
	v_cndmask_b32_e64 v19, 0, 1, s[34:35]
	;;#ASMSTART
	;;#ASMEND
	v_cmp_ne_u32_e32 vcc, 0, v19
	s_cmp_lg_u64 vcc, exec
	v_mov_b32_e32 v40, v18
	s_cbranch_scc1 .LBB833_262
; %bb.258:                              ;   in Loop: Header=BB833_257 Depth=1
	v_lshlrev_b64 v[18:19], 3, v[16:17]
	v_mov_b32_e32 v23, s19
	v_add_co_u32_e32 v22, vcc, s18, v18
	v_addc_co_u32_e32 v23, vcc, v23, v19, vcc
	global_load_dwordx2 v[18:19], v[22:23], off glc
	s_waitcnt vmcnt(0)
	v_cmp_eq_u16_sdwa s[36:37], v19, v17 src0_sel:BYTE_0 src1_sel:DWORD
	s_and_saveexec_b64 s[34:35], s[36:37]
	s_cbranch_execz .LBB833_256
; %bb.259:                              ;   in Loop: Header=BB833_257 Depth=1
	s_mov_b64 s[36:37], 0
.LBB833_260:                            ;   Parent Loop BB833_257 Depth=1
                                        ; =>  This Inner Loop Header: Depth=2
	global_load_dwordx2 v[18:19], v[22:23], off glc
	s_waitcnt vmcnt(0)
	v_cmp_ne_u16_sdwa s[38:39], v19, v17 src0_sel:BYTE_0 src1_sel:DWORD
	s_or_b64 s[36:37], s[38:39], s[36:37]
	s_andn2_b64 exec, exec, s[36:37]
	s_cbranch_execnz .LBB833_260
; %bb.261:                              ;   in Loop: Header=BB833_257 Depth=1
	s_or_b64 exec, exec, s[36:37]
	s_branch .LBB833_256
.LBB833_262:                            ;   in Loop: Header=BB833_257 Depth=1
                                        ; implicit-def: $vgpr18
                                        ; implicit-def: $vgpr19
	s_cbranch_execz .LBB833_257
; %bb.263:
	s_and_saveexec_b64 s[34:35], s[16:17]
	s_cbranch_execz .LBB833_265
; %bb.264:
	s_add_i32 s36, s33, 64
	s_mov_b32 s37, 0
	s_lshl_b64 s[36:37], s[36:37], 3
	s_add_u32 s36, s18, s36
	v_add_u32_e32 v16, v40, v14
	v_mov_b32_e32 v17, 2
	s_addc_u32 s37, s19, s37
	v_mov_b32_e32 v15, 0
	s_movk_i32 s33, 0x2800
	global_store_dwordx2 v15, v[16:17], s[36:37]
	v_add_u32_e64 v15, s33, 0
	ds_write2_b32 v15, v14, v40 offset1:2
.LBB833_265:
	s_or_b64 exec, exec, s[34:35]
	s_and_b64 exec, exec, s[0:1]
	s_cbranch_execz .LBB833_267
; %bb.266:
	v_mov_b32_e32 v14, 0
	ds_write_b32 v14, v40 offset:12
.LBB833_267:
	s_or_b64 exec, exec, s[26:27]
	v_mov_b32_e32 v14, 0
	s_waitcnt lgkmcnt(0)
	s_barrier
	ds_read_b32 v14, v14 offset:12
	v_cndmask_b32_e64 v15, v26, v24, s[16:17]
	v_cndmask_b32_e64 v15, v15, 0, s[0:1]
	s_movk_i32 s16, 0x2800
	s_waitcnt lgkmcnt(0)
	v_add_u32_e32 v26, v14, v15
	v_add_u32_e64 v14, s16, 0
	s_barrier
	ds_read2_b32 v[14:15], v14 offset1:2
	v_add_u32_e32 v24, v26, v1
	v_add_u32_e32 v22, v24, v25
	;; [unrolled: 1-line block ×4, first 2 shown]
	v_lshrrev_b64 v[16:17], 24, v[12:13]
	s_branch .LBB833_278
.LBB833_268:
                                        ; implicit-def: $vgpr18
                                        ; implicit-def: $vgpr20
                                        ; implicit-def: $vgpr22
                                        ; implicit-def: $vgpr24
                                        ; implicit-def: $vgpr26
                                        ; implicit-def: $vgpr15
	v_lshrrev_b64 v[16:17], 24, v[12:13]
	s_cbranch_execz .LBB833_278
; %bb.269:
	s_waitcnt lgkmcnt(0)
	v_mov_b32_dpp v14, v31 row_shr:1 row_mask:0xf bank_mask:0xf
	v_cndmask_b32_e64 v14, v14, 0, s[14:15]
	v_add_u32_e32 v14, v14, v31
	s_nop 1
	v_mov_b32_dpp v15, v14 row_shr:2 row_mask:0xf bank_mask:0xf
	v_cndmask_b32_e64 v15, 0, v15, s[12:13]
	v_add_u32_e32 v14, v14, v15
	s_nop 1
	;; [unrolled: 4-line block ×4, first 2 shown]
	v_mov_b32_dpp v15, v14 row_bcast:15 row_mask:0xf bank_mask:0xf
	v_cndmask_b32_e64 v15, v15, 0, s[6:7]
	v_add_u32_e32 v14, v14, v15
	s_nop 1
	v_mov_b32_dpp v15, v14 row_bcast:31 row_mask:0xf bank_mask:0xf
	v_cndmask_b32_e64 v15, 0, v15, s[2:3]
	v_add_u32_e32 v14, v14, v15
	s_and_saveexec_b64 s[2:3], s[4:5]
	s_cbranch_execz .LBB833_271
; %bb.270:
	v_lshlrev_b32_e32 v15, 2, v30
	ds_write_b32 v15, v14
.LBB833_271:
	s_or_b64 exec, exec, s[2:3]
	v_cmp_gt_u32_e32 vcc, 4, v0
	s_waitcnt lgkmcnt(0)
	s_barrier
	s_and_saveexec_b64 s[2:3], vcc
	s_cbranch_execz .LBB833_273
; %bb.272:
	v_lshlrev_b32_e32 v15, 2, v0
	ds_read_b32 v17, v15
	v_and_b32_e32 v18, 3, v29
	v_cmp_ne_u32_e32 vcc, 0, v18
	s_waitcnt lgkmcnt(0)
	v_mov_b32_dpp v19, v17 row_shr:1 row_mask:0xf bank_mask:0xf
	v_cndmask_b32_e32 v19, 0, v19, vcc
	v_add_u32_e32 v17, v19, v17
	v_cmp_lt_u32_e32 vcc, 1, v18
	s_nop 0
	v_mov_b32_dpp v19, v17 row_shr:2 row_mask:0xf bank_mask:0xf
	v_cndmask_b32_e32 v18, 0, v19, vcc
	v_add_u32_e32 v17, v17, v18
	ds_write_b32 v15, v17
.LBB833_273:
	s_or_b64 exec, exec, s[2:3]
	v_cmp_lt_u32_e32 vcc, 63, v0
	v_mov_b32_e32 v15, 0
	v_mov_b32_e32 v17, 0
	s_waitcnt lgkmcnt(0)
	s_barrier
	s_and_saveexec_b64 s[2:3], vcc
	s_cbranch_execz .LBB833_275
; %bb.274:
	v_lshl_add_u32 v17, v30, 2, -4
	ds_read_b32 v17, v17
.LBB833_275:
	s_or_b64 exec, exec, s[2:3]
	v_add_u32_e32 v18, -1, v29
	v_and_b32_e32 v19, 64, v29
	v_cmp_lt_i32_e32 vcc, v18, v19
	v_cndmask_b32_e32 v18, v18, v29, vcc
	s_waitcnt lgkmcnt(0)
	v_add_u32_e32 v14, v17, v14
	v_lshlrev_b32_e32 v18, 2, v18
	ds_bpermute_b32 v18, v18, v14
	ds_read_b32 v14, v15 offset:12
	s_and_saveexec_b64 s[2:3], s[0:1]
	s_cbranch_execz .LBB833_277
; %bb.276:
	v_mov_b32_e32 v19, 0
	v_mov_b32_e32 v15, 2
	s_waitcnt lgkmcnt(0)
	global_store_dwordx2 v19, v[14:15], s[18:19] offset:512
.LBB833_277:
	s_or_b64 exec, exec, s[2:3]
	v_cmp_eq_u32_e32 vcc, 0, v29
	s_waitcnt lgkmcnt(1)
	v_cndmask_b32_e32 v17, v18, v17, vcc
	v_cndmask_b32_e64 v26, v17, 0, s[0:1]
	v_add_u32_e32 v24, v26, v1
	v_add_u32_e32 v22, v24, v25
	;; [unrolled: 1-line block ×3, first 2 shown]
	v_mov_b32_e32 v15, 0
	v_add_u32_e32 v18, v20, v28
	s_waitcnt lgkmcnt(0)
	s_barrier
.LBB833_278:
	s_movk_i32 s2, 0x101
	s_waitcnt lgkmcnt(0)
	v_cmp_gt_u32_e32 vcc, s2, v14
	v_lshrrev_b32_e32 v1, 8, v12
	s_mov_b64 s[2:3], -1
	s_cbranch_vccnz .LBB833_282
; %bb.279:
	s_and_b64 vcc, exec, s[2:3]
	s_cbranch_vccnz .LBB833_298
.LBB833_280:
	s_and_b64 s[0:1], s[0:1], s[24:25]
	s_and_saveexec_b64 s[2:3], s[0:1]
	s_cbranch_execnz .LBB833_312
.LBB833_281:
	s_endpgm
.LBB833_282:
	v_add_u32_e32 v17, v15, v14
	v_cmp_lt_u32_e32 vcc, v26, v17
	s_or_b64 s[4:5], s[30:31], vcc
	s_and_saveexec_b64 s[2:3], s[4:5]
	s_cbranch_execz .LBB833_285
; %bb.283:
	v_and_b32_e32 v19, 1, v12
	v_cmp_eq_u32_e32 vcc, 1, v19
	s_and_b64 exec, exec, vcc
	s_cbranch_execz .LBB833_285
; %bb.284:
	s_lshl_b64 s[4:5], s[22:23], 3
	s_add_u32 s4, s28, s4
	v_mov_b32_e32 v27, 0
	s_addc_u32 s5, s29, s5
	v_lshlrev_b64 v[28:29], 3, v[26:27]
	v_mov_b32_e32 v19, s5
	v_add_co_u32_e32 v28, vcc, s4, v28
	v_addc_co_u32_e32 v29, vcc, v19, v29, vcc
	global_store_dwordx2 v[28:29], v[6:7], off
.LBB833_285:
	s_or_b64 exec, exec, s[2:3]
	v_cmp_lt_u32_e32 vcc, v24, v17
	s_or_b64 s[4:5], s[30:31], vcc
	s_and_saveexec_b64 s[2:3], s[4:5]
	s_cbranch_execz .LBB833_288
; %bb.286:
	v_and_b32_e32 v19, 1, v1
	v_cmp_eq_u32_e32 vcc, 1, v19
	s_and_b64 exec, exec, vcc
	s_cbranch_execz .LBB833_288
; %bb.287:
	s_lshl_b64 s[4:5], s[22:23], 3
	s_add_u32 s4, s28, s4
	v_mov_b32_e32 v25, 0
	s_addc_u32 s5, s29, s5
	v_lshlrev_b64 v[28:29], 3, v[24:25]
	v_mov_b32_e32 v19, s5
	v_add_co_u32_e32 v28, vcc, s4, v28
	v_addc_co_u32_e32 v29, vcc, v19, v29, vcc
	global_store_dwordx2 v[28:29], v[8:9], off
.LBB833_288:
	s_or_b64 exec, exec, s[2:3]
	v_cmp_lt_u32_e32 vcc, v22, v17
	s_or_b64 s[4:5], s[30:31], vcc
	s_and_saveexec_b64 s[2:3], s[4:5]
	s_cbranch_execz .LBB833_291
; %bb.289:
	v_mov_b32_e32 v19, 1
	v_and_b32_sdwa v19, v19, v12 dst_sel:DWORD dst_unused:UNUSED_PAD src0_sel:DWORD src1_sel:WORD_1
	v_cmp_eq_u32_e32 vcc, 1, v19
	s_and_b64 exec, exec, vcc
	s_cbranch_execz .LBB833_291
; %bb.290:
	s_lshl_b64 s[4:5], s[22:23], 3
	s_add_u32 s4, s28, s4
	v_mov_b32_e32 v23, 0
	s_addc_u32 s5, s29, s5
	v_lshlrev_b64 v[28:29], 3, v[22:23]
	v_mov_b32_e32 v19, s5
	v_add_co_u32_e32 v28, vcc, s4, v28
	v_addc_co_u32_e32 v29, vcc, v19, v29, vcc
	global_store_dwordx2 v[28:29], v[2:3], off
.LBB833_291:
	s_or_b64 exec, exec, s[2:3]
	v_cmp_lt_u32_e32 vcc, v20, v17
	s_or_b64 s[4:5], s[30:31], vcc
	s_and_saveexec_b64 s[2:3], s[4:5]
	s_cbranch_execz .LBB833_294
; %bb.292:
	v_and_b32_e32 v19, 1, v16
	v_cmp_eq_u32_e32 vcc, 1, v19
	s_and_b64 exec, exec, vcc
	s_cbranch_execz .LBB833_294
; %bb.293:
	s_lshl_b64 s[4:5], s[22:23], 3
	s_add_u32 s4, s28, s4
	v_mov_b32_e32 v21, 0
	s_addc_u32 s5, s29, s5
	v_lshlrev_b64 v[28:29], 3, v[20:21]
	v_mov_b32_e32 v19, s5
	v_add_co_u32_e32 v28, vcc, s4, v28
	v_addc_co_u32_e32 v29, vcc, v19, v29, vcc
	global_store_dwordx2 v[28:29], v[4:5], off
.LBB833_294:
	s_or_b64 exec, exec, s[2:3]
	v_cmp_lt_u32_e32 vcc, v18, v17
	s_or_b64 s[4:5], s[30:31], vcc
	s_and_saveexec_b64 s[2:3], s[4:5]
	s_cbranch_execz .LBB833_297
; %bb.295:
	v_and_b32_e32 v17, 1, v13
	v_cmp_eq_u32_e32 vcc, 1, v17
	s_and_b64 exec, exec, vcc
	s_cbranch_execz .LBB833_297
; %bb.296:
	s_lshl_b64 s[4:5], s[22:23], 3
	s_add_u32 s4, s28, s4
	v_mov_b32_e32 v19, 0
	s_addc_u32 s5, s29, s5
	v_lshlrev_b64 v[28:29], 3, v[18:19]
	v_mov_b32_e32 v17, s5
	v_add_co_u32_e32 v28, vcc, s4, v28
	v_addc_co_u32_e32 v29, vcc, v17, v29, vcc
	global_store_dwordx2 v[28:29], v[10:11], off
.LBB833_297:
	s_or_b64 exec, exec, s[2:3]
	s_branch .LBB833_280
.LBB833_298:
	v_and_b32_e32 v17, 1, v12
	v_cmp_eq_u32_e32 vcc, 1, v17
	s_and_saveexec_b64 s[2:3], vcc
	s_cbranch_execz .LBB833_300
; %bb.299:
	v_sub_u32_e32 v17, v26, v15
	v_lshlrev_b32_e32 v17, 3, v17
	ds_write_b64 v17, v[6:7]
.LBB833_300:
	s_or_b64 exec, exec, s[2:3]
	v_and_b32_e32 v1, 1, v1
	v_cmp_eq_u32_e32 vcc, 1, v1
	s_and_saveexec_b64 s[2:3], vcc
	s_cbranch_execz .LBB833_302
; %bb.301:
	v_sub_u32_e32 v1, v24, v15
	v_lshlrev_b32_e32 v1, 3, v1
	ds_write_b64 v1, v[8:9]
.LBB833_302:
	s_or_b64 exec, exec, s[2:3]
	v_mov_b32_e32 v1, 1
	v_and_b32_sdwa v1, v1, v12 dst_sel:DWORD dst_unused:UNUSED_PAD src0_sel:DWORD src1_sel:WORD_1
	v_cmp_eq_u32_e32 vcc, 1, v1
	s_and_saveexec_b64 s[2:3], vcc
	s_cbranch_execz .LBB833_304
; %bb.303:
	v_sub_u32_e32 v1, v22, v15
	v_lshlrev_b32_e32 v1, 3, v1
	ds_write_b64 v1, v[2:3]
.LBB833_304:
	s_or_b64 exec, exec, s[2:3]
	v_and_b32_e32 v1, 1, v16
	v_cmp_eq_u32_e32 vcc, 1, v1
	s_and_saveexec_b64 s[2:3], vcc
	s_cbranch_execz .LBB833_306
; %bb.305:
	v_sub_u32_e32 v1, v20, v15
	v_lshlrev_b32_e32 v1, 3, v1
	ds_write_b64 v1, v[4:5]
.LBB833_306:
	s_or_b64 exec, exec, s[2:3]
	v_and_b32_e32 v1, 1, v13
	v_cmp_eq_u32_e32 vcc, 1, v1
	s_and_saveexec_b64 s[2:3], vcc
	s_cbranch_execz .LBB833_308
; %bb.307:
	v_sub_u32_e32 v1, v18, v15
	v_lshlrev_b32_e32 v1, 3, v1
	ds_write_b64 v1, v[10:11]
.LBB833_308:
	s_or_b64 exec, exec, s[2:3]
	v_cmp_lt_u32_e32 vcc, v0, v14
	s_waitcnt lgkmcnt(0)
	s_barrier
	s_and_saveexec_b64 s[2:3], vcc
	s_cbranch_execz .LBB833_311
; %bb.309:
	v_mov_b32_e32 v1, 0
	v_mov_b32_e32 v2, v15
	;; [unrolled: 1-line block ×3, first 2 shown]
	v_lshlrev_b64 v[2:3], 3, v[2:3]
	v_mov_b32_e32 v4, s29
	v_add_co_u32_e32 v2, vcc, s28, v2
	v_addc_co_u32_e32 v3, vcc, v4, v3, vcc
	s_lshl_b64 s[4:5], s[22:23], 3
	v_mov_b32_e32 v4, s5
	v_add_co_u32_e32 v2, vcc, s4, v2
	v_addc_co_u32_e32 v3, vcc, v3, v4, vcc
	v_lshlrev_b32_e32 v4, 3, v0
	s_mov_b64 s[4:5], 0
.LBB833_310:                            ; =>This Inner Loop Header: Depth=1
	ds_read_b64 v[6:7], v4
	v_lshlrev_b64 v[8:9], 3, v[0:1]
	v_add_co_u32_e32 v8, vcc, v2, v8
	v_add_u32_e32 v0, 0x100, v0
	v_addc_co_u32_e32 v9, vcc, v3, v9, vcc
	v_cmp_ge_u32_e32 vcc, v0, v14
	v_add_u32_e32 v4, 0x800, v4
	s_or_b64 s[4:5], vcc, s[4:5]
	s_waitcnt lgkmcnt(0)
	global_store_dwordx2 v[8:9], v[6:7], off
	s_andn2_b64 exec, exec, s[4:5]
	s_cbranch_execnz .LBB833_310
.LBB833_311:
	s_or_b64 exec, exec, s[2:3]
	s_and_b64 s[0:1], s[0:1], s[24:25]
	s_and_saveexec_b64 s[2:3], s[0:1]
	s_cbranch_execz .LBB833_281
.LBB833_312:
	v_mov_b32_e32 v0, s23
	v_add_co_u32_e32 v1, vcc, s22, v14
	v_addc_co_u32_e32 v3, vcc, 0, v0, vcc
	v_add_co_u32_e32 v0, vcc, v1, v15
	v_mov_b32_e32 v2, 0
	v_addc_co_u32_e32 v1, vcc, 0, v3, vcc
	global_store_dwordx2 v2, v[0:1], s[20:21]
	s_endpgm
	.section	.rodata,"a",@progbits
	.p2align	6, 0x0
	.amdhsa_kernel _ZN7rocprim17ROCPRIM_400000_NS6detail17trampoline_kernelINS0_14default_configENS1_25partition_config_selectorILNS1_17partition_subalgoE8ElNS0_10empty_typeEbEEZZNS1_14partition_implILS5_8ELb0ES3_jPlPS6_PKS6_NS0_5tupleIJS9_S6_EEENSD_IJSA_SA_EEENS0_18inequality_wrapperIZN2at6native12_GLOBAL__N_124unique_dim_cuda_templateIdEESt5tupleIJNSH_6TensorESM_SM_EERKSM_lbbbEUlllE0_EEPmJS6_EEE10hipError_tPvRmT3_T4_T5_T6_T7_T9_mT8_P12ihipStream_tbDpT10_ENKUlT_T0_E_clISt17integral_constantIbLb0EES1B_IbLb1EEEEDaS17_S18_EUlS17_E_NS1_11comp_targetILNS1_3genE4ELNS1_11target_archE910ELNS1_3gpuE8ELNS1_3repE0EEENS1_30default_config_static_selectorELNS0_4arch9wavefront6targetE1EEEvT1_
		.amdhsa_group_segment_fixed_size 10252
		.amdhsa_private_segment_fixed_size 0
		.amdhsa_kernarg_size 136
		.amdhsa_user_sgpr_count 6
		.amdhsa_user_sgpr_private_segment_buffer 1
		.amdhsa_user_sgpr_dispatch_ptr 0
		.amdhsa_user_sgpr_queue_ptr 0
		.amdhsa_user_sgpr_kernarg_segment_ptr 1
		.amdhsa_user_sgpr_dispatch_id 0
		.amdhsa_user_sgpr_flat_scratch_init 0
		.amdhsa_user_sgpr_kernarg_preload_length 0
		.amdhsa_user_sgpr_kernarg_preload_offset 0
		.amdhsa_user_sgpr_private_segment_size 0
		.amdhsa_uses_dynamic_stack 0
		.amdhsa_system_sgpr_private_segment_wavefront_offset 0
		.amdhsa_system_sgpr_workgroup_id_x 1
		.amdhsa_system_sgpr_workgroup_id_y 0
		.amdhsa_system_sgpr_workgroup_id_z 0
		.amdhsa_system_sgpr_workgroup_info 0
		.amdhsa_system_vgpr_workitem_id 0
		.amdhsa_next_free_vgpr 46
		.amdhsa_next_free_sgpr 52
		.amdhsa_accum_offset 48
		.amdhsa_reserve_vcc 1
		.amdhsa_reserve_flat_scratch 0
		.amdhsa_float_round_mode_32 0
		.amdhsa_float_round_mode_16_64 0
		.amdhsa_float_denorm_mode_32 3
		.amdhsa_float_denorm_mode_16_64 3
		.amdhsa_dx10_clamp 1
		.amdhsa_ieee_mode 1
		.amdhsa_fp16_overflow 0
		.amdhsa_tg_split 0
		.amdhsa_exception_fp_ieee_invalid_op 0
		.amdhsa_exception_fp_denorm_src 0
		.amdhsa_exception_fp_ieee_div_zero 0
		.amdhsa_exception_fp_ieee_overflow 0
		.amdhsa_exception_fp_ieee_underflow 0
		.amdhsa_exception_fp_ieee_inexact 0
		.amdhsa_exception_int_div_zero 0
	.end_amdhsa_kernel
	.section	.text._ZN7rocprim17ROCPRIM_400000_NS6detail17trampoline_kernelINS0_14default_configENS1_25partition_config_selectorILNS1_17partition_subalgoE8ElNS0_10empty_typeEbEEZZNS1_14partition_implILS5_8ELb0ES3_jPlPS6_PKS6_NS0_5tupleIJS9_S6_EEENSD_IJSA_SA_EEENS0_18inequality_wrapperIZN2at6native12_GLOBAL__N_124unique_dim_cuda_templateIdEESt5tupleIJNSH_6TensorESM_SM_EERKSM_lbbbEUlllE0_EEPmJS6_EEE10hipError_tPvRmT3_T4_T5_T6_T7_T9_mT8_P12ihipStream_tbDpT10_ENKUlT_T0_E_clISt17integral_constantIbLb0EES1B_IbLb1EEEEDaS17_S18_EUlS17_E_NS1_11comp_targetILNS1_3genE4ELNS1_11target_archE910ELNS1_3gpuE8ELNS1_3repE0EEENS1_30default_config_static_selectorELNS0_4arch9wavefront6targetE1EEEvT1_,"axG",@progbits,_ZN7rocprim17ROCPRIM_400000_NS6detail17trampoline_kernelINS0_14default_configENS1_25partition_config_selectorILNS1_17partition_subalgoE8ElNS0_10empty_typeEbEEZZNS1_14partition_implILS5_8ELb0ES3_jPlPS6_PKS6_NS0_5tupleIJS9_S6_EEENSD_IJSA_SA_EEENS0_18inequality_wrapperIZN2at6native12_GLOBAL__N_124unique_dim_cuda_templateIdEESt5tupleIJNSH_6TensorESM_SM_EERKSM_lbbbEUlllE0_EEPmJS6_EEE10hipError_tPvRmT3_T4_T5_T6_T7_T9_mT8_P12ihipStream_tbDpT10_ENKUlT_T0_E_clISt17integral_constantIbLb0EES1B_IbLb1EEEEDaS17_S18_EUlS17_E_NS1_11comp_targetILNS1_3genE4ELNS1_11target_archE910ELNS1_3gpuE8ELNS1_3repE0EEENS1_30default_config_static_selectorELNS0_4arch9wavefront6targetE1EEEvT1_,comdat
.Lfunc_end833:
	.size	_ZN7rocprim17ROCPRIM_400000_NS6detail17trampoline_kernelINS0_14default_configENS1_25partition_config_selectorILNS1_17partition_subalgoE8ElNS0_10empty_typeEbEEZZNS1_14partition_implILS5_8ELb0ES3_jPlPS6_PKS6_NS0_5tupleIJS9_S6_EEENSD_IJSA_SA_EEENS0_18inequality_wrapperIZN2at6native12_GLOBAL__N_124unique_dim_cuda_templateIdEESt5tupleIJNSH_6TensorESM_SM_EERKSM_lbbbEUlllE0_EEPmJS6_EEE10hipError_tPvRmT3_T4_T5_T6_T7_T9_mT8_P12ihipStream_tbDpT10_ENKUlT_T0_E_clISt17integral_constantIbLb0EES1B_IbLb1EEEEDaS17_S18_EUlS17_E_NS1_11comp_targetILNS1_3genE4ELNS1_11target_archE910ELNS1_3gpuE8ELNS1_3repE0EEENS1_30default_config_static_selectorELNS0_4arch9wavefront6targetE1EEEvT1_, .Lfunc_end833-_ZN7rocprim17ROCPRIM_400000_NS6detail17trampoline_kernelINS0_14default_configENS1_25partition_config_selectorILNS1_17partition_subalgoE8ElNS0_10empty_typeEbEEZZNS1_14partition_implILS5_8ELb0ES3_jPlPS6_PKS6_NS0_5tupleIJS9_S6_EEENSD_IJSA_SA_EEENS0_18inequality_wrapperIZN2at6native12_GLOBAL__N_124unique_dim_cuda_templateIdEESt5tupleIJNSH_6TensorESM_SM_EERKSM_lbbbEUlllE0_EEPmJS6_EEE10hipError_tPvRmT3_T4_T5_T6_T7_T9_mT8_P12ihipStream_tbDpT10_ENKUlT_T0_E_clISt17integral_constantIbLb0EES1B_IbLb1EEEEDaS17_S18_EUlS17_E_NS1_11comp_targetILNS1_3genE4ELNS1_11target_archE910ELNS1_3gpuE8ELNS1_3repE0EEENS1_30default_config_static_selectorELNS0_4arch9wavefront6targetE1EEEvT1_
                                        ; -- End function
	.section	.AMDGPU.csdata,"",@progbits
; Kernel info:
; codeLenInByte = 11572
; NumSgprs: 56
; NumVgprs: 46
; NumAgprs: 0
; TotalNumVgprs: 46
; ScratchSize: 0
; MemoryBound: 1
; FloatMode: 240
; IeeeMode: 1
; LDSByteSize: 10252 bytes/workgroup (compile time only)
; SGPRBlocks: 6
; VGPRBlocks: 5
; NumSGPRsForWavesPerEU: 56
; NumVGPRsForWavesPerEU: 46
; AccumOffset: 48
; Occupancy: 6
; WaveLimiterHint : 1
; COMPUTE_PGM_RSRC2:SCRATCH_EN: 0
; COMPUTE_PGM_RSRC2:USER_SGPR: 6
; COMPUTE_PGM_RSRC2:TRAP_HANDLER: 0
; COMPUTE_PGM_RSRC2:TGID_X_EN: 1
; COMPUTE_PGM_RSRC2:TGID_Y_EN: 0
; COMPUTE_PGM_RSRC2:TGID_Z_EN: 0
; COMPUTE_PGM_RSRC2:TIDIG_COMP_CNT: 0
; COMPUTE_PGM_RSRC3_GFX90A:ACCUM_OFFSET: 11
; COMPUTE_PGM_RSRC3_GFX90A:TG_SPLIT: 0
	.section	.text._ZN7rocprim17ROCPRIM_400000_NS6detail17trampoline_kernelINS0_14default_configENS1_25partition_config_selectorILNS1_17partition_subalgoE8ElNS0_10empty_typeEbEEZZNS1_14partition_implILS5_8ELb0ES3_jPlPS6_PKS6_NS0_5tupleIJS9_S6_EEENSD_IJSA_SA_EEENS0_18inequality_wrapperIZN2at6native12_GLOBAL__N_124unique_dim_cuda_templateIdEESt5tupleIJNSH_6TensorESM_SM_EERKSM_lbbbEUlllE0_EEPmJS6_EEE10hipError_tPvRmT3_T4_T5_T6_T7_T9_mT8_P12ihipStream_tbDpT10_ENKUlT_T0_E_clISt17integral_constantIbLb0EES1B_IbLb1EEEEDaS17_S18_EUlS17_E_NS1_11comp_targetILNS1_3genE3ELNS1_11target_archE908ELNS1_3gpuE7ELNS1_3repE0EEENS1_30default_config_static_selectorELNS0_4arch9wavefront6targetE1EEEvT1_,"axG",@progbits,_ZN7rocprim17ROCPRIM_400000_NS6detail17trampoline_kernelINS0_14default_configENS1_25partition_config_selectorILNS1_17partition_subalgoE8ElNS0_10empty_typeEbEEZZNS1_14partition_implILS5_8ELb0ES3_jPlPS6_PKS6_NS0_5tupleIJS9_S6_EEENSD_IJSA_SA_EEENS0_18inequality_wrapperIZN2at6native12_GLOBAL__N_124unique_dim_cuda_templateIdEESt5tupleIJNSH_6TensorESM_SM_EERKSM_lbbbEUlllE0_EEPmJS6_EEE10hipError_tPvRmT3_T4_T5_T6_T7_T9_mT8_P12ihipStream_tbDpT10_ENKUlT_T0_E_clISt17integral_constantIbLb0EES1B_IbLb1EEEEDaS17_S18_EUlS17_E_NS1_11comp_targetILNS1_3genE3ELNS1_11target_archE908ELNS1_3gpuE7ELNS1_3repE0EEENS1_30default_config_static_selectorELNS0_4arch9wavefront6targetE1EEEvT1_,comdat
	.globl	_ZN7rocprim17ROCPRIM_400000_NS6detail17trampoline_kernelINS0_14default_configENS1_25partition_config_selectorILNS1_17partition_subalgoE8ElNS0_10empty_typeEbEEZZNS1_14partition_implILS5_8ELb0ES3_jPlPS6_PKS6_NS0_5tupleIJS9_S6_EEENSD_IJSA_SA_EEENS0_18inequality_wrapperIZN2at6native12_GLOBAL__N_124unique_dim_cuda_templateIdEESt5tupleIJNSH_6TensorESM_SM_EERKSM_lbbbEUlllE0_EEPmJS6_EEE10hipError_tPvRmT3_T4_T5_T6_T7_T9_mT8_P12ihipStream_tbDpT10_ENKUlT_T0_E_clISt17integral_constantIbLb0EES1B_IbLb1EEEEDaS17_S18_EUlS17_E_NS1_11comp_targetILNS1_3genE3ELNS1_11target_archE908ELNS1_3gpuE7ELNS1_3repE0EEENS1_30default_config_static_selectorELNS0_4arch9wavefront6targetE1EEEvT1_ ; -- Begin function _ZN7rocprim17ROCPRIM_400000_NS6detail17trampoline_kernelINS0_14default_configENS1_25partition_config_selectorILNS1_17partition_subalgoE8ElNS0_10empty_typeEbEEZZNS1_14partition_implILS5_8ELb0ES3_jPlPS6_PKS6_NS0_5tupleIJS9_S6_EEENSD_IJSA_SA_EEENS0_18inequality_wrapperIZN2at6native12_GLOBAL__N_124unique_dim_cuda_templateIdEESt5tupleIJNSH_6TensorESM_SM_EERKSM_lbbbEUlllE0_EEPmJS6_EEE10hipError_tPvRmT3_T4_T5_T6_T7_T9_mT8_P12ihipStream_tbDpT10_ENKUlT_T0_E_clISt17integral_constantIbLb0EES1B_IbLb1EEEEDaS17_S18_EUlS17_E_NS1_11comp_targetILNS1_3genE3ELNS1_11target_archE908ELNS1_3gpuE7ELNS1_3repE0EEENS1_30default_config_static_selectorELNS0_4arch9wavefront6targetE1EEEvT1_
	.p2align	8
	.type	_ZN7rocprim17ROCPRIM_400000_NS6detail17trampoline_kernelINS0_14default_configENS1_25partition_config_selectorILNS1_17partition_subalgoE8ElNS0_10empty_typeEbEEZZNS1_14partition_implILS5_8ELb0ES3_jPlPS6_PKS6_NS0_5tupleIJS9_S6_EEENSD_IJSA_SA_EEENS0_18inequality_wrapperIZN2at6native12_GLOBAL__N_124unique_dim_cuda_templateIdEESt5tupleIJNSH_6TensorESM_SM_EERKSM_lbbbEUlllE0_EEPmJS6_EEE10hipError_tPvRmT3_T4_T5_T6_T7_T9_mT8_P12ihipStream_tbDpT10_ENKUlT_T0_E_clISt17integral_constantIbLb0EES1B_IbLb1EEEEDaS17_S18_EUlS17_E_NS1_11comp_targetILNS1_3genE3ELNS1_11target_archE908ELNS1_3gpuE7ELNS1_3repE0EEENS1_30default_config_static_selectorELNS0_4arch9wavefront6targetE1EEEvT1_,@function
_ZN7rocprim17ROCPRIM_400000_NS6detail17trampoline_kernelINS0_14default_configENS1_25partition_config_selectorILNS1_17partition_subalgoE8ElNS0_10empty_typeEbEEZZNS1_14partition_implILS5_8ELb0ES3_jPlPS6_PKS6_NS0_5tupleIJS9_S6_EEENSD_IJSA_SA_EEENS0_18inequality_wrapperIZN2at6native12_GLOBAL__N_124unique_dim_cuda_templateIdEESt5tupleIJNSH_6TensorESM_SM_EERKSM_lbbbEUlllE0_EEPmJS6_EEE10hipError_tPvRmT3_T4_T5_T6_T7_T9_mT8_P12ihipStream_tbDpT10_ENKUlT_T0_E_clISt17integral_constantIbLb0EES1B_IbLb1EEEEDaS17_S18_EUlS17_E_NS1_11comp_targetILNS1_3genE3ELNS1_11target_archE908ELNS1_3gpuE7ELNS1_3repE0EEENS1_30default_config_static_selectorELNS0_4arch9wavefront6targetE1EEEvT1_: ; @_ZN7rocprim17ROCPRIM_400000_NS6detail17trampoline_kernelINS0_14default_configENS1_25partition_config_selectorILNS1_17partition_subalgoE8ElNS0_10empty_typeEbEEZZNS1_14partition_implILS5_8ELb0ES3_jPlPS6_PKS6_NS0_5tupleIJS9_S6_EEENSD_IJSA_SA_EEENS0_18inequality_wrapperIZN2at6native12_GLOBAL__N_124unique_dim_cuda_templateIdEESt5tupleIJNSH_6TensorESM_SM_EERKSM_lbbbEUlllE0_EEPmJS6_EEE10hipError_tPvRmT3_T4_T5_T6_T7_T9_mT8_P12ihipStream_tbDpT10_ENKUlT_T0_E_clISt17integral_constantIbLb0EES1B_IbLb1EEEEDaS17_S18_EUlS17_E_NS1_11comp_targetILNS1_3genE3ELNS1_11target_archE908ELNS1_3gpuE7ELNS1_3repE0EEENS1_30default_config_static_selectorELNS0_4arch9wavefront6targetE1EEEvT1_
; %bb.0:
	.section	.rodata,"a",@progbits
	.p2align	6, 0x0
	.amdhsa_kernel _ZN7rocprim17ROCPRIM_400000_NS6detail17trampoline_kernelINS0_14default_configENS1_25partition_config_selectorILNS1_17partition_subalgoE8ElNS0_10empty_typeEbEEZZNS1_14partition_implILS5_8ELb0ES3_jPlPS6_PKS6_NS0_5tupleIJS9_S6_EEENSD_IJSA_SA_EEENS0_18inequality_wrapperIZN2at6native12_GLOBAL__N_124unique_dim_cuda_templateIdEESt5tupleIJNSH_6TensorESM_SM_EERKSM_lbbbEUlllE0_EEPmJS6_EEE10hipError_tPvRmT3_T4_T5_T6_T7_T9_mT8_P12ihipStream_tbDpT10_ENKUlT_T0_E_clISt17integral_constantIbLb0EES1B_IbLb1EEEEDaS17_S18_EUlS17_E_NS1_11comp_targetILNS1_3genE3ELNS1_11target_archE908ELNS1_3gpuE7ELNS1_3repE0EEENS1_30default_config_static_selectorELNS0_4arch9wavefront6targetE1EEEvT1_
		.amdhsa_group_segment_fixed_size 0
		.amdhsa_private_segment_fixed_size 0
		.amdhsa_kernarg_size 136
		.amdhsa_user_sgpr_count 6
		.amdhsa_user_sgpr_private_segment_buffer 1
		.amdhsa_user_sgpr_dispatch_ptr 0
		.amdhsa_user_sgpr_queue_ptr 0
		.amdhsa_user_sgpr_kernarg_segment_ptr 1
		.amdhsa_user_sgpr_dispatch_id 0
		.amdhsa_user_sgpr_flat_scratch_init 0
		.amdhsa_user_sgpr_kernarg_preload_length 0
		.amdhsa_user_sgpr_kernarg_preload_offset 0
		.amdhsa_user_sgpr_private_segment_size 0
		.amdhsa_uses_dynamic_stack 0
		.amdhsa_system_sgpr_private_segment_wavefront_offset 0
		.amdhsa_system_sgpr_workgroup_id_x 1
		.amdhsa_system_sgpr_workgroup_id_y 0
		.amdhsa_system_sgpr_workgroup_id_z 0
		.amdhsa_system_sgpr_workgroup_info 0
		.amdhsa_system_vgpr_workitem_id 0
		.amdhsa_next_free_vgpr 1
		.amdhsa_next_free_sgpr 0
		.amdhsa_accum_offset 4
		.amdhsa_reserve_vcc 0
		.amdhsa_reserve_flat_scratch 0
		.amdhsa_float_round_mode_32 0
		.amdhsa_float_round_mode_16_64 0
		.amdhsa_float_denorm_mode_32 3
		.amdhsa_float_denorm_mode_16_64 3
		.amdhsa_dx10_clamp 1
		.amdhsa_ieee_mode 1
		.amdhsa_fp16_overflow 0
		.amdhsa_tg_split 0
		.amdhsa_exception_fp_ieee_invalid_op 0
		.amdhsa_exception_fp_denorm_src 0
		.amdhsa_exception_fp_ieee_div_zero 0
		.amdhsa_exception_fp_ieee_overflow 0
		.amdhsa_exception_fp_ieee_underflow 0
		.amdhsa_exception_fp_ieee_inexact 0
		.amdhsa_exception_int_div_zero 0
	.end_amdhsa_kernel
	.section	.text._ZN7rocprim17ROCPRIM_400000_NS6detail17trampoline_kernelINS0_14default_configENS1_25partition_config_selectorILNS1_17partition_subalgoE8ElNS0_10empty_typeEbEEZZNS1_14partition_implILS5_8ELb0ES3_jPlPS6_PKS6_NS0_5tupleIJS9_S6_EEENSD_IJSA_SA_EEENS0_18inequality_wrapperIZN2at6native12_GLOBAL__N_124unique_dim_cuda_templateIdEESt5tupleIJNSH_6TensorESM_SM_EERKSM_lbbbEUlllE0_EEPmJS6_EEE10hipError_tPvRmT3_T4_T5_T6_T7_T9_mT8_P12ihipStream_tbDpT10_ENKUlT_T0_E_clISt17integral_constantIbLb0EES1B_IbLb1EEEEDaS17_S18_EUlS17_E_NS1_11comp_targetILNS1_3genE3ELNS1_11target_archE908ELNS1_3gpuE7ELNS1_3repE0EEENS1_30default_config_static_selectorELNS0_4arch9wavefront6targetE1EEEvT1_,"axG",@progbits,_ZN7rocprim17ROCPRIM_400000_NS6detail17trampoline_kernelINS0_14default_configENS1_25partition_config_selectorILNS1_17partition_subalgoE8ElNS0_10empty_typeEbEEZZNS1_14partition_implILS5_8ELb0ES3_jPlPS6_PKS6_NS0_5tupleIJS9_S6_EEENSD_IJSA_SA_EEENS0_18inequality_wrapperIZN2at6native12_GLOBAL__N_124unique_dim_cuda_templateIdEESt5tupleIJNSH_6TensorESM_SM_EERKSM_lbbbEUlllE0_EEPmJS6_EEE10hipError_tPvRmT3_T4_T5_T6_T7_T9_mT8_P12ihipStream_tbDpT10_ENKUlT_T0_E_clISt17integral_constantIbLb0EES1B_IbLb1EEEEDaS17_S18_EUlS17_E_NS1_11comp_targetILNS1_3genE3ELNS1_11target_archE908ELNS1_3gpuE7ELNS1_3repE0EEENS1_30default_config_static_selectorELNS0_4arch9wavefront6targetE1EEEvT1_,comdat
.Lfunc_end834:
	.size	_ZN7rocprim17ROCPRIM_400000_NS6detail17trampoline_kernelINS0_14default_configENS1_25partition_config_selectorILNS1_17partition_subalgoE8ElNS0_10empty_typeEbEEZZNS1_14partition_implILS5_8ELb0ES3_jPlPS6_PKS6_NS0_5tupleIJS9_S6_EEENSD_IJSA_SA_EEENS0_18inequality_wrapperIZN2at6native12_GLOBAL__N_124unique_dim_cuda_templateIdEESt5tupleIJNSH_6TensorESM_SM_EERKSM_lbbbEUlllE0_EEPmJS6_EEE10hipError_tPvRmT3_T4_T5_T6_T7_T9_mT8_P12ihipStream_tbDpT10_ENKUlT_T0_E_clISt17integral_constantIbLb0EES1B_IbLb1EEEEDaS17_S18_EUlS17_E_NS1_11comp_targetILNS1_3genE3ELNS1_11target_archE908ELNS1_3gpuE7ELNS1_3repE0EEENS1_30default_config_static_selectorELNS0_4arch9wavefront6targetE1EEEvT1_, .Lfunc_end834-_ZN7rocprim17ROCPRIM_400000_NS6detail17trampoline_kernelINS0_14default_configENS1_25partition_config_selectorILNS1_17partition_subalgoE8ElNS0_10empty_typeEbEEZZNS1_14partition_implILS5_8ELb0ES3_jPlPS6_PKS6_NS0_5tupleIJS9_S6_EEENSD_IJSA_SA_EEENS0_18inequality_wrapperIZN2at6native12_GLOBAL__N_124unique_dim_cuda_templateIdEESt5tupleIJNSH_6TensorESM_SM_EERKSM_lbbbEUlllE0_EEPmJS6_EEE10hipError_tPvRmT3_T4_T5_T6_T7_T9_mT8_P12ihipStream_tbDpT10_ENKUlT_T0_E_clISt17integral_constantIbLb0EES1B_IbLb1EEEEDaS17_S18_EUlS17_E_NS1_11comp_targetILNS1_3genE3ELNS1_11target_archE908ELNS1_3gpuE7ELNS1_3repE0EEENS1_30default_config_static_selectorELNS0_4arch9wavefront6targetE1EEEvT1_
                                        ; -- End function
	.section	.AMDGPU.csdata,"",@progbits
; Kernel info:
; codeLenInByte = 0
; NumSgprs: 4
; NumVgprs: 0
; NumAgprs: 0
; TotalNumVgprs: 0
; ScratchSize: 0
; MemoryBound: 0
; FloatMode: 240
; IeeeMode: 1
; LDSByteSize: 0 bytes/workgroup (compile time only)
; SGPRBlocks: 0
; VGPRBlocks: 0
; NumSGPRsForWavesPerEU: 4
; NumVGPRsForWavesPerEU: 1
; AccumOffset: 4
; Occupancy: 8
; WaveLimiterHint : 0
; COMPUTE_PGM_RSRC2:SCRATCH_EN: 0
; COMPUTE_PGM_RSRC2:USER_SGPR: 6
; COMPUTE_PGM_RSRC2:TRAP_HANDLER: 0
; COMPUTE_PGM_RSRC2:TGID_X_EN: 1
; COMPUTE_PGM_RSRC2:TGID_Y_EN: 0
; COMPUTE_PGM_RSRC2:TGID_Z_EN: 0
; COMPUTE_PGM_RSRC2:TIDIG_COMP_CNT: 0
; COMPUTE_PGM_RSRC3_GFX90A:ACCUM_OFFSET: 0
; COMPUTE_PGM_RSRC3_GFX90A:TG_SPLIT: 0
	.section	.text._ZN7rocprim17ROCPRIM_400000_NS6detail17trampoline_kernelINS0_14default_configENS1_25partition_config_selectorILNS1_17partition_subalgoE8ElNS0_10empty_typeEbEEZZNS1_14partition_implILS5_8ELb0ES3_jPlPS6_PKS6_NS0_5tupleIJS9_S6_EEENSD_IJSA_SA_EEENS0_18inequality_wrapperIZN2at6native12_GLOBAL__N_124unique_dim_cuda_templateIdEESt5tupleIJNSH_6TensorESM_SM_EERKSM_lbbbEUlllE0_EEPmJS6_EEE10hipError_tPvRmT3_T4_T5_T6_T7_T9_mT8_P12ihipStream_tbDpT10_ENKUlT_T0_E_clISt17integral_constantIbLb0EES1B_IbLb1EEEEDaS17_S18_EUlS17_E_NS1_11comp_targetILNS1_3genE2ELNS1_11target_archE906ELNS1_3gpuE6ELNS1_3repE0EEENS1_30default_config_static_selectorELNS0_4arch9wavefront6targetE1EEEvT1_,"axG",@progbits,_ZN7rocprim17ROCPRIM_400000_NS6detail17trampoline_kernelINS0_14default_configENS1_25partition_config_selectorILNS1_17partition_subalgoE8ElNS0_10empty_typeEbEEZZNS1_14partition_implILS5_8ELb0ES3_jPlPS6_PKS6_NS0_5tupleIJS9_S6_EEENSD_IJSA_SA_EEENS0_18inequality_wrapperIZN2at6native12_GLOBAL__N_124unique_dim_cuda_templateIdEESt5tupleIJNSH_6TensorESM_SM_EERKSM_lbbbEUlllE0_EEPmJS6_EEE10hipError_tPvRmT3_T4_T5_T6_T7_T9_mT8_P12ihipStream_tbDpT10_ENKUlT_T0_E_clISt17integral_constantIbLb0EES1B_IbLb1EEEEDaS17_S18_EUlS17_E_NS1_11comp_targetILNS1_3genE2ELNS1_11target_archE906ELNS1_3gpuE6ELNS1_3repE0EEENS1_30default_config_static_selectorELNS0_4arch9wavefront6targetE1EEEvT1_,comdat
	.globl	_ZN7rocprim17ROCPRIM_400000_NS6detail17trampoline_kernelINS0_14default_configENS1_25partition_config_selectorILNS1_17partition_subalgoE8ElNS0_10empty_typeEbEEZZNS1_14partition_implILS5_8ELb0ES3_jPlPS6_PKS6_NS0_5tupleIJS9_S6_EEENSD_IJSA_SA_EEENS0_18inequality_wrapperIZN2at6native12_GLOBAL__N_124unique_dim_cuda_templateIdEESt5tupleIJNSH_6TensorESM_SM_EERKSM_lbbbEUlllE0_EEPmJS6_EEE10hipError_tPvRmT3_T4_T5_T6_T7_T9_mT8_P12ihipStream_tbDpT10_ENKUlT_T0_E_clISt17integral_constantIbLb0EES1B_IbLb1EEEEDaS17_S18_EUlS17_E_NS1_11comp_targetILNS1_3genE2ELNS1_11target_archE906ELNS1_3gpuE6ELNS1_3repE0EEENS1_30default_config_static_selectorELNS0_4arch9wavefront6targetE1EEEvT1_ ; -- Begin function _ZN7rocprim17ROCPRIM_400000_NS6detail17trampoline_kernelINS0_14default_configENS1_25partition_config_selectorILNS1_17partition_subalgoE8ElNS0_10empty_typeEbEEZZNS1_14partition_implILS5_8ELb0ES3_jPlPS6_PKS6_NS0_5tupleIJS9_S6_EEENSD_IJSA_SA_EEENS0_18inequality_wrapperIZN2at6native12_GLOBAL__N_124unique_dim_cuda_templateIdEESt5tupleIJNSH_6TensorESM_SM_EERKSM_lbbbEUlllE0_EEPmJS6_EEE10hipError_tPvRmT3_T4_T5_T6_T7_T9_mT8_P12ihipStream_tbDpT10_ENKUlT_T0_E_clISt17integral_constantIbLb0EES1B_IbLb1EEEEDaS17_S18_EUlS17_E_NS1_11comp_targetILNS1_3genE2ELNS1_11target_archE906ELNS1_3gpuE6ELNS1_3repE0EEENS1_30default_config_static_selectorELNS0_4arch9wavefront6targetE1EEEvT1_
	.p2align	8
	.type	_ZN7rocprim17ROCPRIM_400000_NS6detail17trampoline_kernelINS0_14default_configENS1_25partition_config_selectorILNS1_17partition_subalgoE8ElNS0_10empty_typeEbEEZZNS1_14partition_implILS5_8ELb0ES3_jPlPS6_PKS6_NS0_5tupleIJS9_S6_EEENSD_IJSA_SA_EEENS0_18inequality_wrapperIZN2at6native12_GLOBAL__N_124unique_dim_cuda_templateIdEESt5tupleIJNSH_6TensorESM_SM_EERKSM_lbbbEUlllE0_EEPmJS6_EEE10hipError_tPvRmT3_T4_T5_T6_T7_T9_mT8_P12ihipStream_tbDpT10_ENKUlT_T0_E_clISt17integral_constantIbLb0EES1B_IbLb1EEEEDaS17_S18_EUlS17_E_NS1_11comp_targetILNS1_3genE2ELNS1_11target_archE906ELNS1_3gpuE6ELNS1_3repE0EEENS1_30default_config_static_selectorELNS0_4arch9wavefront6targetE1EEEvT1_,@function
_ZN7rocprim17ROCPRIM_400000_NS6detail17trampoline_kernelINS0_14default_configENS1_25partition_config_selectorILNS1_17partition_subalgoE8ElNS0_10empty_typeEbEEZZNS1_14partition_implILS5_8ELb0ES3_jPlPS6_PKS6_NS0_5tupleIJS9_S6_EEENSD_IJSA_SA_EEENS0_18inequality_wrapperIZN2at6native12_GLOBAL__N_124unique_dim_cuda_templateIdEESt5tupleIJNSH_6TensorESM_SM_EERKSM_lbbbEUlllE0_EEPmJS6_EEE10hipError_tPvRmT3_T4_T5_T6_T7_T9_mT8_P12ihipStream_tbDpT10_ENKUlT_T0_E_clISt17integral_constantIbLb0EES1B_IbLb1EEEEDaS17_S18_EUlS17_E_NS1_11comp_targetILNS1_3genE2ELNS1_11target_archE906ELNS1_3gpuE6ELNS1_3repE0EEENS1_30default_config_static_selectorELNS0_4arch9wavefront6targetE1EEEvT1_: ; @_ZN7rocprim17ROCPRIM_400000_NS6detail17trampoline_kernelINS0_14default_configENS1_25partition_config_selectorILNS1_17partition_subalgoE8ElNS0_10empty_typeEbEEZZNS1_14partition_implILS5_8ELb0ES3_jPlPS6_PKS6_NS0_5tupleIJS9_S6_EEENSD_IJSA_SA_EEENS0_18inequality_wrapperIZN2at6native12_GLOBAL__N_124unique_dim_cuda_templateIdEESt5tupleIJNSH_6TensorESM_SM_EERKSM_lbbbEUlllE0_EEPmJS6_EEE10hipError_tPvRmT3_T4_T5_T6_T7_T9_mT8_P12ihipStream_tbDpT10_ENKUlT_T0_E_clISt17integral_constantIbLb0EES1B_IbLb1EEEEDaS17_S18_EUlS17_E_NS1_11comp_targetILNS1_3genE2ELNS1_11target_archE906ELNS1_3gpuE6ELNS1_3repE0EEENS1_30default_config_static_selectorELNS0_4arch9wavefront6targetE1EEEvT1_
; %bb.0:
	.section	.rodata,"a",@progbits
	.p2align	6, 0x0
	.amdhsa_kernel _ZN7rocprim17ROCPRIM_400000_NS6detail17trampoline_kernelINS0_14default_configENS1_25partition_config_selectorILNS1_17partition_subalgoE8ElNS0_10empty_typeEbEEZZNS1_14partition_implILS5_8ELb0ES3_jPlPS6_PKS6_NS0_5tupleIJS9_S6_EEENSD_IJSA_SA_EEENS0_18inequality_wrapperIZN2at6native12_GLOBAL__N_124unique_dim_cuda_templateIdEESt5tupleIJNSH_6TensorESM_SM_EERKSM_lbbbEUlllE0_EEPmJS6_EEE10hipError_tPvRmT3_T4_T5_T6_T7_T9_mT8_P12ihipStream_tbDpT10_ENKUlT_T0_E_clISt17integral_constantIbLb0EES1B_IbLb1EEEEDaS17_S18_EUlS17_E_NS1_11comp_targetILNS1_3genE2ELNS1_11target_archE906ELNS1_3gpuE6ELNS1_3repE0EEENS1_30default_config_static_selectorELNS0_4arch9wavefront6targetE1EEEvT1_
		.amdhsa_group_segment_fixed_size 0
		.amdhsa_private_segment_fixed_size 0
		.amdhsa_kernarg_size 136
		.amdhsa_user_sgpr_count 6
		.amdhsa_user_sgpr_private_segment_buffer 1
		.amdhsa_user_sgpr_dispatch_ptr 0
		.amdhsa_user_sgpr_queue_ptr 0
		.amdhsa_user_sgpr_kernarg_segment_ptr 1
		.amdhsa_user_sgpr_dispatch_id 0
		.amdhsa_user_sgpr_flat_scratch_init 0
		.amdhsa_user_sgpr_kernarg_preload_length 0
		.amdhsa_user_sgpr_kernarg_preload_offset 0
		.amdhsa_user_sgpr_private_segment_size 0
		.amdhsa_uses_dynamic_stack 0
		.amdhsa_system_sgpr_private_segment_wavefront_offset 0
		.amdhsa_system_sgpr_workgroup_id_x 1
		.amdhsa_system_sgpr_workgroup_id_y 0
		.amdhsa_system_sgpr_workgroup_id_z 0
		.amdhsa_system_sgpr_workgroup_info 0
		.amdhsa_system_vgpr_workitem_id 0
		.amdhsa_next_free_vgpr 1
		.amdhsa_next_free_sgpr 0
		.amdhsa_accum_offset 4
		.amdhsa_reserve_vcc 0
		.amdhsa_reserve_flat_scratch 0
		.amdhsa_float_round_mode_32 0
		.amdhsa_float_round_mode_16_64 0
		.amdhsa_float_denorm_mode_32 3
		.amdhsa_float_denorm_mode_16_64 3
		.amdhsa_dx10_clamp 1
		.amdhsa_ieee_mode 1
		.amdhsa_fp16_overflow 0
		.amdhsa_tg_split 0
		.amdhsa_exception_fp_ieee_invalid_op 0
		.amdhsa_exception_fp_denorm_src 0
		.amdhsa_exception_fp_ieee_div_zero 0
		.amdhsa_exception_fp_ieee_overflow 0
		.amdhsa_exception_fp_ieee_underflow 0
		.amdhsa_exception_fp_ieee_inexact 0
		.amdhsa_exception_int_div_zero 0
	.end_amdhsa_kernel
	.section	.text._ZN7rocprim17ROCPRIM_400000_NS6detail17trampoline_kernelINS0_14default_configENS1_25partition_config_selectorILNS1_17partition_subalgoE8ElNS0_10empty_typeEbEEZZNS1_14partition_implILS5_8ELb0ES3_jPlPS6_PKS6_NS0_5tupleIJS9_S6_EEENSD_IJSA_SA_EEENS0_18inequality_wrapperIZN2at6native12_GLOBAL__N_124unique_dim_cuda_templateIdEESt5tupleIJNSH_6TensorESM_SM_EERKSM_lbbbEUlllE0_EEPmJS6_EEE10hipError_tPvRmT3_T4_T5_T6_T7_T9_mT8_P12ihipStream_tbDpT10_ENKUlT_T0_E_clISt17integral_constantIbLb0EES1B_IbLb1EEEEDaS17_S18_EUlS17_E_NS1_11comp_targetILNS1_3genE2ELNS1_11target_archE906ELNS1_3gpuE6ELNS1_3repE0EEENS1_30default_config_static_selectorELNS0_4arch9wavefront6targetE1EEEvT1_,"axG",@progbits,_ZN7rocprim17ROCPRIM_400000_NS6detail17trampoline_kernelINS0_14default_configENS1_25partition_config_selectorILNS1_17partition_subalgoE8ElNS0_10empty_typeEbEEZZNS1_14partition_implILS5_8ELb0ES3_jPlPS6_PKS6_NS0_5tupleIJS9_S6_EEENSD_IJSA_SA_EEENS0_18inequality_wrapperIZN2at6native12_GLOBAL__N_124unique_dim_cuda_templateIdEESt5tupleIJNSH_6TensorESM_SM_EERKSM_lbbbEUlllE0_EEPmJS6_EEE10hipError_tPvRmT3_T4_T5_T6_T7_T9_mT8_P12ihipStream_tbDpT10_ENKUlT_T0_E_clISt17integral_constantIbLb0EES1B_IbLb1EEEEDaS17_S18_EUlS17_E_NS1_11comp_targetILNS1_3genE2ELNS1_11target_archE906ELNS1_3gpuE6ELNS1_3repE0EEENS1_30default_config_static_selectorELNS0_4arch9wavefront6targetE1EEEvT1_,comdat
.Lfunc_end835:
	.size	_ZN7rocprim17ROCPRIM_400000_NS6detail17trampoline_kernelINS0_14default_configENS1_25partition_config_selectorILNS1_17partition_subalgoE8ElNS0_10empty_typeEbEEZZNS1_14partition_implILS5_8ELb0ES3_jPlPS6_PKS6_NS0_5tupleIJS9_S6_EEENSD_IJSA_SA_EEENS0_18inequality_wrapperIZN2at6native12_GLOBAL__N_124unique_dim_cuda_templateIdEESt5tupleIJNSH_6TensorESM_SM_EERKSM_lbbbEUlllE0_EEPmJS6_EEE10hipError_tPvRmT3_T4_T5_T6_T7_T9_mT8_P12ihipStream_tbDpT10_ENKUlT_T0_E_clISt17integral_constantIbLb0EES1B_IbLb1EEEEDaS17_S18_EUlS17_E_NS1_11comp_targetILNS1_3genE2ELNS1_11target_archE906ELNS1_3gpuE6ELNS1_3repE0EEENS1_30default_config_static_selectorELNS0_4arch9wavefront6targetE1EEEvT1_, .Lfunc_end835-_ZN7rocprim17ROCPRIM_400000_NS6detail17trampoline_kernelINS0_14default_configENS1_25partition_config_selectorILNS1_17partition_subalgoE8ElNS0_10empty_typeEbEEZZNS1_14partition_implILS5_8ELb0ES3_jPlPS6_PKS6_NS0_5tupleIJS9_S6_EEENSD_IJSA_SA_EEENS0_18inequality_wrapperIZN2at6native12_GLOBAL__N_124unique_dim_cuda_templateIdEESt5tupleIJNSH_6TensorESM_SM_EERKSM_lbbbEUlllE0_EEPmJS6_EEE10hipError_tPvRmT3_T4_T5_T6_T7_T9_mT8_P12ihipStream_tbDpT10_ENKUlT_T0_E_clISt17integral_constantIbLb0EES1B_IbLb1EEEEDaS17_S18_EUlS17_E_NS1_11comp_targetILNS1_3genE2ELNS1_11target_archE906ELNS1_3gpuE6ELNS1_3repE0EEENS1_30default_config_static_selectorELNS0_4arch9wavefront6targetE1EEEvT1_
                                        ; -- End function
	.section	.AMDGPU.csdata,"",@progbits
; Kernel info:
; codeLenInByte = 0
; NumSgprs: 4
; NumVgprs: 0
; NumAgprs: 0
; TotalNumVgprs: 0
; ScratchSize: 0
; MemoryBound: 0
; FloatMode: 240
; IeeeMode: 1
; LDSByteSize: 0 bytes/workgroup (compile time only)
; SGPRBlocks: 0
; VGPRBlocks: 0
; NumSGPRsForWavesPerEU: 4
; NumVGPRsForWavesPerEU: 1
; AccumOffset: 4
; Occupancy: 8
; WaveLimiterHint : 0
; COMPUTE_PGM_RSRC2:SCRATCH_EN: 0
; COMPUTE_PGM_RSRC2:USER_SGPR: 6
; COMPUTE_PGM_RSRC2:TRAP_HANDLER: 0
; COMPUTE_PGM_RSRC2:TGID_X_EN: 1
; COMPUTE_PGM_RSRC2:TGID_Y_EN: 0
; COMPUTE_PGM_RSRC2:TGID_Z_EN: 0
; COMPUTE_PGM_RSRC2:TIDIG_COMP_CNT: 0
; COMPUTE_PGM_RSRC3_GFX90A:ACCUM_OFFSET: 0
; COMPUTE_PGM_RSRC3_GFX90A:TG_SPLIT: 0
	.section	.text._ZN7rocprim17ROCPRIM_400000_NS6detail17trampoline_kernelINS0_14default_configENS1_25partition_config_selectorILNS1_17partition_subalgoE8ElNS0_10empty_typeEbEEZZNS1_14partition_implILS5_8ELb0ES3_jPlPS6_PKS6_NS0_5tupleIJS9_S6_EEENSD_IJSA_SA_EEENS0_18inequality_wrapperIZN2at6native12_GLOBAL__N_124unique_dim_cuda_templateIdEESt5tupleIJNSH_6TensorESM_SM_EERKSM_lbbbEUlllE0_EEPmJS6_EEE10hipError_tPvRmT3_T4_T5_T6_T7_T9_mT8_P12ihipStream_tbDpT10_ENKUlT_T0_E_clISt17integral_constantIbLb0EES1B_IbLb1EEEEDaS17_S18_EUlS17_E_NS1_11comp_targetILNS1_3genE10ELNS1_11target_archE1200ELNS1_3gpuE4ELNS1_3repE0EEENS1_30default_config_static_selectorELNS0_4arch9wavefront6targetE1EEEvT1_,"axG",@progbits,_ZN7rocprim17ROCPRIM_400000_NS6detail17trampoline_kernelINS0_14default_configENS1_25partition_config_selectorILNS1_17partition_subalgoE8ElNS0_10empty_typeEbEEZZNS1_14partition_implILS5_8ELb0ES3_jPlPS6_PKS6_NS0_5tupleIJS9_S6_EEENSD_IJSA_SA_EEENS0_18inequality_wrapperIZN2at6native12_GLOBAL__N_124unique_dim_cuda_templateIdEESt5tupleIJNSH_6TensorESM_SM_EERKSM_lbbbEUlllE0_EEPmJS6_EEE10hipError_tPvRmT3_T4_T5_T6_T7_T9_mT8_P12ihipStream_tbDpT10_ENKUlT_T0_E_clISt17integral_constantIbLb0EES1B_IbLb1EEEEDaS17_S18_EUlS17_E_NS1_11comp_targetILNS1_3genE10ELNS1_11target_archE1200ELNS1_3gpuE4ELNS1_3repE0EEENS1_30default_config_static_selectorELNS0_4arch9wavefront6targetE1EEEvT1_,comdat
	.globl	_ZN7rocprim17ROCPRIM_400000_NS6detail17trampoline_kernelINS0_14default_configENS1_25partition_config_selectorILNS1_17partition_subalgoE8ElNS0_10empty_typeEbEEZZNS1_14partition_implILS5_8ELb0ES3_jPlPS6_PKS6_NS0_5tupleIJS9_S6_EEENSD_IJSA_SA_EEENS0_18inequality_wrapperIZN2at6native12_GLOBAL__N_124unique_dim_cuda_templateIdEESt5tupleIJNSH_6TensorESM_SM_EERKSM_lbbbEUlllE0_EEPmJS6_EEE10hipError_tPvRmT3_T4_T5_T6_T7_T9_mT8_P12ihipStream_tbDpT10_ENKUlT_T0_E_clISt17integral_constantIbLb0EES1B_IbLb1EEEEDaS17_S18_EUlS17_E_NS1_11comp_targetILNS1_3genE10ELNS1_11target_archE1200ELNS1_3gpuE4ELNS1_3repE0EEENS1_30default_config_static_selectorELNS0_4arch9wavefront6targetE1EEEvT1_ ; -- Begin function _ZN7rocprim17ROCPRIM_400000_NS6detail17trampoline_kernelINS0_14default_configENS1_25partition_config_selectorILNS1_17partition_subalgoE8ElNS0_10empty_typeEbEEZZNS1_14partition_implILS5_8ELb0ES3_jPlPS6_PKS6_NS0_5tupleIJS9_S6_EEENSD_IJSA_SA_EEENS0_18inequality_wrapperIZN2at6native12_GLOBAL__N_124unique_dim_cuda_templateIdEESt5tupleIJNSH_6TensorESM_SM_EERKSM_lbbbEUlllE0_EEPmJS6_EEE10hipError_tPvRmT3_T4_T5_T6_T7_T9_mT8_P12ihipStream_tbDpT10_ENKUlT_T0_E_clISt17integral_constantIbLb0EES1B_IbLb1EEEEDaS17_S18_EUlS17_E_NS1_11comp_targetILNS1_3genE10ELNS1_11target_archE1200ELNS1_3gpuE4ELNS1_3repE0EEENS1_30default_config_static_selectorELNS0_4arch9wavefront6targetE1EEEvT1_
	.p2align	8
	.type	_ZN7rocprim17ROCPRIM_400000_NS6detail17trampoline_kernelINS0_14default_configENS1_25partition_config_selectorILNS1_17partition_subalgoE8ElNS0_10empty_typeEbEEZZNS1_14partition_implILS5_8ELb0ES3_jPlPS6_PKS6_NS0_5tupleIJS9_S6_EEENSD_IJSA_SA_EEENS0_18inequality_wrapperIZN2at6native12_GLOBAL__N_124unique_dim_cuda_templateIdEESt5tupleIJNSH_6TensorESM_SM_EERKSM_lbbbEUlllE0_EEPmJS6_EEE10hipError_tPvRmT3_T4_T5_T6_T7_T9_mT8_P12ihipStream_tbDpT10_ENKUlT_T0_E_clISt17integral_constantIbLb0EES1B_IbLb1EEEEDaS17_S18_EUlS17_E_NS1_11comp_targetILNS1_3genE10ELNS1_11target_archE1200ELNS1_3gpuE4ELNS1_3repE0EEENS1_30default_config_static_selectorELNS0_4arch9wavefront6targetE1EEEvT1_,@function
_ZN7rocprim17ROCPRIM_400000_NS6detail17trampoline_kernelINS0_14default_configENS1_25partition_config_selectorILNS1_17partition_subalgoE8ElNS0_10empty_typeEbEEZZNS1_14partition_implILS5_8ELb0ES3_jPlPS6_PKS6_NS0_5tupleIJS9_S6_EEENSD_IJSA_SA_EEENS0_18inequality_wrapperIZN2at6native12_GLOBAL__N_124unique_dim_cuda_templateIdEESt5tupleIJNSH_6TensorESM_SM_EERKSM_lbbbEUlllE0_EEPmJS6_EEE10hipError_tPvRmT3_T4_T5_T6_T7_T9_mT8_P12ihipStream_tbDpT10_ENKUlT_T0_E_clISt17integral_constantIbLb0EES1B_IbLb1EEEEDaS17_S18_EUlS17_E_NS1_11comp_targetILNS1_3genE10ELNS1_11target_archE1200ELNS1_3gpuE4ELNS1_3repE0EEENS1_30default_config_static_selectorELNS0_4arch9wavefront6targetE1EEEvT1_: ; @_ZN7rocprim17ROCPRIM_400000_NS6detail17trampoline_kernelINS0_14default_configENS1_25partition_config_selectorILNS1_17partition_subalgoE8ElNS0_10empty_typeEbEEZZNS1_14partition_implILS5_8ELb0ES3_jPlPS6_PKS6_NS0_5tupleIJS9_S6_EEENSD_IJSA_SA_EEENS0_18inequality_wrapperIZN2at6native12_GLOBAL__N_124unique_dim_cuda_templateIdEESt5tupleIJNSH_6TensorESM_SM_EERKSM_lbbbEUlllE0_EEPmJS6_EEE10hipError_tPvRmT3_T4_T5_T6_T7_T9_mT8_P12ihipStream_tbDpT10_ENKUlT_T0_E_clISt17integral_constantIbLb0EES1B_IbLb1EEEEDaS17_S18_EUlS17_E_NS1_11comp_targetILNS1_3genE10ELNS1_11target_archE1200ELNS1_3gpuE4ELNS1_3repE0EEENS1_30default_config_static_selectorELNS0_4arch9wavefront6targetE1EEEvT1_
; %bb.0:
	.section	.rodata,"a",@progbits
	.p2align	6, 0x0
	.amdhsa_kernel _ZN7rocprim17ROCPRIM_400000_NS6detail17trampoline_kernelINS0_14default_configENS1_25partition_config_selectorILNS1_17partition_subalgoE8ElNS0_10empty_typeEbEEZZNS1_14partition_implILS5_8ELb0ES3_jPlPS6_PKS6_NS0_5tupleIJS9_S6_EEENSD_IJSA_SA_EEENS0_18inequality_wrapperIZN2at6native12_GLOBAL__N_124unique_dim_cuda_templateIdEESt5tupleIJNSH_6TensorESM_SM_EERKSM_lbbbEUlllE0_EEPmJS6_EEE10hipError_tPvRmT3_T4_T5_T6_T7_T9_mT8_P12ihipStream_tbDpT10_ENKUlT_T0_E_clISt17integral_constantIbLb0EES1B_IbLb1EEEEDaS17_S18_EUlS17_E_NS1_11comp_targetILNS1_3genE10ELNS1_11target_archE1200ELNS1_3gpuE4ELNS1_3repE0EEENS1_30default_config_static_selectorELNS0_4arch9wavefront6targetE1EEEvT1_
		.amdhsa_group_segment_fixed_size 0
		.amdhsa_private_segment_fixed_size 0
		.amdhsa_kernarg_size 136
		.amdhsa_user_sgpr_count 6
		.amdhsa_user_sgpr_private_segment_buffer 1
		.amdhsa_user_sgpr_dispatch_ptr 0
		.amdhsa_user_sgpr_queue_ptr 0
		.amdhsa_user_sgpr_kernarg_segment_ptr 1
		.amdhsa_user_sgpr_dispatch_id 0
		.amdhsa_user_sgpr_flat_scratch_init 0
		.amdhsa_user_sgpr_kernarg_preload_length 0
		.amdhsa_user_sgpr_kernarg_preload_offset 0
		.amdhsa_user_sgpr_private_segment_size 0
		.amdhsa_uses_dynamic_stack 0
		.amdhsa_system_sgpr_private_segment_wavefront_offset 0
		.amdhsa_system_sgpr_workgroup_id_x 1
		.amdhsa_system_sgpr_workgroup_id_y 0
		.amdhsa_system_sgpr_workgroup_id_z 0
		.amdhsa_system_sgpr_workgroup_info 0
		.amdhsa_system_vgpr_workitem_id 0
		.amdhsa_next_free_vgpr 1
		.amdhsa_next_free_sgpr 0
		.amdhsa_accum_offset 4
		.amdhsa_reserve_vcc 0
		.amdhsa_reserve_flat_scratch 0
		.amdhsa_float_round_mode_32 0
		.amdhsa_float_round_mode_16_64 0
		.amdhsa_float_denorm_mode_32 3
		.amdhsa_float_denorm_mode_16_64 3
		.amdhsa_dx10_clamp 1
		.amdhsa_ieee_mode 1
		.amdhsa_fp16_overflow 0
		.amdhsa_tg_split 0
		.amdhsa_exception_fp_ieee_invalid_op 0
		.amdhsa_exception_fp_denorm_src 0
		.amdhsa_exception_fp_ieee_div_zero 0
		.amdhsa_exception_fp_ieee_overflow 0
		.amdhsa_exception_fp_ieee_underflow 0
		.amdhsa_exception_fp_ieee_inexact 0
		.amdhsa_exception_int_div_zero 0
	.end_amdhsa_kernel
	.section	.text._ZN7rocprim17ROCPRIM_400000_NS6detail17trampoline_kernelINS0_14default_configENS1_25partition_config_selectorILNS1_17partition_subalgoE8ElNS0_10empty_typeEbEEZZNS1_14partition_implILS5_8ELb0ES3_jPlPS6_PKS6_NS0_5tupleIJS9_S6_EEENSD_IJSA_SA_EEENS0_18inequality_wrapperIZN2at6native12_GLOBAL__N_124unique_dim_cuda_templateIdEESt5tupleIJNSH_6TensorESM_SM_EERKSM_lbbbEUlllE0_EEPmJS6_EEE10hipError_tPvRmT3_T4_T5_T6_T7_T9_mT8_P12ihipStream_tbDpT10_ENKUlT_T0_E_clISt17integral_constantIbLb0EES1B_IbLb1EEEEDaS17_S18_EUlS17_E_NS1_11comp_targetILNS1_3genE10ELNS1_11target_archE1200ELNS1_3gpuE4ELNS1_3repE0EEENS1_30default_config_static_selectorELNS0_4arch9wavefront6targetE1EEEvT1_,"axG",@progbits,_ZN7rocprim17ROCPRIM_400000_NS6detail17trampoline_kernelINS0_14default_configENS1_25partition_config_selectorILNS1_17partition_subalgoE8ElNS0_10empty_typeEbEEZZNS1_14partition_implILS5_8ELb0ES3_jPlPS6_PKS6_NS0_5tupleIJS9_S6_EEENSD_IJSA_SA_EEENS0_18inequality_wrapperIZN2at6native12_GLOBAL__N_124unique_dim_cuda_templateIdEESt5tupleIJNSH_6TensorESM_SM_EERKSM_lbbbEUlllE0_EEPmJS6_EEE10hipError_tPvRmT3_T4_T5_T6_T7_T9_mT8_P12ihipStream_tbDpT10_ENKUlT_T0_E_clISt17integral_constantIbLb0EES1B_IbLb1EEEEDaS17_S18_EUlS17_E_NS1_11comp_targetILNS1_3genE10ELNS1_11target_archE1200ELNS1_3gpuE4ELNS1_3repE0EEENS1_30default_config_static_selectorELNS0_4arch9wavefront6targetE1EEEvT1_,comdat
.Lfunc_end836:
	.size	_ZN7rocprim17ROCPRIM_400000_NS6detail17trampoline_kernelINS0_14default_configENS1_25partition_config_selectorILNS1_17partition_subalgoE8ElNS0_10empty_typeEbEEZZNS1_14partition_implILS5_8ELb0ES3_jPlPS6_PKS6_NS0_5tupleIJS9_S6_EEENSD_IJSA_SA_EEENS0_18inequality_wrapperIZN2at6native12_GLOBAL__N_124unique_dim_cuda_templateIdEESt5tupleIJNSH_6TensorESM_SM_EERKSM_lbbbEUlllE0_EEPmJS6_EEE10hipError_tPvRmT3_T4_T5_T6_T7_T9_mT8_P12ihipStream_tbDpT10_ENKUlT_T0_E_clISt17integral_constantIbLb0EES1B_IbLb1EEEEDaS17_S18_EUlS17_E_NS1_11comp_targetILNS1_3genE10ELNS1_11target_archE1200ELNS1_3gpuE4ELNS1_3repE0EEENS1_30default_config_static_selectorELNS0_4arch9wavefront6targetE1EEEvT1_, .Lfunc_end836-_ZN7rocprim17ROCPRIM_400000_NS6detail17trampoline_kernelINS0_14default_configENS1_25partition_config_selectorILNS1_17partition_subalgoE8ElNS0_10empty_typeEbEEZZNS1_14partition_implILS5_8ELb0ES3_jPlPS6_PKS6_NS0_5tupleIJS9_S6_EEENSD_IJSA_SA_EEENS0_18inequality_wrapperIZN2at6native12_GLOBAL__N_124unique_dim_cuda_templateIdEESt5tupleIJNSH_6TensorESM_SM_EERKSM_lbbbEUlllE0_EEPmJS6_EEE10hipError_tPvRmT3_T4_T5_T6_T7_T9_mT8_P12ihipStream_tbDpT10_ENKUlT_T0_E_clISt17integral_constantIbLb0EES1B_IbLb1EEEEDaS17_S18_EUlS17_E_NS1_11comp_targetILNS1_3genE10ELNS1_11target_archE1200ELNS1_3gpuE4ELNS1_3repE0EEENS1_30default_config_static_selectorELNS0_4arch9wavefront6targetE1EEEvT1_
                                        ; -- End function
	.section	.AMDGPU.csdata,"",@progbits
; Kernel info:
; codeLenInByte = 0
; NumSgprs: 4
; NumVgprs: 0
; NumAgprs: 0
; TotalNumVgprs: 0
; ScratchSize: 0
; MemoryBound: 0
; FloatMode: 240
; IeeeMode: 1
; LDSByteSize: 0 bytes/workgroup (compile time only)
; SGPRBlocks: 0
; VGPRBlocks: 0
; NumSGPRsForWavesPerEU: 4
; NumVGPRsForWavesPerEU: 1
; AccumOffset: 4
; Occupancy: 8
; WaveLimiterHint : 0
; COMPUTE_PGM_RSRC2:SCRATCH_EN: 0
; COMPUTE_PGM_RSRC2:USER_SGPR: 6
; COMPUTE_PGM_RSRC2:TRAP_HANDLER: 0
; COMPUTE_PGM_RSRC2:TGID_X_EN: 1
; COMPUTE_PGM_RSRC2:TGID_Y_EN: 0
; COMPUTE_PGM_RSRC2:TGID_Z_EN: 0
; COMPUTE_PGM_RSRC2:TIDIG_COMP_CNT: 0
; COMPUTE_PGM_RSRC3_GFX90A:ACCUM_OFFSET: 0
; COMPUTE_PGM_RSRC3_GFX90A:TG_SPLIT: 0
	.section	.text._ZN7rocprim17ROCPRIM_400000_NS6detail17trampoline_kernelINS0_14default_configENS1_25partition_config_selectorILNS1_17partition_subalgoE8ElNS0_10empty_typeEbEEZZNS1_14partition_implILS5_8ELb0ES3_jPlPS6_PKS6_NS0_5tupleIJS9_S6_EEENSD_IJSA_SA_EEENS0_18inequality_wrapperIZN2at6native12_GLOBAL__N_124unique_dim_cuda_templateIdEESt5tupleIJNSH_6TensorESM_SM_EERKSM_lbbbEUlllE0_EEPmJS6_EEE10hipError_tPvRmT3_T4_T5_T6_T7_T9_mT8_P12ihipStream_tbDpT10_ENKUlT_T0_E_clISt17integral_constantIbLb0EES1B_IbLb1EEEEDaS17_S18_EUlS17_E_NS1_11comp_targetILNS1_3genE9ELNS1_11target_archE1100ELNS1_3gpuE3ELNS1_3repE0EEENS1_30default_config_static_selectorELNS0_4arch9wavefront6targetE1EEEvT1_,"axG",@progbits,_ZN7rocprim17ROCPRIM_400000_NS6detail17trampoline_kernelINS0_14default_configENS1_25partition_config_selectorILNS1_17partition_subalgoE8ElNS0_10empty_typeEbEEZZNS1_14partition_implILS5_8ELb0ES3_jPlPS6_PKS6_NS0_5tupleIJS9_S6_EEENSD_IJSA_SA_EEENS0_18inequality_wrapperIZN2at6native12_GLOBAL__N_124unique_dim_cuda_templateIdEESt5tupleIJNSH_6TensorESM_SM_EERKSM_lbbbEUlllE0_EEPmJS6_EEE10hipError_tPvRmT3_T4_T5_T6_T7_T9_mT8_P12ihipStream_tbDpT10_ENKUlT_T0_E_clISt17integral_constantIbLb0EES1B_IbLb1EEEEDaS17_S18_EUlS17_E_NS1_11comp_targetILNS1_3genE9ELNS1_11target_archE1100ELNS1_3gpuE3ELNS1_3repE0EEENS1_30default_config_static_selectorELNS0_4arch9wavefront6targetE1EEEvT1_,comdat
	.globl	_ZN7rocprim17ROCPRIM_400000_NS6detail17trampoline_kernelINS0_14default_configENS1_25partition_config_selectorILNS1_17partition_subalgoE8ElNS0_10empty_typeEbEEZZNS1_14partition_implILS5_8ELb0ES3_jPlPS6_PKS6_NS0_5tupleIJS9_S6_EEENSD_IJSA_SA_EEENS0_18inequality_wrapperIZN2at6native12_GLOBAL__N_124unique_dim_cuda_templateIdEESt5tupleIJNSH_6TensorESM_SM_EERKSM_lbbbEUlllE0_EEPmJS6_EEE10hipError_tPvRmT3_T4_T5_T6_T7_T9_mT8_P12ihipStream_tbDpT10_ENKUlT_T0_E_clISt17integral_constantIbLb0EES1B_IbLb1EEEEDaS17_S18_EUlS17_E_NS1_11comp_targetILNS1_3genE9ELNS1_11target_archE1100ELNS1_3gpuE3ELNS1_3repE0EEENS1_30default_config_static_selectorELNS0_4arch9wavefront6targetE1EEEvT1_ ; -- Begin function _ZN7rocprim17ROCPRIM_400000_NS6detail17trampoline_kernelINS0_14default_configENS1_25partition_config_selectorILNS1_17partition_subalgoE8ElNS0_10empty_typeEbEEZZNS1_14partition_implILS5_8ELb0ES3_jPlPS6_PKS6_NS0_5tupleIJS9_S6_EEENSD_IJSA_SA_EEENS0_18inequality_wrapperIZN2at6native12_GLOBAL__N_124unique_dim_cuda_templateIdEESt5tupleIJNSH_6TensorESM_SM_EERKSM_lbbbEUlllE0_EEPmJS6_EEE10hipError_tPvRmT3_T4_T5_T6_T7_T9_mT8_P12ihipStream_tbDpT10_ENKUlT_T0_E_clISt17integral_constantIbLb0EES1B_IbLb1EEEEDaS17_S18_EUlS17_E_NS1_11comp_targetILNS1_3genE9ELNS1_11target_archE1100ELNS1_3gpuE3ELNS1_3repE0EEENS1_30default_config_static_selectorELNS0_4arch9wavefront6targetE1EEEvT1_
	.p2align	8
	.type	_ZN7rocprim17ROCPRIM_400000_NS6detail17trampoline_kernelINS0_14default_configENS1_25partition_config_selectorILNS1_17partition_subalgoE8ElNS0_10empty_typeEbEEZZNS1_14partition_implILS5_8ELb0ES3_jPlPS6_PKS6_NS0_5tupleIJS9_S6_EEENSD_IJSA_SA_EEENS0_18inequality_wrapperIZN2at6native12_GLOBAL__N_124unique_dim_cuda_templateIdEESt5tupleIJNSH_6TensorESM_SM_EERKSM_lbbbEUlllE0_EEPmJS6_EEE10hipError_tPvRmT3_T4_T5_T6_T7_T9_mT8_P12ihipStream_tbDpT10_ENKUlT_T0_E_clISt17integral_constantIbLb0EES1B_IbLb1EEEEDaS17_S18_EUlS17_E_NS1_11comp_targetILNS1_3genE9ELNS1_11target_archE1100ELNS1_3gpuE3ELNS1_3repE0EEENS1_30default_config_static_selectorELNS0_4arch9wavefront6targetE1EEEvT1_,@function
_ZN7rocprim17ROCPRIM_400000_NS6detail17trampoline_kernelINS0_14default_configENS1_25partition_config_selectorILNS1_17partition_subalgoE8ElNS0_10empty_typeEbEEZZNS1_14partition_implILS5_8ELb0ES3_jPlPS6_PKS6_NS0_5tupleIJS9_S6_EEENSD_IJSA_SA_EEENS0_18inequality_wrapperIZN2at6native12_GLOBAL__N_124unique_dim_cuda_templateIdEESt5tupleIJNSH_6TensorESM_SM_EERKSM_lbbbEUlllE0_EEPmJS6_EEE10hipError_tPvRmT3_T4_T5_T6_T7_T9_mT8_P12ihipStream_tbDpT10_ENKUlT_T0_E_clISt17integral_constantIbLb0EES1B_IbLb1EEEEDaS17_S18_EUlS17_E_NS1_11comp_targetILNS1_3genE9ELNS1_11target_archE1100ELNS1_3gpuE3ELNS1_3repE0EEENS1_30default_config_static_selectorELNS0_4arch9wavefront6targetE1EEEvT1_: ; @_ZN7rocprim17ROCPRIM_400000_NS6detail17trampoline_kernelINS0_14default_configENS1_25partition_config_selectorILNS1_17partition_subalgoE8ElNS0_10empty_typeEbEEZZNS1_14partition_implILS5_8ELb0ES3_jPlPS6_PKS6_NS0_5tupleIJS9_S6_EEENSD_IJSA_SA_EEENS0_18inequality_wrapperIZN2at6native12_GLOBAL__N_124unique_dim_cuda_templateIdEESt5tupleIJNSH_6TensorESM_SM_EERKSM_lbbbEUlllE0_EEPmJS6_EEE10hipError_tPvRmT3_T4_T5_T6_T7_T9_mT8_P12ihipStream_tbDpT10_ENKUlT_T0_E_clISt17integral_constantIbLb0EES1B_IbLb1EEEEDaS17_S18_EUlS17_E_NS1_11comp_targetILNS1_3genE9ELNS1_11target_archE1100ELNS1_3gpuE3ELNS1_3repE0EEENS1_30default_config_static_selectorELNS0_4arch9wavefront6targetE1EEEvT1_
; %bb.0:
	.section	.rodata,"a",@progbits
	.p2align	6, 0x0
	.amdhsa_kernel _ZN7rocprim17ROCPRIM_400000_NS6detail17trampoline_kernelINS0_14default_configENS1_25partition_config_selectorILNS1_17partition_subalgoE8ElNS0_10empty_typeEbEEZZNS1_14partition_implILS5_8ELb0ES3_jPlPS6_PKS6_NS0_5tupleIJS9_S6_EEENSD_IJSA_SA_EEENS0_18inequality_wrapperIZN2at6native12_GLOBAL__N_124unique_dim_cuda_templateIdEESt5tupleIJNSH_6TensorESM_SM_EERKSM_lbbbEUlllE0_EEPmJS6_EEE10hipError_tPvRmT3_T4_T5_T6_T7_T9_mT8_P12ihipStream_tbDpT10_ENKUlT_T0_E_clISt17integral_constantIbLb0EES1B_IbLb1EEEEDaS17_S18_EUlS17_E_NS1_11comp_targetILNS1_3genE9ELNS1_11target_archE1100ELNS1_3gpuE3ELNS1_3repE0EEENS1_30default_config_static_selectorELNS0_4arch9wavefront6targetE1EEEvT1_
		.amdhsa_group_segment_fixed_size 0
		.amdhsa_private_segment_fixed_size 0
		.amdhsa_kernarg_size 136
		.amdhsa_user_sgpr_count 6
		.amdhsa_user_sgpr_private_segment_buffer 1
		.amdhsa_user_sgpr_dispatch_ptr 0
		.amdhsa_user_sgpr_queue_ptr 0
		.amdhsa_user_sgpr_kernarg_segment_ptr 1
		.amdhsa_user_sgpr_dispatch_id 0
		.amdhsa_user_sgpr_flat_scratch_init 0
		.amdhsa_user_sgpr_kernarg_preload_length 0
		.amdhsa_user_sgpr_kernarg_preload_offset 0
		.amdhsa_user_sgpr_private_segment_size 0
		.amdhsa_uses_dynamic_stack 0
		.amdhsa_system_sgpr_private_segment_wavefront_offset 0
		.amdhsa_system_sgpr_workgroup_id_x 1
		.amdhsa_system_sgpr_workgroup_id_y 0
		.amdhsa_system_sgpr_workgroup_id_z 0
		.amdhsa_system_sgpr_workgroup_info 0
		.amdhsa_system_vgpr_workitem_id 0
		.amdhsa_next_free_vgpr 1
		.amdhsa_next_free_sgpr 0
		.amdhsa_accum_offset 4
		.amdhsa_reserve_vcc 0
		.amdhsa_reserve_flat_scratch 0
		.amdhsa_float_round_mode_32 0
		.amdhsa_float_round_mode_16_64 0
		.amdhsa_float_denorm_mode_32 3
		.amdhsa_float_denorm_mode_16_64 3
		.amdhsa_dx10_clamp 1
		.amdhsa_ieee_mode 1
		.amdhsa_fp16_overflow 0
		.amdhsa_tg_split 0
		.amdhsa_exception_fp_ieee_invalid_op 0
		.amdhsa_exception_fp_denorm_src 0
		.amdhsa_exception_fp_ieee_div_zero 0
		.amdhsa_exception_fp_ieee_overflow 0
		.amdhsa_exception_fp_ieee_underflow 0
		.amdhsa_exception_fp_ieee_inexact 0
		.amdhsa_exception_int_div_zero 0
	.end_amdhsa_kernel
	.section	.text._ZN7rocprim17ROCPRIM_400000_NS6detail17trampoline_kernelINS0_14default_configENS1_25partition_config_selectorILNS1_17partition_subalgoE8ElNS0_10empty_typeEbEEZZNS1_14partition_implILS5_8ELb0ES3_jPlPS6_PKS6_NS0_5tupleIJS9_S6_EEENSD_IJSA_SA_EEENS0_18inequality_wrapperIZN2at6native12_GLOBAL__N_124unique_dim_cuda_templateIdEESt5tupleIJNSH_6TensorESM_SM_EERKSM_lbbbEUlllE0_EEPmJS6_EEE10hipError_tPvRmT3_T4_T5_T6_T7_T9_mT8_P12ihipStream_tbDpT10_ENKUlT_T0_E_clISt17integral_constantIbLb0EES1B_IbLb1EEEEDaS17_S18_EUlS17_E_NS1_11comp_targetILNS1_3genE9ELNS1_11target_archE1100ELNS1_3gpuE3ELNS1_3repE0EEENS1_30default_config_static_selectorELNS0_4arch9wavefront6targetE1EEEvT1_,"axG",@progbits,_ZN7rocprim17ROCPRIM_400000_NS6detail17trampoline_kernelINS0_14default_configENS1_25partition_config_selectorILNS1_17partition_subalgoE8ElNS0_10empty_typeEbEEZZNS1_14partition_implILS5_8ELb0ES3_jPlPS6_PKS6_NS0_5tupleIJS9_S6_EEENSD_IJSA_SA_EEENS0_18inequality_wrapperIZN2at6native12_GLOBAL__N_124unique_dim_cuda_templateIdEESt5tupleIJNSH_6TensorESM_SM_EERKSM_lbbbEUlllE0_EEPmJS6_EEE10hipError_tPvRmT3_T4_T5_T6_T7_T9_mT8_P12ihipStream_tbDpT10_ENKUlT_T0_E_clISt17integral_constantIbLb0EES1B_IbLb1EEEEDaS17_S18_EUlS17_E_NS1_11comp_targetILNS1_3genE9ELNS1_11target_archE1100ELNS1_3gpuE3ELNS1_3repE0EEENS1_30default_config_static_selectorELNS0_4arch9wavefront6targetE1EEEvT1_,comdat
.Lfunc_end837:
	.size	_ZN7rocprim17ROCPRIM_400000_NS6detail17trampoline_kernelINS0_14default_configENS1_25partition_config_selectorILNS1_17partition_subalgoE8ElNS0_10empty_typeEbEEZZNS1_14partition_implILS5_8ELb0ES3_jPlPS6_PKS6_NS0_5tupleIJS9_S6_EEENSD_IJSA_SA_EEENS0_18inequality_wrapperIZN2at6native12_GLOBAL__N_124unique_dim_cuda_templateIdEESt5tupleIJNSH_6TensorESM_SM_EERKSM_lbbbEUlllE0_EEPmJS6_EEE10hipError_tPvRmT3_T4_T5_T6_T7_T9_mT8_P12ihipStream_tbDpT10_ENKUlT_T0_E_clISt17integral_constantIbLb0EES1B_IbLb1EEEEDaS17_S18_EUlS17_E_NS1_11comp_targetILNS1_3genE9ELNS1_11target_archE1100ELNS1_3gpuE3ELNS1_3repE0EEENS1_30default_config_static_selectorELNS0_4arch9wavefront6targetE1EEEvT1_, .Lfunc_end837-_ZN7rocprim17ROCPRIM_400000_NS6detail17trampoline_kernelINS0_14default_configENS1_25partition_config_selectorILNS1_17partition_subalgoE8ElNS0_10empty_typeEbEEZZNS1_14partition_implILS5_8ELb0ES3_jPlPS6_PKS6_NS0_5tupleIJS9_S6_EEENSD_IJSA_SA_EEENS0_18inequality_wrapperIZN2at6native12_GLOBAL__N_124unique_dim_cuda_templateIdEESt5tupleIJNSH_6TensorESM_SM_EERKSM_lbbbEUlllE0_EEPmJS6_EEE10hipError_tPvRmT3_T4_T5_T6_T7_T9_mT8_P12ihipStream_tbDpT10_ENKUlT_T0_E_clISt17integral_constantIbLb0EES1B_IbLb1EEEEDaS17_S18_EUlS17_E_NS1_11comp_targetILNS1_3genE9ELNS1_11target_archE1100ELNS1_3gpuE3ELNS1_3repE0EEENS1_30default_config_static_selectorELNS0_4arch9wavefront6targetE1EEEvT1_
                                        ; -- End function
	.section	.AMDGPU.csdata,"",@progbits
; Kernel info:
; codeLenInByte = 0
; NumSgprs: 4
; NumVgprs: 0
; NumAgprs: 0
; TotalNumVgprs: 0
; ScratchSize: 0
; MemoryBound: 0
; FloatMode: 240
; IeeeMode: 1
; LDSByteSize: 0 bytes/workgroup (compile time only)
; SGPRBlocks: 0
; VGPRBlocks: 0
; NumSGPRsForWavesPerEU: 4
; NumVGPRsForWavesPerEU: 1
; AccumOffset: 4
; Occupancy: 8
; WaveLimiterHint : 0
; COMPUTE_PGM_RSRC2:SCRATCH_EN: 0
; COMPUTE_PGM_RSRC2:USER_SGPR: 6
; COMPUTE_PGM_RSRC2:TRAP_HANDLER: 0
; COMPUTE_PGM_RSRC2:TGID_X_EN: 1
; COMPUTE_PGM_RSRC2:TGID_Y_EN: 0
; COMPUTE_PGM_RSRC2:TGID_Z_EN: 0
; COMPUTE_PGM_RSRC2:TIDIG_COMP_CNT: 0
; COMPUTE_PGM_RSRC3_GFX90A:ACCUM_OFFSET: 0
; COMPUTE_PGM_RSRC3_GFX90A:TG_SPLIT: 0
	.section	.text._ZN7rocprim17ROCPRIM_400000_NS6detail17trampoline_kernelINS0_14default_configENS1_25partition_config_selectorILNS1_17partition_subalgoE8ElNS0_10empty_typeEbEEZZNS1_14partition_implILS5_8ELb0ES3_jPlPS6_PKS6_NS0_5tupleIJS9_S6_EEENSD_IJSA_SA_EEENS0_18inequality_wrapperIZN2at6native12_GLOBAL__N_124unique_dim_cuda_templateIdEESt5tupleIJNSH_6TensorESM_SM_EERKSM_lbbbEUlllE0_EEPmJS6_EEE10hipError_tPvRmT3_T4_T5_T6_T7_T9_mT8_P12ihipStream_tbDpT10_ENKUlT_T0_E_clISt17integral_constantIbLb0EES1B_IbLb1EEEEDaS17_S18_EUlS17_E_NS1_11comp_targetILNS1_3genE8ELNS1_11target_archE1030ELNS1_3gpuE2ELNS1_3repE0EEENS1_30default_config_static_selectorELNS0_4arch9wavefront6targetE1EEEvT1_,"axG",@progbits,_ZN7rocprim17ROCPRIM_400000_NS6detail17trampoline_kernelINS0_14default_configENS1_25partition_config_selectorILNS1_17partition_subalgoE8ElNS0_10empty_typeEbEEZZNS1_14partition_implILS5_8ELb0ES3_jPlPS6_PKS6_NS0_5tupleIJS9_S6_EEENSD_IJSA_SA_EEENS0_18inequality_wrapperIZN2at6native12_GLOBAL__N_124unique_dim_cuda_templateIdEESt5tupleIJNSH_6TensorESM_SM_EERKSM_lbbbEUlllE0_EEPmJS6_EEE10hipError_tPvRmT3_T4_T5_T6_T7_T9_mT8_P12ihipStream_tbDpT10_ENKUlT_T0_E_clISt17integral_constantIbLb0EES1B_IbLb1EEEEDaS17_S18_EUlS17_E_NS1_11comp_targetILNS1_3genE8ELNS1_11target_archE1030ELNS1_3gpuE2ELNS1_3repE0EEENS1_30default_config_static_selectorELNS0_4arch9wavefront6targetE1EEEvT1_,comdat
	.globl	_ZN7rocprim17ROCPRIM_400000_NS6detail17trampoline_kernelINS0_14default_configENS1_25partition_config_selectorILNS1_17partition_subalgoE8ElNS0_10empty_typeEbEEZZNS1_14partition_implILS5_8ELb0ES3_jPlPS6_PKS6_NS0_5tupleIJS9_S6_EEENSD_IJSA_SA_EEENS0_18inequality_wrapperIZN2at6native12_GLOBAL__N_124unique_dim_cuda_templateIdEESt5tupleIJNSH_6TensorESM_SM_EERKSM_lbbbEUlllE0_EEPmJS6_EEE10hipError_tPvRmT3_T4_T5_T6_T7_T9_mT8_P12ihipStream_tbDpT10_ENKUlT_T0_E_clISt17integral_constantIbLb0EES1B_IbLb1EEEEDaS17_S18_EUlS17_E_NS1_11comp_targetILNS1_3genE8ELNS1_11target_archE1030ELNS1_3gpuE2ELNS1_3repE0EEENS1_30default_config_static_selectorELNS0_4arch9wavefront6targetE1EEEvT1_ ; -- Begin function _ZN7rocprim17ROCPRIM_400000_NS6detail17trampoline_kernelINS0_14default_configENS1_25partition_config_selectorILNS1_17partition_subalgoE8ElNS0_10empty_typeEbEEZZNS1_14partition_implILS5_8ELb0ES3_jPlPS6_PKS6_NS0_5tupleIJS9_S6_EEENSD_IJSA_SA_EEENS0_18inequality_wrapperIZN2at6native12_GLOBAL__N_124unique_dim_cuda_templateIdEESt5tupleIJNSH_6TensorESM_SM_EERKSM_lbbbEUlllE0_EEPmJS6_EEE10hipError_tPvRmT3_T4_T5_T6_T7_T9_mT8_P12ihipStream_tbDpT10_ENKUlT_T0_E_clISt17integral_constantIbLb0EES1B_IbLb1EEEEDaS17_S18_EUlS17_E_NS1_11comp_targetILNS1_3genE8ELNS1_11target_archE1030ELNS1_3gpuE2ELNS1_3repE0EEENS1_30default_config_static_selectorELNS0_4arch9wavefront6targetE1EEEvT1_
	.p2align	8
	.type	_ZN7rocprim17ROCPRIM_400000_NS6detail17trampoline_kernelINS0_14default_configENS1_25partition_config_selectorILNS1_17partition_subalgoE8ElNS0_10empty_typeEbEEZZNS1_14partition_implILS5_8ELb0ES3_jPlPS6_PKS6_NS0_5tupleIJS9_S6_EEENSD_IJSA_SA_EEENS0_18inequality_wrapperIZN2at6native12_GLOBAL__N_124unique_dim_cuda_templateIdEESt5tupleIJNSH_6TensorESM_SM_EERKSM_lbbbEUlllE0_EEPmJS6_EEE10hipError_tPvRmT3_T4_T5_T6_T7_T9_mT8_P12ihipStream_tbDpT10_ENKUlT_T0_E_clISt17integral_constantIbLb0EES1B_IbLb1EEEEDaS17_S18_EUlS17_E_NS1_11comp_targetILNS1_3genE8ELNS1_11target_archE1030ELNS1_3gpuE2ELNS1_3repE0EEENS1_30default_config_static_selectorELNS0_4arch9wavefront6targetE1EEEvT1_,@function
_ZN7rocprim17ROCPRIM_400000_NS6detail17trampoline_kernelINS0_14default_configENS1_25partition_config_selectorILNS1_17partition_subalgoE8ElNS0_10empty_typeEbEEZZNS1_14partition_implILS5_8ELb0ES3_jPlPS6_PKS6_NS0_5tupleIJS9_S6_EEENSD_IJSA_SA_EEENS0_18inequality_wrapperIZN2at6native12_GLOBAL__N_124unique_dim_cuda_templateIdEESt5tupleIJNSH_6TensorESM_SM_EERKSM_lbbbEUlllE0_EEPmJS6_EEE10hipError_tPvRmT3_T4_T5_T6_T7_T9_mT8_P12ihipStream_tbDpT10_ENKUlT_T0_E_clISt17integral_constantIbLb0EES1B_IbLb1EEEEDaS17_S18_EUlS17_E_NS1_11comp_targetILNS1_3genE8ELNS1_11target_archE1030ELNS1_3gpuE2ELNS1_3repE0EEENS1_30default_config_static_selectorELNS0_4arch9wavefront6targetE1EEEvT1_: ; @_ZN7rocprim17ROCPRIM_400000_NS6detail17trampoline_kernelINS0_14default_configENS1_25partition_config_selectorILNS1_17partition_subalgoE8ElNS0_10empty_typeEbEEZZNS1_14partition_implILS5_8ELb0ES3_jPlPS6_PKS6_NS0_5tupleIJS9_S6_EEENSD_IJSA_SA_EEENS0_18inequality_wrapperIZN2at6native12_GLOBAL__N_124unique_dim_cuda_templateIdEESt5tupleIJNSH_6TensorESM_SM_EERKSM_lbbbEUlllE0_EEPmJS6_EEE10hipError_tPvRmT3_T4_T5_T6_T7_T9_mT8_P12ihipStream_tbDpT10_ENKUlT_T0_E_clISt17integral_constantIbLb0EES1B_IbLb1EEEEDaS17_S18_EUlS17_E_NS1_11comp_targetILNS1_3genE8ELNS1_11target_archE1030ELNS1_3gpuE2ELNS1_3repE0EEENS1_30default_config_static_selectorELNS0_4arch9wavefront6targetE1EEEvT1_
; %bb.0:
	.section	.rodata,"a",@progbits
	.p2align	6, 0x0
	.amdhsa_kernel _ZN7rocprim17ROCPRIM_400000_NS6detail17trampoline_kernelINS0_14default_configENS1_25partition_config_selectorILNS1_17partition_subalgoE8ElNS0_10empty_typeEbEEZZNS1_14partition_implILS5_8ELb0ES3_jPlPS6_PKS6_NS0_5tupleIJS9_S6_EEENSD_IJSA_SA_EEENS0_18inequality_wrapperIZN2at6native12_GLOBAL__N_124unique_dim_cuda_templateIdEESt5tupleIJNSH_6TensorESM_SM_EERKSM_lbbbEUlllE0_EEPmJS6_EEE10hipError_tPvRmT3_T4_T5_T6_T7_T9_mT8_P12ihipStream_tbDpT10_ENKUlT_T0_E_clISt17integral_constantIbLb0EES1B_IbLb1EEEEDaS17_S18_EUlS17_E_NS1_11comp_targetILNS1_3genE8ELNS1_11target_archE1030ELNS1_3gpuE2ELNS1_3repE0EEENS1_30default_config_static_selectorELNS0_4arch9wavefront6targetE1EEEvT1_
		.amdhsa_group_segment_fixed_size 0
		.amdhsa_private_segment_fixed_size 0
		.amdhsa_kernarg_size 136
		.amdhsa_user_sgpr_count 6
		.amdhsa_user_sgpr_private_segment_buffer 1
		.amdhsa_user_sgpr_dispatch_ptr 0
		.amdhsa_user_sgpr_queue_ptr 0
		.amdhsa_user_sgpr_kernarg_segment_ptr 1
		.amdhsa_user_sgpr_dispatch_id 0
		.amdhsa_user_sgpr_flat_scratch_init 0
		.amdhsa_user_sgpr_kernarg_preload_length 0
		.amdhsa_user_sgpr_kernarg_preload_offset 0
		.amdhsa_user_sgpr_private_segment_size 0
		.amdhsa_uses_dynamic_stack 0
		.amdhsa_system_sgpr_private_segment_wavefront_offset 0
		.amdhsa_system_sgpr_workgroup_id_x 1
		.amdhsa_system_sgpr_workgroup_id_y 0
		.amdhsa_system_sgpr_workgroup_id_z 0
		.amdhsa_system_sgpr_workgroup_info 0
		.amdhsa_system_vgpr_workitem_id 0
		.amdhsa_next_free_vgpr 1
		.amdhsa_next_free_sgpr 0
		.amdhsa_accum_offset 4
		.amdhsa_reserve_vcc 0
		.amdhsa_reserve_flat_scratch 0
		.amdhsa_float_round_mode_32 0
		.amdhsa_float_round_mode_16_64 0
		.amdhsa_float_denorm_mode_32 3
		.amdhsa_float_denorm_mode_16_64 3
		.amdhsa_dx10_clamp 1
		.amdhsa_ieee_mode 1
		.amdhsa_fp16_overflow 0
		.amdhsa_tg_split 0
		.amdhsa_exception_fp_ieee_invalid_op 0
		.amdhsa_exception_fp_denorm_src 0
		.amdhsa_exception_fp_ieee_div_zero 0
		.amdhsa_exception_fp_ieee_overflow 0
		.amdhsa_exception_fp_ieee_underflow 0
		.amdhsa_exception_fp_ieee_inexact 0
		.amdhsa_exception_int_div_zero 0
	.end_amdhsa_kernel
	.section	.text._ZN7rocprim17ROCPRIM_400000_NS6detail17trampoline_kernelINS0_14default_configENS1_25partition_config_selectorILNS1_17partition_subalgoE8ElNS0_10empty_typeEbEEZZNS1_14partition_implILS5_8ELb0ES3_jPlPS6_PKS6_NS0_5tupleIJS9_S6_EEENSD_IJSA_SA_EEENS0_18inequality_wrapperIZN2at6native12_GLOBAL__N_124unique_dim_cuda_templateIdEESt5tupleIJNSH_6TensorESM_SM_EERKSM_lbbbEUlllE0_EEPmJS6_EEE10hipError_tPvRmT3_T4_T5_T6_T7_T9_mT8_P12ihipStream_tbDpT10_ENKUlT_T0_E_clISt17integral_constantIbLb0EES1B_IbLb1EEEEDaS17_S18_EUlS17_E_NS1_11comp_targetILNS1_3genE8ELNS1_11target_archE1030ELNS1_3gpuE2ELNS1_3repE0EEENS1_30default_config_static_selectorELNS0_4arch9wavefront6targetE1EEEvT1_,"axG",@progbits,_ZN7rocprim17ROCPRIM_400000_NS6detail17trampoline_kernelINS0_14default_configENS1_25partition_config_selectorILNS1_17partition_subalgoE8ElNS0_10empty_typeEbEEZZNS1_14partition_implILS5_8ELb0ES3_jPlPS6_PKS6_NS0_5tupleIJS9_S6_EEENSD_IJSA_SA_EEENS0_18inequality_wrapperIZN2at6native12_GLOBAL__N_124unique_dim_cuda_templateIdEESt5tupleIJNSH_6TensorESM_SM_EERKSM_lbbbEUlllE0_EEPmJS6_EEE10hipError_tPvRmT3_T4_T5_T6_T7_T9_mT8_P12ihipStream_tbDpT10_ENKUlT_T0_E_clISt17integral_constantIbLb0EES1B_IbLb1EEEEDaS17_S18_EUlS17_E_NS1_11comp_targetILNS1_3genE8ELNS1_11target_archE1030ELNS1_3gpuE2ELNS1_3repE0EEENS1_30default_config_static_selectorELNS0_4arch9wavefront6targetE1EEEvT1_,comdat
.Lfunc_end838:
	.size	_ZN7rocprim17ROCPRIM_400000_NS6detail17trampoline_kernelINS0_14default_configENS1_25partition_config_selectorILNS1_17partition_subalgoE8ElNS0_10empty_typeEbEEZZNS1_14partition_implILS5_8ELb0ES3_jPlPS6_PKS6_NS0_5tupleIJS9_S6_EEENSD_IJSA_SA_EEENS0_18inequality_wrapperIZN2at6native12_GLOBAL__N_124unique_dim_cuda_templateIdEESt5tupleIJNSH_6TensorESM_SM_EERKSM_lbbbEUlllE0_EEPmJS6_EEE10hipError_tPvRmT3_T4_T5_T6_T7_T9_mT8_P12ihipStream_tbDpT10_ENKUlT_T0_E_clISt17integral_constantIbLb0EES1B_IbLb1EEEEDaS17_S18_EUlS17_E_NS1_11comp_targetILNS1_3genE8ELNS1_11target_archE1030ELNS1_3gpuE2ELNS1_3repE0EEENS1_30default_config_static_selectorELNS0_4arch9wavefront6targetE1EEEvT1_, .Lfunc_end838-_ZN7rocprim17ROCPRIM_400000_NS6detail17trampoline_kernelINS0_14default_configENS1_25partition_config_selectorILNS1_17partition_subalgoE8ElNS0_10empty_typeEbEEZZNS1_14partition_implILS5_8ELb0ES3_jPlPS6_PKS6_NS0_5tupleIJS9_S6_EEENSD_IJSA_SA_EEENS0_18inequality_wrapperIZN2at6native12_GLOBAL__N_124unique_dim_cuda_templateIdEESt5tupleIJNSH_6TensorESM_SM_EERKSM_lbbbEUlllE0_EEPmJS6_EEE10hipError_tPvRmT3_T4_T5_T6_T7_T9_mT8_P12ihipStream_tbDpT10_ENKUlT_T0_E_clISt17integral_constantIbLb0EES1B_IbLb1EEEEDaS17_S18_EUlS17_E_NS1_11comp_targetILNS1_3genE8ELNS1_11target_archE1030ELNS1_3gpuE2ELNS1_3repE0EEENS1_30default_config_static_selectorELNS0_4arch9wavefront6targetE1EEEvT1_
                                        ; -- End function
	.section	.AMDGPU.csdata,"",@progbits
; Kernel info:
; codeLenInByte = 0
; NumSgprs: 4
; NumVgprs: 0
; NumAgprs: 0
; TotalNumVgprs: 0
; ScratchSize: 0
; MemoryBound: 0
; FloatMode: 240
; IeeeMode: 1
; LDSByteSize: 0 bytes/workgroup (compile time only)
; SGPRBlocks: 0
; VGPRBlocks: 0
; NumSGPRsForWavesPerEU: 4
; NumVGPRsForWavesPerEU: 1
; AccumOffset: 4
; Occupancy: 8
; WaveLimiterHint : 0
; COMPUTE_PGM_RSRC2:SCRATCH_EN: 0
; COMPUTE_PGM_RSRC2:USER_SGPR: 6
; COMPUTE_PGM_RSRC2:TRAP_HANDLER: 0
; COMPUTE_PGM_RSRC2:TGID_X_EN: 1
; COMPUTE_PGM_RSRC2:TGID_Y_EN: 0
; COMPUTE_PGM_RSRC2:TGID_Z_EN: 0
; COMPUTE_PGM_RSRC2:TIDIG_COMP_CNT: 0
; COMPUTE_PGM_RSRC3_GFX90A:ACCUM_OFFSET: 0
; COMPUTE_PGM_RSRC3_GFX90A:TG_SPLIT: 0
	.section	.text._ZN7rocprim17ROCPRIM_400000_NS6detail17trampoline_kernelINS0_14default_configENS1_25partition_config_selectorILNS1_17partition_subalgoE9EllbEEZZNS1_14partition_implILS5_9ELb0ES3_jPlS8_PNS0_10empty_typeENS0_5tupleIJS8_S9_EEENSB_IJS8_SA_EEENS0_18inequality_wrapperIZN2at6native12_GLOBAL__N_124unique_dim_cuda_templateIdEESt5tupleIJNSF_6TensorESK_SK_EERKSK_lbbbEUlllE0_EEPmJS9_EEE10hipError_tPvRmT3_T4_T5_T6_T7_T9_mT8_P12ihipStream_tbDpT10_ENKUlT_T0_E_clISt17integral_constantIbLb0EES1A_EEDaS15_S16_EUlS15_E_NS1_11comp_targetILNS1_3genE0ELNS1_11target_archE4294967295ELNS1_3gpuE0ELNS1_3repE0EEENS1_30default_config_static_selectorELNS0_4arch9wavefront6targetE1EEEvT1_,"axG",@progbits,_ZN7rocprim17ROCPRIM_400000_NS6detail17trampoline_kernelINS0_14default_configENS1_25partition_config_selectorILNS1_17partition_subalgoE9EllbEEZZNS1_14partition_implILS5_9ELb0ES3_jPlS8_PNS0_10empty_typeENS0_5tupleIJS8_S9_EEENSB_IJS8_SA_EEENS0_18inequality_wrapperIZN2at6native12_GLOBAL__N_124unique_dim_cuda_templateIdEESt5tupleIJNSF_6TensorESK_SK_EERKSK_lbbbEUlllE0_EEPmJS9_EEE10hipError_tPvRmT3_T4_T5_T6_T7_T9_mT8_P12ihipStream_tbDpT10_ENKUlT_T0_E_clISt17integral_constantIbLb0EES1A_EEDaS15_S16_EUlS15_E_NS1_11comp_targetILNS1_3genE0ELNS1_11target_archE4294967295ELNS1_3gpuE0ELNS1_3repE0EEENS1_30default_config_static_selectorELNS0_4arch9wavefront6targetE1EEEvT1_,comdat
	.globl	_ZN7rocprim17ROCPRIM_400000_NS6detail17trampoline_kernelINS0_14default_configENS1_25partition_config_selectorILNS1_17partition_subalgoE9EllbEEZZNS1_14partition_implILS5_9ELb0ES3_jPlS8_PNS0_10empty_typeENS0_5tupleIJS8_S9_EEENSB_IJS8_SA_EEENS0_18inequality_wrapperIZN2at6native12_GLOBAL__N_124unique_dim_cuda_templateIdEESt5tupleIJNSF_6TensorESK_SK_EERKSK_lbbbEUlllE0_EEPmJS9_EEE10hipError_tPvRmT3_T4_T5_T6_T7_T9_mT8_P12ihipStream_tbDpT10_ENKUlT_T0_E_clISt17integral_constantIbLb0EES1A_EEDaS15_S16_EUlS15_E_NS1_11comp_targetILNS1_3genE0ELNS1_11target_archE4294967295ELNS1_3gpuE0ELNS1_3repE0EEENS1_30default_config_static_selectorELNS0_4arch9wavefront6targetE1EEEvT1_ ; -- Begin function _ZN7rocprim17ROCPRIM_400000_NS6detail17trampoline_kernelINS0_14default_configENS1_25partition_config_selectorILNS1_17partition_subalgoE9EllbEEZZNS1_14partition_implILS5_9ELb0ES3_jPlS8_PNS0_10empty_typeENS0_5tupleIJS8_S9_EEENSB_IJS8_SA_EEENS0_18inequality_wrapperIZN2at6native12_GLOBAL__N_124unique_dim_cuda_templateIdEESt5tupleIJNSF_6TensorESK_SK_EERKSK_lbbbEUlllE0_EEPmJS9_EEE10hipError_tPvRmT3_T4_T5_T6_T7_T9_mT8_P12ihipStream_tbDpT10_ENKUlT_T0_E_clISt17integral_constantIbLb0EES1A_EEDaS15_S16_EUlS15_E_NS1_11comp_targetILNS1_3genE0ELNS1_11target_archE4294967295ELNS1_3gpuE0ELNS1_3repE0EEENS1_30default_config_static_selectorELNS0_4arch9wavefront6targetE1EEEvT1_
	.p2align	8
	.type	_ZN7rocprim17ROCPRIM_400000_NS6detail17trampoline_kernelINS0_14default_configENS1_25partition_config_selectorILNS1_17partition_subalgoE9EllbEEZZNS1_14partition_implILS5_9ELb0ES3_jPlS8_PNS0_10empty_typeENS0_5tupleIJS8_S9_EEENSB_IJS8_SA_EEENS0_18inequality_wrapperIZN2at6native12_GLOBAL__N_124unique_dim_cuda_templateIdEESt5tupleIJNSF_6TensorESK_SK_EERKSK_lbbbEUlllE0_EEPmJS9_EEE10hipError_tPvRmT3_T4_T5_T6_T7_T9_mT8_P12ihipStream_tbDpT10_ENKUlT_T0_E_clISt17integral_constantIbLb0EES1A_EEDaS15_S16_EUlS15_E_NS1_11comp_targetILNS1_3genE0ELNS1_11target_archE4294967295ELNS1_3gpuE0ELNS1_3repE0EEENS1_30default_config_static_selectorELNS0_4arch9wavefront6targetE1EEEvT1_,@function
_ZN7rocprim17ROCPRIM_400000_NS6detail17trampoline_kernelINS0_14default_configENS1_25partition_config_selectorILNS1_17partition_subalgoE9EllbEEZZNS1_14partition_implILS5_9ELb0ES3_jPlS8_PNS0_10empty_typeENS0_5tupleIJS8_S9_EEENSB_IJS8_SA_EEENS0_18inequality_wrapperIZN2at6native12_GLOBAL__N_124unique_dim_cuda_templateIdEESt5tupleIJNSF_6TensorESK_SK_EERKSK_lbbbEUlllE0_EEPmJS9_EEE10hipError_tPvRmT3_T4_T5_T6_T7_T9_mT8_P12ihipStream_tbDpT10_ENKUlT_T0_E_clISt17integral_constantIbLb0EES1A_EEDaS15_S16_EUlS15_E_NS1_11comp_targetILNS1_3genE0ELNS1_11target_archE4294967295ELNS1_3gpuE0ELNS1_3repE0EEENS1_30default_config_static_selectorELNS0_4arch9wavefront6targetE1EEEvT1_: ; @_ZN7rocprim17ROCPRIM_400000_NS6detail17trampoline_kernelINS0_14default_configENS1_25partition_config_selectorILNS1_17partition_subalgoE9EllbEEZZNS1_14partition_implILS5_9ELb0ES3_jPlS8_PNS0_10empty_typeENS0_5tupleIJS8_S9_EEENSB_IJS8_SA_EEENS0_18inequality_wrapperIZN2at6native12_GLOBAL__N_124unique_dim_cuda_templateIdEESt5tupleIJNSF_6TensorESK_SK_EERKSK_lbbbEUlllE0_EEPmJS9_EEE10hipError_tPvRmT3_T4_T5_T6_T7_T9_mT8_P12ihipStream_tbDpT10_ENKUlT_T0_E_clISt17integral_constantIbLb0EES1A_EEDaS15_S16_EUlS15_E_NS1_11comp_targetILNS1_3genE0ELNS1_11target_archE4294967295ELNS1_3gpuE0ELNS1_3repE0EEENS1_30default_config_static_selectorELNS0_4arch9wavefront6targetE1EEEvT1_
; %bb.0:
	.section	.rodata,"a",@progbits
	.p2align	6, 0x0
	.amdhsa_kernel _ZN7rocprim17ROCPRIM_400000_NS6detail17trampoline_kernelINS0_14default_configENS1_25partition_config_selectorILNS1_17partition_subalgoE9EllbEEZZNS1_14partition_implILS5_9ELb0ES3_jPlS8_PNS0_10empty_typeENS0_5tupleIJS8_S9_EEENSB_IJS8_SA_EEENS0_18inequality_wrapperIZN2at6native12_GLOBAL__N_124unique_dim_cuda_templateIdEESt5tupleIJNSF_6TensorESK_SK_EERKSK_lbbbEUlllE0_EEPmJS9_EEE10hipError_tPvRmT3_T4_T5_T6_T7_T9_mT8_P12ihipStream_tbDpT10_ENKUlT_T0_E_clISt17integral_constantIbLb0EES1A_EEDaS15_S16_EUlS15_E_NS1_11comp_targetILNS1_3genE0ELNS1_11target_archE4294967295ELNS1_3gpuE0ELNS1_3repE0EEENS1_30default_config_static_selectorELNS0_4arch9wavefront6targetE1EEEvT1_
		.amdhsa_group_segment_fixed_size 0
		.amdhsa_private_segment_fixed_size 0
		.amdhsa_kernarg_size 120
		.amdhsa_user_sgpr_count 6
		.amdhsa_user_sgpr_private_segment_buffer 1
		.amdhsa_user_sgpr_dispatch_ptr 0
		.amdhsa_user_sgpr_queue_ptr 0
		.amdhsa_user_sgpr_kernarg_segment_ptr 1
		.amdhsa_user_sgpr_dispatch_id 0
		.amdhsa_user_sgpr_flat_scratch_init 0
		.amdhsa_user_sgpr_kernarg_preload_length 0
		.amdhsa_user_sgpr_kernarg_preload_offset 0
		.amdhsa_user_sgpr_private_segment_size 0
		.amdhsa_uses_dynamic_stack 0
		.amdhsa_system_sgpr_private_segment_wavefront_offset 0
		.amdhsa_system_sgpr_workgroup_id_x 1
		.amdhsa_system_sgpr_workgroup_id_y 0
		.amdhsa_system_sgpr_workgroup_id_z 0
		.amdhsa_system_sgpr_workgroup_info 0
		.amdhsa_system_vgpr_workitem_id 0
		.amdhsa_next_free_vgpr 1
		.amdhsa_next_free_sgpr 0
		.amdhsa_accum_offset 4
		.amdhsa_reserve_vcc 0
		.amdhsa_reserve_flat_scratch 0
		.amdhsa_float_round_mode_32 0
		.amdhsa_float_round_mode_16_64 0
		.amdhsa_float_denorm_mode_32 3
		.amdhsa_float_denorm_mode_16_64 3
		.amdhsa_dx10_clamp 1
		.amdhsa_ieee_mode 1
		.amdhsa_fp16_overflow 0
		.amdhsa_tg_split 0
		.amdhsa_exception_fp_ieee_invalid_op 0
		.amdhsa_exception_fp_denorm_src 0
		.amdhsa_exception_fp_ieee_div_zero 0
		.amdhsa_exception_fp_ieee_overflow 0
		.amdhsa_exception_fp_ieee_underflow 0
		.amdhsa_exception_fp_ieee_inexact 0
		.amdhsa_exception_int_div_zero 0
	.end_amdhsa_kernel
	.section	.text._ZN7rocprim17ROCPRIM_400000_NS6detail17trampoline_kernelINS0_14default_configENS1_25partition_config_selectorILNS1_17partition_subalgoE9EllbEEZZNS1_14partition_implILS5_9ELb0ES3_jPlS8_PNS0_10empty_typeENS0_5tupleIJS8_S9_EEENSB_IJS8_SA_EEENS0_18inequality_wrapperIZN2at6native12_GLOBAL__N_124unique_dim_cuda_templateIdEESt5tupleIJNSF_6TensorESK_SK_EERKSK_lbbbEUlllE0_EEPmJS9_EEE10hipError_tPvRmT3_T4_T5_T6_T7_T9_mT8_P12ihipStream_tbDpT10_ENKUlT_T0_E_clISt17integral_constantIbLb0EES1A_EEDaS15_S16_EUlS15_E_NS1_11comp_targetILNS1_3genE0ELNS1_11target_archE4294967295ELNS1_3gpuE0ELNS1_3repE0EEENS1_30default_config_static_selectorELNS0_4arch9wavefront6targetE1EEEvT1_,"axG",@progbits,_ZN7rocprim17ROCPRIM_400000_NS6detail17trampoline_kernelINS0_14default_configENS1_25partition_config_selectorILNS1_17partition_subalgoE9EllbEEZZNS1_14partition_implILS5_9ELb0ES3_jPlS8_PNS0_10empty_typeENS0_5tupleIJS8_S9_EEENSB_IJS8_SA_EEENS0_18inequality_wrapperIZN2at6native12_GLOBAL__N_124unique_dim_cuda_templateIdEESt5tupleIJNSF_6TensorESK_SK_EERKSK_lbbbEUlllE0_EEPmJS9_EEE10hipError_tPvRmT3_T4_T5_T6_T7_T9_mT8_P12ihipStream_tbDpT10_ENKUlT_T0_E_clISt17integral_constantIbLb0EES1A_EEDaS15_S16_EUlS15_E_NS1_11comp_targetILNS1_3genE0ELNS1_11target_archE4294967295ELNS1_3gpuE0ELNS1_3repE0EEENS1_30default_config_static_selectorELNS0_4arch9wavefront6targetE1EEEvT1_,comdat
.Lfunc_end839:
	.size	_ZN7rocprim17ROCPRIM_400000_NS6detail17trampoline_kernelINS0_14default_configENS1_25partition_config_selectorILNS1_17partition_subalgoE9EllbEEZZNS1_14partition_implILS5_9ELb0ES3_jPlS8_PNS0_10empty_typeENS0_5tupleIJS8_S9_EEENSB_IJS8_SA_EEENS0_18inequality_wrapperIZN2at6native12_GLOBAL__N_124unique_dim_cuda_templateIdEESt5tupleIJNSF_6TensorESK_SK_EERKSK_lbbbEUlllE0_EEPmJS9_EEE10hipError_tPvRmT3_T4_T5_T6_T7_T9_mT8_P12ihipStream_tbDpT10_ENKUlT_T0_E_clISt17integral_constantIbLb0EES1A_EEDaS15_S16_EUlS15_E_NS1_11comp_targetILNS1_3genE0ELNS1_11target_archE4294967295ELNS1_3gpuE0ELNS1_3repE0EEENS1_30default_config_static_selectorELNS0_4arch9wavefront6targetE1EEEvT1_, .Lfunc_end839-_ZN7rocprim17ROCPRIM_400000_NS6detail17trampoline_kernelINS0_14default_configENS1_25partition_config_selectorILNS1_17partition_subalgoE9EllbEEZZNS1_14partition_implILS5_9ELb0ES3_jPlS8_PNS0_10empty_typeENS0_5tupleIJS8_S9_EEENSB_IJS8_SA_EEENS0_18inequality_wrapperIZN2at6native12_GLOBAL__N_124unique_dim_cuda_templateIdEESt5tupleIJNSF_6TensorESK_SK_EERKSK_lbbbEUlllE0_EEPmJS9_EEE10hipError_tPvRmT3_T4_T5_T6_T7_T9_mT8_P12ihipStream_tbDpT10_ENKUlT_T0_E_clISt17integral_constantIbLb0EES1A_EEDaS15_S16_EUlS15_E_NS1_11comp_targetILNS1_3genE0ELNS1_11target_archE4294967295ELNS1_3gpuE0ELNS1_3repE0EEENS1_30default_config_static_selectorELNS0_4arch9wavefront6targetE1EEEvT1_
                                        ; -- End function
	.section	.AMDGPU.csdata,"",@progbits
; Kernel info:
; codeLenInByte = 0
; NumSgprs: 4
; NumVgprs: 0
; NumAgprs: 0
; TotalNumVgprs: 0
; ScratchSize: 0
; MemoryBound: 0
; FloatMode: 240
; IeeeMode: 1
; LDSByteSize: 0 bytes/workgroup (compile time only)
; SGPRBlocks: 0
; VGPRBlocks: 0
; NumSGPRsForWavesPerEU: 4
; NumVGPRsForWavesPerEU: 1
; AccumOffset: 4
; Occupancy: 8
; WaveLimiterHint : 0
; COMPUTE_PGM_RSRC2:SCRATCH_EN: 0
; COMPUTE_PGM_RSRC2:USER_SGPR: 6
; COMPUTE_PGM_RSRC2:TRAP_HANDLER: 0
; COMPUTE_PGM_RSRC2:TGID_X_EN: 1
; COMPUTE_PGM_RSRC2:TGID_Y_EN: 0
; COMPUTE_PGM_RSRC2:TGID_Z_EN: 0
; COMPUTE_PGM_RSRC2:TIDIG_COMP_CNT: 0
; COMPUTE_PGM_RSRC3_GFX90A:ACCUM_OFFSET: 0
; COMPUTE_PGM_RSRC3_GFX90A:TG_SPLIT: 0
	.section	.text._ZN7rocprim17ROCPRIM_400000_NS6detail17trampoline_kernelINS0_14default_configENS1_25partition_config_selectorILNS1_17partition_subalgoE9EllbEEZZNS1_14partition_implILS5_9ELb0ES3_jPlS8_PNS0_10empty_typeENS0_5tupleIJS8_S9_EEENSB_IJS8_SA_EEENS0_18inequality_wrapperIZN2at6native12_GLOBAL__N_124unique_dim_cuda_templateIdEESt5tupleIJNSF_6TensorESK_SK_EERKSK_lbbbEUlllE0_EEPmJS9_EEE10hipError_tPvRmT3_T4_T5_T6_T7_T9_mT8_P12ihipStream_tbDpT10_ENKUlT_T0_E_clISt17integral_constantIbLb0EES1A_EEDaS15_S16_EUlS15_E_NS1_11comp_targetILNS1_3genE5ELNS1_11target_archE942ELNS1_3gpuE9ELNS1_3repE0EEENS1_30default_config_static_selectorELNS0_4arch9wavefront6targetE1EEEvT1_,"axG",@progbits,_ZN7rocprim17ROCPRIM_400000_NS6detail17trampoline_kernelINS0_14default_configENS1_25partition_config_selectorILNS1_17partition_subalgoE9EllbEEZZNS1_14partition_implILS5_9ELb0ES3_jPlS8_PNS0_10empty_typeENS0_5tupleIJS8_S9_EEENSB_IJS8_SA_EEENS0_18inequality_wrapperIZN2at6native12_GLOBAL__N_124unique_dim_cuda_templateIdEESt5tupleIJNSF_6TensorESK_SK_EERKSK_lbbbEUlllE0_EEPmJS9_EEE10hipError_tPvRmT3_T4_T5_T6_T7_T9_mT8_P12ihipStream_tbDpT10_ENKUlT_T0_E_clISt17integral_constantIbLb0EES1A_EEDaS15_S16_EUlS15_E_NS1_11comp_targetILNS1_3genE5ELNS1_11target_archE942ELNS1_3gpuE9ELNS1_3repE0EEENS1_30default_config_static_selectorELNS0_4arch9wavefront6targetE1EEEvT1_,comdat
	.globl	_ZN7rocprim17ROCPRIM_400000_NS6detail17trampoline_kernelINS0_14default_configENS1_25partition_config_selectorILNS1_17partition_subalgoE9EllbEEZZNS1_14partition_implILS5_9ELb0ES3_jPlS8_PNS0_10empty_typeENS0_5tupleIJS8_S9_EEENSB_IJS8_SA_EEENS0_18inequality_wrapperIZN2at6native12_GLOBAL__N_124unique_dim_cuda_templateIdEESt5tupleIJNSF_6TensorESK_SK_EERKSK_lbbbEUlllE0_EEPmJS9_EEE10hipError_tPvRmT3_T4_T5_T6_T7_T9_mT8_P12ihipStream_tbDpT10_ENKUlT_T0_E_clISt17integral_constantIbLb0EES1A_EEDaS15_S16_EUlS15_E_NS1_11comp_targetILNS1_3genE5ELNS1_11target_archE942ELNS1_3gpuE9ELNS1_3repE0EEENS1_30default_config_static_selectorELNS0_4arch9wavefront6targetE1EEEvT1_ ; -- Begin function _ZN7rocprim17ROCPRIM_400000_NS6detail17trampoline_kernelINS0_14default_configENS1_25partition_config_selectorILNS1_17partition_subalgoE9EllbEEZZNS1_14partition_implILS5_9ELb0ES3_jPlS8_PNS0_10empty_typeENS0_5tupleIJS8_S9_EEENSB_IJS8_SA_EEENS0_18inequality_wrapperIZN2at6native12_GLOBAL__N_124unique_dim_cuda_templateIdEESt5tupleIJNSF_6TensorESK_SK_EERKSK_lbbbEUlllE0_EEPmJS9_EEE10hipError_tPvRmT3_T4_T5_T6_T7_T9_mT8_P12ihipStream_tbDpT10_ENKUlT_T0_E_clISt17integral_constantIbLb0EES1A_EEDaS15_S16_EUlS15_E_NS1_11comp_targetILNS1_3genE5ELNS1_11target_archE942ELNS1_3gpuE9ELNS1_3repE0EEENS1_30default_config_static_selectorELNS0_4arch9wavefront6targetE1EEEvT1_
	.p2align	8
	.type	_ZN7rocprim17ROCPRIM_400000_NS6detail17trampoline_kernelINS0_14default_configENS1_25partition_config_selectorILNS1_17partition_subalgoE9EllbEEZZNS1_14partition_implILS5_9ELb0ES3_jPlS8_PNS0_10empty_typeENS0_5tupleIJS8_S9_EEENSB_IJS8_SA_EEENS0_18inequality_wrapperIZN2at6native12_GLOBAL__N_124unique_dim_cuda_templateIdEESt5tupleIJNSF_6TensorESK_SK_EERKSK_lbbbEUlllE0_EEPmJS9_EEE10hipError_tPvRmT3_T4_T5_T6_T7_T9_mT8_P12ihipStream_tbDpT10_ENKUlT_T0_E_clISt17integral_constantIbLb0EES1A_EEDaS15_S16_EUlS15_E_NS1_11comp_targetILNS1_3genE5ELNS1_11target_archE942ELNS1_3gpuE9ELNS1_3repE0EEENS1_30default_config_static_selectorELNS0_4arch9wavefront6targetE1EEEvT1_,@function
_ZN7rocprim17ROCPRIM_400000_NS6detail17trampoline_kernelINS0_14default_configENS1_25partition_config_selectorILNS1_17partition_subalgoE9EllbEEZZNS1_14partition_implILS5_9ELb0ES3_jPlS8_PNS0_10empty_typeENS0_5tupleIJS8_S9_EEENSB_IJS8_SA_EEENS0_18inequality_wrapperIZN2at6native12_GLOBAL__N_124unique_dim_cuda_templateIdEESt5tupleIJNSF_6TensorESK_SK_EERKSK_lbbbEUlllE0_EEPmJS9_EEE10hipError_tPvRmT3_T4_T5_T6_T7_T9_mT8_P12ihipStream_tbDpT10_ENKUlT_T0_E_clISt17integral_constantIbLb0EES1A_EEDaS15_S16_EUlS15_E_NS1_11comp_targetILNS1_3genE5ELNS1_11target_archE942ELNS1_3gpuE9ELNS1_3repE0EEENS1_30default_config_static_selectorELNS0_4arch9wavefront6targetE1EEEvT1_: ; @_ZN7rocprim17ROCPRIM_400000_NS6detail17trampoline_kernelINS0_14default_configENS1_25partition_config_selectorILNS1_17partition_subalgoE9EllbEEZZNS1_14partition_implILS5_9ELb0ES3_jPlS8_PNS0_10empty_typeENS0_5tupleIJS8_S9_EEENSB_IJS8_SA_EEENS0_18inequality_wrapperIZN2at6native12_GLOBAL__N_124unique_dim_cuda_templateIdEESt5tupleIJNSF_6TensorESK_SK_EERKSK_lbbbEUlllE0_EEPmJS9_EEE10hipError_tPvRmT3_T4_T5_T6_T7_T9_mT8_P12ihipStream_tbDpT10_ENKUlT_T0_E_clISt17integral_constantIbLb0EES1A_EEDaS15_S16_EUlS15_E_NS1_11comp_targetILNS1_3genE5ELNS1_11target_archE942ELNS1_3gpuE9ELNS1_3repE0EEENS1_30default_config_static_selectorELNS0_4arch9wavefront6targetE1EEEvT1_
; %bb.0:
	.section	.rodata,"a",@progbits
	.p2align	6, 0x0
	.amdhsa_kernel _ZN7rocprim17ROCPRIM_400000_NS6detail17trampoline_kernelINS0_14default_configENS1_25partition_config_selectorILNS1_17partition_subalgoE9EllbEEZZNS1_14partition_implILS5_9ELb0ES3_jPlS8_PNS0_10empty_typeENS0_5tupleIJS8_S9_EEENSB_IJS8_SA_EEENS0_18inequality_wrapperIZN2at6native12_GLOBAL__N_124unique_dim_cuda_templateIdEESt5tupleIJNSF_6TensorESK_SK_EERKSK_lbbbEUlllE0_EEPmJS9_EEE10hipError_tPvRmT3_T4_T5_T6_T7_T9_mT8_P12ihipStream_tbDpT10_ENKUlT_T0_E_clISt17integral_constantIbLb0EES1A_EEDaS15_S16_EUlS15_E_NS1_11comp_targetILNS1_3genE5ELNS1_11target_archE942ELNS1_3gpuE9ELNS1_3repE0EEENS1_30default_config_static_selectorELNS0_4arch9wavefront6targetE1EEEvT1_
		.amdhsa_group_segment_fixed_size 0
		.amdhsa_private_segment_fixed_size 0
		.amdhsa_kernarg_size 120
		.amdhsa_user_sgpr_count 6
		.amdhsa_user_sgpr_private_segment_buffer 1
		.amdhsa_user_sgpr_dispatch_ptr 0
		.amdhsa_user_sgpr_queue_ptr 0
		.amdhsa_user_sgpr_kernarg_segment_ptr 1
		.amdhsa_user_sgpr_dispatch_id 0
		.amdhsa_user_sgpr_flat_scratch_init 0
		.amdhsa_user_sgpr_kernarg_preload_length 0
		.amdhsa_user_sgpr_kernarg_preload_offset 0
		.amdhsa_user_sgpr_private_segment_size 0
		.amdhsa_uses_dynamic_stack 0
		.amdhsa_system_sgpr_private_segment_wavefront_offset 0
		.amdhsa_system_sgpr_workgroup_id_x 1
		.amdhsa_system_sgpr_workgroup_id_y 0
		.amdhsa_system_sgpr_workgroup_id_z 0
		.amdhsa_system_sgpr_workgroup_info 0
		.amdhsa_system_vgpr_workitem_id 0
		.amdhsa_next_free_vgpr 1
		.amdhsa_next_free_sgpr 0
		.amdhsa_accum_offset 4
		.amdhsa_reserve_vcc 0
		.amdhsa_reserve_flat_scratch 0
		.amdhsa_float_round_mode_32 0
		.amdhsa_float_round_mode_16_64 0
		.amdhsa_float_denorm_mode_32 3
		.amdhsa_float_denorm_mode_16_64 3
		.amdhsa_dx10_clamp 1
		.amdhsa_ieee_mode 1
		.amdhsa_fp16_overflow 0
		.amdhsa_tg_split 0
		.amdhsa_exception_fp_ieee_invalid_op 0
		.amdhsa_exception_fp_denorm_src 0
		.amdhsa_exception_fp_ieee_div_zero 0
		.amdhsa_exception_fp_ieee_overflow 0
		.amdhsa_exception_fp_ieee_underflow 0
		.amdhsa_exception_fp_ieee_inexact 0
		.amdhsa_exception_int_div_zero 0
	.end_amdhsa_kernel
	.section	.text._ZN7rocprim17ROCPRIM_400000_NS6detail17trampoline_kernelINS0_14default_configENS1_25partition_config_selectorILNS1_17partition_subalgoE9EllbEEZZNS1_14partition_implILS5_9ELb0ES3_jPlS8_PNS0_10empty_typeENS0_5tupleIJS8_S9_EEENSB_IJS8_SA_EEENS0_18inequality_wrapperIZN2at6native12_GLOBAL__N_124unique_dim_cuda_templateIdEESt5tupleIJNSF_6TensorESK_SK_EERKSK_lbbbEUlllE0_EEPmJS9_EEE10hipError_tPvRmT3_T4_T5_T6_T7_T9_mT8_P12ihipStream_tbDpT10_ENKUlT_T0_E_clISt17integral_constantIbLb0EES1A_EEDaS15_S16_EUlS15_E_NS1_11comp_targetILNS1_3genE5ELNS1_11target_archE942ELNS1_3gpuE9ELNS1_3repE0EEENS1_30default_config_static_selectorELNS0_4arch9wavefront6targetE1EEEvT1_,"axG",@progbits,_ZN7rocprim17ROCPRIM_400000_NS6detail17trampoline_kernelINS0_14default_configENS1_25partition_config_selectorILNS1_17partition_subalgoE9EllbEEZZNS1_14partition_implILS5_9ELb0ES3_jPlS8_PNS0_10empty_typeENS0_5tupleIJS8_S9_EEENSB_IJS8_SA_EEENS0_18inequality_wrapperIZN2at6native12_GLOBAL__N_124unique_dim_cuda_templateIdEESt5tupleIJNSF_6TensorESK_SK_EERKSK_lbbbEUlllE0_EEPmJS9_EEE10hipError_tPvRmT3_T4_T5_T6_T7_T9_mT8_P12ihipStream_tbDpT10_ENKUlT_T0_E_clISt17integral_constantIbLb0EES1A_EEDaS15_S16_EUlS15_E_NS1_11comp_targetILNS1_3genE5ELNS1_11target_archE942ELNS1_3gpuE9ELNS1_3repE0EEENS1_30default_config_static_selectorELNS0_4arch9wavefront6targetE1EEEvT1_,comdat
.Lfunc_end840:
	.size	_ZN7rocprim17ROCPRIM_400000_NS6detail17trampoline_kernelINS0_14default_configENS1_25partition_config_selectorILNS1_17partition_subalgoE9EllbEEZZNS1_14partition_implILS5_9ELb0ES3_jPlS8_PNS0_10empty_typeENS0_5tupleIJS8_S9_EEENSB_IJS8_SA_EEENS0_18inequality_wrapperIZN2at6native12_GLOBAL__N_124unique_dim_cuda_templateIdEESt5tupleIJNSF_6TensorESK_SK_EERKSK_lbbbEUlllE0_EEPmJS9_EEE10hipError_tPvRmT3_T4_T5_T6_T7_T9_mT8_P12ihipStream_tbDpT10_ENKUlT_T0_E_clISt17integral_constantIbLb0EES1A_EEDaS15_S16_EUlS15_E_NS1_11comp_targetILNS1_3genE5ELNS1_11target_archE942ELNS1_3gpuE9ELNS1_3repE0EEENS1_30default_config_static_selectorELNS0_4arch9wavefront6targetE1EEEvT1_, .Lfunc_end840-_ZN7rocprim17ROCPRIM_400000_NS6detail17trampoline_kernelINS0_14default_configENS1_25partition_config_selectorILNS1_17partition_subalgoE9EllbEEZZNS1_14partition_implILS5_9ELb0ES3_jPlS8_PNS0_10empty_typeENS0_5tupleIJS8_S9_EEENSB_IJS8_SA_EEENS0_18inequality_wrapperIZN2at6native12_GLOBAL__N_124unique_dim_cuda_templateIdEESt5tupleIJNSF_6TensorESK_SK_EERKSK_lbbbEUlllE0_EEPmJS9_EEE10hipError_tPvRmT3_T4_T5_T6_T7_T9_mT8_P12ihipStream_tbDpT10_ENKUlT_T0_E_clISt17integral_constantIbLb0EES1A_EEDaS15_S16_EUlS15_E_NS1_11comp_targetILNS1_3genE5ELNS1_11target_archE942ELNS1_3gpuE9ELNS1_3repE0EEENS1_30default_config_static_selectorELNS0_4arch9wavefront6targetE1EEEvT1_
                                        ; -- End function
	.section	.AMDGPU.csdata,"",@progbits
; Kernel info:
; codeLenInByte = 0
; NumSgprs: 4
; NumVgprs: 0
; NumAgprs: 0
; TotalNumVgprs: 0
; ScratchSize: 0
; MemoryBound: 0
; FloatMode: 240
; IeeeMode: 1
; LDSByteSize: 0 bytes/workgroup (compile time only)
; SGPRBlocks: 0
; VGPRBlocks: 0
; NumSGPRsForWavesPerEU: 4
; NumVGPRsForWavesPerEU: 1
; AccumOffset: 4
; Occupancy: 8
; WaveLimiterHint : 0
; COMPUTE_PGM_RSRC2:SCRATCH_EN: 0
; COMPUTE_PGM_RSRC2:USER_SGPR: 6
; COMPUTE_PGM_RSRC2:TRAP_HANDLER: 0
; COMPUTE_PGM_RSRC2:TGID_X_EN: 1
; COMPUTE_PGM_RSRC2:TGID_Y_EN: 0
; COMPUTE_PGM_RSRC2:TGID_Z_EN: 0
; COMPUTE_PGM_RSRC2:TIDIG_COMP_CNT: 0
; COMPUTE_PGM_RSRC3_GFX90A:ACCUM_OFFSET: 0
; COMPUTE_PGM_RSRC3_GFX90A:TG_SPLIT: 0
	.section	.text._ZN7rocprim17ROCPRIM_400000_NS6detail17trampoline_kernelINS0_14default_configENS1_25partition_config_selectorILNS1_17partition_subalgoE9EllbEEZZNS1_14partition_implILS5_9ELb0ES3_jPlS8_PNS0_10empty_typeENS0_5tupleIJS8_S9_EEENSB_IJS8_SA_EEENS0_18inequality_wrapperIZN2at6native12_GLOBAL__N_124unique_dim_cuda_templateIdEESt5tupleIJNSF_6TensorESK_SK_EERKSK_lbbbEUlllE0_EEPmJS9_EEE10hipError_tPvRmT3_T4_T5_T6_T7_T9_mT8_P12ihipStream_tbDpT10_ENKUlT_T0_E_clISt17integral_constantIbLb0EES1A_EEDaS15_S16_EUlS15_E_NS1_11comp_targetILNS1_3genE4ELNS1_11target_archE910ELNS1_3gpuE8ELNS1_3repE0EEENS1_30default_config_static_selectorELNS0_4arch9wavefront6targetE1EEEvT1_,"axG",@progbits,_ZN7rocprim17ROCPRIM_400000_NS6detail17trampoline_kernelINS0_14default_configENS1_25partition_config_selectorILNS1_17partition_subalgoE9EllbEEZZNS1_14partition_implILS5_9ELb0ES3_jPlS8_PNS0_10empty_typeENS0_5tupleIJS8_S9_EEENSB_IJS8_SA_EEENS0_18inequality_wrapperIZN2at6native12_GLOBAL__N_124unique_dim_cuda_templateIdEESt5tupleIJNSF_6TensorESK_SK_EERKSK_lbbbEUlllE0_EEPmJS9_EEE10hipError_tPvRmT3_T4_T5_T6_T7_T9_mT8_P12ihipStream_tbDpT10_ENKUlT_T0_E_clISt17integral_constantIbLb0EES1A_EEDaS15_S16_EUlS15_E_NS1_11comp_targetILNS1_3genE4ELNS1_11target_archE910ELNS1_3gpuE8ELNS1_3repE0EEENS1_30default_config_static_selectorELNS0_4arch9wavefront6targetE1EEEvT1_,comdat
	.globl	_ZN7rocprim17ROCPRIM_400000_NS6detail17trampoline_kernelINS0_14default_configENS1_25partition_config_selectorILNS1_17partition_subalgoE9EllbEEZZNS1_14partition_implILS5_9ELb0ES3_jPlS8_PNS0_10empty_typeENS0_5tupleIJS8_S9_EEENSB_IJS8_SA_EEENS0_18inequality_wrapperIZN2at6native12_GLOBAL__N_124unique_dim_cuda_templateIdEESt5tupleIJNSF_6TensorESK_SK_EERKSK_lbbbEUlllE0_EEPmJS9_EEE10hipError_tPvRmT3_T4_T5_T6_T7_T9_mT8_P12ihipStream_tbDpT10_ENKUlT_T0_E_clISt17integral_constantIbLb0EES1A_EEDaS15_S16_EUlS15_E_NS1_11comp_targetILNS1_3genE4ELNS1_11target_archE910ELNS1_3gpuE8ELNS1_3repE0EEENS1_30default_config_static_selectorELNS0_4arch9wavefront6targetE1EEEvT1_ ; -- Begin function _ZN7rocprim17ROCPRIM_400000_NS6detail17trampoline_kernelINS0_14default_configENS1_25partition_config_selectorILNS1_17partition_subalgoE9EllbEEZZNS1_14partition_implILS5_9ELb0ES3_jPlS8_PNS0_10empty_typeENS0_5tupleIJS8_S9_EEENSB_IJS8_SA_EEENS0_18inequality_wrapperIZN2at6native12_GLOBAL__N_124unique_dim_cuda_templateIdEESt5tupleIJNSF_6TensorESK_SK_EERKSK_lbbbEUlllE0_EEPmJS9_EEE10hipError_tPvRmT3_T4_T5_T6_T7_T9_mT8_P12ihipStream_tbDpT10_ENKUlT_T0_E_clISt17integral_constantIbLb0EES1A_EEDaS15_S16_EUlS15_E_NS1_11comp_targetILNS1_3genE4ELNS1_11target_archE910ELNS1_3gpuE8ELNS1_3repE0EEENS1_30default_config_static_selectorELNS0_4arch9wavefront6targetE1EEEvT1_
	.p2align	8
	.type	_ZN7rocprim17ROCPRIM_400000_NS6detail17trampoline_kernelINS0_14default_configENS1_25partition_config_selectorILNS1_17partition_subalgoE9EllbEEZZNS1_14partition_implILS5_9ELb0ES3_jPlS8_PNS0_10empty_typeENS0_5tupleIJS8_S9_EEENSB_IJS8_SA_EEENS0_18inequality_wrapperIZN2at6native12_GLOBAL__N_124unique_dim_cuda_templateIdEESt5tupleIJNSF_6TensorESK_SK_EERKSK_lbbbEUlllE0_EEPmJS9_EEE10hipError_tPvRmT3_T4_T5_T6_T7_T9_mT8_P12ihipStream_tbDpT10_ENKUlT_T0_E_clISt17integral_constantIbLb0EES1A_EEDaS15_S16_EUlS15_E_NS1_11comp_targetILNS1_3genE4ELNS1_11target_archE910ELNS1_3gpuE8ELNS1_3repE0EEENS1_30default_config_static_selectorELNS0_4arch9wavefront6targetE1EEEvT1_,@function
_ZN7rocprim17ROCPRIM_400000_NS6detail17trampoline_kernelINS0_14default_configENS1_25partition_config_selectorILNS1_17partition_subalgoE9EllbEEZZNS1_14partition_implILS5_9ELb0ES3_jPlS8_PNS0_10empty_typeENS0_5tupleIJS8_S9_EEENSB_IJS8_SA_EEENS0_18inequality_wrapperIZN2at6native12_GLOBAL__N_124unique_dim_cuda_templateIdEESt5tupleIJNSF_6TensorESK_SK_EERKSK_lbbbEUlllE0_EEPmJS9_EEE10hipError_tPvRmT3_T4_T5_T6_T7_T9_mT8_P12ihipStream_tbDpT10_ENKUlT_T0_E_clISt17integral_constantIbLb0EES1A_EEDaS15_S16_EUlS15_E_NS1_11comp_targetILNS1_3genE4ELNS1_11target_archE910ELNS1_3gpuE8ELNS1_3repE0EEENS1_30default_config_static_selectorELNS0_4arch9wavefront6targetE1EEEvT1_: ; @_ZN7rocprim17ROCPRIM_400000_NS6detail17trampoline_kernelINS0_14default_configENS1_25partition_config_selectorILNS1_17partition_subalgoE9EllbEEZZNS1_14partition_implILS5_9ELb0ES3_jPlS8_PNS0_10empty_typeENS0_5tupleIJS8_S9_EEENSB_IJS8_SA_EEENS0_18inequality_wrapperIZN2at6native12_GLOBAL__N_124unique_dim_cuda_templateIdEESt5tupleIJNSF_6TensorESK_SK_EERKSK_lbbbEUlllE0_EEPmJS9_EEE10hipError_tPvRmT3_T4_T5_T6_T7_T9_mT8_P12ihipStream_tbDpT10_ENKUlT_T0_E_clISt17integral_constantIbLb0EES1A_EEDaS15_S16_EUlS15_E_NS1_11comp_targetILNS1_3genE4ELNS1_11target_archE910ELNS1_3gpuE8ELNS1_3repE0EEENS1_30default_config_static_selectorELNS0_4arch9wavefront6targetE1EEEvT1_
; %bb.0:
	s_load_dwordx8 s[20:27], s[4:5], 0x40
	s_load_dwordx4 s[0:3], s[4:5], 0x8
	s_load_dwordx2 s[12:13], s[4:5], 0x18
	s_load_dword s9, s[4:5], 0x70
	v_lshrrev_b32_e32 v18, 2, v0
	s_waitcnt lgkmcnt(0)
	v_mov_b32_e32 v2, s24
	s_lshl_b64 s[14:15], s[2:3], 3
	s_add_u32 s18, s0, s14
	s_addc_u32 s19, s1, s15
	s_add_i32 s10, s9, -1
	s_lshl_b32 s0, s10, 9
	s_add_i32 s0, s2, s0
	s_lshl_b32 s8, s6, 9
	s_sub_i32 s7, s24, s0
	s_lshl_b32 s0, s9, 9
	s_add_u32 s0, s2, s0
	s_addc_u32 s1, s3, 0
	v_mov_b32_e32 v3, s25
	s_cmp_eq_u32 s6, s10
	s_load_dwordx2 s[22:23], s[22:23], 0x0
	v_cmp_ge_u64_e32 vcc, s[0:1], v[2:3]
	s_cselect_b64 s[24:25], -1, 0
	s_mov_b32 s9, 0
	s_and_b64 s[10:11], s[24:25], vcc
	s_xor_b64 s[34:35], s[10:11], -1
	s_lshl_b64 s[16:17], s[8:9], 3
	s_add_u32 s8, s18, s16
	s_mov_b64 s[0:1], -1
	s_addc_u32 s9, s19, s17
	s_and_b64 vcc, exec, s[34:35]
	s_cbranch_vccz .LBB841_2
; %bb.1:
	v_lshlrev_b32_e32 v1, 3, v0
	global_load_dwordx2 v[2:3], v1, s[8:9]
	global_load_dwordx2 v[4:5], v1, s[8:9] offset:1024
	global_load_dwordx2 v[6:7], v1, s[8:9] offset:2048
	;; [unrolled: 1-line block ×3, first 2 shown]
	v_or_b32_e32 v11, 0x80, v0
	v_or_b32_e32 v12, 0x100, v0
	;; [unrolled: 1-line block ×3, first 2 shown]
	v_and_b32_e32 v10, 24, v18
	v_lshrrev_b32_e32 v11, 2, v11
	v_lshrrev_b32_e32 v12, 2, v12
	;; [unrolled: 1-line block ×3, first 2 shown]
	v_add_u32_e32 v10, v10, v1
	v_and_b32_e32 v11, 56, v11
	v_and_b32_e32 v12, 0x58, v12
	;; [unrolled: 1-line block ×3, first 2 shown]
	v_add_u32_e32 v11, v11, v1
	v_add_u32_e32 v12, v12, v1
	;; [unrolled: 1-line block ×3, first 2 shown]
	s_mov_b64 s[0:1], 0
	s_waitcnt vmcnt(3)
	ds_write_b64 v10, v[2:3]
	s_waitcnt vmcnt(2)
	ds_write_b64 v11, v[4:5] offset:1024
	s_waitcnt vmcnt(1)
	ds_write_b64 v12, v[6:7] offset:2048
	;; [unrolled: 2-line block ×3, first 2 shown]
	s_waitcnt lgkmcnt(0)
	s_barrier
.LBB841_2:
	s_load_dwordx4 s[28:31], s[4:5], 0x60
	s_andn2_b64 vcc, exec, s[0:1]
	v_cmp_gt_u32_e64 s[0:1], s7, v0
	s_cbranch_vccnz .LBB841_12
; %bb.3:
                                        ; implicit-def: $vgpr2_vgpr3_vgpr4_vgpr5_vgpr6_vgpr7_vgpr8_vgpr9
	s_and_saveexec_b64 s[18:19], s[0:1]
	s_cbranch_execz .LBB841_5
; %bb.4:
	v_lshlrev_b32_e32 v1, 3, v0
	global_load_dwordx2 v[2:3], v1, s[8:9]
.LBB841_5:
	s_or_b64 exec, exec, s[18:19]
	v_or_b32_e32 v1, 0x80, v0
	v_cmp_gt_u32_e32 vcc, s7, v1
	s_and_saveexec_b64 s[0:1], vcc
	s_cbranch_execz .LBB841_7
; %bb.6:
	v_lshlrev_b32_e32 v4, 3, v0
	global_load_dwordx2 v[4:5], v4, s[8:9] offset:1024
.LBB841_7:
	s_or_b64 exec, exec, s[0:1]
	v_or_b32_e32 v10, 0x100, v0
	v_cmp_gt_u32_e32 vcc, s7, v10
	s_and_saveexec_b64 s[0:1], vcc
	s_cbranch_execz .LBB841_9
; %bb.8:
	v_lshlrev_b32_e32 v6, 3, v0
	global_load_dwordx2 v[6:7], v6, s[8:9] offset:2048
.LBB841_9:
	s_or_b64 exec, exec, s[0:1]
	v_or_b32_e32 v11, 0x180, v0
	v_cmp_gt_u32_e32 vcc, s7, v11
	s_and_saveexec_b64 s[0:1], vcc
	s_cbranch_execz .LBB841_11
; %bb.10:
	v_lshlrev_b32_e32 v8, 3, v0
	global_load_dwordx2 v[8:9], v8, s[8:9] offset:3072
.LBB841_11:
	s_or_b64 exec, exec, s[0:1]
	v_lshrrev_b32_e32 v1, 2, v1
	v_lshlrev_b32_e32 v13, 3, v0
	v_and_b32_e32 v1, 56, v1
	v_add_u32_e32 v1, v1, v13
	s_waitcnt vmcnt(0)
	ds_write_b64 v1, v[4:5] offset:1024
	v_lshrrev_b32_e32 v1, 2, v10
	v_and_b32_e32 v1, 0x78, v1
	v_add_u32_e32 v1, v1, v13
	ds_write_b64 v1, v[6:7] offset:2048
	v_lshrrev_b32_e32 v1, 2, v11
	v_and_b32_e32 v12, 24, v18
	v_and_b32_e32 v1, 0x78, v1
	v_add_u32_e32 v12, v12, v13
	v_add_u32_e32 v1, v1, v13
	ds_write_b64 v12, v[2:3]
	ds_write_b64 v1, v[8:9] offset:3072
	s_waitcnt lgkmcnt(0)
	s_barrier
.LBB841_12:
	v_lshlrev_b32_e32 v1, 2, v0
	v_lshrrev_b32_e32 v2, 3, v0
	v_add_lshl_u32 v19, v2, v1, 3
	s_waitcnt lgkmcnt(0)
	ds_read2_b64 v[14:17], v19 offset1:1
	ds_read2_b64 v[10:13], v19 offset0:2 offset1:3
	s_add_u32 s0, s12, s14
	s_addc_u32 s1, s13, s15
	s_add_u32 s0, s0, s16
	s_addc_u32 s1, s1, s17
	s_mov_b64 s[12:13], -1
	s_and_b64 vcc, exec, s[34:35]
	s_waitcnt lgkmcnt(0)
	s_barrier
	s_cbranch_vccz .LBB841_14
; %bb.13:
	v_lshlrev_b32_e32 v20, 3, v0
	global_load_dwordx2 v[2:3], v20, s[0:1]
	global_load_dwordx2 v[4:5], v20, s[0:1] offset:1024
	global_load_dwordx2 v[6:7], v20, s[0:1] offset:2048
	;; [unrolled: 1-line block ×3, first 2 shown]
	v_or_b32_e32 v22, 0x80, v0
	v_or_b32_e32 v23, 0x100, v0
	;; [unrolled: 1-line block ×3, first 2 shown]
	v_and_b32_e32 v21, 24, v18
	v_lshrrev_b32_e32 v22, 2, v22
	v_lshrrev_b32_e32 v23, 2, v23
	;; [unrolled: 1-line block ×3, first 2 shown]
	v_add_u32_e32 v21, v21, v20
	v_and_b32_e32 v22, 56, v22
	v_and_b32_e32 v23, 0x58, v23
	;; [unrolled: 1-line block ×3, first 2 shown]
	v_add_u32_e32 v22, v22, v20
	v_add_u32_e32 v23, v23, v20
	;; [unrolled: 1-line block ×3, first 2 shown]
	s_mov_b64 s[12:13], 0
	s_waitcnt vmcnt(3)
	ds_write_b64 v21, v[2:3]
	s_waitcnt vmcnt(2)
	ds_write_b64 v22, v[4:5] offset:1024
	s_waitcnt vmcnt(1)
	ds_write_b64 v23, v[6:7] offset:2048
	;; [unrolled: 2-line block ×3, first 2 shown]
	s_waitcnt lgkmcnt(0)
	s_barrier
.LBB841_14:
	s_andn2_b64 vcc, exec, s[12:13]
	s_cbranch_vccnz .LBB841_24
; %bb.15:
	v_cmp_gt_u32_e32 vcc, s7, v0
                                        ; implicit-def: $vgpr2_vgpr3
	s_and_saveexec_b64 s[12:13], vcc
	s_cbranch_execz .LBB841_17
; %bb.16:
	v_lshlrev_b32_e32 v2, 3, v0
	global_load_dwordx2 v[2:3], v2, s[0:1]
.LBB841_17:
	s_or_b64 exec, exec, s[12:13]
	v_or_b32_e32 v20, 0x80, v0
	v_cmp_gt_u32_e32 vcc, s7, v20
                                        ; implicit-def: $vgpr4_vgpr5
	s_and_saveexec_b64 s[12:13], vcc
	s_cbranch_execz .LBB841_19
; %bb.18:
	v_lshlrev_b32_e32 v4, 3, v0
	global_load_dwordx2 v[4:5], v4, s[0:1] offset:1024
.LBB841_19:
	s_or_b64 exec, exec, s[12:13]
	v_or_b32_e32 v21, 0x100, v0
	v_cmp_gt_u32_e32 vcc, s7, v21
                                        ; implicit-def: $vgpr6_vgpr7
	s_and_saveexec_b64 s[12:13], vcc
	s_cbranch_execz .LBB841_21
; %bb.20:
	v_lshlrev_b32_e32 v6, 3, v0
	global_load_dwordx2 v[6:7], v6, s[0:1] offset:2048
.LBB841_21:
	s_or_b64 exec, exec, s[12:13]
	v_or_b32_e32 v22, 0x180, v0
	v_cmp_gt_u32_e32 vcc, s7, v22
                                        ; implicit-def: $vgpr8_vgpr9
	s_and_saveexec_b64 s[12:13], vcc
	s_cbranch_execz .LBB841_23
; %bb.22:
	v_lshlrev_b32_e32 v8, 3, v0
	global_load_dwordx2 v[8:9], v8, s[0:1] offset:3072
.LBB841_23:
	s_or_b64 exec, exec, s[12:13]
	v_and_b32_e32 v18, 24, v18
	v_lshlrev_b32_e32 v23, 3, v0
	v_add_u32_e32 v18, v18, v23
	s_waitcnt vmcnt(0)
	ds_write_b64 v18, v[2:3]
	v_lshrrev_b32_e32 v2, 2, v20
	v_and_b32_e32 v2, 56, v2
	v_add_u32_e32 v2, v2, v23
	ds_write_b64 v2, v[4:5] offset:1024
	v_lshrrev_b32_e32 v2, 2, v21
	v_and_b32_e32 v2, 0x78, v2
	v_add_u32_e32 v2, v2, v23
	ds_write_b64 v2, v[6:7] offset:2048
	v_lshrrev_b32_e32 v2, 2, v22
	v_and_b32_e32 v2, 0x78, v2
	v_add_u32_e32 v2, v2, v23
	ds_write_b64 v2, v[8:9] offset:3072
	s_waitcnt lgkmcnt(0)
	s_barrier
.LBB841_24:
	ds_read2_b64 v[6:9], v19 offset1:1
	ds_read2_b64 v[2:5], v19 offset0:2 offset1:3
	s_cmp_lg_u32 s6, 0
	s_cselect_b64 s[16:17], -1, 0
	s_cmp_lg_u64 s[2:3], 0
	s_cselect_b64 s[0:1], -1, 0
	s_or_b64 s[0:1], s[16:17], s[0:1]
	s_mov_b64 s[12:13], 0
	s_and_b64 vcc, exec, s[0:1]
	v_cmp_gt_i64_e64 s[0:1], s[26:27], 0
	s_waitcnt lgkmcnt(0)
	s_barrier
	s_cbranch_vccz .LBB841_33
; %bb.25:
	s_add_u32 s2, s8, -8
	s_addc_u32 s3, s9, -1
	s_load_dwordx2 s[12:13], s[2:3], 0x0
	v_cndmask_b32_e64 v18, 0, 1, s[0:1]
	v_lshlrev_b32_e32 v26, 3, v0
	s_mov_b64 s[14:15], 0
	s_and_b64 vcc, exec, s[34:35]
	v_cmp_ne_u32_e64 s[0:1], 1, v18
	ds_write_b64 v26, v[12:13]
	s_cbranch_vccz .LBB841_34
; %bb.26:
	v_mul_lo_u32 v20, v11, s26
	v_mul_lo_u32 v21, v10, s27
	v_mad_u64_u32 v[18:19], s[2:3], v10, s26, 0
	v_add3_u32 v19, v19, v21, v20
	s_and_b64 vcc, exec, s[0:1]
	v_lshlrev_b64 v[18:19], 3, v[18:19]
	s_cbranch_vccnz .LBB841_37
; %bb.27:
	v_mul_lo_u32 v22, v13, s26
	v_mul_lo_u32 v23, v12, s27
	v_mad_u64_u32 v[20:21], s[2:3], v12, s26, 0
	v_add3_u32 v21, v21, v23, v22
	v_mov_b32_e32 v23, s29
	v_add_co_u32_e32 v22, vcc, s28, v18
	v_addc_co_u32_e64 v23, s[2:3], v23, v19, vcc
	v_lshlrev_b64 v[20:21], 3, v[20:21]
	v_mov_b32_e32 v25, s29
	v_add_co_u32_e64 v24, s[2:3], s28, v20
	v_addc_co_u32_e64 v25, s[8:9], v25, v21, s[2:3]
	global_load_dwordx2 v[28:29], v[22:23], off
	global_load_dwordx2 v[30:31], v[24:25], off
	s_mov_b64 s[14:15], -1
	s_waitcnt vmcnt(0)
	v_cmp_eq_f64_e64 s[8:9], v[28:29], v[30:31]
	s_and_saveexec_b64 s[18:19], s[8:9]
	s_cbranch_execz .LBB841_36
; %bb.28:
	v_mov_b32_e32 v20, s29
	v_addc_co_u32_e64 v21, s[2:3], v21, v20, s[2:3]
	v_add_co_u32_e64 v20, s[2:3], 8, v24
	v_mov_b32_e32 v23, s29
	v_addc_co_u32_e64 v21, s[2:3], 0, v21, s[2:3]
	v_addc_co_u32_e32 v23, vcc, v19, v23, vcc
	v_add_co_u32_e32 v22, vcc, 8, v22
	s_add_u32 s2, s26, -1
	v_addc_co_u32_e32 v23, vcc, 0, v23, vcc
	s_addc_u32 s3, s27, -1
	s_mov_b64 s[8:9], 0
	s_mov_b64 s[36:37], 0
                                        ; implicit-def: $sgpr14_sgpr15
	s_branch .LBB841_31
.LBB841_29:                             ;   in Loop: Header=BB841_31 Depth=1
	global_load_dwordx2 v[24:25], v[22:23], off
	global_load_dwordx2 v[28:29], v[20:21], off
	v_add_co_u32_e32 v20, vcc, 8, v20
	v_addc_co_u32_e32 v21, vcc, 0, v21, vcc
	v_add_co_u32_e32 v22, vcc, 8, v22
	v_addc_co_u32_e32 v23, vcc, 0, v23, vcc
	s_add_u32 s36, s36, 1
	s_addc_u32 s37, s37, 0
	s_andn2_b64 s[14:15], s[14:15], exec
	s_waitcnt vmcnt(0)
	v_cmp_neq_f64_e32 vcc, v[24:25], v[28:29]
	s_and_b64 s[38:39], vcc, exec
	s_or_b64 s[14:15], s[14:15], s[38:39]
.LBB841_30:                             ;   in Loop: Header=BB841_31 Depth=1
	s_and_b64 s[38:39], exec, s[14:15]
	s_or_b64 s[8:9], s[38:39], s[8:9]
	v_pk_mov_b32 v[24:25], s[36:37], s[36:37] op_sel:[0,1]
	s_andn2_b64 exec, exec, s[8:9]
	s_cbranch_execz .LBB841_35
.LBB841_31:                             ; =>This Inner Loop Header: Depth=1
	s_or_b64 s[14:15], s[14:15], exec
	s_cmp_eq_u64 s[2:3], s[36:37]
	s_cbranch_scc0 .LBB841_29
; %bb.32:                               ;   in Loop: Header=BB841_31 Depth=1
                                        ; implicit-def: $vgpr20_vgpr21
                                        ; implicit-def: $vgpr22_vgpr23
	s_mov_b64 s[36:37], s[26:27]
	s_branch .LBB841_30
.LBB841_33:
                                        ; implicit-def: $sgpr18_sgpr19
                                        ; implicit-def: $vgpr28
	s_branch .LBB841_115
.LBB841_34:
                                        ; implicit-def: $sgpr18_sgpr19
                                        ; implicit-def: $vgpr28
	s_cbranch_execnz .LBB841_67
	s_branch .LBB841_114
.LBB841_35:
	s_or_b64 exec, exec, s[8:9]
	v_cmp_gt_i64_e32 vcc, s[26:27], v[24:25]
	s_orn2_b64 s[14:15], vcc, exec
.LBB841_36:
	s_or_b64 exec, exec, s[18:19]
.LBB841_37:
	v_mul_lo_u32 v22, v17, s26
	v_mul_lo_u32 v23, v16, s27
	v_mad_u64_u32 v[20:21], s[2:3], v16, s26, 0
	v_add3_u32 v21, v21, v23, v22
	s_mov_b64 s[18:19], 0
	s_and_b64 vcc, exec, s[0:1]
	v_lshlrev_b64 v[20:21], 3, v[20:21]
	s_mov_b64 s[36:37], 0
	s_cbranch_vccnz .LBB841_46
; %bb.38:
	v_mov_b32_e32 v23, s29
	v_add_co_u32_e32 v22, vcc, s28, v20
	v_addc_co_u32_e64 v23, s[2:3], v23, v21, vcc
	v_mov_b32_e32 v25, s29
	v_add_co_u32_e64 v24, s[2:3], s28, v18
	v_addc_co_u32_e64 v25, s[8:9], v25, v19, s[2:3]
	global_load_dwordx2 v[28:29], v[22:23], off
	global_load_dwordx2 v[30:31], v[24:25], off
	s_mov_b64 s[36:37], -1
	s_waitcnt vmcnt(0)
	v_cmp_eq_f64_e64 s[8:9], v[28:29], v[30:31]
	s_and_saveexec_b64 s[38:39], s[8:9]
	s_cbranch_execz .LBB841_45
; %bb.39:
	v_mov_b32_e32 v18, s29
	v_addc_co_u32_e64 v19, s[2:3], v19, v18, s[2:3]
	v_add_co_u32_e64 v18, s[2:3], 8, v24
	v_mov_b32_e32 v23, s29
	v_addc_co_u32_e64 v19, s[2:3], 0, v19, s[2:3]
	v_addc_co_u32_e32 v23, vcc, v21, v23, vcc
	v_add_co_u32_e32 v22, vcc, 8, v22
	s_add_u32 s2, s26, -1
	v_addc_co_u32_e32 v23, vcc, 0, v23, vcc
	s_addc_u32 s3, s27, -1
	s_mov_b64 s[8:9], 0
	s_mov_b64 s[40:41], 0
                                        ; implicit-def: $sgpr36_sgpr37
	s_branch .LBB841_42
.LBB841_40:                             ;   in Loop: Header=BB841_42 Depth=1
	global_load_dwordx2 v[24:25], v[22:23], off
	global_load_dwordx2 v[28:29], v[18:19], off
	v_add_co_u32_e32 v18, vcc, 8, v18
	v_addc_co_u32_e32 v19, vcc, 0, v19, vcc
	v_add_co_u32_e32 v22, vcc, 8, v22
	v_addc_co_u32_e32 v23, vcc, 0, v23, vcc
	s_add_u32 s40, s40, 1
	s_addc_u32 s41, s41, 0
	s_andn2_b64 s[36:37], s[36:37], exec
	s_waitcnt vmcnt(0)
	v_cmp_neq_f64_e32 vcc, v[24:25], v[28:29]
	s_and_b64 s[42:43], vcc, exec
	s_or_b64 s[36:37], s[36:37], s[42:43]
.LBB841_41:                             ;   in Loop: Header=BB841_42 Depth=1
	s_and_b64 s[42:43], exec, s[36:37]
	s_or_b64 s[8:9], s[42:43], s[8:9]
	v_pk_mov_b32 v[24:25], s[40:41], s[40:41] op_sel:[0,1]
	s_andn2_b64 exec, exec, s[8:9]
	s_cbranch_execz .LBB841_44
.LBB841_42:                             ; =>This Inner Loop Header: Depth=1
	s_or_b64 s[36:37], s[36:37], exec
	s_cmp_eq_u64 s[2:3], s[40:41]
	s_cbranch_scc0 .LBB841_40
; %bb.43:                               ;   in Loop: Header=BB841_42 Depth=1
                                        ; implicit-def: $vgpr18_vgpr19
                                        ; implicit-def: $vgpr22_vgpr23
	s_mov_b64 s[40:41], s[26:27]
	s_branch .LBB841_41
.LBB841_44:
	s_or_b64 exec, exec, s[8:9]
	v_cmp_gt_i64_e32 vcc, s[26:27], v[24:25]
	s_orn2_b64 s[36:37], vcc, exec
.LBB841_45:
	s_or_b64 exec, exec, s[38:39]
.LBB841_46:
	v_mul_lo_u32 v22, v15, s26
	v_mul_lo_u32 v23, v14, s27
	v_mad_u64_u32 v[18:19], s[2:3], v14, s26, 0
	v_add3_u32 v19, v19, v23, v22
	s_and_b64 vcc, exec, s[0:1]
	v_lshlrev_b64 v[18:19], 3, v[18:19]
	s_cbranch_vccnz .LBB841_55
; %bb.47:
	v_mov_b32_e32 v23, s29
	v_add_co_u32_e32 v22, vcc, s28, v18
	v_addc_co_u32_e64 v23, s[2:3], v23, v19, vcc
	v_mov_b32_e32 v25, s29
	v_add_co_u32_e64 v24, s[2:3], s28, v20
	v_addc_co_u32_e64 v25, s[8:9], v25, v21, s[2:3]
	global_load_dwordx2 v[28:29], v[22:23], off
	global_load_dwordx2 v[30:31], v[24:25], off
	s_mov_b64 s[18:19], -1
	s_waitcnt vmcnt(0)
	v_cmp_eq_f64_e64 s[8:9], v[28:29], v[30:31]
	s_and_saveexec_b64 s[38:39], s[8:9]
	s_cbranch_execz .LBB841_54
; %bb.48:
	v_mov_b32_e32 v20, s29
	v_addc_co_u32_e64 v21, s[2:3], v21, v20, s[2:3]
	v_add_co_u32_e64 v20, s[2:3], 8, v24
	v_mov_b32_e32 v23, s29
	v_addc_co_u32_e64 v21, s[2:3], 0, v21, s[2:3]
	v_addc_co_u32_e32 v23, vcc, v19, v23, vcc
	v_add_co_u32_e32 v22, vcc, 8, v22
	s_add_u32 s2, s26, -1
	v_addc_co_u32_e32 v23, vcc, 0, v23, vcc
	s_addc_u32 s3, s27, -1
	s_mov_b64 s[8:9], 0
	s_mov_b64 s[40:41], 0
                                        ; implicit-def: $sgpr18_sgpr19
	s_branch .LBB841_51
.LBB841_49:                             ;   in Loop: Header=BB841_51 Depth=1
	global_load_dwordx2 v[24:25], v[22:23], off
	global_load_dwordx2 v[28:29], v[20:21], off
	v_add_co_u32_e32 v20, vcc, 8, v20
	v_addc_co_u32_e32 v21, vcc, 0, v21, vcc
	v_add_co_u32_e32 v22, vcc, 8, v22
	v_addc_co_u32_e32 v23, vcc, 0, v23, vcc
	s_add_u32 s40, s40, 1
	s_addc_u32 s41, s41, 0
	s_andn2_b64 s[18:19], s[18:19], exec
	s_waitcnt vmcnt(0)
	v_cmp_neq_f64_e32 vcc, v[24:25], v[28:29]
	s_and_b64 s[42:43], vcc, exec
	s_or_b64 s[18:19], s[18:19], s[42:43]
.LBB841_50:                             ;   in Loop: Header=BB841_51 Depth=1
	s_and_b64 s[42:43], exec, s[18:19]
	s_or_b64 s[8:9], s[42:43], s[8:9]
	v_pk_mov_b32 v[24:25], s[40:41], s[40:41] op_sel:[0,1]
	s_andn2_b64 exec, exec, s[8:9]
	s_cbranch_execz .LBB841_53
.LBB841_51:                             ; =>This Inner Loop Header: Depth=1
	s_or_b64 s[18:19], s[18:19], exec
	s_cmp_eq_u64 s[2:3], s[40:41]
	s_cbranch_scc0 .LBB841_49
; %bb.52:                               ;   in Loop: Header=BB841_51 Depth=1
                                        ; implicit-def: $vgpr20_vgpr21
                                        ; implicit-def: $vgpr22_vgpr23
	s_mov_b64 s[40:41], s[26:27]
	s_branch .LBB841_50
.LBB841_53:
	s_or_b64 exec, exec, s[8:9]
	v_cmp_gt_i64_e32 vcc, s[26:27], v[24:25]
	s_orn2_b64 s[18:19], vcc, exec
.LBB841_54:
	s_or_b64 exec, exec, s[38:39]
.LBB841_55:
	v_cmp_ne_u32_e32 vcc, 0, v0
	s_waitcnt lgkmcnt(0)
	v_pk_mov_b32 v[20:21], s[12:13], s[12:13] op_sel:[0,1]
	s_barrier
	s_and_saveexec_b64 s[2:3], vcc
	s_cbranch_execz .LBB841_57
; %bb.56:
	v_add_u32_e32 v20, -8, v26
	ds_read_b64 v[20:21], v20
.LBB841_57:
	s_or_b64 exec, exec, s[2:3]
	v_cndmask_b32_e64 v23, 0, 1, s[14:15]
	v_cndmask_b32_e64 v22, 0, 1, s[36:37]
	;; [unrolled: 1-line block ×3, first 2 shown]
	v_lshlrev_b16_e32 v23, 8, v23
	v_lshlrev_b16_e32 v27, 8, v24
	v_or_b32_sdwa v28, v22, v23 dst_sel:WORD_1 dst_unused:UNUSED_PAD src0_sel:DWORD src1_sel:DWORD
	s_mov_b64 s[14:15], 0
	s_and_b64 vcc, exec, s[0:1]
	s_mov_b64 s[18:19], 0
	s_cbranch_vccnz .LBB841_66
; %bb.58:
	s_waitcnt lgkmcnt(0)
	v_mul_lo_u32 v22, v21, s26
	v_mul_lo_u32 v23, v20, s27
	v_mad_u64_u32 v[20:21], s[2:3], v20, s26, 0
	v_add3_u32 v21, v21, v23, v22
	v_lshlrev_b64 v[20:21], 3, v[20:21]
	v_mov_b32_e32 v23, s29
	v_add_co_u32_e32 v22, vcc, s28, v20
	v_addc_co_u32_e64 v23, s[2:3], v23, v21, vcc
	v_mov_b32_e32 v20, s29
	v_add_co_u32_e64 v24, s[2:3], s28, v18
	v_addc_co_u32_e64 v25, s[8:9], v20, v19, s[2:3]
	global_load_dwordx2 v[30:31], v[22:23], off
	global_load_dwordx2 v[32:33], v[24:25], off
	s_mov_b64 s[18:19], -1
	s_waitcnt vmcnt(0)
	v_cmp_eq_f64_e64 s[8:9], v[30:31], v[32:33]
	s_and_saveexec_b64 s[36:37], s[8:9]
	s_cbranch_execz .LBB841_65
; %bb.59:
	v_mov_b32_e32 v18, s29
	v_addc_co_u32_e64 v19, s[2:3], v19, v18, s[2:3]
	v_add_co_u32_e64 v18, s[2:3], 8, v24
	v_mov_b32_e32 v20, s29
	v_addc_co_u32_e64 v19, s[2:3], 0, v19, s[2:3]
	v_addc_co_u32_e32 v21, vcc, v21, v20, vcc
	v_add_co_u32_e32 v20, vcc, 8, v22
	s_add_u32 s2, s26, -1
	v_addc_co_u32_e32 v21, vcc, 0, v21, vcc
	s_addc_u32 s3, s27, -1
	s_mov_b64 s[8:9], 0
	s_mov_b64 s[38:39], 0
                                        ; implicit-def: $sgpr18_sgpr19
	s_branch .LBB841_62
.LBB841_60:                             ;   in Loop: Header=BB841_62 Depth=1
	global_load_dwordx2 v[22:23], v[20:21], off
	global_load_dwordx2 v[24:25], v[18:19], off
	v_add_co_u32_e32 v18, vcc, 8, v18
	v_addc_co_u32_e32 v19, vcc, 0, v19, vcc
	v_add_co_u32_e32 v20, vcc, 8, v20
	v_addc_co_u32_e32 v21, vcc, 0, v21, vcc
	s_add_u32 s38, s38, 1
	s_addc_u32 s39, s39, 0
	s_andn2_b64 s[18:19], s[18:19], exec
	s_waitcnt vmcnt(0)
	v_cmp_neq_f64_e32 vcc, v[22:23], v[24:25]
	s_and_b64 s[40:41], vcc, exec
	s_or_b64 s[18:19], s[18:19], s[40:41]
.LBB841_61:                             ;   in Loop: Header=BB841_62 Depth=1
	s_and_b64 s[40:41], exec, s[18:19]
	s_or_b64 s[8:9], s[40:41], s[8:9]
	v_pk_mov_b32 v[22:23], s[38:39], s[38:39] op_sel:[0,1]
	s_andn2_b64 exec, exec, s[8:9]
	s_cbranch_execz .LBB841_64
.LBB841_62:                             ; =>This Inner Loop Header: Depth=1
	s_or_b64 s[18:19], s[18:19], exec
	s_cmp_eq_u64 s[2:3], s[38:39]
	s_cbranch_scc0 .LBB841_60
; %bb.63:                               ;   in Loop: Header=BB841_62 Depth=1
                                        ; implicit-def: $vgpr18_vgpr19
                                        ; implicit-def: $vgpr20_vgpr21
	s_mov_b64 s[38:39], s[26:27]
	s_branch .LBB841_61
.LBB841_64:
	s_or_b64 exec, exec, s[8:9]
	v_cmp_gt_i64_e32 vcc, s[26:27], v[22:23]
	s_orn2_b64 s[18:19], vcc, exec
.LBB841_65:
	s_or_b64 exec, exec, s[36:37]
.LBB841_66:
	v_or_b32_e32 v28, v27, v28
	s_and_b64 vcc, exec, s[14:15]
	s_cbranch_vccz .LBB841_114
.LBB841_67:
	v_or_b32_e32 v18, 3, v1
	v_cmp_gt_u32_e32 vcc, s7, v18
	s_mov_b64 s[18:19], 0
	s_mov_b64 s[14:15], 0
	s_and_saveexec_b64 s[36:37], vcc
	s_cbranch_execz .LBB841_78
; %bb.68:
	s_and_b64 vcc, exec, s[0:1]
	s_mov_b64 s[38:39], 0
	s_cbranch_vccnz .LBB841_77
; %bb.69:
	s_waitcnt lgkmcnt(0)
	v_mul_lo_u32 v20, v11, s26
	v_mul_lo_u32 v21, v10, s27
	v_mad_u64_u32 v[18:19], s[2:3], v10, s26, 0
	v_add3_u32 v19, v19, v21, v20
	v_mul_lo_u32 v20, v13, s26
	v_mul_lo_u32 v21, v12, s27
	v_mad_u64_u32 v[24:25], s[2:3], v12, s26, 0
	v_add3_u32 v25, v25, v21, v20
	v_lshlrev_b64 v[20:21], 3, v[18:19]
	v_mov_b32_e32 v18, s29
	v_add_co_u32_e32 v22, vcc, s28, v20
	v_addc_co_u32_e64 v23, s[2:3], v18, v21, vcc
	v_lshlrev_b64 v[18:19], 3, v[24:25]
	v_mov_b32_e32 v20, s29
	v_add_co_u32_e64 v24, s[2:3], s28, v18
	v_addc_co_u32_e64 v25, s[8:9], v20, v19, s[2:3]
	global_load_dwordx2 v[28:29], v[22:23], off
	global_load_dwordx2 v[30:31], v[24:25], off
	s_mov_b64 s[38:39], -1
	s_waitcnt vmcnt(0)
	v_cmp_eq_f64_e64 s[8:9], v[28:29], v[30:31]
	s_and_saveexec_b64 s[14:15], s[8:9]
	s_cbranch_execz .LBB841_76
; %bb.70:
	v_mov_b32_e32 v18, s29
	v_addc_co_u32_e64 v19, s[2:3], v19, v18, s[2:3]
	v_add_co_u32_e64 v18, s[2:3], 8, v24
	v_mov_b32_e32 v20, s29
	v_addc_co_u32_e64 v19, s[2:3], 0, v19, s[2:3]
	v_addc_co_u32_e32 v21, vcc, v21, v20, vcc
	v_add_co_u32_e32 v20, vcc, 8, v22
	s_add_u32 s2, s26, -1
	v_addc_co_u32_e32 v21, vcc, 0, v21, vcc
	s_addc_u32 s3, s27, -1
	s_mov_b64 s[8:9], 0
	s_mov_b64 s[40:41], 0
                                        ; implicit-def: $sgpr38_sgpr39
	s_branch .LBB841_73
.LBB841_71:                             ;   in Loop: Header=BB841_73 Depth=1
	global_load_dwordx2 v[22:23], v[20:21], off
	global_load_dwordx2 v[24:25], v[18:19], off
	v_add_co_u32_e32 v18, vcc, 8, v18
	v_addc_co_u32_e32 v19, vcc, 0, v19, vcc
	v_add_co_u32_e32 v20, vcc, 8, v20
	v_addc_co_u32_e32 v21, vcc, 0, v21, vcc
	s_add_u32 s40, s40, 1
	s_addc_u32 s41, s41, 0
	s_andn2_b64 s[38:39], s[38:39], exec
	s_waitcnt vmcnt(0)
	v_cmp_neq_f64_e32 vcc, v[22:23], v[24:25]
	s_and_b64 s[42:43], vcc, exec
	s_or_b64 s[38:39], s[38:39], s[42:43]
.LBB841_72:                             ;   in Loop: Header=BB841_73 Depth=1
	s_and_b64 s[42:43], exec, s[38:39]
	s_or_b64 s[8:9], s[42:43], s[8:9]
	v_pk_mov_b32 v[22:23], s[40:41], s[40:41] op_sel:[0,1]
	s_andn2_b64 exec, exec, s[8:9]
	s_cbranch_execz .LBB841_75
.LBB841_73:                             ; =>This Inner Loop Header: Depth=1
	s_or_b64 s[38:39], s[38:39], exec
	s_cmp_eq_u64 s[2:3], s[40:41]
	s_cbranch_scc0 .LBB841_71
; %bb.74:                               ;   in Loop: Header=BB841_73 Depth=1
                                        ; implicit-def: $vgpr18_vgpr19
                                        ; implicit-def: $vgpr20_vgpr21
	s_mov_b64 s[40:41], s[26:27]
	s_branch .LBB841_72
.LBB841_75:
	s_or_b64 exec, exec, s[8:9]
	v_cmp_gt_i64_e32 vcc, s[26:27], v[22:23]
	s_orn2_b64 s[38:39], vcc, exec
.LBB841_76:
	s_or_b64 exec, exec, s[14:15]
.LBB841_77:
	s_and_b64 s[14:15], s[38:39], exec
.LBB841_78:
	s_or_b64 exec, exec, s[36:37]
	v_or_b32_e32 v18, 2, v1
	v_cmp_gt_u32_e32 vcc, s7, v18
	s_and_saveexec_b64 s[36:37], vcc
	s_cbranch_execz .LBB841_89
; %bb.79:
	s_and_b64 vcc, exec, s[0:1]
	s_mov_b64 s[38:39], 0
	s_cbranch_vccnz .LBB841_88
; %bb.80:
	s_waitcnt lgkmcnt(0)
	v_mul_lo_u32 v20, v17, s26
	v_mul_lo_u32 v21, v16, s27
	v_mad_u64_u32 v[18:19], s[2:3], v16, s26, 0
	v_add3_u32 v19, v19, v21, v20
	v_mul_lo_u32 v20, v11, s26
	v_mul_lo_u32 v21, v10, s27
	v_mad_u64_u32 v[24:25], s[2:3], v10, s26, 0
	v_add3_u32 v25, v25, v21, v20
	v_lshlrev_b64 v[20:21], 3, v[18:19]
	v_mov_b32_e32 v18, s29
	v_add_co_u32_e32 v22, vcc, s28, v20
	v_addc_co_u32_e64 v23, s[2:3], v18, v21, vcc
	v_lshlrev_b64 v[18:19], 3, v[24:25]
	v_mov_b32_e32 v20, s29
	v_add_co_u32_e64 v24, s[2:3], s28, v18
	v_addc_co_u32_e64 v25, s[8:9], v20, v19, s[2:3]
	global_load_dwordx2 v[28:29], v[22:23], off
	global_load_dwordx2 v[30:31], v[24:25], off
	s_mov_b64 s[38:39], -1
	s_waitcnt vmcnt(0)
	v_cmp_eq_f64_e64 s[8:9], v[28:29], v[30:31]
	s_and_saveexec_b64 s[18:19], s[8:9]
	s_cbranch_execz .LBB841_87
; %bb.81:
	v_mov_b32_e32 v18, s29
	v_addc_co_u32_e64 v19, s[2:3], v19, v18, s[2:3]
	v_add_co_u32_e64 v18, s[2:3], 8, v24
	v_mov_b32_e32 v20, s29
	v_addc_co_u32_e64 v19, s[2:3], 0, v19, s[2:3]
	v_addc_co_u32_e32 v21, vcc, v21, v20, vcc
	v_add_co_u32_e32 v20, vcc, 8, v22
	s_add_u32 s2, s26, -1
	v_addc_co_u32_e32 v21, vcc, 0, v21, vcc
	s_addc_u32 s3, s27, -1
	s_mov_b64 s[8:9], 0
	s_mov_b64 s[40:41], 0
                                        ; implicit-def: $sgpr38_sgpr39
	s_branch .LBB841_84
.LBB841_82:                             ;   in Loop: Header=BB841_84 Depth=1
	global_load_dwordx2 v[22:23], v[20:21], off
	global_load_dwordx2 v[24:25], v[18:19], off
	v_add_co_u32_e32 v18, vcc, 8, v18
	v_addc_co_u32_e32 v19, vcc, 0, v19, vcc
	v_add_co_u32_e32 v20, vcc, 8, v20
	v_addc_co_u32_e32 v21, vcc, 0, v21, vcc
	s_add_u32 s40, s40, 1
	s_addc_u32 s41, s41, 0
	s_andn2_b64 s[38:39], s[38:39], exec
	s_waitcnt vmcnt(0)
	v_cmp_neq_f64_e32 vcc, v[22:23], v[24:25]
	s_and_b64 s[42:43], vcc, exec
	s_or_b64 s[38:39], s[38:39], s[42:43]
.LBB841_83:                             ;   in Loop: Header=BB841_84 Depth=1
	s_and_b64 s[42:43], exec, s[38:39]
	s_or_b64 s[8:9], s[42:43], s[8:9]
	v_pk_mov_b32 v[22:23], s[40:41], s[40:41] op_sel:[0,1]
	s_andn2_b64 exec, exec, s[8:9]
	s_cbranch_execz .LBB841_86
.LBB841_84:                             ; =>This Inner Loop Header: Depth=1
	s_or_b64 s[38:39], s[38:39], exec
	s_cmp_eq_u64 s[2:3], s[40:41]
	s_cbranch_scc0 .LBB841_82
; %bb.85:                               ;   in Loop: Header=BB841_84 Depth=1
                                        ; implicit-def: $vgpr18_vgpr19
                                        ; implicit-def: $vgpr20_vgpr21
	s_mov_b64 s[40:41], s[26:27]
	s_branch .LBB841_83
.LBB841_86:
	s_or_b64 exec, exec, s[8:9]
	v_cmp_gt_i64_e32 vcc, s[26:27], v[22:23]
	s_orn2_b64 s[38:39], vcc, exec
.LBB841_87:
	s_or_b64 exec, exec, s[18:19]
.LBB841_88:
	s_and_b64 s[18:19], s[38:39], exec
.LBB841_89:
	s_or_b64 exec, exec, s[36:37]
	v_or_b32_e32 v18, 1, v1
	v_cmp_gt_u32_e32 vcc, s7, v18
	s_mov_b64 s[2:3], 0
	s_and_saveexec_b64 s[36:37], vcc
	s_cbranch_execz .LBB841_100
; %bb.90:
	s_and_b64 vcc, exec, s[0:1]
	s_mov_b64 s[40:41], 0
	s_cbranch_vccnz .LBB841_99
; %bb.91:
	s_waitcnt lgkmcnt(0)
	v_mul_lo_u32 v20, v15, s26
	v_mul_lo_u32 v21, v14, s27
	v_mad_u64_u32 v[18:19], s[2:3], v14, s26, 0
	v_add3_u32 v19, v19, v21, v20
	v_mul_lo_u32 v20, v17, s26
	v_mul_lo_u32 v21, v16, s27
	v_mad_u64_u32 v[24:25], s[2:3], v16, s26, 0
	v_add3_u32 v25, v25, v21, v20
	v_lshlrev_b64 v[20:21], 3, v[18:19]
	v_mov_b32_e32 v18, s29
	v_add_co_u32_e32 v22, vcc, s28, v20
	v_addc_co_u32_e64 v23, s[2:3], v18, v21, vcc
	v_lshlrev_b64 v[18:19], 3, v[24:25]
	v_mov_b32_e32 v20, s29
	v_add_co_u32_e64 v24, s[2:3], s28, v18
	v_addc_co_u32_e64 v25, s[8:9], v20, v19, s[2:3]
	global_load_dwordx2 v[28:29], v[22:23], off
	global_load_dwordx2 v[30:31], v[24:25], off
	s_mov_b64 s[40:41], -1
	s_waitcnt vmcnt(0)
	v_cmp_eq_f64_e64 s[8:9], v[28:29], v[30:31]
	s_and_saveexec_b64 s[38:39], s[8:9]
	s_cbranch_execz .LBB841_98
; %bb.92:
	v_mov_b32_e32 v18, s29
	v_addc_co_u32_e64 v19, s[2:3], v19, v18, s[2:3]
	v_add_co_u32_e64 v18, s[2:3], 8, v24
	v_mov_b32_e32 v20, s29
	v_addc_co_u32_e64 v19, s[2:3], 0, v19, s[2:3]
	v_addc_co_u32_e32 v21, vcc, v21, v20, vcc
	v_add_co_u32_e32 v20, vcc, 8, v22
	s_add_u32 s2, s26, -1
	v_addc_co_u32_e32 v21, vcc, 0, v21, vcc
	s_addc_u32 s3, s27, -1
	s_mov_b64 s[8:9], 0
	s_mov_b64 s[42:43], 0
                                        ; implicit-def: $sgpr40_sgpr41
	s_branch .LBB841_95
.LBB841_93:                             ;   in Loop: Header=BB841_95 Depth=1
	global_load_dwordx2 v[22:23], v[20:21], off
	global_load_dwordx2 v[24:25], v[18:19], off
	v_add_co_u32_e32 v18, vcc, 8, v18
	v_addc_co_u32_e32 v19, vcc, 0, v19, vcc
	v_add_co_u32_e32 v20, vcc, 8, v20
	v_addc_co_u32_e32 v21, vcc, 0, v21, vcc
	s_add_u32 s42, s42, 1
	s_addc_u32 s43, s43, 0
	s_andn2_b64 s[40:41], s[40:41], exec
	s_waitcnt vmcnt(0)
	v_cmp_neq_f64_e32 vcc, v[22:23], v[24:25]
	s_and_b64 s[44:45], vcc, exec
	s_or_b64 s[40:41], s[40:41], s[44:45]
.LBB841_94:                             ;   in Loop: Header=BB841_95 Depth=1
	s_and_b64 s[44:45], exec, s[40:41]
	s_or_b64 s[8:9], s[44:45], s[8:9]
	v_pk_mov_b32 v[22:23], s[42:43], s[42:43] op_sel:[0,1]
	s_andn2_b64 exec, exec, s[8:9]
	s_cbranch_execz .LBB841_97
.LBB841_95:                             ; =>This Inner Loop Header: Depth=1
	s_or_b64 s[40:41], s[40:41], exec
	s_cmp_eq_u64 s[2:3], s[42:43]
	s_cbranch_scc0 .LBB841_93
; %bb.96:                               ;   in Loop: Header=BB841_95 Depth=1
                                        ; implicit-def: $vgpr18_vgpr19
                                        ; implicit-def: $vgpr20_vgpr21
	s_mov_b64 s[42:43], s[26:27]
	s_branch .LBB841_94
.LBB841_97:
	s_or_b64 exec, exec, s[8:9]
	v_cmp_gt_i64_e32 vcc, s[26:27], v[22:23]
	s_orn2_b64 s[40:41], vcc, exec
.LBB841_98:
	s_or_b64 exec, exec, s[38:39]
.LBB841_99:
	s_and_b64 s[2:3], s[40:41], exec
.LBB841_100:
	s_or_b64 exec, exec, s[36:37]
	v_cmp_ne_u32_e32 vcc, 0, v0
	s_waitcnt lgkmcnt(0)
	v_pk_mov_b32 v[18:19], s[12:13], s[12:13] op_sel:[0,1]
	s_barrier
	s_and_saveexec_b64 s[8:9], vcc
	s_cbranch_execz .LBB841_102
; %bb.101:
	v_add_u32_e32 v18, -8, v26
	ds_read_b64 v[18:19], v18
.LBB841_102:
	s_or_b64 exec, exec, s[8:9]
	v_cndmask_b32_e64 v21, 0, 1, s[14:15]
	v_cndmask_b32_e64 v20, 0, 1, s[18:19]
	;; [unrolled: 1-line block ×3, first 2 shown]
	v_lshlrev_b16_e32 v21, 8, v21
	v_lshlrev_b16_e32 v26, 8, v22
	v_or_b32_sdwa v27, v20, v21 dst_sel:WORD_1 dst_unused:UNUSED_PAD src0_sel:DWORD src1_sel:DWORD
	v_cmp_gt_u32_e32 vcc, s7, v1
	s_mov_b64 s[18:19], 0
	s_and_saveexec_b64 s[8:9], vcc
	s_cbranch_execz .LBB841_113
; %bb.103:
	s_and_b64 vcc, exec, s[0:1]
	s_mov_b64 s[14:15], 0
	s_cbranch_vccnz .LBB841_112
; %bb.104:
	s_waitcnt lgkmcnt(0)
	v_mul_lo_u32 v20, v19, s26
	v_mul_lo_u32 v21, v18, s27
	v_mad_u64_u32 v[18:19], s[0:1], v18, s26, 0
	v_add3_u32 v19, v19, v21, v20
	v_mul_lo_u32 v20, v15, s26
	v_mul_lo_u32 v21, v14, s27
	v_mad_u64_u32 v[24:25], s[0:1], v14, s26, 0
	v_add3_u32 v25, v25, v21, v20
	v_lshlrev_b64 v[20:21], 3, v[18:19]
	v_mov_b32_e32 v18, s29
	v_add_co_u32_e32 v22, vcc, s28, v20
	v_addc_co_u32_e64 v23, s[0:1], v18, v21, vcc
	v_lshlrev_b64 v[18:19], 3, v[24:25]
	v_mov_b32_e32 v20, s29
	v_add_co_u32_e64 v24, s[0:1], s28, v18
	v_addc_co_u32_e64 v25, s[2:3], v20, v19, s[0:1]
	global_load_dwordx2 v[28:29], v[22:23], off
	global_load_dwordx2 v[30:31], v[24:25], off
	s_mov_b64 s[14:15], -1
	s_waitcnt vmcnt(0)
	v_cmp_eq_f64_e64 s[2:3], v[28:29], v[30:31]
	s_and_saveexec_b64 s[12:13], s[2:3]
	s_cbranch_execz .LBB841_111
; %bb.105:
	v_mov_b32_e32 v18, s29
	v_addc_co_u32_e64 v19, s[0:1], v19, v18, s[0:1]
	v_add_co_u32_e64 v18, s[0:1], 8, v24
	v_mov_b32_e32 v20, s29
	v_addc_co_u32_e64 v19, s[0:1], 0, v19, s[0:1]
	v_addc_co_u32_e32 v21, vcc, v21, v20, vcc
	v_add_co_u32_e32 v20, vcc, 8, v22
	s_add_u32 s0, s26, -1
	v_addc_co_u32_e32 v21, vcc, 0, v21, vcc
	s_addc_u32 s1, s27, -1
	s_mov_b64 s[2:3], 0
                                        ; implicit-def: $sgpr14_sgpr15
	s_branch .LBB841_108
.LBB841_106:                            ;   in Loop: Header=BB841_108 Depth=1
	global_load_dwordx2 v[22:23], v[20:21], off
	global_load_dwordx2 v[24:25], v[18:19], off
	v_add_co_u32_e32 v18, vcc, 8, v18
	v_addc_co_u32_e32 v19, vcc, 0, v19, vcc
	v_add_co_u32_e32 v20, vcc, 8, v20
	v_addc_co_u32_e32 v21, vcc, 0, v21, vcc
	s_add_u32 s18, s18, 1
	s_addc_u32 s19, s19, 0
	s_andn2_b64 s[14:15], s[14:15], exec
	s_waitcnt vmcnt(0)
	v_cmp_neq_f64_e32 vcc, v[22:23], v[24:25]
	s_and_b64 s[36:37], vcc, exec
	s_or_b64 s[14:15], s[14:15], s[36:37]
.LBB841_107:                            ;   in Loop: Header=BB841_108 Depth=1
	s_and_b64 s[36:37], exec, s[14:15]
	s_or_b64 s[2:3], s[36:37], s[2:3]
	v_pk_mov_b32 v[22:23], s[18:19], s[18:19] op_sel:[0,1]
	s_andn2_b64 exec, exec, s[2:3]
	s_cbranch_execz .LBB841_110
.LBB841_108:                            ; =>This Inner Loop Header: Depth=1
	s_or_b64 s[14:15], s[14:15], exec
	s_cmp_eq_u64 s[0:1], s[18:19]
	s_cbranch_scc0 .LBB841_106
; %bb.109:                              ;   in Loop: Header=BB841_108 Depth=1
                                        ; implicit-def: $vgpr18_vgpr19
                                        ; implicit-def: $vgpr20_vgpr21
	s_mov_b64 s[18:19], s[26:27]
	s_branch .LBB841_107
.LBB841_110:
	s_or_b64 exec, exec, s[2:3]
	v_cmp_gt_i64_e32 vcc, s[26:27], v[22:23]
	s_orn2_b64 s[14:15], vcc, exec
.LBB841_111:
	s_or_b64 exec, exec, s[12:13]
.LBB841_112:
	s_and_b64 s[18:19], s[14:15], exec
.LBB841_113:
	s_or_b64 exec, exec, s[8:9]
	v_or_b32_e32 v28, v26, v27
.LBB841_114:
	s_waitcnt lgkmcnt(0)
	s_mov_b64 s[12:13], -1
	s_cbranch_execnz .LBB841_203
.LBB841_115:
	v_lshlrev_b32_e32 v29, 3, v0
	s_mov_b64 s[18:19], 0
	v_cmp_gt_i64_e64 s[14:15], s[26:27], 0
	s_and_b64 vcc, exec, s[34:35]
	ds_write_b64 v29, v[12:13]
	s_cbranch_vccz .LBB841_123
; %bb.116:
	v_mul_lo_u32 v20, v11, s26
	v_mul_lo_u32 v21, v10, s27
	v_mad_u64_u32 v[18:19], s[0:1], v10, s26, 0
	v_add3_u32 v19, v19, v21, v20
	v_cndmask_b32_e64 v20, 0, 1, s[14:15]
	v_cmp_ne_u32_e64 s[0:1], 1, v20
	s_andn2_b64 vcc, exec, s[14:15]
	v_lshlrev_b64 v[18:19], 3, v[18:19]
	s_cbranch_vccnz .LBB841_126
; %bb.117:
	v_mul_lo_u32 v22, v13, s26
	v_mul_lo_u32 v23, v12, s27
	v_mad_u64_u32 v[20:21], s[2:3], v12, s26, 0
	v_add3_u32 v21, v21, v23, v22
	v_mov_b32_e32 v23, s29
	v_add_co_u32_e32 v22, vcc, s28, v18
	v_addc_co_u32_e64 v23, s[2:3], v23, v19, vcc
	v_lshlrev_b64 v[20:21], 3, v[20:21]
	v_mov_b32_e32 v25, s29
	v_add_co_u32_e64 v24, s[2:3], s28, v20
	v_addc_co_u32_e64 v25, s[8:9], v25, v21, s[2:3]
	global_load_dwordx2 v[26:27], v[22:23], off
	global_load_dwordx2 v[30:31], v[24:25], off
	s_mov_b64 s[18:19], -1
	s_waitcnt vmcnt(0)
	v_cmp_eq_f64_e64 s[8:9], v[26:27], v[30:31]
	s_and_saveexec_b64 s[36:37], s[8:9]
	s_cbranch_execz .LBB841_125
; %bb.118:
	v_mov_b32_e32 v20, s29
	v_addc_co_u32_e64 v21, s[2:3], v21, v20, s[2:3]
	v_add_co_u32_e64 v20, s[2:3], 8, v24
	v_mov_b32_e32 v23, s29
	v_addc_co_u32_e64 v21, s[2:3], 0, v21, s[2:3]
	v_addc_co_u32_e32 v23, vcc, v19, v23, vcc
	v_add_co_u32_e32 v22, vcc, 8, v22
	s_add_u32 s2, s26, -1
	v_addc_co_u32_e32 v23, vcc, 0, v23, vcc
	s_addc_u32 s3, s27, -1
	s_mov_b64 s[8:9], 0
	s_mov_b64 s[38:39], 0
                                        ; implicit-def: $sgpr18_sgpr19
	s_branch .LBB841_121
.LBB841_119:                            ;   in Loop: Header=BB841_121 Depth=1
	global_load_dwordx2 v[24:25], v[22:23], off
	global_load_dwordx2 v[26:27], v[20:21], off
	v_add_co_u32_e32 v20, vcc, 8, v20
	v_addc_co_u32_e32 v21, vcc, 0, v21, vcc
	v_add_co_u32_e32 v22, vcc, 8, v22
	v_addc_co_u32_e32 v23, vcc, 0, v23, vcc
	s_add_u32 s38, s38, 1
	s_addc_u32 s39, s39, 0
	s_andn2_b64 s[18:19], s[18:19], exec
	s_waitcnt vmcnt(0)
	v_cmp_neq_f64_e32 vcc, v[24:25], v[26:27]
	s_and_b64 s[40:41], vcc, exec
	s_or_b64 s[18:19], s[18:19], s[40:41]
.LBB841_120:                            ;   in Loop: Header=BB841_121 Depth=1
	s_and_b64 s[40:41], exec, s[18:19]
	s_or_b64 s[8:9], s[40:41], s[8:9]
	v_pk_mov_b32 v[24:25], s[38:39], s[38:39] op_sel:[0,1]
	s_andn2_b64 exec, exec, s[8:9]
	s_cbranch_execz .LBB841_124
.LBB841_121:                            ; =>This Inner Loop Header: Depth=1
	s_or_b64 s[18:19], s[18:19], exec
	s_cmp_eq_u64 s[2:3], s[38:39]
	s_cbranch_scc0 .LBB841_119
; %bb.122:                              ;   in Loop: Header=BB841_121 Depth=1
                                        ; implicit-def: $vgpr20_vgpr21
                                        ; implicit-def: $vgpr22_vgpr23
	s_mov_b64 s[38:39], s[26:27]
	s_branch .LBB841_120
.LBB841_123:
                                        ; implicit-def: $sgpr18_sgpr19
                                        ; implicit-def: $vgpr28
	s_cbranch_execnz .LBB841_156
	s_branch .LBB841_203
.LBB841_124:
	s_or_b64 exec, exec, s[8:9]
	v_cmp_gt_i64_e32 vcc, s[26:27], v[24:25]
	s_orn2_b64 s[18:19], vcc, exec
.LBB841_125:
	s_or_b64 exec, exec, s[36:37]
.LBB841_126:
	v_mul_lo_u32 v22, v17, s26
	v_mul_lo_u32 v23, v16, s27
	v_mad_u64_u32 v[20:21], s[2:3], v16, s26, 0
	v_add3_u32 v21, v21, v23, v22
	s_mov_b64 s[36:37], 0
	s_and_b64 vcc, exec, s[0:1]
	v_lshlrev_b64 v[20:21], 3, v[20:21]
	s_mov_b64 s[38:39], 0
	s_cbranch_vccnz .LBB841_135
; %bb.127:
	v_mov_b32_e32 v23, s29
	v_add_co_u32_e32 v22, vcc, s28, v20
	v_addc_co_u32_e64 v23, s[2:3], v23, v21, vcc
	v_mov_b32_e32 v25, s29
	v_add_co_u32_e64 v24, s[2:3], s28, v18
	v_addc_co_u32_e64 v25, s[8:9], v25, v19, s[2:3]
	global_load_dwordx2 v[26:27], v[22:23], off
	global_load_dwordx2 v[30:31], v[24:25], off
	s_mov_b64 s[38:39], -1
	s_waitcnt vmcnt(0)
	v_cmp_eq_f64_e64 s[8:9], v[26:27], v[30:31]
	s_and_saveexec_b64 s[40:41], s[8:9]
	s_cbranch_execz .LBB841_134
; %bb.128:
	v_mov_b32_e32 v18, s29
	v_addc_co_u32_e64 v19, s[2:3], v19, v18, s[2:3]
	v_add_co_u32_e64 v18, s[2:3], 8, v24
	v_mov_b32_e32 v23, s29
	v_addc_co_u32_e64 v19, s[2:3], 0, v19, s[2:3]
	v_addc_co_u32_e32 v23, vcc, v21, v23, vcc
	v_add_co_u32_e32 v22, vcc, 8, v22
	s_add_u32 s2, s26, -1
	v_addc_co_u32_e32 v23, vcc, 0, v23, vcc
	s_addc_u32 s3, s27, -1
	s_mov_b64 s[8:9], 0
	s_mov_b64 s[42:43], 0
                                        ; implicit-def: $sgpr38_sgpr39
	s_branch .LBB841_131
.LBB841_129:                            ;   in Loop: Header=BB841_131 Depth=1
	global_load_dwordx2 v[24:25], v[22:23], off
	global_load_dwordx2 v[26:27], v[18:19], off
	v_add_co_u32_e32 v18, vcc, 8, v18
	v_addc_co_u32_e32 v19, vcc, 0, v19, vcc
	v_add_co_u32_e32 v22, vcc, 8, v22
	v_addc_co_u32_e32 v23, vcc, 0, v23, vcc
	s_add_u32 s42, s42, 1
	s_addc_u32 s43, s43, 0
	s_andn2_b64 s[38:39], s[38:39], exec
	s_waitcnt vmcnt(0)
	v_cmp_neq_f64_e32 vcc, v[24:25], v[26:27]
	s_and_b64 s[44:45], vcc, exec
	s_or_b64 s[38:39], s[38:39], s[44:45]
.LBB841_130:                            ;   in Loop: Header=BB841_131 Depth=1
	s_and_b64 s[44:45], exec, s[38:39]
	s_or_b64 s[8:9], s[44:45], s[8:9]
	v_pk_mov_b32 v[24:25], s[42:43], s[42:43] op_sel:[0,1]
	s_andn2_b64 exec, exec, s[8:9]
	s_cbranch_execz .LBB841_133
.LBB841_131:                            ; =>This Inner Loop Header: Depth=1
	s_or_b64 s[38:39], s[38:39], exec
	s_cmp_eq_u64 s[2:3], s[42:43]
	s_cbranch_scc0 .LBB841_129
; %bb.132:                              ;   in Loop: Header=BB841_131 Depth=1
                                        ; implicit-def: $vgpr18_vgpr19
                                        ; implicit-def: $vgpr22_vgpr23
	s_mov_b64 s[42:43], s[26:27]
	s_branch .LBB841_130
.LBB841_133:
	s_or_b64 exec, exec, s[8:9]
	v_cmp_gt_i64_e32 vcc, s[26:27], v[24:25]
	s_orn2_b64 s[38:39], vcc, exec
.LBB841_134:
	s_or_b64 exec, exec, s[40:41]
.LBB841_135:
	v_mul_lo_u32 v22, v15, s26
	v_mul_lo_u32 v23, v14, s27
	v_mad_u64_u32 v[18:19], s[2:3], v14, s26, 0
	s_and_b64 vcc, exec, s[0:1]
	v_add3_u32 v19, v19, v23, v22
	s_cbranch_vccnz .LBB841_144
; %bb.136:
	v_lshlrev_b64 v[22:23], 3, v[18:19]
	v_mov_b32_e32 v25, s29
	v_add_co_u32_e32 v24, vcc, s28, v22
	v_addc_co_u32_e64 v25, s[2:3], v25, v23, vcc
	v_mov_b32_e32 v22, s29
	v_add_co_u32_e64 v26, s[2:3], s28, v20
	v_addc_co_u32_e64 v27, s[8:9], v22, v21, s[2:3]
	global_load_dwordx2 v[30:31], v[24:25], off
	global_load_dwordx2 v[32:33], v[26:27], off
	s_mov_b64 s[36:37], -1
	s_waitcnt vmcnt(0)
	v_cmp_eq_f64_e64 s[8:9], v[30:31], v[32:33]
	s_and_saveexec_b64 s[40:41], s[8:9]
	s_cbranch_execz .LBB841_143
; %bb.137:
	v_mov_b32_e32 v20, s29
	v_addc_co_u32_e64 v21, s[2:3], v21, v20, s[2:3]
	v_add_co_u32_e64 v20, s[2:3], 8, v26
	v_mov_b32_e32 v22, s29
	v_addc_co_u32_e64 v21, s[2:3], 0, v21, s[2:3]
	v_addc_co_u32_e32 v23, vcc, v23, v22, vcc
	v_add_co_u32_e32 v22, vcc, 8, v24
	s_add_u32 s2, s26, -1
	v_addc_co_u32_e32 v23, vcc, 0, v23, vcc
	s_addc_u32 s3, s27, -1
	s_mov_b64 s[8:9], 0
	s_mov_b64 s[42:43], 0
                                        ; implicit-def: $sgpr36_sgpr37
	s_branch .LBB841_140
.LBB841_138:                            ;   in Loop: Header=BB841_140 Depth=1
	global_load_dwordx2 v[24:25], v[22:23], off
	global_load_dwordx2 v[26:27], v[20:21], off
	v_add_co_u32_e32 v20, vcc, 8, v20
	v_addc_co_u32_e32 v21, vcc, 0, v21, vcc
	v_add_co_u32_e32 v22, vcc, 8, v22
	v_addc_co_u32_e32 v23, vcc, 0, v23, vcc
	s_add_u32 s42, s42, 1
	s_addc_u32 s43, s43, 0
	s_andn2_b64 s[36:37], s[36:37], exec
	s_waitcnt vmcnt(0)
	v_cmp_neq_f64_e32 vcc, v[24:25], v[26:27]
	s_and_b64 s[44:45], vcc, exec
	s_or_b64 s[36:37], s[36:37], s[44:45]
.LBB841_139:                            ;   in Loop: Header=BB841_140 Depth=1
	s_and_b64 s[44:45], exec, s[36:37]
	s_or_b64 s[8:9], s[44:45], s[8:9]
	v_pk_mov_b32 v[24:25], s[42:43], s[42:43] op_sel:[0,1]
	s_andn2_b64 exec, exec, s[8:9]
	s_cbranch_execz .LBB841_142
.LBB841_140:                            ; =>This Inner Loop Header: Depth=1
	s_or_b64 s[36:37], s[36:37], exec
	s_cmp_eq_u64 s[2:3], s[42:43]
	s_cbranch_scc0 .LBB841_138
; %bb.141:                              ;   in Loop: Header=BB841_140 Depth=1
                                        ; implicit-def: $vgpr20_vgpr21
                                        ; implicit-def: $vgpr22_vgpr23
	s_mov_b64 s[42:43], s[26:27]
	s_branch .LBB841_139
.LBB841_142:
	s_or_b64 exec, exec, s[8:9]
	v_cmp_gt_i64_e32 vcc, s[26:27], v[24:25]
	s_orn2_b64 s[36:37], vcc, exec
.LBB841_143:
	s_or_b64 exec, exec, s[40:41]
.LBB841_144:
	v_cndmask_b32_e64 v21, 0, 1, s[18:19]
	v_cndmask_b32_e64 v22, 0, 1, s[36:37]
	;; [unrolled: 1-line block ×3, first 2 shown]
	v_lshlrev_b16_e32 v22, 8, v22
	v_lshlrev_b16_e32 v21, 8, v21
	v_or_b32_e32 v22, 1, v22
	v_or_b32_sdwa v20, v20, v21 dst_sel:WORD_1 dst_unused:UNUSED_PAD src0_sel:DWORD src1_sel:DWORD
	v_or_b32_sdwa v28, v22, v20 dst_sel:DWORD dst_unused:UNUSED_PAD src0_sel:WORD_0 src1_sel:DWORD
	v_cmp_ne_u32_e32 vcc, 0, v0
	s_waitcnt lgkmcnt(0)
	s_barrier
	s_waitcnt lgkmcnt(0)
                                        ; implicit-def: $sgpr18_sgpr19
	s_and_saveexec_b64 s[2:3], vcc
	s_xor_b64 s[8:9], exec, s[2:3]
	s_cbranch_execz .LBB841_155
; %bb.145:
	s_and_b64 vcc, exec, s[0:1]
	s_mov_b64 s[36:37], 0
	s_cbranch_vccnz .LBB841_154
; %bb.146:
	v_add_u32_e32 v20, -8, v29
	ds_read_b64 v[20:21], v20
	v_mov_b32_e32 v23, s29
	v_lshlrev_b64 v[18:19], 3, v[18:19]
	s_mov_b64 s[36:37], -1
	s_waitcnt lgkmcnt(0)
	v_mul_lo_u32 v22, v21, s26
	v_mul_lo_u32 v24, v20, s27
	v_mad_u64_u32 v[20:21], s[0:1], v20, s26, 0
	v_add3_u32 v21, v21, v24, v22
	v_lshlrev_b64 v[20:21], 3, v[20:21]
	v_add_co_u32_e32 v22, vcc, s28, v20
	v_addc_co_u32_e64 v23, s[0:1], v23, v21, vcc
	v_mov_b32_e32 v20, s29
	v_add_co_u32_e64 v24, s[0:1], s28, v18
	v_addc_co_u32_e64 v25, s[2:3], v20, v19, s[0:1]
	global_load_dwordx2 v[26:27], v[22:23], off
	global_load_dwordx2 v[30:31], v[24:25], off
	s_waitcnt vmcnt(0)
	v_cmp_eq_f64_e64 s[2:3], v[26:27], v[30:31]
	s_and_saveexec_b64 s[18:19], s[2:3]
	s_cbranch_execz .LBB841_153
; %bb.147:
	v_mov_b32_e32 v18, s29
	v_addc_co_u32_e64 v19, s[0:1], v19, v18, s[0:1]
	v_add_co_u32_e64 v18, s[0:1], 8, v24
	v_mov_b32_e32 v20, s29
	v_addc_co_u32_e64 v19, s[0:1], 0, v19, s[0:1]
	v_addc_co_u32_e32 v21, vcc, v21, v20, vcc
	v_add_co_u32_e32 v20, vcc, 8, v22
	s_add_u32 s0, s26, -1
	v_addc_co_u32_e32 v21, vcc, 0, v21, vcc
	s_addc_u32 s1, s27, -1
	s_mov_b64 s[2:3], 0
	s_mov_b64 s[38:39], 0
                                        ; implicit-def: $sgpr36_sgpr37
	s_branch .LBB841_150
.LBB841_148:                            ;   in Loop: Header=BB841_150 Depth=1
	global_load_dwordx2 v[22:23], v[20:21], off
	global_load_dwordx2 v[24:25], v[18:19], off
	v_add_co_u32_e32 v18, vcc, 8, v18
	v_addc_co_u32_e32 v19, vcc, 0, v19, vcc
	v_add_co_u32_e32 v20, vcc, 8, v20
	v_addc_co_u32_e32 v21, vcc, 0, v21, vcc
	s_add_u32 s38, s38, 1
	s_addc_u32 s39, s39, 0
	s_andn2_b64 s[36:37], s[36:37], exec
	s_waitcnt vmcnt(0)
	v_cmp_neq_f64_e32 vcc, v[22:23], v[24:25]
	s_and_b64 s[40:41], vcc, exec
	s_or_b64 s[36:37], s[36:37], s[40:41]
.LBB841_149:                            ;   in Loop: Header=BB841_150 Depth=1
	s_and_b64 s[40:41], exec, s[36:37]
	s_or_b64 s[2:3], s[40:41], s[2:3]
	v_pk_mov_b32 v[22:23], s[38:39], s[38:39] op_sel:[0,1]
	s_andn2_b64 exec, exec, s[2:3]
	s_cbranch_execz .LBB841_152
.LBB841_150:                            ; =>This Inner Loop Header: Depth=1
	s_or_b64 s[36:37], s[36:37], exec
	s_cmp_eq_u64 s[0:1], s[38:39]
	s_cbranch_scc0 .LBB841_148
; %bb.151:                              ;   in Loop: Header=BB841_150 Depth=1
                                        ; implicit-def: $vgpr18_vgpr19
                                        ; implicit-def: $vgpr20_vgpr21
	s_mov_b64 s[38:39], s[26:27]
	s_branch .LBB841_149
.LBB841_152:
	s_or_b64 exec, exec, s[2:3]
	v_cmp_gt_i64_e32 vcc, s[26:27], v[22:23]
	s_orn2_b64 s[36:37], vcc, exec
.LBB841_153:
	s_or_b64 exec, exec, s[18:19]
.LBB841_154:
	s_and_b64 s[18:19], s[36:37], exec
	s_or_b64 s[12:13], s[12:13], exec
.LBB841_155:
	s_or_b64 exec, exec, s[8:9]
	s_branch .LBB841_203
.LBB841_156:
	v_or_b32_e32 v18, 3, v1
	v_cmp_gt_u32_e32 vcc, s7, v18
	s_mov_b64 s[18:19], 0
	s_mov_b64 s[8:9], 0
	s_and_saveexec_b64 s[36:37], vcc
	s_cbranch_execz .LBB841_167
; %bb.157:
	s_andn2_b64 vcc, exec, s[14:15]
	s_mov_b64 s[38:39], 0
	s_cbranch_vccnz .LBB841_166
; %bb.158:
	v_mul_lo_u32 v20, v11, s26
	v_mul_lo_u32 v21, v10, s27
	v_mad_u64_u32 v[18:19], s[0:1], v10, s26, 0
	v_add3_u32 v19, v19, v21, v20
	v_mul_lo_u32 v20, v13, s26
	v_mul_lo_u32 v21, v12, s27
	v_mad_u64_u32 v[24:25], s[0:1], v12, s26, 0
	v_add3_u32 v25, v25, v21, v20
	v_lshlrev_b64 v[20:21], 3, v[18:19]
	v_mov_b32_e32 v18, s29
	v_add_co_u32_e32 v22, vcc, s28, v20
	v_addc_co_u32_e64 v23, s[0:1], v18, v21, vcc
	v_lshlrev_b64 v[18:19], 3, v[24:25]
	v_mov_b32_e32 v20, s29
	v_add_co_u32_e64 v24, s[0:1], s28, v18
	v_addc_co_u32_e64 v25, s[2:3], v20, v19, s[0:1]
	global_load_dwordx2 v[26:27], v[22:23], off
	global_load_dwordx2 v[30:31], v[24:25], off
	s_mov_b64 s[38:39], -1
	s_waitcnt vmcnt(0)
	v_cmp_eq_f64_e64 s[2:3], v[26:27], v[30:31]
	s_and_saveexec_b64 s[8:9], s[2:3]
	s_cbranch_execz .LBB841_165
; %bb.159:
	v_mov_b32_e32 v18, s29
	v_addc_co_u32_e64 v19, s[0:1], v19, v18, s[0:1]
	v_add_co_u32_e64 v18, s[0:1], 8, v24
	v_mov_b32_e32 v20, s29
	v_addc_co_u32_e64 v19, s[0:1], 0, v19, s[0:1]
	v_addc_co_u32_e32 v21, vcc, v21, v20, vcc
	v_add_co_u32_e32 v20, vcc, 8, v22
	s_add_u32 s0, s26, -1
	v_addc_co_u32_e32 v21, vcc, 0, v21, vcc
	s_addc_u32 s1, s27, -1
	s_mov_b64 s[2:3], 0
	s_mov_b64 s[40:41], 0
                                        ; implicit-def: $sgpr38_sgpr39
	s_branch .LBB841_162
.LBB841_160:                            ;   in Loop: Header=BB841_162 Depth=1
	global_load_dwordx2 v[22:23], v[20:21], off
	global_load_dwordx2 v[24:25], v[18:19], off
	v_add_co_u32_e32 v18, vcc, 8, v18
	v_addc_co_u32_e32 v19, vcc, 0, v19, vcc
	v_add_co_u32_e32 v20, vcc, 8, v20
	v_addc_co_u32_e32 v21, vcc, 0, v21, vcc
	s_add_u32 s40, s40, 1
	s_addc_u32 s41, s41, 0
	s_andn2_b64 s[38:39], s[38:39], exec
	s_waitcnt vmcnt(0)
	v_cmp_neq_f64_e32 vcc, v[22:23], v[24:25]
	s_and_b64 s[42:43], vcc, exec
	s_or_b64 s[38:39], s[38:39], s[42:43]
.LBB841_161:                            ;   in Loop: Header=BB841_162 Depth=1
	s_and_b64 s[42:43], exec, s[38:39]
	s_or_b64 s[2:3], s[42:43], s[2:3]
	v_pk_mov_b32 v[22:23], s[40:41], s[40:41] op_sel:[0,1]
	s_andn2_b64 exec, exec, s[2:3]
	s_cbranch_execz .LBB841_164
.LBB841_162:                            ; =>This Inner Loop Header: Depth=1
	s_or_b64 s[38:39], s[38:39], exec
	s_cmp_eq_u64 s[0:1], s[40:41]
	s_cbranch_scc0 .LBB841_160
; %bb.163:                              ;   in Loop: Header=BB841_162 Depth=1
                                        ; implicit-def: $vgpr18_vgpr19
                                        ; implicit-def: $vgpr20_vgpr21
	s_mov_b64 s[40:41], s[26:27]
	s_branch .LBB841_161
.LBB841_164:
	s_or_b64 exec, exec, s[2:3]
	v_cmp_gt_i64_e32 vcc, s[26:27], v[22:23]
	s_orn2_b64 s[38:39], vcc, exec
.LBB841_165:
	s_or_b64 exec, exec, s[8:9]
.LBB841_166:
	s_and_b64 s[8:9], s[38:39], exec
.LBB841_167:
	s_or_b64 exec, exec, s[36:37]
	v_or_b32_e32 v18, 2, v1
	v_cmp_gt_u32_e32 vcc, s7, v18
	s_and_saveexec_b64 s[36:37], vcc
	s_cbranch_execz .LBB841_178
; %bb.168:
	s_andn2_b64 vcc, exec, s[14:15]
	s_mov_b64 s[38:39], 0
	s_cbranch_vccnz .LBB841_177
; %bb.169:
	v_mul_lo_u32 v20, v17, s26
	v_mul_lo_u32 v21, v16, s27
	v_mad_u64_u32 v[18:19], s[0:1], v16, s26, 0
	v_add3_u32 v19, v19, v21, v20
	v_mul_lo_u32 v20, v11, s26
	v_mul_lo_u32 v21, v10, s27
	v_mad_u64_u32 v[24:25], s[0:1], v10, s26, 0
	v_add3_u32 v25, v25, v21, v20
	v_lshlrev_b64 v[20:21], 3, v[18:19]
	v_mov_b32_e32 v18, s29
	v_add_co_u32_e32 v22, vcc, s28, v20
	v_addc_co_u32_e64 v23, s[0:1], v18, v21, vcc
	v_lshlrev_b64 v[18:19], 3, v[24:25]
	v_mov_b32_e32 v20, s29
	v_add_co_u32_e64 v24, s[0:1], s28, v18
	v_addc_co_u32_e64 v25, s[2:3], v20, v19, s[0:1]
	global_load_dwordx2 v[26:27], v[22:23], off
	global_load_dwordx2 v[30:31], v[24:25], off
	s_mov_b64 s[38:39], -1
	s_waitcnt vmcnt(0)
	v_cmp_eq_f64_e64 s[2:3], v[26:27], v[30:31]
	s_and_saveexec_b64 s[18:19], s[2:3]
	s_cbranch_execz .LBB841_176
; %bb.170:
	v_mov_b32_e32 v18, s29
	v_addc_co_u32_e64 v19, s[0:1], v19, v18, s[0:1]
	v_add_co_u32_e64 v18, s[0:1], 8, v24
	v_mov_b32_e32 v20, s29
	v_addc_co_u32_e64 v19, s[0:1], 0, v19, s[0:1]
	v_addc_co_u32_e32 v21, vcc, v21, v20, vcc
	v_add_co_u32_e32 v20, vcc, 8, v22
	s_add_u32 s0, s26, -1
	v_addc_co_u32_e32 v21, vcc, 0, v21, vcc
	s_addc_u32 s1, s27, -1
	s_mov_b64 s[2:3], 0
	s_mov_b64 s[40:41], 0
                                        ; implicit-def: $sgpr38_sgpr39
	s_branch .LBB841_173
.LBB841_171:                            ;   in Loop: Header=BB841_173 Depth=1
	global_load_dwordx2 v[22:23], v[20:21], off
	global_load_dwordx2 v[24:25], v[18:19], off
	v_add_co_u32_e32 v18, vcc, 8, v18
	v_addc_co_u32_e32 v19, vcc, 0, v19, vcc
	v_add_co_u32_e32 v20, vcc, 8, v20
	v_addc_co_u32_e32 v21, vcc, 0, v21, vcc
	s_add_u32 s40, s40, 1
	s_addc_u32 s41, s41, 0
	s_andn2_b64 s[38:39], s[38:39], exec
	s_waitcnt vmcnt(0)
	v_cmp_neq_f64_e32 vcc, v[22:23], v[24:25]
	s_and_b64 s[42:43], vcc, exec
	s_or_b64 s[38:39], s[38:39], s[42:43]
.LBB841_172:                            ;   in Loop: Header=BB841_173 Depth=1
	s_and_b64 s[42:43], exec, s[38:39]
	s_or_b64 s[2:3], s[42:43], s[2:3]
	v_pk_mov_b32 v[22:23], s[40:41], s[40:41] op_sel:[0,1]
	s_andn2_b64 exec, exec, s[2:3]
	s_cbranch_execz .LBB841_175
.LBB841_173:                            ; =>This Inner Loop Header: Depth=1
	s_or_b64 s[38:39], s[38:39], exec
	s_cmp_eq_u64 s[0:1], s[40:41]
	s_cbranch_scc0 .LBB841_171
; %bb.174:                              ;   in Loop: Header=BB841_173 Depth=1
                                        ; implicit-def: $vgpr18_vgpr19
                                        ; implicit-def: $vgpr20_vgpr21
	s_mov_b64 s[40:41], s[26:27]
	s_branch .LBB841_172
.LBB841_175:
	s_or_b64 exec, exec, s[2:3]
	v_cmp_gt_i64_e32 vcc, s[26:27], v[22:23]
	s_orn2_b64 s[38:39], vcc, exec
.LBB841_176:
	s_or_b64 exec, exec, s[18:19]
.LBB841_177:
	s_and_b64 s[18:19], s[38:39], exec
.LBB841_178:
	s_or_b64 exec, exec, s[36:37]
	v_or_b32_e32 v18, 1, v1
	v_cmp_gt_u32_e32 vcc, s7, v18
	s_mov_b64 s[0:1], 0
	s_and_saveexec_b64 s[36:37], vcc
	s_cbranch_execz .LBB841_189
; %bb.179:
	s_andn2_b64 vcc, exec, s[14:15]
	s_mov_b64 s[40:41], 0
	s_cbranch_vccnz .LBB841_188
; %bb.180:
	v_mul_lo_u32 v20, v15, s26
	v_mul_lo_u32 v21, v14, s27
	v_mad_u64_u32 v[18:19], s[0:1], v14, s26, 0
	v_add3_u32 v19, v19, v21, v20
	v_mul_lo_u32 v20, v17, s26
	v_mul_lo_u32 v21, v16, s27
	v_mad_u64_u32 v[24:25], s[0:1], v16, s26, 0
	v_add3_u32 v25, v25, v21, v20
	v_lshlrev_b64 v[20:21], 3, v[18:19]
	v_mov_b32_e32 v18, s29
	v_add_co_u32_e32 v22, vcc, s28, v20
	v_addc_co_u32_e64 v23, s[0:1], v18, v21, vcc
	v_lshlrev_b64 v[18:19], 3, v[24:25]
	v_mov_b32_e32 v20, s29
	v_add_co_u32_e64 v24, s[0:1], s28, v18
	v_addc_co_u32_e64 v25, s[2:3], v20, v19, s[0:1]
	global_load_dwordx2 v[26:27], v[22:23], off
	global_load_dwordx2 v[30:31], v[24:25], off
	s_mov_b64 s[40:41], -1
	s_waitcnt vmcnt(0)
	v_cmp_eq_f64_e64 s[2:3], v[26:27], v[30:31]
	s_and_saveexec_b64 s[38:39], s[2:3]
	s_cbranch_execz .LBB841_187
; %bb.181:
	v_mov_b32_e32 v18, s29
	v_addc_co_u32_e64 v19, s[0:1], v19, v18, s[0:1]
	v_add_co_u32_e64 v18, s[0:1], 8, v24
	v_mov_b32_e32 v20, s29
	v_addc_co_u32_e64 v19, s[0:1], 0, v19, s[0:1]
	v_addc_co_u32_e32 v21, vcc, v21, v20, vcc
	v_add_co_u32_e32 v20, vcc, 8, v22
	s_add_u32 s0, s26, -1
	v_addc_co_u32_e32 v21, vcc, 0, v21, vcc
	s_addc_u32 s1, s27, -1
	s_mov_b64 s[2:3], 0
	s_mov_b64 s[42:43], 0
                                        ; implicit-def: $sgpr40_sgpr41
	s_branch .LBB841_184
.LBB841_182:                            ;   in Loop: Header=BB841_184 Depth=1
	global_load_dwordx2 v[22:23], v[20:21], off
	global_load_dwordx2 v[24:25], v[18:19], off
	v_add_co_u32_e32 v18, vcc, 8, v18
	v_addc_co_u32_e32 v19, vcc, 0, v19, vcc
	v_add_co_u32_e32 v20, vcc, 8, v20
	v_addc_co_u32_e32 v21, vcc, 0, v21, vcc
	s_add_u32 s42, s42, 1
	s_addc_u32 s43, s43, 0
	s_andn2_b64 s[40:41], s[40:41], exec
	s_waitcnt vmcnt(0)
	v_cmp_neq_f64_e32 vcc, v[22:23], v[24:25]
	s_and_b64 s[44:45], vcc, exec
	s_or_b64 s[40:41], s[40:41], s[44:45]
.LBB841_183:                            ;   in Loop: Header=BB841_184 Depth=1
	s_and_b64 s[44:45], exec, s[40:41]
	s_or_b64 s[2:3], s[44:45], s[2:3]
	v_pk_mov_b32 v[22:23], s[42:43], s[42:43] op_sel:[0,1]
	s_andn2_b64 exec, exec, s[2:3]
	s_cbranch_execz .LBB841_186
.LBB841_184:                            ; =>This Inner Loop Header: Depth=1
	s_or_b64 s[40:41], s[40:41], exec
	s_cmp_eq_u64 s[0:1], s[42:43]
	s_cbranch_scc0 .LBB841_182
; %bb.185:                              ;   in Loop: Header=BB841_184 Depth=1
                                        ; implicit-def: $vgpr18_vgpr19
                                        ; implicit-def: $vgpr20_vgpr21
	s_mov_b64 s[42:43], s[26:27]
	s_branch .LBB841_183
.LBB841_186:
	s_or_b64 exec, exec, s[2:3]
	v_cmp_gt_i64_e32 vcc, s[26:27], v[22:23]
	s_orn2_b64 s[40:41], vcc, exec
.LBB841_187:
	s_or_b64 exec, exec, s[38:39]
.LBB841_188:
	s_and_b64 s[0:1], s[40:41], exec
.LBB841_189:
	s_or_b64 exec, exec, s[36:37]
	v_cndmask_b32_e64 v19, 0, 1, s[8:9]
	v_cndmask_b32_e64 v20, 0, 1, s[0:1]
	;; [unrolled: 1-line block ×3, first 2 shown]
	v_lshlrev_b16_e32 v20, 8, v20
	v_lshlrev_b16_e32 v19, 8, v19
	v_or_b32_e32 v20, 1, v20
	v_or_b32_sdwa v18, v18, v19 dst_sel:WORD_1 dst_unused:UNUSED_PAD src0_sel:DWORD src1_sel:DWORD
	v_or_b32_sdwa v28, v20, v18 dst_sel:DWORD dst_unused:UNUSED_PAD src0_sel:WORD_0 src1_sel:DWORD
	v_cmp_ne_u32_e32 vcc, 0, v0
	s_waitcnt lgkmcnt(0)
	s_barrier
	s_waitcnt lgkmcnt(0)
                                        ; implicit-def: $sgpr18_sgpr19
	s_and_saveexec_b64 s[8:9], vcc
	s_cbranch_execz .LBB841_202
; %bb.190:
	v_cmp_gt_u32_e32 vcc, s7, v1
	s_mov_b64 s[0:1], 0
	s_and_saveexec_b64 s[18:19], vcc
	s_cbranch_execz .LBB841_201
; %bb.191:
	s_andn2_b64 vcc, exec, s[14:15]
	s_mov_b64 s[36:37], 0
	s_cbranch_vccnz .LBB841_200
; %bb.192:
	v_add_u32_e32 v18, -8, v29
	ds_read_b64 v[18:19], v18
	v_mul_lo_u32 v20, v15, s26
	v_mad_u64_u32 v[24:25], s[0:1], v14, s26, 0
	s_mov_b64 s[36:37], -1
	s_waitcnt lgkmcnt(0)
	v_mul_lo_u32 v21, v19, s26
	v_mul_lo_u32 v22, v18, s27
	v_mad_u64_u32 v[18:19], s[0:1], v18, s26, 0
	v_add3_u32 v19, v19, v22, v21
	v_mul_lo_u32 v21, v14, s27
	v_add3_u32 v25, v25, v21, v20
	v_lshlrev_b64 v[20:21], 3, v[18:19]
	v_mov_b32_e32 v18, s29
	v_add_co_u32_e32 v22, vcc, s28, v20
	v_addc_co_u32_e64 v23, s[0:1], v18, v21, vcc
	v_lshlrev_b64 v[18:19], 3, v[24:25]
	v_mov_b32_e32 v20, s29
	v_add_co_u32_e64 v24, s[0:1], s28, v18
	v_addc_co_u32_e64 v25, s[2:3], v20, v19, s[0:1]
	global_load_dwordx2 v[26:27], v[22:23], off
	global_load_dwordx2 v[30:31], v[24:25], off
	s_waitcnt vmcnt(0)
	v_cmp_eq_f64_e64 s[2:3], v[26:27], v[30:31]
	s_and_saveexec_b64 s[14:15], s[2:3]
	s_cbranch_execz .LBB841_199
; %bb.193:
	v_mov_b32_e32 v18, s29
	v_addc_co_u32_e64 v19, s[0:1], v19, v18, s[0:1]
	v_add_co_u32_e64 v18, s[0:1], 8, v24
	v_mov_b32_e32 v20, s29
	v_addc_co_u32_e64 v19, s[0:1], 0, v19, s[0:1]
	v_addc_co_u32_e32 v21, vcc, v21, v20, vcc
	v_add_co_u32_e32 v20, vcc, 8, v22
	s_add_u32 s0, s26, -1
	v_addc_co_u32_e32 v21, vcc, 0, v21, vcc
	s_addc_u32 s1, s27, -1
	s_mov_b64 s[2:3], 0
	s_mov_b64 s[36:37], 0
                                        ; implicit-def: $sgpr28_sgpr29
	s_branch .LBB841_196
.LBB841_194:                            ;   in Loop: Header=BB841_196 Depth=1
	global_load_dwordx2 v[22:23], v[20:21], off
	global_load_dwordx2 v[24:25], v[18:19], off
	v_add_co_u32_e32 v18, vcc, 8, v18
	v_addc_co_u32_e32 v19, vcc, 0, v19, vcc
	v_add_co_u32_e32 v20, vcc, 8, v20
	v_addc_co_u32_e32 v21, vcc, 0, v21, vcc
	s_add_u32 s36, s36, 1
	s_addc_u32 s37, s37, 0
	s_andn2_b64 s[28:29], s[28:29], exec
	s_waitcnt vmcnt(0)
	v_cmp_neq_f64_e32 vcc, v[22:23], v[24:25]
	s_and_b64 s[38:39], vcc, exec
	s_or_b64 s[28:29], s[28:29], s[38:39]
.LBB841_195:                            ;   in Loop: Header=BB841_196 Depth=1
	s_and_b64 s[38:39], exec, s[28:29]
	s_or_b64 s[2:3], s[38:39], s[2:3]
	v_pk_mov_b32 v[22:23], s[36:37], s[36:37] op_sel:[0,1]
	s_andn2_b64 exec, exec, s[2:3]
	s_cbranch_execz .LBB841_198
.LBB841_196:                            ; =>This Inner Loop Header: Depth=1
	s_or_b64 s[28:29], s[28:29], exec
	s_cmp_eq_u64 s[0:1], s[36:37]
	s_cbranch_scc0 .LBB841_194
; %bb.197:                              ;   in Loop: Header=BB841_196 Depth=1
                                        ; implicit-def: $vgpr18_vgpr19
                                        ; implicit-def: $vgpr20_vgpr21
	s_mov_b64 s[36:37], s[26:27]
	s_branch .LBB841_195
.LBB841_198:
	s_or_b64 exec, exec, s[2:3]
	v_cmp_gt_i64_e32 vcc, s[26:27], v[22:23]
	s_orn2_b64 s[36:37], vcc, exec
.LBB841_199:
	s_or_b64 exec, exec, s[14:15]
.LBB841_200:
	s_and_b64 s[0:1], s[36:37], exec
.LBB841_201:
	s_or_b64 exec, exec, s[18:19]
	s_and_b64 s[18:19], s[0:1], exec
	s_or_b64 s[12:13], s[12:13], exec
.LBB841_202:
	s_or_b64 exec, exec, s[8:9]
.LBB841_203:
	s_and_saveexec_b64 s[0:1], s[12:13]
; %bb.204:
	v_and_b32_e32 v18, 0xffffff00, v28
	v_cndmask_b32_e64 v19, 0, 1, s[18:19]
	v_or_b32_e32 v18, v19, v18
	v_and_b32_e32 v18, 0xffff, v18
	s_mov_b32 s2, 0xffff0000
	v_and_or_b32 v28, v28, s2, v18
; %bb.205:
	s_or_b64 exec, exec, s[0:1]
	s_andn2_b64 vcc, exec, s[10:11]
	s_cbranch_vccnz .LBB841_207
; %bb.206:
	v_cmp_gt_u32_e32 vcc, s7, v1
	v_cndmask_b32_e32 v18, 0, v28, vcc
	v_or_b32_e32 v19, 1, v1
	v_and_b32_e32 v18, 0xff, v18
	v_cmp_gt_u32_e32 vcc, s7, v19
	v_cndmask_b32_e32 v18, v18, v28, vcc
	v_or_b32_e32 v19, 2, v1
	v_and_b32_e32 v18, 0xffff, v18
	;; [unrolled: 4-line block ×3, first 2 shown]
	v_cmp_gt_u32_e32 vcc, s7, v19
	v_cndmask_b32_e32 v28, v18, v28, vcc
.LBB841_207:
	v_bfe_u32 v30, v28, 16, 8
	v_lshrrev_b32_e32 v29, 24, v28
	v_add_u32_sdwa v18, v28, v28 dst_sel:DWORD dst_unused:UNUSED_PAD src0_sel:BYTE_1 src1_sel:BYTE_0
	v_add3_u32 v33, v18, v30, v29
	v_mbcnt_lo_u32_b32 v18, -1, 0
	v_mbcnt_hi_u32_b32 v31, -1, v18
	v_and_b32_e32 v18, 15, v31
	v_cmp_eq_u32_e64 s[14:15], 0, v18
	v_cmp_lt_u32_e64 s[12:13], 1, v18
	v_cmp_lt_u32_e64 s[10:11], 3, v18
	;; [unrolled: 1-line block ×3, first 2 shown]
	v_and_b32_e32 v18, 16, v31
	v_cmp_eq_u32_e64 s[18:19], 0, v18
	v_or_b32_e32 v18, 63, v0
	v_cmp_lt_u32_e64 s[0:1], 31, v31
	v_lshrrev_b32_e32 v32, 6, v0
	v_cmp_eq_u32_e64 s[2:3], v18, v0
	s_and_b64 vcc, exec, s[16:17]
	s_waitcnt lgkmcnt(0)
	s_barrier
	s_cbranch_vccz .LBB841_234
; %bb.208:
	v_mov_b32_dpp v18, v33 row_shr:1 row_mask:0xf bank_mask:0xf
	v_cndmask_b32_e64 v18, v18, 0, s[14:15]
	v_add_u32_e32 v18, v18, v33
	s_nop 1
	v_mov_b32_dpp v19, v18 row_shr:2 row_mask:0xf bank_mask:0xf
	v_cndmask_b32_e64 v19, 0, v19, s[12:13]
	v_add_u32_e32 v18, v18, v19
	s_nop 1
	;; [unrolled: 4-line block ×4, first 2 shown]
	v_mov_b32_dpp v19, v18 row_bcast:15 row_mask:0xf bank_mask:0xf
	v_cndmask_b32_e64 v19, v19, 0, s[18:19]
	v_add_u32_e32 v18, v18, v19
	s_nop 1
	v_mov_b32_dpp v19, v18 row_bcast:31 row_mask:0xf bank_mask:0xf
	v_cndmask_b32_e64 v19, 0, v19, s[0:1]
	v_add_u32_e32 v18, v18, v19
	s_and_saveexec_b64 s[16:17], s[2:3]
	s_cbranch_execz .LBB841_210
; %bb.209:
	v_lshlrev_b32_e32 v19, 2, v32
	ds_write_b32 v19, v18
.LBB841_210:
	s_or_b64 exec, exec, s[16:17]
	v_cmp_gt_u32_e32 vcc, 2, v0
	s_waitcnt lgkmcnt(0)
	s_barrier
	s_and_saveexec_b64 s[16:17], vcc
	s_cbranch_execz .LBB841_212
; %bb.211:
	ds_read_b32 v19, v1
	v_bfe_i32 v20, v31, 0, 1
	s_waitcnt lgkmcnt(0)
	v_mov_b32_dpp v21, v19 row_shr:1 row_mask:0xf bank_mask:0xf
	v_and_b32_e32 v20, v20, v21
	v_add_u32_e32 v19, v20, v19
	ds_write_b32 v1, v19
.LBB841_212:
	s_or_b64 exec, exec, s[16:17]
	v_cmp_gt_u32_e32 vcc, 64, v0
	v_cmp_lt_u32_e64 s[16:17], 63, v0
	s_waitcnt lgkmcnt(0)
	s_barrier
	s_waitcnt lgkmcnt(0)
                                        ; implicit-def: $vgpr34
	s_and_saveexec_b64 s[26:27], s[16:17]
	s_cbranch_execz .LBB841_214
; %bb.213:
	v_lshl_add_u32 v19, v32, 2, -4
	ds_read_b32 v34, v19
	s_waitcnt lgkmcnt(0)
	v_add_u32_e32 v18, v34, v18
.LBB841_214:
	s_or_b64 exec, exec, s[26:27]
	v_add_u32_e32 v19, -1, v31
	v_and_b32_e32 v20, 64, v31
	v_cmp_lt_i32_e64 s[16:17], v19, v20
	v_cndmask_b32_e64 v19, v19, v31, s[16:17]
	v_lshlrev_b32_e32 v19, 2, v19
	ds_bpermute_b32 v35, v19, v18
	v_cmp_eq_u32_e64 s[16:17], 0, v31
	s_and_saveexec_b64 s[26:27], vcc
	s_cbranch_execz .LBB841_233
; %bb.215:
	v_mov_b32_e32 v25, 0
	ds_read_b32 v18, v25 offset:4
	s_and_saveexec_b64 s[28:29], s[16:17]
	s_cbranch_execz .LBB841_217
; %bb.216:
	s_add_i32 s36, s6, 64
	s_mov_b32 s37, 0
	s_lshl_b64 s[36:37], s[36:37], 3
	s_add_u32 s36, s30, s36
	v_mov_b32_e32 v19, 1
	s_addc_u32 s37, s31, s37
	s_waitcnt lgkmcnt(0)
	global_store_dwordx2 v25, v[18:19], s[36:37]
.LBB841_217:
	s_or_b64 exec, exec, s[28:29]
	v_xad_u32 v20, v31, -1, s6
	v_add_u32_e32 v24, 64, v20
	v_lshlrev_b64 v[22:23], 3, v[24:25]
	v_mov_b32_e32 v19, s31
	v_add_co_u32_e32 v26, vcc, s30, v22
	v_addc_co_u32_e32 v27, vcc, v19, v23, vcc
	global_load_dwordx2 v[22:23], v[26:27], off glc
	s_waitcnt vmcnt(0)
	v_cmp_eq_u16_sdwa s[36:37], v23, v25 src0_sel:BYTE_0 src1_sel:DWORD
	s_and_saveexec_b64 s[28:29], s[36:37]
	s_cbranch_execz .LBB841_221
; %bb.218:
	s_mov_b64 s[36:37], 0
	v_mov_b32_e32 v19, 0
.LBB841_219:                            ; =>This Inner Loop Header: Depth=1
	global_load_dwordx2 v[22:23], v[26:27], off glc
	s_waitcnt vmcnt(0)
	v_cmp_ne_u16_sdwa s[38:39], v23, v19 src0_sel:BYTE_0 src1_sel:DWORD
	s_or_b64 s[36:37], s[38:39], s[36:37]
	s_andn2_b64 exec, exec, s[36:37]
	s_cbranch_execnz .LBB841_219
; %bb.220:
	s_or_b64 exec, exec, s[36:37]
.LBB841_221:
	s_or_b64 exec, exec, s[28:29]
	v_and_b32_e32 v36, 63, v31
	v_mov_b32_e32 v19, 2
	v_cmp_ne_u32_e32 vcc, 63, v36
	v_cmp_eq_u16_sdwa s[28:29], v23, v19 src0_sel:BYTE_0 src1_sel:DWORD
	v_lshlrev_b64 v[24:25], v31, -1
	v_addc_co_u32_e32 v27, vcc, 0, v31, vcc
	v_and_b32_e32 v21, s29, v25
	v_lshlrev_b32_e32 v37, 2, v27
	v_or_b32_e32 v21, 0x80000000, v21
	ds_bpermute_b32 v27, v37, v22
	v_and_b32_e32 v26, s28, v24
	v_ffbl_b32_e32 v21, v21
	v_add_u32_e32 v21, 32, v21
	v_ffbl_b32_e32 v26, v26
	v_min_u32_e32 v21, v26, v21
	v_cmp_lt_u32_e32 vcc, v36, v21
	s_waitcnt lgkmcnt(0)
	v_cndmask_b32_e32 v26, 0, v27, vcc
	v_cmp_gt_u32_e32 vcc, 62, v36
	v_add_u32_e32 v22, v26, v22
	v_cndmask_b32_e64 v26, 0, 1, vcc
	v_lshlrev_b32_e32 v26, 1, v26
	v_add_lshl_u32 v38, v26, v31, 2
	ds_bpermute_b32 v26, v38, v22
	v_add_u32_e32 v39, 2, v36
	v_cmp_le_u32_e32 vcc, v39, v21
	v_add_u32_e32 v41, 4, v36
	v_add_u32_e32 v43, 8, v36
	s_waitcnt lgkmcnt(0)
	v_cndmask_b32_e32 v26, 0, v26, vcc
	v_cmp_gt_u32_e32 vcc, 60, v36
	v_add_u32_e32 v22, v22, v26
	v_cndmask_b32_e64 v26, 0, 1, vcc
	v_lshlrev_b32_e32 v26, 2, v26
	v_add_lshl_u32 v40, v26, v31, 2
	ds_bpermute_b32 v26, v40, v22
	v_cmp_le_u32_e32 vcc, v41, v21
	v_add_u32_e32 v46, 16, v36
	v_add_u32_e32 v48, 32, v36
	s_waitcnt lgkmcnt(0)
	v_cndmask_b32_e32 v26, 0, v26, vcc
	v_cmp_gt_u32_e32 vcc, 56, v36
	v_add_u32_e32 v22, v22, v26
	v_cndmask_b32_e64 v26, 0, 1, vcc
	v_lshlrev_b32_e32 v26, 3, v26
	v_add_lshl_u32 v42, v26, v31, 2
	ds_bpermute_b32 v26, v42, v22
	v_cmp_le_u32_e32 vcc, v43, v21
	s_waitcnt lgkmcnt(0)
	v_cndmask_b32_e32 v26, 0, v26, vcc
	v_cmp_gt_u32_e32 vcc, 48, v36
	v_add_u32_e32 v22, v22, v26
	v_cndmask_b32_e64 v26, 0, 1, vcc
	v_lshlrev_b32_e32 v26, 4, v26
	v_add_lshl_u32 v45, v26, v31, 2
	ds_bpermute_b32 v26, v45, v22
	v_cmp_le_u32_e32 vcc, v46, v21
	;; [unrolled: 9-line block ×3, first 2 shown]
	s_waitcnt lgkmcnt(0)
	v_cndmask_b32_e32 v21, 0, v26, vcc
	v_add_u32_e32 v22, v22, v21
	v_mov_b32_e32 v21, 0
	s_branch .LBB841_223
.LBB841_222:                            ;   in Loop: Header=BB841_223 Depth=1
	s_or_b64 exec, exec, s[28:29]
	v_cmp_eq_u16_sdwa s[28:29], v23, v19 src0_sel:BYTE_0 src1_sel:DWORD
	v_and_b32_e32 v26, s29, v25
	v_or_b32_e32 v26, 0x80000000, v26
	ds_bpermute_b32 v49, v37, v22
	v_and_b32_e32 v27, s28, v24
	v_ffbl_b32_e32 v26, v26
	v_add_u32_e32 v26, 32, v26
	v_ffbl_b32_e32 v27, v27
	v_min_u32_e32 v26, v27, v26
	v_cmp_lt_u32_e32 vcc, v36, v26
	s_waitcnt lgkmcnt(0)
	v_cndmask_b32_e32 v27, 0, v49, vcc
	v_add_u32_e32 v22, v27, v22
	ds_bpermute_b32 v27, v38, v22
	v_cmp_le_u32_e32 vcc, v39, v26
	v_subrev_u32_e32 v20, 64, v20
	s_waitcnt lgkmcnt(0)
	v_cndmask_b32_e32 v27, 0, v27, vcc
	v_add_u32_e32 v22, v22, v27
	ds_bpermute_b32 v27, v40, v22
	v_cmp_le_u32_e32 vcc, v41, v26
	s_waitcnt lgkmcnt(0)
	v_cndmask_b32_e32 v27, 0, v27, vcc
	v_add_u32_e32 v22, v22, v27
	ds_bpermute_b32 v27, v42, v22
	v_cmp_le_u32_e32 vcc, v43, v26
	;; [unrolled: 5-line block ×4, first 2 shown]
	s_waitcnt lgkmcnt(0)
	v_cndmask_b32_e32 v26, 0, v27, vcc
	v_add3_u32 v22, v26, v44, v22
.LBB841_223:                            ; =>This Loop Header: Depth=1
                                        ;     Child Loop BB841_226 Depth 2
	v_cmp_ne_u16_sdwa s[28:29], v23, v19 src0_sel:BYTE_0 src1_sel:DWORD
	v_cndmask_b32_e64 v23, 0, 1, s[28:29]
	;;#ASMSTART
	;;#ASMEND
	v_cmp_ne_u32_e32 vcc, 0, v23
	s_cmp_lg_u64 vcc, exec
	v_mov_b32_e32 v44, v22
	s_cbranch_scc1 .LBB841_228
; %bb.224:                              ;   in Loop: Header=BB841_223 Depth=1
	v_lshlrev_b64 v[22:23], 3, v[20:21]
	v_mov_b32_e32 v27, s31
	v_add_co_u32_e32 v26, vcc, s30, v22
	v_addc_co_u32_e32 v27, vcc, v27, v23, vcc
	global_load_dwordx2 v[22:23], v[26:27], off glc
	s_waitcnt vmcnt(0)
	v_cmp_eq_u16_sdwa s[36:37], v23, v21 src0_sel:BYTE_0 src1_sel:DWORD
	s_and_saveexec_b64 s[28:29], s[36:37]
	s_cbranch_execz .LBB841_222
; %bb.225:                              ;   in Loop: Header=BB841_223 Depth=1
	s_mov_b64 s[36:37], 0
.LBB841_226:                            ;   Parent Loop BB841_223 Depth=1
                                        ; =>  This Inner Loop Header: Depth=2
	global_load_dwordx2 v[22:23], v[26:27], off glc
	s_waitcnt vmcnt(0)
	v_cmp_ne_u16_sdwa s[38:39], v23, v21 src0_sel:BYTE_0 src1_sel:DWORD
	s_or_b64 s[36:37], s[38:39], s[36:37]
	s_andn2_b64 exec, exec, s[36:37]
	s_cbranch_execnz .LBB841_226
; %bb.227:                              ;   in Loop: Header=BB841_223 Depth=1
	s_or_b64 exec, exec, s[36:37]
	s_branch .LBB841_222
.LBB841_228:                            ;   in Loop: Header=BB841_223 Depth=1
                                        ; implicit-def: $vgpr22
                                        ; implicit-def: $vgpr23
	s_cbranch_execz .LBB841_223
; %bb.229:
	s_and_saveexec_b64 s[28:29], s[16:17]
	s_cbranch_execz .LBB841_231
; %bb.230:
	s_add_i32 s6, s6, 64
	s_mov_b32 s7, 0
	s_lshl_b64 s[6:7], s[6:7], 3
	s_add_u32 s6, s30, s6
	v_add_u32_e32 v20, v44, v18
	v_mov_b32_e32 v21, 2
	s_addc_u32 s7, s31, s7
	v_mov_b32_e32 v19, 0
	global_store_dwordx2 v19, v[20:21], s[6:7]
	s_movk_i32 s6, 0x1000
	v_add_u32_e64 v19, s6, 0
	ds_write2_b32 v19, v18, v44 offset0:32 offset1:34
.LBB841_231:
	s_or_b64 exec, exec, s[28:29]
	v_cmp_eq_u32_e32 vcc, 0, v0
	s_and_b64 exec, exec, vcc
	s_cbranch_execz .LBB841_233
; %bb.232:
	v_mov_b32_e32 v18, 0
	ds_write_b32 v18, v44 offset:4
.LBB841_233:
	s_or_b64 exec, exec, s[26:27]
	v_mov_b32_e32 v19, 0
	s_waitcnt lgkmcnt(0)
	s_barrier
	ds_read_b32 v19, v19 offset:4
	s_movk_i32 s6, 0x1000
	v_add_u32_e64 v20, s6, 0
	v_cndmask_b32_e64 v18, v35, v34, s[16:17]
	v_cmp_ne_u32_e32 vcc, 0, v0
	s_waitcnt lgkmcnt(0)
	s_barrier
	ds_read2_b32 v[26:27], v20 offset0:32 offset1:34
	v_cndmask_b32_e32 v18, 0, v18, vcc
	v_add_u32_e32 v24, v19, v18
	v_add_u32_sdwa v22, v24, v28 dst_sel:DWORD dst_unused:UNUSED_PAD src0_sel:DWORD src1_sel:BYTE_0
	v_add_u32_sdwa v20, v22, v28 dst_sel:DWORD dst_unused:UNUSED_PAD src0_sel:DWORD src1_sel:BYTE_1
	v_add_u32_e32 v18, v20, v30
	s_waitcnt lgkmcnt(0)
	v_readfirstlane_b32 s26, v26
	v_readfirstlane_b32 s16, v27
	s_branch .LBB841_244
.LBB841_234:
                                        ; implicit-def: $vgpr18
                                        ; implicit-def: $vgpr20
                                        ; implicit-def: $vgpr22
                                        ; implicit-def: $vgpr24
                                        ; implicit-def: $sgpr16
                                        ; implicit-def: $sgpr26
	s_cbranch_execz .LBB841_244
; %bb.235:
	s_nop 0
	v_mov_b32_dpp v18, v33 row_shr:1 row_mask:0xf bank_mask:0xf
	v_cndmask_b32_e64 v18, v18, 0, s[14:15]
	v_add_u32_e32 v18, v18, v33
	s_nop 1
	v_mov_b32_dpp v19, v18 row_shr:2 row_mask:0xf bank_mask:0xf
	v_cndmask_b32_e64 v19, 0, v19, s[12:13]
	v_add_u32_e32 v18, v18, v19
	;; [unrolled: 4-line block ×4, first 2 shown]
	s_nop 1
	v_mov_b32_dpp v19, v18 row_bcast:15 row_mask:0xf bank_mask:0xf
	v_cndmask_b32_e64 v19, v19, 0, s[18:19]
	v_add_u32_e32 v18, v18, v19
	s_nop 1
	v_mov_b32_dpp v19, v18 row_bcast:31 row_mask:0xf bank_mask:0xf
	v_cndmask_b32_e64 v19, 0, v19, s[0:1]
	v_add_u32_e32 v18, v18, v19
	s_and_saveexec_b64 s[0:1], s[2:3]
	s_cbranch_execz .LBB841_237
; %bb.236:
	v_lshlrev_b32_e32 v19, 2, v32
	ds_write_b32 v19, v18
.LBB841_237:
	s_or_b64 exec, exec, s[0:1]
	v_cmp_gt_u32_e32 vcc, 2, v0
	s_waitcnt lgkmcnt(0)
	s_barrier
	s_and_saveexec_b64 s[0:1], vcc
	s_cbranch_execz .LBB841_239
; %bb.238:
	ds_read_b32 v19, v1
	v_bfe_i32 v20, v31, 0, 1
	s_waitcnt lgkmcnt(0)
	v_mov_b32_dpp v21, v19 row_shr:1 row_mask:0xf bank_mask:0xf
	v_and_b32_e32 v20, v20, v21
	v_add_u32_e32 v19, v20, v19
	ds_write_b32 v1, v19
.LBB841_239:
	s_or_b64 exec, exec, s[0:1]
	v_cmp_lt_u32_e32 vcc, 63, v0
	v_mov_b32_e32 v19, 0
	v_mov_b32_e32 v1, 0
	s_waitcnt lgkmcnt(0)
	s_barrier
	s_and_saveexec_b64 s[0:1], vcc
	s_cbranch_execz .LBB841_241
; %bb.240:
	v_lshl_add_u32 v1, v32, 2, -4
	ds_read_b32 v1, v1
.LBB841_241:
	s_or_b64 exec, exec, s[0:1]
	v_add_u32_e32 v20, -1, v31
	v_and_b32_e32 v21, 64, v31
	v_cmp_lt_i32_e32 vcc, v20, v21
	v_cndmask_b32_e32 v20, v20, v31, vcc
	s_waitcnt lgkmcnt(0)
	v_add_u32_e32 v18, v1, v18
	v_lshlrev_b32_e32 v20, 2, v20
	ds_read_b32 v19, v19 offset:4
	ds_bpermute_b32 v18, v20, v18
	s_mov_b32 s16, 0
	v_cmp_eq_u32_e32 vcc, 0, v0
	s_waitcnt lgkmcnt(1)
	v_readfirstlane_b32 s26, v19
	s_and_saveexec_b64 s[0:1], vcc
	s_cbranch_execz .LBB841_243
; %bb.242:
	v_mov_b32_e32 v19, 0
	v_mov_b32_e32 v20, s26
	;; [unrolled: 1-line block ×3, first 2 shown]
	global_store_dwordx2 v19, v[20:21], s[30:31] offset:512
.LBB841_243:
	s_or_b64 exec, exec, s[0:1]
	v_cmp_eq_u32_e64 s[0:1], 0, v31
	s_waitcnt lgkmcnt(0)
	v_cndmask_b32_e64 v1, v18, v1, s[0:1]
	v_cndmask_b32_e64 v24, v1, 0, vcc
	v_add_u32_sdwa v22, v24, v28 dst_sel:DWORD dst_unused:UNUSED_PAD src0_sel:DWORD src1_sel:BYTE_0
	v_add_u32_sdwa v20, v22, v28 dst_sel:DWORD dst_unused:UNUSED_PAD src0_sel:DWORD src1_sel:BYTE_1
	v_add_u32_e32 v18, v20, v30
	s_barrier
.LBB841_244:
	s_load_dwordx4 s[4:7], s[4:5], 0x28
	s_cmpk_lt_u32 s26, 0x81
	s_cselect_b64 s[2:3], -1, 0
	v_lshrrev_b32_e32 v1, 8, v28
	s_mov_b64 s[0:1], -1
	s_and_b64 vcc, exec, s[2:3]
	s_cbranch_vccz .LBB841_258
; %bb.245:
	s_add_i32 s8, s16, s26
	v_cmp_gt_u32_e32 vcc, s8, v24
	s_or_b64 s[10:11], s[34:35], vcc
	s_and_saveexec_b64 s[0:1], s[10:11]
	s_cbranch_execz .LBB841_248
; %bb.246:
	v_and_b32_e32 v19, 1, v28
	v_cmp_eq_u32_e32 vcc, 1, v19
	s_and_b64 exec, exec, vcc
	s_cbranch_execz .LBB841_248
; %bb.247:
	s_lshl_b64 s[10:11], s[22:23], 3
	s_waitcnt lgkmcnt(0)
	s_add_u32 s9, s4, s10
	v_mov_b32_e32 v25, 0
	s_addc_u32 s10, s5, s11
	v_lshlrev_b64 v[26:27], 3, v[24:25]
	v_mov_b32_e32 v19, s10
	v_add_co_u32_e32 v26, vcc, s9, v26
	v_addc_co_u32_e32 v27, vcc, v19, v27, vcc
	global_store_dwordx2 v[26:27], v[14:15], off
.LBB841_248:
	s_or_b64 exec, exec, s[0:1]
	v_cmp_gt_u32_e32 vcc, s8, v22
	s_or_b64 s[10:11], s[34:35], vcc
	s_and_saveexec_b64 s[0:1], s[10:11]
	s_cbranch_execz .LBB841_251
; %bb.249:
	v_and_b32_e32 v19, 1, v1
	v_cmp_eq_u32_e32 vcc, 1, v19
	s_and_b64 exec, exec, vcc
	s_cbranch_execz .LBB841_251
; %bb.250:
	s_lshl_b64 s[10:11], s[22:23], 3
	s_waitcnt lgkmcnt(0)
	s_add_u32 s9, s4, s10
	v_mov_b32_e32 v23, 0
	s_addc_u32 s10, s5, s11
	v_lshlrev_b64 v[26:27], 3, v[22:23]
	v_mov_b32_e32 v19, s10
	v_add_co_u32_e32 v26, vcc, s9, v26
	v_addc_co_u32_e32 v27, vcc, v19, v27, vcc
	global_store_dwordx2 v[26:27], v[16:17], off
.LBB841_251:
	s_or_b64 exec, exec, s[0:1]
	v_cmp_gt_u32_e32 vcc, s8, v20
	s_or_b64 s[10:11], s[34:35], vcc
	s_and_saveexec_b64 s[0:1], s[10:11]
	s_cbranch_execz .LBB841_254
; %bb.252:
	v_mov_b32_e32 v19, 1
	v_and_b32_sdwa v19, v19, v28 dst_sel:DWORD dst_unused:UNUSED_PAD src0_sel:DWORD src1_sel:WORD_1
	v_cmp_eq_u32_e32 vcc, 1, v19
	s_and_b64 exec, exec, vcc
	s_cbranch_execz .LBB841_254
; %bb.253:
	s_lshl_b64 s[10:11], s[22:23], 3
	s_waitcnt lgkmcnt(0)
	s_add_u32 s9, s4, s10
	v_mov_b32_e32 v21, 0
	s_addc_u32 s10, s5, s11
	v_lshlrev_b64 v[26:27], 3, v[20:21]
	v_mov_b32_e32 v19, s10
	v_add_co_u32_e32 v26, vcc, s9, v26
	v_addc_co_u32_e32 v27, vcc, v19, v27, vcc
	global_store_dwordx2 v[26:27], v[10:11], off
.LBB841_254:
	s_or_b64 exec, exec, s[0:1]
	v_cmp_gt_u32_e32 vcc, s8, v18
	s_or_b64 s[8:9], s[34:35], vcc
	s_and_saveexec_b64 s[0:1], s[8:9]
	s_cbranch_execz .LBB841_257
; %bb.255:
	v_and_b32_e32 v19, 1, v29
	v_cmp_eq_u32_e32 vcc, 1, v19
	s_and_b64 exec, exec, vcc
	s_cbranch_execz .LBB841_257
; %bb.256:
	s_lshl_b64 s[8:9], s[22:23], 3
	s_waitcnt lgkmcnt(0)
	s_add_u32 s8, s4, s8
	v_mov_b32_e32 v19, 0
	s_addc_u32 s9, s5, s9
	v_lshlrev_b64 v[26:27], 3, v[18:19]
	v_mov_b32_e32 v19, s9
	v_add_co_u32_e32 v26, vcc, s8, v26
	v_addc_co_u32_e32 v27, vcc, v19, v27, vcc
	global_store_dwordx2 v[26:27], v[12:13], off
.LBB841_257:
	s_or_b64 exec, exec, s[0:1]
	s_mov_b64 s[0:1], 0
.LBB841_258:
	v_and_b32_e32 v26, 1, v28
	s_and_b64 vcc, exec, s[0:1]
	v_cmp_eq_u32_e64 s[0:1], 1, v26
	s_cbranch_vccz .LBB841_271
; %bb.259:
	s_and_saveexec_b64 s[8:9], s[0:1]
	s_cbranch_execz .LBB841_261
; %bb.260:
	v_subrev_u32_e32 v19, s16, v24
	v_lshlrev_b32_e32 v19, 3, v19
	ds_write_b64 v19, v[14:15]
.LBB841_261:
	s_or_b64 exec, exec, s[8:9]
	v_and_b32_e32 v14, 1, v1
	v_cmp_eq_u32_e32 vcc, 1, v14
	s_and_saveexec_b64 s[0:1], vcc
	s_cbranch_execz .LBB841_263
; %bb.262:
	v_subrev_u32_e32 v14, s16, v22
	v_lshlrev_b32_e32 v14, 3, v14
	ds_write_b64 v14, v[16:17]
.LBB841_263:
	s_or_b64 exec, exec, s[0:1]
	v_mov_b32_e32 v14, 1
	v_and_b32_sdwa v14, v14, v28 dst_sel:DWORD dst_unused:UNUSED_PAD src0_sel:DWORD src1_sel:WORD_1
	v_cmp_eq_u32_e32 vcc, 1, v14
	s_and_saveexec_b64 s[0:1], vcc
	s_cbranch_execz .LBB841_265
; %bb.264:
	v_subrev_u32_e32 v14, s16, v20
	v_lshlrev_b32_e32 v14, 3, v14
	ds_write_b64 v14, v[10:11]
.LBB841_265:
	s_or_b64 exec, exec, s[0:1]
	v_and_b32_e32 v10, 1, v29
	v_cmp_eq_u32_e32 vcc, 1, v10
	s_and_saveexec_b64 s[0:1], vcc
	s_cbranch_execz .LBB841_267
; %bb.266:
	v_subrev_u32_e32 v10, s16, v18
	v_lshlrev_b32_e32 v10, 3, v10
	ds_write_b64 v10, v[12:13]
.LBB841_267:
	s_or_b64 exec, exec, s[0:1]
	v_cmp_gt_u32_e32 vcc, s26, v0
	s_waitcnt lgkmcnt(0)
	s_barrier
	s_and_saveexec_b64 s[0:1], vcc
	s_cbranch_execz .LBB841_270
; %bb.268:
	s_mov_b32 s17, 0
	s_lshl_b64 s[8:9], s[16:17], 3
	s_add_u32 s8, s4, s8
	s_addc_u32 s9, s5, s9
	s_lshl_b64 s[4:5], s[22:23], 3
	s_add_u32 s8, s8, s4
	s_addc_u32 s9, s9, s5
	v_lshlrev_b32_e32 v12, 3, v0
	s_mov_b64 s[4:5], 0
	v_mov_b32_e32 v11, 0
	v_mov_b32_e32 v13, s9
	;; [unrolled: 1-line block ×3, first 2 shown]
.LBB841_269:                            ; =>This Inner Loop Header: Depth=1
	ds_read_b64 v[14:15], v12
	v_lshlrev_b64 v[16:17], 3, v[10:11]
	v_add_co_u32_e32 v16, vcc, s8, v16
	v_add_u32_e32 v10, 0x80, v10
	v_addc_co_u32_e32 v17, vcc, v13, v17, vcc
	v_cmp_le_u32_e32 vcc, s26, v10
	v_add_u32_e32 v12, 0x400, v12
	s_or_b64 s[4:5], vcc, s[4:5]
	s_waitcnt lgkmcnt(0)
	global_store_dwordx2 v[16:17], v[14:15], off
	s_andn2_b64 exec, exec, s[4:5]
	s_cbranch_execnz .LBB841_269
.LBB841_270:
	s_or_b64 exec, exec, s[0:1]
.LBB841_271:
	s_mov_b64 s[0:1], -1
	s_and_b64 vcc, exec, s[2:3]
	s_waitcnt lgkmcnt(0)
	s_barrier
	s_cbranch_vccnz .LBB841_275
; %bb.272:
	s_and_b64 vcc, exec, s[0:1]
	s_cbranch_vccnz .LBB841_288
.LBB841_273:
	v_cmp_eq_u32_e32 vcc, 0, v0
	s_and_b64 s[0:1], vcc, s[24:25]
	s_and_saveexec_b64 s[2:3], s[0:1]
	s_cbranch_execnz .LBB841_300
.LBB841_274:
	s_endpgm
.LBB841_275:
	s_add_i32 s2, s16, s26
	v_cmp_gt_u32_e32 vcc, s2, v24
	s_or_b64 s[4:5], s[34:35], vcc
	s_and_saveexec_b64 s[0:1], s[4:5]
	s_cbranch_execz .LBB841_278
; %bb.276:
	v_cmp_eq_u32_e32 vcc, 1, v26
	s_and_b64 exec, exec, vcc
	s_cbranch_execz .LBB841_278
; %bb.277:
	s_lshl_b64 s[4:5], s[22:23], 3
	s_add_u32 s3, s6, s4
	v_mov_b32_e32 v25, 0
	s_addc_u32 s4, s7, s5
	v_lshlrev_b64 v[10:11], 3, v[24:25]
	v_mov_b32_e32 v12, s4
	v_add_co_u32_e32 v10, vcc, s3, v10
	v_addc_co_u32_e32 v11, vcc, v12, v11, vcc
	global_store_dwordx2 v[10:11], v[6:7], off
.LBB841_278:
	s_or_b64 exec, exec, s[0:1]
	v_cmp_gt_u32_e32 vcc, s2, v22
	s_or_b64 s[4:5], s[34:35], vcc
	s_and_saveexec_b64 s[0:1], s[4:5]
	s_cbranch_execz .LBB841_281
; %bb.279:
	v_and_b32_e32 v10, 1, v1
	v_cmp_eq_u32_e32 vcc, 1, v10
	s_and_b64 exec, exec, vcc
	s_cbranch_execz .LBB841_281
; %bb.280:
	s_lshl_b64 s[4:5], s[22:23], 3
	s_add_u32 s3, s6, s4
	v_mov_b32_e32 v23, 0
	s_addc_u32 s4, s7, s5
	v_lshlrev_b64 v[10:11], 3, v[22:23]
	v_mov_b32_e32 v12, s4
	v_add_co_u32_e32 v10, vcc, s3, v10
	v_addc_co_u32_e32 v11, vcc, v12, v11, vcc
	global_store_dwordx2 v[10:11], v[8:9], off
.LBB841_281:
	s_or_b64 exec, exec, s[0:1]
	v_cmp_gt_u32_e32 vcc, s2, v20
	s_or_b64 s[4:5], s[34:35], vcc
	s_and_saveexec_b64 s[0:1], s[4:5]
	s_cbranch_execz .LBB841_284
; %bb.282:
	v_mov_b32_e32 v10, 1
	v_and_b32_sdwa v10, v10, v28 dst_sel:DWORD dst_unused:UNUSED_PAD src0_sel:DWORD src1_sel:WORD_1
	v_cmp_eq_u32_e32 vcc, 1, v10
	s_and_b64 exec, exec, vcc
	s_cbranch_execz .LBB841_284
; %bb.283:
	s_lshl_b64 s[4:5], s[22:23], 3
	s_add_u32 s3, s6, s4
	v_mov_b32_e32 v21, 0
	s_addc_u32 s4, s7, s5
	v_lshlrev_b64 v[10:11], 3, v[20:21]
	v_mov_b32_e32 v12, s4
	v_add_co_u32_e32 v10, vcc, s3, v10
	v_addc_co_u32_e32 v11, vcc, v12, v11, vcc
	global_store_dwordx2 v[10:11], v[2:3], off
.LBB841_284:
	s_or_b64 exec, exec, s[0:1]
	v_cmp_gt_u32_e32 vcc, s2, v18
	s_or_b64 s[2:3], s[34:35], vcc
	s_and_saveexec_b64 s[0:1], s[2:3]
	s_cbranch_execz .LBB841_287
; %bb.285:
	v_and_b32_e32 v10, 1, v29
	v_cmp_eq_u32_e32 vcc, 1, v10
	s_and_b64 exec, exec, vcc
	s_cbranch_execz .LBB841_287
; %bb.286:
	s_lshl_b64 s[2:3], s[22:23], 3
	s_add_u32 s2, s6, s2
	v_mov_b32_e32 v19, 0
	s_addc_u32 s3, s7, s3
	v_lshlrev_b64 v[10:11], 3, v[18:19]
	v_mov_b32_e32 v12, s3
	v_add_co_u32_e32 v10, vcc, s2, v10
	v_addc_co_u32_e32 v11, vcc, v12, v11, vcc
	global_store_dwordx2 v[10:11], v[4:5], off
.LBB841_287:
	s_or_b64 exec, exec, s[0:1]
	s_branch .LBB841_273
.LBB841_288:
	v_cmp_eq_u32_e32 vcc, 1, v26
	s_and_saveexec_b64 s[0:1], vcc
	s_cbranch_execz .LBB841_290
; %bb.289:
	v_subrev_u32_e32 v10, s16, v24
	v_lshlrev_b32_e32 v10, 3, v10
	ds_write_b64 v10, v[6:7]
.LBB841_290:
	s_or_b64 exec, exec, s[0:1]
	v_and_b32_e32 v1, 1, v1
	v_cmp_eq_u32_e32 vcc, 1, v1
	s_and_saveexec_b64 s[0:1], vcc
	s_cbranch_execz .LBB841_292
; %bb.291:
	v_subrev_u32_e32 v1, s16, v22
	v_lshlrev_b32_e32 v1, 3, v1
	ds_write_b64 v1, v[8:9]
.LBB841_292:
	s_or_b64 exec, exec, s[0:1]
	v_mov_b32_e32 v1, 1
	v_and_b32_sdwa v1, v1, v28 dst_sel:DWORD dst_unused:UNUSED_PAD src0_sel:DWORD src1_sel:WORD_1
	v_cmp_eq_u32_e32 vcc, 1, v1
	s_and_saveexec_b64 s[0:1], vcc
	s_cbranch_execz .LBB841_294
; %bb.293:
	v_subrev_u32_e32 v1, s16, v20
	v_lshlrev_b32_e32 v1, 3, v1
	ds_write_b64 v1, v[2:3]
.LBB841_294:
	s_or_b64 exec, exec, s[0:1]
	v_and_b32_e32 v1, 1, v29
	v_cmp_eq_u32_e32 vcc, 1, v1
	s_and_saveexec_b64 s[0:1], vcc
	s_cbranch_execz .LBB841_296
; %bb.295:
	v_subrev_u32_e32 v1, s16, v18
	v_lshlrev_b32_e32 v1, 3, v1
	ds_write_b64 v1, v[4:5]
.LBB841_296:
	s_or_b64 exec, exec, s[0:1]
	v_cmp_gt_u32_e32 vcc, s26, v0
	s_waitcnt lgkmcnt(0)
	s_barrier
	s_and_saveexec_b64 s[0:1], vcc
	s_cbranch_execz .LBB841_299
; %bb.297:
	s_mov_b32 s17, 0
	s_lshl_b64 s[2:3], s[16:17], 3
	s_add_u32 s4, s6, s2
	s_addc_u32 s5, s7, s3
	s_lshl_b64 s[2:3], s[22:23], 3
	s_add_u32 s4, s4, s2
	s_addc_u32 s5, s5, s3
	v_lshlrev_b32_e32 v1, 3, v0
	s_mov_b64 s[2:3], 0
	v_mov_b32_e32 v3, 0
	v_mov_b32_e32 v4, s5
	v_mov_b32_e32 v2, v0
.LBB841_298:                            ; =>This Inner Loop Header: Depth=1
	ds_read_b64 v[6:7], v1
	v_lshlrev_b64 v[8:9], 3, v[2:3]
	v_add_co_u32_e32 v8, vcc, s4, v8
	v_add_u32_e32 v2, 0x80, v2
	v_addc_co_u32_e32 v9, vcc, v4, v9, vcc
	v_cmp_le_u32_e32 vcc, s26, v2
	v_add_u32_e32 v1, 0x400, v1
	s_or_b64 s[2:3], vcc, s[2:3]
	s_waitcnt lgkmcnt(0)
	global_store_dwordx2 v[8:9], v[6:7], off
	s_andn2_b64 exec, exec, s[2:3]
	s_cbranch_execnz .LBB841_298
.LBB841_299:
	s_or_b64 exec, exec, s[0:1]
	v_cmp_eq_u32_e32 vcc, 0, v0
	s_and_b64 s[0:1], vcc, s[24:25]
	s_and_saveexec_b64 s[2:3], s[0:1]
	s_cbranch_execz .LBB841_274
.LBB841_300:
	s_add_u32 s0, s22, s26
	s_addc_u32 s1, s23, 0
	s_add_u32 s0, s0, s16
	s_addc_u32 s1, s1, 0
	v_mov_b32_e32 v2, 0
	v_pk_mov_b32 v[0:1], s[0:1], s[0:1] op_sel:[0,1]
	global_store_dwordx2 v2, v[0:1], s[20:21]
	s_endpgm
	.section	.rodata,"a",@progbits
	.p2align	6, 0x0
	.amdhsa_kernel _ZN7rocprim17ROCPRIM_400000_NS6detail17trampoline_kernelINS0_14default_configENS1_25partition_config_selectorILNS1_17partition_subalgoE9EllbEEZZNS1_14partition_implILS5_9ELb0ES3_jPlS8_PNS0_10empty_typeENS0_5tupleIJS8_S9_EEENSB_IJS8_SA_EEENS0_18inequality_wrapperIZN2at6native12_GLOBAL__N_124unique_dim_cuda_templateIdEESt5tupleIJNSF_6TensorESK_SK_EERKSK_lbbbEUlllE0_EEPmJS9_EEE10hipError_tPvRmT3_T4_T5_T6_T7_T9_mT8_P12ihipStream_tbDpT10_ENKUlT_T0_E_clISt17integral_constantIbLb0EES1A_EEDaS15_S16_EUlS15_E_NS1_11comp_targetILNS1_3genE4ELNS1_11target_archE910ELNS1_3gpuE8ELNS1_3repE0EEENS1_30default_config_static_selectorELNS0_4arch9wavefront6targetE1EEEvT1_
		.amdhsa_group_segment_fixed_size 4236
		.amdhsa_private_segment_fixed_size 0
		.amdhsa_kernarg_size 120
		.amdhsa_user_sgpr_count 6
		.amdhsa_user_sgpr_private_segment_buffer 1
		.amdhsa_user_sgpr_dispatch_ptr 0
		.amdhsa_user_sgpr_queue_ptr 0
		.amdhsa_user_sgpr_kernarg_segment_ptr 1
		.amdhsa_user_sgpr_dispatch_id 0
		.amdhsa_user_sgpr_flat_scratch_init 0
		.amdhsa_user_sgpr_kernarg_preload_length 0
		.amdhsa_user_sgpr_kernarg_preload_offset 0
		.amdhsa_user_sgpr_private_segment_size 0
		.amdhsa_uses_dynamic_stack 0
		.amdhsa_system_sgpr_private_segment_wavefront_offset 0
		.amdhsa_system_sgpr_workgroup_id_x 1
		.amdhsa_system_sgpr_workgroup_id_y 0
		.amdhsa_system_sgpr_workgroup_id_z 0
		.amdhsa_system_sgpr_workgroup_info 0
		.amdhsa_system_vgpr_workitem_id 0
		.amdhsa_next_free_vgpr 50
		.amdhsa_next_free_sgpr 46
		.amdhsa_accum_offset 52
		.amdhsa_reserve_vcc 1
		.amdhsa_reserve_flat_scratch 0
		.amdhsa_float_round_mode_32 0
		.amdhsa_float_round_mode_16_64 0
		.amdhsa_float_denorm_mode_32 3
		.amdhsa_float_denorm_mode_16_64 3
		.amdhsa_dx10_clamp 1
		.amdhsa_ieee_mode 1
		.amdhsa_fp16_overflow 0
		.amdhsa_tg_split 0
		.amdhsa_exception_fp_ieee_invalid_op 0
		.amdhsa_exception_fp_denorm_src 0
		.amdhsa_exception_fp_ieee_div_zero 0
		.amdhsa_exception_fp_ieee_overflow 0
		.amdhsa_exception_fp_ieee_underflow 0
		.amdhsa_exception_fp_ieee_inexact 0
		.amdhsa_exception_int_div_zero 0
	.end_amdhsa_kernel
	.section	.text._ZN7rocprim17ROCPRIM_400000_NS6detail17trampoline_kernelINS0_14default_configENS1_25partition_config_selectorILNS1_17partition_subalgoE9EllbEEZZNS1_14partition_implILS5_9ELb0ES3_jPlS8_PNS0_10empty_typeENS0_5tupleIJS8_S9_EEENSB_IJS8_SA_EEENS0_18inequality_wrapperIZN2at6native12_GLOBAL__N_124unique_dim_cuda_templateIdEESt5tupleIJNSF_6TensorESK_SK_EERKSK_lbbbEUlllE0_EEPmJS9_EEE10hipError_tPvRmT3_T4_T5_T6_T7_T9_mT8_P12ihipStream_tbDpT10_ENKUlT_T0_E_clISt17integral_constantIbLb0EES1A_EEDaS15_S16_EUlS15_E_NS1_11comp_targetILNS1_3genE4ELNS1_11target_archE910ELNS1_3gpuE8ELNS1_3repE0EEENS1_30default_config_static_selectorELNS0_4arch9wavefront6targetE1EEEvT1_,"axG",@progbits,_ZN7rocprim17ROCPRIM_400000_NS6detail17trampoline_kernelINS0_14default_configENS1_25partition_config_selectorILNS1_17partition_subalgoE9EllbEEZZNS1_14partition_implILS5_9ELb0ES3_jPlS8_PNS0_10empty_typeENS0_5tupleIJS8_S9_EEENSB_IJS8_SA_EEENS0_18inequality_wrapperIZN2at6native12_GLOBAL__N_124unique_dim_cuda_templateIdEESt5tupleIJNSF_6TensorESK_SK_EERKSK_lbbbEUlllE0_EEPmJS9_EEE10hipError_tPvRmT3_T4_T5_T6_T7_T9_mT8_P12ihipStream_tbDpT10_ENKUlT_T0_E_clISt17integral_constantIbLb0EES1A_EEDaS15_S16_EUlS15_E_NS1_11comp_targetILNS1_3genE4ELNS1_11target_archE910ELNS1_3gpuE8ELNS1_3repE0EEENS1_30default_config_static_selectorELNS0_4arch9wavefront6targetE1EEEvT1_,comdat
.Lfunc_end841:
	.size	_ZN7rocprim17ROCPRIM_400000_NS6detail17trampoline_kernelINS0_14default_configENS1_25partition_config_selectorILNS1_17partition_subalgoE9EllbEEZZNS1_14partition_implILS5_9ELb0ES3_jPlS8_PNS0_10empty_typeENS0_5tupleIJS8_S9_EEENSB_IJS8_SA_EEENS0_18inequality_wrapperIZN2at6native12_GLOBAL__N_124unique_dim_cuda_templateIdEESt5tupleIJNSF_6TensorESK_SK_EERKSK_lbbbEUlllE0_EEPmJS9_EEE10hipError_tPvRmT3_T4_T5_T6_T7_T9_mT8_P12ihipStream_tbDpT10_ENKUlT_T0_E_clISt17integral_constantIbLb0EES1A_EEDaS15_S16_EUlS15_E_NS1_11comp_targetILNS1_3genE4ELNS1_11target_archE910ELNS1_3gpuE8ELNS1_3repE0EEENS1_30default_config_static_selectorELNS0_4arch9wavefront6targetE1EEEvT1_, .Lfunc_end841-_ZN7rocprim17ROCPRIM_400000_NS6detail17trampoline_kernelINS0_14default_configENS1_25partition_config_selectorILNS1_17partition_subalgoE9EllbEEZZNS1_14partition_implILS5_9ELb0ES3_jPlS8_PNS0_10empty_typeENS0_5tupleIJS8_S9_EEENSB_IJS8_SA_EEENS0_18inequality_wrapperIZN2at6native12_GLOBAL__N_124unique_dim_cuda_templateIdEESt5tupleIJNSF_6TensorESK_SK_EERKSK_lbbbEUlllE0_EEPmJS9_EEE10hipError_tPvRmT3_T4_T5_T6_T7_T9_mT8_P12ihipStream_tbDpT10_ENKUlT_T0_E_clISt17integral_constantIbLb0EES1A_EEDaS15_S16_EUlS15_E_NS1_11comp_targetILNS1_3genE4ELNS1_11target_archE910ELNS1_3gpuE8ELNS1_3repE0EEENS1_30default_config_static_selectorELNS0_4arch9wavefront6targetE1EEEvT1_
                                        ; -- End function
	.section	.AMDGPU.csdata,"",@progbits
; Kernel info:
; codeLenInByte = 10796
; NumSgprs: 50
; NumVgprs: 50
; NumAgprs: 0
; TotalNumVgprs: 50
; ScratchSize: 0
; MemoryBound: 1
; FloatMode: 240
; IeeeMode: 1
; LDSByteSize: 4236 bytes/workgroup (compile time only)
; SGPRBlocks: 6
; VGPRBlocks: 6
; NumSGPRsForWavesPerEU: 50
; NumVGPRsForWavesPerEU: 50
; AccumOffset: 52
; Occupancy: 8
; WaveLimiterHint : 1
; COMPUTE_PGM_RSRC2:SCRATCH_EN: 0
; COMPUTE_PGM_RSRC2:USER_SGPR: 6
; COMPUTE_PGM_RSRC2:TRAP_HANDLER: 0
; COMPUTE_PGM_RSRC2:TGID_X_EN: 1
; COMPUTE_PGM_RSRC2:TGID_Y_EN: 0
; COMPUTE_PGM_RSRC2:TGID_Z_EN: 0
; COMPUTE_PGM_RSRC2:TIDIG_COMP_CNT: 0
; COMPUTE_PGM_RSRC3_GFX90A:ACCUM_OFFSET: 12
; COMPUTE_PGM_RSRC3_GFX90A:TG_SPLIT: 0
	.section	.text._ZN7rocprim17ROCPRIM_400000_NS6detail17trampoline_kernelINS0_14default_configENS1_25partition_config_selectorILNS1_17partition_subalgoE9EllbEEZZNS1_14partition_implILS5_9ELb0ES3_jPlS8_PNS0_10empty_typeENS0_5tupleIJS8_S9_EEENSB_IJS8_SA_EEENS0_18inequality_wrapperIZN2at6native12_GLOBAL__N_124unique_dim_cuda_templateIdEESt5tupleIJNSF_6TensorESK_SK_EERKSK_lbbbEUlllE0_EEPmJS9_EEE10hipError_tPvRmT3_T4_T5_T6_T7_T9_mT8_P12ihipStream_tbDpT10_ENKUlT_T0_E_clISt17integral_constantIbLb0EES1A_EEDaS15_S16_EUlS15_E_NS1_11comp_targetILNS1_3genE3ELNS1_11target_archE908ELNS1_3gpuE7ELNS1_3repE0EEENS1_30default_config_static_selectorELNS0_4arch9wavefront6targetE1EEEvT1_,"axG",@progbits,_ZN7rocprim17ROCPRIM_400000_NS6detail17trampoline_kernelINS0_14default_configENS1_25partition_config_selectorILNS1_17partition_subalgoE9EllbEEZZNS1_14partition_implILS5_9ELb0ES3_jPlS8_PNS0_10empty_typeENS0_5tupleIJS8_S9_EEENSB_IJS8_SA_EEENS0_18inequality_wrapperIZN2at6native12_GLOBAL__N_124unique_dim_cuda_templateIdEESt5tupleIJNSF_6TensorESK_SK_EERKSK_lbbbEUlllE0_EEPmJS9_EEE10hipError_tPvRmT3_T4_T5_T6_T7_T9_mT8_P12ihipStream_tbDpT10_ENKUlT_T0_E_clISt17integral_constantIbLb0EES1A_EEDaS15_S16_EUlS15_E_NS1_11comp_targetILNS1_3genE3ELNS1_11target_archE908ELNS1_3gpuE7ELNS1_3repE0EEENS1_30default_config_static_selectorELNS0_4arch9wavefront6targetE1EEEvT1_,comdat
	.globl	_ZN7rocprim17ROCPRIM_400000_NS6detail17trampoline_kernelINS0_14default_configENS1_25partition_config_selectorILNS1_17partition_subalgoE9EllbEEZZNS1_14partition_implILS5_9ELb0ES3_jPlS8_PNS0_10empty_typeENS0_5tupleIJS8_S9_EEENSB_IJS8_SA_EEENS0_18inequality_wrapperIZN2at6native12_GLOBAL__N_124unique_dim_cuda_templateIdEESt5tupleIJNSF_6TensorESK_SK_EERKSK_lbbbEUlllE0_EEPmJS9_EEE10hipError_tPvRmT3_T4_T5_T6_T7_T9_mT8_P12ihipStream_tbDpT10_ENKUlT_T0_E_clISt17integral_constantIbLb0EES1A_EEDaS15_S16_EUlS15_E_NS1_11comp_targetILNS1_3genE3ELNS1_11target_archE908ELNS1_3gpuE7ELNS1_3repE0EEENS1_30default_config_static_selectorELNS0_4arch9wavefront6targetE1EEEvT1_ ; -- Begin function _ZN7rocprim17ROCPRIM_400000_NS6detail17trampoline_kernelINS0_14default_configENS1_25partition_config_selectorILNS1_17partition_subalgoE9EllbEEZZNS1_14partition_implILS5_9ELb0ES3_jPlS8_PNS0_10empty_typeENS0_5tupleIJS8_S9_EEENSB_IJS8_SA_EEENS0_18inequality_wrapperIZN2at6native12_GLOBAL__N_124unique_dim_cuda_templateIdEESt5tupleIJNSF_6TensorESK_SK_EERKSK_lbbbEUlllE0_EEPmJS9_EEE10hipError_tPvRmT3_T4_T5_T6_T7_T9_mT8_P12ihipStream_tbDpT10_ENKUlT_T0_E_clISt17integral_constantIbLb0EES1A_EEDaS15_S16_EUlS15_E_NS1_11comp_targetILNS1_3genE3ELNS1_11target_archE908ELNS1_3gpuE7ELNS1_3repE0EEENS1_30default_config_static_selectorELNS0_4arch9wavefront6targetE1EEEvT1_
	.p2align	8
	.type	_ZN7rocprim17ROCPRIM_400000_NS6detail17trampoline_kernelINS0_14default_configENS1_25partition_config_selectorILNS1_17partition_subalgoE9EllbEEZZNS1_14partition_implILS5_9ELb0ES3_jPlS8_PNS0_10empty_typeENS0_5tupleIJS8_S9_EEENSB_IJS8_SA_EEENS0_18inequality_wrapperIZN2at6native12_GLOBAL__N_124unique_dim_cuda_templateIdEESt5tupleIJNSF_6TensorESK_SK_EERKSK_lbbbEUlllE0_EEPmJS9_EEE10hipError_tPvRmT3_T4_T5_T6_T7_T9_mT8_P12ihipStream_tbDpT10_ENKUlT_T0_E_clISt17integral_constantIbLb0EES1A_EEDaS15_S16_EUlS15_E_NS1_11comp_targetILNS1_3genE3ELNS1_11target_archE908ELNS1_3gpuE7ELNS1_3repE0EEENS1_30default_config_static_selectorELNS0_4arch9wavefront6targetE1EEEvT1_,@function
_ZN7rocprim17ROCPRIM_400000_NS6detail17trampoline_kernelINS0_14default_configENS1_25partition_config_selectorILNS1_17partition_subalgoE9EllbEEZZNS1_14partition_implILS5_9ELb0ES3_jPlS8_PNS0_10empty_typeENS0_5tupleIJS8_S9_EEENSB_IJS8_SA_EEENS0_18inequality_wrapperIZN2at6native12_GLOBAL__N_124unique_dim_cuda_templateIdEESt5tupleIJNSF_6TensorESK_SK_EERKSK_lbbbEUlllE0_EEPmJS9_EEE10hipError_tPvRmT3_T4_T5_T6_T7_T9_mT8_P12ihipStream_tbDpT10_ENKUlT_T0_E_clISt17integral_constantIbLb0EES1A_EEDaS15_S16_EUlS15_E_NS1_11comp_targetILNS1_3genE3ELNS1_11target_archE908ELNS1_3gpuE7ELNS1_3repE0EEENS1_30default_config_static_selectorELNS0_4arch9wavefront6targetE1EEEvT1_: ; @_ZN7rocprim17ROCPRIM_400000_NS6detail17trampoline_kernelINS0_14default_configENS1_25partition_config_selectorILNS1_17partition_subalgoE9EllbEEZZNS1_14partition_implILS5_9ELb0ES3_jPlS8_PNS0_10empty_typeENS0_5tupleIJS8_S9_EEENSB_IJS8_SA_EEENS0_18inequality_wrapperIZN2at6native12_GLOBAL__N_124unique_dim_cuda_templateIdEESt5tupleIJNSF_6TensorESK_SK_EERKSK_lbbbEUlllE0_EEPmJS9_EEE10hipError_tPvRmT3_T4_T5_T6_T7_T9_mT8_P12ihipStream_tbDpT10_ENKUlT_T0_E_clISt17integral_constantIbLb0EES1A_EEDaS15_S16_EUlS15_E_NS1_11comp_targetILNS1_3genE3ELNS1_11target_archE908ELNS1_3gpuE7ELNS1_3repE0EEENS1_30default_config_static_selectorELNS0_4arch9wavefront6targetE1EEEvT1_
; %bb.0:
	.section	.rodata,"a",@progbits
	.p2align	6, 0x0
	.amdhsa_kernel _ZN7rocprim17ROCPRIM_400000_NS6detail17trampoline_kernelINS0_14default_configENS1_25partition_config_selectorILNS1_17partition_subalgoE9EllbEEZZNS1_14partition_implILS5_9ELb0ES3_jPlS8_PNS0_10empty_typeENS0_5tupleIJS8_S9_EEENSB_IJS8_SA_EEENS0_18inequality_wrapperIZN2at6native12_GLOBAL__N_124unique_dim_cuda_templateIdEESt5tupleIJNSF_6TensorESK_SK_EERKSK_lbbbEUlllE0_EEPmJS9_EEE10hipError_tPvRmT3_T4_T5_T6_T7_T9_mT8_P12ihipStream_tbDpT10_ENKUlT_T0_E_clISt17integral_constantIbLb0EES1A_EEDaS15_S16_EUlS15_E_NS1_11comp_targetILNS1_3genE3ELNS1_11target_archE908ELNS1_3gpuE7ELNS1_3repE0EEENS1_30default_config_static_selectorELNS0_4arch9wavefront6targetE1EEEvT1_
		.amdhsa_group_segment_fixed_size 0
		.amdhsa_private_segment_fixed_size 0
		.amdhsa_kernarg_size 120
		.amdhsa_user_sgpr_count 6
		.amdhsa_user_sgpr_private_segment_buffer 1
		.amdhsa_user_sgpr_dispatch_ptr 0
		.amdhsa_user_sgpr_queue_ptr 0
		.amdhsa_user_sgpr_kernarg_segment_ptr 1
		.amdhsa_user_sgpr_dispatch_id 0
		.amdhsa_user_sgpr_flat_scratch_init 0
		.amdhsa_user_sgpr_kernarg_preload_length 0
		.amdhsa_user_sgpr_kernarg_preload_offset 0
		.amdhsa_user_sgpr_private_segment_size 0
		.amdhsa_uses_dynamic_stack 0
		.amdhsa_system_sgpr_private_segment_wavefront_offset 0
		.amdhsa_system_sgpr_workgroup_id_x 1
		.amdhsa_system_sgpr_workgroup_id_y 0
		.amdhsa_system_sgpr_workgroup_id_z 0
		.amdhsa_system_sgpr_workgroup_info 0
		.amdhsa_system_vgpr_workitem_id 0
		.amdhsa_next_free_vgpr 1
		.amdhsa_next_free_sgpr 0
		.amdhsa_accum_offset 4
		.amdhsa_reserve_vcc 0
		.amdhsa_reserve_flat_scratch 0
		.amdhsa_float_round_mode_32 0
		.amdhsa_float_round_mode_16_64 0
		.amdhsa_float_denorm_mode_32 3
		.amdhsa_float_denorm_mode_16_64 3
		.amdhsa_dx10_clamp 1
		.amdhsa_ieee_mode 1
		.amdhsa_fp16_overflow 0
		.amdhsa_tg_split 0
		.amdhsa_exception_fp_ieee_invalid_op 0
		.amdhsa_exception_fp_denorm_src 0
		.amdhsa_exception_fp_ieee_div_zero 0
		.amdhsa_exception_fp_ieee_overflow 0
		.amdhsa_exception_fp_ieee_underflow 0
		.amdhsa_exception_fp_ieee_inexact 0
		.amdhsa_exception_int_div_zero 0
	.end_amdhsa_kernel
	.section	.text._ZN7rocprim17ROCPRIM_400000_NS6detail17trampoline_kernelINS0_14default_configENS1_25partition_config_selectorILNS1_17partition_subalgoE9EllbEEZZNS1_14partition_implILS5_9ELb0ES3_jPlS8_PNS0_10empty_typeENS0_5tupleIJS8_S9_EEENSB_IJS8_SA_EEENS0_18inequality_wrapperIZN2at6native12_GLOBAL__N_124unique_dim_cuda_templateIdEESt5tupleIJNSF_6TensorESK_SK_EERKSK_lbbbEUlllE0_EEPmJS9_EEE10hipError_tPvRmT3_T4_T5_T6_T7_T9_mT8_P12ihipStream_tbDpT10_ENKUlT_T0_E_clISt17integral_constantIbLb0EES1A_EEDaS15_S16_EUlS15_E_NS1_11comp_targetILNS1_3genE3ELNS1_11target_archE908ELNS1_3gpuE7ELNS1_3repE0EEENS1_30default_config_static_selectorELNS0_4arch9wavefront6targetE1EEEvT1_,"axG",@progbits,_ZN7rocprim17ROCPRIM_400000_NS6detail17trampoline_kernelINS0_14default_configENS1_25partition_config_selectorILNS1_17partition_subalgoE9EllbEEZZNS1_14partition_implILS5_9ELb0ES3_jPlS8_PNS0_10empty_typeENS0_5tupleIJS8_S9_EEENSB_IJS8_SA_EEENS0_18inequality_wrapperIZN2at6native12_GLOBAL__N_124unique_dim_cuda_templateIdEESt5tupleIJNSF_6TensorESK_SK_EERKSK_lbbbEUlllE0_EEPmJS9_EEE10hipError_tPvRmT3_T4_T5_T6_T7_T9_mT8_P12ihipStream_tbDpT10_ENKUlT_T0_E_clISt17integral_constantIbLb0EES1A_EEDaS15_S16_EUlS15_E_NS1_11comp_targetILNS1_3genE3ELNS1_11target_archE908ELNS1_3gpuE7ELNS1_3repE0EEENS1_30default_config_static_selectorELNS0_4arch9wavefront6targetE1EEEvT1_,comdat
.Lfunc_end842:
	.size	_ZN7rocprim17ROCPRIM_400000_NS6detail17trampoline_kernelINS0_14default_configENS1_25partition_config_selectorILNS1_17partition_subalgoE9EllbEEZZNS1_14partition_implILS5_9ELb0ES3_jPlS8_PNS0_10empty_typeENS0_5tupleIJS8_S9_EEENSB_IJS8_SA_EEENS0_18inequality_wrapperIZN2at6native12_GLOBAL__N_124unique_dim_cuda_templateIdEESt5tupleIJNSF_6TensorESK_SK_EERKSK_lbbbEUlllE0_EEPmJS9_EEE10hipError_tPvRmT3_T4_T5_T6_T7_T9_mT8_P12ihipStream_tbDpT10_ENKUlT_T0_E_clISt17integral_constantIbLb0EES1A_EEDaS15_S16_EUlS15_E_NS1_11comp_targetILNS1_3genE3ELNS1_11target_archE908ELNS1_3gpuE7ELNS1_3repE0EEENS1_30default_config_static_selectorELNS0_4arch9wavefront6targetE1EEEvT1_, .Lfunc_end842-_ZN7rocprim17ROCPRIM_400000_NS6detail17trampoline_kernelINS0_14default_configENS1_25partition_config_selectorILNS1_17partition_subalgoE9EllbEEZZNS1_14partition_implILS5_9ELb0ES3_jPlS8_PNS0_10empty_typeENS0_5tupleIJS8_S9_EEENSB_IJS8_SA_EEENS0_18inequality_wrapperIZN2at6native12_GLOBAL__N_124unique_dim_cuda_templateIdEESt5tupleIJNSF_6TensorESK_SK_EERKSK_lbbbEUlllE0_EEPmJS9_EEE10hipError_tPvRmT3_T4_T5_T6_T7_T9_mT8_P12ihipStream_tbDpT10_ENKUlT_T0_E_clISt17integral_constantIbLb0EES1A_EEDaS15_S16_EUlS15_E_NS1_11comp_targetILNS1_3genE3ELNS1_11target_archE908ELNS1_3gpuE7ELNS1_3repE0EEENS1_30default_config_static_selectorELNS0_4arch9wavefront6targetE1EEEvT1_
                                        ; -- End function
	.section	.AMDGPU.csdata,"",@progbits
; Kernel info:
; codeLenInByte = 0
; NumSgprs: 4
; NumVgprs: 0
; NumAgprs: 0
; TotalNumVgprs: 0
; ScratchSize: 0
; MemoryBound: 0
; FloatMode: 240
; IeeeMode: 1
; LDSByteSize: 0 bytes/workgroup (compile time only)
; SGPRBlocks: 0
; VGPRBlocks: 0
; NumSGPRsForWavesPerEU: 4
; NumVGPRsForWavesPerEU: 1
; AccumOffset: 4
; Occupancy: 8
; WaveLimiterHint : 0
; COMPUTE_PGM_RSRC2:SCRATCH_EN: 0
; COMPUTE_PGM_RSRC2:USER_SGPR: 6
; COMPUTE_PGM_RSRC2:TRAP_HANDLER: 0
; COMPUTE_PGM_RSRC2:TGID_X_EN: 1
; COMPUTE_PGM_RSRC2:TGID_Y_EN: 0
; COMPUTE_PGM_RSRC2:TGID_Z_EN: 0
; COMPUTE_PGM_RSRC2:TIDIG_COMP_CNT: 0
; COMPUTE_PGM_RSRC3_GFX90A:ACCUM_OFFSET: 0
; COMPUTE_PGM_RSRC3_GFX90A:TG_SPLIT: 0
	.section	.text._ZN7rocprim17ROCPRIM_400000_NS6detail17trampoline_kernelINS0_14default_configENS1_25partition_config_selectorILNS1_17partition_subalgoE9EllbEEZZNS1_14partition_implILS5_9ELb0ES3_jPlS8_PNS0_10empty_typeENS0_5tupleIJS8_S9_EEENSB_IJS8_SA_EEENS0_18inequality_wrapperIZN2at6native12_GLOBAL__N_124unique_dim_cuda_templateIdEESt5tupleIJNSF_6TensorESK_SK_EERKSK_lbbbEUlllE0_EEPmJS9_EEE10hipError_tPvRmT3_T4_T5_T6_T7_T9_mT8_P12ihipStream_tbDpT10_ENKUlT_T0_E_clISt17integral_constantIbLb0EES1A_EEDaS15_S16_EUlS15_E_NS1_11comp_targetILNS1_3genE2ELNS1_11target_archE906ELNS1_3gpuE6ELNS1_3repE0EEENS1_30default_config_static_selectorELNS0_4arch9wavefront6targetE1EEEvT1_,"axG",@progbits,_ZN7rocprim17ROCPRIM_400000_NS6detail17trampoline_kernelINS0_14default_configENS1_25partition_config_selectorILNS1_17partition_subalgoE9EllbEEZZNS1_14partition_implILS5_9ELb0ES3_jPlS8_PNS0_10empty_typeENS0_5tupleIJS8_S9_EEENSB_IJS8_SA_EEENS0_18inequality_wrapperIZN2at6native12_GLOBAL__N_124unique_dim_cuda_templateIdEESt5tupleIJNSF_6TensorESK_SK_EERKSK_lbbbEUlllE0_EEPmJS9_EEE10hipError_tPvRmT3_T4_T5_T6_T7_T9_mT8_P12ihipStream_tbDpT10_ENKUlT_T0_E_clISt17integral_constantIbLb0EES1A_EEDaS15_S16_EUlS15_E_NS1_11comp_targetILNS1_3genE2ELNS1_11target_archE906ELNS1_3gpuE6ELNS1_3repE0EEENS1_30default_config_static_selectorELNS0_4arch9wavefront6targetE1EEEvT1_,comdat
	.globl	_ZN7rocprim17ROCPRIM_400000_NS6detail17trampoline_kernelINS0_14default_configENS1_25partition_config_selectorILNS1_17partition_subalgoE9EllbEEZZNS1_14partition_implILS5_9ELb0ES3_jPlS8_PNS0_10empty_typeENS0_5tupleIJS8_S9_EEENSB_IJS8_SA_EEENS0_18inequality_wrapperIZN2at6native12_GLOBAL__N_124unique_dim_cuda_templateIdEESt5tupleIJNSF_6TensorESK_SK_EERKSK_lbbbEUlllE0_EEPmJS9_EEE10hipError_tPvRmT3_T4_T5_T6_T7_T9_mT8_P12ihipStream_tbDpT10_ENKUlT_T0_E_clISt17integral_constantIbLb0EES1A_EEDaS15_S16_EUlS15_E_NS1_11comp_targetILNS1_3genE2ELNS1_11target_archE906ELNS1_3gpuE6ELNS1_3repE0EEENS1_30default_config_static_selectorELNS0_4arch9wavefront6targetE1EEEvT1_ ; -- Begin function _ZN7rocprim17ROCPRIM_400000_NS6detail17trampoline_kernelINS0_14default_configENS1_25partition_config_selectorILNS1_17partition_subalgoE9EllbEEZZNS1_14partition_implILS5_9ELb0ES3_jPlS8_PNS0_10empty_typeENS0_5tupleIJS8_S9_EEENSB_IJS8_SA_EEENS0_18inequality_wrapperIZN2at6native12_GLOBAL__N_124unique_dim_cuda_templateIdEESt5tupleIJNSF_6TensorESK_SK_EERKSK_lbbbEUlllE0_EEPmJS9_EEE10hipError_tPvRmT3_T4_T5_T6_T7_T9_mT8_P12ihipStream_tbDpT10_ENKUlT_T0_E_clISt17integral_constantIbLb0EES1A_EEDaS15_S16_EUlS15_E_NS1_11comp_targetILNS1_3genE2ELNS1_11target_archE906ELNS1_3gpuE6ELNS1_3repE0EEENS1_30default_config_static_selectorELNS0_4arch9wavefront6targetE1EEEvT1_
	.p2align	8
	.type	_ZN7rocprim17ROCPRIM_400000_NS6detail17trampoline_kernelINS0_14default_configENS1_25partition_config_selectorILNS1_17partition_subalgoE9EllbEEZZNS1_14partition_implILS5_9ELb0ES3_jPlS8_PNS0_10empty_typeENS0_5tupleIJS8_S9_EEENSB_IJS8_SA_EEENS0_18inequality_wrapperIZN2at6native12_GLOBAL__N_124unique_dim_cuda_templateIdEESt5tupleIJNSF_6TensorESK_SK_EERKSK_lbbbEUlllE0_EEPmJS9_EEE10hipError_tPvRmT3_T4_T5_T6_T7_T9_mT8_P12ihipStream_tbDpT10_ENKUlT_T0_E_clISt17integral_constantIbLb0EES1A_EEDaS15_S16_EUlS15_E_NS1_11comp_targetILNS1_3genE2ELNS1_11target_archE906ELNS1_3gpuE6ELNS1_3repE0EEENS1_30default_config_static_selectorELNS0_4arch9wavefront6targetE1EEEvT1_,@function
_ZN7rocprim17ROCPRIM_400000_NS6detail17trampoline_kernelINS0_14default_configENS1_25partition_config_selectorILNS1_17partition_subalgoE9EllbEEZZNS1_14partition_implILS5_9ELb0ES3_jPlS8_PNS0_10empty_typeENS0_5tupleIJS8_S9_EEENSB_IJS8_SA_EEENS0_18inequality_wrapperIZN2at6native12_GLOBAL__N_124unique_dim_cuda_templateIdEESt5tupleIJNSF_6TensorESK_SK_EERKSK_lbbbEUlllE0_EEPmJS9_EEE10hipError_tPvRmT3_T4_T5_T6_T7_T9_mT8_P12ihipStream_tbDpT10_ENKUlT_T0_E_clISt17integral_constantIbLb0EES1A_EEDaS15_S16_EUlS15_E_NS1_11comp_targetILNS1_3genE2ELNS1_11target_archE906ELNS1_3gpuE6ELNS1_3repE0EEENS1_30default_config_static_selectorELNS0_4arch9wavefront6targetE1EEEvT1_: ; @_ZN7rocprim17ROCPRIM_400000_NS6detail17trampoline_kernelINS0_14default_configENS1_25partition_config_selectorILNS1_17partition_subalgoE9EllbEEZZNS1_14partition_implILS5_9ELb0ES3_jPlS8_PNS0_10empty_typeENS0_5tupleIJS8_S9_EEENSB_IJS8_SA_EEENS0_18inequality_wrapperIZN2at6native12_GLOBAL__N_124unique_dim_cuda_templateIdEESt5tupleIJNSF_6TensorESK_SK_EERKSK_lbbbEUlllE0_EEPmJS9_EEE10hipError_tPvRmT3_T4_T5_T6_T7_T9_mT8_P12ihipStream_tbDpT10_ENKUlT_T0_E_clISt17integral_constantIbLb0EES1A_EEDaS15_S16_EUlS15_E_NS1_11comp_targetILNS1_3genE2ELNS1_11target_archE906ELNS1_3gpuE6ELNS1_3repE0EEENS1_30default_config_static_selectorELNS0_4arch9wavefront6targetE1EEEvT1_
; %bb.0:
	.section	.rodata,"a",@progbits
	.p2align	6, 0x0
	.amdhsa_kernel _ZN7rocprim17ROCPRIM_400000_NS6detail17trampoline_kernelINS0_14default_configENS1_25partition_config_selectorILNS1_17partition_subalgoE9EllbEEZZNS1_14partition_implILS5_9ELb0ES3_jPlS8_PNS0_10empty_typeENS0_5tupleIJS8_S9_EEENSB_IJS8_SA_EEENS0_18inequality_wrapperIZN2at6native12_GLOBAL__N_124unique_dim_cuda_templateIdEESt5tupleIJNSF_6TensorESK_SK_EERKSK_lbbbEUlllE0_EEPmJS9_EEE10hipError_tPvRmT3_T4_T5_T6_T7_T9_mT8_P12ihipStream_tbDpT10_ENKUlT_T0_E_clISt17integral_constantIbLb0EES1A_EEDaS15_S16_EUlS15_E_NS1_11comp_targetILNS1_3genE2ELNS1_11target_archE906ELNS1_3gpuE6ELNS1_3repE0EEENS1_30default_config_static_selectorELNS0_4arch9wavefront6targetE1EEEvT1_
		.amdhsa_group_segment_fixed_size 0
		.amdhsa_private_segment_fixed_size 0
		.amdhsa_kernarg_size 120
		.amdhsa_user_sgpr_count 6
		.amdhsa_user_sgpr_private_segment_buffer 1
		.amdhsa_user_sgpr_dispatch_ptr 0
		.amdhsa_user_sgpr_queue_ptr 0
		.amdhsa_user_sgpr_kernarg_segment_ptr 1
		.amdhsa_user_sgpr_dispatch_id 0
		.amdhsa_user_sgpr_flat_scratch_init 0
		.amdhsa_user_sgpr_kernarg_preload_length 0
		.amdhsa_user_sgpr_kernarg_preload_offset 0
		.amdhsa_user_sgpr_private_segment_size 0
		.amdhsa_uses_dynamic_stack 0
		.amdhsa_system_sgpr_private_segment_wavefront_offset 0
		.amdhsa_system_sgpr_workgroup_id_x 1
		.amdhsa_system_sgpr_workgroup_id_y 0
		.amdhsa_system_sgpr_workgroup_id_z 0
		.amdhsa_system_sgpr_workgroup_info 0
		.amdhsa_system_vgpr_workitem_id 0
		.amdhsa_next_free_vgpr 1
		.amdhsa_next_free_sgpr 0
		.amdhsa_accum_offset 4
		.amdhsa_reserve_vcc 0
		.amdhsa_reserve_flat_scratch 0
		.amdhsa_float_round_mode_32 0
		.amdhsa_float_round_mode_16_64 0
		.amdhsa_float_denorm_mode_32 3
		.amdhsa_float_denorm_mode_16_64 3
		.amdhsa_dx10_clamp 1
		.amdhsa_ieee_mode 1
		.amdhsa_fp16_overflow 0
		.amdhsa_tg_split 0
		.amdhsa_exception_fp_ieee_invalid_op 0
		.amdhsa_exception_fp_denorm_src 0
		.amdhsa_exception_fp_ieee_div_zero 0
		.amdhsa_exception_fp_ieee_overflow 0
		.amdhsa_exception_fp_ieee_underflow 0
		.amdhsa_exception_fp_ieee_inexact 0
		.amdhsa_exception_int_div_zero 0
	.end_amdhsa_kernel
	.section	.text._ZN7rocprim17ROCPRIM_400000_NS6detail17trampoline_kernelINS0_14default_configENS1_25partition_config_selectorILNS1_17partition_subalgoE9EllbEEZZNS1_14partition_implILS5_9ELb0ES3_jPlS8_PNS0_10empty_typeENS0_5tupleIJS8_S9_EEENSB_IJS8_SA_EEENS0_18inequality_wrapperIZN2at6native12_GLOBAL__N_124unique_dim_cuda_templateIdEESt5tupleIJNSF_6TensorESK_SK_EERKSK_lbbbEUlllE0_EEPmJS9_EEE10hipError_tPvRmT3_T4_T5_T6_T7_T9_mT8_P12ihipStream_tbDpT10_ENKUlT_T0_E_clISt17integral_constantIbLb0EES1A_EEDaS15_S16_EUlS15_E_NS1_11comp_targetILNS1_3genE2ELNS1_11target_archE906ELNS1_3gpuE6ELNS1_3repE0EEENS1_30default_config_static_selectorELNS0_4arch9wavefront6targetE1EEEvT1_,"axG",@progbits,_ZN7rocprim17ROCPRIM_400000_NS6detail17trampoline_kernelINS0_14default_configENS1_25partition_config_selectorILNS1_17partition_subalgoE9EllbEEZZNS1_14partition_implILS5_9ELb0ES3_jPlS8_PNS0_10empty_typeENS0_5tupleIJS8_S9_EEENSB_IJS8_SA_EEENS0_18inequality_wrapperIZN2at6native12_GLOBAL__N_124unique_dim_cuda_templateIdEESt5tupleIJNSF_6TensorESK_SK_EERKSK_lbbbEUlllE0_EEPmJS9_EEE10hipError_tPvRmT3_T4_T5_T6_T7_T9_mT8_P12ihipStream_tbDpT10_ENKUlT_T0_E_clISt17integral_constantIbLb0EES1A_EEDaS15_S16_EUlS15_E_NS1_11comp_targetILNS1_3genE2ELNS1_11target_archE906ELNS1_3gpuE6ELNS1_3repE0EEENS1_30default_config_static_selectorELNS0_4arch9wavefront6targetE1EEEvT1_,comdat
.Lfunc_end843:
	.size	_ZN7rocprim17ROCPRIM_400000_NS6detail17trampoline_kernelINS0_14default_configENS1_25partition_config_selectorILNS1_17partition_subalgoE9EllbEEZZNS1_14partition_implILS5_9ELb0ES3_jPlS8_PNS0_10empty_typeENS0_5tupleIJS8_S9_EEENSB_IJS8_SA_EEENS0_18inequality_wrapperIZN2at6native12_GLOBAL__N_124unique_dim_cuda_templateIdEESt5tupleIJNSF_6TensorESK_SK_EERKSK_lbbbEUlllE0_EEPmJS9_EEE10hipError_tPvRmT3_T4_T5_T6_T7_T9_mT8_P12ihipStream_tbDpT10_ENKUlT_T0_E_clISt17integral_constantIbLb0EES1A_EEDaS15_S16_EUlS15_E_NS1_11comp_targetILNS1_3genE2ELNS1_11target_archE906ELNS1_3gpuE6ELNS1_3repE0EEENS1_30default_config_static_selectorELNS0_4arch9wavefront6targetE1EEEvT1_, .Lfunc_end843-_ZN7rocprim17ROCPRIM_400000_NS6detail17trampoline_kernelINS0_14default_configENS1_25partition_config_selectorILNS1_17partition_subalgoE9EllbEEZZNS1_14partition_implILS5_9ELb0ES3_jPlS8_PNS0_10empty_typeENS0_5tupleIJS8_S9_EEENSB_IJS8_SA_EEENS0_18inequality_wrapperIZN2at6native12_GLOBAL__N_124unique_dim_cuda_templateIdEESt5tupleIJNSF_6TensorESK_SK_EERKSK_lbbbEUlllE0_EEPmJS9_EEE10hipError_tPvRmT3_T4_T5_T6_T7_T9_mT8_P12ihipStream_tbDpT10_ENKUlT_T0_E_clISt17integral_constantIbLb0EES1A_EEDaS15_S16_EUlS15_E_NS1_11comp_targetILNS1_3genE2ELNS1_11target_archE906ELNS1_3gpuE6ELNS1_3repE0EEENS1_30default_config_static_selectorELNS0_4arch9wavefront6targetE1EEEvT1_
                                        ; -- End function
	.section	.AMDGPU.csdata,"",@progbits
; Kernel info:
; codeLenInByte = 0
; NumSgprs: 4
; NumVgprs: 0
; NumAgprs: 0
; TotalNumVgprs: 0
; ScratchSize: 0
; MemoryBound: 0
; FloatMode: 240
; IeeeMode: 1
; LDSByteSize: 0 bytes/workgroup (compile time only)
; SGPRBlocks: 0
; VGPRBlocks: 0
; NumSGPRsForWavesPerEU: 4
; NumVGPRsForWavesPerEU: 1
; AccumOffset: 4
; Occupancy: 8
; WaveLimiterHint : 0
; COMPUTE_PGM_RSRC2:SCRATCH_EN: 0
; COMPUTE_PGM_RSRC2:USER_SGPR: 6
; COMPUTE_PGM_RSRC2:TRAP_HANDLER: 0
; COMPUTE_PGM_RSRC2:TGID_X_EN: 1
; COMPUTE_PGM_RSRC2:TGID_Y_EN: 0
; COMPUTE_PGM_RSRC2:TGID_Z_EN: 0
; COMPUTE_PGM_RSRC2:TIDIG_COMP_CNT: 0
; COMPUTE_PGM_RSRC3_GFX90A:ACCUM_OFFSET: 0
; COMPUTE_PGM_RSRC3_GFX90A:TG_SPLIT: 0
	.section	.text._ZN7rocprim17ROCPRIM_400000_NS6detail17trampoline_kernelINS0_14default_configENS1_25partition_config_selectorILNS1_17partition_subalgoE9EllbEEZZNS1_14partition_implILS5_9ELb0ES3_jPlS8_PNS0_10empty_typeENS0_5tupleIJS8_S9_EEENSB_IJS8_SA_EEENS0_18inequality_wrapperIZN2at6native12_GLOBAL__N_124unique_dim_cuda_templateIdEESt5tupleIJNSF_6TensorESK_SK_EERKSK_lbbbEUlllE0_EEPmJS9_EEE10hipError_tPvRmT3_T4_T5_T6_T7_T9_mT8_P12ihipStream_tbDpT10_ENKUlT_T0_E_clISt17integral_constantIbLb0EES1A_EEDaS15_S16_EUlS15_E_NS1_11comp_targetILNS1_3genE10ELNS1_11target_archE1200ELNS1_3gpuE4ELNS1_3repE0EEENS1_30default_config_static_selectorELNS0_4arch9wavefront6targetE1EEEvT1_,"axG",@progbits,_ZN7rocprim17ROCPRIM_400000_NS6detail17trampoline_kernelINS0_14default_configENS1_25partition_config_selectorILNS1_17partition_subalgoE9EllbEEZZNS1_14partition_implILS5_9ELb0ES3_jPlS8_PNS0_10empty_typeENS0_5tupleIJS8_S9_EEENSB_IJS8_SA_EEENS0_18inequality_wrapperIZN2at6native12_GLOBAL__N_124unique_dim_cuda_templateIdEESt5tupleIJNSF_6TensorESK_SK_EERKSK_lbbbEUlllE0_EEPmJS9_EEE10hipError_tPvRmT3_T4_T5_T6_T7_T9_mT8_P12ihipStream_tbDpT10_ENKUlT_T0_E_clISt17integral_constantIbLb0EES1A_EEDaS15_S16_EUlS15_E_NS1_11comp_targetILNS1_3genE10ELNS1_11target_archE1200ELNS1_3gpuE4ELNS1_3repE0EEENS1_30default_config_static_selectorELNS0_4arch9wavefront6targetE1EEEvT1_,comdat
	.globl	_ZN7rocprim17ROCPRIM_400000_NS6detail17trampoline_kernelINS0_14default_configENS1_25partition_config_selectorILNS1_17partition_subalgoE9EllbEEZZNS1_14partition_implILS5_9ELb0ES3_jPlS8_PNS0_10empty_typeENS0_5tupleIJS8_S9_EEENSB_IJS8_SA_EEENS0_18inequality_wrapperIZN2at6native12_GLOBAL__N_124unique_dim_cuda_templateIdEESt5tupleIJNSF_6TensorESK_SK_EERKSK_lbbbEUlllE0_EEPmJS9_EEE10hipError_tPvRmT3_T4_T5_T6_T7_T9_mT8_P12ihipStream_tbDpT10_ENKUlT_T0_E_clISt17integral_constantIbLb0EES1A_EEDaS15_S16_EUlS15_E_NS1_11comp_targetILNS1_3genE10ELNS1_11target_archE1200ELNS1_3gpuE4ELNS1_3repE0EEENS1_30default_config_static_selectorELNS0_4arch9wavefront6targetE1EEEvT1_ ; -- Begin function _ZN7rocprim17ROCPRIM_400000_NS6detail17trampoline_kernelINS0_14default_configENS1_25partition_config_selectorILNS1_17partition_subalgoE9EllbEEZZNS1_14partition_implILS5_9ELb0ES3_jPlS8_PNS0_10empty_typeENS0_5tupleIJS8_S9_EEENSB_IJS8_SA_EEENS0_18inequality_wrapperIZN2at6native12_GLOBAL__N_124unique_dim_cuda_templateIdEESt5tupleIJNSF_6TensorESK_SK_EERKSK_lbbbEUlllE0_EEPmJS9_EEE10hipError_tPvRmT3_T4_T5_T6_T7_T9_mT8_P12ihipStream_tbDpT10_ENKUlT_T0_E_clISt17integral_constantIbLb0EES1A_EEDaS15_S16_EUlS15_E_NS1_11comp_targetILNS1_3genE10ELNS1_11target_archE1200ELNS1_3gpuE4ELNS1_3repE0EEENS1_30default_config_static_selectorELNS0_4arch9wavefront6targetE1EEEvT1_
	.p2align	8
	.type	_ZN7rocprim17ROCPRIM_400000_NS6detail17trampoline_kernelINS0_14default_configENS1_25partition_config_selectorILNS1_17partition_subalgoE9EllbEEZZNS1_14partition_implILS5_9ELb0ES3_jPlS8_PNS0_10empty_typeENS0_5tupleIJS8_S9_EEENSB_IJS8_SA_EEENS0_18inequality_wrapperIZN2at6native12_GLOBAL__N_124unique_dim_cuda_templateIdEESt5tupleIJNSF_6TensorESK_SK_EERKSK_lbbbEUlllE0_EEPmJS9_EEE10hipError_tPvRmT3_T4_T5_T6_T7_T9_mT8_P12ihipStream_tbDpT10_ENKUlT_T0_E_clISt17integral_constantIbLb0EES1A_EEDaS15_S16_EUlS15_E_NS1_11comp_targetILNS1_3genE10ELNS1_11target_archE1200ELNS1_3gpuE4ELNS1_3repE0EEENS1_30default_config_static_selectorELNS0_4arch9wavefront6targetE1EEEvT1_,@function
_ZN7rocprim17ROCPRIM_400000_NS6detail17trampoline_kernelINS0_14default_configENS1_25partition_config_selectorILNS1_17partition_subalgoE9EllbEEZZNS1_14partition_implILS5_9ELb0ES3_jPlS8_PNS0_10empty_typeENS0_5tupleIJS8_S9_EEENSB_IJS8_SA_EEENS0_18inequality_wrapperIZN2at6native12_GLOBAL__N_124unique_dim_cuda_templateIdEESt5tupleIJNSF_6TensorESK_SK_EERKSK_lbbbEUlllE0_EEPmJS9_EEE10hipError_tPvRmT3_T4_T5_T6_T7_T9_mT8_P12ihipStream_tbDpT10_ENKUlT_T0_E_clISt17integral_constantIbLb0EES1A_EEDaS15_S16_EUlS15_E_NS1_11comp_targetILNS1_3genE10ELNS1_11target_archE1200ELNS1_3gpuE4ELNS1_3repE0EEENS1_30default_config_static_selectorELNS0_4arch9wavefront6targetE1EEEvT1_: ; @_ZN7rocprim17ROCPRIM_400000_NS6detail17trampoline_kernelINS0_14default_configENS1_25partition_config_selectorILNS1_17partition_subalgoE9EllbEEZZNS1_14partition_implILS5_9ELb0ES3_jPlS8_PNS0_10empty_typeENS0_5tupleIJS8_S9_EEENSB_IJS8_SA_EEENS0_18inequality_wrapperIZN2at6native12_GLOBAL__N_124unique_dim_cuda_templateIdEESt5tupleIJNSF_6TensorESK_SK_EERKSK_lbbbEUlllE0_EEPmJS9_EEE10hipError_tPvRmT3_T4_T5_T6_T7_T9_mT8_P12ihipStream_tbDpT10_ENKUlT_T0_E_clISt17integral_constantIbLb0EES1A_EEDaS15_S16_EUlS15_E_NS1_11comp_targetILNS1_3genE10ELNS1_11target_archE1200ELNS1_3gpuE4ELNS1_3repE0EEENS1_30default_config_static_selectorELNS0_4arch9wavefront6targetE1EEEvT1_
; %bb.0:
	.section	.rodata,"a",@progbits
	.p2align	6, 0x0
	.amdhsa_kernel _ZN7rocprim17ROCPRIM_400000_NS6detail17trampoline_kernelINS0_14default_configENS1_25partition_config_selectorILNS1_17partition_subalgoE9EllbEEZZNS1_14partition_implILS5_9ELb0ES3_jPlS8_PNS0_10empty_typeENS0_5tupleIJS8_S9_EEENSB_IJS8_SA_EEENS0_18inequality_wrapperIZN2at6native12_GLOBAL__N_124unique_dim_cuda_templateIdEESt5tupleIJNSF_6TensorESK_SK_EERKSK_lbbbEUlllE0_EEPmJS9_EEE10hipError_tPvRmT3_T4_T5_T6_T7_T9_mT8_P12ihipStream_tbDpT10_ENKUlT_T0_E_clISt17integral_constantIbLb0EES1A_EEDaS15_S16_EUlS15_E_NS1_11comp_targetILNS1_3genE10ELNS1_11target_archE1200ELNS1_3gpuE4ELNS1_3repE0EEENS1_30default_config_static_selectorELNS0_4arch9wavefront6targetE1EEEvT1_
		.amdhsa_group_segment_fixed_size 0
		.amdhsa_private_segment_fixed_size 0
		.amdhsa_kernarg_size 120
		.amdhsa_user_sgpr_count 6
		.amdhsa_user_sgpr_private_segment_buffer 1
		.amdhsa_user_sgpr_dispatch_ptr 0
		.amdhsa_user_sgpr_queue_ptr 0
		.amdhsa_user_sgpr_kernarg_segment_ptr 1
		.amdhsa_user_sgpr_dispatch_id 0
		.amdhsa_user_sgpr_flat_scratch_init 0
		.amdhsa_user_sgpr_kernarg_preload_length 0
		.amdhsa_user_sgpr_kernarg_preload_offset 0
		.amdhsa_user_sgpr_private_segment_size 0
		.amdhsa_uses_dynamic_stack 0
		.amdhsa_system_sgpr_private_segment_wavefront_offset 0
		.amdhsa_system_sgpr_workgroup_id_x 1
		.amdhsa_system_sgpr_workgroup_id_y 0
		.amdhsa_system_sgpr_workgroup_id_z 0
		.amdhsa_system_sgpr_workgroup_info 0
		.amdhsa_system_vgpr_workitem_id 0
		.amdhsa_next_free_vgpr 1
		.amdhsa_next_free_sgpr 0
		.amdhsa_accum_offset 4
		.amdhsa_reserve_vcc 0
		.amdhsa_reserve_flat_scratch 0
		.amdhsa_float_round_mode_32 0
		.amdhsa_float_round_mode_16_64 0
		.amdhsa_float_denorm_mode_32 3
		.amdhsa_float_denorm_mode_16_64 3
		.amdhsa_dx10_clamp 1
		.amdhsa_ieee_mode 1
		.amdhsa_fp16_overflow 0
		.amdhsa_tg_split 0
		.amdhsa_exception_fp_ieee_invalid_op 0
		.amdhsa_exception_fp_denorm_src 0
		.amdhsa_exception_fp_ieee_div_zero 0
		.amdhsa_exception_fp_ieee_overflow 0
		.amdhsa_exception_fp_ieee_underflow 0
		.amdhsa_exception_fp_ieee_inexact 0
		.amdhsa_exception_int_div_zero 0
	.end_amdhsa_kernel
	.section	.text._ZN7rocprim17ROCPRIM_400000_NS6detail17trampoline_kernelINS0_14default_configENS1_25partition_config_selectorILNS1_17partition_subalgoE9EllbEEZZNS1_14partition_implILS5_9ELb0ES3_jPlS8_PNS0_10empty_typeENS0_5tupleIJS8_S9_EEENSB_IJS8_SA_EEENS0_18inequality_wrapperIZN2at6native12_GLOBAL__N_124unique_dim_cuda_templateIdEESt5tupleIJNSF_6TensorESK_SK_EERKSK_lbbbEUlllE0_EEPmJS9_EEE10hipError_tPvRmT3_T4_T5_T6_T7_T9_mT8_P12ihipStream_tbDpT10_ENKUlT_T0_E_clISt17integral_constantIbLb0EES1A_EEDaS15_S16_EUlS15_E_NS1_11comp_targetILNS1_3genE10ELNS1_11target_archE1200ELNS1_3gpuE4ELNS1_3repE0EEENS1_30default_config_static_selectorELNS0_4arch9wavefront6targetE1EEEvT1_,"axG",@progbits,_ZN7rocprim17ROCPRIM_400000_NS6detail17trampoline_kernelINS0_14default_configENS1_25partition_config_selectorILNS1_17partition_subalgoE9EllbEEZZNS1_14partition_implILS5_9ELb0ES3_jPlS8_PNS0_10empty_typeENS0_5tupleIJS8_S9_EEENSB_IJS8_SA_EEENS0_18inequality_wrapperIZN2at6native12_GLOBAL__N_124unique_dim_cuda_templateIdEESt5tupleIJNSF_6TensorESK_SK_EERKSK_lbbbEUlllE0_EEPmJS9_EEE10hipError_tPvRmT3_T4_T5_T6_T7_T9_mT8_P12ihipStream_tbDpT10_ENKUlT_T0_E_clISt17integral_constantIbLb0EES1A_EEDaS15_S16_EUlS15_E_NS1_11comp_targetILNS1_3genE10ELNS1_11target_archE1200ELNS1_3gpuE4ELNS1_3repE0EEENS1_30default_config_static_selectorELNS0_4arch9wavefront6targetE1EEEvT1_,comdat
.Lfunc_end844:
	.size	_ZN7rocprim17ROCPRIM_400000_NS6detail17trampoline_kernelINS0_14default_configENS1_25partition_config_selectorILNS1_17partition_subalgoE9EllbEEZZNS1_14partition_implILS5_9ELb0ES3_jPlS8_PNS0_10empty_typeENS0_5tupleIJS8_S9_EEENSB_IJS8_SA_EEENS0_18inequality_wrapperIZN2at6native12_GLOBAL__N_124unique_dim_cuda_templateIdEESt5tupleIJNSF_6TensorESK_SK_EERKSK_lbbbEUlllE0_EEPmJS9_EEE10hipError_tPvRmT3_T4_T5_T6_T7_T9_mT8_P12ihipStream_tbDpT10_ENKUlT_T0_E_clISt17integral_constantIbLb0EES1A_EEDaS15_S16_EUlS15_E_NS1_11comp_targetILNS1_3genE10ELNS1_11target_archE1200ELNS1_3gpuE4ELNS1_3repE0EEENS1_30default_config_static_selectorELNS0_4arch9wavefront6targetE1EEEvT1_, .Lfunc_end844-_ZN7rocprim17ROCPRIM_400000_NS6detail17trampoline_kernelINS0_14default_configENS1_25partition_config_selectorILNS1_17partition_subalgoE9EllbEEZZNS1_14partition_implILS5_9ELb0ES3_jPlS8_PNS0_10empty_typeENS0_5tupleIJS8_S9_EEENSB_IJS8_SA_EEENS0_18inequality_wrapperIZN2at6native12_GLOBAL__N_124unique_dim_cuda_templateIdEESt5tupleIJNSF_6TensorESK_SK_EERKSK_lbbbEUlllE0_EEPmJS9_EEE10hipError_tPvRmT3_T4_T5_T6_T7_T9_mT8_P12ihipStream_tbDpT10_ENKUlT_T0_E_clISt17integral_constantIbLb0EES1A_EEDaS15_S16_EUlS15_E_NS1_11comp_targetILNS1_3genE10ELNS1_11target_archE1200ELNS1_3gpuE4ELNS1_3repE0EEENS1_30default_config_static_selectorELNS0_4arch9wavefront6targetE1EEEvT1_
                                        ; -- End function
	.section	.AMDGPU.csdata,"",@progbits
; Kernel info:
; codeLenInByte = 0
; NumSgprs: 4
; NumVgprs: 0
; NumAgprs: 0
; TotalNumVgprs: 0
; ScratchSize: 0
; MemoryBound: 0
; FloatMode: 240
; IeeeMode: 1
; LDSByteSize: 0 bytes/workgroup (compile time only)
; SGPRBlocks: 0
; VGPRBlocks: 0
; NumSGPRsForWavesPerEU: 4
; NumVGPRsForWavesPerEU: 1
; AccumOffset: 4
; Occupancy: 8
; WaveLimiterHint : 0
; COMPUTE_PGM_RSRC2:SCRATCH_EN: 0
; COMPUTE_PGM_RSRC2:USER_SGPR: 6
; COMPUTE_PGM_RSRC2:TRAP_HANDLER: 0
; COMPUTE_PGM_RSRC2:TGID_X_EN: 1
; COMPUTE_PGM_RSRC2:TGID_Y_EN: 0
; COMPUTE_PGM_RSRC2:TGID_Z_EN: 0
; COMPUTE_PGM_RSRC2:TIDIG_COMP_CNT: 0
; COMPUTE_PGM_RSRC3_GFX90A:ACCUM_OFFSET: 0
; COMPUTE_PGM_RSRC3_GFX90A:TG_SPLIT: 0
	.section	.text._ZN7rocprim17ROCPRIM_400000_NS6detail17trampoline_kernelINS0_14default_configENS1_25partition_config_selectorILNS1_17partition_subalgoE9EllbEEZZNS1_14partition_implILS5_9ELb0ES3_jPlS8_PNS0_10empty_typeENS0_5tupleIJS8_S9_EEENSB_IJS8_SA_EEENS0_18inequality_wrapperIZN2at6native12_GLOBAL__N_124unique_dim_cuda_templateIdEESt5tupleIJNSF_6TensorESK_SK_EERKSK_lbbbEUlllE0_EEPmJS9_EEE10hipError_tPvRmT3_T4_T5_T6_T7_T9_mT8_P12ihipStream_tbDpT10_ENKUlT_T0_E_clISt17integral_constantIbLb0EES1A_EEDaS15_S16_EUlS15_E_NS1_11comp_targetILNS1_3genE9ELNS1_11target_archE1100ELNS1_3gpuE3ELNS1_3repE0EEENS1_30default_config_static_selectorELNS0_4arch9wavefront6targetE1EEEvT1_,"axG",@progbits,_ZN7rocprim17ROCPRIM_400000_NS6detail17trampoline_kernelINS0_14default_configENS1_25partition_config_selectorILNS1_17partition_subalgoE9EllbEEZZNS1_14partition_implILS5_9ELb0ES3_jPlS8_PNS0_10empty_typeENS0_5tupleIJS8_S9_EEENSB_IJS8_SA_EEENS0_18inequality_wrapperIZN2at6native12_GLOBAL__N_124unique_dim_cuda_templateIdEESt5tupleIJNSF_6TensorESK_SK_EERKSK_lbbbEUlllE0_EEPmJS9_EEE10hipError_tPvRmT3_T4_T5_T6_T7_T9_mT8_P12ihipStream_tbDpT10_ENKUlT_T0_E_clISt17integral_constantIbLb0EES1A_EEDaS15_S16_EUlS15_E_NS1_11comp_targetILNS1_3genE9ELNS1_11target_archE1100ELNS1_3gpuE3ELNS1_3repE0EEENS1_30default_config_static_selectorELNS0_4arch9wavefront6targetE1EEEvT1_,comdat
	.globl	_ZN7rocprim17ROCPRIM_400000_NS6detail17trampoline_kernelINS0_14default_configENS1_25partition_config_selectorILNS1_17partition_subalgoE9EllbEEZZNS1_14partition_implILS5_9ELb0ES3_jPlS8_PNS0_10empty_typeENS0_5tupleIJS8_S9_EEENSB_IJS8_SA_EEENS0_18inequality_wrapperIZN2at6native12_GLOBAL__N_124unique_dim_cuda_templateIdEESt5tupleIJNSF_6TensorESK_SK_EERKSK_lbbbEUlllE0_EEPmJS9_EEE10hipError_tPvRmT3_T4_T5_T6_T7_T9_mT8_P12ihipStream_tbDpT10_ENKUlT_T0_E_clISt17integral_constantIbLb0EES1A_EEDaS15_S16_EUlS15_E_NS1_11comp_targetILNS1_3genE9ELNS1_11target_archE1100ELNS1_3gpuE3ELNS1_3repE0EEENS1_30default_config_static_selectorELNS0_4arch9wavefront6targetE1EEEvT1_ ; -- Begin function _ZN7rocprim17ROCPRIM_400000_NS6detail17trampoline_kernelINS0_14default_configENS1_25partition_config_selectorILNS1_17partition_subalgoE9EllbEEZZNS1_14partition_implILS5_9ELb0ES3_jPlS8_PNS0_10empty_typeENS0_5tupleIJS8_S9_EEENSB_IJS8_SA_EEENS0_18inequality_wrapperIZN2at6native12_GLOBAL__N_124unique_dim_cuda_templateIdEESt5tupleIJNSF_6TensorESK_SK_EERKSK_lbbbEUlllE0_EEPmJS9_EEE10hipError_tPvRmT3_T4_T5_T6_T7_T9_mT8_P12ihipStream_tbDpT10_ENKUlT_T0_E_clISt17integral_constantIbLb0EES1A_EEDaS15_S16_EUlS15_E_NS1_11comp_targetILNS1_3genE9ELNS1_11target_archE1100ELNS1_3gpuE3ELNS1_3repE0EEENS1_30default_config_static_selectorELNS0_4arch9wavefront6targetE1EEEvT1_
	.p2align	8
	.type	_ZN7rocprim17ROCPRIM_400000_NS6detail17trampoline_kernelINS0_14default_configENS1_25partition_config_selectorILNS1_17partition_subalgoE9EllbEEZZNS1_14partition_implILS5_9ELb0ES3_jPlS8_PNS0_10empty_typeENS0_5tupleIJS8_S9_EEENSB_IJS8_SA_EEENS0_18inequality_wrapperIZN2at6native12_GLOBAL__N_124unique_dim_cuda_templateIdEESt5tupleIJNSF_6TensorESK_SK_EERKSK_lbbbEUlllE0_EEPmJS9_EEE10hipError_tPvRmT3_T4_T5_T6_T7_T9_mT8_P12ihipStream_tbDpT10_ENKUlT_T0_E_clISt17integral_constantIbLb0EES1A_EEDaS15_S16_EUlS15_E_NS1_11comp_targetILNS1_3genE9ELNS1_11target_archE1100ELNS1_3gpuE3ELNS1_3repE0EEENS1_30default_config_static_selectorELNS0_4arch9wavefront6targetE1EEEvT1_,@function
_ZN7rocprim17ROCPRIM_400000_NS6detail17trampoline_kernelINS0_14default_configENS1_25partition_config_selectorILNS1_17partition_subalgoE9EllbEEZZNS1_14partition_implILS5_9ELb0ES3_jPlS8_PNS0_10empty_typeENS0_5tupleIJS8_S9_EEENSB_IJS8_SA_EEENS0_18inequality_wrapperIZN2at6native12_GLOBAL__N_124unique_dim_cuda_templateIdEESt5tupleIJNSF_6TensorESK_SK_EERKSK_lbbbEUlllE0_EEPmJS9_EEE10hipError_tPvRmT3_T4_T5_T6_T7_T9_mT8_P12ihipStream_tbDpT10_ENKUlT_T0_E_clISt17integral_constantIbLb0EES1A_EEDaS15_S16_EUlS15_E_NS1_11comp_targetILNS1_3genE9ELNS1_11target_archE1100ELNS1_3gpuE3ELNS1_3repE0EEENS1_30default_config_static_selectorELNS0_4arch9wavefront6targetE1EEEvT1_: ; @_ZN7rocprim17ROCPRIM_400000_NS6detail17trampoline_kernelINS0_14default_configENS1_25partition_config_selectorILNS1_17partition_subalgoE9EllbEEZZNS1_14partition_implILS5_9ELb0ES3_jPlS8_PNS0_10empty_typeENS0_5tupleIJS8_S9_EEENSB_IJS8_SA_EEENS0_18inequality_wrapperIZN2at6native12_GLOBAL__N_124unique_dim_cuda_templateIdEESt5tupleIJNSF_6TensorESK_SK_EERKSK_lbbbEUlllE0_EEPmJS9_EEE10hipError_tPvRmT3_T4_T5_T6_T7_T9_mT8_P12ihipStream_tbDpT10_ENKUlT_T0_E_clISt17integral_constantIbLb0EES1A_EEDaS15_S16_EUlS15_E_NS1_11comp_targetILNS1_3genE9ELNS1_11target_archE1100ELNS1_3gpuE3ELNS1_3repE0EEENS1_30default_config_static_selectorELNS0_4arch9wavefront6targetE1EEEvT1_
; %bb.0:
	.section	.rodata,"a",@progbits
	.p2align	6, 0x0
	.amdhsa_kernel _ZN7rocprim17ROCPRIM_400000_NS6detail17trampoline_kernelINS0_14default_configENS1_25partition_config_selectorILNS1_17partition_subalgoE9EllbEEZZNS1_14partition_implILS5_9ELb0ES3_jPlS8_PNS0_10empty_typeENS0_5tupleIJS8_S9_EEENSB_IJS8_SA_EEENS0_18inequality_wrapperIZN2at6native12_GLOBAL__N_124unique_dim_cuda_templateIdEESt5tupleIJNSF_6TensorESK_SK_EERKSK_lbbbEUlllE0_EEPmJS9_EEE10hipError_tPvRmT3_T4_T5_T6_T7_T9_mT8_P12ihipStream_tbDpT10_ENKUlT_T0_E_clISt17integral_constantIbLb0EES1A_EEDaS15_S16_EUlS15_E_NS1_11comp_targetILNS1_3genE9ELNS1_11target_archE1100ELNS1_3gpuE3ELNS1_3repE0EEENS1_30default_config_static_selectorELNS0_4arch9wavefront6targetE1EEEvT1_
		.amdhsa_group_segment_fixed_size 0
		.amdhsa_private_segment_fixed_size 0
		.amdhsa_kernarg_size 120
		.amdhsa_user_sgpr_count 6
		.amdhsa_user_sgpr_private_segment_buffer 1
		.amdhsa_user_sgpr_dispatch_ptr 0
		.amdhsa_user_sgpr_queue_ptr 0
		.amdhsa_user_sgpr_kernarg_segment_ptr 1
		.amdhsa_user_sgpr_dispatch_id 0
		.amdhsa_user_sgpr_flat_scratch_init 0
		.amdhsa_user_sgpr_kernarg_preload_length 0
		.amdhsa_user_sgpr_kernarg_preload_offset 0
		.amdhsa_user_sgpr_private_segment_size 0
		.amdhsa_uses_dynamic_stack 0
		.amdhsa_system_sgpr_private_segment_wavefront_offset 0
		.amdhsa_system_sgpr_workgroup_id_x 1
		.amdhsa_system_sgpr_workgroup_id_y 0
		.amdhsa_system_sgpr_workgroup_id_z 0
		.amdhsa_system_sgpr_workgroup_info 0
		.amdhsa_system_vgpr_workitem_id 0
		.amdhsa_next_free_vgpr 1
		.amdhsa_next_free_sgpr 0
		.amdhsa_accum_offset 4
		.amdhsa_reserve_vcc 0
		.amdhsa_reserve_flat_scratch 0
		.amdhsa_float_round_mode_32 0
		.amdhsa_float_round_mode_16_64 0
		.amdhsa_float_denorm_mode_32 3
		.amdhsa_float_denorm_mode_16_64 3
		.amdhsa_dx10_clamp 1
		.amdhsa_ieee_mode 1
		.amdhsa_fp16_overflow 0
		.amdhsa_tg_split 0
		.amdhsa_exception_fp_ieee_invalid_op 0
		.amdhsa_exception_fp_denorm_src 0
		.amdhsa_exception_fp_ieee_div_zero 0
		.amdhsa_exception_fp_ieee_overflow 0
		.amdhsa_exception_fp_ieee_underflow 0
		.amdhsa_exception_fp_ieee_inexact 0
		.amdhsa_exception_int_div_zero 0
	.end_amdhsa_kernel
	.section	.text._ZN7rocprim17ROCPRIM_400000_NS6detail17trampoline_kernelINS0_14default_configENS1_25partition_config_selectorILNS1_17partition_subalgoE9EllbEEZZNS1_14partition_implILS5_9ELb0ES3_jPlS8_PNS0_10empty_typeENS0_5tupleIJS8_S9_EEENSB_IJS8_SA_EEENS0_18inequality_wrapperIZN2at6native12_GLOBAL__N_124unique_dim_cuda_templateIdEESt5tupleIJNSF_6TensorESK_SK_EERKSK_lbbbEUlllE0_EEPmJS9_EEE10hipError_tPvRmT3_T4_T5_T6_T7_T9_mT8_P12ihipStream_tbDpT10_ENKUlT_T0_E_clISt17integral_constantIbLb0EES1A_EEDaS15_S16_EUlS15_E_NS1_11comp_targetILNS1_3genE9ELNS1_11target_archE1100ELNS1_3gpuE3ELNS1_3repE0EEENS1_30default_config_static_selectorELNS0_4arch9wavefront6targetE1EEEvT1_,"axG",@progbits,_ZN7rocprim17ROCPRIM_400000_NS6detail17trampoline_kernelINS0_14default_configENS1_25partition_config_selectorILNS1_17partition_subalgoE9EllbEEZZNS1_14partition_implILS5_9ELb0ES3_jPlS8_PNS0_10empty_typeENS0_5tupleIJS8_S9_EEENSB_IJS8_SA_EEENS0_18inequality_wrapperIZN2at6native12_GLOBAL__N_124unique_dim_cuda_templateIdEESt5tupleIJNSF_6TensorESK_SK_EERKSK_lbbbEUlllE0_EEPmJS9_EEE10hipError_tPvRmT3_T4_T5_T6_T7_T9_mT8_P12ihipStream_tbDpT10_ENKUlT_T0_E_clISt17integral_constantIbLb0EES1A_EEDaS15_S16_EUlS15_E_NS1_11comp_targetILNS1_3genE9ELNS1_11target_archE1100ELNS1_3gpuE3ELNS1_3repE0EEENS1_30default_config_static_selectorELNS0_4arch9wavefront6targetE1EEEvT1_,comdat
.Lfunc_end845:
	.size	_ZN7rocprim17ROCPRIM_400000_NS6detail17trampoline_kernelINS0_14default_configENS1_25partition_config_selectorILNS1_17partition_subalgoE9EllbEEZZNS1_14partition_implILS5_9ELb0ES3_jPlS8_PNS0_10empty_typeENS0_5tupleIJS8_S9_EEENSB_IJS8_SA_EEENS0_18inequality_wrapperIZN2at6native12_GLOBAL__N_124unique_dim_cuda_templateIdEESt5tupleIJNSF_6TensorESK_SK_EERKSK_lbbbEUlllE0_EEPmJS9_EEE10hipError_tPvRmT3_T4_T5_T6_T7_T9_mT8_P12ihipStream_tbDpT10_ENKUlT_T0_E_clISt17integral_constantIbLb0EES1A_EEDaS15_S16_EUlS15_E_NS1_11comp_targetILNS1_3genE9ELNS1_11target_archE1100ELNS1_3gpuE3ELNS1_3repE0EEENS1_30default_config_static_selectorELNS0_4arch9wavefront6targetE1EEEvT1_, .Lfunc_end845-_ZN7rocprim17ROCPRIM_400000_NS6detail17trampoline_kernelINS0_14default_configENS1_25partition_config_selectorILNS1_17partition_subalgoE9EllbEEZZNS1_14partition_implILS5_9ELb0ES3_jPlS8_PNS0_10empty_typeENS0_5tupleIJS8_S9_EEENSB_IJS8_SA_EEENS0_18inequality_wrapperIZN2at6native12_GLOBAL__N_124unique_dim_cuda_templateIdEESt5tupleIJNSF_6TensorESK_SK_EERKSK_lbbbEUlllE0_EEPmJS9_EEE10hipError_tPvRmT3_T4_T5_T6_T7_T9_mT8_P12ihipStream_tbDpT10_ENKUlT_T0_E_clISt17integral_constantIbLb0EES1A_EEDaS15_S16_EUlS15_E_NS1_11comp_targetILNS1_3genE9ELNS1_11target_archE1100ELNS1_3gpuE3ELNS1_3repE0EEENS1_30default_config_static_selectorELNS0_4arch9wavefront6targetE1EEEvT1_
                                        ; -- End function
	.section	.AMDGPU.csdata,"",@progbits
; Kernel info:
; codeLenInByte = 0
; NumSgprs: 4
; NumVgprs: 0
; NumAgprs: 0
; TotalNumVgprs: 0
; ScratchSize: 0
; MemoryBound: 0
; FloatMode: 240
; IeeeMode: 1
; LDSByteSize: 0 bytes/workgroup (compile time only)
; SGPRBlocks: 0
; VGPRBlocks: 0
; NumSGPRsForWavesPerEU: 4
; NumVGPRsForWavesPerEU: 1
; AccumOffset: 4
; Occupancy: 8
; WaveLimiterHint : 0
; COMPUTE_PGM_RSRC2:SCRATCH_EN: 0
; COMPUTE_PGM_RSRC2:USER_SGPR: 6
; COMPUTE_PGM_RSRC2:TRAP_HANDLER: 0
; COMPUTE_PGM_RSRC2:TGID_X_EN: 1
; COMPUTE_PGM_RSRC2:TGID_Y_EN: 0
; COMPUTE_PGM_RSRC2:TGID_Z_EN: 0
; COMPUTE_PGM_RSRC2:TIDIG_COMP_CNT: 0
; COMPUTE_PGM_RSRC3_GFX90A:ACCUM_OFFSET: 0
; COMPUTE_PGM_RSRC3_GFX90A:TG_SPLIT: 0
	.section	.text._ZN7rocprim17ROCPRIM_400000_NS6detail17trampoline_kernelINS0_14default_configENS1_25partition_config_selectorILNS1_17partition_subalgoE9EllbEEZZNS1_14partition_implILS5_9ELb0ES3_jPlS8_PNS0_10empty_typeENS0_5tupleIJS8_S9_EEENSB_IJS8_SA_EEENS0_18inequality_wrapperIZN2at6native12_GLOBAL__N_124unique_dim_cuda_templateIdEESt5tupleIJNSF_6TensorESK_SK_EERKSK_lbbbEUlllE0_EEPmJS9_EEE10hipError_tPvRmT3_T4_T5_T6_T7_T9_mT8_P12ihipStream_tbDpT10_ENKUlT_T0_E_clISt17integral_constantIbLb0EES1A_EEDaS15_S16_EUlS15_E_NS1_11comp_targetILNS1_3genE8ELNS1_11target_archE1030ELNS1_3gpuE2ELNS1_3repE0EEENS1_30default_config_static_selectorELNS0_4arch9wavefront6targetE1EEEvT1_,"axG",@progbits,_ZN7rocprim17ROCPRIM_400000_NS6detail17trampoline_kernelINS0_14default_configENS1_25partition_config_selectorILNS1_17partition_subalgoE9EllbEEZZNS1_14partition_implILS5_9ELb0ES3_jPlS8_PNS0_10empty_typeENS0_5tupleIJS8_S9_EEENSB_IJS8_SA_EEENS0_18inequality_wrapperIZN2at6native12_GLOBAL__N_124unique_dim_cuda_templateIdEESt5tupleIJNSF_6TensorESK_SK_EERKSK_lbbbEUlllE0_EEPmJS9_EEE10hipError_tPvRmT3_T4_T5_T6_T7_T9_mT8_P12ihipStream_tbDpT10_ENKUlT_T0_E_clISt17integral_constantIbLb0EES1A_EEDaS15_S16_EUlS15_E_NS1_11comp_targetILNS1_3genE8ELNS1_11target_archE1030ELNS1_3gpuE2ELNS1_3repE0EEENS1_30default_config_static_selectorELNS0_4arch9wavefront6targetE1EEEvT1_,comdat
	.globl	_ZN7rocprim17ROCPRIM_400000_NS6detail17trampoline_kernelINS0_14default_configENS1_25partition_config_selectorILNS1_17partition_subalgoE9EllbEEZZNS1_14partition_implILS5_9ELb0ES3_jPlS8_PNS0_10empty_typeENS0_5tupleIJS8_S9_EEENSB_IJS8_SA_EEENS0_18inequality_wrapperIZN2at6native12_GLOBAL__N_124unique_dim_cuda_templateIdEESt5tupleIJNSF_6TensorESK_SK_EERKSK_lbbbEUlllE0_EEPmJS9_EEE10hipError_tPvRmT3_T4_T5_T6_T7_T9_mT8_P12ihipStream_tbDpT10_ENKUlT_T0_E_clISt17integral_constantIbLb0EES1A_EEDaS15_S16_EUlS15_E_NS1_11comp_targetILNS1_3genE8ELNS1_11target_archE1030ELNS1_3gpuE2ELNS1_3repE0EEENS1_30default_config_static_selectorELNS0_4arch9wavefront6targetE1EEEvT1_ ; -- Begin function _ZN7rocprim17ROCPRIM_400000_NS6detail17trampoline_kernelINS0_14default_configENS1_25partition_config_selectorILNS1_17partition_subalgoE9EllbEEZZNS1_14partition_implILS5_9ELb0ES3_jPlS8_PNS0_10empty_typeENS0_5tupleIJS8_S9_EEENSB_IJS8_SA_EEENS0_18inequality_wrapperIZN2at6native12_GLOBAL__N_124unique_dim_cuda_templateIdEESt5tupleIJNSF_6TensorESK_SK_EERKSK_lbbbEUlllE0_EEPmJS9_EEE10hipError_tPvRmT3_T4_T5_T6_T7_T9_mT8_P12ihipStream_tbDpT10_ENKUlT_T0_E_clISt17integral_constantIbLb0EES1A_EEDaS15_S16_EUlS15_E_NS1_11comp_targetILNS1_3genE8ELNS1_11target_archE1030ELNS1_3gpuE2ELNS1_3repE0EEENS1_30default_config_static_selectorELNS0_4arch9wavefront6targetE1EEEvT1_
	.p2align	8
	.type	_ZN7rocprim17ROCPRIM_400000_NS6detail17trampoline_kernelINS0_14default_configENS1_25partition_config_selectorILNS1_17partition_subalgoE9EllbEEZZNS1_14partition_implILS5_9ELb0ES3_jPlS8_PNS0_10empty_typeENS0_5tupleIJS8_S9_EEENSB_IJS8_SA_EEENS0_18inequality_wrapperIZN2at6native12_GLOBAL__N_124unique_dim_cuda_templateIdEESt5tupleIJNSF_6TensorESK_SK_EERKSK_lbbbEUlllE0_EEPmJS9_EEE10hipError_tPvRmT3_T4_T5_T6_T7_T9_mT8_P12ihipStream_tbDpT10_ENKUlT_T0_E_clISt17integral_constantIbLb0EES1A_EEDaS15_S16_EUlS15_E_NS1_11comp_targetILNS1_3genE8ELNS1_11target_archE1030ELNS1_3gpuE2ELNS1_3repE0EEENS1_30default_config_static_selectorELNS0_4arch9wavefront6targetE1EEEvT1_,@function
_ZN7rocprim17ROCPRIM_400000_NS6detail17trampoline_kernelINS0_14default_configENS1_25partition_config_selectorILNS1_17partition_subalgoE9EllbEEZZNS1_14partition_implILS5_9ELb0ES3_jPlS8_PNS0_10empty_typeENS0_5tupleIJS8_S9_EEENSB_IJS8_SA_EEENS0_18inequality_wrapperIZN2at6native12_GLOBAL__N_124unique_dim_cuda_templateIdEESt5tupleIJNSF_6TensorESK_SK_EERKSK_lbbbEUlllE0_EEPmJS9_EEE10hipError_tPvRmT3_T4_T5_T6_T7_T9_mT8_P12ihipStream_tbDpT10_ENKUlT_T0_E_clISt17integral_constantIbLb0EES1A_EEDaS15_S16_EUlS15_E_NS1_11comp_targetILNS1_3genE8ELNS1_11target_archE1030ELNS1_3gpuE2ELNS1_3repE0EEENS1_30default_config_static_selectorELNS0_4arch9wavefront6targetE1EEEvT1_: ; @_ZN7rocprim17ROCPRIM_400000_NS6detail17trampoline_kernelINS0_14default_configENS1_25partition_config_selectorILNS1_17partition_subalgoE9EllbEEZZNS1_14partition_implILS5_9ELb0ES3_jPlS8_PNS0_10empty_typeENS0_5tupleIJS8_S9_EEENSB_IJS8_SA_EEENS0_18inequality_wrapperIZN2at6native12_GLOBAL__N_124unique_dim_cuda_templateIdEESt5tupleIJNSF_6TensorESK_SK_EERKSK_lbbbEUlllE0_EEPmJS9_EEE10hipError_tPvRmT3_T4_T5_T6_T7_T9_mT8_P12ihipStream_tbDpT10_ENKUlT_T0_E_clISt17integral_constantIbLb0EES1A_EEDaS15_S16_EUlS15_E_NS1_11comp_targetILNS1_3genE8ELNS1_11target_archE1030ELNS1_3gpuE2ELNS1_3repE0EEENS1_30default_config_static_selectorELNS0_4arch9wavefront6targetE1EEEvT1_
; %bb.0:
	.section	.rodata,"a",@progbits
	.p2align	6, 0x0
	.amdhsa_kernel _ZN7rocprim17ROCPRIM_400000_NS6detail17trampoline_kernelINS0_14default_configENS1_25partition_config_selectorILNS1_17partition_subalgoE9EllbEEZZNS1_14partition_implILS5_9ELb0ES3_jPlS8_PNS0_10empty_typeENS0_5tupleIJS8_S9_EEENSB_IJS8_SA_EEENS0_18inequality_wrapperIZN2at6native12_GLOBAL__N_124unique_dim_cuda_templateIdEESt5tupleIJNSF_6TensorESK_SK_EERKSK_lbbbEUlllE0_EEPmJS9_EEE10hipError_tPvRmT3_T4_T5_T6_T7_T9_mT8_P12ihipStream_tbDpT10_ENKUlT_T0_E_clISt17integral_constantIbLb0EES1A_EEDaS15_S16_EUlS15_E_NS1_11comp_targetILNS1_3genE8ELNS1_11target_archE1030ELNS1_3gpuE2ELNS1_3repE0EEENS1_30default_config_static_selectorELNS0_4arch9wavefront6targetE1EEEvT1_
		.amdhsa_group_segment_fixed_size 0
		.amdhsa_private_segment_fixed_size 0
		.amdhsa_kernarg_size 120
		.amdhsa_user_sgpr_count 6
		.amdhsa_user_sgpr_private_segment_buffer 1
		.amdhsa_user_sgpr_dispatch_ptr 0
		.amdhsa_user_sgpr_queue_ptr 0
		.amdhsa_user_sgpr_kernarg_segment_ptr 1
		.amdhsa_user_sgpr_dispatch_id 0
		.amdhsa_user_sgpr_flat_scratch_init 0
		.amdhsa_user_sgpr_kernarg_preload_length 0
		.amdhsa_user_sgpr_kernarg_preload_offset 0
		.amdhsa_user_sgpr_private_segment_size 0
		.amdhsa_uses_dynamic_stack 0
		.amdhsa_system_sgpr_private_segment_wavefront_offset 0
		.amdhsa_system_sgpr_workgroup_id_x 1
		.amdhsa_system_sgpr_workgroup_id_y 0
		.amdhsa_system_sgpr_workgroup_id_z 0
		.amdhsa_system_sgpr_workgroup_info 0
		.amdhsa_system_vgpr_workitem_id 0
		.amdhsa_next_free_vgpr 1
		.amdhsa_next_free_sgpr 0
		.amdhsa_accum_offset 4
		.amdhsa_reserve_vcc 0
		.amdhsa_reserve_flat_scratch 0
		.amdhsa_float_round_mode_32 0
		.amdhsa_float_round_mode_16_64 0
		.amdhsa_float_denorm_mode_32 3
		.amdhsa_float_denorm_mode_16_64 3
		.amdhsa_dx10_clamp 1
		.amdhsa_ieee_mode 1
		.amdhsa_fp16_overflow 0
		.amdhsa_tg_split 0
		.amdhsa_exception_fp_ieee_invalid_op 0
		.amdhsa_exception_fp_denorm_src 0
		.amdhsa_exception_fp_ieee_div_zero 0
		.amdhsa_exception_fp_ieee_overflow 0
		.amdhsa_exception_fp_ieee_underflow 0
		.amdhsa_exception_fp_ieee_inexact 0
		.amdhsa_exception_int_div_zero 0
	.end_amdhsa_kernel
	.section	.text._ZN7rocprim17ROCPRIM_400000_NS6detail17trampoline_kernelINS0_14default_configENS1_25partition_config_selectorILNS1_17partition_subalgoE9EllbEEZZNS1_14partition_implILS5_9ELb0ES3_jPlS8_PNS0_10empty_typeENS0_5tupleIJS8_S9_EEENSB_IJS8_SA_EEENS0_18inequality_wrapperIZN2at6native12_GLOBAL__N_124unique_dim_cuda_templateIdEESt5tupleIJNSF_6TensorESK_SK_EERKSK_lbbbEUlllE0_EEPmJS9_EEE10hipError_tPvRmT3_T4_T5_T6_T7_T9_mT8_P12ihipStream_tbDpT10_ENKUlT_T0_E_clISt17integral_constantIbLb0EES1A_EEDaS15_S16_EUlS15_E_NS1_11comp_targetILNS1_3genE8ELNS1_11target_archE1030ELNS1_3gpuE2ELNS1_3repE0EEENS1_30default_config_static_selectorELNS0_4arch9wavefront6targetE1EEEvT1_,"axG",@progbits,_ZN7rocprim17ROCPRIM_400000_NS6detail17trampoline_kernelINS0_14default_configENS1_25partition_config_selectorILNS1_17partition_subalgoE9EllbEEZZNS1_14partition_implILS5_9ELb0ES3_jPlS8_PNS0_10empty_typeENS0_5tupleIJS8_S9_EEENSB_IJS8_SA_EEENS0_18inequality_wrapperIZN2at6native12_GLOBAL__N_124unique_dim_cuda_templateIdEESt5tupleIJNSF_6TensorESK_SK_EERKSK_lbbbEUlllE0_EEPmJS9_EEE10hipError_tPvRmT3_T4_T5_T6_T7_T9_mT8_P12ihipStream_tbDpT10_ENKUlT_T0_E_clISt17integral_constantIbLb0EES1A_EEDaS15_S16_EUlS15_E_NS1_11comp_targetILNS1_3genE8ELNS1_11target_archE1030ELNS1_3gpuE2ELNS1_3repE0EEENS1_30default_config_static_selectorELNS0_4arch9wavefront6targetE1EEEvT1_,comdat
.Lfunc_end846:
	.size	_ZN7rocprim17ROCPRIM_400000_NS6detail17trampoline_kernelINS0_14default_configENS1_25partition_config_selectorILNS1_17partition_subalgoE9EllbEEZZNS1_14partition_implILS5_9ELb0ES3_jPlS8_PNS0_10empty_typeENS0_5tupleIJS8_S9_EEENSB_IJS8_SA_EEENS0_18inequality_wrapperIZN2at6native12_GLOBAL__N_124unique_dim_cuda_templateIdEESt5tupleIJNSF_6TensorESK_SK_EERKSK_lbbbEUlllE0_EEPmJS9_EEE10hipError_tPvRmT3_T4_T5_T6_T7_T9_mT8_P12ihipStream_tbDpT10_ENKUlT_T0_E_clISt17integral_constantIbLb0EES1A_EEDaS15_S16_EUlS15_E_NS1_11comp_targetILNS1_3genE8ELNS1_11target_archE1030ELNS1_3gpuE2ELNS1_3repE0EEENS1_30default_config_static_selectorELNS0_4arch9wavefront6targetE1EEEvT1_, .Lfunc_end846-_ZN7rocprim17ROCPRIM_400000_NS6detail17trampoline_kernelINS0_14default_configENS1_25partition_config_selectorILNS1_17partition_subalgoE9EllbEEZZNS1_14partition_implILS5_9ELb0ES3_jPlS8_PNS0_10empty_typeENS0_5tupleIJS8_S9_EEENSB_IJS8_SA_EEENS0_18inequality_wrapperIZN2at6native12_GLOBAL__N_124unique_dim_cuda_templateIdEESt5tupleIJNSF_6TensorESK_SK_EERKSK_lbbbEUlllE0_EEPmJS9_EEE10hipError_tPvRmT3_T4_T5_T6_T7_T9_mT8_P12ihipStream_tbDpT10_ENKUlT_T0_E_clISt17integral_constantIbLb0EES1A_EEDaS15_S16_EUlS15_E_NS1_11comp_targetILNS1_3genE8ELNS1_11target_archE1030ELNS1_3gpuE2ELNS1_3repE0EEENS1_30default_config_static_selectorELNS0_4arch9wavefront6targetE1EEEvT1_
                                        ; -- End function
	.section	.AMDGPU.csdata,"",@progbits
; Kernel info:
; codeLenInByte = 0
; NumSgprs: 4
; NumVgprs: 0
; NumAgprs: 0
; TotalNumVgprs: 0
; ScratchSize: 0
; MemoryBound: 0
; FloatMode: 240
; IeeeMode: 1
; LDSByteSize: 0 bytes/workgroup (compile time only)
; SGPRBlocks: 0
; VGPRBlocks: 0
; NumSGPRsForWavesPerEU: 4
; NumVGPRsForWavesPerEU: 1
; AccumOffset: 4
; Occupancy: 8
; WaveLimiterHint : 0
; COMPUTE_PGM_RSRC2:SCRATCH_EN: 0
; COMPUTE_PGM_RSRC2:USER_SGPR: 6
; COMPUTE_PGM_RSRC2:TRAP_HANDLER: 0
; COMPUTE_PGM_RSRC2:TGID_X_EN: 1
; COMPUTE_PGM_RSRC2:TGID_Y_EN: 0
; COMPUTE_PGM_RSRC2:TGID_Z_EN: 0
; COMPUTE_PGM_RSRC2:TIDIG_COMP_CNT: 0
; COMPUTE_PGM_RSRC3_GFX90A:ACCUM_OFFSET: 0
; COMPUTE_PGM_RSRC3_GFX90A:TG_SPLIT: 0
	.section	.text._ZN7rocprim17ROCPRIM_400000_NS6detail17trampoline_kernelINS0_14default_configENS1_25partition_config_selectorILNS1_17partition_subalgoE9EllbEEZZNS1_14partition_implILS5_9ELb0ES3_jPlS8_PNS0_10empty_typeENS0_5tupleIJS8_S9_EEENSB_IJS8_SA_EEENS0_18inequality_wrapperIZN2at6native12_GLOBAL__N_124unique_dim_cuda_templateIdEESt5tupleIJNSF_6TensorESK_SK_EERKSK_lbbbEUlllE0_EEPmJS9_EEE10hipError_tPvRmT3_T4_T5_T6_T7_T9_mT8_P12ihipStream_tbDpT10_ENKUlT_T0_E_clISt17integral_constantIbLb1EES1A_EEDaS15_S16_EUlS15_E_NS1_11comp_targetILNS1_3genE0ELNS1_11target_archE4294967295ELNS1_3gpuE0ELNS1_3repE0EEENS1_30default_config_static_selectorELNS0_4arch9wavefront6targetE1EEEvT1_,"axG",@progbits,_ZN7rocprim17ROCPRIM_400000_NS6detail17trampoline_kernelINS0_14default_configENS1_25partition_config_selectorILNS1_17partition_subalgoE9EllbEEZZNS1_14partition_implILS5_9ELb0ES3_jPlS8_PNS0_10empty_typeENS0_5tupleIJS8_S9_EEENSB_IJS8_SA_EEENS0_18inequality_wrapperIZN2at6native12_GLOBAL__N_124unique_dim_cuda_templateIdEESt5tupleIJNSF_6TensorESK_SK_EERKSK_lbbbEUlllE0_EEPmJS9_EEE10hipError_tPvRmT3_T4_T5_T6_T7_T9_mT8_P12ihipStream_tbDpT10_ENKUlT_T0_E_clISt17integral_constantIbLb1EES1A_EEDaS15_S16_EUlS15_E_NS1_11comp_targetILNS1_3genE0ELNS1_11target_archE4294967295ELNS1_3gpuE0ELNS1_3repE0EEENS1_30default_config_static_selectorELNS0_4arch9wavefront6targetE1EEEvT1_,comdat
	.globl	_ZN7rocprim17ROCPRIM_400000_NS6detail17trampoline_kernelINS0_14default_configENS1_25partition_config_selectorILNS1_17partition_subalgoE9EllbEEZZNS1_14partition_implILS5_9ELb0ES3_jPlS8_PNS0_10empty_typeENS0_5tupleIJS8_S9_EEENSB_IJS8_SA_EEENS0_18inequality_wrapperIZN2at6native12_GLOBAL__N_124unique_dim_cuda_templateIdEESt5tupleIJNSF_6TensorESK_SK_EERKSK_lbbbEUlllE0_EEPmJS9_EEE10hipError_tPvRmT3_T4_T5_T6_T7_T9_mT8_P12ihipStream_tbDpT10_ENKUlT_T0_E_clISt17integral_constantIbLb1EES1A_EEDaS15_S16_EUlS15_E_NS1_11comp_targetILNS1_3genE0ELNS1_11target_archE4294967295ELNS1_3gpuE0ELNS1_3repE0EEENS1_30default_config_static_selectorELNS0_4arch9wavefront6targetE1EEEvT1_ ; -- Begin function _ZN7rocprim17ROCPRIM_400000_NS6detail17trampoline_kernelINS0_14default_configENS1_25partition_config_selectorILNS1_17partition_subalgoE9EllbEEZZNS1_14partition_implILS5_9ELb0ES3_jPlS8_PNS0_10empty_typeENS0_5tupleIJS8_S9_EEENSB_IJS8_SA_EEENS0_18inequality_wrapperIZN2at6native12_GLOBAL__N_124unique_dim_cuda_templateIdEESt5tupleIJNSF_6TensorESK_SK_EERKSK_lbbbEUlllE0_EEPmJS9_EEE10hipError_tPvRmT3_T4_T5_T6_T7_T9_mT8_P12ihipStream_tbDpT10_ENKUlT_T0_E_clISt17integral_constantIbLb1EES1A_EEDaS15_S16_EUlS15_E_NS1_11comp_targetILNS1_3genE0ELNS1_11target_archE4294967295ELNS1_3gpuE0ELNS1_3repE0EEENS1_30default_config_static_selectorELNS0_4arch9wavefront6targetE1EEEvT1_
	.p2align	8
	.type	_ZN7rocprim17ROCPRIM_400000_NS6detail17trampoline_kernelINS0_14default_configENS1_25partition_config_selectorILNS1_17partition_subalgoE9EllbEEZZNS1_14partition_implILS5_9ELb0ES3_jPlS8_PNS0_10empty_typeENS0_5tupleIJS8_S9_EEENSB_IJS8_SA_EEENS0_18inequality_wrapperIZN2at6native12_GLOBAL__N_124unique_dim_cuda_templateIdEESt5tupleIJNSF_6TensorESK_SK_EERKSK_lbbbEUlllE0_EEPmJS9_EEE10hipError_tPvRmT3_T4_T5_T6_T7_T9_mT8_P12ihipStream_tbDpT10_ENKUlT_T0_E_clISt17integral_constantIbLb1EES1A_EEDaS15_S16_EUlS15_E_NS1_11comp_targetILNS1_3genE0ELNS1_11target_archE4294967295ELNS1_3gpuE0ELNS1_3repE0EEENS1_30default_config_static_selectorELNS0_4arch9wavefront6targetE1EEEvT1_,@function
_ZN7rocprim17ROCPRIM_400000_NS6detail17trampoline_kernelINS0_14default_configENS1_25partition_config_selectorILNS1_17partition_subalgoE9EllbEEZZNS1_14partition_implILS5_9ELb0ES3_jPlS8_PNS0_10empty_typeENS0_5tupleIJS8_S9_EEENSB_IJS8_SA_EEENS0_18inequality_wrapperIZN2at6native12_GLOBAL__N_124unique_dim_cuda_templateIdEESt5tupleIJNSF_6TensorESK_SK_EERKSK_lbbbEUlllE0_EEPmJS9_EEE10hipError_tPvRmT3_T4_T5_T6_T7_T9_mT8_P12ihipStream_tbDpT10_ENKUlT_T0_E_clISt17integral_constantIbLb1EES1A_EEDaS15_S16_EUlS15_E_NS1_11comp_targetILNS1_3genE0ELNS1_11target_archE4294967295ELNS1_3gpuE0ELNS1_3repE0EEENS1_30default_config_static_selectorELNS0_4arch9wavefront6targetE1EEEvT1_: ; @_ZN7rocprim17ROCPRIM_400000_NS6detail17trampoline_kernelINS0_14default_configENS1_25partition_config_selectorILNS1_17partition_subalgoE9EllbEEZZNS1_14partition_implILS5_9ELb0ES3_jPlS8_PNS0_10empty_typeENS0_5tupleIJS8_S9_EEENSB_IJS8_SA_EEENS0_18inequality_wrapperIZN2at6native12_GLOBAL__N_124unique_dim_cuda_templateIdEESt5tupleIJNSF_6TensorESK_SK_EERKSK_lbbbEUlllE0_EEPmJS9_EEE10hipError_tPvRmT3_T4_T5_T6_T7_T9_mT8_P12ihipStream_tbDpT10_ENKUlT_T0_E_clISt17integral_constantIbLb1EES1A_EEDaS15_S16_EUlS15_E_NS1_11comp_targetILNS1_3genE0ELNS1_11target_archE4294967295ELNS1_3gpuE0ELNS1_3repE0EEENS1_30default_config_static_selectorELNS0_4arch9wavefront6targetE1EEEvT1_
; %bb.0:
	.section	.rodata,"a",@progbits
	.p2align	6, 0x0
	.amdhsa_kernel _ZN7rocprim17ROCPRIM_400000_NS6detail17trampoline_kernelINS0_14default_configENS1_25partition_config_selectorILNS1_17partition_subalgoE9EllbEEZZNS1_14partition_implILS5_9ELb0ES3_jPlS8_PNS0_10empty_typeENS0_5tupleIJS8_S9_EEENSB_IJS8_SA_EEENS0_18inequality_wrapperIZN2at6native12_GLOBAL__N_124unique_dim_cuda_templateIdEESt5tupleIJNSF_6TensorESK_SK_EERKSK_lbbbEUlllE0_EEPmJS9_EEE10hipError_tPvRmT3_T4_T5_T6_T7_T9_mT8_P12ihipStream_tbDpT10_ENKUlT_T0_E_clISt17integral_constantIbLb1EES1A_EEDaS15_S16_EUlS15_E_NS1_11comp_targetILNS1_3genE0ELNS1_11target_archE4294967295ELNS1_3gpuE0ELNS1_3repE0EEENS1_30default_config_static_selectorELNS0_4arch9wavefront6targetE1EEEvT1_
		.amdhsa_group_segment_fixed_size 0
		.amdhsa_private_segment_fixed_size 0
		.amdhsa_kernarg_size 136
		.amdhsa_user_sgpr_count 6
		.amdhsa_user_sgpr_private_segment_buffer 1
		.amdhsa_user_sgpr_dispatch_ptr 0
		.amdhsa_user_sgpr_queue_ptr 0
		.amdhsa_user_sgpr_kernarg_segment_ptr 1
		.amdhsa_user_sgpr_dispatch_id 0
		.amdhsa_user_sgpr_flat_scratch_init 0
		.amdhsa_user_sgpr_kernarg_preload_length 0
		.amdhsa_user_sgpr_kernarg_preload_offset 0
		.amdhsa_user_sgpr_private_segment_size 0
		.amdhsa_uses_dynamic_stack 0
		.amdhsa_system_sgpr_private_segment_wavefront_offset 0
		.amdhsa_system_sgpr_workgroup_id_x 1
		.amdhsa_system_sgpr_workgroup_id_y 0
		.amdhsa_system_sgpr_workgroup_id_z 0
		.amdhsa_system_sgpr_workgroup_info 0
		.amdhsa_system_vgpr_workitem_id 0
		.amdhsa_next_free_vgpr 1
		.amdhsa_next_free_sgpr 0
		.amdhsa_accum_offset 4
		.amdhsa_reserve_vcc 0
		.amdhsa_reserve_flat_scratch 0
		.amdhsa_float_round_mode_32 0
		.amdhsa_float_round_mode_16_64 0
		.amdhsa_float_denorm_mode_32 3
		.amdhsa_float_denorm_mode_16_64 3
		.amdhsa_dx10_clamp 1
		.amdhsa_ieee_mode 1
		.amdhsa_fp16_overflow 0
		.amdhsa_tg_split 0
		.amdhsa_exception_fp_ieee_invalid_op 0
		.amdhsa_exception_fp_denorm_src 0
		.amdhsa_exception_fp_ieee_div_zero 0
		.amdhsa_exception_fp_ieee_overflow 0
		.amdhsa_exception_fp_ieee_underflow 0
		.amdhsa_exception_fp_ieee_inexact 0
		.amdhsa_exception_int_div_zero 0
	.end_amdhsa_kernel
	.section	.text._ZN7rocprim17ROCPRIM_400000_NS6detail17trampoline_kernelINS0_14default_configENS1_25partition_config_selectorILNS1_17partition_subalgoE9EllbEEZZNS1_14partition_implILS5_9ELb0ES3_jPlS8_PNS0_10empty_typeENS0_5tupleIJS8_S9_EEENSB_IJS8_SA_EEENS0_18inequality_wrapperIZN2at6native12_GLOBAL__N_124unique_dim_cuda_templateIdEESt5tupleIJNSF_6TensorESK_SK_EERKSK_lbbbEUlllE0_EEPmJS9_EEE10hipError_tPvRmT3_T4_T5_T6_T7_T9_mT8_P12ihipStream_tbDpT10_ENKUlT_T0_E_clISt17integral_constantIbLb1EES1A_EEDaS15_S16_EUlS15_E_NS1_11comp_targetILNS1_3genE0ELNS1_11target_archE4294967295ELNS1_3gpuE0ELNS1_3repE0EEENS1_30default_config_static_selectorELNS0_4arch9wavefront6targetE1EEEvT1_,"axG",@progbits,_ZN7rocprim17ROCPRIM_400000_NS6detail17trampoline_kernelINS0_14default_configENS1_25partition_config_selectorILNS1_17partition_subalgoE9EllbEEZZNS1_14partition_implILS5_9ELb0ES3_jPlS8_PNS0_10empty_typeENS0_5tupleIJS8_S9_EEENSB_IJS8_SA_EEENS0_18inequality_wrapperIZN2at6native12_GLOBAL__N_124unique_dim_cuda_templateIdEESt5tupleIJNSF_6TensorESK_SK_EERKSK_lbbbEUlllE0_EEPmJS9_EEE10hipError_tPvRmT3_T4_T5_T6_T7_T9_mT8_P12ihipStream_tbDpT10_ENKUlT_T0_E_clISt17integral_constantIbLb1EES1A_EEDaS15_S16_EUlS15_E_NS1_11comp_targetILNS1_3genE0ELNS1_11target_archE4294967295ELNS1_3gpuE0ELNS1_3repE0EEENS1_30default_config_static_selectorELNS0_4arch9wavefront6targetE1EEEvT1_,comdat
.Lfunc_end847:
	.size	_ZN7rocprim17ROCPRIM_400000_NS6detail17trampoline_kernelINS0_14default_configENS1_25partition_config_selectorILNS1_17partition_subalgoE9EllbEEZZNS1_14partition_implILS5_9ELb0ES3_jPlS8_PNS0_10empty_typeENS0_5tupleIJS8_S9_EEENSB_IJS8_SA_EEENS0_18inequality_wrapperIZN2at6native12_GLOBAL__N_124unique_dim_cuda_templateIdEESt5tupleIJNSF_6TensorESK_SK_EERKSK_lbbbEUlllE0_EEPmJS9_EEE10hipError_tPvRmT3_T4_T5_T6_T7_T9_mT8_P12ihipStream_tbDpT10_ENKUlT_T0_E_clISt17integral_constantIbLb1EES1A_EEDaS15_S16_EUlS15_E_NS1_11comp_targetILNS1_3genE0ELNS1_11target_archE4294967295ELNS1_3gpuE0ELNS1_3repE0EEENS1_30default_config_static_selectorELNS0_4arch9wavefront6targetE1EEEvT1_, .Lfunc_end847-_ZN7rocprim17ROCPRIM_400000_NS6detail17trampoline_kernelINS0_14default_configENS1_25partition_config_selectorILNS1_17partition_subalgoE9EllbEEZZNS1_14partition_implILS5_9ELb0ES3_jPlS8_PNS0_10empty_typeENS0_5tupleIJS8_S9_EEENSB_IJS8_SA_EEENS0_18inequality_wrapperIZN2at6native12_GLOBAL__N_124unique_dim_cuda_templateIdEESt5tupleIJNSF_6TensorESK_SK_EERKSK_lbbbEUlllE0_EEPmJS9_EEE10hipError_tPvRmT3_T4_T5_T6_T7_T9_mT8_P12ihipStream_tbDpT10_ENKUlT_T0_E_clISt17integral_constantIbLb1EES1A_EEDaS15_S16_EUlS15_E_NS1_11comp_targetILNS1_3genE0ELNS1_11target_archE4294967295ELNS1_3gpuE0ELNS1_3repE0EEENS1_30default_config_static_selectorELNS0_4arch9wavefront6targetE1EEEvT1_
                                        ; -- End function
	.section	.AMDGPU.csdata,"",@progbits
; Kernel info:
; codeLenInByte = 0
; NumSgprs: 4
; NumVgprs: 0
; NumAgprs: 0
; TotalNumVgprs: 0
; ScratchSize: 0
; MemoryBound: 0
; FloatMode: 240
; IeeeMode: 1
; LDSByteSize: 0 bytes/workgroup (compile time only)
; SGPRBlocks: 0
; VGPRBlocks: 0
; NumSGPRsForWavesPerEU: 4
; NumVGPRsForWavesPerEU: 1
; AccumOffset: 4
; Occupancy: 8
; WaveLimiterHint : 0
; COMPUTE_PGM_RSRC2:SCRATCH_EN: 0
; COMPUTE_PGM_RSRC2:USER_SGPR: 6
; COMPUTE_PGM_RSRC2:TRAP_HANDLER: 0
; COMPUTE_PGM_RSRC2:TGID_X_EN: 1
; COMPUTE_PGM_RSRC2:TGID_Y_EN: 0
; COMPUTE_PGM_RSRC2:TGID_Z_EN: 0
; COMPUTE_PGM_RSRC2:TIDIG_COMP_CNT: 0
; COMPUTE_PGM_RSRC3_GFX90A:ACCUM_OFFSET: 0
; COMPUTE_PGM_RSRC3_GFX90A:TG_SPLIT: 0
	.section	.text._ZN7rocprim17ROCPRIM_400000_NS6detail17trampoline_kernelINS0_14default_configENS1_25partition_config_selectorILNS1_17partition_subalgoE9EllbEEZZNS1_14partition_implILS5_9ELb0ES3_jPlS8_PNS0_10empty_typeENS0_5tupleIJS8_S9_EEENSB_IJS8_SA_EEENS0_18inequality_wrapperIZN2at6native12_GLOBAL__N_124unique_dim_cuda_templateIdEESt5tupleIJNSF_6TensorESK_SK_EERKSK_lbbbEUlllE0_EEPmJS9_EEE10hipError_tPvRmT3_T4_T5_T6_T7_T9_mT8_P12ihipStream_tbDpT10_ENKUlT_T0_E_clISt17integral_constantIbLb1EES1A_EEDaS15_S16_EUlS15_E_NS1_11comp_targetILNS1_3genE5ELNS1_11target_archE942ELNS1_3gpuE9ELNS1_3repE0EEENS1_30default_config_static_selectorELNS0_4arch9wavefront6targetE1EEEvT1_,"axG",@progbits,_ZN7rocprim17ROCPRIM_400000_NS6detail17trampoline_kernelINS0_14default_configENS1_25partition_config_selectorILNS1_17partition_subalgoE9EllbEEZZNS1_14partition_implILS5_9ELb0ES3_jPlS8_PNS0_10empty_typeENS0_5tupleIJS8_S9_EEENSB_IJS8_SA_EEENS0_18inequality_wrapperIZN2at6native12_GLOBAL__N_124unique_dim_cuda_templateIdEESt5tupleIJNSF_6TensorESK_SK_EERKSK_lbbbEUlllE0_EEPmJS9_EEE10hipError_tPvRmT3_T4_T5_T6_T7_T9_mT8_P12ihipStream_tbDpT10_ENKUlT_T0_E_clISt17integral_constantIbLb1EES1A_EEDaS15_S16_EUlS15_E_NS1_11comp_targetILNS1_3genE5ELNS1_11target_archE942ELNS1_3gpuE9ELNS1_3repE0EEENS1_30default_config_static_selectorELNS0_4arch9wavefront6targetE1EEEvT1_,comdat
	.globl	_ZN7rocprim17ROCPRIM_400000_NS6detail17trampoline_kernelINS0_14default_configENS1_25partition_config_selectorILNS1_17partition_subalgoE9EllbEEZZNS1_14partition_implILS5_9ELb0ES3_jPlS8_PNS0_10empty_typeENS0_5tupleIJS8_S9_EEENSB_IJS8_SA_EEENS0_18inequality_wrapperIZN2at6native12_GLOBAL__N_124unique_dim_cuda_templateIdEESt5tupleIJNSF_6TensorESK_SK_EERKSK_lbbbEUlllE0_EEPmJS9_EEE10hipError_tPvRmT3_T4_T5_T6_T7_T9_mT8_P12ihipStream_tbDpT10_ENKUlT_T0_E_clISt17integral_constantIbLb1EES1A_EEDaS15_S16_EUlS15_E_NS1_11comp_targetILNS1_3genE5ELNS1_11target_archE942ELNS1_3gpuE9ELNS1_3repE0EEENS1_30default_config_static_selectorELNS0_4arch9wavefront6targetE1EEEvT1_ ; -- Begin function _ZN7rocprim17ROCPRIM_400000_NS6detail17trampoline_kernelINS0_14default_configENS1_25partition_config_selectorILNS1_17partition_subalgoE9EllbEEZZNS1_14partition_implILS5_9ELb0ES3_jPlS8_PNS0_10empty_typeENS0_5tupleIJS8_S9_EEENSB_IJS8_SA_EEENS0_18inequality_wrapperIZN2at6native12_GLOBAL__N_124unique_dim_cuda_templateIdEESt5tupleIJNSF_6TensorESK_SK_EERKSK_lbbbEUlllE0_EEPmJS9_EEE10hipError_tPvRmT3_T4_T5_T6_T7_T9_mT8_P12ihipStream_tbDpT10_ENKUlT_T0_E_clISt17integral_constantIbLb1EES1A_EEDaS15_S16_EUlS15_E_NS1_11comp_targetILNS1_3genE5ELNS1_11target_archE942ELNS1_3gpuE9ELNS1_3repE0EEENS1_30default_config_static_selectorELNS0_4arch9wavefront6targetE1EEEvT1_
	.p2align	8
	.type	_ZN7rocprim17ROCPRIM_400000_NS6detail17trampoline_kernelINS0_14default_configENS1_25partition_config_selectorILNS1_17partition_subalgoE9EllbEEZZNS1_14partition_implILS5_9ELb0ES3_jPlS8_PNS0_10empty_typeENS0_5tupleIJS8_S9_EEENSB_IJS8_SA_EEENS0_18inequality_wrapperIZN2at6native12_GLOBAL__N_124unique_dim_cuda_templateIdEESt5tupleIJNSF_6TensorESK_SK_EERKSK_lbbbEUlllE0_EEPmJS9_EEE10hipError_tPvRmT3_T4_T5_T6_T7_T9_mT8_P12ihipStream_tbDpT10_ENKUlT_T0_E_clISt17integral_constantIbLb1EES1A_EEDaS15_S16_EUlS15_E_NS1_11comp_targetILNS1_3genE5ELNS1_11target_archE942ELNS1_3gpuE9ELNS1_3repE0EEENS1_30default_config_static_selectorELNS0_4arch9wavefront6targetE1EEEvT1_,@function
_ZN7rocprim17ROCPRIM_400000_NS6detail17trampoline_kernelINS0_14default_configENS1_25partition_config_selectorILNS1_17partition_subalgoE9EllbEEZZNS1_14partition_implILS5_9ELb0ES3_jPlS8_PNS0_10empty_typeENS0_5tupleIJS8_S9_EEENSB_IJS8_SA_EEENS0_18inequality_wrapperIZN2at6native12_GLOBAL__N_124unique_dim_cuda_templateIdEESt5tupleIJNSF_6TensorESK_SK_EERKSK_lbbbEUlllE0_EEPmJS9_EEE10hipError_tPvRmT3_T4_T5_T6_T7_T9_mT8_P12ihipStream_tbDpT10_ENKUlT_T0_E_clISt17integral_constantIbLb1EES1A_EEDaS15_S16_EUlS15_E_NS1_11comp_targetILNS1_3genE5ELNS1_11target_archE942ELNS1_3gpuE9ELNS1_3repE0EEENS1_30default_config_static_selectorELNS0_4arch9wavefront6targetE1EEEvT1_: ; @_ZN7rocprim17ROCPRIM_400000_NS6detail17trampoline_kernelINS0_14default_configENS1_25partition_config_selectorILNS1_17partition_subalgoE9EllbEEZZNS1_14partition_implILS5_9ELb0ES3_jPlS8_PNS0_10empty_typeENS0_5tupleIJS8_S9_EEENSB_IJS8_SA_EEENS0_18inequality_wrapperIZN2at6native12_GLOBAL__N_124unique_dim_cuda_templateIdEESt5tupleIJNSF_6TensorESK_SK_EERKSK_lbbbEUlllE0_EEPmJS9_EEE10hipError_tPvRmT3_T4_T5_T6_T7_T9_mT8_P12ihipStream_tbDpT10_ENKUlT_T0_E_clISt17integral_constantIbLb1EES1A_EEDaS15_S16_EUlS15_E_NS1_11comp_targetILNS1_3genE5ELNS1_11target_archE942ELNS1_3gpuE9ELNS1_3repE0EEENS1_30default_config_static_selectorELNS0_4arch9wavefront6targetE1EEEvT1_
; %bb.0:
	.section	.rodata,"a",@progbits
	.p2align	6, 0x0
	.amdhsa_kernel _ZN7rocprim17ROCPRIM_400000_NS6detail17trampoline_kernelINS0_14default_configENS1_25partition_config_selectorILNS1_17partition_subalgoE9EllbEEZZNS1_14partition_implILS5_9ELb0ES3_jPlS8_PNS0_10empty_typeENS0_5tupleIJS8_S9_EEENSB_IJS8_SA_EEENS0_18inequality_wrapperIZN2at6native12_GLOBAL__N_124unique_dim_cuda_templateIdEESt5tupleIJNSF_6TensorESK_SK_EERKSK_lbbbEUlllE0_EEPmJS9_EEE10hipError_tPvRmT3_T4_T5_T6_T7_T9_mT8_P12ihipStream_tbDpT10_ENKUlT_T0_E_clISt17integral_constantIbLb1EES1A_EEDaS15_S16_EUlS15_E_NS1_11comp_targetILNS1_3genE5ELNS1_11target_archE942ELNS1_3gpuE9ELNS1_3repE0EEENS1_30default_config_static_selectorELNS0_4arch9wavefront6targetE1EEEvT1_
		.amdhsa_group_segment_fixed_size 0
		.amdhsa_private_segment_fixed_size 0
		.amdhsa_kernarg_size 136
		.amdhsa_user_sgpr_count 6
		.amdhsa_user_sgpr_private_segment_buffer 1
		.amdhsa_user_sgpr_dispatch_ptr 0
		.amdhsa_user_sgpr_queue_ptr 0
		.amdhsa_user_sgpr_kernarg_segment_ptr 1
		.amdhsa_user_sgpr_dispatch_id 0
		.amdhsa_user_sgpr_flat_scratch_init 0
		.amdhsa_user_sgpr_kernarg_preload_length 0
		.amdhsa_user_sgpr_kernarg_preload_offset 0
		.amdhsa_user_sgpr_private_segment_size 0
		.amdhsa_uses_dynamic_stack 0
		.amdhsa_system_sgpr_private_segment_wavefront_offset 0
		.amdhsa_system_sgpr_workgroup_id_x 1
		.amdhsa_system_sgpr_workgroup_id_y 0
		.amdhsa_system_sgpr_workgroup_id_z 0
		.amdhsa_system_sgpr_workgroup_info 0
		.amdhsa_system_vgpr_workitem_id 0
		.amdhsa_next_free_vgpr 1
		.amdhsa_next_free_sgpr 0
		.amdhsa_accum_offset 4
		.amdhsa_reserve_vcc 0
		.amdhsa_reserve_flat_scratch 0
		.amdhsa_float_round_mode_32 0
		.amdhsa_float_round_mode_16_64 0
		.amdhsa_float_denorm_mode_32 3
		.amdhsa_float_denorm_mode_16_64 3
		.amdhsa_dx10_clamp 1
		.amdhsa_ieee_mode 1
		.amdhsa_fp16_overflow 0
		.amdhsa_tg_split 0
		.amdhsa_exception_fp_ieee_invalid_op 0
		.amdhsa_exception_fp_denorm_src 0
		.amdhsa_exception_fp_ieee_div_zero 0
		.amdhsa_exception_fp_ieee_overflow 0
		.amdhsa_exception_fp_ieee_underflow 0
		.amdhsa_exception_fp_ieee_inexact 0
		.amdhsa_exception_int_div_zero 0
	.end_amdhsa_kernel
	.section	.text._ZN7rocprim17ROCPRIM_400000_NS6detail17trampoline_kernelINS0_14default_configENS1_25partition_config_selectorILNS1_17partition_subalgoE9EllbEEZZNS1_14partition_implILS5_9ELb0ES3_jPlS8_PNS0_10empty_typeENS0_5tupleIJS8_S9_EEENSB_IJS8_SA_EEENS0_18inequality_wrapperIZN2at6native12_GLOBAL__N_124unique_dim_cuda_templateIdEESt5tupleIJNSF_6TensorESK_SK_EERKSK_lbbbEUlllE0_EEPmJS9_EEE10hipError_tPvRmT3_T4_T5_T6_T7_T9_mT8_P12ihipStream_tbDpT10_ENKUlT_T0_E_clISt17integral_constantIbLb1EES1A_EEDaS15_S16_EUlS15_E_NS1_11comp_targetILNS1_3genE5ELNS1_11target_archE942ELNS1_3gpuE9ELNS1_3repE0EEENS1_30default_config_static_selectorELNS0_4arch9wavefront6targetE1EEEvT1_,"axG",@progbits,_ZN7rocprim17ROCPRIM_400000_NS6detail17trampoline_kernelINS0_14default_configENS1_25partition_config_selectorILNS1_17partition_subalgoE9EllbEEZZNS1_14partition_implILS5_9ELb0ES3_jPlS8_PNS0_10empty_typeENS0_5tupleIJS8_S9_EEENSB_IJS8_SA_EEENS0_18inequality_wrapperIZN2at6native12_GLOBAL__N_124unique_dim_cuda_templateIdEESt5tupleIJNSF_6TensorESK_SK_EERKSK_lbbbEUlllE0_EEPmJS9_EEE10hipError_tPvRmT3_T4_T5_T6_T7_T9_mT8_P12ihipStream_tbDpT10_ENKUlT_T0_E_clISt17integral_constantIbLb1EES1A_EEDaS15_S16_EUlS15_E_NS1_11comp_targetILNS1_3genE5ELNS1_11target_archE942ELNS1_3gpuE9ELNS1_3repE0EEENS1_30default_config_static_selectorELNS0_4arch9wavefront6targetE1EEEvT1_,comdat
.Lfunc_end848:
	.size	_ZN7rocprim17ROCPRIM_400000_NS6detail17trampoline_kernelINS0_14default_configENS1_25partition_config_selectorILNS1_17partition_subalgoE9EllbEEZZNS1_14partition_implILS5_9ELb0ES3_jPlS8_PNS0_10empty_typeENS0_5tupleIJS8_S9_EEENSB_IJS8_SA_EEENS0_18inequality_wrapperIZN2at6native12_GLOBAL__N_124unique_dim_cuda_templateIdEESt5tupleIJNSF_6TensorESK_SK_EERKSK_lbbbEUlllE0_EEPmJS9_EEE10hipError_tPvRmT3_T4_T5_T6_T7_T9_mT8_P12ihipStream_tbDpT10_ENKUlT_T0_E_clISt17integral_constantIbLb1EES1A_EEDaS15_S16_EUlS15_E_NS1_11comp_targetILNS1_3genE5ELNS1_11target_archE942ELNS1_3gpuE9ELNS1_3repE0EEENS1_30default_config_static_selectorELNS0_4arch9wavefront6targetE1EEEvT1_, .Lfunc_end848-_ZN7rocprim17ROCPRIM_400000_NS6detail17trampoline_kernelINS0_14default_configENS1_25partition_config_selectorILNS1_17partition_subalgoE9EllbEEZZNS1_14partition_implILS5_9ELb0ES3_jPlS8_PNS0_10empty_typeENS0_5tupleIJS8_S9_EEENSB_IJS8_SA_EEENS0_18inequality_wrapperIZN2at6native12_GLOBAL__N_124unique_dim_cuda_templateIdEESt5tupleIJNSF_6TensorESK_SK_EERKSK_lbbbEUlllE0_EEPmJS9_EEE10hipError_tPvRmT3_T4_T5_T6_T7_T9_mT8_P12ihipStream_tbDpT10_ENKUlT_T0_E_clISt17integral_constantIbLb1EES1A_EEDaS15_S16_EUlS15_E_NS1_11comp_targetILNS1_3genE5ELNS1_11target_archE942ELNS1_3gpuE9ELNS1_3repE0EEENS1_30default_config_static_selectorELNS0_4arch9wavefront6targetE1EEEvT1_
                                        ; -- End function
	.section	.AMDGPU.csdata,"",@progbits
; Kernel info:
; codeLenInByte = 0
; NumSgprs: 4
; NumVgprs: 0
; NumAgprs: 0
; TotalNumVgprs: 0
; ScratchSize: 0
; MemoryBound: 0
; FloatMode: 240
; IeeeMode: 1
; LDSByteSize: 0 bytes/workgroup (compile time only)
; SGPRBlocks: 0
; VGPRBlocks: 0
; NumSGPRsForWavesPerEU: 4
; NumVGPRsForWavesPerEU: 1
; AccumOffset: 4
; Occupancy: 8
; WaveLimiterHint : 0
; COMPUTE_PGM_RSRC2:SCRATCH_EN: 0
; COMPUTE_PGM_RSRC2:USER_SGPR: 6
; COMPUTE_PGM_RSRC2:TRAP_HANDLER: 0
; COMPUTE_PGM_RSRC2:TGID_X_EN: 1
; COMPUTE_PGM_RSRC2:TGID_Y_EN: 0
; COMPUTE_PGM_RSRC2:TGID_Z_EN: 0
; COMPUTE_PGM_RSRC2:TIDIG_COMP_CNT: 0
; COMPUTE_PGM_RSRC3_GFX90A:ACCUM_OFFSET: 0
; COMPUTE_PGM_RSRC3_GFX90A:TG_SPLIT: 0
	.section	.text._ZN7rocprim17ROCPRIM_400000_NS6detail17trampoline_kernelINS0_14default_configENS1_25partition_config_selectorILNS1_17partition_subalgoE9EllbEEZZNS1_14partition_implILS5_9ELb0ES3_jPlS8_PNS0_10empty_typeENS0_5tupleIJS8_S9_EEENSB_IJS8_SA_EEENS0_18inequality_wrapperIZN2at6native12_GLOBAL__N_124unique_dim_cuda_templateIdEESt5tupleIJNSF_6TensorESK_SK_EERKSK_lbbbEUlllE0_EEPmJS9_EEE10hipError_tPvRmT3_T4_T5_T6_T7_T9_mT8_P12ihipStream_tbDpT10_ENKUlT_T0_E_clISt17integral_constantIbLb1EES1A_EEDaS15_S16_EUlS15_E_NS1_11comp_targetILNS1_3genE4ELNS1_11target_archE910ELNS1_3gpuE8ELNS1_3repE0EEENS1_30default_config_static_selectorELNS0_4arch9wavefront6targetE1EEEvT1_,"axG",@progbits,_ZN7rocprim17ROCPRIM_400000_NS6detail17trampoline_kernelINS0_14default_configENS1_25partition_config_selectorILNS1_17partition_subalgoE9EllbEEZZNS1_14partition_implILS5_9ELb0ES3_jPlS8_PNS0_10empty_typeENS0_5tupleIJS8_S9_EEENSB_IJS8_SA_EEENS0_18inequality_wrapperIZN2at6native12_GLOBAL__N_124unique_dim_cuda_templateIdEESt5tupleIJNSF_6TensorESK_SK_EERKSK_lbbbEUlllE0_EEPmJS9_EEE10hipError_tPvRmT3_T4_T5_T6_T7_T9_mT8_P12ihipStream_tbDpT10_ENKUlT_T0_E_clISt17integral_constantIbLb1EES1A_EEDaS15_S16_EUlS15_E_NS1_11comp_targetILNS1_3genE4ELNS1_11target_archE910ELNS1_3gpuE8ELNS1_3repE0EEENS1_30default_config_static_selectorELNS0_4arch9wavefront6targetE1EEEvT1_,comdat
	.globl	_ZN7rocprim17ROCPRIM_400000_NS6detail17trampoline_kernelINS0_14default_configENS1_25partition_config_selectorILNS1_17partition_subalgoE9EllbEEZZNS1_14partition_implILS5_9ELb0ES3_jPlS8_PNS0_10empty_typeENS0_5tupleIJS8_S9_EEENSB_IJS8_SA_EEENS0_18inequality_wrapperIZN2at6native12_GLOBAL__N_124unique_dim_cuda_templateIdEESt5tupleIJNSF_6TensorESK_SK_EERKSK_lbbbEUlllE0_EEPmJS9_EEE10hipError_tPvRmT3_T4_T5_T6_T7_T9_mT8_P12ihipStream_tbDpT10_ENKUlT_T0_E_clISt17integral_constantIbLb1EES1A_EEDaS15_S16_EUlS15_E_NS1_11comp_targetILNS1_3genE4ELNS1_11target_archE910ELNS1_3gpuE8ELNS1_3repE0EEENS1_30default_config_static_selectorELNS0_4arch9wavefront6targetE1EEEvT1_ ; -- Begin function _ZN7rocprim17ROCPRIM_400000_NS6detail17trampoline_kernelINS0_14default_configENS1_25partition_config_selectorILNS1_17partition_subalgoE9EllbEEZZNS1_14partition_implILS5_9ELb0ES3_jPlS8_PNS0_10empty_typeENS0_5tupleIJS8_S9_EEENSB_IJS8_SA_EEENS0_18inequality_wrapperIZN2at6native12_GLOBAL__N_124unique_dim_cuda_templateIdEESt5tupleIJNSF_6TensorESK_SK_EERKSK_lbbbEUlllE0_EEPmJS9_EEE10hipError_tPvRmT3_T4_T5_T6_T7_T9_mT8_P12ihipStream_tbDpT10_ENKUlT_T0_E_clISt17integral_constantIbLb1EES1A_EEDaS15_S16_EUlS15_E_NS1_11comp_targetILNS1_3genE4ELNS1_11target_archE910ELNS1_3gpuE8ELNS1_3repE0EEENS1_30default_config_static_selectorELNS0_4arch9wavefront6targetE1EEEvT1_
	.p2align	8
	.type	_ZN7rocprim17ROCPRIM_400000_NS6detail17trampoline_kernelINS0_14default_configENS1_25partition_config_selectorILNS1_17partition_subalgoE9EllbEEZZNS1_14partition_implILS5_9ELb0ES3_jPlS8_PNS0_10empty_typeENS0_5tupleIJS8_S9_EEENSB_IJS8_SA_EEENS0_18inequality_wrapperIZN2at6native12_GLOBAL__N_124unique_dim_cuda_templateIdEESt5tupleIJNSF_6TensorESK_SK_EERKSK_lbbbEUlllE0_EEPmJS9_EEE10hipError_tPvRmT3_T4_T5_T6_T7_T9_mT8_P12ihipStream_tbDpT10_ENKUlT_T0_E_clISt17integral_constantIbLb1EES1A_EEDaS15_S16_EUlS15_E_NS1_11comp_targetILNS1_3genE4ELNS1_11target_archE910ELNS1_3gpuE8ELNS1_3repE0EEENS1_30default_config_static_selectorELNS0_4arch9wavefront6targetE1EEEvT1_,@function
_ZN7rocprim17ROCPRIM_400000_NS6detail17trampoline_kernelINS0_14default_configENS1_25partition_config_selectorILNS1_17partition_subalgoE9EllbEEZZNS1_14partition_implILS5_9ELb0ES3_jPlS8_PNS0_10empty_typeENS0_5tupleIJS8_S9_EEENSB_IJS8_SA_EEENS0_18inequality_wrapperIZN2at6native12_GLOBAL__N_124unique_dim_cuda_templateIdEESt5tupleIJNSF_6TensorESK_SK_EERKSK_lbbbEUlllE0_EEPmJS9_EEE10hipError_tPvRmT3_T4_T5_T6_T7_T9_mT8_P12ihipStream_tbDpT10_ENKUlT_T0_E_clISt17integral_constantIbLb1EES1A_EEDaS15_S16_EUlS15_E_NS1_11comp_targetILNS1_3genE4ELNS1_11target_archE910ELNS1_3gpuE8ELNS1_3repE0EEENS1_30default_config_static_selectorELNS0_4arch9wavefront6targetE1EEEvT1_: ; @_ZN7rocprim17ROCPRIM_400000_NS6detail17trampoline_kernelINS0_14default_configENS1_25partition_config_selectorILNS1_17partition_subalgoE9EllbEEZZNS1_14partition_implILS5_9ELb0ES3_jPlS8_PNS0_10empty_typeENS0_5tupleIJS8_S9_EEENSB_IJS8_SA_EEENS0_18inequality_wrapperIZN2at6native12_GLOBAL__N_124unique_dim_cuda_templateIdEESt5tupleIJNSF_6TensorESK_SK_EERKSK_lbbbEUlllE0_EEPmJS9_EEE10hipError_tPvRmT3_T4_T5_T6_T7_T9_mT8_P12ihipStream_tbDpT10_ENKUlT_T0_E_clISt17integral_constantIbLb1EES1A_EEDaS15_S16_EUlS15_E_NS1_11comp_targetILNS1_3genE4ELNS1_11target_archE910ELNS1_3gpuE8ELNS1_3repE0EEENS1_30default_config_static_selectorELNS0_4arch9wavefront6targetE1EEEvT1_
; %bb.0:
	s_load_dwordx4 s[8:11], s[4:5], 0x8
	s_load_dwordx2 s[14:15], s[4:5], 0x18
	s_load_dwordx8 s[20:27], s[4:5], 0x40
	s_load_dwordx4 s[16:19], s[4:5], 0x60
	v_cmp_ne_u32_e64 s[2:3], 0, v0
	v_cmp_eq_u32_e64 s[0:1], 0, v0
	s_and_saveexec_b64 s[6:7], s[0:1]
	s_cbranch_execz .LBB849_4
; %bb.1:
	s_mov_b64 s[28:29], exec
	v_mbcnt_lo_u32_b32 v1, s28, 0
	v_mbcnt_hi_u32_b32 v1, s29, v1
	v_cmp_eq_u32_e32 vcc, 0, v1
                                        ; implicit-def: $vgpr2
	s_and_saveexec_b64 s[12:13], vcc
	s_cbranch_execz .LBB849_3
; %bb.2:
	s_load_dwordx2 s[30:31], s[4:5], 0x78
	s_bcnt1_i32_b64 s28, s[28:29]
	v_mov_b32_e32 v2, 0
	v_mov_b32_e32 v3, s28
	s_waitcnt lgkmcnt(0)
	global_atomic_add v2, v2, v3, s[30:31] glc
.LBB849_3:
	s_or_b64 exec, exec, s[12:13]
	s_waitcnt vmcnt(0)
	v_readfirstlane_b32 s12, v2
	v_add_u32_e32 v1, s12, v1
	v_mov_b32_e32 v2, 0
	ds_write_b32 v2, v1
.LBB849_4:
	s_or_b64 exec, exec, s[6:7]
	v_mov_b32_e32 v1, 0
	s_load_dwordx4 s[28:31], s[4:5], 0x28
	s_load_dword s6, s[4:5], 0x70
	s_waitcnt lgkmcnt(0)
	s_barrier
	ds_read_b32 v6, v1
	s_waitcnt lgkmcnt(0)
	s_barrier
	global_load_dwordx2 v[2:3], v1, s[22:23]
	s_lshl_b64 s[36:37], s[10:11], 3
	s_add_u32 s22, s8, s36
	s_addc_u32 s23, s9, s37
	s_add_i32 s12, s6, -1
	s_lshl_b32 s8, s6, 9
	s_lshl_b32 s6, s12, 9
	s_add_i32 s6, s10, s6
	v_readfirstlane_b32 s33, v6
	s_sub_i32 s48, s24, s6
	s_lshl_b32 s6, s33, 9
	s_add_u32 s8, s10, s8
	s_addc_u32 s9, s11, 0
	v_mov_b32_e32 v4, s24
	v_mov_b32_e32 v5, s25
	s_cmp_eq_u32 s33, s12
	v_cmp_ge_u64_e32 vcc, s[8:9], v[4:5]
	s_cselect_b64 s[24:25], -1, 0
	s_mov_b32 s7, 0
	s_and_b64 s[12:13], vcc, s[24:25]
	s_lshl_b64 s[8:9], s[6:7], 3
	s_xor_b64 s[34:35], s[12:13], -1
	s_add_u32 s6, s22, s8
	s_mov_b64 s[4:5], -1
	v_lshrrev_b32_e32 v18, 2, v0
	s_addc_u32 s7, s23, s9
	s_and_b64 vcc, exec, s[34:35]
	s_waitcnt vmcnt(0)
	v_readfirstlane_b32 s22, v2
	v_readfirstlane_b32 s23, v3
	s_cbranch_vccz .LBB849_6
; %bb.5:
	v_lshlrev_b32_e32 v1, 3, v0
	global_load_dwordx2 v[2:3], v1, s[6:7]
	global_load_dwordx2 v[4:5], v1, s[6:7] offset:1024
	global_load_dwordx2 v[6:7], v1, s[6:7] offset:2048
	;; [unrolled: 1-line block ×3, first 2 shown]
	v_or_b32_e32 v11, 0x80, v0
	v_or_b32_e32 v12, 0x100, v0
	;; [unrolled: 1-line block ×3, first 2 shown]
	v_and_b32_e32 v10, 24, v18
	v_lshrrev_b32_e32 v11, 2, v11
	v_lshrrev_b32_e32 v12, 2, v12
	;; [unrolled: 1-line block ×3, first 2 shown]
	v_add_u32_e32 v10, v10, v1
	v_and_b32_e32 v11, 56, v11
	v_and_b32_e32 v12, 0x58, v12
	;; [unrolled: 1-line block ×3, first 2 shown]
	v_add_u32_e32 v11, v11, v1
	v_add_u32_e32 v12, v12, v1
	v_add_u32_e32 v1, v13, v1
	s_mov_b64 s[4:5], 0
	s_waitcnt vmcnt(3)
	ds_write_b64 v10, v[2:3]
	s_waitcnt vmcnt(2)
	ds_write_b64 v11, v[4:5] offset:1024
	s_waitcnt vmcnt(1)
	ds_write_b64 v12, v[6:7] offset:2048
	s_waitcnt vmcnt(0)
	ds_write_b64 v1, v[8:9] offset:3072
	s_waitcnt lgkmcnt(0)
	s_barrier
.LBB849_6:
	s_andn2_b64 vcc, exec, s[4:5]
	v_cmp_gt_u32_e64 s[4:5], s48, v0
	s_cbranch_vccnz .LBB849_16
; %bb.7:
                                        ; implicit-def: $vgpr2_vgpr3_vgpr4_vgpr5_vgpr6_vgpr7_vgpr8_vgpr9
	s_and_saveexec_b64 s[38:39], s[4:5]
	s_cbranch_execz .LBB849_9
; %bb.8:
	v_lshlrev_b32_e32 v1, 3, v0
	global_load_dwordx2 v[2:3], v1, s[6:7]
.LBB849_9:
	s_or_b64 exec, exec, s[38:39]
	v_or_b32_e32 v1, 0x80, v0
	v_cmp_gt_u32_e32 vcc, s48, v1
	s_and_saveexec_b64 s[4:5], vcc
	s_cbranch_execz .LBB849_11
; %bb.10:
	v_lshlrev_b32_e32 v4, 3, v0
	global_load_dwordx2 v[4:5], v4, s[6:7] offset:1024
.LBB849_11:
	s_or_b64 exec, exec, s[4:5]
	v_or_b32_e32 v10, 0x100, v0
	v_cmp_gt_u32_e32 vcc, s48, v10
	s_and_saveexec_b64 s[4:5], vcc
	s_cbranch_execz .LBB849_13
; %bb.12:
	v_lshlrev_b32_e32 v6, 3, v0
	global_load_dwordx2 v[6:7], v6, s[6:7] offset:2048
.LBB849_13:
	;; [unrolled: 9-line block ×3, first 2 shown]
	s_or_b64 exec, exec, s[4:5]
	v_lshrrev_b32_e32 v1, 2, v1
	v_lshlrev_b32_e32 v13, 3, v0
	v_and_b32_e32 v1, 56, v1
	v_add_u32_e32 v1, v1, v13
	s_waitcnt vmcnt(0)
	ds_write_b64 v1, v[4:5] offset:1024
	v_lshrrev_b32_e32 v1, 2, v10
	v_and_b32_e32 v1, 0x78, v1
	v_add_u32_e32 v1, v1, v13
	ds_write_b64 v1, v[6:7] offset:2048
	v_lshrrev_b32_e32 v1, 2, v11
	v_and_b32_e32 v12, 24, v18
	v_and_b32_e32 v1, 0x78, v1
	v_add_u32_e32 v12, v12, v13
	v_add_u32_e32 v1, v1, v13
	ds_write_b64 v12, v[2:3]
	ds_write_b64 v1, v[8:9] offset:3072
	s_waitcnt lgkmcnt(0)
	s_barrier
.LBB849_16:
	v_lshlrev_b32_e32 v1, 2, v0
	v_lshrrev_b32_e32 v2, 3, v0
	v_add_lshl_u32 v19, v2, v1, 3
	ds_read2_b64 v[14:17], v19 offset1:1
	ds_read2_b64 v[10:13], v19 offset0:2 offset1:3
	s_add_u32 s4, s14, s36
	s_addc_u32 s5, s15, s37
	s_add_u32 s4, s4, s8
	s_addc_u32 s5, s5, s9
	s_mov_b64 s[8:9], -1
	s_and_b64 vcc, exec, s[34:35]
	s_waitcnt lgkmcnt(0)
	s_barrier
	s_cbranch_vccz .LBB849_18
; %bb.17:
	v_lshlrev_b32_e32 v20, 3, v0
	global_load_dwordx2 v[2:3], v20, s[4:5]
	global_load_dwordx2 v[4:5], v20, s[4:5] offset:1024
	global_load_dwordx2 v[6:7], v20, s[4:5] offset:2048
	;; [unrolled: 1-line block ×3, first 2 shown]
	v_or_b32_e32 v22, 0x80, v0
	v_or_b32_e32 v23, 0x100, v0
	;; [unrolled: 1-line block ×3, first 2 shown]
	v_and_b32_e32 v21, 24, v18
	v_lshrrev_b32_e32 v22, 2, v22
	v_lshrrev_b32_e32 v23, 2, v23
	;; [unrolled: 1-line block ×3, first 2 shown]
	v_add_u32_e32 v21, v21, v20
	v_and_b32_e32 v22, 56, v22
	v_and_b32_e32 v23, 0x58, v23
	;; [unrolled: 1-line block ×3, first 2 shown]
	v_add_u32_e32 v22, v22, v20
	v_add_u32_e32 v23, v23, v20
	;; [unrolled: 1-line block ×3, first 2 shown]
	s_mov_b64 s[8:9], 0
	s_waitcnt vmcnt(3)
	ds_write_b64 v21, v[2:3]
	s_waitcnt vmcnt(2)
	ds_write_b64 v22, v[4:5] offset:1024
	s_waitcnt vmcnt(1)
	ds_write_b64 v23, v[6:7] offset:2048
	;; [unrolled: 2-line block ×3, first 2 shown]
	s_waitcnt lgkmcnt(0)
	s_barrier
.LBB849_18:
	s_andn2_b64 vcc, exec, s[8:9]
	s_cbranch_vccnz .LBB849_28
; %bb.19:
	v_cmp_gt_u32_e32 vcc, s48, v0
                                        ; implicit-def: $vgpr2_vgpr3
	s_and_saveexec_b64 s[8:9], vcc
	s_cbranch_execz .LBB849_21
; %bb.20:
	v_lshlrev_b32_e32 v2, 3, v0
	global_load_dwordx2 v[2:3], v2, s[4:5]
.LBB849_21:
	s_or_b64 exec, exec, s[8:9]
	v_or_b32_e32 v20, 0x80, v0
	v_cmp_gt_u32_e32 vcc, s48, v20
                                        ; implicit-def: $vgpr4_vgpr5
	s_and_saveexec_b64 s[8:9], vcc
	s_cbranch_execz .LBB849_23
; %bb.22:
	v_lshlrev_b32_e32 v4, 3, v0
	global_load_dwordx2 v[4:5], v4, s[4:5] offset:1024
.LBB849_23:
	s_or_b64 exec, exec, s[8:9]
	v_or_b32_e32 v21, 0x100, v0
	v_cmp_gt_u32_e32 vcc, s48, v21
                                        ; implicit-def: $vgpr6_vgpr7
	s_and_saveexec_b64 s[8:9], vcc
	s_cbranch_execz .LBB849_25
; %bb.24:
	v_lshlrev_b32_e32 v6, 3, v0
	global_load_dwordx2 v[6:7], v6, s[4:5] offset:2048
.LBB849_25:
	s_or_b64 exec, exec, s[8:9]
	v_or_b32_e32 v22, 0x180, v0
	v_cmp_gt_u32_e32 vcc, s48, v22
                                        ; implicit-def: $vgpr8_vgpr9
	s_and_saveexec_b64 s[8:9], vcc
	s_cbranch_execz .LBB849_27
; %bb.26:
	v_lshlrev_b32_e32 v8, 3, v0
	global_load_dwordx2 v[8:9], v8, s[4:5] offset:3072
.LBB849_27:
	s_or_b64 exec, exec, s[8:9]
	v_and_b32_e32 v18, 24, v18
	v_lshlrev_b32_e32 v23, 3, v0
	v_add_u32_e32 v18, v18, v23
	s_waitcnt vmcnt(0)
	ds_write_b64 v18, v[2:3]
	v_lshrrev_b32_e32 v2, 2, v20
	v_and_b32_e32 v2, 56, v2
	v_add_u32_e32 v2, v2, v23
	ds_write_b64 v2, v[4:5] offset:1024
	v_lshrrev_b32_e32 v2, 2, v21
	v_and_b32_e32 v2, 0x78, v2
	v_add_u32_e32 v2, v2, v23
	ds_write_b64 v2, v[6:7] offset:2048
	;; [unrolled: 4-line block ×3, first 2 shown]
	s_waitcnt lgkmcnt(0)
	s_barrier
.LBB849_28:
	ds_read2_b64 v[6:9], v19 offset1:1
	ds_read2_b64 v[2:5], v19 offset0:2 offset1:3
	s_cmp_lg_u32 s33, 0
	s_cselect_b64 s[36:37], -1, 0
	s_cmp_lg_u64 s[10:11], 0
	s_cselect_b64 s[4:5], -1, 0
	s_or_b64 s[4:5], s[4:5], s[36:37]
	s_mov_b64 s[14:15], 0
	s_and_b64 vcc, exec, s[4:5]
	v_cmp_gt_i64_e64 s[4:5], s[26:27], 0
	s_waitcnt lgkmcnt(0)
	s_barrier
	s_cbranch_vccz .LBB849_37
; %bb.29:
	v_mov_b32_e32 v18, 0
	global_load_dwordx2 v[18:19], v18, s[6:7] offset:-8
	v_cndmask_b32_e64 v20, 0, 1, s[4:5]
	v_lshlrev_b32_e32 v29, 3, v0
	s_mov_b64 s[10:11], 0
	s_and_b64 vcc, exec, s[34:35]
	v_cmp_ne_u32_e64 s[4:5], 1, v20
	ds_write_b64 v29, v[12:13]
	s_cbranch_vccz .LBB849_38
; %bb.30:
	v_mul_lo_u32 v22, v11, s26
	v_mul_lo_u32 v23, v10, s27
	v_mad_u64_u32 v[20:21], s[6:7], v10, s26, 0
	v_add3_u32 v21, v21, v23, v22
	s_and_b64 vcc, exec, s[4:5]
	v_lshlrev_b64 v[20:21], 3, v[20:21]
	s_cbranch_vccnz .LBB849_41
; %bb.31:
	v_mul_lo_u32 v24, v13, s26
	v_mul_lo_u32 v25, v12, s27
	v_mad_u64_u32 v[22:23], s[6:7], v12, s26, 0
	v_add3_u32 v23, v23, v25, v24
	v_mov_b32_e32 v25, s17
	v_add_co_u32_e32 v24, vcc, s16, v20
	v_addc_co_u32_e64 v25, s[6:7], v25, v21, vcc
	v_lshlrev_b64 v[22:23], 3, v[22:23]
	v_mov_b32_e32 v27, s17
	v_add_co_u32_e64 v26, s[6:7], s16, v22
	v_addc_co_u32_e64 v27, s[8:9], v27, v23, s[6:7]
	global_load_dwordx2 v[30:31], v[24:25], off
	global_load_dwordx2 v[32:33], v[26:27], off
	s_mov_b64 s[10:11], -1
	s_waitcnt vmcnt(0)
	v_cmp_eq_f64_e64 s[8:9], v[30:31], v[32:33]
	s_and_saveexec_b64 s[14:15], s[8:9]
	s_cbranch_execz .LBB849_40
; %bb.32:
	v_mov_b32_e32 v22, s17
	v_addc_co_u32_e64 v23, s[6:7], v23, v22, s[6:7]
	v_add_co_u32_e64 v22, s[6:7], 8, v26
	v_mov_b32_e32 v25, s17
	v_addc_co_u32_e64 v23, s[6:7], 0, v23, s[6:7]
	v_addc_co_u32_e32 v25, vcc, v21, v25, vcc
	v_add_co_u32_e32 v24, vcc, 8, v24
	s_add_u32 s6, s26, -1
	v_addc_co_u32_e32 v25, vcc, 0, v25, vcc
	s_addc_u32 s7, s27, -1
	s_mov_b64 s[8:9], 0
	s_mov_b64 s[38:39], 0
                                        ; implicit-def: $sgpr10_sgpr11
	s_branch .LBB849_35
.LBB849_33:                             ;   in Loop: Header=BB849_35 Depth=1
	global_load_dwordx2 v[26:27], v[24:25], off
	global_load_dwordx2 v[30:31], v[22:23], off
	v_add_co_u32_e32 v22, vcc, 8, v22
	v_addc_co_u32_e32 v23, vcc, 0, v23, vcc
	v_add_co_u32_e32 v24, vcc, 8, v24
	v_addc_co_u32_e32 v25, vcc, 0, v25, vcc
	s_add_u32 s38, s38, 1
	s_addc_u32 s39, s39, 0
	s_andn2_b64 s[10:11], s[10:11], exec
	s_waitcnt vmcnt(0)
	v_cmp_neq_f64_e32 vcc, v[26:27], v[30:31]
	s_and_b64 s[40:41], vcc, exec
	s_or_b64 s[10:11], s[10:11], s[40:41]
.LBB849_34:                             ;   in Loop: Header=BB849_35 Depth=1
	s_and_b64 s[40:41], exec, s[10:11]
	s_or_b64 s[8:9], s[40:41], s[8:9]
	v_pk_mov_b32 v[26:27], s[38:39], s[38:39] op_sel:[0,1]
	s_andn2_b64 exec, exec, s[8:9]
	s_cbranch_execz .LBB849_39
.LBB849_35:                             ; =>This Inner Loop Header: Depth=1
	s_or_b64 s[10:11], s[10:11], exec
	s_cmp_eq_u64 s[6:7], s[38:39]
	s_cbranch_scc0 .LBB849_33
; %bb.36:                               ;   in Loop: Header=BB849_35 Depth=1
                                        ; implicit-def: $vgpr22_vgpr23
                                        ; implicit-def: $vgpr24_vgpr25
	s_mov_b64 s[38:39], s[26:27]
	s_branch .LBB849_34
.LBB849_37:
                                        ; implicit-def: $sgpr38_sgpr39
                                        ; implicit-def: $vgpr28
	s_branch .LBB849_119
.LBB849_38:
                                        ; implicit-def: $sgpr38_sgpr39
                                        ; implicit-def: $vgpr28
	s_cbranch_execnz .LBB849_71
	s_branch .LBB849_118
.LBB849_39:
	s_or_b64 exec, exec, s[8:9]
	v_cmp_gt_i64_e32 vcc, s[26:27], v[26:27]
	s_orn2_b64 s[10:11], vcc, exec
.LBB849_40:
	s_or_b64 exec, exec, s[14:15]
.LBB849_41:
	v_mul_lo_u32 v24, v17, s26
	v_mul_lo_u32 v25, v16, s27
	v_mad_u64_u32 v[22:23], s[6:7], v16, s26, 0
	v_add3_u32 v23, v23, v25, v24
	s_mov_b64 s[14:15], 0
	s_and_b64 vcc, exec, s[4:5]
	v_lshlrev_b64 v[22:23], 3, v[22:23]
	s_mov_b64 s[38:39], 0
	s_cbranch_vccnz .LBB849_50
; %bb.42:
	v_mov_b32_e32 v25, s17
	v_add_co_u32_e32 v24, vcc, s16, v22
	v_addc_co_u32_e64 v25, s[6:7], v25, v23, vcc
	v_mov_b32_e32 v27, s17
	v_add_co_u32_e64 v26, s[6:7], s16, v20
	v_addc_co_u32_e64 v27, s[8:9], v27, v21, s[6:7]
	global_load_dwordx2 v[30:31], v[24:25], off
	global_load_dwordx2 v[32:33], v[26:27], off
	s_mov_b64 s[38:39], -1
	s_waitcnt vmcnt(0)
	v_cmp_eq_f64_e64 s[8:9], v[30:31], v[32:33]
	s_and_saveexec_b64 s[40:41], s[8:9]
	s_cbranch_execz .LBB849_49
; %bb.43:
	v_mov_b32_e32 v20, s17
	v_addc_co_u32_e64 v21, s[6:7], v21, v20, s[6:7]
	v_add_co_u32_e64 v20, s[6:7], 8, v26
	v_mov_b32_e32 v25, s17
	v_addc_co_u32_e64 v21, s[6:7], 0, v21, s[6:7]
	v_addc_co_u32_e32 v25, vcc, v23, v25, vcc
	v_add_co_u32_e32 v24, vcc, 8, v24
	s_add_u32 s6, s26, -1
	v_addc_co_u32_e32 v25, vcc, 0, v25, vcc
	s_addc_u32 s7, s27, -1
	s_mov_b64 s[8:9], 0
	s_mov_b64 s[42:43], 0
                                        ; implicit-def: $sgpr38_sgpr39
	s_branch .LBB849_46
.LBB849_44:                             ;   in Loop: Header=BB849_46 Depth=1
	global_load_dwordx2 v[26:27], v[24:25], off
	global_load_dwordx2 v[30:31], v[20:21], off
	v_add_co_u32_e32 v20, vcc, 8, v20
	v_addc_co_u32_e32 v21, vcc, 0, v21, vcc
	v_add_co_u32_e32 v24, vcc, 8, v24
	v_addc_co_u32_e32 v25, vcc, 0, v25, vcc
	s_add_u32 s42, s42, 1
	s_addc_u32 s43, s43, 0
	s_andn2_b64 s[38:39], s[38:39], exec
	s_waitcnt vmcnt(0)
	v_cmp_neq_f64_e32 vcc, v[26:27], v[30:31]
	s_and_b64 s[44:45], vcc, exec
	s_or_b64 s[38:39], s[38:39], s[44:45]
.LBB849_45:                             ;   in Loop: Header=BB849_46 Depth=1
	s_and_b64 s[44:45], exec, s[38:39]
	s_or_b64 s[8:9], s[44:45], s[8:9]
	v_pk_mov_b32 v[26:27], s[42:43], s[42:43] op_sel:[0,1]
	s_andn2_b64 exec, exec, s[8:9]
	s_cbranch_execz .LBB849_48
.LBB849_46:                             ; =>This Inner Loop Header: Depth=1
	s_or_b64 s[38:39], s[38:39], exec
	s_cmp_eq_u64 s[6:7], s[42:43]
	s_cbranch_scc0 .LBB849_44
; %bb.47:                               ;   in Loop: Header=BB849_46 Depth=1
                                        ; implicit-def: $vgpr20_vgpr21
                                        ; implicit-def: $vgpr24_vgpr25
	s_mov_b64 s[42:43], s[26:27]
	s_branch .LBB849_45
.LBB849_48:
	s_or_b64 exec, exec, s[8:9]
	v_cmp_gt_i64_e32 vcc, s[26:27], v[26:27]
	s_orn2_b64 s[38:39], vcc, exec
.LBB849_49:
	s_or_b64 exec, exec, s[40:41]
.LBB849_50:
	v_mul_lo_u32 v24, v15, s26
	v_mul_lo_u32 v25, v14, s27
	v_mad_u64_u32 v[20:21], s[6:7], v14, s26, 0
	v_add3_u32 v21, v21, v25, v24
	s_and_b64 vcc, exec, s[4:5]
	v_lshlrev_b64 v[20:21], 3, v[20:21]
	s_cbranch_vccnz .LBB849_59
; %bb.51:
	v_mov_b32_e32 v25, s17
	v_add_co_u32_e32 v24, vcc, s16, v20
	v_addc_co_u32_e64 v25, s[6:7], v25, v21, vcc
	v_mov_b32_e32 v27, s17
	v_add_co_u32_e64 v26, s[6:7], s16, v22
	v_addc_co_u32_e64 v27, s[8:9], v27, v23, s[6:7]
	global_load_dwordx2 v[30:31], v[24:25], off
	global_load_dwordx2 v[32:33], v[26:27], off
	s_mov_b64 s[14:15], -1
	s_waitcnt vmcnt(0)
	v_cmp_eq_f64_e64 s[8:9], v[30:31], v[32:33]
	s_and_saveexec_b64 s[40:41], s[8:9]
	s_cbranch_execz .LBB849_58
; %bb.52:
	v_mov_b32_e32 v22, s17
	v_addc_co_u32_e64 v23, s[6:7], v23, v22, s[6:7]
	v_add_co_u32_e64 v22, s[6:7], 8, v26
	v_mov_b32_e32 v25, s17
	v_addc_co_u32_e64 v23, s[6:7], 0, v23, s[6:7]
	v_addc_co_u32_e32 v25, vcc, v21, v25, vcc
	v_add_co_u32_e32 v24, vcc, 8, v24
	s_add_u32 s6, s26, -1
	v_addc_co_u32_e32 v25, vcc, 0, v25, vcc
	s_addc_u32 s7, s27, -1
	s_mov_b64 s[8:9], 0
	s_mov_b64 s[42:43], 0
                                        ; implicit-def: $sgpr14_sgpr15
	s_branch .LBB849_55
.LBB849_53:                             ;   in Loop: Header=BB849_55 Depth=1
	global_load_dwordx2 v[26:27], v[24:25], off
	global_load_dwordx2 v[30:31], v[22:23], off
	v_add_co_u32_e32 v22, vcc, 8, v22
	v_addc_co_u32_e32 v23, vcc, 0, v23, vcc
	v_add_co_u32_e32 v24, vcc, 8, v24
	v_addc_co_u32_e32 v25, vcc, 0, v25, vcc
	s_add_u32 s42, s42, 1
	s_addc_u32 s43, s43, 0
	s_andn2_b64 s[14:15], s[14:15], exec
	s_waitcnt vmcnt(0)
	v_cmp_neq_f64_e32 vcc, v[26:27], v[30:31]
	s_and_b64 s[44:45], vcc, exec
	s_or_b64 s[14:15], s[14:15], s[44:45]
.LBB849_54:                             ;   in Loop: Header=BB849_55 Depth=1
	s_and_b64 s[44:45], exec, s[14:15]
	s_or_b64 s[8:9], s[44:45], s[8:9]
	v_pk_mov_b32 v[26:27], s[42:43], s[42:43] op_sel:[0,1]
	s_andn2_b64 exec, exec, s[8:9]
	s_cbranch_execz .LBB849_57
.LBB849_55:                             ; =>This Inner Loop Header: Depth=1
	s_or_b64 s[14:15], s[14:15], exec
	s_cmp_eq_u64 s[6:7], s[42:43]
	s_cbranch_scc0 .LBB849_53
; %bb.56:                               ;   in Loop: Header=BB849_55 Depth=1
                                        ; implicit-def: $vgpr22_vgpr23
                                        ; implicit-def: $vgpr24_vgpr25
	s_mov_b64 s[42:43], s[26:27]
	s_branch .LBB849_54
.LBB849_57:
	s_or_b64 exec, exec, s[8:9]
	v_cmp_gt_i64_e32 vcc, s[26:27], v[26:27]
	s_orn2_b64 s[14:15], vcc, exec
.LBB849_58:
	s_or_b64 exec, exec, s[40:41]
.LBB849_59:
	s_waitcnt vmcnt(0)
	v_pk_mov_b32 v[22:23], v[18:19], v[18:19] op_sel:[0,1]
	s_waitcnt lgkmcnt(0)
	s_barrier
	s_and_saveexec_b64 s[6:7], s[2:3]
	s_cbranch_execz .LBB849_61
; %bb.60:
	v_add_u32_e32 v22, -8, v29
	ds_read_b64 v[22:23], v22
.LBB849_61:
	s_or_b64 exec, exec, s[6:7]
	v_cndmask_b32_e64 v25, 0, 1, s[10:11]
	v_cndmask_b32_e64 v24, 0, 1, s[38:39]
	;; [unrolled: 1-line block ×3, first 2 shown]
	v_lshlrev_b16_e32 v25, 8, v25
	v_lshlrev_b16_e32 v28, 8, v26
	v_or_b32_sdwa v30, v24, v25 dst_sel:WORD_1 dst_unused:UNUSED_PAD src0_sel:DWORD src1_sel:DWORD
	s_mov_b64 s[10:11], 0
	s_and_b64 vcc, exec, s[4:5]
	s_mov_b64 s[38:39], 0
	s_cbranch_vccnz .LBB849_70
; %bb.62:
	s_waitcnt lgkmcnt(0)
	v_mul_lo_u32 v24, v23, s26
	v_mul_lo_u32 v25, v22, s27
	v_mad_u64_u32 v[22:23], s[6:7], v22, s26, 0
	v_add3_u32 v23, v23, v25, v24
	v_lshlrev_b64 v[22:23], 3, v[22:23]
	v_mov_b32_e32 v25, s17
	v_add_co_u32_e32 v24, vcc, s16, v22
	v_addc_co_u32_e64 v25, s[6:7], v25, v23, vcc
	v_mov_b32_e32 v22, s17
	v_add_co_u32_e64 v26, s[6:7], s16, v20
	v_addc_co_u32_e64 v27, s[8:9], v22, v21, s[6:7]
	global_load_dwordx2 v[32:33], v[24:25], off
	global_load_dwordx2 v[34:35], v[26:27], off
	s_mov_b64 s[38:39], -1
	s_waitcnt vmcnt(0)
	v_cmp_eq_f64_e64 s[8:9], v[32:33], v[34:35]
	s_and_saveexec_b64 s[14:15], s[8:9]
	s_cbranch_execz .LBB849_69
; %bb.63:
	v_mov_b32_e32 v20, s17
	v_addc_co_u32_e64 v21, s[6:7], v21, v20, s[6:7]
	v_add_co_u32_e64 v20, s[6:7], 8, v26
	v_mov_b32_e32 v22, s17
	v_addc_co_u32_e64 v21, s[6:7], 0, v21, s[6:7]
	v_addc_co_u32_e32 v23, vcc, v23, v22, vcc
	v_add_co_u32_e32 v22, vcc, 8, v24
	s_add_u32 s6, s26, -1
	v_addc_co_u32_e32 v23, vcc, 0, v23, vcc
	s_addc_u32 s7, s27, -1
	s_mov_b64 s[8:9], 0
	s_mov_b64 s[40:41], 0
                                        ; implicit-def: $sgpr38_sgpr39
	s_branch .LBB849_66
.LBB849_64:                             ;   in Loop: Header=BB849_66 Depth=1
	global_load_dwordx2 v[24:25], v[22:23], off
	global_load_dwordx2 v[26:27], v[20:21], off
	v_add_co_u32_e32 v20, vcc, 8, v20
	v_addc_co_u32_e32 v21, vcc, 0, v21, vcc
	v_add_co_u32_e32 v22, vcc, 8, v22
	v_addc_co_u32_e32 v23, vcc, 0, v23, vcc
	s_add_u32 s40, s40, 1
	s_addc_u32 s41, s41, 0
	s_andn2_b64 s[38:39], s[38:39], exec
	s_waitcnt vmcnt(0)
	v_cmp_neq_f64_e32 vcc, v[24:25], v[26:27]
	s_and_b64 s[42:43], vcc, exec
	s_or_b64 s[38:39], s[38:39], s[42:43]
.LBB849_65:                             ;   in Loop: Header=BB849_66 Depth=1
	s_and_b64 s[42:43], exec, s[38:39]
	s_or_b64 s[8:9], s[42:43], s[8:9]
	v_pk_mov_b32 v[24:25], s[40:41], s[40:41] op_sel:[0,1]
	s_andn2_b64 exec, exec, s[8:9]
	s_cbranch_execz .LBB849_68
.LBB849_66:                             ; =>This Inner Loop Header: Depth=1
	s_or_b64 s[38:39], s[38:39], exec
	s_cmp_eq_u64 s[6:7], s[40:41]
	s_cbranch_scc0 .LBB849_64
; %bb.67:                               ;   in Loop: Header=BB849_66 Depth=1
                                        ; implicit-def: $vgpr20_vgpr21
                                        ; implicit-def: $vgpr22_vgpr23
	s_mov_b64 s[40:41], s[26:27]
	s_branch .LBB849_65
.LBB849_68:
	s_or_b64 exec, exec, s[8:9]
	v_cmp_gt_i64_e32 vcc, s[26:27], v[24:25]
	s_orn2_b64 s[38:39], vcc, exec
.LBB849_69:
	s_or_b64 exec, exec, s[14:15]
.LBB849_70:
	v_or_b32_e32 v28, v28, v30
	s_and_b64 vcc, exec, s[10:11]
	s_cbranch_vccz .LBB849_118
.LBB849_71:
	v_or_b32_e32 v20, 3, v1
	v_cmp_gt_u32_e32 vcc, s48, v20
	s_mov_b64 s[14:15], 0
	s_mov_b64 s[10:11], 0
	s_and_saveexec_b64 s[38:39], vcc
	s_cbranch_execz .LBB849_82
; %bb.72:
	s_and_b64 vcc, exec, s[4:5]
	s_mov_b64 s[40:41], 0
	s_cbranch_vccnz .LBB849_81
; %bb.73:
	s_waitcnt lgkmcnt(0)
	v_mul_lo_u32 v22, v11, s26
	v_mul_lo_u32 v23, v10, s27
	v_mad_u64_u32 v[20:21], s[6:7], v10, s26, 0
	v_add3_u32 v21, v21, v23, v22
	v_mul_lo_u32 v22, v13, s26
	v_mul_lo_u32 v23, v12, s27
	v_mad_u64_u32 v[26:27], s[6:7], v12, s26, 0
	v_add3_u32 v27, v27, v23, v22
	v_lshlrev_b64 v[22:23], 3, v[20:21]
	v_mov_b32_e32 v20, s17
	v_add_co_u32_e32 v24, vcc, s16, v22
	v_addc_co_u32_e64 v25, s[6:7], v20, v23, vcc
	v_lshlrev_b64 v[20:21], 3, v[26:27]
	v_mov_b32_e32 v22, s17
	v_add_co_u32_e64 v26, s[6:7], s16, v20
	v_addc_co_u32_e64 v27, s[8:9], v22, v21, s[6:7]
	global_load_dwordx2 v[30:31], v[24:25], off
	global_load_dwordx2 v[32:33], v[26:27], off
	s_mov_b64 s[40:41], -1
	s_waitcnt vmcnt(0)
	v_cmp_eq_f64_e64 s[8:9], v[30:31], v[32:33]
	s_and_saveexec_b64 s[10:11], s[8:9]
	s_cbranch_execz .LBB849_80
; %bb.74:
	v_mov_b32_e32 v20, s17
	v_addc_co_u32_e64 v21, s[6:7], v21, v20, s[6:7]
	v_add_co_u32_e64 v20, s[6:7], 8, v26
	v_mov_b32_e32 v22, s17
	v_addc_co_u32_e64 v21, s[6:7], 0, v21, s[6:7]
	v_addc_co_u32_e32 v23, vcc, v23, v22, vcc
	v_add_co_u32_e32 v22, vcc, 8, v24
	s_add_u32 s6, s26, -1
	v_addc_co_u32_e32 v23, vcc, 0, v23, vcc
	s_addc_u32 s7, s27, -1
	s_mov_b64 s[8:9], 0
	s_mov_b64 s[42:43], 0
                                        ; implicit-def: $sgpr40_sgpr41
	s_branch .LBB849_77
.LBB849_75:                             ;   in Loop: Header=BB849_77 Depth=1
	global_load_dwordx2 v[24:25], v[22:23], off
	global_load_dwordx2 v[26:27], v[20:21], off
	v_add_co_u32_e32 v20, vcc, 8, v20
	v_addc_co_u32_e32 v21, vcc, 0, v21, vcc
	v_add_co_u32_e32 v22, vcc, 8, v22
	v_addc_co_u32_e32 v23, vcc, 0, v23, vcc
	s_add_u32 s42, s42, 1
	s_addc_u32 s43, s43, 0
	s_andn2_b64 s[40:41], s[40:41], exec
	s_waitcnt vmcnt(0)
	v_cmp_neq_f64_e32 vcc, v[24:25], v[26:27]
	s_and_b64 s[44:45], vcc, exec
	s_or_b64 s[40:41], s[40:41], s[44:45]
.LBB849_76:                             ;   in Loop: Header=BB849_77 Depth=1
	s_and_b64 s[44:45], exec, s[40:41]
	s_or_b64 s[8:9], s[44:45], s[8:9]
	v_pk_mov_b32 v[24:25], s[42:43], s[42:43] op_sel:[0,1]
	s_andn2_b64 exec, exec, s[8:9]
	s_cbranch_execz .LBB849_79
.LBB849_77:                             ; =>This Inner Loop Header: Depth=1
	s_or_b64 s[40:41], s[40:41], exec
	s_cmp_eq_u64 s[6:7], s[42:43]
	s_cbranch_scc0 .LBB849_75
; %bb.78:                               ;   in Loop: Header=BB849_77 Depth=1
                                        ; implicit-def: $vgpr20_vgpr21
                                        ; implicit-def: $vgpr22_vgpr23
	s_mov_b64 s[42:43], s[26:27]
	s_branch .LBB849_76
.LBB849_79:
	s_or_b64 exec, exec, s[8:9]
	v_cmp_gt_i64_e32 vcc, s[26:27], v[24:25]
	s_orn2_b64 s[40:41], vcc, exec
.LBB849_80:
	s_or_b64 exec, exec, s[10:11]
.LBB849_81:
	s_and_b64 s[10:11], s[40:41], exec
.LBB849_82:
	s_or_b64 exec, exec, s[38:39]
	v_or_b32_e32 v20, 2, v1
	v_cmp_gt_u32_e32 vcc, s48, v20
	s_and_saveexec_b64 s[38:39], vcc
	s_cbranch_execz .LBB849_93
; %bb.83:
	s_and_b64 vcc, exec, s[4:5]
	s_mov_b64 s[40:41], 0
	s_cbranch_vccnz .LBB849_92
; %bb.84:
	s_waitcnt lgkmcnt(0)
	v_mul_lo_u32 v22, v17, s26
	v_mul_lo_u32 v23, v16, s27
	v_mad_u64_u32 v[20:21], s[6:7], v16, s26, 0
	v_add3_u32 v21, v21, v23, v22
	v_mul_lo_u32 v22, v11, s26
	v_mul_lo_u32 v23, v10, s27
	v_mad_u64_u32 v[26:27], s[6:7], v10, s26, 0
	v_add3_u32 v27, v27, v23, v22
	v_lshlrev_b64 v[22:23], 3, v[20:21]
	v_mov_b32_e32 v20, s17
	v_add_co_u32_e32 v24, vcc, s16, v22
	v_addc_co_u32_e64 v25, s[6:7], v20, v23, vcc
	v_lshlrev_b64 v[20:21], 3, v[26:27]
	v_mov_b32_e32 v22, s17
	v_add_co_u32_e64 v26, s[6:7], s16, v20
	v_addc_co_u32_e64 v27, s[8:9], v22, v21, s[6:7]
	global_load_dwordx2 v[30:31], v[24:25], off
	global_load_dwordx2 v[32:33], v[26:27], off
	s_mov_b64 s[40:41], -1
	s_waitcnt vmcnt(0)
	v_cmp_eq_f64_e64 s[8:9], v[30:31], v[32:33]
	s_and_saveexec_b64 s[14:15], s[8:9]
	s_cbranch_execz .LBB849_91
; %bb.85:
	v_mov_b32_e32 v20, s17
	v_addc_co_u32_e64 v21, s[6:7], v21, v20, s[6:7]
	v_add_co_u32_e64 v20, s[6:7], 8, v26
	v_mov_b32_e32 v22, s17
	v_addc_co_u32_e64 v21, s[6:7], 0, v21, s[6:7]
	v_addc_co_u32_e32 v23, vcc, v23, v22, vcc
	v_add_co_u32_e32 v22, vcc, 8, v24
	s_add_u32 s6, s26, -1
	v_addc_co_u32_e32 v23, vcc, 0, v23, vcc
	s_addc_u32 s7, s27, -1
	s_mov_b64 s[8:9], 0
	s_mov_b64 s[42:43], 0
                                        ; implicit-def: $sgpr40_sgpr41
	s_branch .LBB849_88
.LBB849_86:                             ;   in Loop: Header=BB849_88 Depth=1
	global_load_dwordx2 v[24:25], v[22:23], off
	global_load_dwordx2 v[26:27], v[20:21], off
	v_add_co_u32_e32 v20, vcc, 8, v20
	v_addc_co_u32_e32 v21, vcc, 0, v21, vcc
	v_add_co_u32_e32 v22, vcc, 8, v22
	v_addc_co_u32_e32 v23, vcc, 0, v23, vcc
	s_add_u32 s42, s42, 1
	s_addc_u32 s43, s43, 0
	s_andn2_b64 s[40:41], s[40:41], exec
	s_waitcnt vmcnt(0)
	v_cmp_neq_f64_e32 vcc, v[24:25], v[26:27]
	s_and_b64 s[44:45], vcc, exec
	s_or_b64 s[40:41], s[40:41], s[44:45]
.LBB849_87:                             ;   in Loop: Header=BB849_88 Depth=1
	s_and_b64 s[44:45], exec, s[40:41]
	s_or_b64 s[8:9], s[44:45], s[8:9]
	v_pk_mov_b32 v[24:25], s[42:43], s[42:43] op_sel:[0,1]
	s_andn2_b64 exec, exec, s[8:9]
	s_cbranch_execz .LBB849_90
.LBB849_88:                             ; =>This Inner Loop Header: Depth=1
	s_or_b64 s[40:41], s[40:41], exec
	s_cmp_eq_u64 s[6:7], s[42:43]
	s_cbranch_scc0 .LBB849_86
; %bb.89:                               ;   in Loop: Header=BB849_88 Depth=1
                                        ; implicit-def: $vgpr20_vgpr21
                                        ; implicit-def: $vgpr22_vgpr23
	s_mov_b64 s[42:43], s[26:27]
	s_branch .LBB849_87
.LBB849_90:
	s_or_b64 exec, exec, s[8:9]
	v_cmp_gt_i64_e32 vcc, s[26:27], v[24:25]
	s_orn2_b64 s[40:41], vcc, exec
.LBB849_91:
	s_or_b64 exec, exec, s[14:15]
.LBB849_92:
	s_and_b64 s[14:15], s[40:41], exec
.LBB849_93:
	s_or_b64 exec, exec, s[38:39]
	v_or_b32_e32 v20, 1, v1
	v_cmp_gt_u32_e32 vcc, s48, v20
	s_mov_b64 s[6:7], 0
	s_and_saveexec_b64 s[38:39], vcc
	s_cbranch_execz .LBB849_104
; %bb.94:
	s_and_b64 vcc, exec, s[4:5]
	s_mov_b64 s[42:43], 0
	s_cbranch_vccnz .LBB849_103
; %bb.95:
	s_waitcnt lgkmcnt(0)
	v_mul_lo_u32 v22, v15, s26
	v_mul_lo_u32 v23, v14, s27
	v_mad_u64_u32 v[20:21], s[6:7], v14, s26, 0
	v_add3_u32 v21, v21, v23, v22
	v_mul_lo_u32 v22, v17, s26
	v_mul_lo_u32 v23, v16, s27
	v_mad_u64_u32 v[26:27], s[6:7], v16, s26, 0
	v_add3_u32 v27, v27, v23, v22
	v_lshlrev_b64 v[22:23], 3, v[20:21]
	v_mov_b32_e32 v20, s17
	v_add_co_u32_e32 v24, vcc, s16, v22
	v_addc_co_u32_e64 v25, s[6:7], v20, v23, vcc
	v_lshlrev_b64 v[20:21], 3, v[26:27]
	v_mov_b32_e32 v22, s17
	v_add_co_u32_e64 v26, s[6:7], s16, v20
	v_addc_co_u32_e64 v27, s[8:9], v22, v21, s[6:7]
	global_load_dwordx2 v[30:31], v[24:25], off
	global_load_dwordx2 v[32:33], v[26:27], off
	s_mov_b64 s[42:43], -1
	s_waitcnt vmcnt(0)
	v_cmp_eq_f64_e64 s[8:9], v[30:31], v[32:33]
	s_and_saveexec_b64 s[40:41], s[8:9]
	s_cbranch_execz .LBB849_102
; %bb.96:
	v_mov_b32_e32 v20, s17
	v_addc_co_u32_e64 v21, s[6:7], v21, v20, s[6:7]
	v_add_co_u32_e64 v20, s[6:7], 8, v26
	v_mov_b32_e32 v22, s17
	v_addc_co_u32_e64 v21, s[6:7], 0, v21, s[6:7]
	v_addc_co_u32_e32 v23, vcc, v23, v22, vcc
	v_add_co_u32_e32 v22, vcc, 8, v24
	s_add_u32 s6, s26, -1
	v_addc_co_u32_e32 v23, vcc, 0, v23, vcc
	s_addc_u32 s7, s27, -1
	s_mov_b64 s[8:9], 0
	s_mov_b64 s[44:45], 0
                                        ; implicit-def: $sgpr42_sgpr43
	s_branch .LBB849_99
.LBB849_97:                             ;   in Loop: Header=BB849_99 Depth=1
	global_load_dwordx2 v[24:25], v[22:23], off
	global_load_dwordx2 v[26:27], v[20:21], off
	v_add_co_u32_e32 v20, vcc, 8, v20
	v_addc_co_u32_e32 v21, vcc, 0, v21, vcc
	v_add_co_u32_e32 v22, vcc, 8, v22
	v_addc_co_u32_e32 v23, vcc, 0, v23, vcc
	s_add_u32 s44, s44, 1
	s_addc_u32 s45, s45, 0
	s_andn2_b64 s[42:43], s[42:43], exec
	s_waitcnt vmcnt(0)
	v_cmp_neq_f64_e32 vcc, v[24:25], v[26:27]
	s_and_b64 s[46:47], vcc, exec
	s_or_b64 s[42:43], s[42:43], s[46:47]
.LBB849_98:                             ;   in Loop: Header=BB849_99 Depth=1
	s_and_b64 s[46:47], exec, s[42:43]
	s_or_b64 s[8:9], s[46:47], s[8:9]
	v_pk_mov_b32 v[24:25], s[44:45], s[44:45] op_sel:[0,1]
	s_andn2_b64 exec, exec, s[8:9]
	s_cbranch_execz .LBB849_101
.LBB849_99:                             ; =>This Inner Loop Header: Depth=1
	s_or_b64 s[42:43], s[42:43], exec
	s_cmp_eq_u64 s[6:7], s[44:45]
	s_cbranch_scc0 .LBB849_97
; %bb.100:                              ;   in Loop: Header=BB849_99 Depth=1
                                        ; implicit-def: $vgpr20_vgpr21
                                        ; implicit-def: $vgpr22_vgpr23
	s_mov_b64 s[44:45], s[26:27]
	s_branch .LBB849_98
.LBB849_101:
	s_or_b64 exec, exec, s[8:9]
	v_cmp_gt_i64_e32 vcc, s[26:27], v[24:25]
	s_orn2_b64 s[42:43], vcc, exec
.LBB849_102:
	s_or_b64 exec, exec, s[40:41]
.LBB849_103:
	s_and_b64 s[6:7], s[42:43], exec
.LBB849_104:
	s_or_b64 exec, exec, s[38:39]
	s_waitcnt lgkmcnt(0)
	s_barrier
	s_and_saveexec_b64 s[8:9], s[2:3]
	s_cbranch_execz .LBB849_106
; %bb.105:
	s_waitcnt vmcnt(0)
	v_add_u32_e32 v18, -8, v29
	ds_read_b64 v[18:19], v18
.LBB849_106:
	s_or_b64 exec, exec, s[8:9]
	v_cndmask_b32_e64 v21, 0, 1, s[10:11]
	v_cndmask_b32_e64 v20, 0, 1, s[14:15]
	;; [unrolled: 1-line block ×3, first 2 shown]
	v_lshlrev_b16_e32 v21, 8, v21
	v_lshlrev_b16_e32 v26, 8, v22
	v_or_b32_sdwa v27, v20, v21 dst_sel:WORD_1 dst_unused:UNUSED_PAD src0_sel:DWORD src1_sel:DWORD
	v_cmp_gt_u32_e32 vcc, s48, v1
	s_mov_b64 s[38:39], 0
	s_and_saveexec_b64 s[8:9], vcc
	s_cbranch_execz .LBB849_117
; %bb.107:
	s_and_b64 vcc, exec, s[4:5]
	s_mov_b64 s[14:15], 0
	s_cbranch_vccnz .LBB849_116
; %bb.108:
	s_waitcnt vmcnt(0) lgkmcnt(0)
	v_mul_lo_u32 v20, v19, s26
	v_mul_lo_u32 v21, v18, s27
	v_mad_u64_u32 v[18:19], s[4:5], v18, s26, 0
	v_add3_u32 v19, v19, v21, v20
	v_mul_lo_u32 v20, v15, s26
	v_mul_lo_u32 v21, v14, s27
	v_mad_u64_u32 v[24:25], s[4:5], v14, s26, 0
	v_add3_u32 v25, v25, v21, v20
	v_lshlrev_b64 v[20:21], 3, v[18:19]
	v_mov_b32_e32 v18, s17
	v_add_co_u32_e32 v22, vcc, s16, v20
	v_addc_co_u32_e64 v23, s[4:5], v18, v21, vcc
	v_lshlrev_b64 v[18:19], 3, v[24:25]
	v_mov_b32_e32 v20, s17
	v_add_co_u32_e64 v24, s[4:5], s16, v18
	v_addc_co_u32_e64 v25, s[6:7], v20, v19, s[4:5]
	global_load_dwordx2 v[28:29], v[22:23], off
	global_load_dwordx2 v[30:31], v[24:25], off
	s_mov_b64 s[14:15], -1
	s_waitcnt vmcnt(0)
	v_cmp_eq_f64_e64 s[6:7], v[28:29], v[30:31]
	s_and_saveexec_b64 s[10:11], s[6:7]
	s_cbranch_execz .LBB849_115
; %bb.109:
	v_mov_b32_e32 v18, s17
	v_addc_co_u32_e64 v19, s[4:5], v19, v18, s[4:5]
	v_add_co_u32_e64 v18, s[4:5], 8, v24
	v_mov_b32_e32 v20, s17
	v_addc_co_u32_e64 v19, s[4:5], 0, v19, s[4:5]
	v_addc_co_u32_e32 v21, vcc, v21, v20, vcc
	v_add_co_u32_e32 v20, vcc, 8, v22
	s_add_u32 s4, s26, -1
	v_addc_co_u32_e32 v21, vcc, 0, v21, vcc
	s_addc_u32 s5, s27, -1
	s_mov_b64 s[6:7], 0
                                        ; implicit-def: $sgpr14_sgpr15
	s_branch .LBB849_112
.LBB849_110:                            ;   in Loop: Header=BB849_112 Depth=1
	global_load_dwordx2 v[22:23], v[20:21], off
	global_load_dwordx2 v[24:25], v[18:19], off
	v_add_co_u32_e32 v18, vcc, 8, v18
	v_addc_co_u32_e32 v19, vcc, 0, v19, vcc
	v_add_co_u32_e32 v20, vcc, 8, v20
	v_addc_co_u32_e32 v21, vcc, 0, v21, vcc
	s_add_u32 s38, s38, 1
	s_addc_u32 s39, s39, 0
	s_andn2_b64 s[14:15], s[14:15], exec
	s_waitcnt vmcnt(0)
	v_cmp_neq_f64_e32 vcc, v[22:23], v[24:25]
	s_and_b64 s[40:41], vcc, exec
	s_or_b64 s[14:15], s[14:15], s[40:41]
.LBB849_111:                            ;   in Loop: Header=BB849_112 Depth=1
	s_and_b64 s[40:41], exec, s[14:15]
	s_or_b64 s[6:7], s[40:41], s[6:7]
	v_pk_mov_b32 v[22:23], s[38:39], s[38:39] op_sel:[0,1]
	s_andn2_b64 exec, exec, s[6:7]
	s_cbranch_execz .LBB849_114
.LBB849_112:                            ; =>This Inner Loop Header: Depth=1
	s_or_b64 s[14:15], s[14:15], exec
	s_cmp_eq_u64 s[4:5], s[38:39]
	s_cbranch_scc0 .LBB849_110
; %bb.113:                              ;   in Loop: Header=BB849_112 Depth=1
                                        ; implicit-def: $vgpr18_vgpr19
                                        ; implicit-def: $vgpr20_vgpr21
	s_mov_b64 s[38:39], s[26:27]
	s_branch .LBB849_111
.LBB849_114:
	s_or_b64 exec, exec, s[6:7]
	v_cmp_gt_i64_e32 vcc, s[26:27], v[22:23]
	s_orn2_b64 s[14:15], vcc, exec
.LBB849_115:
	s_or_b64 exec, exec, s[10:11]
.LBB849_116:
	s_and_b64 s[38:39], s[14:15], exec
.LBB849_117:
	s_or_b64 exec, exec, s[8:9]
	v_or_b32_e32 v28, v26, v27
.LBB849_118:
	s_mov_b64 s[14:15], -1
	s_cbranch_execnz .LBB849_207
.LBB849_119:
	v_lshlrev_b32_e32 v29, 3, v0
	s_mov_b64 s[38:39], 0
	v_cmp_gt_i64_e64 s[10:11], s[26:27], 0
	s_and_b64 vcc, exec, s[34:35]
	ds_write_b64 v29, v[12:13]
	s_cbranch_vccz .LBB849_127
; %bb.120:
	v_mul_lo_u32 v20, v11, s26
	v_mul_lo_u32 v21, v10, s27
	s_waitcnt vmcnt(0) lgkmcnt(1)
	v_mad_u64_u32 v[18:19], s[4:5], v10, s26, 0
	v_add3_u32 v19, v19, v21, v20
	v_cndmask_b32_e64 v20, 0, 1, s[10:11]
	v_cmp_ne_u32_e64 s[4:5], 1, v20
	s_andn2_b64 vcc, exec, s[10:11]
	v_lshlrev_b64 v[18:19], 3, v[18:19]
	s_cbranch_vccnz .LBB849_130
; %bb.121:
	v_mul_lo_u32 v22, v13, s26
	v_mul_lo_u32 v23, v12, s27
	v_mad_u64_u32 v[20:21], s[6:7], v12, s26, 0
	v_add3_u32 v21, v21, v23, v22
	v_mov_b32_e32 v23, s17
	v_add_co_u32_e32 v22, vcc, s16, v18
	v_addc_co_u32_e64 v23, s[6:7], v23, v19, vcc
	v_lshlrev_b64 v[20:21], 3, v[20:21]
	v_mov_b32_e32 v25, s17
	v_add_co_u32_e64 v24, s[6:7], s16, v20
	v_addc_co_u32_e64 v25, s[8:9], v25, v21, s[6:7]
	global_load_dwordx2 v[26:27], v[22:23], off
	global_load_dwordx2 v[30:31], v[24:25], off
	s_mov_b64 s[38:39], -1
	s_waitcnt vmcnt(0)
	v_cmp_eq_f64_e64 s[8:9], v[26:27], v[30:31]
	s_and_saveexec_b64 s[40:41], s[8:9]
	s_cbranch_execz .LBB849_129
; %bb.122:
	v_mov_b32_e32 v20, s17
	v_addc_co_u32_e64 v21, s[6:7], v21, v20, s[6:7]
	v_add_co_u32_e64 v20, s[6:7], 8, v24
	v_mov_b32_e32 v23, s17
	v_addc_co_u32_e64 v21, s[6:7], 0, v21, s[6:7]
	v_addc_co_u32_e32 v23, vcc, v19, v23, vcc
	v_add_co_u32_e32 v22, vcc, 8, v22
	s_add_u32 s6, s26, -1
	v_addc_co_u32_e32 v23, vcc, 0, v23, vcc
	s_addc_u32 s7, s27, -1
	s_mov_b64 s[8:9], 0
	s_mov_b64 s[42:43], 0
                                        ; implicit-def: $sgpr38_sgpr39
	s_branch .LBB849_125
.LBB849_123:                            ;   in Loop: Header=BB849_125 Depth=1
	global_load_dwordx2 v[24:25], v[22:23], off
	global_load_dwordx2 v[26:27], v[20:21], off
	v_add_co_u32_e32 v20, vcc, 8, v20
	v_addc_co_u32_e32 v21, vcc, 0, v21, vcc
	v_add_co_u32_e32 v22, vcc, 8, v22
	v_addc_co_u32_e32 v23, vcc, 0, v23, vcc
	s_add_u32 s42, s42, 1
	s_addc_u32 s43, s43, 0
	s_andn2_b64 s[38:39], s[38:39], exec
	s_waitcnt vmcnt(0)
	v_cmp_neq_f64_e32 vcc, v[24:25], v[26:27]
	s_and_b64 s[44:45], vcc, exec
	s_or_b64 s[38:39], s[38:39], s[44:45]
.LBB849_124:                            ;   in Loop: Header=BB849_125 Depth=1
	s_and_b64 s[44:45], exec, s[38:39]
	s_or_b64 s[8:9], s[44:45], s[8:9]
	v_pk_mov_b32 v[24:25], s[42:43], s[42:43] op_sel:[0,1]
	s_andn2_b64 exec, exec, s[8:9]
	s_cbranch_execz .LBB849_128
.LBB849_125:                            ; =>This Inner Loop Header: Depth=1
	s_or_b64 s[38:39], s[38:39], exec
	s_cmp_eq_u64 s[6:7], s[42:43]
	s_cbranch_scc0 .LBB849_123
; %bb.126:                              ;   in Loop: Header=BB849_125 Depth=1
                                        ; implicit-def: $vgpr20_vgpr21
                                        ; implicit-def: $vgpr22_vgpr23
	s_mov_b64 s[42:43], s[26:27]
	s_branch .LBB849_124
.LBB849_127:
                                        ; implicit-def: $sgpr38_sgpr39
                                        ; implicit-def: $vgpr28
	s_cbranch_execnz .LBB849_160
	s_branch .LBB849_207
.LBB849_128:
	s_or_b64 exec, exec, s[8:9]
	v_cmp_gt_i64_e32 vcc, s[26:27], v[24:25]
	s_orn2_b64 s[38:39], vcc, exec
.LBB849_129:
	s_or_b64 exec, exec, s[40:41]
.LBB849_130:
	v_mul_lo_u32 v22, v17, s26
	v_mul_lo_u32 v23, v16, s27
	v_mad_u64_u32 v[20:21], s[6:7], v16, s26, 0
	v_add3_u32 v21, v21, v23, v22
	s_mov_b64 s[40:41], 0
	s_and_b64 vcc, exec, s[4:5]
	v_lshlrev_b64 v[20:21], 3, v[20:21]
	s_mov_b64 s[42:43], 0
	s_cbranch_vccnz .LBB849_139
; %bb.131:
	v_mov_b32_e32 v23, s17
	v_add_co_u32_e32 v22, vcc, s16, v20
	v_addc_co_u32_e64 v23, s[6:7], v23, v21, vcc
	v_mov_b32_e32 v25, s17
	v_add_co_u32_e64 v24, s[6:7], s16, v18
	v_addc_co_u32_e64 v25, s[8:9], v25, v19, s[6:7]
	global_load_dwordx2 v[26:27], v[22:23], off
	global_load_dwordx2 v[30:31], v[24:25], off
	s_mov_b64 s[42:43], -1
	s_waitcnt vmcnt(0)
	v_cmp_eq_f64_e64 s[8:9], v[26:27], v[30:31]
	s_and_saveexec_b64 s[44:45], s[8:9]
	s_cbranch_execz .LBB849_138
; %bb.132:
	v_mov_b32_e32 v18, s17
	v_addc_co_u32_e64 v19, s[6:7], v19, v18, s[6:7]
	v_add_co_u32_e64 v18, s[6:7], 8, v24
	v_mov_b32_e32 v23, s17
	v_addc_co_u32_e64 v19, s[6:7], 0, v19, s[6:7]
	v_addc_co_u32_e32 v23, vcc, v21, v23, vcc
	v_add_co_u32_e32 v22, vcc, 8, v22
	s_add_u32 s6, s26, -1
	v_addc_co_u32_e32 v23, vcc, 0, v23, vcc
	s_addc_u32 s7, s27, -1
	s_mov_b64 s[8:9], 0
	s_mov_b64 s[46:47], 0
                                        ; implicit-def: $sgpr42_sgpr43
	s_branch .LBB849_135
.LBB849_133:                            ;   in Loop: Header=BB849_135 Depth=1
	global_load_dwordx2 v[24:25], v[22:23], off
	global_load_dwordx2 v[26:27], v[18:19], off
	v_add_co_u32_e32 v18, vcc, 8, v18
	v_addc_co_u32_e32 v19, vcc, 0, v19, vcc
	v_add_co_u32_e32 v22, vcc, 8, v22
	v_addc_co_u32_e32 v23, vcc, 0, v23, vcc
	s_add_u32 s46, s46, 1
	s_addc_u32 s47, s47, 0
	s_andn2_b64 s[42:43], s[42:43], exec
	s_waitcnt vmcnt(0)
	v_cmp_neq_f64_e32 vcc, v[24:25], v[26:27]
	s_and_b64 s[50:51], vcc, exec
	s_or_b64 s[42:43], s[42:43], s[50:51]
.LBB849_134:                            ;   in Loop: Header=BB849_135 Depth=1
	s_and_b64 s[50:51], exec, s[42:43]
	s_or_b64 s[8:9], s[50:51], s[8:9]
	v_pk_mov_b32 v[24:25], s[46:47], s[46:47] op_sel:[0,1]
	s_andn2_b64 exec, exec, s[8:9]
	s_cbranch_execz .LBB849_137
.LBB849_135:                            ; =>This Inner Loop Header: Depth=1
	s_or_b64 s[42:43], s[42:43], exec
	s_cmp_eq_u64 s[6:7], s[46:47]
	s_cbranch_scc0 .LBB849_133
; %bb.136:                              ;   in Loop: Header=BB849_135 Depth=1
                                        ; implicit-def: $vgpr18_vgpr19
                                        ; implicit-def: $vgpr22_vgpr23
	s_mov_b64 s[46:47], s[26:27]
	s_branch .LBB849_134
.LBB849_137:
	s_or_b64 exec, exec, s[8:9]
	v_cmp_gt_i64_e32 vcc, s[26:27], v[24:25]
	s_orn2_b64 s[42:43], vcc, exec
.LBB849_138:
	s_or_b64 exec, exec, s[44:45]
.LBB849_139:
	v_mul_lo_u32 v22, v15, s26
	v_mul_lo_u32 v23, v14, s27
	v_mad_u64_u32 v[18:19], s[6:7], v14, s26, 0
	s_and_b64 vcc, exec, s[4:5]
	v_add3_u32 v19, v19, v23, v22
	s_cbranch_vccnz .LBB849_148
; %bb.140:
	v_lshlrev_b64 v[22:23], 3, v[18:19]
	v_mov_b32_e32 v25, s17
	v_add_co_u32_e32 v24, vcc, s16, v22
	v_addc_co_u32_e64 v25, s[6:7], v25, v23, vcc
	v_mov_b32_e32 v22, s17
	v_add_co_u32_e64 v26, s[6:7], s16, v20
	v_addc_co_u32_e64 v27, s[8:9], v22, v21, s[6:7]
	global_load_dwordx2 v[30:31], v[24:25], off
	global_load_dwordx2 v[32:33], v[26:27], off
	s_mov_b64 s[40:41], -1
	s_waitcnt vmcnt(0)
	v_cmp_eq_f64_e64 s[8:9], v[30:31], v[32:33]
	s_and_saveexec_b64 s[44:45], s[8:9]
	s_cbranch_execz .LBB849_147
; %bb.141:
	v_mov_b32_e32 v20, s17
	v_addc_co_u32_e64 v21, s[6:7], v21, v20, s[6:7]
	v_add_co_u32_e64 v20, s[6:7], 8, v26
	v_mov_b32_e32 v22, s17
	v_addc_co_u32_e64 v21, s[6:7], 0, v21, s[6:7]
	v_addc_co_u32_e32 v23, vcc, v23, v22, vcc
	v_add_co_u32_e32 v22, vcc, 8, v24
	s_add_u32 s6, s26, -1
	v_addc_co_u32_e32 v23, vcc, 0, v23, vcc
	s_addc_u32 s7, s27, -1
	s_mov_b64 s[8:9], 0
	s_mov_b64 s[46:47], 0
                                        ; implicit-def: $sgpr40_sgpr41
	s_branch .LBB849_144
.LBB849_142:                            ;   in Loop: Header=BB849_144 Depth=1
	global_load_dwordx2 v[24:25], v[22:23], off
	global_load_dwordx2 v[26:27], v[20:21], off
	v_add_co_u32_e32 v20, vcc, 8, v20
	v_addc_co_u32_e32 v21, vcc, 0, v21, vcc
	v_add_co_u32_e32 v22, vcc, 8, v22
	v_addc_co_u32_e32 v23, vcc, 0, v23, vcc
	s_add_u32 s46, s46, 1
	s_addc_u32 s47, s47, 0
	s_andn2_b64 s[40:41], s[40:41], exec
	s_waitcnt vmcnt(0)
	v_cmp_neq_f64_e32 vcc, v[24:25], v[26:27]
	s_and_b64 s[50:51], vcc, exec
	s_or_b64 s[40:41], s[40:41], s[50:51]
.LBB849_143:                            ;   in Loop: Header=BB849_144 Depth=1
	s_and_b64 s[50:51], exec, s[40:41]
	s_or_b64 s[8:9], s[50:51], s[8:9]
	v_pk_mov_b32 v[24:25], s[46:47], s[46:47] op_sel:[0,1]
	s_andn2_b64 exec, exec, s[8:9]
	s_cbranch_execz .LBB849_146
.LBB849_144:                            ; =>This Inner Loop Header: Depth=1
	s_or_b64 s[40:41], s[40:41], exec
	s_cmp_eq_u64 s[6:7], s[46:47]
	s_cbranch_scc0 .LBB849_142
; %bb.145:                              ;   in Loop: Header=BB849_144 Depth=1
                                        ; implicit-def: $vgpr20_vgpr21
                                        ; implicit-def: $vgpr22_vgpr23
	s_mov_b64 s[46:47], s[26:27]
	s_branch .LBB849_143
.LBB849_146:
	s_or_b64 exec, exec, s[8:9]
	v_cmp_gt_i64_e32 vcc, s[26:27], v[24:25]
	s_orn2_b64 s[40:41], vcc, exec
.LBB849_147:
	s_or_b64 exec, exec, s[44:45]
.LBB849_148:
	v_cndmask_b32_e64 v21, 0, 1, s[38:39]
	v_cndmask_b32_e64 v22, 0, 1, s[40:41]
	v_cndmask_b32_e64 v20, 0, 1, s[42:43]
	v_lshlrev_b16_e32 v22, 8, v22
	v_lshlrev_b16_e32 v21, 8, v21
	v_or_b32_e32 v22, 1, v22
	v_or_b32_sdwa v20, v20, v21 dst_sel:WORD_1 dst_unused:UNUSED_PAD src0_sel:DWORD src1_sel:DWORD
	v_or_b32_sdwa v28, v22, v20 dst_sel:DWORD dst_unused:UNUSED_PAD src0_sel:WORD_0 src1_sel:DWORD
	s_waitcnt lgkmcnt(0)
	s_barrier
	s_waitcnt lgkmcnt(0)
                                        ; implicit-def: $sgpr38_sgpr39
	s_and_saveexec_b64 s[6:7], s[2:3]
	s_xor_b64 s[8:9], exec, s[6:7]
	s_cbranch_execz .LBB849_159
; %bb.149:
	s_and_b64 vcc, exec, s[4:5]
	s_mov_b64 s[40:41], 0
	s_cbranch_vccnz .LBB849_158
; %bb.150:
	v_add_u32_e32 v20, -8, v29
	ds_read_b64 v[20:21], v20
	v_mov_b32_e32 v23, s17
	v_lshlrev_b64 v[18:19], 3, v[18:19]
	s_mov_b64 s[40:41], -1
	s_waitcnt lgkmcnt(0)
	v_mul_lo_u32 v22, v21, s26
	v_mul_lo_u32 v24, v20, s27
	v_mad_u64_u32 v[20:21], s[4:5], v20, s26, 0
	v_add3_u32 v21, v21, v24, v22
	v_lshlrev_b64 v[20:21], 3, v[20:21]
	v_add_co_u32_e32 v22, vcc, s16, v20
	v_addc_co_u32_e64 v23, s[4:5], v23, v21, vcc
	v_mov_b32_e32 v20, s17
	v_add_co_u32_e64 v24, s[4:5], s16, v18
	v_addc_co_u32_e64 v25, s[6:7], v20, v19, s[4:5]
	global_load_dwordx2 v[26:27], v[22:23], off
	global_load_dwordx2 v[30:31], v[24:25], off
	s_waitcnt vmcnt(0)
	v_cmp_eq_f64_e64 s[6:7], v[26:27], v[30:31]
	s_and_saveexec_b64 s[38:39], s[6:7]
	s_cbranch_execz .LBB849_157
; %bb.151:
	v_mov_b32_e32 v18, s17
	v_addc_co_u32_e64 v19, s[4:5], v19, v18, s[4:5]
	v_add_co_u32_e64 v18, s[4:5], 8, v24
	v_mov_b32_e32 v20, s17
	v_addc_co_u32_e64 v19, s[4:5], 0, v19, s[4:5]
	v_addc_co_u32_e32 v21, vcc, v21, v20, vcc
	v_add_co_u32_e32 v20, vcc, 8, v22
	s_add_u32 s4, s26, -1
	v_addc_co_u32_e32 v21, vcc, 0, v21, vcc
	s_addc_u32 s5, s27, -1
	s_mov_b64 s[6:7], 0
	s_mov_b64 s[42:43], 0
                                        ; implicit-def: $sgpr40_sgpr41
	s_branch .LBB849_154
.LBB849_152:                            ;   in Loop: Header=BB849_154 Depth=1
	global_load_dwordx2 v[22:23], v[20:21], off
	global_load_dwordx2 v[24:25], v[18:19], off
	v_add_co_u32_e32 v18, vcc, 8, v18
	v_addc_co_u32_e32 v19, vcc, 0, v19, vcc
	v_add_co_u32_e32 v20, vcc, 8, v20
	v_addc_co_u32_e32 v21, vcc, 0, v21, vcc
	s_add_u32 s42, s42, 1
	s_addc_u32 s43, s43, 0
	s_andn2_b64 s[40:41], s[40:41], exec
	s_waitcnt vmcnt(0)
	v_cmp_neq_f64_e32 vcc, v[22:23], v[24:25]
	s_and_b64 s[44:45], vcc, exec
	s_or_b64 s[40:41], s[40:41], s[44:45]
.LBB849_153:                            ;   in Loop: Header=BB849_154 Depth=1
	s_and_b64 s[44:45], exec, s[40:41]
	s_or_b64 s[6:7], s[44:45], s[6:7]
	v_pk_mov_b32 v[22:23], s[42:43], s[42:43] op_sel:[0,1]
	s_andn2_b64 exec, exec, s[6:7]
	s_cbranch_execz .LBB849_156
.LBB849_154:                            ; =>This Inner Loop Header: Depth=1
	s_or_b64 s[40:41], s[40:41], exec
	s_cmp_eq_u64 s[4:5], s[42:43]
	s_cbranch_scc0 .LBB849_152
; %bb.155:                              ;   in Loop: Header=BB849_154 Depth=1
                                        ; implicit-def: $vgpr18_vgpr19
                                        ; implicit-def: $vgpr20_vgpr21
	s_mov_b64 s[42:43], s[26:27]
	s_branch .LBB849_153
.LBB849_156:
	s_or_b64 exec, exec, s[6:7]
	v_cmp_gt_i64_e32 vcc, s[26:27], v[22:23]
	s_orn2_b64 s[40:41], vcc, exec
.LBB849_157:
	s_or_b64 exec, exec, s[38:39]
.LBB849_158:
	s_and_b64 s[38:39], s[40:41], exec
	s_or_b64 s[14:15], s[14:15], exec
.LBB849_159:
	s_or_b64 exec, exec, s[8:9]
	s_branch .LBB849_207
.LBB849_160:
	s_waitcnt vmcnt(0) lgkmcnt(1)
	v_or_b32_e32 v18, 3, v1
	v_cmp_gt_u32_e32 vcc, s48, v18
	s_mov_b64 s[38:39], 0
	s_mov_b64 s[8:9], 0
	s_and_saveexec_b64 s[40:41], vcc
	s_cbranch_execz .LBB849_171
; %bb.161:
	s_andn2_b64 vcc, exec, s[10:11]
	s_mov_b64 s[42:43], 0
	s_cbranch_vccnz .LBB849_170
; %bb.162:
	v_mul_lo_u32 v20, v11, s26
	v_mul_lo_u32 v21, v10, s27
	v_mad_u64_u32 v[18:19], s[4:5], v10, s26, 0
	v_add3_u32 v19, v19, v21, v20
	v_mul_lo_u32 v20, v13, s26
	v_mul_lo_u32 v21, v12, s27
	v_mad_u64_u32 v[24:25], s[4:5], v12, s26, 0
	v_add3_u32 v25, v25, v21, v20
	v_lshlrev_b64 v[20:21], 3, v[18:19]
	v_mov_b32_e32 v18, s17
	v_add_co_u32_e32 v22, vcc, s16, v20
	v_addc_co_u32_e64 v23, s[4:5], v18, v21, vcc
	v_lshlrev_b64 v[18:19], 3, v[24:25]
	v_mov_b32_e32 v20, s17
	v_add_co_u32_e64 v24, s[4:5], s16, v18
	v_addc_co_u32_e64 v25, s[6:7], v20, v19, s[4:5]
	global_load_dwordx2 v[26:27], v[22:23], off
	global_load_dwordx2 v[30:31], v[24:25], off
	s_mov_b64 s[42:43], -1
	s_waitcnt vmcnt(0)
	v_cmp_eq_f64_e64 s[6:7], v[26:27], v[30:31]
	s_and_saveexec_b64 s[8:9], s[6:7]
	s_cbranch_execz .LBB849_169
; %bb.163:
	v_mov_b32_e32 v18, s17
	v_addc_co_u32_e64 v19, s[4:5], v19, v18, s[4:5]
	v_add_co_u32_e64 v18, s[4:5], 8, v24
	v_mov_b32_e32 v20, s17
	v_addc_co_u32_e64 v19, s[4:5], 0, v19, s[4:5]
	v_addc_co_u32_e32 v21, vcc, v21, v20, vcc
	v_add_co_u32_e32 v20, vcc, 8, v22
	s_add_u32 s4, s26, -1
	v_addc_co_u32_e32 v21, vcc, 0, v21, vcc
	s_addc_u32 s5, s27, -1
	s_mov_b64 s[6:7], 0
	s_mov_b64 s[44:45], 0
                                        ; implicit-def: $sgpr42_sgpr43
	s_branch .LBB849_166
.LBB849_164:                            ;   in Loop: Header=BB849_166 Depth=1
	global_load_dwordx2 v[22:23], v[20:21], off
	global_load_dwordx2 v[24:25], v[18:19], off
	v_add_co_u32_e32 v18, vcc, 8, v18
	v_addc_co_u32_e32 v19, vcc, 0, v19, vcc
	v_add_co_u32_e32 v20, vcc, 8, v20
	v_addc_co_u32_e32 v21, vcc, 0, v21, vcc
	s_add_u32 s44, s44, 1
	s_addc_u32 s45, s45, 0
	s_andn2_b64 s[42:43], s[42:43], exec
	s_waitcnt vmcnt(0)
	v_cmp_neq_f64_e32 vcc, v[22:23], v[24:25]
	s_and_b64 s[46:47], vcc, exec
	s_or_b64 s[42:43], s[42:43], s[46:47]
.LBB849_165:                            ;   in Loop: Header=BB849_166 Depth=1
	s_and_b64 s[46:47], exec, s[42:43]
	s_or_b64 s[6:7], s[46:47], s[6:7]
	v_pk_mov_b32 v[22:23], s[44:45], s[44:45] op_sel:[0,1]
	s_andn2_b64 exec, exec, s[6:7]
	s_cbranch_execz .LBB849_168
.LBB849_166:                            ; =>This Inner Loop Header: Depth=1
	s_or_b64 s[42:43], s[42:43], exec
	s_cmp_eq_u64 s[4:5], s[44:45]
	s_cbranch_scc0 .LBB849_164
; %bb.167:                              ;   in Loop: Header=BB849_166 Depth=1
                                        ; implicit-def: $vgpr18_vgpr19
                                        ; implicit-def: $vgpr20_vgpr21
	s_mov_b64 s[44:45], s[26:27]
	s_branch .LBB849_165
.LBB849_168:
	s_or_b64 exec, exec, s[6:7]
	v_cmp_gt_i64_e32 vcc, s[26:27], v[22:23]
	s_orn2_b64 s[42:43], vcc, exec
.LBB849_169:
	s_or_b64 exec, exec, s[8:9]
.LBB849_170:
	s_and_b64 s[8:9], s[42:43], exec
.LBB849_171:
	s_or_b64 exec, exec, s[40:41]
	v_or_b32_e32 v18, 2, v1
	v_cmp_gt_u32_e32 vcc, s48, v18
	s_and_saveexec_b64 s[40:41], vcc
	s_cbranch_execz .LBB849_182
; %bb.172:
	s_andn2_b64 vcc, exec, s[10:11]
	s_mov_b64 s[42:43], 0
	s_cbranch_vccnz .LBB849_181
; %bb.173:
	v_mul_lo_u32 v20, v17, s26
	v_mul_lo_u32 v21, v16, s27
	v_mad_u64_u32 v[18:19], s[4:5], v16, s26, 0
	v_add3_u32 v19, v19, v21, v20
	v_mul_lo_u32 v20, v11, s26
	v_mul_lo_u32 v21, v10, s27
	v_mad_u64_u32 v[24:25], s[4:5], v10, s26, 0
	v_add3_u32 v25, v25, v21, v20
	v_lshlrev_b64 v[20:21], 3, v[18:19]
	v_mov_b32_e32 v18, s17
	v_add_co_u32_e32 v22, vcc, s16, v20
	v_addc_co_u32_e64 v23, s[4:5], v18, v21, vcc
	v_lshlrev_b64 v[18:19], 3, v[24:25]
	v_mov_b32_e32 v20, s17
	v_add_co_u32_e64 v24, s[4:5], s16, v18
	v_addc_co_u32_e64 v25, s[6:7], v20, v19, s[4:5]
	global_load_dwordx2 v[26:27], v[22:23], off
	global_load_dwordx2 v[30:31], v[24:25], off
	s_mov_b64 s[42:43], -1
	s_waitcnt vmcnt(0)
	v_cmp_eq_f64_e64 s[6:7], v[26:27], v[30:31]
	s_and_saveexec_b64 s[38:39], s[6:7]
	s_cbranch_execz .LBB849_180
; %bb.174:
	v_mov_b32_e32 v18, s17
	v_addc_co_u32_e64 v19, s[4:5], v19, v18, s[4:5]
	v_add_co_u32_e64 v18, s[4:5], 8, v24
	v_mov_b32_e32 v20, s17
	v_addc_co_u32_e64 v19, s[4:5], 0, v19, s[4:5]
	v_addc_co_u32_e32 v21, vcc, v21, v20, vcc
	v_add_co_u32_e32 v20, vcc, 8, v22
	s_add_u32 s4, s26, -1
	v_addc_co_u32_e32 v21, vcc, 0, v21, vcc
	s_addc_u32 s5, s27, -1
	s_mov_b64 s[6:7], 0
	s_mov_b64 s[44:45], 0
                                        ; implicit-def: $sgpr42_sgpr43
	s_branch .LBB849_177
.LBB849_175:                            ;   in Loop: Header=BB849_177 Depth=1
	global_load_dwordx2 v[22:23], v[20:21], off
	global_load_dwordx2 v[24:25], v[18:19], off
	v_add_co_u32_e32 v18, vcc, 8, v18
	v_addc_co_u32_e32 v19, vcc, 0, v19, vcc
	v_add_co_u32_e32 v20, vcc, 8, v20
	v_addc_co_u32_e32 v21, vcc, 0, v21, vcc
	s_add_u32 s44, s44, 1
	s_addc_u32 s45, s45, 0
	s_andn2_b64 s[42:43], s[42:43], exec
	s_waitcnt vmcnt(0)
	v_cmp_neq_f64_e32 vcc, v[22:23], v[24:25]
	s_and_b64 s[46:47], vcc, exec
	s_or_b64 s[42:43], s[42:43], s[46:47]
.LBB849_176:                            ;   in Loop: Header=BB849_177 Depth=1
	s_and_b64 s[46:47], exec, s[42:43]
	s_or_b64 s[6:7], s[46:47], s[6:7]
	v_pk_mov_b32 v[22:23], s[44:45], s[44:45] op_sel:[0,1]
	s_andn2_b64 exec, exec, s[6:7]
	s_cbranch_execz .LBB849_179
.LBB849_177:                            ; =>This Inner Loop Header: Depth=1
	s_or_b64 s[42:43], s[42:43], exec
	s_cmp_eq_u64 s[4:5], s[44:45]
	s_cbranch_scc0 .LBB849_175
; %bb.178:                              ;   in Loop: Header=BB849_177 Depth=1
                                        ; implicit-def: $vgpr18_vgpr19
                                        ; implicit-def: $vgpr20_vgpr21
	s_mov_b64 s[44:45], s[26:27]
	s_branch .LBB849_176
.LBB849_179:
	s_or_b64 exec, exec, s[6:7]
	v_cmp_gt_i64_e32 vcc, s[26:27], v[22:23]
	s_orn2_b64 s[42:43], vcc, exec
.LBB849_180:
	s_or_b64 exec, exec, s[38:39]
.LBB849_181:
	s_and_b64 s[38:39], s[42:43], exec
.LBB849_182:
	s_or_b64 exec, exec, s[40:41]
	v_or_b32_e32 v18, 1, v1
	v_cmp_gt_u32_e32 vcc, s48, v18
	s_mov_b64 s[4:5], 0
	s_and_saveexec_b64 s[40:41], vcc
	s_cbranch_execz .LBB849_193
; %bb.183:
	s_andn2_b64 vcc, exec, s[10:11]
	s_mov_b64 s[44:45], 0
	s_cbranch_vccnz .LBB849_192
; %bb.184:
	v_mul_lo_u32 v20, v15, s26
	v_mul_lo_u32 v21, v14, s27
	v_mad_u64_u32 v[18:19], s[4:5], v14, s26, 0
	v_add3_u32 v19, v19, v21, v20
	v_mul_lo_u32 v20, v17, s26
	v_mul_lo_u32 v21, v16, s27
	v_mad_u64_u32 v[24:25], s[4:5], v16, s26, 0
	v_add3_u32 v25, v25, v21, v20
	v_lshlrev_b64 v[20:21], 3, v[18:19]
	v_mov_b32_e32 v18, s17
	v_add_co_u32_e32 v22, vcc, s16, v20
	v_addc_co_u32_e64 v23, s[4:5], v18, v21, vcc
	v_lshlrev_b64 v[18:19], 3, v[24:25]
	v_mov_b32_e32 v20, s17
	v_add_co_u32_e64 v24, s[4:5], s16, v18
	v_addc_co_u32_e64 v25, s[6:7], v20, v19, s[4:5]
	global_load_dwordx2 v[26:27], v[22:23], off
	global_load_dwordx2 v[30:31], v[24:25], off
	s_mov_b64 s[44:45], -1
	s_waitcnt vmcnt(0)
	v_cmp_eq_f64_e64 s[6:7], v[26:27], v[30:31]
	s_and_saveexec_b64 s[42:43], s[6:7]
	s_cbranch_execz .LBB849_191
; %bb.185:
	v_mov_b32_e32 v18, s17
	v_addc_co_u32_e64 v19, s[4:5], v19, v18, s[4:5]
	v_add_co_u32_e64 v18, s[4:5], 8, v24
	v_mov_b32_e32 v20, s17
	v_addc_co_u32_e64 v19, s[4:5], 0, v19, s[4:5]
	v_addc_co_u32_e32 v21, vcc, v21, v20, vcc
	v_add_co_u32_e32 v20, vcc, 8, v22
	s_add_u32 s4, s26, -1
	v_addc_co_u32_e32 v21, vcc, 0, v21, vcc
	s_addc_u32 s5, s27, -1
	s_mov_b64 s[6:7], 0
	s_mov_b64 s[46:47], 0
                                        ; implicit-def: $sgpr44_sgpr45
	s_branch .LBB849_188
.LBB849_186:                            ;   in Loop: Header=BB849_188 Depth=1
	global_load_dwordx2 v[22:23], v[20:21], off
	global_load_dwordx2 v[24:25], v[18:19], off
	v_add_co_u32_e32 v18, vcc, 8, v18
	v_addc_co_u32_e32 v19, vcc, 0, v19, vcc
	v_add_co_u32_e32 v20, vcc, 8, v20
	v_addc_co_u32_e32 v21, vcc, 0, v21, vcc
	s_add_u32 s46, s46, 1
	s_addc_u32 s47, s47, 0
	s_andn2_b64 s[44:45], s[44:45], exec
	s_waitcnt vmcnt(0)
	v_cmp_neq_f64_e32 vcc, v[22:23], v[24:25]
	s_and_b64 s[50:51], vcc, exec
	s_or_b64 s[44:45], s[44:45], s[50:51]
.LBB849_187:                            ;   in Loop: Header=BB849_188 Depth=1
	s_and_b64 s[50:51], exec, s[44:45]
	s_or_b64 s[6:7], s[50:51], s[6:7]
	v_pk_mov_b32 v[22:23], s[46:47], s[46:47] op_sel:[0,1]
	s_andn2_b64 exec, exec, s[6:7]
	s_cbranch_execz .LBB849_190
.LBB849_188:                            ; =>This Inner Loop Header: Depth=1
	s_or_b64 s[44:45], s[44:45], exec
	s_cmp_eq_u64 s[4:5], s[46:47]
	s_cbranch_scc0 .LBB849_186
; %bb.189:                              ;   in Loop: Header=BB849_188 Depth=1
                                        ; implicit-def: $vgpr18_vgpr19
                                        ; implicit-def: $vgpr20_vgpr21
	s_mov_b64 s[46:47], s[26:27]
	s_branch .LBB849_187
.LBB849_190:
	s_or_b64 exec, exec, s[6:7]
	v_cmp_gt_i64_e32 vcc, s[26:27], v[22:23]
	s_orn2_b64 s[44:45], vcc, exec
.LBB849_191:
	s_or_b64 exec, exec, s[42:43]
.LBB849_192:
	s_and_b64 s[4:5], s[44:45], exec
.LBB849_193:
	s_or_b64 exec, exec, s[40:41]
	v_cndmask_b32_e64 v19, 0, 1, s[8:9]
	v_cndmask_b32_e64 v20, 0, 1, s[4:5]
	;; [unrolled: 1-line block ×3, first 2 shown]
	v_lshlrev_b16_e32 v20, 8, v20
	v_lshlrev_b16_e32 v19, 8, v19
	v_or_b32_e32 v20, 1, v20
	v_or_b32_sdwa v18, v18, v19 dst_sel:WORD_1 dst_unused:UNUSED_PAD src0_sel:DWORD src1_sel:DWORD
	v_or_b32_sdwa v28, v20, v18 dst_sel:DWORD dst_unused:UNUSED_PAD src0_sel:WORD_0 src1_sel:DWORD
	s_waitcnt lgkmcnt(0)
	s_barrier
	s_waitcnt lgkmcnt(0)
                                        ; implicit-def: $sgpr38_sgpr39
	s_and_saveexec_b64 s[6:7], s[2:3]
	s_cbranch_execz .LBB849_206
; %bb.194:
	v_cmp_gt_u32_e32 vcc, s48, v1
	s_mov_b64 s[2:3], 0
	s_and_saveexec_b64 s[8:9], vcc
	s_cbranch_execz .LBB849_205
; %bb.195:
	s_andn2_b64 vcc, exec, s[10:11]
	s_mov_b64 s[38:39], 0
	s_cbranch_vccnz .LBB849_204
; %bb.196:
	v_add_u32_e32 v18, -8, v29
	ds_read_b64 v[18:19], v18
	v_mul_lo_u32 v20, v15, s26
	v_mad_u64_u32 v[24:25], s[2:3], v14, s26, 0
	s_mov_b64 s[38:39], -1
	s_waitcnt lgkmcnt(0)
	v_mul_lo_u32 v21, v19, s26
	v_mul_lo_u32 v22, v18, s27
	v_mad_u64_u32 v[18:19], s[2:3], v18, s26, 0
	v_add3_u32 v19, v19, v22, v21
	v_mul_lo_u32 v21, v14, s27
	v_add3_u32 v25, v25, v21, v20
	v_lshlrev_b64 v[20:21], 3, v[18:19]
	v_mov_b32_e32 v18, s17
	v_add_co_u32_e32 v22, vcc, s16, v20
	v_addc_co_u32_e64 v23, s[2:3], v18, v21, vcc
	v_lshlrev_b64 v[18:19], 3, v[24:25]
	v_mov_b32_e32 v20, s17
	v_add_co_u32_e64 v24, s[2:3], s16, v18
	v_addc_co_u32_e64 v25, s[4:5], v20, v19, s[2:3]
	global_load_dwordx2 v[26:27], v[22:23], off
	global_load_dwordx2 v[30:31], v[24:25], off
	s_waitcnt vmcnt(0)
	v_cmp_eq_f64_e64 s[4:5], v[26:27], v[30:31]
	s_and_saveexec_b64 s[10:11], s[4:5]
	s_cbranch_execz .LBB849_203
; %bb.197:
	v_mov_b32_e32 v18, s17
	v_addc_co_u32_e64 v19, s[2:3], v19, v18, s[2:3]
	v_add_co_u32_e64 v18, s[2:3], 8, v24
	v_mov_b32_e32 v20, s17
	v_addc_co_u32_e64 v19, s[2:3], 0, v19, s[2:3]
	v_addc_co_u32_e32 v21, vcc, v21, v20, vcc
	v_add_co_u32_e32 v20, vcc, 8, v22
	s_add_u32 s2, s26, -1
	v_addc_co_u32_e32 v21, vcc, 0, v21, vcc
	s_addc_u32 s3, s27, -1
	s_mov_b64 s[4:5], 0
	s_mov_b64 s[38:39], 0
                                        ; implicit-def: $sgpr16_sgpr17
	s_branch .LBB849_200
.LBB849_198:                            ;   in Loop: Header=BB849_200 Depth=1
	global_load_dwordx2 v[22:23], v[20:21], off
	global_load_dwordx2 v[24:25], v[18:19], off
	v_add_co_u32_e32 v18, vcc, 8, v18
	v_addc_co_u32_e32 v19, vcc, 0, v19, vcc
	v_add_co_u32_e32 v20, vcc, 8, v20
	v_addc_co_u32_e32 v21, vcc, 0, v21, vcc
	s_add_u32 s38, s38, 1
	s_addc_u32 s39, s39, 0
	s_andn2_b64 s[16:17], s[16:17], exec
	s_waitcnt vmcnt(0)
	v_cmp_neq_f64_e32 vcc, v[22:23], v[24:25]
	s_and_b64 s[40:41], vcc, exec
	s_or_b64 s[16:17], s[16:17], s[40:41]
.LBB849_199:                            ;   in Loop: Header=BB849_200 Depth=1
	s_and_b64 s[40:41], exec, s[16:17]
	s_or_b64 s[4:5], s[40:41], s[4:5]
	v_pk_mov_b32 v[22:23], s[38:39], s[38:39] op_sel:[0,1]
	s_andn2_b64 exec, exec, s[4:5]
	s_cbranch_execz .LBB849_202
.LBB849_200:                            ; =>This Inner Loop Header: Depth=1
	s_or_b64 s[16:17], s[16:17], exec
	s_cmp_eq_u64 s[2:3], s[38:39]
	s_cbranch_scc0 .LBB849_198
; %bb.201:                              ;   in Loop: Header=BB849_200 Depth=1
                                        ; implicit-def: $vgpr18_vgpr19
                                        ; implicit-def: $vgpr20_vgpr21
	s_mov_b64 s[38:39], s[26:27]
	s_branch .LBB849_199
.LBB849_202:
	s_or_b64 exec, exec, s[4:5]
	v_cmp_gt_i64_e32 vcc, s[26:27], v[22:23]
	s_orn2_b64 s[38:39], vcc, exec
.LBB849_203:
	s_or_b64 exec, exec, s[10:11]
.LBB849_204:
	s_and_b64 s[2:3], s[38:39], exec
.LBB849_205:
	s_or_b64 exec, exec, s[8:9]
	s_and_b64 s[38:39], s[2:3], exec
	s_or_b64 s[14:15], s[14:15], exec
.LBB849_206:
	s_or_b64 exec, exec, s[6:7]
.LBB849_207:
	s_and_saveexec_b64 s[2:3], s[14:15]
	s_cbranch_execz .LBB849_209
; %bb.208:
	s_waitcnt vmcnt(0) lgkmcnt(0)
	v_and_b32_e32 v18, 0xffffff00, v28
	v_cndmask_b32_e64 v19, 0, 1, s[38:39]
	v_or_b32_e32 v18, v19, v18
	v_and_b32_e32 v18, 0xffff, v18
	s_mov_b32 s4, 0xffff0000
	v_and_or_b32 v28, v28, s4, v18
.LBB849_209:
	s_or_b64 exec, exec, s[2:3]
	s_andn2_b64 vcc, exec, s[12:13]
	s_cbranch_vccnz .LBB849_211
; %bb.210:
	v_cmp_gt_u32_e32 vcc, s48, v1
	s_waitcnt vmcnt(0) lgkmcnt(0)
	v_cndmask_b32_e32 v18, 0, v28, vcc
	v_or_b32_e32 v19, 1, v1
	v_and_b32_e32 v18, 0xff, v18
	v_cmp_gt_u32_e32 vcc, s48, v19
	v_cndmask_b32_e32 v18, v18, v28, vcc
	v_or_b32_e32 v19, 2, v1
	v_and_b32_e32 v18, 0xffff, v18
	v_cmp_gt_u32_e32 vcc, s48, v19
	v_cndmask_b32_e32 v18, v18, v28, vcc
	v_or_b32_e32 v19, 3, v1
	v_and_b32_e32 v18, 0xffffff, v18
	v_cmp_gt_u32_e32 vcc, s48, v19
	v_cndmask_b32_e32 v28, v18, v28, vcc
.LBB849_211:
	v_bfe_u32 v30, v28, 16, 8
	v_lshrrev_b32_e32 v29, 24, v28
	s_waitcnt vmcnt(0) lgkmcnt(0)
	v_add_u32_sdwa v18, v28, v28 dst_sel:DWORD dst_unused:UNUSED_PAD src0_sel:BYTE_1 src1_sel:BYTE_0
	v_add3_u32 v33, v18, v30, v29
	v_mbcnt_lo_u32_b32 v18, -1, 0
	v_mbcnt_hi_u32_b32 v31, -1, v18
	v_and_b32_e32 v18, 15, v31
	v_cmp_eq_u32_e64 s[14:15], 0, v18
	v_cmp_lt_u32_e64 s[12:13], 1, v18
	v_cmp_lt_u32_e64 s[10:11], 3, v18
	;; [unrolled: 1-line block ×3, first 2 shown]
	v_and_b32_e32 v18, 16, v31
	v_cmp_eq_u32_e64 s[6:7], 0, v18
	v_or_b32_e32 v18, 63, v0
	v_cmp_lt_u32_e64 s[2:3], 31, v31
	v_lshrrev_b32_e32 v32, 6, v0
	v_cmp_eq_u32_e64 s[4:5], v18, v0
	s_and_b64 vcc, exec, s[36:37]
	s_barrier
	s_cbranch_vccz .LBB849_242
; %bb.212:
	v_mov_b32_dpp v18, v33 row_shr:1 row_mask:0xf bank_mask:0xf
	v_cndmask_b32_e64 v18, v18, 0, s[14:15]
	v_add_u32_e32 v18, v18, v33
	s_nop 1
	v_mov_b32_dpp v19, v18 row_shr:2 row_mask:0xf bank_mask:0xf
	v_cndmask_b32_e64 v19, 0, v19, s[12:13]
	v_add_u32_e32 v18, v18, v19
	s_nop 1
	v_mov_b32_dpp v19, v18 row_shr:4 row_mask:0xf bank_mask:0xf
	v_cndmask_b32_e64 v19, 0, v19, s[10:11]
	v_add_u32_e32 v18, v18, v19
	s_nop 1
	v_mov_b32_dpp v19, v18 row_shr:8 row_mask:0xf bank_mask:0xf
	v_cndmask_b32_e64 v19, 0, v19, s[8:9]
	v_add_u32_e32 v18, v18, v19
	s_nop 1
	v_mov_b32_dpp v19, v18 row_bcast:15 row_mask:0xf bank_mask:0xf
	v_cndmask_b32_e64 v19, v19, 0, s[6:7]
	v_add_u32_e32 v18, v18, v19
	s_nop 1
	v_mov_b32_dpp v19, v18 row_bcast:31 row_mask:0xf bank_mask:0xf
	v_cndmask_b32_e64 v19, 0, v19, s[2:3]
	v_add_u32_e32 v18, v18, v19
	s_and_saveexec_b64 s[16:17], s[4:5]
	s_cbranch_execz .LBB849_214
; %bb.213:
	v_lshlrev_b32_e32 v19, 2, v32
	ds_write_b32 v19, v18
.LBB849_214:
	s_or_b64 exec, exec, s[16:17]
	v_cmp_gt_u32_e32 vcc, 2, v0
	s_waitcnt lgkmcnt(0)
	s_barrier
	s_and_saveexec_b64 s[16:17], vcc
	s_cbranch_execz .LBB849_216
; %bb.215:
	ds_read_b32 v19, v1
	v_bfe_i32 v20, v31, 0, 1
	s_waitcnt lgkmcnt(0)
	v_mov_b32_dpp v21, v19 row_shr:1 row_mask:0xf bank_mask:0xf
	v_and_b32_e32 v20, v20, v21
	v_add_u32_e32 v19, v20, v19
	ds_write_b32 v1, v19
.LBB849_216:
	s_or_b64 exec, exec, s[16:17]
	v_cmp_gt_u32_e32 vcc, 64, v0
	v_cmp_lt_u32_e64 s[16:17], 63, v0
	s_waitcnt lgkmcnt(0)
	s_barrier
	s_waitcnt lgkmcnt(0)
                                        ; implicit-def: $vgpr34
	s_and_saveexec_b64 s[26:27], s[16:17]
	s_cbranch_execz .LBB849_218
; %bb.217:
	v_lshl_add_u32 v19, v32, 2, -4
	ds_read_b32 v34, v19
	s_waitcnt lgkmcnt(0)
	v_add_u32_e32 v18, v34, v18
.LBB849_218:
	s_or_b64 exec, exec, s[26:27]
	v_add_u32_e32 v19, -1, v31
	v_and_b32_e32 v20, 64, v31
	v_cmp_lt_i32_e64 s[16:17], v19, v20
	v_cndmask_b32_e64 v19, v19, v31, s[16:17]
	v_lshlrev_b32_e32 v19, 2, v19
	ds_bpermute_b32 v35, v19, v18
	v_cmp_eq_u32_e64 s[16:17], 0, v31
	s_and_saveexec_b64 s[26:27], vcc
	s_cbranch_execz .LBB849_241
; %bb.219:
	v_mov_b32_e32 v27, 0
	ds_read_b32 v18, v27 offset:4
	s_and_saveexec_b64 s[36:37], s[16:17]
	s_cbranch_execz .LBB849_221
; %bb.220:
	s_add_i32 s38, s33, 64
	s_mov_b32 s39, 0
	s_lshl_b64 s[38:39], s[38:39], 3
	s_add_u32 s38, s18, s38
	v_mov_b32_e32 v19, 1
	s_addc_u32 s39, s19, s39
	s_waitcnt lgkmcnt(0)
	global_store_dwordx2 v27, v[18:19], s[38:39]
.LBB849_221:
	s_or_b64 exec, exec, s[36:37]
	v_xad_u32 v20, v31, -1, s33
	v_add_u32_e32 v26, 64, v20
	v_lshlrev_b64 v[22:23], 3, v[26:27]
	v_mov_b32_e32 v19, s19
	v_add_co_u32_e32 v22, vcc, s18, v22
	v_addc_co_u32_e32 v23, vcc, v19, v23, vcc
	global_load_dwordx2 v[24:25], v[22:23], off glc
	s_waitcnt vmcnt(0)
	v_cmp_eq_u16_sdwa s[38:39], v25, v27 src0_sel:BYTE_0 src1_sel:DWORD
	s_and_saveexec_b64 s[36:37], s[38:39]
	s_cbranch_execz .LBB849_227
; %bb.222:
	s_mov_b32 s40, 1
	s_mov_b64 s[38:39], 0
	v_mov_b32_e32 v19, 0
.LBB849_223:                            ; =>This Loop Header: Depth=1
                                        ;     Child Loop BB849_224 Depth 2
	s_max_u32 s41, s40, 1
.LBB849_224:                            ;   Parent Loop BB849_223 Depth=1
                                        ; =>  This Inner Loop Header: Depth=2
	s_add_i32 s41, s41, -1
	s_cmp_eq_u32 s41, 0
	s_sleep 1
	s_cbranch_scc0 .LBB849_224
; %bb.225:                              ;   in Loop: Header=BB849_223 Depth=1
	global_load_dwordx2 v[24:25], v[22:23], off glc
	s_cmp_lt_u32 s40, 32
	s_cselect_b64 s[42:43], -1, 0
	s_cmp_lg_u64 s[42:43], 0
	s_addc_u32 s40, s40, 0
	s_waitcnt vmcnt(0)
	v_cmp_ne_u16_sdwa s[42:43], v25, v19 src0_sel:BYTE_0 src1_sel:DWORD
	s_or_b64 s[38:39], s[42:43], s[38:39]
	s_andn2_b64 exec, exec, s[38:39]
	s_cbranch_execnz .LBB849_223
; %bb.226:
	s_or_b64 exec, exec, s[38:39]
.LBB849_227:
	s_or_b64 exec, exec, s[36:37]
	v_and_b32_e32 v36, 63, v31
	v_mov_b32_e32 v19, 2
	v_cmp_ne_u32_e32 vcc, 63, v36
	v_cmp_eq_u16_sdwa s[36:37], v25, v19 src0_sel:BYTE_0 src1_sel:DWORD
	v_lshlrev_b64 v[22:23], v31, -1
	v_addc_co_u32_e32 v27, vcc, 0, v31, vcc
	v_and_b32_e32 v21, s37, v23
	v_lshlrev_b32_e32 v37, 2, v27
	v_or_b32_e32 v21, 0x80000000, v21
	ds_bpermute_b32 v27, v37, v24
	v_and_b32_e32 v26, s36, v22
	v_ffbl_b32_e32 v21, v21
	v_add_u32_e32 v21, 32, v21
	v_ffbl_b32_e32 v26, v26
	v_min_u32_e32 v21, v26, v21
	v_cmp_lt_u32_e32 vcc, v36, v21
	s_waitcnt lgkmcnt(0)
	v_cndmask_b32_e32 v26, 0, v27, vcc
	v_cmp_gt_u32_e32 vcc, 62, v36
	v_add_u32_e32 v24, v26, v24
	v_cndmask_b32_e64 v26, 0, 1, vcc
	v_lshlrev_b32_e32 v26, 1, v26
	v_add_lshl_u32 v38, v26, v31, 2
	ds_bpermute_b32 v26, v38, v24
	v_add_u32_e32 v39, 2, v36
	v_cmp_le_u32_e32 vcc, v39, v21
	v_add_u32_e32 v41, 4, v36
	v_add_u32_e32 v43, 8, v36
	s_waitcnt lgkmcnt(0)
	v_cndmask_b32_e32 v26, 0, v26, vcc
	v_cmp_gt_u32_e32 vcc, 60, v36
	v_add_u32_e32 v24, v24, v26
	v_cndmask_b32_e64 v26, 0, 1, vcc
	v_lshlrev_b32_e32 v26, 2, v26
	v_add_lshl_u32 v40, v26, v31, 2
	ds_bpermute_b32 v26, v40, v24
	v_cmp_le_u32_e32 vcc, v41, v21
	v_add_u32_e32 v46, 16, v36
	v_add_u32_e32 v48, 32, v36
	s_waitcnt lgkmcnt(0)
	v_cndmask_b32_e32 v26, 0, v26, vcc
	v_cmp_gt_u32_e32 vcc, 56, v36
	v_add_u32_e32 v24, v24, v26
	v_cndmask_b32_e64 v26, 0, 1, vcc
	v_lshlrev_b32_e32 v26, 3, v26
	v_add_lshl_u32 v42, v26, v31, 2
	ds_bpermute_b32 v26, v42, v24
	v_cmp_le_u32_e32 vcc, v43, v21
	s_waitcnt lgkmcnt(0)
	v_cndmask_b32_e32 v26, 0, v26, vcc
	v_cmp_gt_u32_e32 vcc, 48, v36
	v_add_u32_e32 v24, v24, v26
	v_cndmask_b32_e64 v26, 0, 1, vcc
	v_lshlrev_b32_e32 v26, 4, v26
	v_add_lshl_u32 v45, v26, v31, 2
	ds_bpermute_b32 v26, v45, v24
	v_cmp_le_u32_e32 vcc, v46, v21
	;; [unrolled: 9-line block ×3, first 2 shown]
	s_waitcnt lgkmcnt(0)
	v_cndmask_b32_e32 v21, 0, v26, vcc
	v_add_u32_e32 v24, v24, v21
	v_mov_b32_e32 v21, 0
	s_branch .LBB849_229
.LBB849_228:                            ;   in Loop: Header=BB849_229 Depth=1
	s_or_b64 exec, exec, s[36:37]
	v_cmp_eq_u16_sdwa s[36:37], v25, v19 src0_sel:BYTE_0 src1_sel:DWORD
	v_and_b32_e32 v26, s37, v23
	v_or_b32_e32 v26, 0x80000000, v26
	ds_bpermute_b32 v49, v37, v24
	v_and_b32_e32 v27, s36, v22
	v_ffbl_b32_e32 v26, v26
	v_add_u32_e32 v26, 32, v26
	v_ffbl_b32_e32 v27, v27
	v_min_u32_e32 v26, v27, v26
	v_cmp_lt_u32_e32 vcc, v36, v26
	s_waitcnt lgkmcnt(0)
	v_cndmask_b32_e32 v27, 0, v49, vcc
	v_add_u32_e32 v24, v27, v24
	ds_bpermute_b32 v27, v38, v24
	v_cmp_le_u32_e32 vcc, v39, v26
	v_subrev_u32_e32 v20, 64, v20
	s_waitcnt lgkmcnt(0)
	v_cndmask_b32_e32 v27, 0, v27, vcc
	v_add_u32_e32 v24, v24, v27
	ds_bpermute_b32 v27, v40, v24
	v_cmp_le_u32_e32 vcc, v41, v26
	s_waitcnt lgkmcnt(0)
	v_cndmask_b32_e32 v27, 0, v27, vcc
	v_add_u32_e32 v24, v24, v27
	ds_bpermute_b32 v27, v42, v24
	v_cmp_le_u32_e32 vcc, v43, v26
	;; [unrolled: 5-line block ×4, first 2 shown]
	s_waitcnt lgkmcnt(0)
	v_cndmask_b32_e32 v26, 0, v27, vcc
	v_add3_u32 v24, v26, v44, v24
.LBB849_229:                            ; =>This Loop Header: Depth=1
                                        ;     Child Loop BB849_232 Depth 2
                                        ;       Child Loop BB849_233 Depth 3
	v_cmp_ne_u16_sdwa s[36:37], v25, v19 src0_sel:BYTE_0 src1_sel:DWORD
	v_cndmask_b32_e64 v25, 0, 1, s[36:37]
	;;#ASMSTART
	;;#ASMEND
	v_cmp_ne_u32_e32 vcc, 0, v25
	s_cmp_lg_u64 vcc, exec
	v_mov_b32_e32 v44, v24
	s_cbranch_scc1 .LBB849_236
; %bb.230:                              ;   in Loop: Header=BB849_229 Depth=1
	v_lshlrev_b64 v[24:25], 3, v[20:21]
	v_mov_b32_e32 v27, s19
	v_add_co_u32_e32 v26, vcc, s18, v24
	v_addc_co_u32_e32 v27, vcc, v27, v25, vcc
	global_load_dwordx2 v[24:25], v[26:27], off glc
	s_waitcnt vmcnt(0)
	v_cmp_eq_u16_sdwa s[38:39], v25, v21 src0_sel:BYTE_0 src1_sel:DWORD
	s_and_saveexec_b64 s[36:37], s[38:39]
	s_cbranch_execz .LBB849_228
; %bb.231:                              ;   in Loop: Header=BB849_229 Depth=1
	s_mov_b32 s40, 1
	s_mov_b64 s[38:39], 0
.LBB849_232:                            ;   Parent Loop BB849_229 Depth=1
                                        ; =>  This Loop Header: Depth=2
                                        ;       Child Loop BB849_233 Depth 3
	s_max_u32 s41, s40, 1
.LBB849_233:                            ;   Parent Loop BB849_229 Depth=1
                                        ;     Parent Loop BB849_232 Depth=2
                                        ; =>    This Inner Loop Header: Depth=3
	s_add_i32 s41, s41, -1
	s_cmp_eq_u32 s41, 0
	s_sleep 1
	s_cbranch_scc0 .LBB849_233
; %bb.234:                              ;   in Loop: Header=BB849_232 Depth=2
	global_load_dwordx2 v[24:25], v[26:27], off glc
	s_cmp_lt_u32 s40, 32
	s_cselect_b64 s[42:43], -1, 0
	s_cmp_lg_u64 s[42:43], 0
	s_addc_u32 s40, s40, 0
	s_waitcnt vmcnt(0)
	v_cmp_ne_u16_sdwa s[42:43], v25, v21 src0_sel:BYTE_0 src1_sel:DWORD
	s_or_b64 s[38:39], s[42:43], s[38:39]
	s_andn2_b64 exec, exec, s[38:39]
	s_cbranch_execnz .LBB849_232
; %bb.235:                              ;   in Loop: Header=BB849_229 Depth=1
	s_or_b64 exec, exec, s[38:39]
	s_branch .LBB849_228
.LBB849_236:                            ;   in Loop: Header=BB849_229 Depth=1
                                        ; implicit-def: $vgpr24
                                        ; implicit-def: $vgpr25
	s_cbranch_execz .LBB849_229
; %bb.237:
	s_and_saveexec_b64 s[36:37], s[16:17]
	s_cbranch_execz .LBB849_239
; %bb.238:
	s_add_i32 s38, s33, 64
	s_mov_b32 s39, 0
	s_lshl_b64 s[38:39], s[38:39], 3
	s_add_u32 s38, s18, s38
	v_add_u32_e32 v20, v44, v18
	v_mov_b32_e32 v21, 2
	s_addc_u32 s39, s19, s39
	v_mov_b32_e32 v19, 0
	s_movk_i32 s33, 0x1000
	global_store_dwordx2 v19, v[20:21], s[38:39]
	v_add_u32_e64 v19, s33, 0
	ds_write2_b32 v19, v18, v44 offset0:32 offset1:34
.LBB849_239:
	s_or_b64 exec, exec, s[36:37]
	s_and_b64 exec, exec, s[0:1]
	s_cbranch_execz .LBB849_241
; %bb.240:
	v_mov_b32_e32 v18, 0
	ds_write_b32 v18, v44 offset:4
.LBB849_241:
	s_or_b64 exec, exec, s[26:27]
	v_mov_b32_e32 v19, 0
	s_waitcnt lgkmcnt(0)
	s_barrier
	ds_read_b32 v19, v19 offset:4
	v_cndmask_b32_e64 v18, v35, v34, s[16:17]
	s_movk_i32 s16, 0x1000
	v_add_u32_e64 v20, s16, 0
	s_waitcnt lgkmcnt(0)
	s_barrier
	ds_read2_b32 v[26:27], v20 offset0:32 offset1:34
	v_cndmask_b32_e64 v18, v18, 0, s[0:1]
	v_add_u32_e32 v24, v19, v18
	v_add_u32_sdwa v22, v24, v28 dst_sel:DWORD dst_unused:UNUSED_PAD src0_sel:DWORD src1_sel:BYTE_0
	v_add_u32_sdwa v20, v22, v28 dst_sel:DWORD dst_unused:UNUSED_PAD src0_sel:DWORD src1_sel:BYTE_1
	v_add_u32_e32 v18, v20, v30
	s_waitcnt lgkmcnt(0)
	v_readfirstlane_b32 s33, v26
	v_readfirstlane_b32 s16, v27
	s_branch .LBB849_252
.LBB849_242:
                                        ; implicit-def: $vgpr18
                                        ; implicit-def: $vgpr20
                                        ; implicit-def: $vgpr22
                                        ; implicit-def: $vgpr24
                                        ; implicit-def: $sgpr16
                                        ; implicit-def: $sgpr33
	s_cbranch_execz .LBB849_252
; %bb.243:
	s_nop 0
	v_mov_b32_dpp v18, v33 row_shr:1 row_mask:0xf bank_mask:0xf
	v_cndmask_b32_e64 v18, v18, 0, s[14:15]
	v_add_u32_e32 v18, v18, v33
	s_nop 1
	v_mov_b32_dpp v19, v18 row_shr:2 row_mask:0xf bank_mask:0xf
	v_cndmask_b32_e64 v19, 0, v19, s[12:13]
	v_add_u32_e32 v18, v18, v19
	;; [unrolled: 4-line block ×4, first 2 shown]
	s_nop 1
	v_mov_b32_dpp v19, v18 row_bcast:15 row_mask:0xf bank_mask:0xf
	v_cndmask_b32_e64 v19, v19, 0, s[6:7]
	v_add_u32_e32 v18, v18, v19
	s_nop 1
	v_mov_b32_dpp v19, v18 row_bcast:31 row_mask:0xf bank_mask:0xf
	v_cndmask_b32_e64 v19, 0, v19, s[2:3]
	v_add_u32_e32 v18, v18, v19
	s_and_saveexec_b64 s[2:3], s[4:5]
	s_cbranch_execz .LBB849_245
; %bb.244:
	v_lshlrev_b32_e32 v19, 2, v32
	ds_write_b32 v19, v18
.LBB849_245:
	s_or_b64 exec, exec, s[2:3]
	v_cmp_gt_u32_e32 vcc, 2, v0
	s_waitcnt lgkmcnt(0)
	s_barrier
	s_and_saveexec_b64 s[2:3], vcc
	s_cbranch_execz .LBB849_247
; %bb.246:
	ds_read_b32 v19, v1
	v_bfe_i32 v20, v31, 0, 1
	s_waitcnt lgkmcnt(0)
	v_mov_b32_dpp v21, v19 row_shr:1 row_mask:0xf bank_mask:0xf
	v_and_b32_e32 v20, v20, v21
	v_add_u32_e32 v19, v20, v19
	ds_write_b32 v1, v19
.LBB849_247:
	s_or_b64 exec, exec, s[2:3]
	v_cmp_lt_u32_e32 vcc, 63, v0
	v_mov_b32_e32 v19, 0
	v_mov_b32_e32 v1, 0
	s_waitcnt lgkmcnt(0)
	s_barrier
	s_and_saveexec_b64 s[2:3], vcc
	s_cbranch_execz .LBB849_249
; %bb.248:
	v_lshl_add_u32 v1, v32, 2, -4
	ds_read_b32 v1, v1
.LBB849_249:
	s_or_b64 exec, exec, s[2:3]
	v_add_u32_e32 v20, -1, v31
	v_and_b32_e32 v21, 64, v31
	v_cmp_lt_i32_e32 vcc, v20, v21
	v_cndmask_b32_e32 v20, v20, v31, vcc
	s_waitcnt lgkmcnt(0)
	v_add_u32_e32 v18, v1, v18
	v_lshlrev_b32_e32 v20, 2, v20
	ds_read_b32 v19, v19 offset:4
	ds_bpermute_b32 v18, v20, v18
	s_waitcnt lgkmcnt(1)
	v_readfirstlane_b32 s33, v19
	s_and_saveexec_b64 s[2:3], s[0:1]
	s_cbranch_execz .LBB849_251
; %bb.250:
	v_mov_b32_e32 v19, 0
	v_mov_b32_e32 v20, s33
	;; [unrolled: 1-line block ×3, first 2 shown]
	global_store_dwordx2 v19, v[20:21], s[18:19] offset:512
.LBB849_251:
	s_or_b64 exec, exec, s[2:3]
	v_cmp_eq_u32_e32 vcc, 0, v31
	s_waitcnt lgkmcnt(0)
	v_cndmask_b32_e32 v1, v18, v1, vcc
	v_cndmask_b32_e64 v24, v1, 0, s[0:1]
	v_add_u32_sdwa v22, v24, v28 dst_sel:DWORD dst_unused:UNUSED_PAD src0_sel:DWORD src1_sel:BYTE_0
	v_add_u32_sdwa v20, v22, v28 dst_sel:DWORD dst_unused:UNUSED_PAD src0_sel:DWORD src1_sel:BYTE_1
	s_mov_b32 s16, 0
	v_add_u32_e32 v18, v20, v30
	s_barrier
.LBB849_252:
	s_cmpk_lt_u32 s33, 0x81
	s_cselect_b64 s[4:5], -1, 0
	v_lshrrev_b32_e32 v1, 8, v28
	s_mov_b64 s[2:3], -1
	s_and_b64 vcc, exec, s[4:5]
	s_cbranch_vccz .LBB849_266
; %bb.253:
	s_add_i32 s6, s16, s33
	v_cmp_gt_u32_e32 vcc, s6, v24
	s_or_b64 s[8:9], s[34:35], vcc
	s_and_saveexec_b64 s[2:3], s[8:9]
	s_cbranch_execz .LBB849_256
; %bb.254:
	v_and_b32_e32 v19, 1, v28
	v_cmp_eq_u32_e32 vcc, 1, v19
	s_and_b64 exec, exec, vcc
	s_cbranch_execz .LBB849_256
; %bb.255:
	s_lshl_b64 s[8:9], s[22:23], 3
	s_add_u32 s7, s28, s8
	v_mov_b32_e32 v25, 0
	s_addc_u32 s8, s29, s9
	v_lshlrev_b64 v[26:27], 3, v[24:25]
	v_mov_b32_e32 v19, s8
	v_add_co_u32_e32 v26, vcc, s7, v26
	v_addc_co_u32_e32 v27, vcc, v19, v27, vcc
	global_store_dwordx2 v[26:27], v[14:15], off
.LBB849_256:
	s_or_b64 exec, exec, s[2:3]
	v_cmp_gt_u32_e32 vcc, s6, v22
	s_or_b64 s[8:9], s[34:35], vcc
	s_and_saveexec_b64 s[2:3], s[8:9]
	s_cbranch_execz .LBB849_259
; %bb.257:
	v_and_b32_e32 v19, 1, v1
	v_cmp_eq_u32_e32 vcc, 1, v19
	s_and_b64 exec, exec, vcc
	s_cbranch_execz .LBB849_259
; %bb.258:
	s_lshl_b64 s[8:9], s[22:23], 3
	s_add_u32 s7, s28, s8
	v_mov_b32_e32 v23, 0
	s_addc_u32 s8, s29, s9
	v_lshlrev_b64 v[26:27], 3, v[22:23]
	v_mov_b32_e32 v19, s8
	v_add_co_u32_e32 v26, vcc, s7, v26
	v_addc_co_u32_e32 v27, vcc, v19, v27, vcc
	global_store_dwordx2 v[26:27], v[16:17], off
.LBB849_259:
	s_or_b64 exec, exec, s[2:3]
	v_cmp_gt_u32_e32 vcc, s6, v20
	s_or_b64 s[8:9], s[34:35], vcc
	s_and_saveexec_b64 s[2:3], s[8:9]
	s_cbranch_execz .LBB849_262
; %bb.260:
	v_mov_b32_e32 v19, 1
	v_and_b32_sdwa v19, v19, v28 dst_sel:DWORD dst_unused:UNUSED_PAD src0_sel:DWORD src1_sel:WORD_1
	v_cmp_eq_u32_e32 vcc, 1, v19
	s_and_b64 exec, exec, vcc
	s_cbranch_execz .LBB849_262
; %bb.261:
	s_lshl_b64 s[8:9], s[22:23], 3
	s_add_u32 s7, s28, s8
	v_mov_b32_e32 v21, 0
	s_addc_u32 s8, s29, s9
	v_lshlrev_b64 v[26:27], 3, v[20:21]
	v_mov_b32_e32 v19, s8
	v_add_co_u32_e32 v26, vcc, s7, v26
	v_addc_co_u32_e32 v27, vcc, v19, v27, vcc
	global_store_dwordx2 v[26:27], v[10:11], off
.LBB849_262:
	s_or_b64 exec, exec, s[2:3]
	v_cmp_gt_u32_e32 vcc, s6, v18
	s_or_b64 s[6:7], s[34:35], vcc
	s_and_saveexec_b64 s[2:3], s[6:7]
	s_cbranch_execz .LBB849_265
; %bb.263:
	v_and_b32_e32 v19, 1, v29
	v_cmp_eq_u32_e32 vcc, 1, v19
	s_and_b64 exec, exec, vcc
	s_cbranch_execz .LBB849_265
; %bb.264:
	s_lshl_b64 s[6:7], s[22:23], 3
	s_add_u32 s6, s28, s6
	v_mov_b32_e32 v19, 0
	s_addc_u32 s7, s29, s7
	v_lshlrev_b64 v[26:27], 3, v[18:19]
	v_mov_b32_e32 v19, s7
	v_add_co_u32_e32 v26, vcc, s6, v26
	v_addc_co_u32_e32 v27, vcc, v19, v27, vcc
	global_store_dwordx2 v[26:27], v[12:13], off
.LBB849_265:
	s_or_b64 exec, exec, s[2:3]
	s_mov_b64 s[2:3], 0
.LBB849_266:
	v_and_b32_e32 v26, 1, v28
	s_and_b64 vcc, exec, s[2:3]
	v_cmp_eq_u32_e64 s[2:3], 1, v26
	s_cbranch_vccz .LBB849_279
; %bb.267:
	s_and_saveexec_b64 s[6:7], s[2:3]
	s_cbranch_execz .LBB849_269
; %bb.268:
	v_subrev_u32_e32 v19, s16, v24
	v_lshlrev_b32_e32 v19, 3, v19
	ds_write_b64 v19, v[14:15]
.LBB849_269:
	s_or_b64 exec, exec, s[6:7]
	v_and_b32_e32 v14, 1, v1
	v_cmp_eq_u32_e32 vcc, 1, v14
	s_and_saveexec_b64 s[2:3], vcc
	s_cbranch_execz .LBB849_271
; %bb.270:
	v_subrev_u32_e32 v14, s16, v22
	v_lshlrev_b32_e32 v14, 3, v14
	ds_write_b64 v14, v[16:17]
.LBB849_271:
	s_or_b64 exec, exec, s[2:3]
	v_mov_b32_e32 v14, 1
	v_and_b32_sdwa v14, v14, v28 dst_sel:DWORD dst_unused:UNUSED_PAD src0_sel:DWORD src1_sel:WORD_1
	v_cmp_eq_u32_e32 vcc, 1, v14
	s_and_saveexec_b64 s[2:3], vcc
	s_cbranch_execz .LBB849_273
; %bb.272:
	v_subrev_u32_e32 v14, s16, v20
	v_lshlrev_b32_e32 v14, 3, v14
	ds_write_b64 v14, v[10:11]
.LBB849_273:
	s_or_b64 exec, exec, s[2:3]
	v_and_b32_e32 v10, 1, v29
	v_cmp_eq_u32_e32 vcc, 1, v10
	s_and_saveexec_b64 s[2:3], vcc
	s_cbranch_execz .LBB849_275
; %bb.274:
	v_subrev_u32_e32 v10, s16, v18
	v_lshlrev_b32_e32 v10, 3, v10
	ds_write_b64 v10, v[12:13]
.LBB849_275:
	s_or_b64 exec, exec, s[2:3]
	v_cmp_gt_u32_e32 vcc, s33, v0
	s_waitcnt lgkmcnt(0)
	s_barrier
	s_and_saveexec_b64 s[2:3], vcc
	s_cbranch_execz .LBB849_278
; %bb.276:
	s_mov_b32 s17, 0
	s_lshl_b64 s[6:7], s[16:17], 3
	s_add_u32 s8, s28, s6
	s_addc_u32 s9, s29, s7
	s_lshl_b64 s[6:7], s[22:23], 3
	s_add_u32 s8, s8, s6
	s_addc_u32 s9, s9, s7
	v_lshlrev_b32_e32 v12, 3, v0
	s_mov_b64 s[6:7], 0
	v_mov_b32_e32 v11, 0
	v_mov_b32_e32 v13, s9
	;; [unrolled: 1-line block ×3, first 2 shown]
.LBB849_277:                            ; =>This Inner Loop Header: Depth=1
	ds_read_b64 v[14:15], v12
	v_lshlrev_b64 v[16:17], 3, v[10:11]
	v_add_co_u32_e32 v16, vcc, s8, v16
	v_add_u32_e32 v10, 0x80, v10
	v_addc_co_u32_e32 v17, vcc, v13, v17, vcc
	v_cmp_le_u32_e32 vcc, s33, v10
	v_add_u32_e32 v12, 0x400, v12
	s_or_b64 s[6:7], vcc, s[6:7]
	s_waitcnt lgkmcnt(0)
	global_store_dwordx2 v[16:17], v[14:15], off
	s_andn2_b64 exec, exec, s[6:7]
	s_cbranch_execnz .LBB849_277
.LBB849_278:
	s_or_b64 exec, exec, s[2:3]
.LBB849_279:
	s_mov_b64 s[2:3], -1
	s_and_b64 vcc, exec, s[4:5]
	s_barrier
	s_cbranch_vccnz .LBB849_283
; %bb.280:
	s_and_b64 vcc, exec, s[2:3]
	s_cbranch_vccnz .LBB849_296
.LBB849_281:
	s_and_b64 s[0:1], s[0:1], s[24:25]
	s_and_saveexec_b64 s[2:3], s[0:1]
	s_cbranch_execnz .LBB849_308
.LBB849_282:
	s_endpgm
.LBB849_283:
	s_add_i32 s4, s16, s33
	v_cmp_gt_u32_e32 vcc, s4, v24
	s_or_b64 s[6:7], s[34:35], vcc
	s_and_saveexec_b64 s[2:3], s[6:7]
	s_cbranch_execz .LBB849_286
; %bb.284:
	v_cmp_eq_u32_e32 vcc, 1, v26
	s_and_b64 exec, exec, vcc
	s_cbranch_execz .LBB849_286
; %bb.285:
	s_lshl_b64 s[6:7], s[22:23], 3
	s_add_u32 s5, s30, s6
	v_mov_b32_e32 v25, 0
	s_addc_u32 s6, s31, s7
	v_lshlrev_b64 v[10:11], 3, v[24:25]
	v_mov_b32_e32 v12, s6
	v_add_co_u32_e32 v10, vcc, s5, v10
	v_addc_co_u32_e32 v11, vcc, v12, v11, vcc
	global_store_dwordx2 v[10:11], v[6:7], off
.LBB849_286:
	s_or_b64 exec, exec, s[2:3]
	v_cmp_gt_u32_e32 vcc, s4, v22
	s_or_b64 s[6:7], s[34:35], vcc
	s_and_saveexec_b64 s[2:3], s[6:7]
	s_cbranch_execz .LBB849_289
; %bb.287:
	v_and_b32_e32 v10, 1, v1
	v_cmp_eq_u32_e32 vcc, 1, v10
	s_and_b64 exec, exec, vcc
	s_cbranch_execz .LBB849_289
; %bb.288:
	s_lshl_b64 s[6:7], s[22:23], 3
	s_add_u32 s5, s30, s6
	v_mov_b32_e32 v23, 0
	s_addc_u32 s6, s31, s7
	v_lshlrev_b64 v[10:11], 3, v[22:23]
	v_mov_b32_e32 v12, s6
	v_add_co_u32_e32 v10, vcc, s5, v10
	v_addc_co_u32_e32 v11, vcc, v12, v11, vcc
	global_store_dwordx2 v[10:11], v[8:9], off
.LBB849_289:
	s_or_b64 exec, exec, s[2:3]
	v_cmp_gt_u32_e32 vcc, s4, v20
	s_or_b64 s[6:7], s[34:35], vcc
	s_and_saveexec_b64 s[2:3], s[6:7]
	s_cbranch_execz .LBB849_292
; %bb.290:
	v_mov_b32_e32 v10, 1
	v_and_b32_sdwa v10, v10, v28 dst_sel:DWORD dst_unused:UNUSED_PAD src0_sel:DWORD src1_sel:WORD_1
	v_cmp_eq_u32_e32 vcc, 1, v10
	s_and_b64 exec, exec, vcc
	s_cbranch_execz .LBB849_292
; %bb.291:
	s_lshl_b64 s[6:7], s[22:23], 3
	s_add_u32 s5, s30, s6
	v_mov_b32_e32 v21, 0
	s_addc_u32 s6, s31, s7
	v_lshlrev_b64 v[10:11], 3, v[20:21]
	v_mov_b32_e32 v12, s6
	v_add_co_u32_e32 v10, vcc, s5, v10
	v_addc_co_u32_e32 v11, vcc, v12, v11, vcc
	global_store_dwordx2 v[10:11], v[2:3], off
.LBB849_292:
	s_or_b64 exec, exec, s[2:3]
	v_cmp_gt_u32_e32 vcc, s4, v18
	s_or_b64 s[4:5], s[34:35], vcc
	s_and_saveexec_b64 s[2:3], s[4:5]
	s_cbranch_execz .LBB849_295
; %bb.293:
	v_and_b32_e32 v10, 1, v29
	v_cmp_eq_u32_e32 vcc, 1, v10
	s_and_b64 exec, exec, vcc
	s_cbranch_execz .LBB849_295
; %bb.294:
	s_lshl_b64 s[4:5], s[22:23], 3
	s_add_u32 s4, s30, s4
	v_mov_b32_e32 v19, 0
	s_addc_u32 s5, s31, s5
	v_lshlrev_b64 v[10:11], 3, v[18:19]
	v_mov_b32_e32 v12, s5
	v_add_co_u32_e32 v10, vcc, s4, v10
	v_addc_co_u32_e32 v11, vcc, v12, v11, vcc
	global_store_dwordx2 v[10:11], v[4:5], off
.LBB849_295:
	s_or_b64 exec, exec, s[2:3]
	s_branch .LBB849_281
.LBB849_296:
	v_cmp_eq_u32_e32 vcc, 1, v26
	s_and_saveexec_b64 s[2:3], vcc
	s_cbranch_execz .LBB849_298
; %bb.297:
	v_subrev_u32_e32 v10, s16, v24
	v_lshlrev_b32_e32 v10, 3, v10
	ds_write_b64 v10, v[6:7]
.LBB849_298:
	s_or_b64 exec, exec, s[2:3]
	v_and_b32_e32 v1, 1, v1
	v_cmp_eq_u32_e32 vcc, 1, v1
	s_and_saveexec_b64 s[2:3], vcc
	s_cbranch_execz .LBB849_300
; %bb.299:
	v_subrev_u32_e32 v1, s16, v22
	v_lshlrev_b32_e32 v1, 3, v1
	ds_write_b64 v1, v[8:9]
.LBB849_300:
	s_or_b64 exec, exec, s[2:3]
	v_mov_b32_e32 v1, 1
	v_and_b32_sdwa v1, v1, v28 dst_sel:DWORD dst_unused:UNUSED_PAD src0_sel:DWORD src1_sel:WORD_1
	v_cmp_eq_u32_e32 vcc, 1, v1
	s_and_saveexec_b64 s[2:3], vcc
	s_cbranch_execz .LBB849_302
; %bb.301:
	v_subrev_u32_e32 v1, s16, v20
	v_lshlrev_b32_e32 v1, 3, v1
	ds_write_b64 v1, v[2:3]
.LBB849_302:
	s_or_b64 exec, exec, s[2:3]
	v_and_b32_e32 v1, 1, v29
	v_cmp_eq_u32_e32 vcc, 1, v1
	s_and_saveexec_b64 s[2:3], vcc
	s_cbranch_execz .LBB849_304
; %bb.303:
	v_subrev_u32_e32 v1, s16, v18
	v_lshlrev_b32_e32 v1, 3, v1
	ds_write_b64 v1, v[4:5]
.LBB849_304:
	s_or_b64 exec, exec, s[2:3]
	v_cmp_gt_u32_e32 vcc, s33, v0
	s_waitcnt lgkmcnt(0)
	s_barrier
	s_and_saveexec_b64 s[2:3], vcc
	s_cbranch_execz .LBB849_307
; %bb.305:
	s_mov_b32 s17, 0
	s_lshl_b64 s[4:5], s[16:17], 3
	s_add_u32 s6, s30, s4
	s_addc_u32 s7, s31, s5
	s_lshl_b64 s[4:5], s[22:23], 3
	s_add_u32 s6, s6, s4
	s_addc_u32 s7, s7, s5
	v_lshlrev_b32_e32 v2, 3, v0
	s_mov_b64 s[4:5], 0
	v_mov_b32_e32 v1, 0
	v_mov_b32_e32 v3, s7
.LBB849_306:                            ; =>This Inner Loop Header: Depth=1
	ds_read_b64 v[4:5], v2
	v_lshlrev_b64 v[6:7], 3, v[0:1]
	v_add_co_u32_e32 v6, vcc, s6, v6
	v_add_u32_e32 v0, 0x80, v0
	v_addc_co_u32_e32 v7, vcc, v3, v7, vcc
	v_cmp_le_u32_e32 vcc, s33, v0
	v_add_u32_e32 v2, 0x400, v2
	s_or_b64 s[4:5], vcc, s[4:5]
	s_waitcnt lgkmcnt(0)
	global_store_dwordx2 v[6:7], v[4:5], off
	s_andn2_b64 exec, exec, s[4:5]
	s_cbranch_execnz .LBB849_306
.LBB849_307:
	s_or_b64 exec, exec, s[2:3]
	s_and_b64 s[0:1], s[0:1], s[24:25]
	s_and_saveexec_b64 s[2:3], s[0:1]
	s_cbranch_execz .LBB849_282
.LBB849_308:
	s_add_u32 s0, s22, s33
	s_addc_u32 s1, s23, 0
	s_add_u32 s0, s0, s16
	s_addc_u32 s1, s1, 0
	v_mov_b32_e32 v2, 0
	v_pk_mov_b32 v[0:1], s[0:1], s[0:1] op_sel:[0,1]
	global_store_dwordx2 v2, v[0:1], s[20:21]
	s_endpgm
	.section	.rodata,"a",@progbits
	.p2align	6, 0x0
	.amdhsa_kernel _ZN7rocprim17ROCPRIM_400000_NS6detail17trampoline_kernelINS0_14default_configENS1_25partition_config_selectorILNS1_17partition_subalgoE9EllbEEZZNS1_14partition_implILS5_9ELb0ES3_jPlS8_PNS0_10empty_typeENS0_5tupleIJS8_S9_EEENSB_IJS8_SA_EEENS0_18inequality_wrapperIZN2at6native12_GLOBAL__N_124unique_dim_cuda_templateIdEESt5tupleIJNSF_6TensorESK_SK_EERKSK_lbbbEUlllE0_EEPmJS9_EEE10hipError_tPvRmT3_T4_T5_T6_T7_T9_mT8_P12ihipStream_tbDpT10_ENKUlT_T0_E_clISt17integral_constantIbLb1EES1A_EEDaS15_S16_EUlS15_E_NS1_11comp_targetILNS1_3genE4ELNS1_11target_archE910ELNS1_3gpuE8ELNS1_3repE0EEENS1_30default_config_static_selectorELNS0_4arch9wavefront6targetE1EEEvT1_
		.amdhsa_group_segment_fixed_size 4236
		.amdhsa_private_segment_fixed_size 0
		.amdhsa_kernarg_size 136
		.amdhsa_user_sgpr_count 6
		.amdhsa_user_sgpr_private_segment_buffer 1
		.amdhsa_user_sgpr_dispatch_ptr 0
		.amdhsa_user_sgpr_queue_ptr 0
		.amdhsa_user_sgpr_kernarg_segment_ptr 1
		.amdhsa_user_sgpr_dispatch_id 0
		.amdhsa_user_sgpr_flat_scratch_init 0
		.amdhsa_user_sgpr_kernarg_preload_length 0
		.amdhsa_user_sgpr_kernarg_preload_offset 0
		.amdhsa_user_sgpr_private_segment_size 0
		.amdhsa_uses_dynamic_stack 0
		.amdhsa_system_sgpr_private_segment_wavefront_offset 0
		.amdhsa_system_sgpr_workgroup_id_x 1
		.amdhsa_system_sgpr_workgroup_id_y 0
		.amdhsa_system_sgpr_workgroup_id_z 0
		.amdhsa_system_sgpr_workgroup_info 0
		.amdhsa_system_vgpr_workitem_id 0
		.amdhsa_next_free_vgpr 50
		.amdhsa_next_free_sgpr 52
		.amdhsa_accum_offset 52
		.amdhsa_reserve_vcc 1
		.amdhsa_reserve_flat_scratch 0
		.amdhsa_float_round_mode_32 0
		.amdhsa_float_round_mode_16_64 0
		.amdhsa_float_denorm_mode_32 3
		.amdhsa_float_denorm_mode_16_64 3
		.amdhsa_dx10_clamp 1
		.amdhsa_ieee_mode 1
		.amdhsa_fp16_overflow 0
		.amdhsa_tg_split 0
		.amdhsa_exception_fp_ieee_invalid_op 0
		.amdhsa_exception_fp_denorm_src 0
		.amdhsa_exception_fp_ieee_div_zero 0
		.amdhsa_exception_fp_ieee_overflow 0
		.amdhsa_exception_fp_ieee_underflow 0
		.amdhsa_exception_fp_ieee_inexact 0
		.amdhsa_exception_int_div_zero 0
	.end_amdhsa_kernel
	.section	.text._ZN7rocprim17ROCPRIM_400000_NS6detail17trampoline_kernelINS0_14default_configENS1_25partition_config_selectorILNS1_17partition_subalgoE9EllbEEZZNS1_14partition_implILS5_9ELb0ES3_jPlS8_PNS0_10empty_typeENS0_5tupleIJS8_S9_EEENSB_IJS8_SA_EEENS0_18inequality_wrapperIZN2at6native12_GLOBAL__N_124unique_dim_cuda_templateIdEESt5tupleIJNSF_6TensorESK_SK_EERKSK_lbbbEUlllE0_EEPmJS9_EEE10hipError_tPvRmT3_T4_T5_T6_T7_T9_mT8_P12ihipStream_tbDpT10_ENKUlT_T0_E_clISt17integral_constantIbLb1EES1A_EEDaS15_S16_EUlS15_E_NS1_11comp_targetILNS1_3genE4ELNS1_11target_archE910ELNS1_3gpuE8ELNS1_3repE0EEENS1_30default_config_static_selectorELNS0_4arch9wavefront6targetE1EEEvT1_,"axG",@progbits,_ZN7rocprim17ROCPRIM_400000_NS6detail17trampoline_kernelINS0_14default_configENS1_25partition_config_selectorILNS1_17partition_subalgoE9EllbEEZZNS1_14partition_implILS5_9ELb0ES3_jPlS8_PNS0_10empty_typeENS0_5tupleIJS8_S9_EEENSB_IJS8_SA_EEENS0_18inequality_wrapperIZN2at6native12_GLOBAL__N_124unique_dim_cuda_templateIdEESt5tupleIJNSF_6TensorESK_SK_EERKSK_lbbbEUlllE0_EEPmJS9_EEE10hipError_tPvRmT3_T4_T5_T6_T7_T9_mT8_P12ihipStream_tbDpT10_ENKUlT_T0_E_clISt17integral_constantIbLb1EES1A_EEDaS15_S16_EUlS15_E_NS1_11comp_targetILNS1_3genE4ELNS1_11target_archE910ELNS1_3gpuE8ELNS1_3repE0EEENS1_30default_config_static_selectorELNS0_4arch9wavefront6targetE1EEEvT1_,comdat
.Lfunc_end849:
	.size	_ZN7rocprim17ROCPRIM_400000_NS6detail17trampoline_kernelINS0_14default_configENS1_25partition_config_selectorILNS1_17partition_subalgoE9EllbEEZZNS1_14partition_implILS5_9ELb0ES3_jPlS8_PNS0_10empty_typeENS0_5tupleIJS8_S9_EEENSB_IJS8_SA_EEENS0_18inequality_wrapperIZN2at6native12_GLOBAL__N_124unique_dim_cuda_templateIdEESt5tupleIJNSF_6TensorESK_SK_EERKSK_lbbbEUlllE0_EEPmJS9_EEE10hipError_tPvRmT3_T4_T5_T6_T7_T9_mT8_P12ihipStream_tbDpT10_ENKUlT_T0_E_clISt17integral_constantIbLb1EES1A_EEDaS15_S16_EUlS15_E_NS1_11comp_targetILNS1_3genE4ELNS1_11target_archE910ELNS1_3gpuE8ELNS1_3repE0EEENS1_30default_config_static_selectorELNS0_4arch9wavefront6targetE1EEEvT1_, .Lfunc_end849-_ZN7rocprim17ROCPRIM_400000_NS6detail17trampoline_kernelINS0_14default_configENS1_25partition_config_selectorILNS1_17partition_subalgoE9EllbEEZZNS1_14partition_implILS5_9ELb0ES3_jPlS8_PNS0_10empty_typeENS0_5tupleIJS8_S9_EEENSB_IJS8_SA_EEENS0_18inequality_wrapperIZN2at6native12_GLOBAL__N_124unique_dim_cuda_templateIdEESt5tupleIJNSF_6TensorESK_SK_EERKSK_lbbbEUlllE0_EEPmJS9_EEE10hipError_tPvRmT3_T4_T5_T6_T7_T9_mT8_P12ihipStream_tbDpT10_ENKUlT_T0_E_clISt17integral_constantIbLb1EES1A_EEDaS15_S16_EUlS15_E_NS1_11comp_targetILNS1_3genE4ELNS1_11target_archE910ELNS1_3gpuE8ELNS1_3repE0EEENS1_30default_config_static_selectorELNS0_4arch9wavefront6targetE1EEEvT1_
                                        ; -- End function
	.section	.AMDGPU.csdata,"",@progbits
; Kernel info:
; codeLenInByte = 10980
; NumSgprs: 56
; NumVgprs: 50
; NumAgprs: 0
; TotalNumVgprs: 50
; ScratchSize: 0
; MemoryBound: 1
; FloatMode: 240
; IeeeMode: 1
; LDSByteSize: 4236 bytes/workgroup (compile time only)
; SGPRBlocks: 6
; VGPRBlocks: 6
; NumSGPRsForWavesPerEU: 56
; NumVGPRsForWavesPerEU: 50
; AccumOffset: 52
; Occupancy: 8
; WaveLimiterHint : 1
; COMPUTE_PGM_RSRC2:SCRATCH_EN: 0
; COMPUTE_PGM_RSRC2:USER_SGPR: 6
; COMPUTE_PGM_RSRC2:TRAP_HANDLER: 0
; COMPUTE_PGM_RSRC2:TGID_X_EN: 1
; COMPUTE_PGM_RSRC2:TGID_Y_EN: 0
; COMPUTE_PGM_RSRC2:TGID_Z_EN: 0
; COMPUTE_PGM_RSRC2:TIDIG_COMP_CNT: 0
; COMPUTE_PGM_RSRC3_GFX90A:ACCUM_OFFSET: 12
; COMPUTE_PGM_RSRC3_GFX90A:TG_SPLIT: 0
	.section	.text._ZN7rocprim17ROCPRIM_400000_NS6detail17trampoline_kernelINS0_14default_configENS1_25partition_config_selectorILNS1_17partition_subalgoE9EllbEEZZNS1_14partition_implILS5_9ELb0ES3_jPlS8_PNS0_10empty_typeENS0_5tupleIJS8_S9_EEENSB_IJS8_SA_EEENS0_18inequality_wrapperIZN2at6native12_GLOBAL__N_124unique_dim_cuda_templateIdEESt5tupleIJNSF_6TensorESK_SK_EERKSK_lbbbEUlllE0_EEPmJS9_EEE10hipError_tPvRmT3_T4_T5_T6_T7_T9_mT8_P12ihipStream_tbDpT10_ENKUlT_T0_E_clISt17integral_constantIbLb1EES1A_EEDaS15_S16_EUlS15_E_NS1_11comp_targetILNS1_3genE3ELNS1_11target_archE908ELNS1_3gpuE7ELNS1_3repE0EEENS1_30default_config_static_selectorELNS0_4arch9wavefront6targetE1EEEvT1_,"axG",@progbits,_ZN7rocprim17ROCPRIM_400000_NS6detail17trampoline_kernelINS0_14default_configENS1_25partition_config_selectorILNS1_17partition_subalgoE9EllbEEZZNS1_14partition_implILS5_9ELb0ES3_jPlS8_PNS0_10empty_typeENS0_5tupleIJS8_S9_EEENSB_IJS8_SA_EEENS0_18inequality_wrapperIZN2at6native12_GLOBAL__N_124unique_dim_cuda_templateIdEESt5tupleIJNSF_6TensorESK_SK_EERKSK_lbbbEUlllE0_EEPmJS9_EEE10hipError_tPvRmT3_T4_T5_T6_T7_T9_mT8_P12ihipStream_tbDpT10_ENKUlT_T0_E_clISt17integral_constantIbLb1EES1A_EEDaS15_S16_EUlS15_E_NS1_11comp_targetILNS1_3genE3ELNS1_11target_archE908ELNS1_3gpuE7ELNS1_3repE0EEENS1_30default_config_static_selectorELNS0_4arch9wavefront6targetE1EEEvT1_,comdat
	.globl	_ZN7rocprim17ROCPRIM_400000_NS6detail17trampoline_kernelINS0_14default_configENS1_25partition_config_selectorILNS1_17partition_subalgoE9EllbEEZZNS1_14partition_implILS5_9ELb0ES3_jPlS8_PNS0_10empty_typeENS0_5tupleIJS8_S9_EEENSB_IJS8_SA_EEENS0_18inequality_wrapperIZN2at6native12_GLOBAL__N_124unique_dim_cuda_templateIdEESt5tupleIJNSF_6TensorESK_SK_EERKSK_lbbbEUlllE0_EEPmJS9_EEE10hipError_tPvRmT3_T4_T5_T6_T7_T9_mT8_P12ihipStream_tbDpT10_ENKUlT_T0_E_clISt17integral_constantIbLb1EES1A_EEDaS15_S16_EUlS15_E_NS1_11comp_targetILNS1_3genE3ELNS1_11target_archE908ELNS1_3gpuE7ELNS1_3repE0EEENS1_30default_config_static_selectorELNS0_4arch9wavefront6targetE1EEEvT1_ ; -- Begin function _ZN7rocprim17ROCPRIM_400000_NS6detail17trampoline_kernelINS0_14default_configENS1_25partition_config_selectorILNS1_17partition_subalgoE9EllbEEZZNS1_14partition_implILS5_9ELb0ES3_jPlS8_PNS0_10empty_typeENS0_5tupleIJS8_S9_EEENSB_IJS8_SA_EEENS0_18inequality_wrapperIZN2at6native12_GLOBAL__N_124unique_dim_cuda_templateIdEESt5tupleIJNSF_6TensorESK_SK_EERKSK_lbbbEUlllE0_EEPmJS9_EEE10hipError_tPvRmT3_T4_T5_T6_T7_T9_mT8_P12ihipStream_tbDpT10_ENKUlT_T0_E_clISt17integral_constantIbLb1EES1A_EEDaS15_S16_EUlS15_E_NS1_11comp_targetILNS1_3genE3ELNS1_11target_archE908ELNS1_3gpuE7ELNS1_3repE0EEENS1_30default_config_static_selectorELNS0_4arch9wavefront6targetE1EEEvT1_
	.p2align	8
	.type	_ZN7rocprim17ROCPRIM_400000_NS6detail17trampoline_kernelINS0_14default_configENS1_25partition_config_selectorILNS1_17partition_subalgoE9EllbEEZZNS1_14partition_implILS5_9ELb0ES3_jPlS8_PNS0_10empty_typeENS0_5tupleIJS8_S9_EEENSB_IJS8_SA_EEENS0_18inequality_wrapperIZN2at6native12_GLOBAL__N_124unique_dim_cuda_templateIdEESt5tupleIJNSF_6TensorESK_SK_EERKSK_lbbbEUlllE0_EEPmJS9_EEE10hipError_tPvRmT3_T4_T5_T6_T7_T9_mT8_P12ihipStream_tbDpT10_ENKUlT_T0_E_clISt17integral_constantIbLb1EES1A_EEDaS15_S16_EUlS15_E_NS1_11comp_targetILNS1_3genE3ELNS1_11target_archE908ELNS1_3gpuE7ELNS1_3repE0EEENS1_30default_config_static_selectorELNS0_4arch9wavefront6targetE1EEEvT1_,@function
_ZN7rocprim17ROCPRIM_400000_NS6detail17trampoline_kernelINS0_14default_configENS1_25partition_config_selectorILNS1_17partition_subalgoE9EllbEEZZNS1_14partition_implILS5_9ELb0ES3_jPlS8_PNS0_10empty_typeENS0_5tupleIJS8_S9_EEENSB_IJS8_SA_EEENS0_18inequality_wrapperIZN2at6native12_GLOBAL__N_124unique_dim_cuda_templateIdEESt5tupleIJNSF_6TensorESK_SK_EERKSK_lbbbEUlllE0_EEPmJS9_EEE10hipError_tPvRmT3_T4_T5_T6_T7_T9_mT8_P12ihipStream_tbDpT10_ENKUlT_T0_E_clISt17integral_constantIbLb1EES1A_EEDaS15_S16_EUlS15_E_NS1_11comp_targetILNS1_3genE3ELNS1_11target_archE908ELNS1_3gpuE7ELNS1_3repE0EEENS1_30default_config_static_selectorELNS0_4arch9wavefront6targetE1EEEvT1_: ; @_ZN7rocprim17ROCPRIM_400000_NS6detail17trampoline_kernelINS0_14default_configENS1_25partition_config_selectorILNS1_17partition_subalgoE9EllbEEZZNS1_14partition_implILS5_9ELb0ES3_jPlS8_PNS0_10empty_typeENS0_5tupleIJS8_S9_EEENSB_IJS8_SA_EEENS0_18inequality_wrapperIZN2at6native12_GLOBAL__N_124unique_dim_cuda_templateIdEESt5tupleIJNSF_6TensorESK_SK_EERKSK_lbbbEUlllE0_EEPmJS9_EEE10hipError_tPvRmT3_T4_T5_T6_T7_T9_mT8_P12ihipStream_tbDpT10_ENKUlT_T0_E_clISt17integral_constantIbLb1EES1A_EEDaS15_S16_EUlS15_E_NS1_11comp_targetILNS1_3genE3ELNS1_11target_archE908ELNS1_3gpuE7ELNS1_3repE0EEENS1_30default_config_static_selectorELNS0_4arch9wavefront6targetE1EEEvT1_
; %bb.0:
	.section	.rodata,"a",@progbits
	.p2align	6, 0x0
	.amdhsa_kernel _ZN7rocprim17ROCPRIM_400000_NS6detail17trampoline_kernelINS0_14default_configENS1_25partition_config_selectorILNS1_17partition_subalgoE9EllbEEZZNS1_14partition_implILS5_9ELb0ES3_jPlS8_PNS0_10empty_typeENS0_5tupleIJS8_S9_EEENSB_IJS8_SA_EEENS0_18inequality_wrapperIZN2at6native12_GLOBAL__N_124unique_dim_cuda_templateIdEESt5tupleIJNSF_6TensorESK_SK_EERKSK_lbbbEUlllE0_EEPmJS9_EEE10hipError_tPvRmT3_T4_T5_T6_T7_T9_mT8_P12ihipStream_tbDpT10_ENKUlT_T0_E_clISt17integral_constantIbLb1EES1A_EEDaS15_S16_EUlS15_E_NS1_11comp_targetILNS1_3genE3ELNS1_11target_archE908ELNS1_3gpuE7ELNS1_3repE0EEENS1_30default_config_static_selectorELNS0_4arch9wavefront6targetE1EEEvT1_
		.amdhsa_group_segment_fixed_size 0
		.amdhsa_private_segment_fixed_size 0
		.amdhsa_kernarg_size 136
		.amdhsa_user_sgpr_count 6
		.amdhsa_user_sgpr_private_segment_buffer 1
		.amdhsa_user_sgpr_dispatch_ptr 0
		.amdhsa_user_sgpr_queue_ptr 0
		.amdhsa_user_sgpr_kernarg_segment_ptr 1
		.amdhsa_user_sgpr_dispatch_id 0
		.amdhsa_user_sgpr_flat_scratch_init 0
		.amdhsa_user_sgpr_kernarg_preload_length 0
		.amdhsa_user_sgpr_kernarg_preload_offset 0
		.amdhsa_user_sgpr_private_segment_size 0
		.amdhsa_uses_dynamic_stack 0
		.amdhsa_system_sgpr_private_segment_wavefront_offset 0
		.amdhsa_system_sgpr_workgroup_id_x 1
		.amdhsa_system_sgpr_workgroup_id_y 0
		.amdhsa_system_sgpr_workgroup_id_z 0
		.amdhsa_system_sgpr_workgroup_info 0
		.amdhsa_system_vgpr_workitem_id 0
		.amdhsa_next_free_vgpr 1
		.amdhsa_next_free_sgpr 0
		.amdhsa_accum_offset 4
		.amdhsa_reserve_vcc 0
		.amdhsa_reserve_flat_scratch 0
		.amdhsa_float_round_mode_32 0
		.amdhsa_float_round_mode_16_64 0
		.amdhsa_float_denorm_mode_32 3
		.amdhsa_float_denorm_mode_16_64 3
		.amdhsa_dx10_clamp 1
		.amdhsa_ieee_mode 1
		.amdhsa_fp16_overflow 0
		.amdhsa_tg_split 0
		.amdhsa_exception_fp_ieee_invalid_op 0
		.amdhsa_exception_fp_denorm_src 0
		.amdhsa_exception_fp_ieee_div_zero 0
		.amdhsa_exception_fp_ieee_overflow 0
		.amdhsa_exception_fp_ieee_underflow 0
		.amdhsa_exception_fp_ieee_inexact 0
		.amdhsa_exception_int_div_zero 0
	.end_amdhsa_kernel
	.section	.text._ZN7rocprim17ROCPRIM_400000_NS6detail17trampoline_kernelINS0_14default_configENS1_25partition_config_selectorILNS1_17partition_subalgoE9EllbEEZZNS1_14partition_implILS5_9ELb0ES3_jPlS8_PNS0_10empty_typeENS0_5tupleIJS8_S9_EEENSB_IJS8_SA_EEENS0_18inequality_wrapperIZN2at6native12_GLOBAL__N_124unique_dim_cuda_templateIdEESt5tupleIJNSF_6TensorESK_SK_EERKSK_lbbbEUlllE0_EEPmJS9_EEE10hipError_tPvRmT3_T4_T5_T6_T7_T9_mT8_P12ihipStream_tbDpT10_ENKUlT_T0_E_clISt17integral_constantIbLb1EES1A_EEDaS15_S16_EUlS15_E_NS1_11comp_targetILNS1_3genE3ELNS1_11target_archE908ELNS1_3gpuE7ELNS1_3repE0EEENS1_30default_config_static_selectorELNS0_4arch9wavefront6targetE1EEEvT1_,"axG",@progbits,_ZN7rocprim17ROCPRIM_400000_NS6detail17trampoline_kernelINS0_14default_configENS1_25partition_config_selectorILNS1_17partition_subalgoE9EllbEEZZNS1_14partition_implILS5_9ELb0ES3_jPlS8_PNS0_10empty_typeENS0_5tupleIJS8_S9_EEENSB_IJS8_SA_EEENS0_18inequality_wrapperIZN2at6native12_GLOBAL__N_124unique_dim_cuda_templateIdEESt5tupleIJNSF_6TensorESK_SK_EERKSK_lbbbEUlllE0_EEPmJS9_EEE10hipError_tPvRmT3_T4_T5_T6_T7_T9_mT8_P12ihipStream_tbDpT10_ENKUlT_T0_E_clISt17integral_constantIbLb1EES1A_EEDaS15_S16_EUlS15_E_NS1_11comp_targetILNS1_3genE3ELNS1_11target_archE908ELNS1_3gpuE7ELNS1_3repE0EEENS1_30default_config_static_selectorELNS0_4arch9wavefront6targetE1EEEvT1_,comdat
.Lfunc_end850:
	.size	_ZN7rocprim17ROCPRIM_400000_NS6detail17trampoline_kernelINS0_14default_configENS1_25partition_config_selectorILNS1_17partition_subalgoE9EllbEEZZNS1_14partition_implILS5_9ELb0ES3_jPlS8_PNS0_10empty_typeENS0_5tupleIJS8_S9_EEENSB_IJS8_SA_EEENS0_18inequality_wrapperIZN2at6native12_GLOBAL__N_124unique_dim_cuda_templateIdEESt5tupleIJNSF_6TensorESK_SK_EERKSK_lbbbEUlllE0_EEPmJS9_EEE10hipError_tPvRmT3_T4_T5_T6_T7_T9_mT8_P12ihipStream_tbDpT10_ENKUlT_T0_E_clISt17integral_constantIbLb1EES1A_EEDaS15_S16_EUlS15_E_NS1_11comp_targetILNS1_3genE3ELNS1_11target_archE908ELNS1_3gpuE7ELNS1_3repE0EEENS1_30default_config_static_selectorELNS0_4arch9wavefront6targetE1EEEvT1_, .Lfunc_end850-_ZN7rocprim17ROCPRIM_400000_NS6detail17trampoline_kernelINS0_14default_configENS1_25partition_config_selectorILNS1_17partition_subalgoE9EllbEEZZNS1_14partition_implILS5_9ELb0ES3_jPlS8_PNS0_10empty_typeENS0_5tupleIJS8_S9_EEENSB_IJS8_SA_EEENS0_18inequality_wrapperIZN2at6native12_GLOBAL__N_124unique_dim_cuda_templateIdEESt5tupleIJNSF_6TensorESK_SK_EERKSK_lbbbEUlllE0_EEPmJS9_EEE10hipError_tPvRmT3_T4_T5_T6_T7_T9_mT8_P12ihipStream_tbDpT10_ENKUlT_T0_E_clISt17integral_constantIbLb1EES1A_EEDaS15_S16_EUlS15_E_NS1_11comp_targetILNS1_3genE3ELNS1_11target_archE908ELNS1_3gpuE7ELNS1_3repE0EEENS1_30default_config_static_selectorELNS0_4arch9wavefront6targetE1EEEvT1_
                                        ; -- End function
	.section	.AMDGPU.csdata,"",@progbits
; Kernel info:
; codeLenInByte = 0
; NumSgprs: 4
; NumVgprs: 0
; NumAgprs: 0
; TotalNumVgprs: 0
; ScratchSize: 0
; MemoryBound: 0
; FloatMode: 240
; IeeeMode: 1
; LDSByteSize: 0 bytes/workgroup (compile time only)
; SGPRBlocks: 0
; VGPRBlocks: 0
; NumSGPRsForWavesPerEU: 4
; NumVGPRsForWavesPerEU: 1
; AccumOffset: 4
; Occupancy: 8
; WaveLimiterHint : 0
; COMPUTE_PGM_RSRC2:SCRATCH_EN: 0
; COMPUTE_PGM_RSRC2:USER_SGPR: 6
; COMPUTE_PGM_RSRC2:TRAP_HANDLER: 0
; COMPUTE_PGM_RSRC2:TGID_X_EN: 1
; COMPUTE_PGM_RSRC2:TGID_Y_EN: 0
; COMPUTE_PGM_RSRC2:TGID_Z_EN: 0
; COMPUTE_PGM_RSRC2:TIDIG_COMP_CNT: 0
; COMPUTE_PGM_RSRC3_GFX90A:ACCUM_OFFSET: 0
; COMPUTE_PGM_RSRC3_GFX90A:TG_SPLIT: 0
	.section	.text._ZN7rocprim17ROCPRIM_400000_NS6detail17trampoline_kernelINS0_14default_configENS1_25partition_config_selectorILNS1_17partition_subalgoE9EllbEEZZNS1_14partition_implILS5_9ELb0ES3_jPlS8_PNS0_10empty_typeENS0_5tupleIJS8_S9_EEENSB_IJS8_SA_EEENS0_18inequality_wrapperIZN2at6native12_GLOBAL__N_124unique_dim_cuda_templateIdEESt5tupleIJNSF_6TensorESK_SK_EERKSK_lbbbEUlllE0_EEPmJS9_EEE10hipError_tPvRmT3_T4_T5_T6_T7_T9_mT8_P12ihipStream_tbDpT10_ENKUlT_T0_E_clISt17integral_constantIbLb1EES1A_EEDaS15_S16_EUlS15_E_NS1_11comp_targetILNS1_3genE2ELNS1_11target_archE906ELNS1_3gpuE6ELNS1_3repE0EEENS1_30default_config_static_selectorELNS0_4arch9wavefront6targetE1EEEvT1_,"axG",@progbits,_ZN7rocprim17ROCPRIM_400000_NS6detail17trampoline_kernelINS0_14default_configENS1_25partition_config_selectorILNS1_17partition_subalgoE9EllbEEZZNS1_14partition_implILS5_9ELb0ES3_jPlS8_PNS0_10empty_typeENS0_5tupleIJS8_S9_EEENSB_IJS8_SA_EEENS0_18inequality_wrapperIZN2at6native12_GLOBAL__N_124unique_dim_cuda_templateIdEESt5tupleIJNSF_6TensorESK_SK_EERKSK_lbbbEUlllE0_EEPmJS9_EEE10hipError_tPvRmT3_T4_T5_T6_T7_T9_mT8_P12ihipStream_tbDpT10_ENKUlT_T0_E_clISt17integral_constantIbLb1EES1A_EEDaS15_S16_EUlS15_E_NS1_11comp_targetILNS1_3genE2ELNS1_11target_archE906ELNS1_3gpuE6ELNS1_3repE0EEENS1_30default_config_static_selectorELNS0_4arch9wavefront6targetE1EEEvT1_,comdat
	.globl	_ZN7rocprim17ROCPRIM_400000_NS6detail17trampoline_kernelINS0_14default_configENS1_25partition_config_selectorILNS1_17partition_subalgoE9EllbEEZZNS1_14partition_implILS5_9ELb0ES3_jPlS8_PNS0_10empty_typeENS0_5tupleIJS8_S9_EEENSB_IJS8_SA_EEENS0_18inequality_wrapperIZN2at6native12_GLOBAL__N_124unique_dim_cuda_templateIdEESt5tupleIJNSF_6TensorESK_SK_EERKSK_lbbbEUlllE0_EEPmJS9_EEE10hipError_tPvRmT3_T4_T5_T6_T7_T9_mT8_P12ihipStream_tbDpT10_ENKUlT_T0_E_clISt17integral_constantIbLb1EES1A_EEDaS15_S16_EUlS15_E_NS1_11comp_targetILNS1_3genE2ELNS1_11target_archE906ELNS1_3gpuE6ELNS1_3repE0EEENS1_30default_config_static_selectorELNS0_4arch9wavefront6targetE1EEEvT1_ ; -- Begin function _ZN7rocprim17ROCPRIM_400000_NS6detail17trampoline_kernelINS0_14default_configENS1_25partition_config_selectorILNS1_17partition_subalgoE9EllbEEZZNS1_14partition_implILS5_9ELb0ES3_jPlS8_PNS0_10empty_typeENS0_5tupleIJS8_S9_EEENSB_IJS8_SA_EEENS0_18inequality_wrapperIZN2at6native12_GLOBAL__N_124unique_dim_cuda_templateIdEESt5tupleIJNSF_6TensorESK_SK_EERKSK_lbbbEUlllE0_EEPmJS9_EEE10hipError_tPvRmT3_T4_T5_T6_T7_T9_mT8_P12ihipStream_tbDpT10_ENKUlT_T0_E_clISt17integral_constantIbLb1EES1A_EEDaS15_S16_EUlS15_E_NS1_11comp_targetILNS1_3genE2ELNS1_11target_archE906ELNS1_3gpuE6ELNS1_3repE0EEENS1_30default_config_static_selectorELNS0_4arch9wavefront6targetE1EEEvT1_
	.p2align	8
	.type	_ZN7rocprim17ROCPRIM_400000_NS6detail17trampoline_kernelINS0_14default_configENS1_25partition_config_selectorILNS1_17partition_subalgoE9EllbEEZZNS1_14partition_implILS5_9ELb0ES3_jPlS8_PNS0_10empty_typeENS0_5tupleIJS8_S9_EEENSB_IJS8_SA_EEENS0_18inequality_wrapperIZN2at6native12_GLOBAL__N_124unique_dim_cuda_templateIdEESt5tupleIJNSF_6TensorESK_SK_EERKSK_lbbbEUlllE0_EEPmJS9_EEE10hipError_tPvRmT3_T4_T5_T6_T7_T9_mT8_P12ihipStream_tbDpT10_ENKUlT_T0_E_clISt17integral_constantIbLb1EES1A_EEDaS15_S16_EUlS15_E_NS1_11comp_targetILNS1_3genE2ELNS1_11target_archE906ELNS1_3gpuE6ELNS1_3repE0EEENS1_30default_config_static_selectorELNS0_4arch9wavefront6targetE1EEEvT1_,@function
_ZN7rocprim17ROCPRIM_400000_NS6detail17trampoline_kernelINS0_14default_configENS1_25partition_config_selectorILNS1_17partition_subalgoE9EllbEEZZNS1_14partition_implILS5_9ELb0ES3_jPlS8_PNS0_10empty_typeENS0_5tupleIJS8_S9_EEENSB_IJS8_SA_EEENS0_18inequality_wrapperIZN2at6native12_GLOBAL__N_124unique_dim_cuda_templateIdEESt5tupleIJNSF_6TensorESK_SK_EERKSK_lbbbEUlllE0_EEPmJS9_EEE10hipError_tPvRmT3_T4_T5_T6_T7_T9_mT8_P12ihipStream_tbDpT10_ENKUlT_T0_E_clISt17integral_constantIbLb1EES1A_EEDaS15_S16_EUlS15_E_NS1_11comp_targetILNS1_3genE2ELNS1_11target_archE906ELNS1_3gpuE6ELNS1_3repE0EEENS1_30default_config_static_selectorELNS0_4arch9wavefront6targetE1EEEvT1_: ; @_ZN7rocprim17ROCPRIM_400000_NS6detail17trampoline_kernelINS0_14default_configENS1_25partition_config_selectorILNS1_17partition_subalgoE9EllbEEZZNS1_14partition_implILS5_9ELb0ES3_jPlS8_PNS0_10empty_typeENS0_5tupleIJS8_S9_EEENSB_IJS8_SA_EEENS0_18inequality_wrapperIZN2at6native12_GLOBAL__N_124unique_dim_cuda_templateIdEESt5tupleIJNSF_6TensorESK_SK_EERKSK_lbbbEUlllE0_EEPmJS9_EEE10hipError_tPvRmT3_T4_T5_T6_T7_T9_mT8_P12ihipStream_tbDpT10_ENKUlT_T0_E_clISt17integral_constantIbLb1EES1A_EEDaS15_S16_EUlS15_E_NS1_11comp_targetILNS1_3genE2ELNS1_11target_archE906ELNS1_3gpuE6ELNS1_3repE0EEENS1_30default_config_static_selectorELNS0_4arch9wavefront6targetE1EEEvT1_
; %bb.0:
	.section	.rodata,"a",@progbits
	.p2align	6, 0x0
	.amdhsa_kernel _ZN7rocprim17ROCPRIM_400000_NS6detail17trampoline_kernelINS0_14default_configENS1_25partition_config_selectorILNS1_17partition_subalgoE9EllbEEZZNS1_14partition_implILS5_9ELb0ES3_jPlS8_PNS0_10empty_typeENS0_5tupleIJS8_S9_EEENSB_IJS8_SA_EEENS0_18inequality_wrapperIZN2at6native12_GLOBAL__N_124unique_dim_cuda_templateIdEESt5tupleIJNSF_6TensorESK_SK_EERKSK_lbbbEUlllE0_EEPmJS9_EEE10hipError_tPvRmT3_T4_T5_T6_T7_T9_mT8_P12ihipStream_tbDpT10_ENKUlT_T0_E_clISt17integral_constantIbLb1EES1A_EEDaS15_S16_EUlS15_E_NS1_11comp_targetILNS1_3genE2ELNS1_11target_archE906ELNS1_3gpuE6ELNS1_3repE0EEENS1_30default_config_static_selectorELNS0_4arch9wavefront6targetE1EEEvT1_
		.amdhsa_group_segment_fixed_size 0
		.amdhsa_private_segment_fixed_size 0
		.amdhsa_kernarg_size 136
		.amdhsa_user_sgpr_count 6
		.amdhsa_user_sgpr_private_segment_buffer 1
		.amdhsa_user_sgpr_dispatch_ptr 0
		.amdhsa_user_sgpr_queue_ptr 0
		.amdhsa_user_sgpr_kernarg_segment_ptr 1
		.amdhsa_user_sgpr_dispatch_id 0
		.amdhsa_user_sgpr_flat_scratch_init 0
		.amdhsa_user_sgpr_kernarg_preload_length 0
		.amdhsa_user_sgpr_kernarg_preload_offset 0
		.amdhsa_user_sgpr_private_segment_size 0
		.amdhsa_uses_dynamic_stack 0
		.amdhsa_system_sgpr_private_segment_wavefront_offset 0
		.amdhsa_system_sgpr_workgroup_id_x 1
		.amdhsa_system_sgpr_workgroup_id_y 0
		.amdhsa_system_sgpr_workgroup_id_z 0
		.amdhsa_system_sgpr_workgroup_info 0
		.amdhsa_system_vgpr_workitem_id 0
		.amdhsa_next_free_vgpr 1
		.amdhsa_next_free_sgpr 0
		.amdhsa_accum_offset 4
		.amdhsa_reserve_vcc 0
		.amdhsa_reserve_flat_scratch 0
		.amdhsa_float_round_mode_32 0
		.amdhsa_float_round_mode_16_64 0
		.amdhsa_float_denorm_mode_32 3
		.amdhsa_float_denorm_mode_16_64 3
		.amdhsa_dx10_clamp 1
		.amdhsa_ieee_mode 1
		.amdhsa_fp16_overflow 0
		.amdhsa_tg_split 0
		.amdhsa_exception_fp_ieee_invalid_op 0
		.amdhsa_exception_fp_denorm_src 0
		.amdhsa_exception_fp_ieee_div_zero 0
		.amdhsa_exception_fp_ieee_overflow 0
		.amdhsa_exception_fp_ieee_underflow 0
		.amdhsa_exception_fp_ieee_inexact 0
		.amdhsa_exception_int_div_zero 0
	.end_amdhsa_kernel
	.section	.text._ZN7rocprim17ROCPRIM_400000_NS6detail17trampoline_kernelINS0_14default_configENS1_25partition_config_selectorILNS1_17partition_subalgoE9EllbEEZZNS1_14partition_implILS5_9ELb0ES3_jPlS8_PNS0_10empty_typeENS0_5tupleIJS8_S9_EEENSB_IJS8_SA_EEENS0_18inequality_wrapperIZN2at6native12_GLOBAL__N_124unique_dim_cuda_templateIdEESt5tupleIJNSF_6TensorESK_SK_EERKSK_lbbbEUlllE0_EEPmJS9_EEE10hipError_tPvRmT3_T4_T5_T6_T7_T9_mT8_P12ihipStream_tbDpT10_ENKUlT_T0_E_clISt17integral_constantIbLb1EES1A_EEDaS15_S16_EUlS15_E_NS1_11comp_targetILNS1_3genE2ELNS1_11target_archE906ELNS1_3gpuE6ELNS1_3repE0EEENS1_30default_config_static_selectorELNS0_4arch9wavefront6targetE1EEEvT1_,"axG",@progbits,_ZN7rocprim17ROCPRIM_400000_NS6detail17trampoline_kernelINS0_14default_configENS1_25partition_config_selectorILNS1_17partition_subalgoE9EllbEEZZNS1_14partition_implILS5_9ELb0ES3_jPlS8_PNS0_10empty_typeENS0_5tupleIJS8_S9_EEENSB_IJS8_SA_EEENS0_18inequality_wrapperIZN2at6native12_GLOBAL__N_124unique_dim_cuda_templateIdEESt5tupleIJNSF_6TensorESK_SK_EERKSK_lbbbEUlllE0_EEPmJS9_EEE10hipError_tPvRmT3_T4_T5_T6_T7_T9_mT8_P12ihipStream_tbDpT10_ENKUlT_T0_E_clISt17integral_constantIbLb1EES1A_EEDaS15_S16_EUlS15_E_NS1_11comp_targetILNS1_3genE2ELNS1_11target_archE906ELNS1_3gpuE6ELNS1_3repE0EEENS1_30default_config_static_selectorELNS0_4arch9wavefront6targetE1EEEvT1_,comdat
.Lfunc_end851:
	.size	_ZN7rocprim17ROCPRIM_400000_NS6detail17trampoline_kernelINS0_14default_configENS1_25partition_config_selectorILNS1_17partition_subalgoE9EllbEEZZNS1_14partition_implILS5_9ELb0ES3_jPlS8_PNS0_10empty_typeENS0_5tupleIJS8_S9_EEENSB_IJS8_SA_EEENS0_18inequality_wrapperIZN2at6native12_GLOBAL__N_124unique_dim_cuda_templateIdEESt5tupleIJNSF_6TensorESK_SK_EERKSK_lbbbEUlllE0_EEPmJS9_EEE10hipError_tPvRmT3_T4_T5_T6_T7_T9_mT8_P12ihipStream_tbDpT10_ENKUlT_T0_E_clISt17integral_constantIbLb1EES1A_EEDaS15_S16_EUlS15_E_NS1_11comp_targetILNS1_3genE2ELNS1_11target_archE906ELNS1_3gpuE6ELNS1_3repE0EEENS1_30default_config_static_selectorELNS0_4arch9wavefront6targetE1EEEvT1_, .Lfunc_end851-_ZN7rocprim17ROCPRIM_400000_NS6detail17trampoline_kernelINS0_14default_configENS1_25partition_config_selectorILNS1_17partition_subalgoE9EllbEEZZNS1_14partition_implILS5_9ELb0ES3_jPlS8_PNS0_10empty_typeENS0_5tupleIJS8_S9_EEENSB_IJS8_SA_EEENS0_18inequality_wrapperIZN2at6native12_GLOBAL__N_124unique_dim_cuda_templateIdEESt5tupleIJNSF_6TensorESK_SK_EERKSK_lbbbEUlllE0_EEPmJS9_EEE10hipError_tPvRmT3_T4_T5_T6_T7_T9_mT8_P12ihipStream_tbDpT10_ENKUlT_T0_E_clISt17integral_constantIbLb1EES1A_EEDaS15_S16_EUlS15_E_NS1_11comp_targetILNS1_3genE2ELNS1_11target_archE906ELNS1_3gpuE6ELNS1_3repE0EEENS1_30default_config_static_selectorELNS0_4arch9wavefront6targetE1EEEvT1_
                                        ; -- End function
	.section	.AMDGPU.csdata,"",@progbits
; Kernel info:
; codeLenInByte = 0
; NumSgprs: 4
; NumVgprs: 0
; NumAgprs: 0
; TotalNumVgprs: 0
; ScratchSize: 0
; MemoryBound: 0
; FloatMode: 240
; IeeeMode: 1
; LDSByteSize: 0 bytes/workgroup (compile time only)
; SGPRBlocks: 0
; VGPRBlocks: 0
; NumSGPRsForWavesPerEU: 4
; NumVGPRsForWavesPerEU: 1
; AccumOffset: 4
; Occupancy: 8
; WaveLimiterHint : 0
; COMPUTE_PGM_RSRC2:SCRATCH_EN: 0
; COMPUTE_PGM_RSRC2:USER_SGPR: 6
; COMPUTE_PGM_RSRC2:TRAP_HANDLER: 0
; COMPUTE_PGM_RSRC2:TGID_X_EN: 1
; COMPUTE_PGM_RSRC2:TGID_Y_EN: 0
; COMPUTE_PGM_RSRC2:TGID_Z_EN: 0
; COMPUTE_PGM_RSRC2:TIDIG_COMP_CNT: 0
; COMPUTE_PGM_RSRC3_GFX90A:ACCUM_OFFSET: 0
; COMPUTE_PGM_RSRC3_GFX90A:TG_SPLIT: 0
	.section	.text._ZN7rocprim17ROCPRIM_400000_NS6detail17trampoline_kernelINS0_14default_configENS1_25partition_config_selectorILNS1_17partition_subalgoE9EllbEEZZNS1_14partition_implILS5_9ELb0ES3_jPlS8_PNS0_10empty_typeENS0_5tupleIJS8_S9_EEENSB_IJS8_SA_EEENS0_18inequality_wrapperIZN2at6native12_GLOBAL__N_124unique_dim_cuda_templateIdEESt5tupleIJNSF_6TensorESK_SK_EERKSK_lbbbEUlllE0_EEPmJS9_EEE10hipError_tPvRmT3_T4_T5_T6_T7_T9_mT8_P12ihipStream_tbDpT10_ENKUlT_T0_E_clISt17integral_constantIbLb1EES1A_EEDaS15_S16_EUlS15_E_NS1_11comp_targetILNS1_3genE10ELNS1_11target_archE1200ELNS1_3gpuE4ELNS1_3repE0EEENS1_30default_config_static_selectorELNS0_4arch9wavefront6targetE1EEEvT1_,"axG",@progbits,_ZN7rocprim17ROCPRIM_400000_NS6detail17trampoline_kernelINS0_14default_configENS1_25partition_config_selectorILNS1_17partition_subalgoE9EllbEEZZNS1_14partition_implILS5_9ELb0ES3_jPlS8_PNS0_10empty_typeENS0_5tupleIJS8_S9_EEENSB_IJS8_SA_EEENS0_18inequality_wrapperIZN2at6native12_GLOBAL__N_124unique_dim_cuda_templateIdEESt5tupleIJNSF_6TensorESK_SK_EERKSK_lbbbEUlllE0_EEPmJS9_EEE10hipError_tPvRmT3_T4_T5_T6_T7_T9_mT8_P12ihipStream_tbDpT10_ENKUlT_T0_E_clISt17integral_constantIbLb1EES1A_EEDaS15_S16_EUlS15_E_NS1_11comp_targetILNS1_3genE10ELNS1_11target_archE1200ELNS1_3gpuE4ELNS1_3repE0EEENS1_30default_config_static_selectorELNS0_4arch9wavefront6targetE1EEEvT1_,comdat
	.globl	_ZN7rocprim17ROCPRIM_400000_NS6detail17trampoline_kernelINS0_14default_configENS1_25partition_config_selectorILNS1_17partition_subalgoE9EllbEEZZNS1_14partition_implILS5_9ELb0ES3_jPlS8_PNS0_10empty_typeENS0_5tupleIJS8_S9_EEENSB_IJS8_SA_EEENS0_18inequality_wrapperIZN2at6native12_GLOBAL__N_124unique_dim_cuda_templateIdEESt5tupleIJNSF_6TensorESK_SK_EERKSK_lbbbEUlllE0_EEPmJS9_EEE10hipError_tPvRmT3_T4_T5_T6_T7_T9_mT8_P12ihipStream_tbDpT10_ENKUlT_T0_E_clISt17integral_constantIbLb1EES1A_EEDaS15_S16_EUlS15_E_NS1_11comp_targetILNS1_3genE10ELNS1_11target_archE1200ELNS1_3gpuE4ELNS1_3repE0EEENS1_30default_config_static_selectorELNS0_4arch9wavefront6targetE1EEEvT1_ ; -- Begin function _ZN7rocprim17ROCPRIM_400000_NS6detail17trampoline_kernelINS0_14default_configENS1_25partition_config_selectorILNS1_17partition_subalgoE9EllbEEZZNS1_14partition_implILS5_9ELb0ES3_jPlS8_PNS0_10empty_typeENS0_5tupleIJS8_S9_EEENSB_IJS8_SA_EEENS0_18inequality_wrapperIZN2at6native12_GLOBAL__N_124unique_dim_cuda_templateIdEESt5tupleIJNSF_6TensorESK_SK_EERKSK_lbbbEUlllE0_EEPmJS9_EEE10hipError_tPvRmT3_T4_T5_T6_T7_T9_mT8_P12ihipStream_tbDpT10_ENKUlT_T0_E_clISt17integral_constantIbLb1EES1A_EEDaS15_S16_EUlS15_E_NS1_11comp_targetILNS1_3genE10ELNS1_11target_archE1200ELNS1_3gpuE4ELNS1_3repE0EEENS1_30default_config_static_selectorELNS0_4arch9wavefront6targetE1EEEvT1_
	.p2align	8
	.type	_ZN7rocprim17ROCPRIM_400000_NS6detail17trampoline_kernelINS0_14default_configENS1_25partition_config_selectorILNS1_17partition_subalgoE9EllbEEZZNS1_14partition_implILS5_9ELb0ES3_jPlS8_PNS0_10empty_typeENS0_5tupleIJS8_S9_EEENSB_IJS8_SA_EEENS0_18inequality_wrapperIZN2at6native12_GLOBAL__N_124unique_dim_cuda_templateIdEESt5tupleIJNSF_6TensorESK_SK_EERKSK_lbbbEUlllE0_EEPmJS9_EEE10hipError_tPvRmT3_T4_T5_T6_T7_T9_mT8_P12ihipStream_tbDpT10_ENKUlT_T0_E_clISt17integral_constantIbLb1EES1A_EEDaS15_S16_EUlS15_E_NS1_11comp_targetILNS1_3genE10ELNS1_11target_archE1200ELNS1_3gpuE4ELNS1_3repE0EEENS1_30default_config_static_selectorELNS0_4arch9wavefront6targetE1EEEvT1_,@function
_ZN7rocprim17ROCPRIM_400000_NS6detail17trampoline_kernelINS0_14default_configENS1_25partition_config_selectorILNS1_17partition_subalgoE9EllbEEZZNS1_14partition_implILS5_9ELb0ES3_jPlS8_PNS0_10empty_typeENS0_5tupleIJS8_S9_EEENSB_IJS8_SA_EEENS0_18inequality_wrapperIZN2at6native12_GLOBAL__N_124unique_dim_cuda_templateIdEESt5tupleIJNSF_6TensorESK_SK_EERKSK_lbbbEUlllE0_EEPmJS9_EEE10hipError_tPvRmT3_T4_T5_T6_T7_T9_mT8_P12ihipStream_tbDpT10_ENKUlT_T0_E_clISt17integral_constantIbLb1EES1A_EEDaS15_S16_EUlS15_E_NS1_11comp_targetILNS1_3genE10ELNS1_11target_archE1200ELNS1_3gpuE4ELNS1_3repE0EEENS1_30default_config_static_selectorELNS0_4arch9wavefront6targetE1EEEvT1_: ; @_ZN7rocprim17ROCPRIM_400000_NS6detail17trampoline_kernelINS0_14default_configENS1_25partition_config_selectorILNS1_17partition_subalgoE9EllbEEZZNS1_14partition_implILS5_9ELb0ES3_jPlS8_PNS0_10empty_typeENS0_5tupleIJS8_S9_EEENSB_IJS8_SA_EEENS0_18inequality_wrapperIZN2at6native12_GLOBAL__N_124unique_dim_cuda_templateIdEESt5tupleIJNSF_6TensorESK_SK_EERKSK_lbbbEUlllE0_EEPmJS9_EEE10hipError_tPvRmT3_T4_T5_T6_T7_T9_mT8_P12ihipStream_tbDpT10_ENKUlT_T0_E_clISt17integral_constantIbLb1EES1A_EEDaS15_S16_EUlS15_E_NS1_11comp_targetILNS1_3genE10ELNS1_11target_archE1200ELNS1_3gpuE4ELNS1_3repE0EEENS1_30default_config_static_selectorELNS0_4arch9wavefront6targetE1EEEvT1_
; %bb.0:
	.section	.rodata,"a",@progbits
	.p2align	6, 0x0
	.amdhsa_kernel _ZN7rocprim17ROCPRIM_400000_NS6detail17trampoline_kernelINS0_14default_configENS1_25partition_config_selectorILNS1_17partition_subalgoE9EllbEEZZNS1_14partition_implILS5_9ELb0ES3_jPlS8_PNS0_10empty_typeENS0_5tupleIJS8_S9_EEENSB_IJS8_SA_EEENS0_18inequality_wrapperIZN2at6native12_GLOBAL__N_124unique_dim_cuda_templateIdEESt5tupleIJNSF_6TensorESK_SK_EERKSK_lbbbEUlllE0_EEPmJS9_EEE10hipError_tPvRmT3_T4_T5_T6_T7_T9_mT8_P12ihipStream_tbDpT10_ENKUlT_T0_E_clISt17integral_constantIbLb1EES1A_EEDaS15_S16_EUlS15_E_NS1_11comp_targetILNS1_3genE10ELNS1_11target_archE1200ELNS1_3gpuE4ELNS1_3repE0EEENS1_30default_config_static_selectorELNS0_4arch9wavefront6targetE1EEEvT1_
		.amdhsa_group_segment_fixed_size 0
		.amdhsa_private_segment_fixed_size 0
		.amdhsa_kernarg_size 136
		.amdhsa_user_sgpr_count 6
		.amdhsa_user_sgpr_private_segment_buffer 1
		.amdhsa_user_sgpr_dispatch_ptr 0
		.amdhsa_user_sgpr_queue_ptr 0
		.amdhsa_user_sgpr_kernarg_segment_ptr 1
		.amdhsa_user_sgpr_dispatch_id 0
		.amdhsa_user_sgpr_flat_scratch_init 0
		.amdhsa_user_sgpr_kernarg_preload_length 0
		.amdhsa_user_sgpr_kernarg_preload_offset 0
		.amdhsa_user_sgpr_private_segment_size 0
		.amdhsa_uses_dynamic_stack 0
		.amdhsa_system_sgpr_private_segment_wavefront_offset 0
		.amdhsa_system_sgpr_workgroup_id_x 1
		.amdhsa_system_sgpr_workgroup_id_y 0
		.amdhsa_system_sgpr_workgroup_id_z 0
		.amdhsa_system_sgpr_workgroup_info 0
		.amdhsa_system_vgpr_workitem_id 0
		.amdhsa_next_free_vgpr 1
		.amdhsa_next_free_sgpr 0
		.amdhsa_accum_offset 4
		.amdhsa_reserve_vcc 0
		.amdhsa_reserve_flat_scratch 0
		.amdhsa_float_round_mode_32 0
		.amdhsa_float_round_mode_16_64 0
		.amdhsa_float_denorm_mode_32 3
		.amdhsa_float_denorm_mode_16_64 3
		.amdhsa_dx10_clamp 1
		.amdhsa_ieee_mode 1
		.amdhsa_fp16_overflow 0
		.amdhsa_tg_split 0
		.amdhsa_exception_fp_ieee_invalid_op 0
		.amdhsa_exception_fp_denorm_src 0
		.amdhsa_exception_fp_ieee_div_zero 0
		.amdhsa_exception_fp_ieee_overflow 0
		.amdhsa_exception_fp_ieee_underflow 0
		.amdhsa_exception_fp_ieee_inexact 0
		.amdhsa_exception_int_div_zero 0
	.end_amdhsa_kernel
	.section	.text._ZN7rocprim17ROCPRIM_400000_NS6detail17trampoline_kernelINS0_14default_configENS1_25partition_config_selectorILNS1_17partition_subalgoE9EllbEEZZNS1_14partition_implILS5_9ELb0ES3_jPlS8_PNS0_10empty_typeENS0_5tupleIJS8_S9_EEENSB_IJS8_SA_EEENS0_18inequality_wrapperIZN2at6native12_GLOBAL__N_124unique_dim_cuda_templateIdEESt5tupleIJNSF_6TensorESK_SK_EERKSK_lbbbEUlllE0_EEPmJS9_EEE10hipError_tPvRmT3_T4_T5_T6_T7_T9_mT8_P12ihipStream_tbDpT10_ENKUlT_T0_E_clISt17integral_constantIbLb1EES1A_EEDaS15_S16_EUlS15_E_NS1_11comp_targetILNS1_3genE10ELNS1_11target_archE1200ELNS1_3gpuE4ELNS1_3repE0EEENS1_30default_config_static_selectorELNS0_4arch9wavefront6targetE1EEEvT1_,"axG",@progbits,_ZN7rocprim17ROCPRIM_400000_NS6detail17trampoline_kernelINS0_14default_configENS1_25partition_config_selectorILNS1_17partition_subalgoE9EllbEEZZNS1_14partition_implILS5_9ELb0ES3_jPlS8_PNS0_10empty_typeENS0_5tupleIJS8_S9_EEENSB_IJS8_SA_EEENS0_18inequality_wrapperIZN2at6native12_GLOBAL__N_124unique_dim_cuda_templateIdEESt5tupleIJNSF_6TensorESK_SK_EERKSK_lbbbEUlllE0_EEPmJS9_EEE10hipError_tPvRmT3_T4_T5_T6_T7_T9_mT8_P12ihipStream_tbDpT10_ENKUlT_T0_E_clISt17integral_constantIbLb1EES1A_EEDaS15_S16_EUlS15_E_NS1_11comp_targetILNS1_3genE10ELNS1_11target_archE1200ELNS1_3gpuE4ELNS1_3repE0EEENS1_30default_config_static_selectorELNS0_4arch9wavefront6targetE1EEEvT1_,comdat
.Lfunc_end852:
	.size	_ZN7rocprim17ROCPRIM_400000_NS6detail17trampoline_kernelINS0_14default_configENS1_25partition_config_selectorILNS1_17partition_subalgoE9EllbEEZZNS1_14partition_implILS5_9ELb0ES3_jPlS8_PNS0_10empty_typeENS0_5tupleIJS8_S9_EEENSB_IJS8_SA_EEENS0_18inequality_wrapperIZN2at6native12_GLOBAL__N_124unique_dim_cuda_templateIdEESt5tupleIJNSF_6TensorESK_SK_EERKSK_lbbbEUlllE0_EEPmJS9_EEE10hipError_tPvRmT3_T4_T5_T6_T7_T9_mT8_P12ihipStream_tbDpT10_ENKUlT_T0_E_clISt17integral_constantIbLb1EES1A_EEDaS15_S16_EUlS15_E_NS1_11comp_targetILNS1_3genE10ELNS1_11target_archE1200ELNS1_3gpuE4ELNS1_3repE0EEENS1_30default_config_static_selectorELNS0_4arch9wavefront6targetE1EEEvT1_, .Lfunc_end852-_ZN7rocprim17ROCPRIM_400000_NS6detail17trampoline_kernelINS0_14default_configENS1_25partition_config_selectorILNS1_17partition_subalgoE9EllbEEZZNS1_14partition_implILS5_9ELb0ES3_jPlS8_PNS0_10empty_typeENS0_5tupleIJS8_S9_EEENSB_IJS8_SA_EEENS0_18inequality_wrapperIZN2at6native12_GLOBAL__N_124unique_dim_cuda_templateIdEESt5tupleIJNSF_6TensorESK_SK_EERKSK_lbbbEUlllE0_EEPmJS9_EEE10hipError_tPvRmT3_T4_T5_T6_T7_T9_mT8_P12ihipStream_tbDpT10_ENKUlT_T0_E_clISt17integral_constantIbLb1EES1A_EEDaS15_S16_EUlS15_E_NS1_11comp_targetILNS1_3genE10ELNS1_11target_archE1200ELNS1_3gpuE4ELNS1_3repE0EEENS1_30default_config_static_selectorELNS0_4arch9wavefront6targetE1EEEvT1_
                                        ; -- End function
	.section	.AMDGPU.csdata,"",@progbits
; Kernel info:
; codeLenInByte = 0
; NumSgprs: 4
; NumVgprs: 0
; NumAgprs: 0
; TotalNumVgprs: 0
; ScratchSize: 0
; MemoryBound: 0
; FloatMode: 240
; IeeeMode: 1
; LDSByteSize: 0 bytes/workgroup (compile time only)
; SGPRBlocks: 0
; VGPRBlocks: 0
; NumSGPRsForWavesPerEU: 4
; NumVGPRsForWavesPerEU: 1
; AccumOffset: 4
; Occupancy: 8
; WaveLimiterHint : 0
; COMPUTE_PGM_RSRC2:SCRATCH_EN: 0
; COMPUTE_PGM_RSRC2:USER_SGPR: 6
; COMPUTE_PGM_RSRC2:TRAP_HANDLER: 0
; COMPUTE_PGM_RSRC2:TGID_X_EN: 1
; COMPUTE_PGM_RSRC2:TGID_Y_EN: 0
; COMPUTE_PGM_RSRC2:TGID_Z_EN: 0
; COMPUTE_PGM_RSRC2:TIDIG_COMP_CNT: 0
; COMPUTE_PGM_RSRC3_GFX90A:ACCUM_OFFSET: 0
; COMPUTE_PGM_RSRC3_GFX90A:TG_SPLIT: 0
	.section	.text._ZN7rocprim17ROCPRIM_400000_NS6detail17trampoline_kernelINS0_14default_configENS1_25partition_config_selectorILNS1_17partition_subalgoE9EllbEEZZNS1_14partition_implILS5_9ELb0ES3_jPlS8_PNS0_10empty_typeENS0_5tupleIJS8_S9_EEENSB_IJS8_SA_EEENS0_18inequality_wrapperIZN2at6native12_GLOBAL__N_124unique_dim_cuda_templateIdEESt5tupleIJNSF_6TensorESK_SK_EERKSK_lbbbEUlllE0_EEPmJS9_EEE10hipError_tPvRmT3_T4_T5_T6_T7_T9_mT8_P12ihipStream_tbDpT10_ENKUlT_T0_E_clISt17integral_constantIbLb1EES1A_EEDaS15_S16_EUlS15_E_NS1_11comp_targetILNS1_3genE9ELNS1_11target_archE1100ELNS1_3gpuE3ELNS1_3repE0EEENS1_30default_config_static_selectorELNS0_4arch9wavefront6targetE1EEEvT1_,"axG",@progbits,_ZN7rocprim17ROCPRIM_400000_NS6detail17trampoline_kernelINS0_14default_configENS1_25partition_config_selectorILNS1_17partition_subalgoE9EllbEEZZNS1_14partition_implILS5_9ELb0ES3_jPlS8_PNS0_10empty_typeENS0_5tupleIJS8_S9_EEENSB_IJS8_SA_EEENS0_18inequality_wrapperIZN2at6native12_GLOBAL__N_124unique_dim_cuda_templateIdEESt5tupleIJNSF_6TensorESK_SK_EERKSK_lbbbEUlllE0_EEPmJS9_EEE10hipError_tPvRmT3_T4_T5_T6_T7_T9_mT8_P12ihipStream_tbDpT10_ENKUlT_T0_E_clISt17integral_constantIbLb1EES1A_EEDaS15_S16_EUlS15_E_NS1_11comp_targetILNS1_3genE9ELNS1_11target_archE1100ELNS1_3gpuE3ELNS1_3repE0EEENS1_30default_config_static_selectorELNS0_4arch9wavefront6targetE1EEEvT1_,comdat
	.globl	_ZN7rocprim17ROCPRIM_400000_NS6detail17trampoline_kernelINS0_14default_configENS1_25partition_config_selectorILNS1_17partition_subalgoE9EllbEEZZNS1_14partition_implILS5_9ELb0ES3_jPlS8_PNS0_10empty_typeENS0_5tupleIJS8_S9_EEENSB_IJS8_SA_EEENS0_18inequality_wrapperIZN2at6native12_GLOBAL__N_124unique_dim_cuda_templateIdEESt5tupleIJNSF_6TensorESK_SK_EERKSK_lbbbEUlllE0_EEPmJS9_EEE10hipError_tPvRmT3_T4_T5_T6_T7_T9_mT8_P12ihipStream_tbDpT10_ENKUlT_T0_E_clISt17integral_constantIbLb1EES1A_EEDaS15_S16_EUlS15_E_NS1_11comp_targetILNS1_3genE9ELNS1_11target_archE1100ELNS1_3gpuE3ELNS1_3repE0EEENS1_30default_config_static_selectorELNS0_4arch9wavefront6targetE1EEEvT1_ ; -- Begin function _ZN7rocprim17ROCPRIM_400000_NS6detail17trampoline_kernelINS0_14default_configENS1_25partition_config_selectorILNS1_17partition_subalgoE9EllbEEZZNS1_14partition_implILS5_9ELb0ES3_jPlS8_PNS0_10empty_typeENS0_5tupleIJS8_S9_EEENSB_IJS8_SA_EEENS0_18inequality_wrapperIZN2at6native12_GLOBAL__N_124unique_dim_cuda_templateIdEESt5tupleIJNSF_6TensorESK_SK_EERKSK_lbbbEUlllE0_EEPmJS9_EEE10hipError_tPvRmT3_T4_T5_T6_T7_T9_mT8_P12ihipStream_tbDpT10_ENKUlT_T0_E_clISt17integral_constantIbLb1EES1A_EEDaS15_S16_EUlS15_E_NS1_11comp_targetILNS1_3genE9ELNS1_11target_archE1100ELNS1_3gpuE3ELNS1_3repE0EEENS1_30default_config_static_selectorELNS0_4arch9wavefront6targetE1EEEvT1_
	.p2align	8
	.type	_ZN7rocprim17ROCPRIM_400000_NS6detail17trampoline_kernelINS0_14default_configENS1_25partition_config_selectorILNS1_17partition_subalgoE9EllbEEZZNS1_14partition_implILS5_9ELb0ES3_jPlS8_PNS0_10empty_typeENS0_5tupleIJS8_S9_EEENSB_IJS8_SA_EEENS0_18inequality_wrapperIZN2at6native12_GLOBAL__N_124unique_dim_cuda_templateIdEESt5tupleIJNSF_6TensorESK_SK_EERKSK_lbbbEUlllE0_EEPmJS9_EEE10hipError_tPvRmT3_T4_T5_T6_T7_T9_mT8_P12ihipStream_tbDpT10_ENKUlT_T0_E_clISt17integral_constantIbLb1EES1A_EEDaS15_S16_EUlS15_E_NS1_11comp_targetILNS1_3genE9ELNS1_11target_archE1100ELNS1_3gpuE3ELNS1_3repE0EEENS1_30default_config_static_selectorELNS0_4arch9wavefront6targetE1EEEvT1_,@function
_ZN7rocprim17ROCPRIM_400000_NS6detail17trampoline_kernelINS0_14default_configENS1_25partition_config_selectorILNS1_17partition_subalgoE9EllbEEZZNS1_14partition_implILS5_9ELb0ES3_jPlS8_PNS0_10empty_typeENS0_5tupleIJS8_S9_EEENSB_IJS8_SA_EEENS0_18inequality_wrapperIZN2at6native12_GLOBAL__N_124unique_dim_cuda_templateIdEESt5tupleIJNSF_6TensorESK_SK_EERKSK_lbbbEUlllE0_EEPmJS9_EEE10hipError_tPvRmT3_T4_T5_T6_T7_T9_mT8_P12ihipStream_tbDpT10_ENKUlT_T0_E_clISt17integral_constantIbLb1EES1A_EEDaS15_S16_EUlS15_E_NS1_11comp_targetILNS1_3genE9ELNS1_11target_archE1100ELNS1_3gpuE3ELNS1_3repE0EEENS1_30default_config_static_selectorELNS0_4arch9wavefront6targetE1EEEvT1_: ; @_ZN7rocprim17ROCPRIM_400000_NS6detail17trampoline_kernelINS0_14default_configENS1_25partition_config_selectorILNS1_17partition_subalgoE9EllbEEZZNS1_14partition_implILS5_9ELb0ES3_jPlS8_PNS0_10empty_typeENS0_5tupleIJS8_S9_EEENSB_IJS8_SA_EEENS0_18inequality_wrapperIZN2at6native12_GLOBAL__N_124unique_dim_cuda_templateIdEESt5tupleIJNSF_6TensorESK_SK_EERKSK_lbbbEUlllE0_EEPmJS9_EEE10hipError_tPvRmT3_T4_T5_T6_T7_T9_mT8_P12ihipStream_tbDpT10_ENKUlT_T0_E_clISt17integral_constantIbLb1EES1A_EEDaS15_S16_EUlS15_E_NS1_11comp_targetILNS1_3genE9ELNS1_11target_archE1100ELNS1_3gpuE3ELNS1_3repE0EEENS1_30default_config_static_selectorELNS0_4arch9wavefront6targetE1EEEvT1_
; %bb.0:
	.section	.rodata,"a",@progbits
	.p2align	6, 0x0
	.amdhsa_kernel _ZN7rocprim17ROCPRIM_400000_NS6detail17trampoline_kernelINS0_14default_configENS1_25partition_config_selectorILNS1_17partition_subalgoE9EllbEEZZNS1_14partition_implILS5_9ELb0ES3_jPlS8_PNS0_10empty_typeENS0_5tupleIJS8_S9_EEENSB_IJS8_SA_EEENS0_18inequality_wrapperIZN2at6native12_GLOBAL__N_124unique_dim_cuda_templateIdEESt5tupleIJNSF_6TensorESK_SK_EERKSK_lbbbEUlllE0_EEPmJS9_EEE10hipError_tPvRmT3_T4_T5_T6_T7_T9_mT8_P12ihipStream_tbDpT10_ENKUlT_T0_E_clISt17integral_constantIbLb1EES1A_EEDaS15_S16_EUlS15_E_NS1_11comp_targetILNS1_3genE9ELNS1_11target_archE1100ELNS1_3gpuE3ELNS1_3repE0EEENS1_30default_config_static_selectorELNS0_4arch9wavefront6targetE1EEEvT1_
		.amdhsa_group_segment_fixed_size 0
		.amdhsa_private_segment_fixed_size 0
		.amdhsa_kernarg_size 136
		.amdhsa_user_sgpr_count 6
		.amdhsa_user_sgpr_private_segment_buffer 1
		.amdhsa_user_sgpr_dispatch_ptr 0
		.amdhsa_user_sgpr_queue_ptr 0
		.amdhsa_user_sgpr_kernarg_segment_ptr 1
		.amdhsa_user_sgpr_dispatch_id 0
		.amdhsa_user_sgpr_flat_scratch_init 0
		.amdhsa_user_sgpr_kernarg_preload_length 0
		.amdhsa_user_sgpr_kernarg_preload_offset 0
		.amdhsa_user_sgpr_private_segment_size 0
		.amdhsa_uses_dynamic_stack 0
		.amdhsa_system_sgpr_private_segment_wavefront_offset 0
		.amdhsa_system_sgpr_workgroup_id_x 1
		.amdhsa_system_sgpr_workgroup_id_y 0
		.amdhsa_system_sgpr_workgroup_id_z 0
		.amdhsa_system_sgpr_workgroup_info 0
		.amdhsa_system_vgpr_workitem_id 0
		.amdhsa_next_free_vgpr 1
		.amdhsa_next_free_sgpr 0
		.amdhsa_accum_offset 4
		.amdhsa_reserve_vcc 0
		.amdhsa_reserve_flat_scratch 0
		.amdhsa_float_round_mode_32 0
		.amdhsa_float_round_mode_16_64 0
		.amdhsa_float_denorm_mode_32 3
		.amdhsa_float_denorm_mode_16_64 3
		.amdhsa_dx10_clamp 1
		.amdhsa_ieee_mode 1
		.amdhsa_fp16_overflow 0
		.amdhsa_tg_split 0
		.amdhsa_exception_fp_ieee_invalid_op 0
		.amdhsa_exception_fp_denorm_src 0
		.amdhsa_exception_fp_ieee_div_zero 0
		.amdhsa_exception_fp_ieee_overflow 0
		.amdhsa_exception_fp_ieee_underflow 0
		.amdhsa_exception_fp_ieee_inexact 0
		.amdhsa_exception_int_div_zero 0
	.end_amdhsa_kernel
	.section	.text._ZN7rocprim17ROCPRIM_400000_NS6detail17trampoline_kernelINS0_14default_configENS1_25partition_config_selectorILNS1_17partition_subalgoE9EllbEEZZNS1_14partition_implILS5_9ELb0ES3_jPlS8_PNS0_10empty_typeENS0_5tupleIJS8_S9_EEENSB_IJS8_SA_EEENS0_18inequality_wrapperIZN2at6native12_GLOBAL__N_124unique_dim_cuda_templateIdEESt5tupleIJNSF_6TensorESK_SK_EERKSK_lbbbEUlllE0_EEPmJS9_EEE10hipError_tPvRmT3_T4_T5_T6_T7_T9_mT8_P12ihipStream_tbDpT10_ENKUlT_T0_E_clISt17integral_constantIbLb1EES1A_EEDaS15_S16_EUlS15_E_NS1_11comp_targetILNS1_3genE9ELNS1_11target_archE1100ELNS1_3gpuE3ELNS1_3repE0EEENS1_30default_config_static_selectorELNS0_4arch9wavefront6targetE1EEEvT1_,"axG",@progbits,_ZN7rocprim17ROCPRIM_400000_NS6detail17trampoline_kernelINS0_14default_configENS1_25partition_config_selectorILNS1_17partition_subalgoE9EllbEEZZNS1_14partition_implILS5_9ELb0ES3_jPlS8_PNS0_10empty_typeENS0_5tupleIJS8_S9_EEENSB_IJS8_SA_EEENS0_18inequality_wrapperIZN2at6native12_GLOBAL__N_124unique_dim_cuda_templateIdEESt5tupleIJNSF_6TensorESK_SK_EERKSK_lbbbEUlllE0_EEPmJS9_EEE10hipError_tPvRmT3_T4_T5_T6_T7_T9_mT8_P12ihipStream_tbDpT10_ENKUlT_T0_E_clISt17integral_constantIbLb1EES1A_EEDaS15_S16_EUlS15_E_NS1_11comp_targetILNS1_3genE9ELNS1_11target_archE1100ELNS1_3gpuE3ELNS1_3repE0EEENS1_30default_config_static_selectorELNS0_4arch9wavefront6targetE1EEEvT1_,comdat
.Lfunc_end853:
	.size	_ZN7rocprim17ROCPRIM_400000_NS6detail17trampoline_kernelINS0_14default_configENS1_25partition_config_selectorILNS1_17partition_subalgoE9EllbEEZZNS1_14partition_implILS5_9ELb0ES3_jPlS8_PNS0_10empty_typeENS0_5tupleIJS8_S9_EEENSB_IJS8_SA_EEENS0_18inequality_wrapperIZN2at6native12_GLOBAL__N_124unique_dim_cuda_templateIdEESt5tupleIJNSF_6TensorESK_SK_EERKSK_lbbbEUlllE0_EEPmJS9_EEE10hipError_tPvRmT3_T4_T5_T6_T7_T9_mT8_P12ihipStream_tbDpT10_ENKUlT_T0_E_clISt17integral_constantIbLb1EES1A_EEDaS15_S16_EUlS15_E_NS1_11comp_targetILNS1_3genE9ELNS1_11target_archE1100ELNS1_3gpuE3ELNS1_3repE0EEENS1_30default_config_static_selectorELNS0_4arch9wavefront6targetE1EEEvT1_, .Lfunc_end853-_ZN7rocprim17ROCPRIM_400000_NS6detail17trampoline_kernelINS0_14default_configENS1_25partition_config_selectorILNS1_17partition_subalgoE9EllbEEZZNS1_14partition_implILS5_9ELb0ES3_jPlS8_PNS0_10empty_typeENS0_5tupleIJS8_S9_EEENSB_IJS8_SA_EEENS0_18inequality_wrapperIZN2at6native12_GLOBAL__N_124unique_dim_cuda_templateIdEESt5tupleIJNSF_6TensorESK_SK_EERKSK_lbbbEUlllE0_EEPmJS9_EEE10hipError_tPvRmT3_T4_T5_T6_T7_T9_mT8_P12ihipStream_tbDpT10_ENKUlT_T0_E_clISt17integral_constantIbLb1EES1A_EEDaS15_S16_EUlS15_E_NS1_11comp_targetILNS1_3genE9ELNS1_11target_archE1100ELNS1_3gpuE3ELNS1_3repE0EEENS1_30default_config_static_selectorELNS0_4arch9wavefront6targetE1EEEvT1_
                                        ; -- End function
	.section	.AMDGPU.csdata,"",@progbits
; Kernel info:
; codeLenInByte = 0
; NumSgprs: 4
; NumVgprs: 0
; NumAgprs: 0
; TotalNumVgprs: 0
; ScratchSize: 0
; MemoryBound: 0
; FloatMode: 240
; IeeeMode: 1
; LDSByteSize: 0 bytes/workgroup (compile time only)
; SGPRBlocks: 0
; VGPRBlocks: 0
; NumSGPRsForWavesPerEU: 4
; NumVGPRsForWavesPerEU: 1
; AccumOffset: 4
; Occupancy: 8
; WaveLimiterHint : 0
; COMPUTE_PGM_RSRC2:SCRATCH_EN: 0
; COMPUTE_PGM_RSRC2:USER_SGPR: 6
; COMPUTE_PGM_RSRC2:TRAP_HANDLER: 0
; COMPUTE_PGM_RSRC2:TGID_X_EN: 1
; COMPUTE_PGM_RSRC2:TGID_Y_EN: 0
; COMPUTE_PGM_RSRC2:TGID_Z_EN: 0
; COMPUTE_PGM_RSRC2:TIDIG_COMP_CNT: 0
; COMPUTE_PGM_RSRC3_GFX90A:ACCUM_OFFSET: 0
; COMPUTE_PGM_RSRC3_GFX90A:TG_SPLIT: 0
	.section	.text._ZN7rocprim17ROCPRIM_400000_NS6detail17trampoline_kernelINS0_14default_configENS1_25partition_config_selectorILNS1_17partition_subalgoE9EllbEEZZNS1_14partition_implILS5_9ELb0ES3_jPlS8_PNS0_10empty_typeENS0_5tupleIJS8_S9_EEENSB_IJS8_SA_EEENS0_18inequality_wrapperIZN2at6native12_GLOBAL__N_124unique_dim_cuda_templateIdEESt5tupleIJNSF_6TensorESK_SK_EERKSK_lbbbEUlllE0_EEPmJS9_EEE10hipError_tPvRmT3_T4_T5_T6_T7_T9_mT8_P12ihipStream_tbDpT10_ENKUlT_T0_E_clISt17integral_constantIbLb1EES1A_EEDaS15_S16_EUlS15_E_NS1_11comp_targetILNS1_3genE8ELNS1_11target_archE1030ELNS1_3gpuE2ELNS1_3repE0EEENS1_30default_config_static_selectorELNS0_4arch9wavefront6targetE1EEEvT1_,"axG",@progbits,_ZN7rocprim17ROCPRIM_400000_NS6detail17trampoline_kernelINS0_14default_configENS1_25partition_config_selectorILNS1_17partition_subalgoE9EllbEEZZNS1_14partition_implILS5_9ELb0ES3_jPlS8_PNS0_10empty_typeENS0_5tupleIJS8_S9_EEENSB_IJS8_SA_EEENS0_18inequality_wrapperIZN2at6native12_GLOBAL__N_124unique_dim_cuda_templateIdEESt5tupleIJNSF_6TensorESK_SK_EERKSK_lbbbEUlllE0_EEPmJS9_EEE10hipError_tPvRmT3_T4_T5_T6_T7_T9_mT8_P12ihipStream_tbDpT10_ENKUlT_T0_E_clISt17integral_constantIbLb1EES1A_EEDaS15_S16_EUlS15_E_NS1_11comp_targetILNS1_3genE8ELNS1_11target_archE1030ELNS1_3gpuE2ELNS1_3repE0EEENS1_30default_config_static_selectorELNS0_4arch9wavefront6targetE1EEEvT1_,comdat
	.globl	_ZN7rocprim17ROCPRIM_400000_NS6detail17trampoline_kernelINS0_14default_configENS1_25partition_config_selectorILNS1_17partition_subalgoE9EllbEEZZNS1_14partition_implILS5_9ELb0ES3_jPlS8_PNS0_10empty_typeENS0_5tupleIJS8_S9_EEENSB_IJS8_SA_EEENS0_18inequality_wrapperIZN2at6native12_GLOBAL__N_124unique_dim_cuda_templateIdEESt5tupleIJNSF_6TensorESK_SK_EERKSK_lbbbEUlllE0_EEPmJS9_EEE10hipError_tPvRmT3_T4_T5_T6_T7_T9_mT8_P12ihipStream_tbDpT10_ENKUlT_T0_E_clISt17integral_constantIbLb1EES1A_EEDaS15_S16_EUlS15_E_NS1_11comp_targetILNS1_3genE8ELNS1_11target_archE1030ELNS1_3gpuE2ELNS1_3repE0EEENS1_30default_config_static_selectorELNS0_4arch9wavefront6targetE1EEEvT1_ ; -- Begin function _ZN7rocprim17ROCPRIM_400000_NS6detail17trampoline_kernelINS0_14default_configENS1_25partition_config_selectorILNS1_17partition_subalgoE9EllbEEZZNS1_14partition_implILS5_9ELb0ES3_jPlS8_PNS0_10empty_typeENS0_5tupleIJS8_S9_EEENSB_IJS8_SA_EEENS0_18inequality_wrapperIZN2at6native12_GLOBAL__N_124unique_dim_cuda_templateIdEESt5tupleIJNSF_6TensorESK_SK_EERKSK_lbbbEUlllE0_EEPmJS9_EEE10hipError_tPvRmT3_T4_T5_T6_T7_T9_mT8_P12ihipStream_tbDpT10_ENKUlT_T0_E_clISt17integral_constantIbLb1EES1A_EEDaS15_S16_EUlS15_E_NS1_11comp_targetILNS1_3genE8ELNS1_11target_archE1030ELNS1_3gpuE2ELNS1_3repE0EEENS1_30default_config_static_selectorELNS0_4arch9wavefront6targetE1EEEvT1_
	.p2align	8
	.type	_ZN7rocprim17ROCPRIM_400000_NS6detail17trampoline_kernelINS0_14default_configENS1_25partition_config_selectorILNS1_17partition_subalgoE9EllbEEZZNS1_14partition_implILS5_9ELb0ES3_jPlS8_PNS0_10empty_typeENS0_5tupleIJS8_S9_EEENSB_IJS8_SA_EEENS0_18inequality_wrapperIZN2at6native12_GLOBAL__N_124unique_dim_cuda_templateIdEESt5tupleIJNSF_6TensorESK_SK_EERKSK_lbbbEUlllE0_EEPmJS9_EEE10hipError_tPvRmT3_T4_T5_T6_T7_T9_mT8_P12ihipStream_tbDpT10_ENKUlT_T0_E_clISt17integral_constantIbLb1EES1A_EEDaS15_S16_EUlS15_E_NS1_11comp_targetILNS1_3genE8ELNS1_11target_archE1030ELNS1_3gpuE2ELNS1_3repE0EEENS1_30default_config_static_selectorELNS0_4arch9wavefront6targetE1EEEvT1_,@function
_ZN7rocprim17ROCPRIM_400000_NS6detail17trampoline_kernelINS0_14default_configENS1_25partition_config_selectorILNS1_17partition_subalgoE9EllbEEZZNS1_14partition_implILS5_9ELb0ES3_jPlS8_PNS0_10empty_typeENS0_5tupleIJS8_S9_EEENSB_IJS8_SA_EEENS0_18inequality_wrapperIZN2at6native12_GLOBAL__N_124unique_dim_cuda_templateIdEESt5tupleIJNSF_6TensorESK_SK_EERKSK_lbbbEUlllE0_EEPmJS9_EEE10hipError_tPvRmT3_T4_T5_T6_T7_T9_mT8_P12ihipStream_tbDpT10_ENKUlT_T0_E_clISt17integral_constantIbLb1EES1A_EEDaS15_S16_EUlS15_E_NS1_11comp_targetILNS1_3genE8ELNS1_11target_archE1030ELNS1_3gpuE2ELNS1_3repE0EEENS1_30default_config_static_selectorELNS0_4arch9wavefront6targetE1EEEvT1_: ; @_ZN7rocprim17ROCPRIM_400000_NS6detail17trampoline_kernelINS0_14default_configENS1_25partition_config_selectorILNS1_17partition_subalgoE9EllbEEZZNS1_14partition_implILS5_9ELb0ES3_jPlS8_PNS0_10empty_typeENS0_5tupleIJS8_S9_EEENSB_IJS8_SA_EEENS0_18inequality_wrapperIZN2at6native12_GLOBAL__N_124unique_dim_cuda_templateIdEESt5tupleIJNSF_6TensorESK_SK_EERKSK_lbbbEUlllE0_EEPmJS9_EEE10hipError_tPvRmT3_T4_T5_T6_T7_T9_mT8_P12ihipStream_tbDpT10_ENKUlT_T0_E_clISt17integral_constantIbLb1EES1A_EEDaS15_S16_EUlS15_E_NS1_11comp_targetILNS1_3genE8ELNS1_11target_archE1030ELNS1_3gpuE2ELNS1_3repE0EEENS1_30default_config_static_selectorELNS0_4arch9wavefront6targetE1EEEvT1_
; %bb.0:
	.section	.rodata,"a",@progbits
	.p2align	6, 0x0
	.amdhsa_kernel _ZN7rocprim17ROCPRIM_400000_NS6detail17trampoline_kernelINS0_14default_configENS1_25partition_config_selectorILNS1_17partition_subalgoE9EllbEEZZNS1_14partition_implILS5_9ELb0ES3_jPlS8_PNS0_10empty_typeENS0_5tupleIJS8_S9_EEENSB_IJS8_SA_EEENS0_18inequality_wrapperIZN2at6native12_GLOBAL__N_124unique_dim_cuda_templateIdEESt5tupleIJNSF_6TensorESK_SK_EERKSK_lbbbEUlllE0_EEPmJS9_EEE10hipError_tPvRmT3_T4_T5_T6_T7_T9_mT8_P12ihipStream_tbDpT10_ENKUlT_T0_E_clISt17integral_constantIbLb1EES1A_EEDaS15_S16_EUlS15_E_NS1_11comp_targetILNS1_3genE8ELNS1_11target_archE1030ELNS1_3gpuE2ELNS1_3repE0EEENS1_30default_config_static_selectorELNS0_4arch9wavefront6targetE1EEEvT1_
		.amdhsa_group_segment_fixed_size 0
		.amdhsa_private_segment_fixed_size 0
		.amdhsa_kernarg_size 136
		.amdhsa_user_sgpr_count 6
		.amdhsa_user_sgpr_private_segment_buffer 1
		.amdhsa_user_sgpr_dispatch_ptr 0
		.amdhsa_user_sgpr_queue_ptr 0
		.amdhsa_user_sgpr_kernarg_segment_ptr 1
		.amdhsa_user_sgpr_dispatch_id 0
		.amdhsa_user_sgpr_flat_scratch_init 0
		.amdhsa_user_sgpr_kernarg_preload_length 0
		.amdhsa_user_sgpr_kernarg_preload_offset 0
		.amdhsa_user_sgpr_private_segment_size 0
		.amdhsa_uses_dynamic_stack 0
		.amdhsa_system_sgpr_private_segment_wavefront_offset 0
		.amdhsa_system_sgpr_workgroup_id_x 1
		.amdhsa_system_sgpr_workgroup_id_y 0
		.amdhsa_system_sgpr_workgroup_id_z 0
		.amdhsa_system_sgpr_workgroup_info 0
		.amdhsa_system_vgpr_workitem_id 0
		.amdhsa_next_free_vgpr 1
		.amdhsa_next_free_sgpr 0
		.amdhsa_accum_offset 4
		.amdhsa_reserve_vcc 0
		.amdhsa_reserve_flat_scratch 0
		.amdhsa_float_round_mode_32 0
		.amdhsa_float_round_mode_16_64 0
		.amdhsa_float_denorm_mode_32 3
		.amdhsa_float_denorm_mode_16_64 3
		.amdhsa_dx10_clamp 1
		.amdhsa_ieee_mode 1
		.amdhsa_fp16_overflow 0
		.amdhsa_tg_split 0
		.amdhsa_exception_fp_ieee_invalid_op 0
		.amdhsa_exception_fp_denorm_src 0
		.amdhsa_exception_fp_ieee_div_zero 0
		.amdhsa_exception_fp_ieee_overflow 0
		.amdhsa_exception_fp_ieee_underflow 0
		.amdhsa_exception_fp_ieee_inexact 0
		.amdhsa_exception_int_div_zero 0
	.end_amdhsa_kernel
	.section	.text._ZN7rocprim17ROCPRIM_400000_NS6detail17trampoline_kernelINS0_14default_configENS1_25partition_config_selectorILNS1_17partition_subalgoE9EllbEEZZNS1_14partition_implILS5_9ELb0ES3_jPlS8_PNS0_10empty_typeENS0_5tupleIJS8_S9_EEENSB_IJS8_SA_EEENS0_18inequality_wrapperIZN2at6native12_GLOBAL__N_124unique_dim_cuda_templateIdEESt5tupleIJNSF_6TensorESK_SK_EERKSK_lbbbEUlllE0_EEPmJS9_EEE10hipError_tPvRmT3_T4_T5_T6_T7_T9_mT8_P12ihipStream_tbDpT10_ENKUlT_T0_E_clISt17integral_constantIbLb1EES1A_EEDaS15_S16_EUlS15_E_NS1_11comp_targetILNS1_3genE8ELNS1_11target_archE1030ELNS1_3gpuE2ELNS1_3repE0EEENS1_30default_config_static_selectorELNS0_4arch9wavefront6targetE1EEEvT1_,"axG",@progbits,_ZN7rocprim17ROCPRIM_400000_NS6detail17trampoline_kernelINS0_14default_configENS1_25partition_config_selectorILNS1_17partition_subalgoE9EllbEEZZNS1_14partition_implILS5_9ELb0ES3_jPlS8_PNS0_10empty_typeENS0_5tupleIJS8_S9_EEENSB_IJS8_SA_EEENS0_18inequality_wrapperIZN2at6native12_GLOBAL__N_124unique_dim_cuda_templateIdEESt5tupleIJNSF_6TensorESK_SK_EERKSK_lbbbEUlllE0_EEPmJS9_EEE10hipError_tPvRmT3_T4_T5_T6_T7_T9_mT8_P12ihipStream_tbDpT10_ENKUlT_T0_E_clISt17integral_constantIbLb1EES1A_EEDaS15_S16_EUlS15_E_NS1_11comp_targetILNS1_3genE8ELNS1_11target_archE1030ELNS1_3gpuE2ELNS1_3repE0EEENS1_30default_config_static_selectorELNS0_4arch9wavefront6targetE1EEEvT1_,comdat
.Lfunc_end854:
	.size	_ZN7rocprim17ROCPRIM_400000_NS6detail17trampoline_kernelINS0_14default_configENS1_25partition_config_selectorILNS1_17partition_subalgoE9EllbEEZZNS1_14partition_implILS5_9ELb0ES3_jPlS8_PNS0_10empty_typeENS0_5tupleIJS8_S9_EEENSB_IJS8_SA_EEENS0_18inequality_wrapperIZN2at6native12_GLOBAL__N_124unique_dim_cuda_templateIdEESt5tupleIJNSF_6TensorESK_SK_EERKSK_lbbbEUlllE0_EEPmJS9_EEE10hipError_tPvRmT3_T4_T5_T6_T7_T9_mT8_P12ihipStream_tbDpT10_ENKUlT_T0_E_clISt17integral_constantIbLb1EES1A_EEDaS15_S16_EUlS15_E_NS1_11comp_targetILNS1_3genE8ELNS1_11target_archE1030ELNS1_3gpuE2ELNS1_3repE0EEENS1_30default_config_static_selectorELNS0_4arch9wavefront6targetE1EEEvT1_, .Lfunc_end854-_ZN7rocprim17ROCPRIM_400000_NS6detail17trampoline_kernelINS0_14default_configENS1_25partition_config_selectorILNS1_17partition_subalgoE9EllbEEZZNS1_14partition_implILS5_9ELb0ES3_jPlS8_PNS0_10empty_typeENS0_5tupleIJS8_S9_EEENSB_IJS8_SA_EEENS0_18inequality_wrapperIZN2at6native12_GLOBAL__N_124unique_dim_cuda_templateIdEESt5tupleIJNSF_6TensorESK_SK_EERKSK_lbbbEUlllE0_EEPmJS9_EEE10hipError_tPvRmT3_T4_T5_T6_T7_T9_mT8_P12ihipStream_tbDpT10_ENKUlT_T0_E_clISt17integral_constantIbLb1EES1A_EEDaS15_S16_EUlS15_E_NS1_11comp_targetILNS1_3genE8ELNS1_11target_archE1030ELNS1_3gpuE2ELNS1_3repE0EEENS1_30default_config_static_selectorELNS0_4arch9wavefront6targetE1EEEvT1_
                                        ; -- End function
	.section	.AMDGPU.csdata,"",@progbits
; Kernel info:
; codeLenInByte = 0
; NumSgprs: 4
; NumVgprs: 0
; NumAgprs: 0
; TotalNumVgprs: 0
; ScratchSize: 0
; MemoryBound: 0
; FloatMode: 240
; IeeeMode: 1
; LDSByteSize: 0 bytes/workgroup (compile time only)
; SGPRBlocks: 0
; VGPRBlocks: 0
; NumSGPRsForWavesPerEU: 4
; NumVGPRsForWavesPerEU: 1
; AccumOffset: 4
; Occupancy: 8
; WaveLimiterHint : 0
; COMPUTE_PGM_RSRC2:SCRATCH_EN: 0
; COMPUTE_PGM_RSRC2:USER_SGPR: 6
; COMPUTE_PGM_RSRC2:TRAP_HANDLER: 0
; COMPUTE_PGM_RSRC2:TGID_X_EN: 1
; COMPUTE_PGM_RSRC2:TGID_Y_EN: 0
; COMPUTE_PGM_RSRC2:TGID_Z_EN: 0
; COMPUTE_PGM_RSRC2:TIDIG_COMP_CNT: 0
; COMPUTE_PGM_RSRC3_GFX90A:ACCUM_OFFSET: 0
; COMPUTE_PGM_RSRC3_GFX90A:TG_SPLIT: 0
	.section	.text._ZN7rocprim17ROCPRIM_400000_NS6detail17trampoline_kernelINS0_14default_configENS1_25partition_config_selectorILNS1_17partition_subalgoE9EllbEEZZNS1_14partition_implILS5_9ELb0ES3_jPlS8_PNS0_10empty_typeENS0_5tupleIJS8_S9_EEENSB_IJS8_SA_EEENS0_18inequality_wrapperIZN2at6native12_GLOBAL__N_124unique_dim_cuda_templateIdEESt5tupleIJNSF_6TensorESK_SK_EERKSK_lbbbEUlllE0_EEPmJS9_EEE10hipError_tPvRmT3_T4_T5_T6_T7_T9_mT8_P12ihipStream_tbDpT10_ENKUlT_T0_E_clISt17integral_constantIbLb1EES19_IbLb0EEEEDaS15_S16_EUlS15_E_NS1_11comp_targetILNS1_3genE0ELNS1_11target_archE4294967295ELNS1_3gpuE0ELNS1_3repE0EEENS1_30default_config_static_selectorELNS0_4arch9wavefront6targetE1EEEvT1_,"axG",@progbits,_ZN7rocprim17ROCPRIM_400000_NS6detail17trampoline_kernelINS0_14default_configENS1_25partition_config_selectorILNS1_17partition_subalgoE9EllbEEZZNS1_14partition_implILS5_9ELb0ES3_jPlS8_PNS0_10empty_typeENS0_5tupleIJS8_S9_EEENSB_IJS8_SA_EEENS0_18inequality_wrapperIZN2at6native12_GLOBAL__N_124unique_dim_cuda_templateIdEESt5tupleIJNSF_6TensorESK_SK_EERKSK_lbbbEUlllE0_EEPmJS9_EEE10hipError_tPvRmT3_T4_T5_T6_T7_T9_mT8_P12ihipStream_tbDpT10_ENKUlT_T0_E_clISt17integral_constantIbLb1EES19_IbLb0EEEEDaS15_S16_EUlS15_E_NS1_11comp_targetILNS1_3genE0ELNS1_11target_archE4294967295ELNS1_3gpuE0ELNS1_3repE0EEENS1_30default_config_static_selectorELNS0_4arch9wavefront6targetE1EEEvT1_,comdat
	.globl	_ZN7rocprim17ROCPRIM_400000_NS6detail17trampoline_kernelINS0_14default_configENS1_25partition_config_selectorILNS1_17partition_subalgoE9EllbEEZZNS1_14partition_implILS5_9ELb0ES3_jPlS8_PNS0_10empty_typeENS0_5tupleIJS8_S9_EEENSB_IJS8_SA_EEENS0_18inequality_wrapperIZN2at6native12_GLOBAL__N_124unique_dim_cuda_templateIdEESt5tupleIJNSF_6TensorESK_SK_EERKSK_lbbbEUlllE0_EEPmJS9_EEE10hipError_tPvRmT3_T4_T5_T6_T7_T9_mT8_P12ihipStream_tbDpT10_ENKUlT_T0_E_clISt17integral_constantIbLb1EES19_IbLb0EEEEDaS15_S16_EUlS15_E_NS1_11comp_targetILNS1_3genE0ELNS1_11target_archE4294967295ELNS1_3gpuE0ELNS1_3repE0EEENS1_30default_config_static_selectorELNS0_4arch9wavefront6targetE1EEEvT1_ ; -- Begin function _ZN7rocprim17ROCPRIM_400000_NS6detail17trampoline_kernelINS0_14default_configENS1_25partition_config_selectorILNS1_17partition_subalgoE9EllbEEZZNS1_14partition_implILS5_9ELb0ES3_jPlS8_PNS0_10empty_typeENS0_5tupleIJS8_S9_EEENSB_IJS8_SA_EEENS0_18inequality_wrapperIZN2at6native12_GLOBAL__N_124unique_dim_cuda_templateIdEESt5tupleIJNSF_6TensorESK_SK_EERKSK_lbbbEUlllE0_EEPmJS9_EEE10hipError_tPvRmT3_T4_T5_T6_T7_T9_mT8_P12ihipStream_tbDpT10_ENKUlT_T0_E_clISt17integral_constantIbLb1EES19_IbLb0EEEEDaS15_S16_EUlS15_E_NS1_11comp_targetILNS1_3genE0ELNS1_11target_archE4294967295ELNS1_3gpuE0ELNS1_3repE0EEENS1_30default_config_static_selectorELNS0_4arch9wavefront6targetE1EEEvT1_
	.p2align	8
	.type	_ZN7rocprim17ROCPRIM_400000_NS6detail17trampoline_kernelINS0_14default_configENS1_25partition_config_selectorILNS1_17partition_subalgoE9EllbEEZZNS1_14partition_implILS5_9ELb0ES3_jPlS8_PNS0_10empty_typeENS0_5tupleIJS8_S9_EEENSB_IJS8_SA_EEENS0_18inequality_wrapperIZN2at6native12_GLOBAL__N_124unique_dim_cuda_templateIdEESt5tupleIJNSF_6TensorESK_SK_EERKSK_lbbbEUlllE0_EEPmJS9_EEE10hipError_tPvRmT3_T4_T5_T6_T7_T9_mT8_P12ihipStream_tbDpT10_ENKUlT_T0_E_clISt17integral_constantIbLb1EES19_IbLb0EEEEDaS15_S16_EUlS15_E_NS1_11comp_targetILNS1_3genE0ELNS1_11target_archE4294967295ELNS1_3gpuE0ELNS1_3repE0EEENS1_30default_config_static_selectorELNS0_4arch9wavefront6targetE1EEEvT1_,@function
_ZN7rocprim17ROCPRIM_400000_NS6detail17trampoline_kernelINS0_14default_configENS1_25partition_config_selectorILNS1_17partition_subalgoE9EllbEEZZNS1_14partition_implILS5_9ELb0ES3_jPlS8_PNS0_10empty_typeENS0_5tupleIJS8_S9_EEENSB_IJS8_SA_EEENS0_18inequality_wrapperIZN2at6native12_GLOBAL__N_124unique_dim_cuda_templateIdEESt5tupleIJNSF_6TensorESK_SK_EERKSK_lbbbEUlllE0_EEPmJS9_EEE10hipError_tPvRmT3_T4_T5_T6_T7_T9_mT8_P12ihipStream_tbDpT10_ENKUlT_T0_E_clISt17integral_constantIbLb1EES19_IbLb0EEEEDaS15_S16_EUlS15_E_NS1_11comp_targetILNS1_3genE0ELNS1_11target_archE4294967295ELNS1_3gpuE0ELNS1_3repE0EEENS1_30default_config_static_selectorELNS0_4arch9wavefront6targetE1EEEvT1_: ; @_ZN7rocprim17ROCPRIM_400000_NS6detail17trampoline_kernelINS0_14default_configENS1_25partition_config_selectorILNS1_17partition_subalgoE9EllbEEZZNS1_14partition_implILS5_9ELb0ES3_jPlS8_PNS0_10empty_typeENS0_5tupleIJS8_S9_EEENSB_IJS8_SA_EEENS0_18inequality_wrapperIZN2at6native12_GLOBAL__N_124unique_dim_cuda_templateIdEESt5tupleIJNSF_6TensorESK_SK_EERKSK_lbbbEUlllE0_EEPmJS9_EEE10hipError_tPvRmT3_T4_T5_T6_T7_T9_mT8_P12ihipStream_tbDpT10_ENKUlT_T0_E_clISt17integral_constantIbLb1EES19_IbLb0EEEEDaS15_S16_EUlS15_E_NS1_11comp_targetILNS1_3genE0ELNS1_11target_archE4294967295ELNS1_3gpuE0ELNS1_3repE0EEENS1_30default_config_static_selectorELNS0_4arch9wavefront6targetE1EEEvT1_
; %bb.0:
	.section	.rodata,"a",@progbits
	.p2align	6, 0x0
	.amdhsa_kernel _ZN7rocprim17ROCPRIM_400000_NS6detail17trampoline_kernelINS0_14default_configENS1_25partition_config_selectorILNS1_17partition_subalgoE9EllbEEZZNS1_14partition_implILS5_9ELb0ES3_jPlS8_PNS0_10empty_typeENS0_5tupleIJS8_S9_EEENSB_IJS8_SA_EEENS0_18inequality_wrapperIZN2at6native12_GLOBAL__N_124unique_dim_cuda_templateIdEESt5tupleIJNSF_6TensorESK_SK_EERKSK_lbbbEUlllE0_EEPmJS9_EEE10hipError_tPvRmT3_T4_T5_T6_T7_T9_mT8_P12ihipStream_tbDpT10_ENKUlT_T0_E_clISt17integral_constantIbLb1EES19_IbLb0EEEEDaS15_S16_EUlS15_E_NS1_11comp_targetILNS1_3genE0ELNS1_11target_archE4294967295ELNS1_3gpuE0ELNS1_3repE0EEENS1_30default_config_static_selectorELNS0_4arch9wavefront6targetE1EEEvT1_
		.amdhsa_group_segment_fixed_size 0
		.amdhsa_private_segment_fixed_size 0
		.amdhsa_kernarg_size 120
		.amdhsa_user_sgpr_count 6
		.amdhsa_user_sgpr_private_segment_buffer 1
		.amdhsa_user_sgpr_dispatch_ptr 0
		.amdhsa_user_sgpr_queue_ptr 0
		.amdhsa_user_sgpr_kernarg_segment_ptr 1
		.amdhsa_user_sgpr_dispatch_id 0
		.amdhsa_user_sgpr_flat_scratch_init 0
		.amdhsa_user_sgpr_kernarg_preload_length 0
		.amdhsa_user_sgpr_kernarg_preload_offset 0
		.amdhsa_user_sgpr_private_segment_size 0
		.amdhsa_uses_dynamic_stack 0
		.amdhsa_system_sgpr_private_segment_wavefront_offset 0
		.amdhsa_system_sgpr_workgroup_id_x 1
		.amdhsa_system_sgpr_workgroup_id_y 0
		.amdhsa_system_sgpr_workgroup_id_z 0
		.amdhsa_system_sgpr_workgroup_info 0
		.amdhsa_system_vgpr_workitem_id 0
		.amdhsa_next_free_vgpr 1
		.amdhsa_next_free_sgpr 0
		.amdhsa_accum_offset 4
		.amdhsa_reserve_vcc 0
		.amdhsa_reserve_flat_scratch 0
		.amdhsa_float_round_mode_32 0
		.amdhsa_float_round_mode_16_64 0
		.amdhsa_float_denorm_mode_32 3
		.amdhsa_float_denorm_mode_16_64 3
		.amdhsa_dx10_clamp 1
		.amdhsa_ieee_mode 1
		.amdhsa_fp16_overflow 0
		.amdhsa_tg_split 0
		.amdhsa_exception_fp_ieee_invalid_op 0
		.amdhsa_exception_fp_denorm_src 0
		.amdhsa_exception_fp_ieee_div_zero 0
		.amdhsa_exception_fp_ieee_overflow 0
		.amdhsa_exception_fp_ieee_underflow 0
		.amdhsa_exception_fp_ieee_inexact 0
		.amdhsa_exception_int_div_zero 0
	.end_amdhsa_kernel
	.section	.text._ZN7rocprim17ROCPRIM_400000_NS6detail17trampoline_kernelINS0_14default_configENS1_25partition_config_selectorILNS1_17partition_subalgoE9EllbEEZZNS1_14partition_implILS5_9ELb0ES3_jPlS8_PNS0_10empty_typeENS0_5tupleIJS8_S9_EEENSB_IJS8_SA_EEENS0_18inequality_wrapperIZN2at6native12_GLOBAL__N_124unique_dim_cuda_templateIdEESt5tupleIJNSF_6TensorESK_SK_EERKSK_lbbbEUlllE0_EEPmJS9_EEE10hipError_tPvRmT3_T4_T5_T6_T7_T9_mT8_P12ihipStream_tbDpT10_ENKUlT_T0_E_clISt17integral_constantIbLb1EES19_IbLb0EEEEDaS15_S16_EUlS15_E_NS1_11comp_targetILNS1_3genE0ELNS1_11target_archE4294967295ELNS1_3gpuE0ELNS1_3repE0EEENS1_30default_config_static_selectorELNS0_4arch9wavefront6targetE1EEEvT1_,"axG",@progbits,_ZN7rocprim17ROCPRIM_400000_NS6detail17trampoline_kernelINS0_14default_configENS1_25partition_config_selectorILNS1_17partition_subalgoE9EllbEEZZNS1_14partition_implILS5_9ELb0ES3_jPlS8_PNS0_10empty_typeENS0_5tupleIJS8_S9_EEENSB_IJS8_SA_EEENS0_18inequality_wrapperIZN2at6native12_GLOBAL__N_124unique_dim_cuda_templateIdEESt5tupleIJNSF_6TensorESK_SK_EERKSK_lbbbEUlllE0_EEPmJS9_EEE10hipError_tPvRmT3_T4_T5_T6_T7_T9_mT8_P12ihipStream_tbDpT10_ENKUlT_T0_E_clISt17integral_constantIbLb1EES19_IbLb0EEEEDaS15_S16_EUlS15_E_NS1_11comp_targetILNS1_3genE0ELNS1_11target_archE4294967295ELNS1_3gpuE0ELNS1_3repE0EEENS1_30default_config_static_selectorELNS0_4arch9wavefront6targetE1EEEvT1_,comdat
.Lfunc_end855:
	.size	_ZN7rocprim17ROCPRIM_400000_NS6detail17trampoline_kernelINS0_14default_configENS1_25partition_config_selectorILNS1_17partition_subalgoE9EllbEEZZNS1_14partition_implILS5_9ELb0ES3_jPlS8_PNS0_10empty_typeENS0_5tupleIJS8_S9_EEENSB_IJS8_SA_EEENS0_18inequality_wrapperIZN2at6native12_GLOBAL__N_124unique_dim_cuda_templateIdEESt5tupleIJNSF_6TensorESK_SK_EERKSK_lbbbEUlllE0_EEPmJS9_EEE10hipError_tPvRmT3_T4_T5_T6_T7_T9_mT8_P12ihipStream_tbDpT10_ENKUlT_T0_E_clISt17integral_constantIbLb1EES19_IbLb0EEEEDaS15_S16_EUlS15_E_NS1_11comp_targetILNS1_3genE0ELNS1_11target_archE4294967295ELNS1_3gpuE0ELNS1_3repE0EEENS1_30default_config_static_selectorELNS0_4arch9wavefront6targetE1EEEvT1_, .Lfunc_end855-_ZN7rocprim17ROCPRIM_400000_NS6detail17trampoline_kernelINS0_14default_configENS1_25partition_config_selectorILNS1_17partition_subalgoE9EllbEEZZNS1_14partition_implILS5_9ELb0ES3_jPlS8_PNS0_10empty_typeENS0_5tupleIJS8_S9_EEENSB_IJS8_SA_EEENS0_18inequality_wrapperIZN2at6native12_GLOBAL__N_124unique_dim_cuda_templateIdEESt5tupleIJNSF_6TensorESK_SK_EERKSK_lbbbEUlllE0_EEPmJS9_EEE10hipError_tPvRmT3_T4_T5_T6_T7_T9_mT8_P12ihipStream_tbDpT10_ENKUlT_T0_E_clISt17integral_constantIbLb1EES19_IbLb0EEEEDaS15_S16_EUlS15_E_NS1_11comp_targetILNS1_3genE0ELNS1_11target_archE4294967295ELNS1_3gpuE0ELNS1_3repE0EEENS1_30default_config_static_selectorELNS0_4arch9wavefront6targetE1EEEvT1_
                                        ; -- End function
	.section	.AMDGPU.csdata,"",@progbits
; Kernel info:
; codeLenInByte = 0
; NumSgprs: 4
; NumVgprs: 0
; NumAgprs: 0
; TotalNumVgprs: 0
; ScratchSize: 0
; MemoryBound: 0
; FloatMode: 240
; IeeeMode: 1
; LDSByteSize: 0 bytes/workgroup (compile time only)
; SGPRBlocks: 0
; VGPRBlocks: 0
; NumSGPRsForWavesPerEU: 4
; NumVGPRsForWavesPerEU: 1
; AccumOffset: 4
; Occupancy: 8
; WaveLimiterHint : 0
; COMPUTE_PGM_RSRC2:SCRATCH_EN: 0
; COMPUTE_PGM_RSRC2:USER_SGPR: 6
; COMPUTE_PGM_RSRC2:TRAP_HANDLER: 0
; COMPUTE_PGM_RSRC2:TGID_X_EN: 1
; COMPUTE_PGM_RSRC2:TGID_Y_EN: 0
; COMPUTE_PGM_RSRC2:TGID_Z_EN: 0
; COMPUTE_PGM_RSRC2:TIDIG_COMP_CNT: 0
; COMPUTE_PGM_RSRC3_GFX90A:ACCUM_OFFSET: 0
; COMPUTE_PGM_RSRC3_GFX90A:TG_SPLIT: 0
	.section	.text._ZN7rocprim17ROCPRIM_400000_NS6detail17trampoline_kernelINS0_14default_configENS1_25partition_config_selectorILNS1_17partition_subalgoE9EllbEEZZNS1_14partition_implILS5_9ELb0ES3_jPlS8_PNS0_10empty_typeENS0_5tupleIJS8_S9_EEENSB_IJS8_SA_EEENS0_18inequality_wrapperIZN2at6native12_GLOBAL__N_124unique_dim_cuda_templateIdEESt5tupleIJNSF_6TensorESK_SK_EERKSK_lbbbEUlllE0_EEPmJS9_EEE10hipError_tPvRmT3_T4_T5_T6_T7_T9_mT8_P12ihipStream_tbDpT10_ENKUlT_T0_E_clISt17integral_constantIbLb1EES19_IbLb0EEEEDaS15_S16_EUlS15_E_NS1_11comp_targetILNS1_3genE5ELNS1_11target_archE942ELNS1_3gpuE9ELNS1_3repE0EEENS1_30default_config_static_selectorELNS0_4arch9wavefront6targetE1EEEvT1_,"axG",@progbits,_ZN7rocprim17ROCPRIM_400000_NS6detail17trampoline_kernelINS0_14default_configENS1_25partition_config_selectorILNS1_17partition_subalgoE9EllbEEZZNS1_14partition_implILS5_9ELb0ES3_jPlS8_PNS0_10empty_typeENS0_5tupleIJS8_S9_EEENSB_IJS8_SA_EEENS0_18inequality_wrapperIZN2at6native12_GLOBAL__N_124unique_dim_cuda_templateIdEESt5tupleIJNSF_6TensorESK_SK_EERKSK_lbbbEUlllE0_EEPmJS9_EEE10hipError_tPvRmT3_T4_T5_T6_T7_T9_mT8_P12ihipStream_tbDpT10_ENKUlT_T0_E_clISt17integral_constantIbLb1EES19_IbLb0EEEEDaS15_S16_EUlS15_E_NS1_11comp_targetILNS1_3genE5ELNS1_11target_archE942ELNS1_3gpuE9ELNS1_3repE0EEENS1_30default_config_static_selectorELNS0_4arch9wavefront6targetE1EEEvT1_,comdat
	.globl	_ZN7rocprim17ROCPRIM_400000_NS6detail17trampoline_kernelINS0_14default_configENS1_25partition_config_selectorILNS1_17partition_subalgoE9EllbEEZZNS1_14partition_implILS5_9ELb0ES3_jPlS8_PNS0_10empty_typeENS0_5tupleIJS8_S9_EEENSB_IJS8_SA_EEENS0_18inequality_wrapperIZN2at6native12_GLOBAL__N_124unique_dim_cuda_templateIdEESt5tupleIJNSF_6TensorESK_SK_EERKSK_lbbbEUlllE0_EEPmJS9_EEE10hipError_tPvRmT3_T4_T5_T6_T7_T9_mT8_P12ihipStream_tbDpT10_ENKUlT_T0_E_clISt17integral_constantIbLb1EES19_IbLb0EEEEDaS15_S16_EUlS15_E_NS1_11comp_targetILNS1_3genE5ELNS1_11target_archE942ELNS1_3gpuE9ELNS1_3repE0EEENS1_30default_config_static_selectorELNS0_4arch9wavefront6targetE1EEEvT1_ ; -- Begin function _ZN7rocprim17ROCPRIM_400000_NS6detail17trampoline_kernelINS0_14default_configENS1_25partition_config_selectorILNS1_17partition_subalgoE9EllbEEZZNS1_14partition_implILS5_9ELb0ES3_jPlS8_PNS0_10empty_typeENS0_5tupleIJS8_S9_EEENSB_IJS8_SA_EEENS0_18inequality_wrapperIZN2at6native12_GLOBAL__N_124unique_dim_cuda_templateIdEESt5tupleIJNSF_6TensorESK_SK_EERKSK_lbbbEUlllE0_EEPmJS9_EEE10hipError_tPvRmT3_T4_T5_T6_T7_T9_mT8_P12ihipStream_tbDpT10_ENKUlT_T0_E_clISt17integral_constantIbLb1EES19_IbLb0EEEEDaS15_S16_EUlS15_E_NS1_11comp_targetILNS1_3genE5ELNS1_11target_archE942ELNS1_3gpuE9ELNS1_3repE0EEENS1_30default_config_static_selectorELNS0_4arch9wavefront6targetE1EEEvT1_
	.p2align	8
	.type	_ZN7rocprim17ROCPRIM_400000_NS6detail17trampoline_kernelINS0_14default_configENS1_25partition_config_selectorILNS1_17partition_subalgoE9EllbEEZZNS1_14partition_implILS5_9ELb0ES3_jPlS8_PNS0_10empty_typeENS0_5tupleIJS8_S9_EEENSB_IJS8_SA_EEENS0_18inequality_wrapperIZN2at6native12_GLOBAL__N_124unique_dim_cuda_templateIdEESt5tupleIJNSF_6TensorESK_SK_EERKSK_lbbbEUlllE0_EEPmJS9_EEE10hipError_tPvRmT3_T4_T5_T6_T7_T9_mT8_P12ihipStream_tbDpT10_ENKUlT_T0_E_clISt17integral_constantIbLb1EES19_IbLb0EEEEDaS15_S16_EUlS15_E_NS1_11comp_targetILNS1_3genE5ELNS1_11target_archE942ELNS1_3gpuE9ELNS1_3repE0EEENS1_30default_config_static_selectorELNS0_4arch9wavefront6targetE1EEEvT1_,@function
_ZN7rocprim17ROCPRIM_400000_NS6detail17trampoline_kernelINS0_14default_configENS1_25partition_config_selectorILNS1_17partition_subalgoE9EllbEEZZNS1_14partition_implILS5_9ELb0ES3_jPlS8_PNS0_10empty_typeENS0_5tupleIJS8_S9_EEENSB_IJS8_SA_EEENS0_18inequality_wrapperIZN2at6native12_GLOBAL__N_124unique_dim_cuda_templateIdEESt5tupleIJNSF_6TensorESK_SK_EERKSK_lbbbEUlllE0_EEPmJS9_EEE10hipError_tPvRmT3_T4_T5_T6_T7_T9_mT8_P12ihipStream_tbDpT10_ENKUlT_T0_E_clISt17integral_constantIbLb1EES19_IbLb0EEEEDaS15_S16_EUlS15_E_NS1_11comp_targetILNS1_3genE5ELNS1_11target_archE942ELNS1_3gpuE9ELNS1_3repE0EEENS1_30default_config_static_selectorELNS0_4arch9wavefront6targetE1EEEvT1_: ; @_ZN7rocprim17ROCPRIM_400000_NS6detail17trampoline_kernelINS0_14default_configENS1_25partition_config_selectorILNS1_17partition_subalgoE9EllbEEZZNS1_14partition_implILS5_9ELb0ES3_jPlS8_PNS0_10empty_typeENS0_5tupleIJS8_S9_EEENSB_IJS8_SA_EEENS0_18inequality_wrapperIZN2at6native12_GLOBAL__N_124unique_dim_cuda_templateIdEESt5tupleIJNSF_6TensorESK_SK_EERKSK_lbbbEUlllE0_EEPmJS9_EEE10hipError_tPvRmT3_T4_T5_T6_T7_T9_mT8_P12ihipStream_tbDpT10_ENKUlT_T0_E_clISt17integral_constantIbLb1EES19_IbLb0EEEEDaS15_S16_EUlS15_E_NS1_11comp_targetILNS1_3genE5ELNS1_11target_archE942ELNS1_3gpuE9ELNS1_3repE0EEENS1_30default_config_static_selectorELNS0_4arch9wavefront6targetE1EEEvT1_
; %bb.0:
	.section	.rodata,"a",@progbits
	.p2align	6, 0x0
	.amdhsa_kernel _ZN7rocprim17ROCPRIM_400000_NS6detail17trampoline_kernelINS0_14default_configENS1_25partition_config_selectorILNS1_17partition_subalgoE9EllbEEZZNS1_14partition_implILS5_9ELb0ES3_jPlS8_PNS0_10empty_typeENS0_5tupleIJS8_S9_EEENSB_IJS8_SA_EEENS0_18inequality_wrapperIZN2at6native12_GLOBAL__N_124unique_dim_cuda_templateIdEESt5tupleIJNSF_6TensorESK_SK_EERKSK_lbbbEUlllE0_EEPmJS9_EEE10hipError_tPvRmT3_T4_T5_T6_T7_T9_mT8_P12ihipStream_tbDpT10_ENKUlT_T0_E_clISt17integral_constantIbLb1EES19_IbLb0EEEEDaS15_S16_EUlS15_E_NS1_11comp_targetILNS1_3genE5ELNS1_11target_archE942ELNS1_3gpuE9ELNS1_3repE0EEENS1_30default_config_static_selectorELNS0_4arch9wavefront6targetE1EEEvT1_
		.amdhsa_group_segment_fixed_size 0
		.amdhsa_private_segment_fixed_size 0
		.amdhsa_kernarg_size 120
		.amdhsa_user_sgpr_count 6
		.amdhsa_user_sgpr_private_segment_buffer 1
		.amdhsa_user_sgpr_dispatch_ptr 0
		.amdhsa_user_sgpr_queue_ptr 0
		.amdhsa_user_sgpr_kernarg_segment_ptr 1
		.amdhsa_user_sgpr_dispatch_id 0
		.amdhsa_user_sgpr_flat_scratch_init 0
		.amdhsa_user_sgpr_kernarg_preload_length 0
		.amdhsa_user_sgpr_kernarg_preload_offset 0
		.amdhsa_user_sgpr_private_segment_size 0
		.amdhsa_uses_dynamic_stack 0
		.amdhsa_system_sgpr_private_segment_wavefront_offset 0
		.amdhsa_system_sgpr_workgroup_id_x 1
		.amdhsa_system_sgpr_workgroup_id_y 0
		.amdhsa_system_sgpr_workgroup_id_z 0
		.amdhsa_system_sgpr_workgroup_info 0
		.amdhsa_system_vgpr_workitem_id 0
		.amdhsa_next_free_vgpr 1
		.amdhsa_next_free_sgpr 0
		.amdhsa_accum_offset 4
		.amdhsa_reserve_vcc 0
		.amdhsa_reserve_flat_scratch 0
		.amdhsa_float_round_mode_32 0
		.amdhsa_float_round_mode_16_64 0
		.amdhsa_float_denorm_mode_32 3
		.amdhsa_float_denorm_mode_16_64 3
		.amdhsa_dx10_clamp 1
		.amdhsa_ieee_mode 1
		.amdhsa_fp16_overflow 0
		.amdhsa_tg_split 0
		.amdhsa_exception_fp_ieee_invalid_op 0
		.amdhsa_exception_fp_denorm_src 0
		.amdhsa_exception_fp_ieee_div_zero 0
		.amdhsa_exception_fp_ieee_overflow 0
		.amdhsa_exception_fp_ieee_underflow 0
		.amdhsa_exception_fp_ieee_inexact 0
		.amdhsa_exception_int_div_zero 0
	.end_amdhsa_kernel
	.section	.text._ZN7rocprim17ROCPRIM_400000_NS6detail17trampoline_kernelINS0_14default_configENS1_25partition_config_selectorILNS1_17partition_subalgoE9EllbEEZZNS1_14partition_implILS5_9ELb0ES3_jPlS8_PNS0_10empty_typeENS0_5tupleIJS8_S9_EEENSB_IJS8_SA_EEENS0_18inequality_wrapperIZN2at6native12_GLOBAL__N_124unique_dim_cuda_templateIdEESt5tupleIJNSF_6TensorESK_SK_EERKSK_lbbbEUlllE0_EEPmJS9_EEE10hipError_tPvRmT3_T4_T5_T6_T7_T9_mT8_P12ihipStream_tbDpT10_ENKUlT_T0_E_clISt17integral_constantIbLb1EES19_IbLb0EEEEDaS15_S16_EUlS15_E_NS1_11comp_targetILNS1_3genE5ELNS1_11target_archE942ELNS1_3gpuE9ELNS1_3repE0EEENS1_30default_config_static_selectorELNS0_4arch9wavefront6targetE1EEEvT1_,"axG",@progbits,_ZN7rocprim17ROCPRIM_400000_NS6detail17trampoline_kernelINS0_14default_configENS1_25partition_config_selectorILNS1_17partition_subalgoE9EllbEEZZNS1_14partition_implILS5_9ELb0ES3_jPlS8_PNS0_10empty_typeENS0_5tupleIJS8_S9_EEENSB_IJS8_SA_EEENS0_18inequality_wrapperIZN2at6native12_GLOBAL__N_124unique_dim_cuda_templateIdEESt5tupleIJNSF_6TensorESK_SK_EERKSK_lbbbEUlllE0_EEPmJS9_EEE10hipError_tPvRmT3_T4_T5_T6_T7_T9_mT8_P12ihipStream_tbDpT10_ENKUlT_T0_E_clISt17integral_constantIbLb1EES19_IbLb0EEEEDaS15_S16_EUlS15_E_NS1_11comp_targetILNS1_3genE5ELNS1_11target_archE942ELNS1_3gpuE9ELNS1_3repE0EEENS1_30default_config_static_selectorELNS0_4arch9wavefront6targetE1EEEvT1_,comdat
.Lfunc_end856:
	.size	_ZN7rocprim17ROCPRIM_400000_NS6detail17trampoline_kernelINS0_14default_configENS1_25partition_config_selectorILNS1_17partition_subalgoE9EllbEEZZNS1_14partition_implILS5_9ELb0ES3_jPlS8_PNS0_10empty_typeENS0_5tupleIJS8_S9_EEENSB_IJS8_SA_EEENS0_18inequality_wrapperIZN2at6native12_GLOBAL__N_124unique_dim_cuda_templateIdEESt5tupleIJNSF_6TensorESK_SK_EERKSK_lbbbEUlllE0_EEPmJS9_EEE10hipError_tPvRmT3_T4_T5_T6_T7_T9_mT8_P12ihipStream_tbDpT10_ENKUlT_T0_E_clISt17integral_constantIbLb1EES19_IbLb0EEEEDaS15_S16_EUlS15_E_NS1_11comp_targetILNS1_3genE5ELNS1_11target_archE942ELNS1_3gpuE9ELNS1_3repE0EEENS1_30default_config_static_selectorELNS0_4arch9wavefront6targetE1EEEvT1_, .Lfunc_end856-_ZN7rocprim17ROCPRIM_400000_NS6detail17trampoline_kernelINS0_14default_configENS1_25partition_config_selectorILNS1_17partition_subalgoE9EllbEEZZNS1_14partition_implILS5_9ELb0ES3_jPlS8_PNS0_10empty_typeENS0_5tupleIJS8_S9_EEENSB_IJS8_SA_EEENS0_18inequality_wrapperIZN2at6native12_GLOBAL__N_124unique_dim_cuda_templateIdEESt5tupleIJNSF_6TensorESK_SK_EERKSK_lbbbEUlllE0_EEPmJS9_EEE10hipError_tPvRmT3_T4_T5_T6_T7_T9_mT8_P12ihipStream_tbDpT10_ENKUlT_T0_E_clISt17integral_constantIbLb1EES19_IbLb0EEEEDaS15_S16_EUlS15_E_NS1_11comp_targetILNS1_3genE5ELNS1_11target_archE942ELNS1_3gpuE9ELNS1_3repE0EEENS1_30default_config_static_selectorELNS0_4arch9wavefront6targetE1EEEvT1_
                                        ; -- End function
	.section	.AMDGPU.csdata,"",@progbits
; Kernel info:
; codeLenInByte = 0
; NumSgprs: 4
; NumVgprs: 0
; NumAgprs: 0
; TotalNumVgprs: 0
; ScratchSize: 0
; MemoryBound: 0
; FloatMode: 240
; IeeeMode: 1
; LDSByteSize: 0 bytes/workgroup (compile time only)
; SGPRBlocks: 0
; VGPRBlocks: 0
; NumSGPRsForWavesPerEU: 4
; NumVGPRsForWavesPerEU: 1
; AccumOffset: 4
; Occupancy: 8
; WaveLimiterHint : 0
; COMPUTE_PGM_RSRC2:SCRATCH_EN: 0
; COMPUTE_PGM_RSRC2:USER_SGPR: 6
; COMPUTE_PGM_RSRC2:TRAP_HANDLER: 0
; COMPUTE_PGM_RSRC2:TGID_X_EN: 1
; COMPUTE_PGM_RSRC2:TGID_Y_EN: 0
; COMPUTE_PGM_RSRC2:TGID_Z_EN: 0
; COMPUTE_PGM_RSRC2:TIDIG_COMP_CNT: 0
; COMPUTE_PGM_RSRC3_GFX90A:ACCUM_OFFSET: 0
; COMPUTE_PGM_RSRC3_GFX90A:TG_SPLIT: 0
	.section	.text._ZN7rocprim17ROCPRIM_400000_NS6detail17trampoline_kernelINS0_14default_configENS1_25partition_config_selectorILNS1_17partition_subalgoE9EllbEEZZNS1_14partition_implILS5_9ELb0ES3_jPlS8_PNS0_10empty_typeENS0_5tupleIJS8_S9_EEENSB_IJS8_SA_EEENS0_18inequality_wrapperIZN2at6native12_GLOBAL__N_124unique_dim_cuda_templateIdEESt5tupleIJNSF_6TensorESK_SK_EERKSK_lbbbEUlllE0_EEPmJS9_EEE10hipError_tPvRmT3_T4_T5_T6_T7_T9_mT8_P12ihipStream_tbDpT10_ENKUlT_T0_E_clISt17integral_constantIbLb1EES19_IbLb0EEEEDaS15_S16_EUlS15_E_NS1_11comp_targetILNS1_3genE4ELNS1_11target_archE910ELNS1_3gpuE8ELNS1_3repE0EEENS1_30default_config_static_selectorELNS0_4arch9wavefront6targetE1EEEvT1_,"axG",@progbits,_ZN7rocprim17ROCPRIM_400000_NS6detail17trampoline_kernelINS0_14default_configENS1_25partition_config_selectorILNS1_17partition_subalgoE9EllbEEZZNS1_14partition_implILS5_9ELb0ES3_jPlS8_PNS0_10empty_typeENS0_5tupleIJS8_S9_EEENSB_IJS8_SA_EEENS0_18inequality_wrapperIZN2at6native12_GLOBAL__N_124unique_dim_cuda_templateIdEESt5tupleIJNSF_6TensorESK_SK_EERKSK_lbbbEUlllE0_EEPmJS9_EEE10hipError_tPvRmT3_T4_T5_T6_T7_T9_mT8_P12ihipStream_tbDpT10_ENKUlT_T0_E_clISt17integral_constantIbLb1EES19_IbLb0EEEEDaS15_S16_EUlS15_E_NS1_11comp_targetILNS1_3genE4ELNS1_11target_archE910ELNS1_3gpuE8ELNS1_3repE0EEENS1_30default_config_static_selectorELNS0_4arch9wavefront6targetE1EEEvT1_,comdat
	.globl	_ZN7rocprim17ROCPRIM_400000_NS6detail17trampoline_kernelINS0_14default_configENS1_25partition_config_selectorILNS1_17partition_subalgoE9EllbEEZZNS1_14partition_implILS5_9ELb0ES3_jPlS8_PNS0_10empty_typeENS0_5tupleIJS8_S9_EEENSB_IJS8_SA_EEENS0_18inequality_wrapperIZN2at6native12_GLOBAL__N_124unique_dim_cuda_templateIdEESt5tupleIJNSF_6TensorESK_SK_EERKSK_lbbbEUlllE0_EEPmJS9_EEE10hipError_tPvRmT3_T4_T5_T6_T7_T9_mT8_P12ihipStream_tbDpT10_ENKUlT_T0_E_clISt17integral_constantIbLb1EES19_IbLb0EEEEDaS15_S16_EUlS15_E_NS1_11comp_targetILNS1_3genE4ELNS1_11target_archE910ELNS1_3gpuE8ELNS1_3repE0EEENS1_30default_config_static_selectorELNS0_4arch9wavefront6targetE1EEEvT1_ ; -- Begin function _ZN7rocprim17ROCPRIM_400000_NS6detail17trampoline_kernelINS0_14default_configENS1_25partition_config_selectorILNS1_17partition_subalgoE9EllbEEZZNS1_14partition_implILS5_9ELb0ES3_jPlS8_PNS0_10empty_typeENS0_5tupleIJS8_S9_EEENSB_IJS8_SA_EEENS0_18inequality_wrapperIZN2at6native12_GLOBAL__N_124unique_dim_cuda_templateIdEESt5tupleIJNSF_6TensorESK_SK_EERKSK_lbbbEUlllE0_EEPmJS9_EEE10hipError_tPvRmT3_T4_T5_T6_T7_T9_mT8_P12ihipStream_tbDpT10_ENKUlT_T0_E_clISt17integral_constantIbLb1EES19_IbLb0EEEEDaS15_S16_EUlS15_E_NS1_11comp_targetILNS1_3genE4ELNS1_11target_archE910ELNS1_3gpuE8ELNS1_3repE0EEENS1_30default_config_static_selectorELNS0_4arch9wavefront6targetE1EEEvT1_
	.p2align	8
	.type	_ZN7rocprim17ROCPRIM_400000_NS6detail17trampoline_kernelINS0_14default_configENS1_25partition_config_selectorILNS1_17partition_subalgoE9EllbEEZZNS1_14partition_implILS5_9ELb0ES3_jPlS8_PNS0_10empty_typeENS0_5tupleIJS8_S9_EEENSB_IJS8_SA_EEENS0_18inequality_wrapperIZN2at6native12_GLOBAL__N_124unique_dim_cuda_templateIdEESt5tupleIJNSF_6TensorESK_SK_EERKSK_lbbbEUlllE0_EEPmJS9_EEE10hipError_tPvRmT3_T4_T5_T6_T7_T9_mT8_P12ihipStream_tbDpT10_ENKUlT_T0_E_clISt17integral_constantIbLb1EES19_IbLb0EEEEDaS15_S16_EUlS15_E_NS1_11comp_targetILNS1_3genE4ELNS1_11target_archE910ELNS1_3gpuE8ELNS1_3repE0EEENS1_30default_config_static_selectorELNS0_4arch9wavefront6targetE1EEEvT1_,@function
_ZN7rocprim17ROCPRIM_400000_NS6detail17trampoline_kernelINS0_14default_configENS1_25partition_config_selectorILNS1_17partition_subalgoE9EllbEEZZNS1_14partition_implILS5_9ELb0ES3_jPlS8_PNS0_10empty_typeENS0_5tupleIJS8_S9_EEENSB_IJS8_SA_EEENS0_18inequality_wrapperIZN2at6native12_GLOBAL__N_124unique_dim_cuda_templateIdEESt5tupleIJNSF_6TensorESK_SK_EERKSK_lbbbEUlllE0_EEPmJS9_EEE10hipError_tPvRmT3_T4_T5_T6_T7_T9_mT8_P12ihipStream_tbDpT10_ENKUlT_T0_E_clISt17integral_constantIbLb1EES19_IbLb0EEEEDaS15_S16_EUlS15_E_NS1_11comp_targetILNS1_3genE4ELNS1_11target_archE910ELNS1_3gpuE8ELNS1_3repE0EEENS1_30default_config_static_selectorELNS0_4arch9wavefront6targetE1EEEvT1_: ; @_ZN7rocprim17ROCPRIM_400000_NS6detail17trampoline_kernelINS0_14default_configENS1_25partition_config_selectorILNS1_17partition_subalgoE9EllbEEZZNS1_14partition_implILS5_9ELb0ES3_jPlS8_PNS0_10empty_typeENS0_5tupleIJS8_S9_EEENSB_IJS8_SA_EEENS0_18inequality_wrapperIZN2at6native12_GLOBAL__N_124unique_dim_cuda_templateIdEESt5tupleIJNSF_6TensorESK_SK_EERKSK_lbbbEUlllE0_EEPmJS9_EEE10hipError_tPvRmT3_T4_T5_T6_T7_T9_mT8_P12ihipStream_tbDpT10_ENKUlT_T0_E_clISt17integral_constantIbLb1EES19_IbLb0EEEEDaS15_S16_EUlS15_E_NS1_11comp_targetILNS1_3genE4ELNS1_11target_archE910ELNS1_3gpuE8ELNS1_3repE0EEENS1_30default_config_static_selectorELNS0_4arch9wavefront6targetE1EEEvT1_
; %bb.0:
	s_load_dwordx8 s[20:27], s[4:5], 0x40
	s_load_dwordx4 s[0:3], s[4:5], 0x8
	s_load_dwordx2 s[12:13], s[4:5], 0x18
	s_load_dword s9, s[4:5], 0x70
	v_lshrrev_b32_e32 v18, 2, v0
	s_waitcnt lgkmcnt(0)
	v_mov_b32_e32 v2, s24
	s_lshl_b64 s[14:15], s[2:3], 3
	s_add_u32 s18, s0, s14
	s_addc_u32 s19, s1, s15
	s_add_i32 s10, s9, -1
	s_lshl_b32 s0, s10, 9
	s_add_i32 s0, s2, s0
	s_lshl_b32 s8, s6, 9
	s_sub_i32 s7, s24, s0
	s_lshl_b32 s0, s9, 9
	s_add_u32 s0, s2, s0
	s_addc_u32 s1, s3, 0
	v_mov_b32_e32 v3, s25
	s_cmp_eq_u32 s6, s10
	s_load_dwordx2 s[22:23], s[22:23], 0x0
	v_cmp_ge_u64_e32 vcc, s[0:1], v[2:3]
	s_cselect_b64 s[24:25], -1, 0
	s_mov_b32 s9, 0
	s_and_b64 s[10:11], s[24:25], vcc
	s_xor_b64 s[34:35], s[10:11], -1
	s_lshl_b64 s[16:17], s[8:9], 3
	s_add_u32 s8, s18, s16
	s_mov_b64 s[0:1], -1
	s_addc_u32 s9, s19, s17
	s_and_b64 vcc, exec, s[34:35]
	s_cbranch_vccz .LBB857_2
; %bb.1:
	v_lshlrev_b32_e32 v1, 3, v0
	global_load_dwordx2 v[2:3], v1, s[8:9]
	global_load_dwordx2 v[4:5], v1, s[8:9] offset:1024
	global_load_dwordx2 v[6:7], v1, s[8:9] offset:2048
	;; [unrolled: 1-line block ×3, first 2 shown]
	v_or_b32_e32 v11, 0x80, v0
	v_or_b32_e32 v12, 0x100, v0
	;; [unrolled: 1-line block ×3, first 2 shown]
	v_and_b32_e32 v10, 24, v18
	v_lshrrev_b32_e32 v11, 2, v11
	v_lshrrev_b32_e32 v12, 2, v12
	;; [unrolled: 1-line block ×3, first 2 shown]
	v_add_u32_e32 v10, v10, v1
	v_and_b32_e32 v11, 56, v11
	v_and_b32_e32 v12, 0x58, v12
	;; [unrolled: 1-line block ×3, first 2 shown]
	v_add_u32_e32 v11, v11, v1
	v_add_u32_e32 v12, v12, v1
	;; [unrolled: 1-line block ×3, first 2 shown]
	s_mov_b64 s[0:1], 0
	s_waitcnt vmcnt(3)
	ds_write_b64 v10, v[2:3]
	s_waitcnt vmcnt(2)
	ds_write_b64 v11, v[4:5] offset:1024
	s_waitcnt vmcnt(1)
	ds_write_b64 v12, v[6:7] offset:2048
	;; [unrolled: 2-line block ×3, first 2 shown]
	s_waitcnt lgkmcnt(0)
	s_barrier
.LBB857_2:
	s_load_dwordx4 s[28:31], s[4:5], 0x60
	s_andn2_b64 vcc, exec, s[0:1]
	v_cmp_gt_u32_e64 s[0:1], s7, v0
	s_cbranch_vccnz .LBB857_12
; %bb.3:
                                        ; implicit-def: $vgpr2_vgpr3_vgpr4_vgpr5_vgpr6_vgpr7_vgpr8_vgpr9
	s_and_saveexec_b64 s[18:19], s[0:1]
	s_cbranch_execz .LBB857_5
; %bb.4:
	v_lshlrev_b32_e32 v1, 3, v0
	global_load_dwordx2 v[2:3], v1, s[8:9]
.LBB857_5:
	s_or_b64 exec, exec, s[18:19]
	v_or_b32_e32 v1, 0x80, v0
	v_cmp_gt_u32_e32 vcc, s7, v1
	s_and_saveexec_b64 s[0:1], vcc
	s_cbranch_execz .LBB857_7
; %bb.6:
	v_lshlrev_b32_e32 v4, 3, v0
	global_load_dwordx2 v[4:5], v4, s[8:9] offset:1024
.LBB857_7:
	s_or_b64 exec, exec, s[0:1]
	v_or_b32_e32 v10, 0x100, v0
	v_cmp_gt_u32_e32 vcc, s7, v10
	s_and_saveexec_b64 s[0:1], vcc
	s_cbranch_execz .LBB857_9
; %bb.8:
	v_lshlrev_b32_e32 v6, 3, v0
	global_load_dwordx2 v[6:7], v6, s[8:9] offset:2048
.LBB857_9:
	;; [unrolled: 9-line block ×3, first 2 shown]
	s_or_b64 exec, exec, s[0:1]
	v_lshrrev_b32_e32 v1, 2, v1
	v_lshlrev_b32_e32 v13, 3, v0
	v_and_b32_e32 v1, 56, v1
	v_add_u32_e32 v1, v1, v13
	s_waitcnt vmcnt(0)
	ds_write_b64 v1, v[4:5] offset:1024
	v_lshrrev_b32_e32 v1, 2, v10
	v_and_b32_e32 v1, 0x78, v1
	v_add_u32_e32 v1, v1, v13
	ds_write_b64 v1, v[6:7] offset:2048
	v_lshrrev_b32_e32 v1, 2, v11
	v_and_b32_e32 v12, 24, v18
	v_and_b32_e32 v1, 0x78, v1
	v_add_u32_e32 v12, v12, v13
	v_add_u32_e32 v1, v1, v13
	ds_write_b64 v12, v[2:3]
	ds_write_b64 v1, v[8:9] offset:3072
	s_waitcnt lgkmcnt(0)
	s_barrier
.LBB857_12:
	v_lshlrev_b32_e32 v1, 2, v0
	v_lshrrev_b32_e32 v2, 3, v0
	v_add_lshl_u32 v19, v2, v1, 3
	s_waitcnt lgkmcnt(0)
	ds_read2_b64 v[14:17], v19 offset1:1
	ds_read2_b64 v[10:13], v19 offset0:2 offset1:3
	s_add_u32 s0, s12, s14
	s_addc_u32 s1, s13, s15
	s_add_u32 s0, s0, s16
	s_addc_u32 s1, s1, s17
	s_mov_b64 s[12:13], -1
	s_and_b64 vcc, exec, s[34:35]
	s_waitcnt lgkmcnt(0)
	s_barrier
	s_cbranch_vccz .LBB857_14
; %bb.13:
	v_lshlrev_b32_e32 v20, 3, v0
	global_load_dwordx2 v[2:3], v20, s[0:1]
	global_load_dwordx2 v[4:5], v20, s[0:1] offset:1024
	global_load_dwordx2 v[6:7], v20, s[0:1] offset:2048
	;; [unrolled: 1-line block ×3, first 2 shown]
	v_or_b32_e32 v22, 0x80, v0
	v_or_b32_e32 v23, 0x100, v0
	;; [unrolled: 1-line block ×3, first 2 shown]
	v_and_b32_e32 v21, 24, v18
	v_lshrrev_b32_e32 v22, 2, v22
	v_lshrrev_b32_e32 v23, 2, v23
	;; [unrolled: 1-line block ×3, first 2 shown]
	v_add_u32_e32 v21, v21, v20
	v_and_b32_e32 v22, 56, v22
	v_and_b32_e32 v23, 0x58, v23
	;; [unrolled: 1-line block ×3, first 2 shown]
	v_add_u32_e32 v22, v22, v20
	v_add_u32_e32 v23, v23, v20
	;; [unrolled: 1-line block ×3, first 2 shown]
	s_mov_b64 s[12:13], 0
	s_waitcnt vmcnt(3)
	ds_write_b64 v21, v[2:3]
	s_waitcnt vmcnt(2)
	ds_write_b64 v22, v[4:5] offset:1024
	s_waitcnt vmcnt(1)
	ds_write_b64 v23, v[6:7] offset:2048
	;; [unrolled: 2-line block ×3, first 2 shown]
	s_waitcnt lgkmcnt(0)
	s_barrier
.LBB857_14:
	s_andn2_b64 vcc, exec, s[12:13]
	s_cbranch_vccnz .LBB857_24
; %bb.15:
	v_cmp_gt_u32_e32 vcc, s7, v0
                                        ; implicit-def: $vgpr2_vgpr3
	s_and_saveexec_b64 s[12:13], vcc
	s_cbranch_execz .LBB857_17
; %bb.16:
	v_lshlrev_b32_e32 v2, 3, v0
	global_load_dwordx2 v[2:3], v2, s[0:1]
.LBB857_17:
	s_or_b64 exec, exec, s[12:13]
	v_or_b32_e32 v20, 0x80, v0
	v_cmp_gt_u32_e32 vcc, s7, v20
                                        ; implicit-def: $vgpr4_vgpr5
	s_and_saveexec_b64 s[12:13], vcc
	s_cbranch_execz .LBB857_19
; %bb.18:
	v_lshlrev_b32_e32 v4, 3, v0
	global_load_dwordx2 v[4:5], v4, s[0:1] offset:1024
.LBB857_19:
	s_or_b64 exec, exec, s[12:13]
	v_or_b32_e32 v21, 0x100, v0
	v_cmp_gt_u32_e32 vcc, s7, v21
                                        ; implicit-def: $vgpr6_vgpr7
	s_and_saveexec_b64 s[12:13], vcc
	s_cbranch_execz .LBB857_21
; %bb.20:
	v_lshlrev_b32_e32 v6, 3, v0
	global_load_dwordx2 v[6:7], v6, s[0:1] offset:2048
.LBB857_21:
	s_or_b64 exec, exec, s[12:13]
	v_or_b32_e32 v22, 0x180, v0
	v_cmp_gt_u32_e32 vcc, s7, v22
                                        ; implicit-def: $vgpr8_vgpr9
	s_and_saveexec_b64 s[12:13], vcc
	s_cbranch_execz .LBB857_23
; %bb.22:
	v_lshlrev_b32_e32 v8, 3, v0
	global_load_dwordx2 v[8:9], v8, s[0:1] offset:3072
.LBB857_23:
	s_or_b64 exec, exec, s[12:13]
	v_and_b32_e32 v18, 24, v18
	v_lshlrev_b32_e32 v23, 3, v0
	v_add_u32_e32 v18, v18, v23
	s_waitcnt vmcnt(0)
	ds_write_b64 v18, v[2:3]
	v_lshrrev_b32_e32 v2, 2, v20
	v_and_b32_e32 v2, 56, v2
	v_add_u32_e32 v2, v2, v23
	ds_write_b64 v2, v[4:5] offset:1024
	v_lshrrev_b32_e32 v2, 2, v21
	v_and_b32_e32 v2, 0x78, v2
	v_add_u32_e32 v2, v2, v23
	ds_write_b64 v2, v[6:7] offset:2048
	;; [unrolled: 4-line block ×3, first 2 shown]
	s_waitcnt lgkmcnt(0)
	s_barrier
.LBB857_24:
	ds_read2_b64 v[6:9], v19 offset1:1
	ds_read2_b64 v[2:5], v19 offset0:2 offset1:3
	s_cmp_lg_u32 s6, 0
	s_cselect_b64 s[16:17], -1, 0
	s_cmp_lg_u64 s[2:3], 0
	s_cselect_b64 s[0:1], -1, 0
	s_or_b64 s[0:1], s[16:17], s[0:1]
	s_mov_b64 s[12:13], 0
	s_and_b64 vcc, exec, s[0:1]
	v_cmp_gt_i64_e64 s[0:1], s[26:27], 0
	s_waitcnt lgkmcnt(0)
	s_barrier
	s_cbranch_vccz .LBB857_33
; %bb.25:
	s_add_u32 s2, s8, -8
	s_addc_u32 s3, s9, -1
	s_load_dwordx2 s[12:13], s[2:3], 0x0
	v_cndmask_b32_e64 v18, 0, 1, s[0:1]
	v_lshlrev_b32_e32 v26, 3, v0
	s_mov_b64 s[14:15], 0
	s_and_b64 vcc, exec, s[34:35]
	v_cmp_ne_u32_e64 s[0:1], 1, v18
	ds_write_b64 v26, v[12:13]
	s_cbranch_vccz .LBB857_34
; %bb.26:
	v_mul_lo_u32 v20, v11, s26
	v_mul_lo_u32 v21, v10, s27
	v_mad_u64_u32 v[18:19], s[2:3], v10, s26, 0
	v_add3_u32 v19, v19, v21, v20
	s_and_b64 vcc, exec, s[0:1]
	v_lshlrev_b64 v[18:19], 3, v[18:19]
	s_cbranch_vccnz .LBB857_37
; %bb.27:
	v_mul_lo_u32 v22, v13, s26
	v_mul_lo_u32 v23, v12, s27
	v_mad_u64_u32 v[20:21], s[2:3], v12, s26, 0
	v_add3_u32 v21, v21, v23, v22
	v_mov_b32_e32 v23, s29
	v_add_co_u32_e32 v22, vcc, s28, v18
	v_addc_co_u32_e64 v23, s[2:3], v23, v19, vcc
	v_lshlrev_b64 v[20:21], 3, v[20:21]
	v_mov_b32_e32 v25, s29
	v_add_co_u32_e64 v24, s[2:3], s28, v20
	v_addc_co_u32_e64 v25, s[8:9], v25, v21, s[2:3]
	global_load_dwordx2 v[28:29], v[22:23], off
	global_load_dwordx2 v[30:31], v[24:25], off
	s_mov_b64 s[14:15], -1
	s_waitcnt vmcnt(0)
	v_cmp_eq_f64_e64 s[8:9], v[28:29], v[30:31]
	s_and_saveexec_b64 s[18:19], s[8:9]
	s_cbranch_execz .LBB857_36
; %bb.28:
	v_mov_b32_e32 v20, s29
	v_addc_co_u32_e64 v21, s[2:3], v21, v20, s[2:3]
	v_add_co_u32_e64 v20, s[2:3], 8, v24
	v_mov_b32_e32 v23, s29
	v_addc_co_u32_e64 v21, s[2:3], 0, v21, s[2:3]
	v_addc_co_u32_e32 v23, vcc, v19, v23, vcc
	v_add_co_u32_e32 v22, vcc, 8, v22
	s_add_u32 s2, s26, -1
	v_addc_co_u32_e32 v23, vcc, 0, v23, vcc
	s_addc_u32 s3, s27, -1
	s_mov_b64 s[8:9], 0
	s_mov_b64 s[36:37], 0
                                        ; implicit-def: $sgpr14_sgpr15
	s_branch .LBB857_31
.LBB857_29:                             ;   in Loop: Header=BB857_31 Depth=1
	global_load_dwordx2 v[24:25], v[22:23], off
	global_load_dwordx2 v[28:29], v[20:21], off
	v_add_co_u32_e32 v20, vcc, 8, v20
	v_addc_co_u32_e32 v21, vcc, 0, v21, vcc
	v_add_co_u32_e32 v22, vcc, 8, v22
	v_addc_co_u32_e32 v23, vcc, 0, v23, vcc
	s_add_u32 s36, s36, 1
	s_addc_u32 s37, s37, 0
	s_andn2_b64 s[14:15], s[14:15], exec
	s_waitcnt vmcnt(0)
	v_cmp_neq_f64_e32 vcc, v[24:25], v[28:29]
	s_and_b64 s[38:39], vcc, exec
	s_or_b64 s[14:15], s[14:15], s[38:39]
.LBB857_30:                             ;   in Loop: Header=BB857_31 Depth=1
	s_and_b64 s[38:39], exec, s[14:15]
	s_or_b64 s[8:9], s[38:39], s[8:9]
	v_pk_mov_b32 v[24:25], s[36:37], s[36:37] op_sel:[0,1]
	s_andn2_b64 exec, exec, s[8:9]
	s_cbranch_execz .LBB857_35
.LBB857_31:                             ; =>This Inner Loop Header: Depth=1
	s_or_b64 s[14:15], s[14:15], exec
	s_cmp_eq_u64 s[2:3], s[36:37]
	s_cbranch_scc0 .LBB857_29
; %bb.32:                               ;   in Loop: Header=BB857_31 Depth=1
                                        ; implicit-def: $vgpr20_vgpr21
                                        ; implicit-def: $vgpr22_vgpr23
	s_mov_b64 s[36:37], s[26:27]
	s_branch .LBB857_30
.LBB857_33:
                                        ; implicit-def: $sgpr18_sgpr19
                                        ; implicit-def: $vgpr28
	s_branch .LBB857_115
.LBB857_34:
                                        ; implicit-def: $sgpr18_sgpr19
                                        ; implicit-def: $vgpr28
	s_cbranch_execnz .LBB857_67
	s_branch .LBB857_114
.LBB857_35:
	s_or_b64 exec, exec, s[8:9]
	v_cmp_gt_i64_e32 vcc, s[26:27], v[24:25]
	s_orn2_b64 s[14:15], vcc, exec
.LBB857_36:
	s_or_b64 exec, exec, s[18:19]
.LBB857_37:
	v_mul_lo_u32 v22, v17, s26
	v_mul_lo_u32 v23, v16, s27
	v_mad_u64_u32 v[20:21], s[2:3], v16, s26, 0
	v_add3_u32 v21, v21, v23, v22
	s_mov_b64 s[18:19], 0
	s_and_b64 vcc, exec, s[0:1]
	v_lshlrev_b64 v[20:21], 3, v[20:21]
	s_mov_b64 s[36:37], 0
	s_cbranch_vccnz .LBB857_46
; %bb.38:
	v_mov_b32_e32 v23, s29
	v_add_co_u32_e32 v22, vcc, s28, v20
	v_addc_co_u32_e64 v23, s[2:3], v23, v21, vcc
	v_mov_b32_e32 v25, s29
	v_add_co_u32_e64 v24, s[2:3], s28, v18
	v_addc_co_u32_e64 v25, s[8:9], v25, v19, s[2:3]
	global_load_dwordx2 v[28:29], v[22:23], off
	global_load_dwordx2 v[30:31], v[24:25], off
	s_mov_b64 s[36:37], -1
	s_waitcnt vmcnt(0)
	v_cmp_eq_f64_e64 s[8:9], v[28:29], v[30:31]
	s_and_saveexec_b64 s[38:39], s[8:9]
	s_cbranch_execz .LBB857_45
; %bb.39:
	v_mov_b32_e32 v18, s29
	v_addc_co_u32_e64 v19, s[2:3], v19, v18, s[2:3]
	v_add_co_u32_e64 v18, s[2:3], 8, v24
	v_mov_b32_e32 v23, s29
	v_addc_co_u32_e64 v19, s[2:3], 0, v19, s[2:3]
	v_addc_co_u32_e32 v23, vcc, v21, v23, vcc
	v_add_co_u32_e32 v22, vcc, 8, v22
	s_add_u32 s2, s26, -1
	v_addc_co_u32_e32 v23, vcc, 0, v23, vcc
	s_addc_u32 s3, s27, -1
	s_mov_b64 s[8:9], 0
	s_mov_b64 s[40:41], 0
                                        ; implicit-def: $sgpr36_sgpr37
	s_branch .LBB857_42
.LBB857_40:                             ;   in Loop: Header=BB857_42 Depth=1
	global_load_dwordx2 v[24:25], v[22:23], off
	global_load_dwordx2 v[28:29], v[18:19], off
	v_add_co_u32_e32 v18, vcc, 8, v18
	v_addc_co_u32_e32 v19, vcc, 0, v19, vcc
	v_add_co_u32_e32 v22, vcc, 8, v22
	v_addc_co_u32_e32 v23, vcc, 0, v23, vcc
	s_add_u32 s40, s40, 1
	s_addc_u32 s41, s41, 0
	s_andn2_b64 s[36:37], s[36:37], exec
	s_waitcnt vmcnt(0)
	v_cmp_neq_f64_e32 vcc, v[24:25], v[28:29]
	s_and_b64 s[42:43], vcc, exec
	s_or_b64 s[36:37], s[36:37], s[42:43]
.LBB857_41:                             ;   in Loop: Header=BB857_42 Depth=1
	s_and_b64 s[42:43], exec, s[36:37]
	s_or_b64 s[8:9], s[42:43], s[8:9]
	v_pk_mov_b32 v[24:25], s[40:41], s[40:41] op_sel:[0,1]
	s_andn2_b64 exec, exec, s[8:9]
	s_cbranch_execz .LBB857_44
.LBB857_42:                             ; =>This Inner Loop Header: Depth=1
	s_or_b64 s[36:37], s[36:37], exec
	s_cmp_eq_u64 s[2:3], s[40:41]
	s_cbranch_scc0 .LBB857_40
; %bb.43:                               ;   in Loop: Header=BB857_42 Depth=1
                                        ; implicit-def: $vgpr18_vgpr19
                                        ; implicit-def: $vgpr22_vgpr23
	s_mov_b64 s[40:41], s[26:27]
	s_branch .LBB857_41
.LBB857_44:
	s_or_b64 exec, exec, s[8:9]
	v_cmp_gt_i64_e32 vcc, s[26:27], v[24:25]
	s_orn2_b64 s[36:37], vcc, exec
.LBB857_45:
	s_or_b64 exec, exec, s[38:39]
.LBB857_46:
	v_mul_lo_u32 v22, v15, s26
	v_mul_lo_u32 v23, v14, s27
	v_mad_u64_u32 v[18:19], s[2:3], v14, s26, 0
	v_add3_u32 v19, v19, v23, v22
	s_and_b64 vcc, exec, s[0:1]
	v_lshlrev_b64 v[18:19], 3, v[18:19]
	s_cbranch_vccnz .LBB857_55
; %bb.47:
	v_mov_b32_e32 v23, s29
	v_add_co_u32_e32 v22, vcc, s28, v18
	v_addc_co_u32_e64 v23, s[2:3], v23, v19, vcc
	v_mov_b32_e32 v25, s29
	v_add_co_u32_e64 v24, s[2:3], s28, v20
	v_addc_co_u32_e64 v25, s[8:9], v25, v21, s[2:3]
	global_load_dwordx2 v[28:29], v[22:23], off
	global_load_dwordx2 v[30:31], v[24:25], off
	s_mov_b64 s[18:19], -1
	s_waitcnt vmcnt(0)
	v_cmp_eq_f64_e64 s[8:9], v[28:29], v[30:31]
	s_and_saveexec_b64 s[38:39], s[8:9]
	s_cbranch_execz .LBB857_54
; %bb.48:
	v_mov_b32_e32 v20, s29
	v_addc_co_u32_e64 v21, s[2:3], v21, v20, s[2:3]
	v_add_co_u32_e64 v20, s[2:3], 8, v24
	v_mov_b32_e32 v23, s29
	v_addc_co_u32_e64 v21, s[2:3], 0, v21, s[2:3]
	v_addc_co_u32_e32 v23, vcc, v19, v23, vcc
	v_add_co_u32_e32 v22, vcc, 8, v22
	s_add_u32 s2, s26, -1
	v_addc_co_u32_e32 v23, vcc, 0, v23, vcc
	s_addc_u32 s3, s27, -1
	s_mov_b64 s[8:9], 0
	s_mov_b64 s[40:41], 0
                                        ; implicit-def: $sgpr18_sgpr19
	s_branch .LBB857_51
.LBB857_49:                             ;   in Loop: Header=BB857_51 Depth=1
	global_load_dwordx2 v[24:25], v[22:23], off
	global_load_dwordx2 v[28:29], v[20:21], off
	v_add_co_u32_e32 v20, vcc, 8, v20
	v_addc_co_u32_e32 v21, vcc, 0, v21, vcc
	v_add_co_u32_e32 v22, vcc, 8, v22
	v_addc_co_u32_e32 v23, vcc, 0, v23, vcc
	s_add_u32 s40, s40, 1
	s_addc_u32 s41, s41, 0
	s_andn2_b64 s[18:19], s[18:19], exec
	s_waitcnt vmcnt(0)
	v_cmp_neq_f64_e32 vcc, v[24:25], v[28:29]
	s_and_b64 s[42:43], vcc, exec
	s_or_b64 s[18:19], s[18:19], s[42:43]
.LBB857_50:                             ;   in Loop: Header=BB857_51 Depth=1
	s_and_b64 s[42:43], exec, s[18:19]
	s_or_b64 s[8:9], s[42:43], s[8:9]
	v_pk_mov_b32 v[24:25], s[40:41], s[40:41] op_sel:[0,1]
	s_andn2_b64 exec, exec, s[8:9]
	s_cbranch_execz .LBB857_53
.LBB857_51:                             ; =>This Inner Loop Header: Depth=1
	s_or_b64 s[18:19], s[18:19], exec
	s_cmp_eq_u64 s[2:3], s[40:41]
	s_cbranch_scc0 .LBB857_49
; %bb.52:                               ;   in Loop: Header=BB857_51 Depth=1
                                        ; implicit-def: $vgpr20_vgpr21
                                        ; implicit-def: $vgpr22_vgpr23
	s_mov_b64 s[40:41], s[26:27]
	s_branch .LBB857_50
.LBB857_53:
	s_or_b64 exec, exec, s[8:9]
	v_cmp_gt_i64_e32 vcc, s[26:27], v[24:25]
	s_orn2_b64 s[18:19], vcc, exec
.LBB857_54:
	s_or_b64 exec, exec, s[38:39]
.LBB857_55:
	v_cmp_ne_u32_e32 vcc, 0, v0
	s_waitcnt lgkmcnt(0)
	v_pk_mov_b32 v[20:21], s[12:13], s[12:13] op_sel:[0,1]
	s_barrier
	s_and_saveexec_b64 s[2:3], vcc
	s_cbranch_execz .LBB857_57
; %bb.56:
	v_add_u32_e32 v20, -8, v26
	ds_read_b64 v[20:21], v20
.LBB857_57:
	s_or_b64 exec, exec, s[2:3]
	v_cndmask_b32_e64 v23, 0, 1, s[14:15]
	v_cndmask_b32_e64 v22, 0, 1, s[36:37]
	v_cndmask_b32_e64 v24, 0, 1, s[18:19]
	v_lshlrev_b16_e32 v23, 8, v23
	v_lshlrev_b16_e32 v27, 8, v24
	v_or_b32_sdwa v28, v22, v23 dst_sel:WORD_1 dst_unused:UNUSED_PAD src0_sel:DWORD src1_sel:DWORD
	s_mov_b64 s[14:15], 0
	s_and_b64 vcc, exec, s[0:1]
	s_mov_b64 s[18:19], 0
	s_cbranch_vccnz .LBB857_66
; %bb.58:
	s_waitcnt lgkmcnt(0)
	v_mul_lo_u32 v22, v21, s26
	v_mul_lo_u32 v23, v20, s27
	v_mad_u64_u32 v[20:21], s[2:3], v20, s26, 0
	v_add3_u32 v21, v21, v23, v22
	v_lshlrev_b64 v[20:21], 3, v[20:21]
	v_mov_b32_e32 v23, s29
	v_add_co_u32_e32 v22, vcc, s28, v20
	v_addc_co_u32_e64 v23, s[2:3], v23, v21, vcc
	v_mov_b32_e32 v20, s29
	v_add_co_u32_e64 v24, s[2:3], s28, v18
	v_addc_co_u32_e64 v25, s[8:9], v20, v19, s[2:3]
	global_load_dwordx2 v[30:31], v[22:23], off
	global_load_dwordx2 v[32:33], v[24:25], off
	s_mov_b64 s[18:19], -1
	s_waitcnt vmcnt(0)
	v_cmp_eq_f64_e64 s[8:9], v[30:31], v[32:33]
	s_and_saveexec_b64 s[36:37], s[8:9]
	s_cbranch_execz .LBB857_65
; %bb.59:
	v_mov_b32_e32 v18, s29
	v_addc_co_u32_e64 v19, s[2:3], v19, v18, s[2:3]
	v_add_co_u32_e64 v18, s[2:3], 8, v24
	v_mov_b32_e32 v20, s29
	v_addc_co_u32_e64 v19, s[2:3], 0, v19, s[2:3]
	v_addc_co_u32_e32 v21, vcc, v21, v20, vcc
	v_add_co_u32_e32 v20, vcc, 8, v22
	s_add_u32 s2, s26, -1
	v_addc_co_u32_e32 v21, vcc, 0, v21, vcc
	s_addc_u32 s3, s27, -1
	s_mov_b64 s[8:9], 0
	s_mov_b64 s[38:39], 0
                                        ; implicit-def: $sgpr18_sgpr19
	s_branch .LBB857_62
.LBB857_60:                             ;   in Loop: Header=BB857_62 Depth=1
	global_load_dwordx2 v[22:23], v[20:21], off
	global_load_dwordx2 v[24:25], v[18:19], off
	v_add_co_u32_e32 v18, vcc, 8, v18
	v_addc_co_u32_e32 v19, vcc, 0, v19, vcc
	v_add_co_u32_e32 v20, vcc, 8, v20
	v_addc_co_u32_e32 v21, vcc, 0, v21, vcc
	s_add_u32 s38, s38, 1
	s_addc_u32 s39, s39, 0
	s_andn2_b64 s[18:19], s[18:19], exec
	s_waitcnt vmcnt(0)
	v_cmp_neq_f64_e32 vcc, v[22:23], v[24:25]
	s_and_b64 s[40:41], vcc, exec
	s_or_b64 s[18:19], s[18:19], s[40:41]
.LBB857_61:                             ;   in Loop: Header=BB857_62 Depth=1
	s_and_b64 s[40:41], exec, s[18:19]
	s_or_b64 s[8:9], s[40:41], s[8:9]
	v_pk_mov_b32 v[22:23], s[38:39], s[38:39] op_sel:[0,1]
	s_andn2_b64 exec, exec, s[8:9]
	s_cbranch_execz .LBB857_64
.LBB857_62:                             ; =>This Inner Loop Header: Depth=1
	s_or_b64 s[18:19], s[18:19], exec
	s_cmp_eq_u64 s[2:3], s[38:39]
	s_cbranch_scc0 .LBB857_60
; %bb.63:                               ;   in Loop: Header=BB857_62 Depth=1
                                        ; implicit-def: $vgpr18_vgpr19
                                        ; implicit-def: $vgpr20_vgpr21
	s_mov_b64 s[38:39], s[26:27]
	s_branch .LBB857_61
.LBB857_64:
	s_or_b64 exec, exec, s[8:9]
	v_cmp_gt_i64_e32 vcc, s[26:27], v[22:23]
	s_orn2_b64 s[18:19], vcc, exec
.LBB857_65:
	s_or_b64 exec, exec, s[36:37]
.LBB857_66:
	v_or_b32_e32 v28, v27, v28
	s_and_b64 vcc, exec, s[14:15]
	s_cbranch_vccz .LBB857_114
.LBB857_67:
	v_or_b32_e32 v18, 3, v1
	v_cmp_gt_u32_e32 vcc, s7, v18
	s_mov_b64 s[18:19], 0
	s_mov_b64 s[14:15], 0
	s_and_saveexec_b64 s[36:37], vcc
	s_cbranch_execz .LBB857_78
; %bb.68:
	s_and_b64 vcc, exec, s[0:1]
	s_mov_b64 s[38:39], 0
	s_cbranch_vccnz .LBB857_77
; %bb.69:
	s_waitcnt lgkmcnt(0)
	v_mul_lo_u32 v20, v11, s26
	v_mul_lo_u32 v21, v10, s27
	v_mad_u64_u32 v[18:19], s[2:3], v10, s26, 0
	v_add3_u32 v19, v19, v21, v20
	v_mul_lo_u32 v20, v13, s26
	v_mul_lo_u32 v21, v12, s27
	v_mad_u64_u32 v[24:25], s[2:3], v12, s26, 0
	v_add3_u32 v25, v25, v21, v20
	v_lshlrev_b64 v[20:21], 3, v[18:19]
	v_mov_b32_e32 v18, s29
	v_add_co_u32_e32 v22, vcc, s28, v20
	v_addc_co_u32_e64 v23, s[2:3], v18, v21, vcc
	v_lshlrev_b64 v[18:19], 3, v[24:25]
	v_mov_b32_e32 v20, s29
	v_add_co_u32_e64 v24, s[2:3], s28, v18
	v_addc_co_u32_e64 v25, s[8:9], v20, v19, s[2:3]
	global_load_dwordx2 v[28:29], v[22:23], off
	global_load_dwordx2 v[30:31], v[24:25], off
	s_mov_b64 s[38:39], -1
	s_waitcnt vmcnt(0)
	v_cmp_eq_f64_e64 s[8:9], v[28:29], v[30:31]
	s_and_saveexec_b64 s[14:15], s[8:9]
	s_cbranch_execz .LBB857_76
; %bb.70:
	v_mov_b32_e32 v18, s29
	v_addc_co_u32_e64 v19, s[2:3], v19, v18, s[2:3]
	v_add_co_u32_e64 v18, s[2:3], 8, v24
	v_mov_b32_e32 v20, s29
	v_addc_co_u32_e64 v19, s[2:3], 0, v19, s[2:3]
	v_addc_co_u32_e32 v21, vcc, v21, v20, vcc
	v_add_co_u32_e32 v20, vcc, 8, v22
	s_add_u32 s2, s26, -1
	v_addc_co_u32_e32 v21, vcc, 0, v21, vcc
	s_addc_u32 s3, s27, -1
	s_mov_b64 s[8:9], 0
	s_mov_b64 s[40:41], 0
                                        ; implicit-def: $sgpr38_sgpr39
	s_branch .LBB857_73
.LBB857_71:                             ;   in Loop: Header=BB857_73 Depth=1
	global_load_dwordx2 v[22:23], v[20:21], off
	global_load_dwordx2 v[24:25], v[18:19], off
	v_add_co_u32_e32 v18, vcc, 8, v18
	v_addc_co_u32_e32 v19, vcc, 0, v19, vcc
	v_add_co_u32_e32 v20, vcc, 8, v20
	v_addc_co_u32_e32 v21, vcc, 0, v21, vcc
	s_add_u32 s40, s40, 1
	s_addc_u32 s41, s41, 0
	s_andn2_b64 s[38:39], s[38:39], exec
	s_waitcnt vmcnt(0)
	v_cmp_neq_f64_e32 vcc, v[22:23], v[24:25]
	s_and_b64 s[42:43], vcc, exec
	s_or_b64 s[38:39], s[38:39], s[42:43]
.LBB857_72:                             ;   in Loop: Header=BB857_73 Depth=1
	s_and_b64 s[42:43], exec, s[38:39]
	s_or_b64 s[8:9], s[42:43], s[8:9]
	v_pk_mov_b32 v[22:23], s[40:41], s[40:41] op_sel:[0,1]
	s_andn2_b64 exec, exec, s[8:9]
	s_cbranch_execz .LBB857_75
.LBB857_73:                             ; =>This Inner Loop Header: Depth=1
	s_or_b64 s[38:39], s[38:39], exec
	s_cmp_eq_u64 s[2:3], s[40:41]
	s_cbranch_scc0 .LBB857_71
; %bb.74:                               ;   in Loop: Header=BB857_73 Depth=1
                                        ; implicit-def: $vgpr18_vgpr19
                                        ; implicit-def: $vgpr20_vgpr21
	s_mov_b64 s[40:41], s[26:27]
	s_branch .LBB857_72
.LBB857_75:
	s_or_b64 exec, exec, s[8:9]
	v_cmp_gt_i64_e32 vcc, s[26:27], v[22:23]
	s_orn2_b64 s[38:39], vcc, exec
.LBB857_76:
	s_or_b64 exec, exec, s[14:15]
.LBB857_77:
	s_and_b64 s[14:15], s[38:39], exec
.LBB857_78:
	s_or_b64 exec, exec, s[36:37]
	v_or_b32_e32 v18, 2, v1
	v_cmp_gt_u32_e32 vcc, s7, v18
	s_and_saveexec_b64 s[36:37], vcc
	s_cbranch_execz .LBB857_89
; %bb.79:
	s_and_b64 vcc, exec, s[0:1]
	s_mov_b64 s[38:39], 0
	s_cbranch_vccnz .LBB857_88
; %bb.80:
	s_waitcnt lgkmcnt(0)
	v_mul_lo_u32 v20, v17, s26
	v_mul_lo_u32 v21, v16, s27
	v_mad_u64_u32 v[18:19], s[2:3], v16, s26, 0
	v_add3_u32 v19, v19, v21, v20
	v_mul_lo_u32 v20, v11, s26
	v_mul_lo_u32 v21, v10, s27
	v_mad_u64_u32 v[24:25], s[2:3], v10, s26, 0
	v_add3_u32 v25, v25, v21, v20
	v_lshlrev_b64 v[20:21], 3, v[18:19]
	v_mov_b32_e32 v18, s29
	v_add_co_u32_e32 v22, vcc, s28, v20
	v_addc_co_u32_e64 v23, s[2:3], v18, v21, vcc
	v_lshlrev_b64 v[18:19], 3, v[24:25]
	v_mov_b32_e32 v20, s29
	v_add_co_u32_e64 v24, s[2:3], s28, v18
	v_addc_co_u32_e64 v25, s[8:9], v20, v19, s[2:3]
	global_load_dwordx2 v[28:29], v[22:23], off
	global_load_dwordx2 v[30:31], v[24:25], off
	s_mov_b64 s[38:39], -1
	s_waitcnt vmcnt(0)
	v_cmp_eq_f64_e64 s[8:9], v[28:29], v[30:31]
	s_and_saveexec_b64 s[18:19], s[8:9]
	s_cbranch_execz .LBB857_87
; %bb.81:
	v_mov_b32_e32 v18, s29
	v_addc_co_u32_e64 v19, s[2:3], v19, v18, s[2:3]
	v_add_co_u32_e64 v18, s[2:3], 8, v24
	v_mov_b32_e32 v20, s29
	v_addc_co_u32_e64 v19, s[2:3], 0, v19, s[2:3]
	v_addc_co_u32_e32 v21, vcc, v21, v20, vcc
	v_add_co_u32_e32 v20, vcc, 8, v22
	s_add_u32 s2, s26, -1
	v_addc_co_u32_e32 v21, vcc, 0, v21, vcc
	s_addc_u32 s3, s27, -1
	s_mov_b64 s[8:9], 0
	s_mov_b64 s[40:41], 0
                                        ; implicit-def: $sgpr38_sgpr39
	s_branch .LBB857_84
.LBB857_82:                             ;   in Loop: Header=BB857_84 Depth=1
	global_load_dwordx2 v[22:23], v[20:21], off
	global_load_dwordx2 v[24:25], v[18:19], off
	v_add_co_u32_e32 v18, vcc, 8, v18
	v_addc_co_u32_e32 v19, vcc, 0, v19, vcc
	v_add_co_u32_e32 v20, vcc, 8, v20
	v_addc_co_u32_e32 v21, vcc, 0, v21, vcc
	s_add_u32 s40, s40, 1
	s_addc_u32 s41, s41, 0
	s_andn2_b64 s[38:39], s[38:39], exec
	s_waitcnt vmcnt(0)
	v_cmp_neq_f64_e32 vcc, v[22:23], v[24:25]
	s_and_b64 s[42:43], vcc, exec
	s_or_b64 s[38:39], s[38:39], s[42:43]
.LBB857_83:                             ;   in Loop: Header=BB857_84 Depth=1
	s_and_b64 s[42:43], exec, s[38:39]
	s_or_b64 s[8:9], s[42:43], s[8:9]
	v_pk_mov_b32 v[22:23], s[40:41], s[40:41] op_sel:[0,1]
	s_andn2_b64 exec, exec, s[8:9]
	s_cbranch_execz .LBB857_86
.LBB857_84:                             ; =>This Inner Loop Header: Depth=1
	s_or_b64 s[38:39], s[38:39], exec
	s_cmp_eq_u64 s[2:3], s[40:41]
	s_cbranch_scc0 .LBB857_82
; %bb.85:                               ;   in Loop: Header=BB857_84 Depth=1
                                        ; implicit-def: $vgpr18_vgpr19
                                        ; implicit-def: $vgpr20_vgpr21
	s_mov_b64 s[40:41], s[26:27]
	s_branch .LBB857_83
.LBB857_86:
	s_or_b64 exec, exec, s[8:9]
	v_cmp_gt_i64_e32 vcc, s[26:27], v[22:23]
	s_orn2_b64 s[38:39], vcc, exec
.LBB857_87:
	s_or_b64 exec, exec, s[18:19]
.LBB857_88:
	s_and_b64 s[18:19], s[38:39], exec
.LBB857_89:
	s_or_b64 exec, exec, s[36:37]
	v_or_b32_e32 v18, 1, v1
	v_cmp_gt_u32_e32 vcc, s7, v18
	s_mov_b64 s[2:3], 0
	s_and_saveexec_b64 s[36:37], vcc
	s_cbranch_execz .LBB857_100
; %bb.90:
	s_and_b64 vcc, exec, s[0:1]
	s_mov_b64 s[40:41], 0
	s_cbranch_vccnz .LBB857_99
; %bb.91:
	s_waitcnt lgkmcnt(0)
	v_mul_lo_u32 v20, v15, s26
	v_mul_lo_u32 v21, v14, s27
	v_mad_u64_u32 v[18:19], s[2:3], v14, s26, 0
	v_add3_u32 v19, v19, v21, v20
	v_mul_lo_u32 v20, v17, s26
	v_mul_lo_u32 v21, v16, s27
	v_mad_u64_u32 v[24:25], s[2:3], v16, s26, 0
	v_add3_u32 v25, v25, v21, v20
	v_lshlrev_b64 v[20:21], 3, v[18:19]
	v_mov_b32_e32 v18, s29
	v_add_co_u32_e32 v22, vcc, s28, v20
	v_addc_co_u32_e64 v23, s[2:3], v18, v21, vcc
	v_lshlrev_b64 v[18:19], 3, v[24:25]
	v_mov_b32_e32 v20, s29
	v_add_co_u32_e64 v24, s[2:3], s28, v18
	v_addc_co_u32_e64 v25, s[8:9], v20, v19, s[2:3]
	global_load_dwordx2 v[28:29], v[22:23], off
	global_load_dwordx2 v[30:31], v[24:25], off
	s_mov_b64 s[40:41], -1
	s_waitcnt vmcnt(0)
	v_cmp_eq_f64_e64 s[8:9], v[28:29], v[30:31]
	s_and_saveexec_b64 s[38:39], s[8:9]
	s_cbranch_execz .LBB857_98
; %bb.92:
	v_mov_b32_e32 v18, s29
	v_addc_co_u32_e64 v19, s[2:3], v19, v18, s[2:3]
	v_add_co_u32_e64 v18, s[2:3], 8, v24
	v_mov_b32_e32 v20, s29
	v_addc_co_u32_e64 v19, s[2:3], 0, v19, s[2:3]
	v_addc_co_u32_e32 v21, vcc, v21, v20, vcc
	v_add_co_u32_e32 v20, vcc, 8, v22
	s_add_u32 s2, s26, -1
	v_addc_co_u32_e32 v21, vcc, 0, v21, vcc
	s_addc_u32 s3, s27, -1
	s_mov_b64 s[8:9], 0
	s_mov_b64 s[42:43], 0
                                        ; implicit-def: $sgpr40_sgpr41
	s_branch .LBB857_95
.LBB857_93:                             ;   in Loop: Header=BB857_95 Depth=1
	global_load_dwordx2 v[22:23], v[20:21], off
	global_load_dwordx2 v[24:25], v[18:19], off
	v_add_co_u32_e32 v18, vcc, 8, v18
	v_addc_co_u32_e32 v19, vcc, 0, v19, vcc
	v_add_co_u32_e32 v20, vcc, 8, v20
	v_addc_co_u32_e32 v21, vcc, 0, v21, vcc
	s_add_u32 s42, s42, 1
	s_addc_u32 s43, s43, 0
	s_andn2_b64 s[40:41], s[40:41], exec
	s_waitcnt vmcnt(0)
	v_cmp_neq_f64_e32 vcc, v[22:23], v[24:25]
	s_and_b64 s[44:45], vcc, exec
	s_or_b64 s[40:41], s[40:41], s[44:45]
.LBB857_94:                             ;   in Loop: Header=BB857_95 Depth=1
	s_and_b64 s[44:45], exec, s[40:41]
	s_or_b64 s[8:9], s[44:45], s[8:9]
	v_pk_mov_b32 v[22:23], s[42:43], s[42:43] op_sel:[0,1]
	s_andn2_b64 exec, exec, s[8:9]
	s_cbranch_execz .LBB857_97
.LBB857_95:                             ; =>This Inner Loop Header: Depth=1
	s_or_b64 s[40:41], s[40:41], exec
	s_cmp_eq_u64 s[2:3], s[42:43]
	s_cbranch_scc0 .LBB857_93
; %bb.96:                               ;   in Loop: Header=BB857_95 Depth=1
                                        ; implicit-def: $vgpr18_vgpr19
                                        ; implicit-def: $vgpr20_vgpr21
	s_mov_b64 s[42:43], s[26:27]
	s_branch .LBB857_94
.LBB857_97:
	s_or_b64 exec, exec, s[8:9]
	v_cmp_gt_i64_e32 vcc, s[26:27], v[22:23]
	s_orn2_b64 s[40:41], vcc, exec
.LBB857_98:
	s_or_b64 exec, exec, s[38:39]
.LBB857_99:
	s_and_b64 s[2:3], s[40:41], exec
.LBB857_100:
	s_or_b64 exec, exec, s[36:37]
	v_cmp_ne_u32_e32 vcc, 0, v0
	s_waitcnt lgkmcnt(0)
	v_pk_mov_b32 v[18:19], s[12:13], s[12:13] op_sel:[0,1]
	s_barrier
	s_and_saveexec_b64 s[8:9], vcc
	s_cbranch_execz .LBB857_102
; %bb.101:
	v_add_u32_e32 v18, -8, v26
	ds_read_b64 v[18:19], v18
.LBB857_102:
	s_or_b64 exec, exec, s[8:9]
	v_cndmask_b32_e64 v21, 0, 1, s[14:15]
	v_cndmask_b32_e64 v20, 0, 1, s[18:19]
	;; [unrolled: 1-line block ×3, first 2 shown]
	v_lshlrev_b16_e32 v21, 8, v21
	v_lshlrev_b16_e32 v26, 8, v22
	v_or_b32_sdwa v27, v20, v21 dst_sel:WORD_1 dst_unused:UNUSED_PAD src0_sel:DWORD src1_sel:DWORD
	v_cmp_gt_u32_e32 vcc, s7, v1
	s_mov_b64 s[18:19], 0
	s_and_saveexec_b64 s[8:9], vcc
	s_cbranch_execz .LBB857_113
; %bb.103:
	s_and_b64 vcc, exec, s[0:1]
	s_mov_b64 s[14:15], 0
	s_cbranch_vccnz .LBB857_112
; %bb.104:
	s_waitcnt lgkmcnt(0)
	v_mul_lo_u32 v20, v19, s26
	v_mul_lo_u32 v21, v18, s27
	v_mad_u64_u32 v[18:19], s[0:1], v18, s26, 0
	v_add3_u32 v19, v19, v21, v20
	v_mul_lo_u32 v20, v15, s26
	v_mul_lo_u32 v21, v14, s27
	v_mad_u64_u32 v[24:25], s[0:1], v14, s26, 0
	v_add3_u32 v25, v25, v21, v20
	v_lshlrev_b64 v[20:21], 3, v[18:19]
	v_mov_b32_e32 v18, s29
	v_add_co_u32_e32 v22, vcc, s28, v20
	v_addc_co_u32_e64 v23, s[0:1], v18, v21, vcc
	v_lshlrev_b64 v[18:19], 3, v[24:25]
	v_mov_b32_e32 v20, s29
	v_add_co_u32_e64 v24, s[0:1], s28, v18
	v_addc_co_u32_e64 v25, s[2:3], v20, v19, s[0:1]
	global_load_dwordx2 v[28:29], v[22:23], off
	global_load_dwordx2 v[30:31], v[24:25], off
	s_mov_b64 s[14:15], -1
	s_waitcnt vmcnt(0)
	v_cmp_eq_f64_e64 s[2:3], v[28:29], v[30:31]
	s_and_saveexec_b64 s[12:13], s[2:3]
	s_cbranch_execz .LBB857_111
; %bb.105:
	v_mov_b32_e32 v18, s29
	v_addc_co_u32_e64 v19, s[0:1], v19, v18, s[0:1]
	v_add_co_u32_e64 v18, s[0:1], 8, v24
	v_mov_b32_e32 v20, s29
	v_addc_co_u32_e64 v19, s[0:1], 0, v19, s[0:1]
	v_addc_co_u32_e32 v21, vcc, v21, v20, vcc
	v_add_co_u32_e32 v20, vcc, 8, v22
	s_add_u32 s0, s26, -1
	v_addc_co_u32_e32 v21, vcc, 0, v21, vcc
	s_addc_u32 s1, s27, -1
	s_mov_b64 s[2:3], 0
                                        ; implicit-def: $sgpr14_sgpr15
	s_branch .LBB857_108
.LBB857_106:                            ;   in Loop: Header=BB857_108 Depth=1
	global_load_dwordx2 v[22:23], v[20:21], off
	global_load_dwordx2 v[24:25], v[18:19], off
	v_add_co_u32_e32 v18, vcc, 8, v18
	v_addc_co_u32_e32 v19, vcc, 0, v19, vcc
	v_add_co_u32_e32 v20, vcc, 8, v20
	v_addc_co_u32_e32 v21, vcc, 0, v21, vcc
	s_add_u32 s18, s18, 1
	s_addc_u32 s19, s19, 0
	s_andn2_b64 s[14:15], s[14:15], exec
	s_waitcnt vmcnt(0)
	v_cmp_neq_f64_e32 vcc, v[22:23], v[24:25]
	s_and_b64 s[36:37], vcc, exec
	s_or_b64 s[14:15], s[14:15], s[36:37]
.LBB857_107:                            ;   in Loop: Header=BB857_108 Depth=1
	s_and_b64 s[36:37], exec, s[14:15]
	s_or_b64 s[2:3], s[36:37], s[2:3]
	v_pk_mov_b32 v[22:23], s[18:19], s[18:19] op_sel:[0,1]
	s_andn2_b64 exec, exec, s[2:3]
	s_cbranch_execz .LBB857_110
.LBB857_108:                            ; =>This Inner Loop Header: Depth=1
	s_or_b64 s[14:15], s[14:15], exec
	s_cmp_eq_u64 s[0:1], s[18:19]
	s_cbranch_scc0 .LBB857_106
; %bb.109:                              ;   in Loop: Header=BB857_108 Depth=1
                                        ; implicit-def: $vgpr18_vgpr19
                                        ; implicit-def: $vgpr20_vgpr21
	s_mov_b64 s[18:19], s[26:27]
	s_branch .LBB857_107
.LBB857_110:
	s_or_b64 exec, exec, s[2:3]
	v_cmp_gt_i64_e32 vcc, s[26:27], v[22:23]
	s_orn2_b64 s[14:15], vcc, exec
.LBB857_111:
	s_or_b64 exec, exec, s[12:13]
.LBB857_112:
	s_and_b64 s[18:19], s[14:15], exec
.LBB857_113:
	s_or_b64 exec, exec, s[8:9]
	v_or_b32_e32 v28, v26, v27
.LBB857_114:
	s_waitcnt lgkmcnt(0)
	s_mov_b64 s[12:13], -1
	s_cbranch_execnz .LBB857_203
.LBB857_115:
	v_lshlrev_b32_e32 v29, 3, v0
	s_mov_b64 s[18:19], 0
	v_cmp_gt_i64_e64 s[14:15], s[26:27], 0
	s_and_b64 vcc, exec, s[34:35]
	ds_write_b64 v29, v[12:13]
	s_cbranch_vccz .LBB857_123
; %bb.116:
	v_mul_lo_u32 v20, v11, s26
	v_mul_lo_u32 v21, v10, s27
	v_mad_u64_u32 v[18:19], s[0:1], v10, s26, 0
	v_add3_u32 v19, v19, v21, v20
	v_cndmask_b32_e64 v20, 0, 1, s[14:15]
	v_cmp_ne_u32_e64 s[0:1], 1, v20
	s_andn2_b64 vcc, exec, s[14:15]
	v_lshlrev_b64 v[18:19], 3, v[18:19]
	s_cbranch_vccnz .LBB857_126
; %bb.117:
	v_mul_lo_u32 v22, v13, s26
	v_mul_lo_u32 v23, v12, s27
	v_mad_u64_u32 v[20:21], s[2:3], v12, s26, 0
	v_add3_u32 v21, v21, v23, v22
	v_mov_b32_e32 v23, s29
	v_add_co_u32_e32 v22, vcc, s28, v18
	v_addc_co_u32_e64 v23, s[2:3], v23, v19, vcc
	v_lshlrev_b64 v[20:21], 3, v[20:21]
	v_mov_b32_e32 v25, s29
	v_add_co_u32_e64 v24, s[2:3], s28, v20
	v_addc_co_u32_e64 v25, s[8:9], v25, v21, s[2:3]
	global_load_dwordx2 v[26:27], v[22:23], off
	global_load_dwordx2 v[30:31], v[24:25], off
	s_mov_b64 s[18:19], -1
	s_waitcnt vmcnt(0)
	v_cmp_eq_f64_e64 s[8:9], v[26:27], v[30:31]
	s_and_saveexec_b64 s[36:37], s[8:9]
	s_cbranch_execz .LBB857_125
; %bb.118:
	v_mov_b32_e32 v20, s29
	v_addc_co_u32_e64 v21, s[2:3], v21, v20, s[2:3]
	v_add_co_u32_e64 v20, s[2:3], 8, v24
	v_mov_b32_e32 v23, s29
	v_addc_co_u32_e64 v21, s[2:3], 0, v21, s[2:3]
	v_addc_co_u32_e32 v23, vcc, v19, v23, vcc
	v_add_co_u32_e32 v22, vcc, 8, v22
	s_add_u32 s2, s26, -1
	v_addc_co_u32_e32 v23, vcc, 0, v23, vcc
	s_addc_u32 s3, s27, -1
	s_mov_b64 s[8:9], 0
	s_mov_b64 s[38:39], 0
                                        ; implicit-def: $sgpr18_sgpr19
	s_branch .LBB857_121
.LBB857_119:                            ;   in Loop: Header=BB857_121 Depth=1
	global_load_dwordx2 v[24:25], v[22:23], off
	global_load_dwordx2 v[26:27], v[20:21], off
	v_add_co_u32_e32 v20, vcc, 8, v20
	v_addc_co_u32_e32 v21, vcc, 0, v21, vcc
	v_add_co_u32_e32 v22, vcc, 8, v22
	v_addc_co_u32_e32 v23, vcc, 0, v23, vcc
	s_add_u32 s38, s38, 1
	s_addc_u32 s39, s39, 0
	s_andn2_b64 s[18:19], s[18:19], exec
	s_waitcnt vmcnt(0)
	v_cmp_neq_f64_e32 vcc, v[24:25], v[26:27]
	s_and_b64 s[40:41], vcc, exec
	s_or_b64 s[18:19], s[18:19], s[40:41]
.LBB857_120:                            ;   in Loop: Header=BB857_121 Depth=1
	s_and_b64 s[40:41], exec, s[18:19]
	s_or_b64 s[8:9], s[40:41], s[8:9]
	v_pk_mov_b32 v[24:25], s[38:39], s[38:39] op_sel:[0,1]
	s_andn2_b64 exec, exec, s[8:9]
	s_cbranch_execz .LBB857_124
.LBB857_121:                            ; =>This Inner Loop Header: Depth=1
	s_or_b64 s[18:19], s[18:19], exec
	s_cmp_eq_u64 s[2:3], s[38:39]
	s_cbranch_scc0 .LBB857_119
; %bb.122:                              ;   in Loop: Header=BB857_121 Depth=1
                                        ; implicit-def: $vgpr20_vgpr21
                                        ; implicit-def: $vgpr22_vgpr23
	s_mov_b64 s[38:39], s[26:27]
	s_branch .LBB857_120
.LBB857_123:
                                        ; implicit-def: $sgpr18_sgpr19
                                        ; implicit-def: $vgpr28
	s_cbranch_execnz .LBB857_156
	s_branch .LBB857_203
.LBB857_124:
	s_or_b64 exec, exec, s[8:9]
	v_cmp_gt_i64_e32 vcc, s[26:27], v[24:25]
	s_orn2_b64 s[18:19], vcc, exec
.LBB857_125:
	s_or_b64 exec, exec, s[36:37]
.LBB857_126:
	v_mul_lo_u32 v22, v17, s26
	v_mul_lo_u32 v23, v16, s27
	v_mad_u64_u32 v[20:21], s[2:3], v16, s26, 0
	v_add3_u32 v21, v21, v23, v22
	s_mov_b64 s[36:37], 0
	s_and_b64 vcc, exec, s[0:1]
	v_lshlrev_b64 v[20:21], 3, v[20:21]
	s_mov_b64 s[38:39], 0
	s_cbranch_vccnz .LBB857_135
; %bb.127:
	v_mov_b32_e32 v23, s29
	v_add_co_u32_e32 v22, vcc, s28, v20
	v_addc_co_u32_e64 v23, s[2:3], v23, v21, vcc
	v_mov_b32_e32 v25, s29
	v_add_co_u32_e64 v24, s[2:3], s28, v18
	v_addc_co_u32_e64 v25, s[8:9], v25, v19, s[2:3]
	global_load_dwordx2 v[26:27], v[22:23], off
	global_load_dwordx2 v[30:31], v[24:25], off
	s_mov_b64 s[38:39], -1
	s_waitcnt vmcnt(0)
	v_cmp_eq_f64_e64 s[8:9], v[26:27], v[30:31]
	s_and_saveexec_b64 s[40:41], s[8:9]
	s_cbranch_execz .LBB857_134
; %bb.128:
	v_mov_b32_e32 v18, s29
	v_addc_co_u32_e64 v19, s[2:3], v19, v18, s[2:3]
	v_add_co_u32_e64 v18, s[2:3], 8, v24
	v_mov_b32_e32 v23, s29
	v_addc_co_u32_e64 v19, s[2:3], 0, v19, s[2:3]
	v_addc_co_u32_e32 v23, vcc, v21, v23, vcc
	v_add_co_u32_e32 v22, vcc, 8, v22
	s_add_u32 s2, s26, -1
	v_addc_co_u32_e32 v23, vcc, 0, v23, vcc
	s_addc_u32 s3, s27, -1
	s_mov_b64 s[8:9], 0
	s_mov_b64 s[42:43], 0
                                        ; implicit-def: $sgpr38_sgpr39
	s_branch .LBB857_131
.LBB857_129:                            ;   in Loop: Header=BB857_131 Depth=1
	global_load_dwordx2 v[24:25], v[22:23], off
	global_load_dwordx2 v[26:27], v[18:19], off
	v_add_co_u32_e32 v18, vcc, 8, v18
	v_addc_co_u32_e32 v19, vcc, 0, v19, vcc
	v_add_co_u32_e32 v22, vcc, 8, v22
	v_addc_co_u32_e32 v23, vcc, 0, v23, vcc
	s_add_u32 s42, s42, 1
	s_addc_u32 s43, s43, 0
	s_andn2_b64 s[38:39], s[38:39], exec
	s_waitcnt vmcnt(0)
	v_cmp_neq_f64_e32 vcc, v[24:25], v[26:27]
	s_and_b64 s[44:45], vcc, exec
	s_or_b64 s[38:39], s[38:39], s[44:45]
.LBB857_130:                            ;   in Loop: Header=BB857_131 Depth=1
	s_and_b64 s[44:45], exec, s[38:39]
	s_or_b64 s[8:9], s[44:45], s[8:9]
	v_pk_mov_b32 v[24:25], s[42:43], s[42:43] op_sel:[0,1]
	s_andn2_b64 exec, exec, s[8:9]
	s_cbranch_execz .LBB857_133
.LBB857_131:                            ; =>This Inner Loop Header: Depth=1
	s_or_b64 s[38:39], s[38:39], exec
	s_cmp_eq_u64 s[2:3], s[42:43]
	s_cbranch_scc0 .LBB857_129
; %bb.132:                              ;   in Loop: Header=BB857_131 Depth=1
                                        ; implicit-def: $vgpr18_vgpr19
                                        ; implicit-def: $vgpr22_vgpr23
	s_mov_b64 s[42:43], s[26:27]
	s_branch .LBB857_130
.LBB857_133:
	s_or_b64 exec, exec, s[8:9]
	v_cmp_gt_i64_e32 vcc, s[26:27], v[24:25]
	s_orn2_b64 s[38:39], vcc, exec
.LBB857_134:
	s_or_b64 exec, exec, s[40:41]
.LBB857_135:
	v_mul_lo_u32 v22, v15, s26
	v_mul_lo_u32 v23, v14, s27
	v_mad_u64_u32 v[18:19], s[2:3], v14, s26, 0
	s_and_b64 vcc, exec, s[0:1]
	v_add3_u32 v19, v19, v23, v22
	s_cbranch_vccnz .LBB857_144
; %bb.136:
	v_lshlrev_b64 v[22:23], 3, v[18:19]
	v_mov_b32_e32 v25, s29
	v_add_co_u32_e32 v24, vcc, s28, v22
	v_addc_co_u32_e64 v25, s[2:3], v25, v23, vcc
	v_mov_b32_e32 v22, s29
	v_add_co_u32_e64 v26, s[2:3], s28, v20
	v_addc_co_u32_e64 v27, s[8:9], v22, v21, s[2:3]
	global_load_dwordx2 v[30:31], v[24:25], off
	global_load_dwordx2 v[32:33], v[26:27], off
	s_mov_b64 s[36:37], -1
	s_waitcnt vmcnt(0)
	v_cmp_eq_f64_e64 s[8:9], v[30:31], v[32:33]
	s_and_saveexec_b64 s[40:41], s[8:9]
	s_cbranch_execz .LBB857_143
; %bb.137:
	v_mov_b32_e32 v20, s29
	v_addc_co_u32_e64 v21, s[2:3], v21, v20, s[2:3]
	v_add_co_u32_e64 v20, s[2:3], 8, v26
	v_mov_b32_e32 v22, s29
	v_addc_co_u32_e64 v21, s[2:3], 0, v21, s[2:3]
	v_addc_co_u32_e32 v23, vcc, v23, v22, vcc
	v_add_co_u32_e32 v22, vcc, 8, v24
	s_add_u32 s2, s26, -1
	v_addc_co_u32_e32 v23, vcc, 0, v23, vcc
	s_addc_u32 s3, s27, -1
	s_mov_b64 s[8:9], 0
	s_mov_b64 s[42:43], 0
                                        ; implicit-def: $sgpr36_sgpr37
	s_branch .LBB857_140
.LBB857_138:                            ;   in Loop: Header=BB857_140 Depth=1
	global_load_dwordx2 v[24:25], v[22:23], off
	global_load_dwordx2 v[26:27], v[20:21], off
	v_add_co_u32_e32 v20, vcc, 8, v20
	v_addc_co_u32_e32 v21, vcc, 0, v21, vcc
	v_add_co_u32_e32 v22, vcc, 8, v22
	v_addc_co_u32_e32 v23, vcc, 0, v23, vcc
	s_add_u32 s42, s42, 1
	s_addc_u32 s43, s43, 0
	s_andn2_b64 s[36:37], s[36:37], exec
	s_waitcnt vmcnt(0)
	v_cmp_neq_f64_e32 vcc, v[24:25], v[26:27]
	s_and_b64 s[44:45], vcc, exec
	s_or_b64 s[36:37], s[36:37], s[44:45]
.LBB857_139:                            ;   in Loop: Header=BB857_140 Depth=1
	s_and_b64 s[44:45], exec, s[36:37]
	s_or_b64 s[8:9], s[44:45], s[8:9]
	v_pk_mov_b32 v[24:25], s[42:43], s[42:43] op_sel:[0,1]
	s_andn2_b64 exec, exec, s[8:9]
	s_cbranch_execz .LBB857_142
.LBB857_140:                            ; =>This Inner Loop Header: Depth=1
	s_or_b64 s[36:37], s[36:37], exec
	s_cmp_eq_u64 s[2:3], s[42:43]
	s_cbranch_scc0 .LBB857_138
; %bb.141:                              ;   in Loop: Header=BB857_140 Depth=1
                                        ; implicit-def: $vgpr20_vgpr21
                                        ; implicit-def: $vgpr22_vgpr23
	s_mov_b64 s[42:43], s[26:27]
	s_branch .LBB857_139
.LBB857_142:
	s_or_b64 exec, exec, s[8:9]
	v_cmp_gt_i64_e32 vcc, s[26:27], v[24:25]
	s_orn2_b64 s[36:37], vcc, exec
.LBB857_143:
	s_or_b64 exec, exec, s[40:41]
.LBB857_144:
	v_cndmask_b32_e64 v21, 0, 1, s[18:19]
	v_cndmask_b32_e64 v22, 0, 1, s[36:37]
	;; [unrolled: 1-line block ×3, first 2 shown]
	v_lshlrev_b16_e32 v22, 8, v22
	v_lshlrev_b16_e32 v21, 8, v21
	v_or_b32_e32 v22, 1, v22
	v_or_b32_sdwa v20, v20, v21 dst_sel:WORD_1 dst_unused:UNUSED_PAD src0_sel:DWORD src1_sel:DWORD
	v_or_b32_sdwa v28, v22, v20 dst_sel:DWORD dst_unused:UNUSED_PAD src0_sel:WORD_0 src1_sel:DWORD
	v_cmp_ne_u32_e32 vcc, 0, v0
	s_waitcnt lgkmcnt(0)
	s_barrier
	s_waitcnt lgkmcnt(0)
                                        ; implicit-def: $sgpr18_sgpr19
	s_and_saveexec_b64 s[2:3], vcc
	s_xor_b64 s[8:9], exec, s[2:3]
	s_cbranch_execz .LBB857_155
; %bb.145:
	s_and_b64 vcc, exec, s[0:1]
	s_mov_b64 s[36:37], 0
	s_cbranch_vccnz .LBB857_154
; %bb.146:
	v_add_u32_e32 v20, -8, v29
	ds_read_b64 v[20:21], v20
	v_mov_b32_e32 v23, s29
	v_lshlrev_b64 v[18:19], 3, v[18:19]
	s_mov_b64 s[36:37], -1
	s_waitcnt lgkmcnt(0)
	v_mul_lo_u32 v22, v21, s26
	v_mul_lo_u32 v24, v20, s27
	v_mad_u64_u32 v[20:21], s[0:1], v20, s26, 0
	v_add3_u32 v21, v21, v24, v22
	v_lshlrev_b64 v[20:21], 3, v[20:21]
	v_add_co_u32_e32 v22, vcc, s28, v20
	v_addc_co_u32_e64 v23, s[0:1], v23, v21, vcc
	v_mov_b32_e32 v20, s29
	v_add_co_u32_e64 v24, s[0:1], s28, v18
	v_addc_co_u32_e64 v25, s[2:3], v20, v19, s[0:1]
	global_load_dwordx2 v[26:27], v[22:23], off
	global_load_dwordx2 v[30:31], v[24:25], off
	s_waitcnt vmcnt(0)
	v_cmp_eq_f64_e64 s[2:3], v[26:27], v[30:31]
	s_and_saveexec_b64 s[18:19], s[2:3]
	s_cbranch_execz .LBB857_153
; %bb.147:
	v_mov_b32_e32 v18, s29
	v_addc_co_u32_e64 v19, s[0:1], v19, v18, s[0:1]
	v_add_co_u32_e64 v18, s[0:1], 8, v24
	v_mov_b32_e32 v20, s29
	v_addc_co_u32_e64 v19, s[0:1], 0, v19, s[0:1]
	v_addc_co_u32_e32 v21, vcc, v21, v20, vcc
	v_add_co_u32_e32 v20, vcc, 8, v22
	s_add_u32 s0, s26, -1
	v_addc_co_u32_e32 v21, vcc, 0, v21, vcc
	s_addc_u32 s1, s27, -1
	s_mov_b64 s[2:3], 0
	s_mov_b64 s[38:39], 0
                                        ; implicit-def: $sgpr36_sgpr37
	s_branch .LBB857_150
.LBB857_148:                            ;   in Loop: Header=BB857_150 Depth=1
	global_load_dwordx2 v[22:23], v[20:21], off
	global_load_dwordx2 v[24:25], v[18:19], off
	v_add_co_u32_e32 v18, vcc, 8, v18
	v_addc_co_u32_e32 v19, vcc, 0, v19, vcc
	v_add_co_u32_e32 v20, vcc, 8, v20
	v_addc_co_u32_e32 v21, vcc, 0, v21, vcc
	s_add_u32 s38, s38, 1
	s_addc_u32 s39, s39, 0
	s_andn2_b64 s[36:37], s[36:37], exec
	s_waitcnt vmcnt(0)
	v_cmp_neq_f64_e32 vcc, v[22:23], v[24:25]
	s_and_b64 s[40:41], vcc, exec
	s_or_b64 s[36:37], s[36:37], s[40:41]
.LBB857_149:                            ;   in Loop: Header=BB857_150 Depth=1
	s_and_b64 s[40:41], exec, s[36:37]
	s_or_b64 s[2:3], s[40:41], s[2:3]
	v_pk_mov_b32 v[22:23], s[38:39], s[38:39] op_sel:[0,1]
	s_andn2_b64 exec, exec, s[2:3]
	s_cbranch_execz .LBB857_152
.LBB857_150:                            ; =>This Inner Loop Header: Depth=1
	s_or_b64 s[36:37], s[36:37], exec
	s_cmp_eq_u64 s[0:1], s[38:39]
	s_cbranch_scc0 .LBB857_148
; %bb.151:                              ;   in Loop: Header=BB857_150 Depth=1
                                        ; implicit-def: $vgpr18_vgpr19
                                        ; implicit-def: $vgpr20_vgpr21
	s_mov_b64 s[38:39], s[26:27]
	s_branch .LBB857_149
.LBB857_152:
	s_or_b64 exec, exec, s[2:3]
	v_cmp_gt_i64_e32 vcc, s[26:27], v[22:23]
	s_orn2_b64 s[36:37], vcc, exec
.LBB857_153:
	s_or_b64 exec, exec, s[18:19]
.LBB857_154:
	s_and_b64 s[18:19], s[36:37], exec
	s_or_b64 s[12:13], s[12:13], exec
.LBB857_155:
	s_or_b64 exec, exec, s[8:9]
	s_branch .LBB857_203
.LBB857_156:
	v_or_b32_e32 v18, 3, v1
	v_cmp_gt_u32_e32 vcc, s7, v18
	s_mov_b64 s[18:19], 0
	s_mov_b64 s[8:9], 0
	s_and_saveexec_b64 s[36:37], vcc
	s_cbranch_execz .LBB857_167
; %bb.157:
	s_andn2_b64 vcc, exec, s[14:15]
	s_mov_b64 s[38:39], 0
	s_cbranch_vccnz .LBB857_166
; %bb.158:
	v_mul_lo_u32 v20, v11, s26
	v_mul_lo_u32 v21, v10, s27
	v_mad_u64_u32 v[18:19], s[0:1], v10, s26, 0
	v_add3_u32 v19, v19, v21, v20
	v_mul_lo_u32 v20, v13, s26
	v_mul_lo_u32 v21, v12, s27
	v_mad_u64_u32 v[24:25], s[0:1], v12, s26, 0
	v_add3_u32 v25, v25, v21, v20
	v_lshlrev_b64 v[20:21], 3, v[18:19]
	v_mov_b32_e32 v18, s29
	v_add_co_u32_e32 v22, vcc, s28, v20
	v_addc_co_u32_e64 v23, s[0:1], v18, v21, vcc
	v_lshlrev_b64 v[18:19], 3, v[24:25]
	v_mov_b32_e32 v20, s29
	v_add_co_u32_e64 v24, s[0:1], s28, v18
	v_addc_co_u32_e64 v25, s[2:3], v20, v19, s[0:1]
	global_load_dwordx2 v[26:27], v[22:23], off
	global_load_dwordx2 v[30:31], v[24:25], off
	s_mov_b64 s[38:39], -1
	s_waitcnt vmcnt(0)
	v_cmp_eq_f64_e64 s[2:3], v[26:27], v[30:31]
	s_and_saveexec_b64 s[8:9], s[2:3]
	s_cbranch_execz .LBB857_165
; %bb.159:
	v_mov_b32_e32 v18, s29
	v_addc_co_u32_e64 v19, s[0:1], v19, v18, s[0:1]
	v_add_co_u32_e64 v18, s[0:1], 8, v24
	v_mov_b32_e32 v20, s29
	v_addc_co_u32_e64 v19, s[0:1], 0, v19, s[0:1]
	v_addc_co_u32_e32 v21, vcc, v21, v20, vcc
	v_add_co_u32_e32 v20, vcc, 8, v22
	s_add_u32 s0, s26, -1
	v_addc_co_u32_e32 v21, vcc, 0, v21, vcc
	s_addc_u32 s1, s27, -1
	s_mov_b64 s[2:3], 0
	s_mov_b64 s[40:41], 0
                                        ; implicit-def: $sgpr38_sgpr39
	s_branch .LBB857_162
.LBB857_160:                            ;   in Loop: Header=BB857_162 Depth=1
	global_load_dwordx2 v[22:23], v[20:21], off
	global_load_dwordx2 v[24:25], v[18:19], off
	v_add_co_u32_e32 v18, vcc, 8, v18
	v_addc_co_u32_e32 v19, vcc, 0, v19, vcc
	v_add_co_u32_e32 v20, vcc, 8, v20
	v_addc_co_u32_e32 v21, vcc, 0, v21, vcc
	s_add_u32 s40, s40, 1
	s_addc_u32 s41, s41, 0
	s_andn2_b64 s[38:39], s[38:39], exec
	s_waitcnt vmcnt(0)
	v_cmp_neq_f64_e32 vcc, v[22:23], v[24:25]
	s_and_b64 s[42:43], vcc, exec
	s_or_b64 s[38:39], s[38:39], s[42:43]
.LBB857_161:                            ;   in Loop: Header=BB857_162 Depth=1
	s_and_b64 s[42:43], exec, s[38:39]
	s_or_b64 s[2:3], s[42:43], s[2:3]
	v_pk_mov_b32 v[22:23], s[40:41], s[40:41] op_sel:[0,1]
	s_andn2_b64 exec, exec, s[2:3]
	s_cbranch_execz .LBB857_164
.LBB857_162:                            ; =>This Inner Loop Header: Depth=1
	s_or_b64 s[38:39], s[38:39], exec
	s_cmp_eq_u64 s[0:1], s[40:41]
	s_cbranch_scc0 .LBB857_160
; %bb.163:                              ;   in Loop: Header=BB857_162 Depth=1
                                        ; implicit-def: $vgpr18_vgpr19
                                        ; implicit-def: $vgpr20_vgpr21
	s_mov_b64 s[40:41], s[26:27]
	s_branch .LBB857_161
.LBB857_164:
	s_or_b64 exec, exec, s[2:3]
	v_cmp_gt_i64_e32 vcc, s[26:27], v[22:23]
	s_orn2_b64 s[38:39], vcc, exec
.LBB857_165:
	s_or_b64 exec, exec, s[8:9]
.LBB857_166:
	s_and_b64 s[8:9], s[38:39], exec
.LBB857_167:
	s_or_b64 exec, exec, s[36:37]
	v_or_b32_e32 v18, 2, v1
	v_cmp_gt_u32_e32 vcc, s7, v18
	s_and_saveexec_b64 s[36:37], vcc
	s_cbranch_execz .LBB857_178
; %bb.168:
	s_andn2_b64 vcc, exec, s[14:15]
	s_mov_b64 s[38:39], 0
	s_cbranch_vccnz .LBB857_177
; %bb.169:
	v_mul_lo_u32 v20, v17, s26
	v_mul_lo_u32 v21, v16, s27
	v_mad_u64_u32 v[18:19], s[0:1], v16, s26, 0
	v_add3_u32 v19, v19, v21, v20
	v_mul_lo_u32 v20, v11, s26
	v_mul_lo_u32 v21, v10, s27
	v_mad_u64_u32 v[24:25], s[0:1], v10, s26, 0
	v_add3_u32 v25, v25, v21, v20
	v_lshlrev_b64 v[20:21], 3, v[18:19]
	v_mov_b32_e32 v18, s29
	v_add_co_u32_e32 v22, vcc, s28, v20
	v_addc_co_u32_e64 v23, s[0:1], v18, v21, vcc
	v_lshlrev_b64 v[18:19], 3, v[24:25]
	v_mov_b32_e32 v20, s29
	v_add_co_u32_e64 v24, s[0:1], s28, v18
	v_addc_co_u32_e64 v25, s[2:3], v20, v19, s[0:1]
	global_load_dwordx2 v[26:27], v[22:23], off
	global_load_dwordx2 v[30:31], v[24:25], off
	s_mov_b64 s[38:39], -1
	s_waitcnt vmcnt(0)
	v_cmp_eq_f64_e64 s[2:3], v[26:27], v[30:31]
	s_and_saveexec_b64 s[18:19], s[2:3]
	s_cbranch_execz .LBB857_176
; %bb.170:
	v_mov_b32_e32 v18, s29
	v_addc_co_u32_e64 v19, s[0:1], v19, v18, s[0:1]
	v_add_co_u32_e64 v18, s[0:1], 8, v24
	v_mov_b32_e32 v20, s29
	v_addc_co_u32_e64 v19, s[0:1], 0, v19, s[0:1]
	v_addc_co_u32_e32 v21, vcc, v21, v20, vcc
	v_add_co_u32_e32 v20, vcc, 8, v22
	s_add_u32 s0, s26, -1
	v_addc_co_u32_e32 v21, vcc, 0, v21, vcc
	s_addc_u32 s1, s27, -1
	s_mov_b64 s[2:3], 0
	s_mov_b64 s[40:41], 0
                                        ; implicit-def: $sgpr38_sgpr39
	s_branch .LBB857_173
.LBB857_171:                            ;   in Loop: Header=BB857_173 Depth=1
	global_load_dwordx2 v[22:23], v[20:21], off
	global_load_dwordx2 v[24:25], v[18:19], off
	v_add_co_u32_e32 v18, vcc, 8, v18
	v_addc_co_u32_e32 v19, vcc, 0, v19, vcc
	v_add_co_u32_e32 v20, vcc, 8, v20
	v_addc_co_u32_e32 v21, vcc, 0, v21, vcc
	s_add_u32 s40, s40, 1
	s_addc_u32 s41, s41, 0
	s_andn2_b64 s[38:39], s[38:39], exec
	s_waitcnt vmcnt(0)
	v_cmp_neq_f64_e32 vcc, v[22:23], v[24:25]
	s_and_b64 s[42:43], vcc, exec
	s_or_b64 s[38:39], s[38:39], s[42:43]
.LBB857_172:                            ;   in Loop: Header=BB857_173 Depth=1
	s_and_b64 s[42:43], exec, s[38:39]
	s_or_b64 s[2:3], s[42:43], s[2:3]
	v_pk_mov_b32 v[22:23], s[40:41], s[40:41] op_sel:[0,1]
	s_andn2_b64 exec, exec, s[2:3]
	s_cbranch_execz .LBB857_175
.LBB857_173:                            ; =>This Inner Loop Header: Depth=1
	s_or_b64 s[38:39], s[38:39], exec
	s_cmp_eq_u64 s[0:1], s[40:41]
	s_cbranch_scc0 .LBB857_171
; %bb.174:                              ;   in Loop: Header=BB857_173 Depth=1
                                        ; implicit-def: $vgpr18_vgpr19
                                        ; implicit-def: $vgpr20_vgpr21
	s_mov_b64 s[40:41], s[26:27]
	s_branch .LBB857_172
.LBB857_175:
	s_or_b64 exec, exec, s[2:3]
	v_cmp_gt_i64_e32 vcc, s[26:27], v[22:23]
	s_orn2_b64 s[38:39], vcc, exec
.LBB857_176:
	s_or_b64 exec, exec, s[18:19]
.LBB857_177:
	s_and_b64 s[18:19], s[38:39], exec
.LBB857_178:
	s_or_b64 exec, exec, s[36:37]
	v_or_b32_e32 v18, 1, v1
	v_cmp_gt_u32_e32 vcc, s7, v18
	s_mov_b64 s[0:1], 0
	s_and_saveexec_b64 s[36:37], vcc
	s_cbranch_execz .LBB857_189
; %bb.179:
	s_andn2_b64 vcc, exec, s[14:15]
	s_mov_b64 s[40:41], 0
	s_cbranch_vccnz .LBB857_188
; %bb.180:
	v_mul_lo_u32 v20, v15, s26
	v_mul_lo_u32 v21, v14, s27
	v_mad_u64_u32 v[18:19], s[0:1], v14, s26, 0
	v_add3_u32 v19, v19, v21, v20
	v_mul_lo_u32 v20, v17, s26
	v_mul_lo_u32 v21, v16, s27
	v_mad_u64_u32 v[24:25], s[0:1], v16, s26, 0
	v_add3_u32 v25, v25, v21, v20
	v_lshlrev_b64 v[20:21], 3, v[18:19]
	v_mov_b32_e32 v18, s29
	v_add_co_u32_e32 v22, vcc, s28, v20
	v_addc_co_u32_e64 v23, s[0:1], v18, v21, vcc
	v_lshlrev_b64 v[18:19], 3, v[24:25]
	v_mov_b32_e32 v20, s29
	v_add_co_u32_e64 v24, s[0:1], s28, v18
	v_addc_co_u32_e64 v25, s[2:3], v20, v19, s[0:1]
	global_load_dwordx2 v[26:27], v[22:23], off
	global_load_dwordx2 v[30:31], v[24:25], off
	s_mov_b64 s[40:41], -1
	s_waitcnt vmcnt(0)
	v_cmp_eq_f64_e64 s[2:3], v[26:27], v[30:31]
	s_and_saveexec_b64 s[38:39], s[2:3]
	s_cbranch_execz .LBB857_187
; %bb.181:
	v_mov_b32_e32 v18, s29
	v_addc_co_u32_e64 v19, s[0:1], v19, v18, s[0:1]
	v_add_co_u32_e64 v18, s[0:1], 8, v24
	v_mov_b32_e32 v20, s29
	v_addc_co_u32_e64 v19, s[0:1], 0, v19, s[0:1]
	v_addc_co_u32_e32 v21, vcc, v21, v20, vcc
	v_add_co_u32_e32 v20, vcc, 8, v22
	s_add_u32 s0, s26, -1
	v_addc_co_u32_e32 v21, vcc, 0, v21, vcc
	s_addc_u32 s1, s27, -1
	s_mov_b64 s[2:3], 0
	s_mov_b64 s[42:43], 0
                                        ; implicit-def: $sgpr40_sgpr41
	s_branch .LBB857_184
.LBB857_182:                            ;   in Loop: Header=BB857_184 Depth=1
	global_load_dwordx2 v[22:23], v[20:21], off
	global_load_dwordx2 v[24:25], v[18:19], off
	v_add_co_u32_e32 v18, vcc, 8, v18
	v_addc_co_u32_e32 v19, vcc, 0, v19, vcc
	v_add_co_u32_e32 v20, vcc, 8, v20
	v_addc_co_u32_e32 v21, vcc, 0, v21, vcc
	s_add_u32 s42, s42, 1
	s_addc_u32 s43, s43, 0
	s_andn2_b64 s[40:41], s[40:41], exec
	s_waitcnt vmcnt(0)
	v_cmp_neq_f64_e32 vcc, v[22:23], v[24:25]
	s_and_b64 s[44:45], vcc, exec
	s_or_b64 s[40:41], s[40:41], s[44:45]
.LBB857_183:                            ;   in Loop: Header=BB857_184 Depth=1
	s_and_b64 s[44:45], exec, s[40:41]
	s_or_b64 s[2:3], s[44:45], s[2:3]
	v_pk_mov_b32 v[22:23], s[42:43], s[42:43] op_sel:[0,1]
	s_andn2_b64 exec, exec, s[2:3]
	s_cbranch_execz .LBB857_186
.LBB857_184:                            ; =>This Inner Loop Header: Depth=1
	s_or_b64 s[40:41], s[40:41], exec
	s_cmp_eq_u64 s[0:1], s[42:43]
	s_cbranch_scc0 .LBB857_182
; %bb.185:                              ;   in Loop: Header=BB857_184 Depth=1
                                        ; implicit-def: $vgpr18_vgpr19
                                        ; implicit-def: $vgpr20_vgpr21
	s_mov_b64 s[42:43], s[26:27]
	s_branch .LBB857_183
.LBB857_186:
	s_or_b64 exec, exec, s[2:3]
	v_cmp_gt_i64_e32 vcc, s[26:27], v[22:23]
	s_orn2_b64 s[40:41], vcc, exec
.LBB857_187:
	s_or_b64 exec, exec, s[38:39]
.LBB857_188:
	s_and_b64 s[0:1], s[40:41], exec
.LBB857_189:
	s_or_b64 exec, exec, s[36:37]
	v_cndmask_b32_e64 v19, 0, 1, s[8:9]
	v_cndmask_b32_e64 v20, 0, 1, s[0:1]
	;; [unrolled: 1-line block ×3, first 2 shown]
	v_lshlrev_b16_e32 v20, 8, v20
	v_lshlrev_b16_e32 v19, 8, v19
	v_or_b32_e32 v20, 1, v20
	v_or_b32_sdwa v18, v18, v19 dst_sel:WORD_1 dst_unused:UNUSED_PAD src0_sel:DWORD src1_sel:DWORD
	v_or_b32_sdwa v28, v20, v18 dst_sel:DWORD dst_unused:UNUSED_PAD src0_sel:WORD_0 src1_sel:DWORD
	v_cmp_ne_u32_e32 vcc, 0, v0
	s_waitcnt lgkmcnt(0)
	s_barrier
	s_waitcnt lgkmcnt(0)
                                        ; implicit-def: $sgpr18_sgpr19
	s_and_saveexec_b64 s[8:9], vcc
	s_cbranch_execz .LBB857_202
; %bb.190:
	v_cmp_gt_u32_e32 vcc, s7, v1
	s_mov_b64 s[0:1], 0
	s_and_saveexec_b64 s[18:19], vcc
	s_cbranch_execz .LBB857_201
; %bb.191:
	s_andn2_b64 vcc, exec, s[14:15]
	s_mov_b64 s[36:37], 0
	s_cbranch_vccnz .LBB857_200
; %bb.192:
	v_add_u32_e32 v18, -8, v29
	ds_read_b64 v[18:19], v18
	v_mul_lo_u32 v20, v15, s26
	v_mad_u64_u32 v[24:25], s[0:1], v14, s26, 0
	s_mov_b64 s[36:37], -1
	s_waitcnt lgkmcnt(0)
	v_mul_lo_u32 v21, v19, s26
	v_mul_lo_u32 v22, v18, s27
	v_mad_u64_u32 v[18:19], s[0:1], v18, s26, 0
	v_add3_u32 v19, v19, v22, v21
	v_mul_lo_u32 v21, v14, s27
	v_add3_u32 v25, v25, v21, v20
	v_lshlrev_b64 v[20:21], 3, v[18:19]
	v_mov_b32_e32 v18, s29
	v_add_co_u32_e32 v22, vcc, s28, v20
	v_addc_co_u32_e64 v23, s[0:1], v18, v21, vcc
	v_lshlrev_b64 v[18:19], 3, v[24:25]
	v_mov_b32_e32 v20, s29
	v_add_co_u32_e64 v24, s[0:1], s28, v18
	v_addc_co_u32_e64 v25, s[2:3], v20, v19, s[0:1]
	global_load_dwordx2 v[26:27], v[22:23], off
	global_load_dwordx2 v[30:31], v[24:25], off
	s_waitcnt vmcnt(0)
	v_cmp_eq_f64_e64 s[2:3], v[26:27], v[30:31]
	s_and_saveexec_b64 s[14:15], s[2:3]
	s_cbranch_execz .LBB857_199
; %bb.193:
	v_mov_b32_e32 v18, s29
	v_addc_co_u32_e64 v19, s[0:1], v19, v18, s[0:1]
	v_add_co_u32_e64 v18, s[0:1], 8, v24
	v_mov_b32_e32 v20, s29
	v_addc_co_u32_e64 v19, s[0:1], 0, v19, s[0:1]
	v_addc_co_u32_e32 v21, vcc, v21, v20, vcc
	v_add_co_u32_e32 v20, vcc, 8, v22
	s_add_u32 s0, s26, -1
	v_addc_co_u32_e32 v21, vcc, 0, v21, vcc
	s_addc_u32 s1, s27, -1
	s_mov_b64 s[2:3], 0
	s_mov_b64 s[36:37], 0
                                        ; implicit-def: $sgpr28_sgpr29
	s_branch .LBB857_196
.LBB857_194:                            ;   in Loop: Header=BB857_196 Depth=1
	global_load_dwordx2 v[22:23], v[20:21], off
	global_load_dwordx2 v[24:25], v[18:19], off
	v_add_co_u32_e32 v18, vcc, 8, v18
	v_addc_co_u32_e32 v19, vcc, 0, v19, vcc
	v_add_co_u32_e32 v20, vcc, 8, v20
	v_addc_co_u32_e32 v21, vcc, 0, v21, vcc
	s_add_u32 s36, s36, 1
	s_addc_u32 s37, s37, 0
	s_andn2_b64 s[28:29], s[28:29], exec
	s_waitcnt vmcnt(0)
	v_cmp_neq_f64_e32 vcc, v[22:23], v[24:25]
	s_and_b64 s[38:39], vcc, exec
	s_or_b64 s[28:29], s[28:29], s[38:39]
.LBB857_195:                            ;   in Loop: Header=BB857_196 Depth=1
	s_and_b64 s[38:39], exec, s[28:29]
	s_or_b64 s[2:3], s[38:39], s[2:3]
	v_pk_mov_b32 v[22:23], s[36:37], s[36:37] op_sel:[0,1]
	s_andn2_b64 exec, exec, s[2:3]
	s_cbranch_execz .LBB857_198
.LBB857_196:                            ; =>This Inner Loop Header: Depth=1
	s_or_b64 s[28:29], s[28:29], exec
	s_cmp_eq_u64 s[0:1], s[36:37]
	s_cbranch_scc0 .LBB857_194
; %bb.197:                              ;   in Loop: Header=BB857_196 Depth=1
                                        ; implicit-def: $vgpr18_vgpr19
                                        ; implicit-def: $vgpr20_vgpr21
	s_mov_b64 s[36:37], s[26:27]
	s_branch .LBB857_195
.LBB857_198:
	s_or_b64 exec, exec, s[2:3]
	v_cmp_gt_i64_e32 vcc, s[26:27], v[22:23]
	s_orn2_b64 s[36:37], vcc, exec
.LBB857_199:
	s_or_b64 exec, exec, s[14:15]
.LBB857_200:
	s_and_b64 s[0:1], s[36:37], exec
.LBB857_201:
	s_or_b64 exec, exec, s[18:19]
	s_and_b64 s[18:19], s[0:1], exec
	s_or_b64 s[12:13], s[12:13], exec
.LBB857_202:
	s_or_b64 exec, exec, s[8:9]
.LBB857_203:
	s_and_saveexec_b64 s[0:1], s[12:13]
; %bb.204:
	v_and_b32_e32 v18, 0xffffff00, v28
	v_cndmask_b32_e64 v19, 0, 1, s[18:19]
	v_or_b32_e32 v18, v19, v18
	v_and_b32_e32 v18, 0xffff, v18
	s_mov_b32 s2, 0xffff0000
	v_and_or_b32 v28, v28, s2, v18
; %bb.205:
	s_or_b64 exec, exec, s[0:1]
	s_andn2_b64 vcc, exec, s[10:11]
	s_cbranch_vccnz .LBB857_207
; %bb.206:
	v_cmp_gt_u32_e32 vcc, s7, v1
	v_cndmask_b32_e32 v18, 0, v28, vcc
	v_or_b32_e32 v19, 1, v1
	v_and_b32_e32 v18, 0xff, v18
	v_cmp_gt_u32_e32 vcc, s7, v19
	v_cndmask_b32_e32 v18, v18, v28, vcc
	v_or_b32_e32 v19, 2, v1
	v_and_b32_e32 v18, 0xffff, v18
	;; [unrolled: 4-line block ×3, first 2 shown]
	v_cmp_gt_u32_e32 vcc, s7, v19
	v_cndmask_b32_e32 v28, v18, v28, vcc
.LBB857_207:
	v_bfe_u32 v30, v28, 16, 8
	v_lshrrev_b32_e32 v29, 24, v28
	v_add_u32_sdwa v18, v28, v28 dst_sel:DWORD dst_unused:UNUSED_PAD src0_sel:BYTE_1 src1_sel:BYTE_0
	v_add3_u32 v33, v18, v30, v29
	v_mbcnt_lo_u32_b32 v18, -1, 0
	v_mbcnt_hi_u32_b32 v31, -1, v18
	v_and_b32_e32 v18, 15, v31
	v_cmp_eq_u32_e64 s[14:15], 0, v18
	v_cmp_lt_u32_e64 s[12:13], 1, v18
	v_cmp_lt_u32_e64 s[10:11], 3, v18
	;; [unrolled: 1-line block ×3, first 2 shown]
	v_and_b32_e32 v18, 16, v31
	v_cmp_eq_u32_e64 s[18:19], 0, v18
	v_or_b32_e32 v18, 63, v0
	v_cmp_lt_u32_e64 s[0:1], 31, v31
	v_lshrrev_b32_e32 v32, 6, v0
	v_cmp_eq_u32_e64 s[2:3], v18, v0
	s_and_b64 vcc, exec, s[16:17]
	s_waitcnt lgkmcnt(0)
	s_barrier
	s_cbranch_vccz .LBB857_238
; %bb.208:
	v_mov_b32_dpp v18, v33 row_shr:1 row_mask:0xf bank_mask:0xf
	v_cndmask_b32_e64 v18, v18, 0, s[14:15]
	v_add_u32_e32 v18, v18, v33
	s_nop 1
	v_mov_b32_dpp v19, v18 row_shr:2 row_mask:0xf bank_mask:0xf
	v_cndmask_b32_e64 v19, 0, v19, s[12:13]
	v_add_u32_e32 v18, v18, v19
	s_nop 1
	;; [unrolled: 4-line block ×4, first 2 shown]
	v_mov_b32_dpp v19, v18 row_bcast:15 row_mask:0xf bank_mask:0xf
	v_cndmask_b32_e64 v19, v19, 0, s[18:19]
	v_add_u32_e32 v18, v18, v19
	s_nop 1
	v_mov_b32_dpp v19, v18 row_bcast:31 row_mask:0xf bank_mask:0xf
	v_cndmask_b32_e64 v19, 0, v19, s[0:1]
	v_add_u32_e32 v18, v18, v19
	s_and_saveexec_b64 s[16:17], s[2:3]
	s_cbranch_execz .LBB857_210
; %bb.209:
	v_lshlrev_b32_e32 v19, 2, v32
	ds_write_b32 v19, v18
.LBB857_210:
	s_or_b64 exec, exec, s[16:17]
	v_cmp_gt_u32_e32 vcc, 2, v0
	s_waitcnt lgkmcnt(0)
	s_barrier
	s_and_saveexec_b64 s[16:17], vcc
	s_cbranch_execz .LBB857_212
; %bb.211:
	ds_read_b32 v19, v1
	v_bfe_i32 v20, v31, 0, 1
	s_waitcnt lgkmcnt(0)
	v_mov_b32_dpp v21, v19 row_shr:1 row_mask:0xf bank_mask:0xf
	v_and_b32_e32 v20, v20, v21
	v_add_u32_e32 v19, v20, v19
	ds_write_b32 v1, v19
.LBB857_212:
	s_or_b64 exec, exec, s[16:17]
	v_cmp_gt_u32_e32 vcc, 64, v0
	v_cmp_lt_u32_e64 s[16:17], 63, v0
	s_waitcnt lgkmcnt(0)
	s_barrier
	s_waitcnt lgkmcnt(0)
                                        ; implicit-def: $vgpr34
	s_and_saveexec_b64 s[26:27], s[16:17]
	s_cbranch_execz .LBB857_214
; %bb.213:
	v_lshl_add_u32 v19, v32, 2, -4
	ds_read_b32 v34, v19
	s_waitcnt lgkmcnt(0)
	v_add_u32_e32 v18, v34, v18
.LBB857_214:
	s_or_b64 exec, exec, s[26:27]
	v_add_u32_e32 v19, -1, v31
	v_and_b32_e32 v20, 64, v31
	v_cmp_lt_i32_e64 s[16:17], v19, v20
	v_cndmask_b32_e64 v19, v19, v31, s[16:17]
	v_lshlrev_b32_e32 v19, 2, v19
	ds_bpermute_b32 v35, v19, v18
	v_cmp_eq_u32_e64 s[16:17], 0, v31
	s_and_saveexec_b64 s[26:27], vcc
	s_cbranch_execz .LBB857_237
; %bb.215:
	v_mov_b32_e32 v27, 0
	ds_read_b32 v18, v27 offset:4
	s_and_saveexec_b64 s[28:29], s[16:17]
	s_cbranch_execz .LBB857_217
; %bb.216:
	s_add_i32 s36, s6, 64
	s_mov_b32 s37, 0
	s_lshl_b64 s[36:37], s[36:37], 3
	s_add_u32 s36, s30, s36
	v_mov_b32_e32 v19, 1
	s_addc_u32 s37, s31, s37
	s_waitcnt lgkmcnt(0)
	global_store_dwordx2 v27, v[18:19], s[36:37]
.LBB857_217:
	s_or_b64 exec, exec, s[28:29]
	v_xad_u32 v20, v31, -1, s6
	v_add_u32_e32 v26, 64, v20
	v_lshlrev_b64 v[22:23], 3, v[26:27]
	v_mov_b32_e32 v19, s31
	v_add_co_u32_e32 v22, vcc, s30, v22
	v_addc_co_u32_e32 v23, vcc, v19, v23, vcc
	global_load_dwordx2 v[24:25], v[22:23], off glc
	s_waitcnt vmcnt(0)
	v_cmp_eq_u16_sdwa s[36:37], v25, v27 src0_sel:BYTE_0 src1_sel:DWORD
	s_and_saveexec_b64 s[28:29], s[36:37]
	s_cbranch_execz .LBB857_223
; %bb.218:
	s_mov_b32 s7, 1
	s_mov_b64 s[36:37], 0
	v_mov_b32_e32 v19, 0
.LBB857_219:                            ; =>This Loop Header: Depth=1
                                        ;     Child Loop BB857_220 Depth 2
	s_max_u32 s33, s7, 1
.LBB857_220:                            ;   Parent Loop BB857_219 Depth=1
                                        ; =>  This Inner Loop Header: Depth=2
	s_add_i32 s33, s33, -1
	s_cmp_eq_u32 s33, 0
	s_sleep 1
	s_cbranch_scc0 .LBB857_220
; %bb.221:                              ;   in Loop: Header=BB857_219 Depth=1
	global_load_dwordx2 v[24:25], v[22:23], off glc
	s_cmp_lt_u32 s7, 32
	s_cselect_b64 s[38:39], -1, 0
	s_cmp_lg_u64 s[38:39], 0
	s_addc_u32 s7, s7, 0
	s_waitcnt vmcnt(0)
	v_cmp_ne_u16_sdwa s[38:39], v25, v19 src0_sel:BYTE_0 src1_sel:DWORD
	s_or_b64 s[36:37], s[38:39], s[36:37]
	s_andn2_b64 exec, exec, s[36:37]
	s_cbranch_execnz .LBB857_219
; %bb.222:
	s_or_b64 exec, exec, s[36:37]
.LBB857_223:
	s_or_b64 exec, exec, s[28:29]
	v_and_b32_e32 v36, 63, v31
	v_mov_b32_e32 v19, 2
	v_cmp_ne_u32_e32 vcc, 63, v36
	v_cmp_eq_u16_sdwa s[28:29], v25, v19 src0_sel:BYTE_0 src1_sel:DWORD
	v_lshlrev_b64 v[22:23], v31, -1
	v_addc_co_u32_e32 v27, vcc, 0, v31, vcc
	v_and_b32_e32 v21, s29, v23
	v_lshlrev_b32_e32 v37, 2, v27
	v_or_b32_e32 v21, 0x80000000, v21
	ds_bpermute_b32 v27, v37, v24
	v_and_b32_e32 v26, s28, v22
	v_ffbl_b32_e32 v21, v21
	v_add_u32_e32 v21, 32, v21
	v_ffbl_b32_e32 v26, v26
	v_min_u32_e32 v21, v26, v21
	v_cmp_lt_u32_e32 vcc, v36, v21
	s_waitcnt lgkmcnt(0)
	v_cndmask_b32_e32 v26, 0, v27, vcc
	v_cmp_gt_u32_e32 vcc, 62, v36
	v_add_u32_e32 v24, v26, v24
	v_cndmask_b32_e64 v26, 0, 1, vcc
	v_lshlrev_b32_e32 v26, 1, v26
	v_add_lshl_u32 v38, v26, v31, 2
	ds_bpermute_b32 v26, v38, v24
	v_add_u32_e32 v39, 2, v36
	v_cmp_le_u32_e32 vcc, v39, v21
	v_add_u32_e32 v41, 4, v36
	v_add_u32_e32 v43, 8, v36
	s_waitcnt lgkmcnt(0)
	v_cndmask_b32_e32 v26, 0, v26, vcc
	v_cmp_gt_u32_e32 vcc, 60, v36
	v_add_u32_e32 v24, v24, v26
	v_cndmask_b32_e64 v26, 0, 1, vcc
	v_lshlrev_b32_e32 v26, 2, v26
	v_add_lshl_u32 v40, v26, v31, 2
	ds_bpermute_b32 v26, v40, v24
	v_cmp_le_u32_e32 vcc, v41, v21
	v_add_u32_e32 v46, 16, v36
	v_add_u32_e32 v48, 32, v36
	s_waitcnt lgkmcnt(0)
	v_cndmask_b32_e32 v26, 0, v26, vcc
	v_cmp_gt_u32_e32 vcc, 56, v36
	v_add_u32_e32 v24, v24, v26
	v_cndmask_b32_e64 v26, 0, 1, vcc
	v_lshlrev_b32_e32 v26, 3, v26
	v_add_lshl_u32 v42, v26, v31, 2
	ds_bpermute_b32 v26, v42, v24
	v_cmp_le_u32_e32 vcc, v43, v21
	s_waitcnt lgkmcnt(0)
	v_cndmask_b32_e32 v26, 0, v26, vcc
	v_cmp_gt_u32_e32 vcc, 48, v36
	v_add_u32_e32 v24, v24, v26
	v_cndmask_b32_e64 v26, 0, 1, vcc
	v_lshlrev_b32_e32 v26, 4, v26
	v_add_lshl_u32 v45, v26, v31, 2
	ds_bpermute_b32 v26, v45, v24
	v_cmp_le_u32_e32 vcc, v46, v21
	;; [unrolled: 9-line block ×3, first 2 shown]
	s_waitcnt lgkmcnt(0)
	v_cndmask_b32_e32 v21, 0, v26, vcc
	v_add_u32_e32 v24, v24, v21
	v_mov_b32_e32 v21, 0
	s_branch .LBB857_225
.LBB857_224:                            ;   in Loop: Header=BB857_225 Depth=1
	s_or_b64 exec, exec, s[28:29]
	v_cmp_eq_u16_sdwa s[28:29], v25, v19 src0_sel:BYTE_0 src1_sel:DWORD
	v_and_b32_e32 v26, s29, v23
	v_or_b32_e32 v26, 0x80000000, v26
	ds_bpermute_b32 v49, v37, v24
	v_and_b32_e32 v27, s28, v22
	v_ffbl_b32_e32 v26, v26
	v_add_u32_e32 v26, 32, v26
	v_ffbl_b32_e32 v27, v27
	v_min_u32_e32 v26, v27, v26
	v_cmp_lt_u32_e32 vcc, v36, v26
	s_waitcnt lgkmcnt(0)
	v_cndmask_b32_e32 v27, 0, v49, vcc
	v_add_u32_e32 v24, v27, v24
	ds_bpermute_b32 v27, v38, v24
	v_cmp_le_u32_e32 vcc, v39, v26
	v_subrev_u32_e32 v20, 64, v20
	s_waitcnt lgkmcnt(0)
	v_cndmask_b32_e32 v27, 0, v27, vcc
	v_add_u32_e32 v24, v24, v27
	ds_bpermute_b32 v27, v40, v24
	v_cmp_le_u32_e32 vcc, v41, v26
	s_waitcnt lgkmcnt(0)
	v_cndmask_b32_e32 v27, 0, v27, vcc
	v_add_u32_e32 v24, v24, v27
	ds_bpermute_b32 v27, v42, v24
	v_cmp_le_u32_e32 vcc, v43, v26
	;; [unrolled: 5-line block ×4, first 2 shown]
	s_waitcnt lgkmcnt(0)
	v_cndmask_b32_e32 v26, 0, v27, vcc
	v_add3_u32 v24, v26, v44, v24
.LBB857_225:                            ; =>This Loop Header: Depth=1
                                        ;     Child Loop BB857_228 Depth 2
                                        ;       Child Loop BB857_229 Depth 3
	v_cmp_ne_u16_sdwa s[28:29], v25, v19 src0_sel:BYTE_0 src1_sel:DWORD
	v_cndmask_b32_e64 v25, 0, 1, s[28:29]
	;;#ASMSTART
	;;#ASMEND
	v_cmp_ne_u32_e32 vcc, 0, v25
	s_cmp_lg_u64 vcc, exec
	v_mov_b32_e32 v44, v24
	s_cbranch_scc1 .LBB857_232
; %bb.226:                              ;   in Loop: Header=BB857_225 Depth=1
	v_lshlrev_b64 v[24:25], 3, v[20:21]
	v_mov_b32_e32 v27, s31
	v_add_co_u32_e32 v26, vcc, s30, v24
	v_addc_co_u32_e32 v27, vcc, v27, v25, vcc
	global_load_dwordx2 v[24:25], v[26:27], off glc
	s_waitcnt vmcnt(0)
	v_cmp_eq_u16_sdwa s[36:37], v25, v21 src0_sel:BYTE_0 src1_sel:DWORD
	s_and_saveexec_b64 s[28:29], s[36:37]
	s_cbranch_execz .LBB857_224
; %bb.227:                              ;   in Loop: Header=BB857_225 Depth=1
	s_mov_b32 s7, 1
	s_mov_b64 s[36:37], 0
.LBB857_228:                            ;   Parent Loop BB857_225 Depth=1
                                        ; =>  This Loop Header: Depth=2
                                        ;       Child Loop BB857_229 Depth 3
	s_max_u32 s33, s7, 1
.LBB857_229:                            ;   Parent Loop BB857_225 Depth=1
                                        ;     Parent Loop BB857_228 Depth=2
                                        ; =>    This Inner Loop Header: Depth=3
	s_add_i32 s33, s33, -1
	s_cmp_eq_u32 s33, 0
	s_sleep 1
	s_cbranch_scc0 .LBB857_229
; %bb.230:                              ;   in Loop: Header=BB857_228 Depth=2
	global_load_dwordx2 v[24:25], v[26:27], off glc
	s_cmp_lt_u32 s7, 32
	s_cselect_b64 s[38:39], -1, 0
	s_cmp_lg_u64 s[38:39], 0
	s_addc_u32 s7, s7, 0
	s_waitcnt vmcnt(0)
	v_cmp_ne_u16_sdwa s[38:39], v25, v21 src0_sel:BYTE_0 src1_sel:DWORD
	s_or_b64 s[36:37], s[38:39], s[36:37]
	s_andn2_b64 exec, exec, s[36:37]
	s_cbranch_execnz .LBB857_228
; %bb.231:                              ;   in Loop: Header=BB857_225 Depth=1
	s_or_b64 exec, exec, s[36:37]
	s_branch .LBB857_224
.LBB857_232:                            ;   in Loop: Header=BB857_225 Depth=1
                                        ; implicit-def: $vgpr24
                                        ; implicit-def: $vgpr25
	s_cbranch_execz .LBB857_225
; %bb.233:
	s_and_saveexec_b64 s[28:29], s[16:17]
	s_cbranch_execz .LBB857_235
; %bb.234:
	s_add_i32 s6, s6, 64
	s_mov_b32 s7, 0
	s_lshl_b64 s[6:7], s[6:7], 3
	s_add_u32 s6, s30, s6
	v_add_u32_e32 v20, v44, v18
	v_mov_b32_e32 v21, 2
	s_addc_u32 s7, s31, s7
	v_mov_b32_e32 v19, 0
	global_store_dwordx2 v19, v[20:21], s[6:7]
	s_movk_i32 s6, 0x1000
	v_add_u32_e64 v19, s6, 0
	ds_write2_b32 v19, v18, v44 offset0:32 offset1:34
.LBB857_235:
	s_or_b64 exec, exec, s[28:29]
	v_cmp_eq_u32_e32 vcc, 0, v0
	s_and_b64 exec, exec, vcc
	s_cbranch_execz .LBB857_237
; %bb.236:
	v_mov_b32_e32 v18, 0
	ds_write_b32 v18, v44 offset:4
.LBB857_237:
	s_or_b64 exec, exec, s[26:27]
	v_mov_b32_e32 v19, 0
	s_waitcnt lgkmcnt(0)
	s_barrier
	ds_read_b32 v19, v19 offset:4
	s_movk_i32 s6, 0x1000
	v_add_u32_e64 v20, s6, 0
	v_cndmask_b32_e64 v18, v35, v34, s[16:17]
	v_cmp_ne_u32_e32 vcc, 0, v0
	s_waitcnt lgkmcnt(0)
	s_barrier
	ds_read2_b32 v[26:27], v20 offset0:32 offset1:34
	v_cndmask_b32_e32 v18, 0, v18, vcc
	v_add_u32_e32 v24, v19, v18
	v_add_u32_sdwa v22, v24, v28 dst_sel:DWORD dst_unused:UNUSED_PAD src0_sel:DWORD src1_sel:BYTE_0
	v_add_u32_sdwa v20, v22, v28 dst_sel:DWORD dst_unused:UNUSED_PAD src0_sel:DWORD src1_sel:BYTE_1
	v_add_u32_e32 v18, v20, v30
	s_waitcnt lgkmcnt(0)
	v_readfirstlane_b32 s26, v26
	v_readfirstlane_b32 s16, v27
	s_branch .LBB857_248
.LBB857_238:
                                        ; implicit-def: $vgpr18
                                        ; implicit-def: $vgpr20
                                        ; implicit-def: $vgpr22
                                        ; implicit-def: $vgpr24
                                        ; implicit-def: $sgpr16
                                        ; implicit-def: $sgpr26
	s_cbranch_execz .LBB857_248
; %bb.239:
	s_nop 0
	v_mov_b32_dpp v18, v33 row_shr:1 row_mask:0xf bank_mask:0xf
	v_cndmask_b32_e64 v18, v18, 0, s[14:15]
	v_add_u32_e32 v18, v18, v33
	s_nop 1
	v_mov_b32_dpp v19, v18 row_shr:2 row_mask:0xf bank_mask:0xf
	v_cndmask_b32_e64 v19, 0, v19, s[12:13]
	v_add_u32_e32 v18, v18, v19
	;; [unrolled: 4-line block ×4, first 2 shown]
	s_nop 1
	v_mov_b32_dpp v19, v18 row_bcast:15 row_mask:0xf bank_mask:0xf
	v_cndmask_b32_e64 v19, v19, 0, s[18:19]
	v_add_u32_e32 v18, v18, v19
	s_nop 1
	v_mov_b32_dpp v19, v18 row_bcast:31 row_mask:0xf bank_mask:0xf
	v_cndmask_b32_e64 v19, 0, v19, s[0:1]
	v_add_u32_e32 v18, v18, v19
	s_and_saveexec_b64 s[0:1], s[2:3]
	s_cbranch_execz .LBB857_241
; %bb.240:
	v_lshlrev_b32_e32 v19, 2, v32
	ds_write_b32 v19, v18
.LBB857_241:
	s_or_b64 exec, exec, s[0:1]
	v_cmp_gt_u32_e32 vcc, 2, v0
	s_waitcnt lgkmcnt(0)
	s_barrier
	s_and_saveexec_b64 s[0:1], vcc
	s_cbranch_execz .LBB857_243
; %bb.242:
	ds_read_b32 v19, v1
	v_bfe_i32 v20, v31, 0, 1
	s_waitcnt lgkmcnt(0)
	v_mov_b32_dpp v21, v19 row_shr:1 row_mask:0xf bank_mask:0xf
	v_and_b32_e32 v20, v20, v21
	v_add_u32_e32 v19, v20, v19
	ds_write_b32 v1, v19
.LBB857_243:
	s_or_b64 exec, exec, s[0:1]
	v_cmp_lt_u32_e32 vcc, 63, v0
	v_mov_b32_e32 v19, 0
	v_mov_b32_e32 v1, 0
	s_waitcnt lgkmcnt(0)
	s_barrier
	s_and_saveexec_b64 s[0:1], vcc
	s_cbranch_execz .LBB857_245
; %bb.244:
	v_lshl_add_u32 v1, v32, 2, -4
	ds_read_b32 v1, v1
.LBB857_245:
	s_or_b64 exec, exec, s[0:1]
	v_add_u32_e32 v20, -1, v31
	v_and_b32_e32 v21, 64, v31
	v_cmp_lt_i32_e32 vcc, v20, v21
	v_cndmask_b32_e32 v20, v20, v31, vcc
	s_waitcnt lgkmcnt(0)
	v_add_u32_e32 v18, v1, v18
	v_lshlrev_b32_e32 v20, 2, v20
	ds_read_b32 v19, v19 offset:4
	ds_bpermute_b32 v18, v20, v18
	s_mov_b32 s16, 0
	v_cmp_eq_u32_e32 vcc, 0, v0
	s_waitcnt lgkmcnt(1)
	v_readfirstlane_b32 s26, v19
	s_and_saveexec_b64 s[0:1], vcc
	s_cbranch_execz .LBB857_247
; %bb.246:
	v_mov_b32_e32 v19, 0
	v_mov_b32_e32 v20, s26
	;; [unrolled: 1-line block ×3, first 2 shown]
	global_store_dwordx2 v19, v[20:21], s[30:31] offset:512
.LBB857_247:
	s_or_b64 exec, exec, s[0:1]
	v_cmp_eq_u32_e64 s[0:1], 0, v31
	s_waitcnt lgkmcnt(0)
	v_cndmask_b32_e64 v1, v18, v1, s[0:1]
	v_cndmask_b32_e64 v24, v1, 0, vcc
	v_add_u32_sdwa v22, v24, v28 dst_sel:DWORD dst_unused:UNUSED_PAD src0_sel:DWORD src1_sel:BYTE_0
	v_add_u32_sdwa v20, v22, v28 dst_sel:DWORD dst_unused:UNUSED_PAD src0_sel:DWORD src1_sel:BYTE_1
	v_add_u32_e32 v18, v20, v30
	s_barrier
.LBB857_248:
	s_load_dwordx4 s[4:7], s[4:5], 0x28
	s_cmpk_lt_u32 s26, 0x81
	s_cselect_b64 s[2:3], -1, 0
	v_lshrrev_b32_e32 v1, 8, v28
	s_mov_b64 s[0:1], -1
	s_and_b64 vcc, exec, s[2:3]
	s_cbranch_vccz .LBB857_262
; %bb.249:
	s_add_i32 s8, s16, s26
	v_cmp_gt_u32_e32 vcc, s8, v24
	s_or_b64 s[10:11], s[34:35], vcc
	s_and_saveexec_b64 s[0:1], s[10:11]
	s_cbranch_execz .LBB857_252
; %bb.250:
	v_and_b32_e32 v19, 1, v28
	v_cmp_eq_u32_e32 vcc, 1, v19
	s_and_b64 exec, exec, vcc
	s_cbranch_execz .LBB857_252
; %bb.251:
	s_lshl_b64 s[10:11], s[22:23], 3
	s_waitcnt lgkmcnt(0)
	s_add_u32 s9, s4, s10
	v_mov_b32_e32 v25, 0
	s_addc_u32 s10, s5, s11
	v_lshlrev_b64 v[26:27], 3, v[24:25]
	v_mov_b32_e32 v19, s10
	v_add_co_u32_e32 v26, vcc, s9, v26
	v_addc_co_u32_e32 v27, vcc, v19, v27, vcc
	global_store_dwordx2 v[26:27], v[14:15], off
.LBB857_252:
	s_or_b64 exec, exec, s[0:1]
	v_cmp_gt_u32_e32 vcc, s8, v22
	s_or_b64 s[10:11], s[34:35], vcc
	s_and_saveexec_b64 s[0:1], s[10:11]
	s_cbranch_execz .LBB857_255
; %bb.253:
	v_and_b32_e32 v19, 1, v1
	v_cmp_eq_u32_e32 vcc, 1, v19
	s_and_b64 exec, exec, vcc
	s_cbranch_execz .LBB857_255
; %bb.254:
	s_lshl_b64 s[10:11], s[22:23], 3
	s_waitcnt lgkmcnt(0)
	s_add_u32 s9, s4, s10
	v_mov_b32_e32 v23, 0
	s_addc_u32 s10, s5, s11
	v_lshlrev_b64 v[26:27], 3, v[22:23]
	v_mov_b32_e32 v19, s10
	v_add_co_u32_e32 v26, vcc, s9, v26
	v_addc_co_u32_e32 v27, vcc, v19, v27, vcc
	global_store_dwordx2 v[26:27], v[16:17], off
.LBB857_255:
	s_or_b64 exec, exec, s[0:1]
	v_cmp_gt_u32_e32 vcc, s8, v20
	s_or_b64 s[10:11], s[34:35], vcc
	s_and_saveexec_b64 s[0:1], s[10:11]
	s_cbranch_execz .LBB857_258
; %bb.256:
	v_mov_b32_e32 v19, 1
	v_and_b32_sdwa v19, v19, v28 dst_sel:DWORD dst_unused:UNUSED_PAD src0_sel:DWORD src1_sel:WORD_1
	v_cmp_eq_u32_e32 vcc, 1, v19
	s_and_b64 exec, exec, vcc
	s_cbranch_execz .LBB857_258
; %bb.257:
	s_lshl_b64 s[10:11], s[22:23], 3
	s_waitcnt lgkmcnt(0)
	s_add_u32 s9, s4, s10
	v_mov_b32_e32 v21, 0
	s_addc_u32 s10, s5, s11
	v_lshlrev_b64 v[26:27], 3, v[20:21]
	v_mov_b32_e32 v19, s10
	v_add_co_u32_e32 v26, vcc, s9, v26
	v_addc_co_u32_e32 v27, vcc, v19, v27, vcc
	global_store_dwordx2 v[26:27], v[10:11], off
.LBB857_258:
	s_or_b64 exec, exec, s[0:1]
	v_cmp_gt_u32_e32 vcc, s8, v18
	s_or_b64 s[8:9], s[34:35], vcc
	s_and_saveexec_b64 s[0:1], s[8:9]
	s_cbranch_execz .LBB857_261
; %bb.259:
	v_and_b32_e32 v19, 1, v29
	v_cmp_eq_u32_e32 vcc, 1, v19
	s_and_b64 exec, exec, vcc
	s_cbranch_execz .LBB857_261
; %bb.260:
	s_lshl_b64 s[8:9], s[22:23], 3
	s_waitcnt lgkmcnt(0)
	s_add_u32 s8, s4, s8
	v_mov_b32_e32 v19, 0
	s_addc_u32 s9, s5, s9
	v_lshlrev_b64 v[26:27], 3, v[18:19]
	v_mov_b32_e32 v19, s9
	v_add_co_u32_e32 v26, vcc, s8, v26
	v_addc_co_u32_e32 v27, vcc, v19, v27, vcc
	global_store_dwordx2 v[26:27], v[12:13], off
.LBB857_261:
	s_or_b64 exec, exec, s[0:1]
	s_mov_b64 s[0:1], 0
.LBB857_262:
	v_and_b32_e32 v26, 1, v28
	s_and_b64 vcc, exec, s[0:1]
	v_cmp_eq_u32_e64 s[0:1], 1, v26
	s_cbranch_vccz .LBB857_275
; %bb.263:
	s_and_saveexec_b64 s[8:9], s[0:1]
	s_cbranch_execz .LBB857_265
; %bb.264:
	v_subrev_u32_e32 v19, s16, v24
	v_lshlrev_b32_e32 v19, 3, v19
	ds_write_b64 v19, v[14:15]
.LBB857_265:
	s_or_b64 exec, exec, s[8:9]
	v_and_b32_e32 v14, 1, v1
	v_cmp_eq_u32_e32 vcc, 1, v14
	s_and_saveexec_b64 s[0:1], vcc
	s_cbranch_execz .LBB857_267
; %bb.266:
	v_subrev_u32_e32 v14, s16, v22
	v_lshlrev_b32_e32 v14, 3, v14
	ds_write_b64 v14, v[16:17]
.LBB857_267:
	s_or_b64 exec, exec, s[0:1]
	v_mov_b32_e32 v14, 1
	v_and_b32_sdwa v14, v14, v28 dst_sel:DWORD dst_unused:UNUSED_PAD src0_sel:DWORD src1_sel:WORD_1
	v_cmp_eq_u32_e32 vcc, 1, v14
	s_and_saveexec_b64 s[0:1], vcc
	s_cbranch_execz .LBB857_269
; %bb.268:
	v_subrev_u32_e32 v14, s16, v20
	v_lshlrev_b32_e32 v14, 3, v14
	ds_write_b64 v14, v[10:11]
.LBB857_269:
	s_or_b64 exec, exec, s[0:1]
	v_and_b32_e32 v10, 1, v29
	v_cmp_eq_u32_e32 vcc, 1, v10
	s_and_saveexec_b64 s[0:1], vcc
	s_cbranch_execz .LBB857_271
; %bb.270:
	v_subrev_u32_e32 v10, s16, v18
	v_lshlrev_b32_e32 v10, 3, v10
	ds_write_b64 v10, v[12:13]
.LBB857_271:
	s_or_b64 exec, exec, s[0:1]
	v_cmp_gt_u32_e32 vcc, s26, v0
	s_waitcnt lgkmcnt(0)
	s_barrier
	s_and_saveexec_b64 s[0:1], vcc
	s_cbranch_execz .LBB857_274
; %bb.272:
	s_mov_b32 s17, 0
	s_lshl_b64 s[8:9], s[16:17], 3
	s_add_u32 s8, s4, s8
	s_addc_u32 s9, s5, s9
	s_lshl_b64 s[4:5], s[22:23], 3
	s_add_u32 s8, s8, s4
	s_addc_u32 s9, s9, s5
	v_lshlrev_b32_e32 v12, 3, v0
	s_mov_b64 s[4:5], 0
	v_mov_b32_e32 v11, 0
	v_mov_b32_e32 v13, s9
	;; [unrolled: 1-line block ×3, first 2 shown]
.LBB857_273:                            ; =>This Inner Loop Header: Depth=1
	ds_read_b64 v[14:15], v12
	v_lshlrev_b64 v[16:17], 3, v[10:11]
	v_add_co_u32_e32 v16, vcc, s8, v16
	v_add_u32_e32 v10, 0x80, v10
	v_addc_co_u32_e32 v17, vcc, v13, v17, vcc
	v_cmp_le_u32_e32 vcc, s26, v10
	v_add_u32_e32 v12, 0x400, v12
	s_or_b64 s[4:5], vcc, s[4:5]
	s_waitcnt lgkmcnt(0)
	global_store_dwordx2 v[16:17], v[14:15], off
	s_andn2_b64 exec, exec, s[4:5]
	s_cbranch_execnz .LBB857_273
.LBB857_274:
	s_or_b64 exec, exec, s[0:1]
.LBB857_275:
	s_mov_b64 s[0:1], -1
	s_and_b64 vcc, exec, s[2:3]
	s_waitcnt lgkmcnt(0)
	s_barrier
	s_cbranch_vccnz .LBB857_279
; %bb.276:
	s_and_b64 vcc, exec, s[0:1]
	s_cbranch_vccnz .LBB857_292
.LBB857_277:
	v_cmp_eq_u32_e32 vcc, 0, v0
	s_and_b64 s[0:1], vcc, s[24:25]
	s_and_saveexec_b64 s[2:3], s[0:1]
	s_cbranch_execnz .LBB857_304
.LBB857_278:
	s_endpgm
.LBB857_279:
	s_add_i32 s2, s16, s26
	v_cmp_gt_u32_e32 vcc, s2, v24
	s_or_b64 s[4:5], s[34:35], vcc
	s_and_saveexec_b64 s[0:1], s[4:5]
	s_cbranch_execz .LBB857_282
; %bb.280:
	v_cmp_eq_u32_e32 vcc, 1, v26
	s_and_b64 exec, exec, vcc
	s_cbranch_execz .LBB857_282
; %bb.281:
	s_lshl_b64 s[4:5], s[22:23], 3
	s_add_u32 s3, s6, s4
	v_mov_b32_e32 v25, 0
	s_addc_u32 s4, s7, s5
	v_lshlrev_b64 v[10:11], 3, v[24:25]
	v_mov_b32_e32 v12, s4
	v_add_co_u32_e32 v10, vcc, s3, v10
	v_addc_co_u32_e32 v11, vcc, v12, v11, vcc
	global_store_dwordx2 v[10:11], v[6:7], off
.LBB857_282:
	s_or_b64 exec, exec, s[0:1]
	v_cmp_gt_u32_e32 vcc, s2, v22
	s_or_b64 s[4:5], s[34:35], vcc
	s_and_saveexec_b64 s[0:1], s[4:5]
	s_cbranch_execz .LBB857_285
; %bb.283:
	v_and_b32_e32 v10, 1, v1
	v_cmp_eq_u32_e32 vcc, 1, v10
	s_and_b64 exec, exec, vcc
	s_cbranch_execz .LBB857_285
; %bb.284:
	s_lshl_b64 s[4:5], s[22:23], 3
	s_add_u32 s3, s6, s4
	v_mov_b32_e32 v23, 0
	s_addc_u32 s4, s7, s5
	v_lshlrev_b64 v[10:11], 3, v[22:23]
	v_mov_b32_e32 v12, s4
	v_add_co_u32_e32 v10, vcc, s3, v10
	v_addc_co_u32_e32 v11, vcc, v12, v11, vcc
	global_store_dwordx2 v[10:11], v[8:9], off
.LBB857_285:
	s_or_b64 exec, exec, s[0:1]
	v_cmp_gt_u32_e32 vcc, s2, v20
	s_or_b64 s[4:5], s[34:35], vcc
	s_and_saveexec_b64 s[0:1], s[4:5]
	s_cbranch_execz .LBB857_288
; %bb.286:
	v_mov_b32_e32 v10, 1
	v_and_b32_sdwa v10, v10, v28 dst_sel:DWORD dst_unused:UNUSED_PAD src0_sel:DWORD src1_sel:WORD_1
	v_cmp_eq_u32_e32 vcc, 1, v10
	s_and_b64 exec, exec, vcc
	s_cbranch_execz .LBB857_288
; %bb.287:
	s_lshl_b64 s[4:5], s[22:23], 3
	s_add_u32 s3, s6, s4
	v_mov_b32_e32 v21, 0
	s_addc_u32 s4, s7, s5
	v_lshlrev_b64 v[10:11], 3, v[20:21]
	v_mov_b32_e32 v12, s4
	v_add_co_u32_e32 v10, vcc, s3, v10
	v_addc_co_u32_e32 v11, vcc, v12, v11, vcc
	global_store_dwordx2 v[10:11], v[2:3], off
.LBB857_288:
	s_or_b64 exec, exec, s[0:1]
	v_cmp_gt_u32_e32 vcc, s2, v18
	s_or_b64 s[2:3], s[34:35], vcc
	s_and_saveexec_b64 s[0:1], s[2:3]
	s_cbranch_execz .LBB857_291
; %bb.289:
	v_and_b32_e32 v10, 1, v29
	v_cmp_eq_u32_e32 vcc, 1, v10
	s_and_b64 exec, exec, vcc
	s_cbranch_execz .LBB857_291
; %bb.290:
	s_lshl_b64 s[2:3], s[22:23], 3
	s_add_u32 s2, s6, s2
	v_mov_b32_e32 v19, 0
	s_addc_u32 s3, s7, s3
	v_lshlrev_b64 v[10:11], 3, v[18:19]
	v_mov_b32_e32 v12, s3
	v_add_co_u32_e32 v10, vcc, s2, v10
	v_addc_co_u32_e32 v11, vcc, v12, v11, vcc
	global_store_dwordx2 v[10:11], v[4:5], off
.LBB857_291:
	s_or_b64 exec, exec, s[0:1]
	s_branch .LBB857_277
.LBB857_292:
	v_cmp_eq_u32_e32 vcc, 1, v26
	s_and_saveexec_b64 s[0:1], vcc
	s_cbranch_execz .LBB857_294
; %bb.293:
	v_subrev_u32_e32 v10, s16, v24
	v_lshlrev_b32_e32 v10, 3, v10
	ds_write_b64 v10, v[6:7]
.LBB857_294:
	s_or_b64 exec, exec, s[0:1]
	v_and_b32_e32 v1, 1, v1
	v_cmp_eq_u32_e32 vcc, 1, v1
	s_and_saveexec_b64 s[0:1], vcc
	s_cbranch_execz .LBB857_296
; %bb.295:
	v_subrev_u32_e32 v1, s16, v22
	v_lshlrev_b32_e32 v1, 3, v1
	ds_write_b64 v1, v[8:9]
.LBB857_296:
	s_or_b64 exec, exec, s[0:1]
	v_mov_b32_e32 v1, 1
	v_and_b32_sdwa v1, v1, v28 dst_sel:DWORD dst_unused:UNUSED_PAD src0_sel:DWORD src1_sel:WORD_1
	v_cmp_eq_u32_e32 vcc, 1, v1
	s_and_saveexec_b64 s[0:1], vcc
	s_cbranch_execz .LBB857_298
; %bb.297:
	v_subrev_u32_e32 v1, s16, v20
	v_lshlrev_b32_e32 v1, 3, v1
	ds_write_b64 v1, v[2:3]
.LBB857_298:
	s_or_b64 exec, exec, s[0:1]
	v_and_b32_e32 v1, 1, v29
	v_cmp_eq_u32_e32 vcc, 1, v1
	s_and_saveexec_b64 s[0:1], vcc
	s_cbranch_execz .LBB857_300
; %bb.299:
	v_subrev_u32_e32 v1, s16, v18
	v_lshlrev_b32_e32 v1, 3, v1
	ds_write_b64 v1, v[4:5]
.LBB857_300:
	s_or_b64 exec, exec, s[0:1]
	v_cmp_gt_u32_e32 vcc, s26, v0
	s_waitcnt lgkmcnt(0)
	s_barrier
	s_and_saveexec_b64 s[0:1], vcc
	s_cbranch_execz .LBB857_303
; %bb.301:
	s_mov_b32 s17, 0
	s_lshl_b64 s[2:3], s[16:17], 3
	s_add_u32 s4, s6, s2
	s_addc_u32 s5, s7, s3
	s_lshl_b64 s[2:3], s[22:23], 3
	s_add_u32 s4, s4, s2
	s_addc_u32 s5, s5, s3
	v_lshlrev_b32_e32 v1, 3, v0
	s_mov_b64 s[2:3], 0
	v_mov_b32_e32 v3, 0
	v_mov_b32_e32 v4, s5
	v_mov_b32_e32 v2, v0
.LBB857_302:                            ; =>This Inner Loop Header: Depth=1
	ds_read_b64 v[6:7], v1
	v_lshlrev_b64 v[8:9], 3, v[2:3]
	v_add_co_u32_e32 v8, vcc, s4, v8
	v_add_u32_e32 v2, 0x80, v2
	v_addc_co_u32_e32 v9, vcc, v4, v9, vcc
	v_cmp_le_u32_e32 vcc, s26, v2
	v_add_u32_e32 v1, 0x400, v1
	s_or_b64 s[2:3], vcc, s[2:3]
	s_waitcnt lgkmcnt(0)
	global_store_dwordx2 v[8:9], v[6:7], off
	s_andn2_b64 exec, exec, s[2:3]
	s_cbranch_execnz .LBB857_302
.LBB857_303:
	s_or_b64 exec, exec, s[0:1]
	v_cmp_eq_u32_e32 vcc, 0, v0
	s_and_b64 s[0:1], vcc, s[24:25]
	s_and_saveexec_b64 s[2:3], s[0:1]
	s_cbranch_execz .LBB857_278
.LBB857_304:
	s_add_u32 s0, s22, s26
	s_addc_u32 s1, s23, 0
	s_add_u32 s0, s0, s16
	s_addc_u32 s1, s1, 0
	v_mov_b32_e32 v2, 0
	v_pk_mov_b32 v[0:1], s[0:1], s[0:1] op_sel:[0,1]
	global_store_dwordx2 v2, v[0:1], s[20:21]
	s_endpgm
	.section	.rodata,"a",@progbits
	.p2align	6, 0x0
	.amdhsa_kernel _ZN7rocprim17ROCPRIM_400000_NS6detail17trampoline_kernelINS0_14default_configENS1_25partition_config_selectorILNS1_17partition_subalgoE9EllbEEZZNS1_14partition_implILS5_9ELb0ES3_jPlS8_PNS0_10empty_typeENS0_5tupleIJS8_S9_EEENSB_IJS8_SA_EEENS0_18inequality_wrapperIZN2at6native12_GLOBAL__N_124unique_dim_cuda_templateIdEESt5tupleIJNSF_6TensorESK_SK_EERKSK_lbbbEUlllE0_EEPmJS9_EEE10hipError_tPvRmT3_T4_T5_T6_T7_T9_mT8_P12ihipStream_tbDpT10_ENKUlT_T0_E_clISt17integral_constantIbLb1EES19_IbLb0EEEEDaS15_S16_EUlS15_E_NS1_11comp_targetILNS1_3genE4ELNS1_11target_archE910ELNS1_3gpuE8ELNS1_3repE0EEENS1_30default_config_static_selectorELNS0_4arch9wavefront6targetE1EEEvT1_
		.amdhsa_group_segment_fixed_size 4236
		.amdhsa_private_segment_fixed_size 0
		.amdhsa_kernarg_size 120
		.amdhsa_user_sgpr_count 6
		.amdhsa_user_sgpr_private_segment_buffer 1
		.amdhsa_user_sgpr_dispatch_ptr 0
		.amdhsa_user_sgpr_queue_ptr 0
		.amdhsa_user_sgpr_kernarg_segment_ptr 1
		.amdhsa_user_sgpr_dispatch_id 0
		.amdhsa_user_sgpr_flat_scratch_init 0
		.amdhsa_user_sgpr_kernarg_preload_length 0
		.amdhsa_user_sgpr_kernarg_preload_offset 0
		.amdhsa_user_sgpr_private_segment_size 0
		.amdhsa_uses_dynamic_stack 0
		.amdhsa_system_sgpr_private_segment_wavefront_offset 0
		.amdhsa_system_sgpr_workgroup_id_x 1
		.amdhsa_system_sgpr_workgroup_id_y 0
		.amdhsa_system_sgpr_workgroup_id_z 0
		.amdhsa_system_sgpr_workgroup_info 0
		.amdhsa_system_vgpr_workitem_id 0
		.amdhsa_next_free_vgpr 50
		.amdhsa_next_free_sgpr 46
		.amdhsa_accum_offset 52
		.amdhsa_reserve_vcc 1
		.amdhsa_reserve_flat_scratch 0
		.amdhsa_float_round_mode_32 0
		.amdhsa_float_round_mode_16_64 0
		.amdhsa_float_denorm_mode_32 3
		.amdhsa_float_denorm_mode_16_64 3
		.amdhsa_dx10_clamp 1
		.amdhsa_ieee_mode 1
		.amdhsa_fp16_overflow 0
		.amdhsa_tg_split 0
		.amdhsa_exception_fp_ieee_invalid_op 0
		.amdhsa_exception_fp_denorm_src 0
		.amdhsa_exception_fp_ieee_div_zero 0
		.amdhsa_exception_fp_ieee_overflow 0
		.amdhsa_exception_fp_ieee_underflow 0
		.amdhsa_exception_fp_ieee_inexact 0
		.amdhsa_exception_int_div_zero 0
	.end_amdhsa_kernel
	.section	.text._ZN7rocprim17ROCPRIM_400000_NS6detail17trampoline_kernelINS0_14default_configENS1_25partition_config_selectorILNS1_17partition_subalgoE9EllbEEZZNS1_14partition_implILS5_9ELb0ES3_jPlS8_PNS0_10empty_typeENS0_5tupleIJS8_S9_EEENSB_IJS8_SA_EEENS0_18inequality_wrapperIZN2at6native12_GLOBAL__N_124unique_dim_cuda_templateIdEESt5tupleIJNSF_6TensorESK_SK_EERKSK_lbbbEUlllE0_EEPmJS9_EEE10hipError_tPvRmT3_T4_T5_T6_T7_T9_mT8_P12ihipStream_tbDpT10_ENKUlT_T0_E_clISt17integral_constantIbLb1EES19_IbLb0EEEEDaS15_S16_EUlS15_E_NS1_11comp_targetILNS1_3genE4ELNS1_11target_archE910ELNS1_3gpuE8ELNS1_3repE0EEENS1_30default_config_static_selectorELNS0_4arch9wavefront6targetE1EEEvT1_,"axG",@progbits,_ZN7rocprim17ROCPRIM_400000_NS6detail17trampoline_kernelINS0_14default_configENS1_25partition_config_selectorILNS1_17partition_subalgoE9EllbEEZZNS1_14partition_implILS5_9ELb0ES3_jPlS8_PNS0_10empty_typeENS0_5tupleIJS8_S9_EEENSB_IJS8_SA_EEENS0_18inequality_wrapperIZN2at6native12_GLOBAL__N_124unique_dim_cuda_templateIdEESt5tupleIJNSF_6TensorESK_SK_EERKSK_lbbbEUlllE0_EEPmJS9_EEE10hipError_tPvRmT3_T4_T5_T6_T7_T9_mT8_P12ihipStream_tbDpT10_ENKUlT_T0_E_clISt17integral_constantIbLb1EES19_IbLb0EEEEDaS15_S16_EUlS15_E_NS1_11comp_targetILNS1_3genE4ELNS1_11target_archE910ELNS1_3gpuE8ELNS1_3repE0EEENS1_30default_config_static_selectorELNS0_4arch9wavefront6targetE1EEEvT1_,comdat
.Lfunc_end857:
	.size	_ZN7rocprim17ROCPRIM_400000_NS6detail17trampoline_kernelINS0_14default_configENS1_25partition_config_selectorILNS1_17partition_subalgoE9EllbEEZZNS1_14partition_implILS5_9ELb0ES3_jPlS8_PNS0_10empty_typeENS0_5tupleIJS8_S9_EEENSB_IJS8_SA_EEENS0_18inequality_wrapperIZN2at6native12_GLOBAL__N_124unique_dim_cuda_templateIdEESt5tupleIJNSF_6TensorESK_SK_EERKSK_lbbbEUlllE0_EEPmJS9_EEE10hipError_tPvRmT3_T4_T5_T6_T7_T9_mT8_P12ihipStream_tbDpT10_ENKUlT_T0_E_clISt17integral_constantIbLb1EES19_IbLb0EEEEDaS15_S16_EUlS15_E_NS1_11comp_targetILNS1_3genE4ELNS1_11target_archE910ELNS1_3gpuE8ELNS1_3repE0EEENS1_30default_config_static_selectorELNS0_4arch9wavefront6targetE1EEEvT1_, .Lfunc_end857-_ZN7rocprim17ROCPRIM_400000_NS6detail17trampoline_kernelINS0_14default_configENS1_25partition_config_selectorILNS1_17partition_subalgoE9EllbEEZZNS1_14partition_implILS5_9ELb0ES3_jPlS8_PNS0_10empty_typeENS0_5tupleIJS8_S9_EEENSB_IJS8_SA_EEENS0_18inequality_wrapperIZN2at6native12_GLOBAL__N_124unique_dim_cuda_templateIdEESt5tupleIJNSF_6TensorESK_SK_EERKSK_lbbbEUlllE0_EEPmJS9_EEE10hipError_tPvRmT3_T4_T5_T6_T7_T9_mT8_P12ihipStream_tbDpT10_ENKUlT_T0_E_clISt17integral_constantIbLb1EES19_IbLb0EEEEDaS15_S16_EUlS15_E_NS1_11comp_targetILNS1_3genE4ELNS1_11target_archE910ELNS1_3gpuE8ELNS1_3repE0EEENS1_30default_config_static_selectorELNS0_4arch9wavefront6targetE1EEEvT1_
                                        ; -- End function
	.section	.AMDGPU.csdata,"",@progbits
; Kernel info:
; codeLenInByte = 10876
; NumSgprs: 50
; NumVgprs: 50
; NumAgprs: 0
; TotalNumVgprs: 50
; ScratchSize: 0
; MemoryBound: 1
; FloatMode: 240
; IeeeMode: 1
; LDSByteSize: 4236 bytes/workgroup (compile time only)
; SGPRBlocks: 6
; VGPRBlocks: 6
; NumSGPRsForWavesPerEU: 50
; NumVGPRsForWavesPerEU: 50
; AccumOffset: 52
; Occupancy: 8
; WaveLimiterHint : 1
; COMPUTE_PGM_RSRC2:SCRATCH_EN: 0
; COMPUTE_PGM_RSRC2:USER_SGPR: 6
; COMPUTE_PGM_RSRC2:TRAP_HANDLER: 0
; COMPUTE_PGM_RSRC2:TGID_X_EN: 1
; COMPUTE_PGM_RSRC2:TGID_Y_EN: 0
; COMPUTE_PGM_RSRC2:TGID_Z_EN: 0
; COMPUTE_PGM_RSRC2:TIDIG_COMP_CNT: 0
; COMPUTE_PGM_RSRC3_GFX90A:ACCUM_OFFSET: 12
; COMPUTE_PGM_RSRC3_GFX90A:TG_SPLIT: 0
	.section	.text._ZN7rocprim17ROCPRIM_400000_NS6detail17trampoline_kernelINS0_14default_configENS1_25partition_config_selectorILNS1_17partition_subalgoE9EllbEEZZNS1_14partition_implILS5_9ELb0ES3_jPlS8_PNS0_10empty_typeENS0_5tupleIJS8_S9_EEENSB_IJS8_SA_EEENS0_18inequality_wrapperIZN2at6native12_GLOBAL__N_124unique_dim_cuda_templateIdEESt5tupleIJNSF_6TensorESK_SK_EERKSK_lbbbEUlllE0_EEPmJS9_EEE10hipError_tPvRmT3_T4_T5_T6_T7_T9_mT8_P12ihipStream_tbDpT10_ENKUlT_T0_E_clISt17integral_constantIbLb1EES19_IbLb0EEEEDaS15_S16_EUlS15_E_NS1_11comp_targetILNS1_3genE3ELNS1_11target_archE908ELNS1_3gpuE7ELNS1_3repE0EEENS1_30default_config_static_selectorELNS0_4arch9wavefront6targetE1EEEvT1_,"axG",@progbits,_ZN7rocprim17ROCPRIM_400000_NS6detail17trampoline_kernelINS0_14default_configENS1_25partition_config_selectorILNS1_17partition_subalgoE9EllbEEZZNS1_14partition_implILS5_9ELb0ES3_jPlS8_PNS0_10empty_typeENS0_5tupleIJS8_S9_EEENSB_IJS8_SA_EEENS0_18inequality_wrapperIZN2at6native12_GLOBAL__N_124unique_dim_cuda_templateIdEESt5tupleIJNSF_6TensorESK_SK_EERKSK_lbbbEUlllE0_EEPmJS9_EEE10hipError_tPvRmT3_T4_T5_T6_T7_T9_mT8_P12ihipStream_tbDpT10_ENKUlT_T0_E_clISt17integral_constantIbLb1EES19_IbLb0EEEEDaS15_S16_EUlS15_E_NS1_11comp_targetILNS1_3genE3ELNS1_11target_archE908ELNS1_3gpuE7ELNS1_3repE0EEENS1_30default_config_static_selectorELNS0_4arch9wavefront6targetE1EEEvT1_,comdat
	.globl	_ZN7rocprim17ROCPRIM_400000_NS6detail17trampoline_kernelINS0_14default_configENS1_25partition_config_selectorILNS1_17partition_subalgoE9EllbEEZZNS1_14partition_implILS5_9ELb0ES3_jPlS8_PNS0_10empty_typeENS0_5tupleIJS8_S9_EEENSB_IJS8_SA_EEENS0_18inequality_wrapperIZN2at6native12_GLOBAL__N_124unique_dim_cuda_templateIdEESt5tupleIJNSF_6TensorESK_SK_EERKSK_lbbbEUlllE0_EEPmJS9_EEE10hipError_tPvRmT3_T4_T5_T6_T7_T9_mT8_P12ihipStream_tbDpT10_ENKUlT_T0_E_clISt17integral_constantIbLb1EES19_IbLb0EEEEDaS15_S16_EUlS15_E_NS1_11comp_targetILNS1_3genE3ELNS1_11target_archE908ELNS1_3gpuE7ELNS1_3repE0EEENS1_30default_config_static_selectorELNS0_4arch9wavefront6targetE1EEEvT1_ ; -- Begin function _ZN7rocprim17ROCPRIM_400000_NS6detail17trampoline_kernelINS0_14default_configENS1_25partition_config_selectorILNS1_17partition_subalgoE9EllbEEZZNS1_14partition_implILS5_9ELb0ES3_jPlS8_PNS0_10empty_typeENS0_5tupleIJS8_S9_EEENSB_IJS8_SA_EEENS0_18inequality_wrapperIZN2at6native12_GLOBAL__N_124unique_dim_cuda_templateIdEESt5tupleIJNSF_6TensorESK_SK_EERKSK_lbbbEUlllE0_EEPmJS9_EEE10hipError_tPvRmT3_T4_T5_T6_T7_T9_mT8_P12ihipStream_tbDpT10_ENKUlT_T0_E_clISt17integral_constantIbLb1EES19_IbLb0EEEEDaS15_S16_EUlS15_E_NS1_11comp_targetILNS1_3genE3ELNS1_11target_archE908ELNS1_3gpuE7ELNS1_3repE0EEENS1_30default_config_static_selectorELNS0_4arch9wavefront6targetE1EEEvT1_
	.p2align	8
	.type	_ZN7rocprim17ROCPRIM_400000_NS6detail17trampoline_kernelINS0_14default_configENS1_25partition_config_selectorILNS1_17partition_subalgoE9EllbEEZZNS1_14partition_implILS5_9ELb0ES3_jPlS8_PNS0_10empty_typeENS0_5tupleIJS8_S9_EEENSB_IJS8_SA_EEENS0_18inequality_wrapperIZN2at6native12_GLOBAL__N_124unique_dim_cuda_templateIdEESt5tupleIJNSF_6TensorESK_SK_EERKSK_lbbbEUlllE0_EEPmJS9_EEE10hipError_tPvRmT3_T4_T5_T6_T7_T9_mT8_P12ihipStream_tbDpT10_ENKUlT_T0_E_clISt17integral_constantIbLb1EES19_IbLb0EEEEDaS15_S16_EUlS15_E_NS1_11comp_targetILNS1_3genE3ELNS1_11target_archE908ELNS1_3gpuE7ELNS1_3repE0EEENS1_30default_config_static_selectorELNS0_4arch9wavefront6targetE1EEEvT1_,@function
_ZN7rocprim17ROCPRIM_400000_NS6detail17trampoline_kernelINS0_14default_configENS1_25partition_config_selectorILNS1_17partition_subalgoE9EllbEEZZNS1_14partition_implILS5_9ELb0ES3_jPlS8_PNS0_10empty_typeENS0_5tupleIJS8_S9_EEENSB_IJS8_SA_EEENS0_18inequality_wrapperIZN2at6native12_GLOBAL__N_124unique_dim_cuda_templateIdEESt5tupleIJNSF_6TensorESK_SK_EERKSK_lbbbEUlllE0_EEPmJS9_EEE10hipError_tPvRmT3_T4_T5_T6_T7_T9_mT8_P12ihipStream_tbDpT10_ENKUlT_T0_E_clISt17integral_constantIbLb1EES19_IbLb0EEEEDaS15_S16_EUlS15_E_NS1_11comp_targetILNS1_3genE3ELNS1_11target_archE908ELNS1_3gpuE7ELNS1_3repE0EEENS1_30default_config_static_selectorELNS0_4arch9wavefront6targetE1EEEvT1_: ; @_ZN7rocprim17ROCPRIM_400000_NS6detail17trampoline_kernelINS0_14default_configENS1_25partition_config_selectorILNS1_17partition_subalgoE9EllbEEZZNS1_14partition_implILS5_9ELb0ES3_jPlS8_PNS0_10empty_typeENS0_5tupleIJS8_S9_EEENSB_IJS8_SA_EEENS0_18inequality_wrapperIZN2at6native12_GLOBAL__N_124unique_dim_cuda_templateIdEESt5tupleIJNSF_6TensorESK_SK_EERKSK_lbbbEUlllE0_EEPmJS9_EEE10hipError_tPvRmT3_T4_T5_T6_T7_T9_mT8_P12ihipStream_tbDpT10_ENKUlT_T0_E_clISt17integral_constantIbLb1EES19_IbLb0EEEEDaS15_S16_EUlS15_E_NS1_11comp_targetILNS1_3genE3ELNS1_11target_archE908ELNS1_3gpuE7ELNS1_3repE0EEENS1_30default_config_static_selectorELNS0_4arch9wavefront6targetE1EEEvT1_
; %bb.0:
	.section	.rodata,"a",@progbits
	.p2align	6, 0x0
	.amdhsa_kernel _ZN7rocprim17ROCPRIM_400000_NS6detail17trampoline_kernelINS0_14default_configENS1_25partition_config_selectorILNS1_17partition_subalgoE9EllbEEZZNS1_14partition_implILS5_9ELb0ES3_jPlS8_PNS0_10empty_typeENS0_5tupleIJS8_S9_EEENSB_IJS8_SA_EEENS0_18inequality_wrapperIZN2at6native12_GLOBAL__N_124unique_dim_cuda_templateIdEESt5tupleIJNSF_6TensorESK_SK_EERKSK_lbbbEUlllE0_EEPmJS9_EEE10hipError_tPvRmT3_T4_T5_T6_T7_T9_mT8_P12ihipStream_tbDpT10_ENKUlT_T0_E_clISt17integral_constantIbLb1EES19_IbLb0EEEEDaS15_S16_EUlS15_E_NS1_11comp_targetILNS1_3genE3ELNS1_11target_archE908ELNS1_3gpuE7ELNS1_3repE0EEENS1_30default_config_static_selectorELNS0_4arch9wavefront6targetE1EEEvT1_
		.amdhsa_group_segment_fixed_size 0
		.amdhsa_private_segment_fixed_size 0
		.amdhsa_kernarg_size 120
		.amdhsa_user_sgpr_count 6
		.amdhsa_user_sgpr_private_segment_buffer 1
		.amdhsa_user_sgpr_dispatch_ptr 0
		.amdhsa_user_sgpr_queue_ptr 0
		.amdhsa_user_sgpr_kernarg_segment_ptr 1
		.amdhsa_user_sgpr_dispatch_id 0
		.amdhsa_user_sgpr_flat_scratch_init 0
		.amdhsa_user_sgpr_kernarg_preload_length 0
		.amdhsa_user_sgpr_kernarg_preload_offset 0
		.amdhsa_user_sgpr_private_segment_size 0
		.amdhsa_uses_dynamic_stack 0
		.amdhsa_system_sgpr_private_segment_wavefront_offset 0
		.amdhsa_system_sgpr_workgroup_id_x 1
		.amdhsa_system_sgpr_workgroup_id_y 0
		.amdhsa_system_sgpr_workgroup_id_z 0
		.amdhsa_system_sgpr_workgroup_info 0
		.amdhsa_system_vgpr_workitem_id 0
		.amdhsa_next_free_vgpr 1
		.amdhsa_next_free_sgpr 0
		.amdhsa_accum_offset 4
		.amdhsa_reserve_vcc 0
		.amdhsa_reserve_flat_scratch 0
		.amdhsa_float_round_mode_32 0
		.amdhsa_float_round_mode_16_64 0
		.amdhsa_float_denorm_mode_32 3
		.amdhsa_float_denorm_mode_16_64 3
		.amdhsa_dx10_clamp 1
		.amdhsa_ieee_mode 1
		.amdhsa_fp16_overflow 0
		.amdhsa_tg_split 0
		.amdhsa_exception_fp_ieee_invalid_op 0
		.amdhsa_exception_fp_denorm_src 0
		.amdhsa_exception_fp_ieee_div_zero 0
		.amdhsa_exception_fp_ieee_overflow 0
		.amdhsa_exception_fp_ieee_underflow 0
		.amdhsa_exception_fp_ieee_inexact 0
		.amdhsa_exception_int_div_zero 0
	.end_amdhsa_kernel
	.section	.text._ZN7rocprim17ROCPRIM_400000_NS6detail17trampoline_kernelINS0_14default_configENS1_25partition_config_selectorILNS1_17partition_subalgoE9EllbEEZZNS1_14partition_implILS5_9ELb0ES3_jPlS8_PNS0_10empty_typeENS0_5tupleIJS8_S9_EEENSB_IJS8_SA_EEENS0_18inequality_wrapperIZN2at6native12_GLOBAL__N_124unique_dim_cuda_templateIdEESt5tupleIJNSF_6TensorESK_SK_EERKSK_lbbbEUlllE0_EEPmJS9_EEE10hipError_tPvRmT3_T4_T5_T6_T7_T9_mT8_P12ihipStream_tbDpT10_ENKUlT_T0_E_clISt17integral_constantIbLb1EES19_IbLb0EEEEDaS15_S16_EUlS15_E_NS1_11comp_targetILNS1_3genE3ELNS1_11target_archE908ELNS1_3gpuE7ELNS1_3repE0EEENS1_30default_config_static_selectorELNS0_4arch9wavefront6targetE1EEEvT1_,"axG",@progbits,_ZN7rocprim17ROCPRIM_400000_NS6detail17trampoline_kernelINS0_14default_configENS1_25partition_config_selectorILNS1_17partition_subalgoE9EllbEEZZNS1_14partition_implILS5_9ELb0ES3_jPlS8_PNS0_10empty_typeENS0_5tupleIJS8_S9_EEENSB_IJS8_SA_EEENS0_18inequality_wrapperIZN2at6native12_GLOBAL__N_124unique_dim_cuda_templateIdEESt5tupleIJNSF_6TensorESK_SK_EERKSK_lbbbEUlllE0_EEPmJS9_EEE10hipError_tPvRmT3_T4_T5_T6_T7_T9_mT8_P12ihipStream_tbDpT10_ENKUlT_T0_E_clISt17integral_constantIbLb1EES19_IbLb0EEEEDaS15_S16_EUlS15_E_NS1_11comp_targetILNS1_3genE3ELNS1_11target_archE908ELNS1_3gpuE7ELNS1_3repE0EEENS1_30default_config_static_selectorELNS0_4arch9wavefront6targetE1EEEvT1_,comdat
.Lfunc_end858:
	.size	_ZN7rocprim17ROCPRIM_400000_NS6detail17trampoline_kernelINS0_14default_configENS1_25partition_config_selectorILNS1_17partition_subalgoE9EllbEEZZNS1_14partition_implILS5_9ELb0ES3_jPlS8_PNS0_10empty_typeENS0_5tupleIJS8_S9_EEENSB_IJS8_SA_EEENS0_18inequality_wrapperIZN2at6native12_GLOBAL__N_124unique_dim_cuda_templateIdEESt5tupleIJNSF_6TensorESK_SK_EERKSK_lbbbEUlllE0_EEPmJS9_EEE10hipError_tPvRmT3_T4_T5_T6_T7_T9_mT8_P12ihipStream_tbDpT10_ENKUlT_T0_E_clISt17integral_constantIbLb1EES19_IbLb0EEEEDaS15_S16_EUlS15_E_NS1_11comp_targetILNS1_3genE3ELNS1_11target_archE908ELNS1_3gpuE7ELNS1_3repE0EEENS1_30default_config_static_selectorELNS0_4arch9wavefront6targetE1EEEvT1_, .Lfunc_end858-_ZN7rocprim17ROCPRIM_400000_NS6detail17trampoline_kernelINS0_14default_configENS1_25partition_config_selectorILNS1_17partition_subalgoE9EllbEEZZNS1_14partition_implILS5_9ELb0ES3_jPlS8_PNS0_10empty_typeENS0_5tupleIJS8_S9_EEENSB_IJS8_SA_EEENS0_18inequality_wrapperIZN2at6native12_GLOBAL__N_124unique_dim_cuda_templateIdEESt5tupleIJNSF_6TensorESK_SK_EERKSK_lbbbEUlllE0_EEPmJS9_EEE10hipError_tPvRmT3_T4_T5_T6_T7_T9_mT8_P12ihipStream_tbDpT10_ENKUlT_T0_E_clISt17integral_constantIbLb1EES19_IbLb0EEEEDaS15_S16_EUlS15_E_NS1_11comp_targetILNS1_3genE3ELNS1_11target_archE908ELNS1_3gpuE7ELNS1_3repE0EEENS1_30default_config_static_selectorELNS0_4arch9wavefront6targetE1EEEvT1_
                                        ; -- End function
	.section	.AMDGPU.csdata,"",@progbits
; Kernel info:
; codeLenInByte = 0
; NumSgprs: 4
; NumVgprs: 0
; NumAgprs: 0
; TotalNumVgprs: 0
; ScratchSize: 0
; MemoryBound: 0
; FloatMode: 240
; IeeeMode: 1
; LDSByteSize: 0 bytes/workgroup (compile time only)
; SGPRBlocks: 0
; VGPRBlocks: 0
; NumSGPRsForWavesPerEU: 4
; NumVGPRsForWavesPerEU: 1
; AccumOffset: 4
; Occupancy: 8
; WaveLimiterHint : 0
; COMPUTE_PGM_RSRC2:SCRATCH_EN: 0
; COMPUTE_PGM_RSRC2:USER_SGPR: 6
; COMPUTE_PGM_RSRC2:TRAP_HANDLER: 0
; COMPUTE_PGM_RSRC2:TGID_X_EN: 1
; COMPUTE_PGM_RSRC2:TGID_Y_EN: 0
; COMPUTE_PGM_RSRC2:TGID_Z_EN: 0
; COMPUTE_PGM_RSRC2:TIDIG_COMP_CNT: 0
; COMPUTE_PGM_RSRC3_GFX90A:ACCUM_OFFSET: 0
; COMPUTE_PGM_RSRC3_GFX90A:TG_SPLIT: 0
	.section	.text._ZN7rocprim17ROCPRIM_400000_NS6detail17trampoline_kernelINS0_14default_configENS1_25partition_config_selectorILNS1_17partition_subalgoE9EllbEEZZNS1_14partition_implILS5_9ELb0ES3_jPlS8_PNS0_10empty_typeENS0_5tupleIJS8_S9_EEENSB_IJS8_SA_EEENS0_18inequality_wrapperIZN2at6native12_GLOBAL__N_124unique_dim_cuda_templateIdEESt5tupleIJNSF_6TensorESK_SK_EERKSK_lbbbEUlllE0_EEPmJS9_EEE10hipError_tPvRmT3_T4_T5_T6_T7_T9_mT8_P12ihipStream_tbDpT10_ENKUlT_T0_E_clISt17integral_constantIbLb1EES19_IbLb0EEEEDaS15_S16_EUlS15_E_NS1_11comp_targetILNS1_3genE2ELNS1_11target_archE906ELNS1_3gpuE6ELNS1_3repE0EEENS1_30default_config_static_selectorELNS0_4arch9wavefront6targetE1EEEvT1_,"axG",@progbits,_ZN7rocprim17ROCPRIM_400000_NS6detail17trampoline_kernelINS0_14default_configENS1_25partition_config_selectorILNS1_17partition_subalgoE9EllbEEZZNS1_14partition_implILS5_9ELb0ES3_jPlS8_PNS0_10empty_typeENS0_5tupleIJS8_S9_EEENSB_IJS8_SA_EEENS0_18inequality_wrapperIZN2at6native12_GLOBAL__N_124unique_dim_cuda_templateIdEESt5tupleIJNSF_6TensorESK_SK_EERKSK_lbbbEUlllE0_EEPmJS9_EEE10hipError_tPvRmT3_T4_T5_T6_T7_T9_mT8_P12ihipStream_tbDpT10_ENKUlT_T0_E_clISt17integral_constantIbLb1EES19_IbLb0EEEEDaS15_S16_EUlS15_E_NS1_11comp_targetILNS1_3genE2ELNS1_11target_archE906ELNS1_3gpuE6ELNS1_3repE0EEENS1_30default_config_static_selectorELNS0_4arch9wavefront6targetE1EEEvT1_,comdat
	.globl	_ZN7rocprim17ROCPRIM_400000_NS6detail17trampoline_kernelINS0_14default_configENS1_25partition_config_selectorILNS1_17partition_subalgoE9EllbEEZZNS1_14partition_implILS5_9ELb0ES3_jPlS8_PNS0_10empty_typeENS0_5tupleIJS8_S9_EEENSB_IJS8_SA_EEENS0_18inequality_wrapperIZN2at6native12_GLOBAL__N_124unique_dim_cuda_templateIdEESt5tupleIJNSF_6TensorESK_SK_EERKSK_lbbbEUlllE0_EEPmJS9_EEE10hipError_tPvRmT3_T4_T5_T6_T7_T9_mT8_P12ihipStream_tbDpT10_ENKUlT_T0_E_clISt17integral_constantIbLb1EES19_IbLb0EEEEDaS15_S16_EUlS15_E_NS1_11comp_targetILNS1_3genE2ELNS1_11target_archE906ELNS1_3gpuE6ELNS1_3repE0EEENS1_30default_config_static_selectorELNS0_4arch9wavefront6targetE1EEEvT1_ ; -- Begin function _ZN7rocprim17ROCPRIM_400000_NS6detail17trampoline_kernelINS0_14default_configENS1_25partition_config_selectorILNS1_17partition_subalgoE9EllbEEZZNS1_14partition_implILS5_9ELb0ES3_jPlS8_PNS0_10empty_typeENS0_5tupleIJS8_S9_EEENSB_IJS8_SA_EEENS0_18inequality_wrapperIZN2at6native12_GLOBAL__N_124unique_dim_cuda_templateIdEESt5tupleIJNSF_6TensorESK_SK_EERKSK_lbbbEUlllE0_EEPmJS9_EEE10hipError_tPvRmT3_T4_T5_T6_T7_T9_mT8_P12ihipStream_tbDpT10_ENKUlT_T0_E_clISt17integral_constantIbLb1EES19_IbLb0EEEEDaS15_S16_EUlS15_E_NS1_11comp_targetILNS1_3genE2ELNS1_11target_archE906ELNS1_3gpuE6ELNS1_3repE0EEENS1_30default_config_static_selectorELNS0_4arch9wavefront6targetE1EEEvT1_
	.p2align	8
	.type	_ZN7rocprim17ROCPRIM_400000_NS6detail17trampoline_kernelINS0_14default_configENS1_25partition_config_selectorILNS1_17partition_subalgoE9EllbEEZZNS1_14partition_implILS5_9ELb0ES3_jPlS8_PNS0_10empty_typeENS0_5tupleIJS8_S9_EEENSB_IJS8_SA_EEENS0_18inequality_wrapperIZN2at6native12_GLOBAL__N_124unique_dim_cuda_templateIdEESt5tupleIJNSF_6TensorESK_SK_EERKSK_lbbbEUlllE0_EEPmJS9_EEE10hipError_tPvRmT3_T4_T5_T6_T7_T9_mT8_P12ihipStream_tbDpT10_ENKUlT_T0_E_clISt17integral_constantIbLb1EES19_IbLb0EEEEDaS15_S16_EUlS15_E_NS1_11comp_targetILNS1_3genE2ELNS1_11target_archE906ELNS1_3gpuE6ELNS1_3repE0EEENS1_30default_config_static_selectorELNS0_4arch9wavefront6targetE1EEEvT1_,@function
_ZN7rocprim17ROCPRIM_400000_NS6detail17trampoline_kernelINS0_14default_configENS1_25partition_config_selectorILNS1_17partition_subalgoE9EllbEEZZNS1_14partition_implILS5_9ELb0ES3_jPlS8_PNS0_10empty_typeENS0_5tupleIJS8_S9_EEENSB_IJS8_SA_EEENS0_18inequality_wrapperIZN2at6native12_GLOBAL__N_124unique_dim_cuda_templateIdEESt5tupleIJNSF_6TensorESK_SK_EERKSK_lbbbEUlllE0_EEPmJS9_EEE10hipError_tPvRmT3_T4_T5_T6_T7_T9_mT8_P12ihipStream_tbDpT10_ENKUlT_T0_E_clISt17integral_constantIbLb1EES19_IbLb0EEEEDaS15_S16_EUlS15_E_NS1_11comp_targetILNS1_3genE2ELNS1_11target_archE906ELNS1_3gpuE6ELNS1_3repE0EEENS1_30default_config_static_selectorELNS0_4arch9wavefront6targetE1EEEvT1_: ; @_ZN7rocprim17ROCPRIM_400000_NS6detail17trampoline_kernelINS0_14default_configENS1_25partition_config_selectorILNS1_17partition_subalgoE9EllbEEZZNS1_14partition_implILS5_9ELb0ES3_jPlS8_PNS0_10empty_typeENS0_5tupleIJS8_S9_EEENSB_IJS8_SA_EEENS0_18inequality_wrapperIZN2at6native12_GLOBAL__N_124unique_dim_cuda_templateIdEESt5tupleIJNSF_6TensorESK_SK_EERKSK_lbbbEUlllE0_EEPmJS9_EEE10hipError_tPvRmT3_T4_T5_T6_T7_T9_mT8_P12ihipStream_tbDpT10_ENKUlT_T0_E_clISt17integral_constantIbLb1EES19_IbLb0EEEEDaS15_S16_EUlS15_E_NS1_11comp_targetILNS1_3genE2ELNS1_11target_archE906ELNS1_3gpuE6ELNS1_3repE0EEENS1_30default_config_static_selectorELNS0_4arch9wavefront6targetE1EEEvT1_
; %bb.0:
	.section	.rodata,"a",@progbits
	.p2align	6, 0x0
	.amdhsa_kernel _ZN7rocprim17ROCPRIM_400000_NS6detail17trampoline_kernelINS0_14default_configENS1_25partition_config_selectorILNS1_17partition_subalgoE9EllbEEZZNS1_14partition_implILS5_9ELb0ES3_jPlS8_PNS0_10empty_typeENS0_5tupleIJS8_S9_EEENSB_IJS8_SA_EEENS0_18inequality_wrapperIZN2at6native12_GLOBAL__N_124unique_dim_cuda_templateIdEESt5tupleIJNSF_6TensorESK_SK_EERKSK_lbbbEUlllE0_EEPmJS9_EEE10hipError_tPvRmT3_T4_T5_T6_T7_T9_mT8_P12ihipStream_tbDpT10_ENKUlT_T0_E_clISt17integral_constantIbLb1EES19_IbLb0EEEEDaS15_S16_EUlS15_E_NS1_11comp_targetILNS1_3genE2ELNS1_11target_archE906ELNS1_3gpuE6ELNS1_3repE0EEENS1_30default_config_static_selectorELNS0_4arch9wavefront6targetE1EEEvT1_
		.amdhsa_group_segment_fixed_size 0
		.amdhsa_private_segment_fixed_size 0
		.amdhsa_kernarg_size 120
		.amdhsa_user_sgpr_count 6
		.amdhsa_user_sgpr_private_segment_buffer 1
		.amdhsa_user_sgpr_dispatch_ptr 0
		.amdhsa_user_sgpr_queue_ptr 0
		.amdhsa_user_sgpr_kernarg_segment_ptr 1
		.amdhsa_user_sgpr_dispatch_id 0
		.amdhsa_user_sgpr_flat_scratch_init 0
		.amdhsa_user_sgpr_kernarg_preload_length 0
		.amdhsa_user_sgpr_kernarg_preload_offset 0
		.amdhsa_user_sgpr_private_segment_size 0
		.amdhsa_uses_dynamic_stack 0
		.amdhsa_system_sgpr_private_segment_wavefront_offset 0
		.amdhsa_system_sgpr_workgroup_id_x 1
		.amdhsa_system_sgpr_workgroup_id_y 0
		.amdhsa_system_sgpr_workgroup_id_z 0
		.amdhsa_system_sgpr_workgroup_info 0
		.amdhsa_system_vgpr_workitem_id 0
		.amdhsa_next_free_vgpr 1
		.amdhsa_next_free_sgpr 0
		.amdhsa_accum_offset 4
		.amdhsa_reserve_vcc 0
		.amdhsa_reserve_flat_scratch 0
		.amdhsa_float_round_mode_32 0
		.amdhsa_float_round_mode_16_64 0
		.amdhsa_float_denorm_mode_32 3
		.amdhsa_float_denorm_mode_16_64 3
		.amdhsa_dx10_clamp 1
		.amdhsa_ieee_mode 1
		.amdhsa_fp16_overflow 0
		.amdhsa_tg_split 0
		.amdhsa_exception_fp_ieee_invalid_op 0
		.amdhsa_exception_fp_denorm_src 0
		.amdhsa_exception_fp_ieee_div_zero 0
		.amdhsa_exception_fp_ieee_overflow 0
		.amdhsa_exception_fp_ieee_underflow 0
		.amdhsa_exception_fp_ieee_inexact 0
		.amdhsa_exception_int_div_zero 0
	.end_amdhsa_kernel
	.section	.text._ZN7rocprim17ROCPRIM_400000_NS6detail17trampoline_kernelINS0_14default_configENS1_25partition_config_selectorILNS1_17partition_subalgoE9EllbEEZZNS1_14partition_implILS5_9ELb0ES3_jPlS8_PNS0_10empty_typeENS0_5tupleIJS8_S9_EEENSB_IJS8_SA_EEENS0_18inequality_wrapperIZN2at6native12_GLOBAL__N_124unique_dim_cuda_templateIdEESt5tupleIJNSF_6TensorESK_SK_EERKSK_lbbbEUlllE0_EEPmJS9_EEE10hipError_tPvRmT3_T4_T5_T6_T7_T9_mT8_P12ihipStream_tbDpT10_ENKUlT_T0_E_clISt17integral_constantIbLb1EES19_IbLb0EEEEDaS15_S16_EUlS15_E_NS1_11comp_targetILNS1_3genE2ELNS1_11target_archE906ELNS1_3gpuE6ELNS1_3repE0EEENS1_30default_config_static_selectorELNS0_4arch9wavefront6targetE1EEEvT1_,"axG",@progbits,_ZN7rocprim17ROCPRIM_400000_NS6detail17trampoline_kernelINS0_14default_configENS1_25partition_config_selectorILNS1_17partition_subalgoE9EllbEEZZNS1_14partition_implILS5_9ELb0ES3_jPlS8_PNS0_10empty_typeENS0_5tupleIJS8_S9_EEENSB_IJS8_SA_EEENS0_18inequality_wrapperIZN2at6native12_GLOBAL__N_124unique_dim_cuda_templateIdEESt5tupleIJNSF_6TensorESK_SK_EERKSK_lbbbEUlllE0_EEPmJS9_EEE10hipError_tPvRmT3_T4_T5_T6_T7_T9_mT8_P12ihipStream_tbDpT10_ENKUlT_T0_E_clISt17integral_constantIbLb1EES19_IbLb0EEEEDaS15_S16_EUlS15_E_NS1_11comp_targetILNS1_3genE2ELNS1_11target_archE906ELNS1_3gpuE6ELNS1_3repE0EEENS1_30default_config_static_selectorELNS0_4arch9wavefront6targetE1EEEvT1_,comdat
.Lfunc_end859:
	.size	_ZN7rocprim17ROCPRIM_400000_NS6detail17trampoline_kernelINS0_14default_configENS1_25partition_config_selectorILNS1_17partition_subalgoE9EllbEEZZNS1_14partition_implILS5_9ELb0ES3_jPlS8_PNS0_10empty_typeENS0_5tupleIJS8_S9_EEENSB_IJS8_SA_EEENS0_18inequality_wrapperIZN2at6native12_GLOBAL__N_124unique_dim_cuda_templateIdEESt5tupleIJNSF_6TensorESK_SK_EERKSK_lbbbEUlllE0_EEPmJS9_EEE10hipError_tPvRmT3_T4_T5_T6_T7_T9_mT8_P12ihipStream_tbDpT10_ENKUlT_T0_E_clISt17integral_constantIbLb1EES19_IbLb0EEEEDaS15_S16_EUlS15_E_NS1_11comp_targetILNS1_3genE2ELNS1_11target_archE906ELNS1_3gpuE6ELNS1_3repE0EEENS1_30default_config_static_selectorELNS0_4arch9wavefront6targetE1EEEvT1_, .Lfunc_end859-_ZN7rocprim17ROCPRIM_400000_NS6detail17trampoline_kernelINS0_14default_configENS1_25partition_config_selectorILNS1_17partition_subalgoE9EllbEEZZNS1_14partition_implILS5_9ELb0ES3_jPlS8_PNS0_10empty_typeENS0_5tupleIJS8_S9_EEENSB_IJS8_SA_EEENS0_18inequality_wrapperIZN2at6native12_GLOBAL__N_124unique_dim_cuda_templateIdEESt5tupleIJNSF_6TensorESK_SK_EERKSK_lbbbEUlllE0_EEPmJS9_EEE10hipError_tPvRmT3_T4_T5_T6_T7_T9_mT8_P12ihipStream_tbDpT10_ENKUlT_T0_E_clISt17integral_constantIbLb1EES19_IbLb0EEEEDaS15_S16_EUlS15_E_NS1_11comp_targetILNS1_3genE2ELNS1_11target_archE906ELNS1_3gpuE6ELNS1_3repE0EEENS1_30default_config_static_selectorELNS0_4arch9wavefront6targetE1EEEvT1_
                                        ; -- End function
	.section	.AMDGPU.csdata,"",@progbits
; Kernel info:
; codeLenInByte = 0
; NumSgprs: 4
; NumVgprs: 0
; NumAgprs: 0
; TotalNumVgprs: 0
; ScratchSize: 0
; MemoryBound: 0
; FloatMode: 240
; IeeeMode: 1
; LDSByteSize: 0 bytes/workgroup (compile time only)
; SGPRBlocks: 0
; VGPRBlocks: 0
; NumSGPRsForWavesPerEU: 4
; NumVGPRsForWavesPerEU: 1
; AccumOffset: 4
; Occupancy: 8
; WaveLimiterHint : 0
; COMPUTE_PGM_RSRC2:SCRATCH_EN: 0
; COMPUTE_PGM_RSRC2:USER_SGPR: 6
; COMPUTE_PGM_RSRC2:TRAP_HANDLER: 0
; COMPUTE_PGM_RSRC2:TGID_X_EN: 1
; COMPUTE_PGM_RSRC2:TGID_Y_EN: 0
; COMPUTE_PGM_RSRC2:TGID_Z_EN: 0
; COMPUTE_PGM_RSRC2:TIDIG_COMP_CNT: 0
; COMPUTE_PGM_RSRC3_GFX90A:ACCUM_OFFSET: 0
; COMPUTE_PGM_RSRC3_GFX90A:TG_SPLIT: 0
	.section	.text._ZN7rocprim17ROCPRIM_400000_NS6detail17trampoline_kernelINS0_14default_configENS1_25partition_config_selectorILNS1_17partition_subalgoE9EllbEEZZNS1_14partition_implILS5_9ELb0ES3_jPlS8_PNS0_10empty_typeENS0_5tupleIJS8_S9_EEENSB_IJS8_SA_EEENS0_18inequality_wrapperIZN2at6native12_GLOBAL__N_124unique_dim_cuda_templateIdEESt5tupleIJNSF_6TensorESK_SK_EERKSK_lbbbEUlllE0_EEPmJS9_EEE10hipError_tPvRmT3_T4_T5_T6_T7_T9_mT8_P12ihipStream_tbDpT10_ENKUlT_T0_E_clISt17integral_constantIbLb1EES19_IbLb0EEEEDaS15_S16_EUlS15_E_NS1_11comp_targetILNS1_3genE10ELNS1_11target_archE1200ELNS1_3gpuE4ELNS1_3repE0EEENS1_30default_config_static_selectorELNS0_4arch9wavefront6targetE1EEEvT1_,"axG",@progbits,_ZN7rocprim17ROCPRIM_400000_NS6detail17trampoline_kernelINS0_14default_configENS1_25partition_config_selectorILNS1_17partition_subalgoE9EllbEEZZNS1_14partition_implILS5_9ELb0ES3_jPlS8_PNS0_10empty_typeENS0_5tupleIJS8_S9_EEENSB_IJS8_SA_EEENS0_18inequality_wrapperIZN2at6native12_GLOBAL__N_124unique_dim_cuda_templateIdEESt5tupleIJNSF_6TensorESK_SK_EERKSK_lbbbEUlllE0_EEPmJS9_EEE10hipError_tPvRmT3_T4_T5_T6_T7_T9_mT8_P12ihipStream_tbDpT10_ENKUlT_T0_E_clISt17integral_constantIbLb1EES19_IbLb0EEEEDaS15_S16_EUlS15_E_NS1_11comp_targetILNS1_3genE10ELNS1_11target_archE1200ELNS1_3gpuE4ELNS1_3repE0EEENS1_30default_config_static_selectorELNS0_4arch9wavefront6targetE1EEEvT1_,comdat
	.globl	_ZN7rocprim17ROCPRIM_400000_NS6detail17trampoline_kernelINS0_14default_configENS1_25partition_config_selectorILNS1_17partition_subalgoE9EllbEEZZNS1_14partition_implILS5_9ELb0ES3_jPlS8_PNS0_10empty_typeENS0_5tupleIJS8_S9_EEENSB_IJS8_SA_EEENS0_18inequality_wrapperIZN2at6native12_GLOBAL__N_124unique_dim_cuda_templateIdEESt5tupleIJNSF_6TensorESK_SK_EERKSK_lbbbEUlllE0_EEPmJS9_EEE10hipError_tPvRmT3_T4_T5_T6_T7_T9_mT8_P12ihipStream_tbDpT10_ENKUlT_T0_E_clISt17integral_constantIbLb1EES19_IbLb0EEEEDaS15_S16_EUlS15_E_NS1_11comp_targetILNS1_3genE10ELNS1_11target_archE1200ELNS1_3gpuE4ELNS1_3repE0EEENS1_30default_config_static_selectorELNS0_4arch9wavefront6targetE1EEEvT1_ ; -- Begin function _ZN7rocprim17ROCPRIM_400000_NS6detail17trampoline_kernelINS0_14default_configENS1_25partition_config_selectorILNS1_17partition_subalgoE9EllbEEZZNS1_14partition_implILS5_9ELb0ES3_jPlS8_PNS0_10empty_typeENS0_5tupleIJS8_S9_EEENSB_IJS8_SA_EEENS0_18inequality_wrapperIZN2at6native12_GLOBAL__N_124unique_dim_cuda_templateIdEESt5tupleIJNSF_6TensorESK_SK_EERKSK_lbbbEUlllE0_EEPmJS9_EEE10hipError_tPvRmT3_T4_T5_T6_T7_T9_mT8_P12ihipStream_tbDpT10_ENKUlT_T0_E_clISt17integral_constantIbLb1EES19_IbLb0EEEEDaS15_S16_EUlS15_E_NS1_11comp_targetILNS1_3genE10ELNS1_11target_archE1200ELNS1_3gpuE4ELNS1_3repE0EEENS1_30default_config_static_selectorELNS0_4arch9wavefront6targetE1EEEvT1_
	.p2align	8
	.type	_ZN7rocprim17ROCPRIM_400000_NS6detail17trampoline_kernelINS0_14default_configENS1_25partition_config_selectorILNS1_17partition_subalgoE9EllbEEZZNS1_14partition_implILS5_9ELb0ES3_jPlS8_PNS0_10empty_typeENS0_5tupleIJS8_S9_EEENSB_IJS8_SA_EEENS0_18inequality_wrapperIZN2at6native12_GLOBAL__N_124unique_dim_cuda_templateIdEESt5tupleIJNSF_6TensorESK_SK_EERKSK_lbbbEUlllE0_EEPmJS9_EEE10hipError_tPvRmT3_T4_T5_T6_T7_T9_mT8_P12ihipStream_tbDpT10_ENKUlT_T0_E_clISt17integral_constantIbLb1EES19_IbLb0EEEEDaS15_S16_EUlS15_E_NS1_11comp_targetILNS1_3genE10ELNS1_11target_archE1200ELNS1_3gpuE4ELNS1_3repE0EEENS1_30default_config_static_selectorELNS0_4arch9wavefront6targetE1EEEvT1_,@function
_ZN7rocprim17ROCPRIM_400000_NS6detail17trampoline_kernelINS0_14default_configENS1_25partition_config_selectorILNS1_17partition_subalgoE9EllbEEZZNS1_14partition_implILS5_9ELb0ES3_jPlS8_PNS0_10empty_typeENS0_5tupleIJS8_S9_EEENSB_IJS8_SA_EEENS0_18inequality_wrapperIZN2at6native12_GLOBAL__N_124unique_dim_cuda_templateIdEESt5tupleIJNSF_6TensorESK_SK_EERKSK_lbbbEUlllE0_EEPmJS9_EEE10hipError_tPvRmT3_T4_T5_T6_T7_T9_mT8_P12ihipStream_tbDpT10_ENKUlT_T0_E_clISt17integral_constantIbLb1EES19_IbLb0EEEEDaS15_S16_EUlS15_E_NS1_11comp_targetILNS1_3genE10ELNS1_11target_archE1200ELNS1_3gpuE4ELNS1_3repE0EEENS1_30default_config_static_selectorELNS0_4arch9wavefront6targetE1EEEvT1_: ; @_ZN7rocprim17ROCPRIM_400000_NS6detail17trampoline_kernelINS0_14default_configENS1_25partition_config_selectorILNS1_17partition_subalgoE9EllbEEZZNS1_14partition_implILS5_9ELb0ES3_jPlS8_PNS0_10empty_typeENS0_5tupleIJS8_S9_EEENSB_IJS8_SA_EEENS0_18inequality_wrapperIZN2at6native12_GLOBAL__N_124unique_dim_cuda_templateIdEESt5tupleIJNSF_6TensorESK_SK_EERKSK_lbbbEUlllE0_EEPmJS9_EEE10hipError_tPvRmT3_T4_T5_T6_T7_T9_mT8_P12ihipStream_tbDpT10_ENKUlT_T0_E_clISt17integral_constantIbLb1EES19_IbLb0EEEEDaS15_S16_EUlS15_E_NS1_11comp_targetILNS1_3genE10ELNS1_11target_archE1200ELNS1_3gpuE4ELNS1_3repE0EEENS1_30default_config_static_selectorELNS0_4arch9wavefront6targetE1EEEvT1_
; %bb.0:
	.section	.rodata,"a",@progbits
	.p2align	6, 0x0
	.amdhsa_kernel _ZN7rocprim17ROCPRIM_400000_NS6detail17trampoline_kernelINS0_14default_configENS1_25partition_config_selectorILNS1_17partition_subalgoE9EllbEEZZNS1_14partition_implILS5_9ELb0ES3_jPlS8_PNS0_10empty_typeENS0_5tupleIJS8_S9_EEENSB_IJS8_SA_EEENS0_18inequality_wrapperIZN2at6native12_GLOBAL__N_124unique_dim_cuda_templateIdEESt5tupleIJNSF_6TensorESK_SK_EERKSK_lbbbEUlllE0_EEPmJS9_EEE10hipError_tPvRmT3_T4_T5_T6_T7_T9_mT8_P12ihipStream_tbDpT10_ENKUlT_T0_E_clISt17integral_constantIbLb1EES19_IbLb0EEEEDaS15_S16_EUlS15_E_NS1_11comp_targetILNS1_3genE10ELNS1_11target_archE1200ELNS1_3gpuE4ELNS1_3repE0EEENS1_30default_config_static_selectorELNS0_4arch9wavefront6targetE1EEEvT1_
		.amdhsa_group_segment_fixed_size 0
		.amdhsa_private_segment_fixed_size 0
		.amdhsa_kernarg_size 120
		.amdhsa_user_sgpr_count 6
		.amdhsa_user_sgpr_private_segment_buffer 1
		.amdhsa_user_sgpr_dispatch_ptr 0
		.amdhsa_user_sgpr_queue_ptr 0
		.amdhsa_user_sgpr_kernarg_segment_ptr 1
		.amdhsa_user_sgpr_dispatch_id 0
		.amdhsa_user_sgpr_flat_scratch_init 0
		.amdhsa_user_sgpr_kernarg_preload_length 0
		.amdhsa_user_sgpr_kernarg_preload_offset 0
		.amdhsa_user_sgpr_private_segment_size 0
		.amdhsa_uses_dynamic_stack 0
		.amdhsa_system_sgpr_private_segment_wavefront_offset 0
		.amdhsa_system_sgpr_workgroup_id_x 1
		.amdhsa_system_sgpr_workgroup_id_y 0
		.amdhsa_system_sgpr_workgroup_id_z 0
		.amdhsa_system_sgpr_workgroup_info 0
		.amdhsa_system_vgpr_workitem_id 0
		.amdhsa_next_free_vgpr 1
		.amdhsa_next_free_sgpr 0
		.amdhsa_accum_offset 4
		.amdhsa_reserve_vcc 0
		.amdhsa_reserve_flat_scratch 0
		.amdhsa_float_round_mode_32 0
		.amdhsa_float_round_mode_16_64 0
		.amdhsa_float_denorm_mode_32 3
		.amdhsa_float_denorm_mode_16_64 3
		.amdhsa_dx10_clamp 1
		.amdhsa_ieee_mode 1
		.amdhsa_fp16_overflow 0
		.amdhsa_tg_split 0
		.amdhsa_exception_fp_ieee_invalid_op 0
		.amdhsa_exception_fp_denorm_src 0
		.amdhsa_exception_fp_ieee_div_zero 0
		.amdhsa_exception_fp_ieee_overflow 0
		.amdhsa_exception_fp_ieee_underflow 0
		.amdhsa_exception_fp_ieee_inexact 0
		.amdhsa_exception_int_div_zero 0
	.end_amdhsa_kernel
	.section	.text._ZN7rocprim17ROCPRIM_400000_NS6detail17trampoline_kernelINS0_14default_configENS1_25partition_config_selectorILNS1_17partition_subalgoE9EllbEEZZNS1_14partition_implILS5_9ELb0ES3_jPlS8_PNS0_10empty_typeENS0_5tupleIJS8_S9_EEENSB_IJS8_SA_EEENS0_18inequality_wrapperIZN2at6native12_GLOBAL__N_124unique_dim_cuda_templateIdEESt5tupleIJNSF_6TensorESK_SK_EERKSK_lbbbEUlllE0_EEPmJS9_EEE10hipError_tPvRmT3_T4_T5_T6_T7_T9_mT8_P12ihipStream_tbDpT10_ENKUlT_T0_E_clISt17integral_constantIbLb1EES19_IbLb0EEEEDaS15_S16_EUlS15_E_NS1_11comp_targetILNS1_3genE10ELNS1_11target_archE1200ELNS1_3gpuE4ELNS1_3repE0EEENS1_30default_config_static_selectorELNS0_4arch9wavefront6targetE1EEEvT1_,"axG",@progbits,_ZN7rocprim17ROCPRIM_400000_NS6detail17trampoline_kernelINS0_14default_configENS1_25partition_config_selectorILNS1_17partition_subalgoE9EllbEEZZNS1_14partition_implILS5_9ELb0ES3_jPlS8_PNS0_10empty_typeENS0_5tupleIJS8_S9_EEENSB_IJS8_SA_EEENS0_18inequality_wrapperIZN2at6native12_GLOBAL__N_124unique_dim_cuda_templateIdEESt5tupleIJNSF_6TensorESK_SK_EERKSK_lbbbEUlllE0_EEPmJS9_EEE10hipError_tPvRmT3_T4_T5_T6_T7_T9_mT8_P12ihipStream_tbDpT10_ENKUlT_T0_E_clISt17integral_constantIbLb1EES19_IbLb0EEEEDaS15_S16_EUlS15_E_NS1_11comp_targetILNS1_3genE10ELNS1_11target_archE1200ELNS1_3gpuE4ELNS1_3repE0EEENS1_30default_config_static_selectorELNS0_4arch9wavefront6targetE1EEEvT1_,comdat
.Lfunc_end860:
	.size	_ZN7rocprim17ROCPRIM_400000_NS6detail17trampoline_kernelINS0_14default_configENS1_25partition_config_selectorILNS1_17partition_subalgoE9EllbEEZZNS1_14partition_implILS5_9ELb0ES3_jPlS8_PNS0_10empty_typeENS0_5tupleIJS8_S9_EEENSB_IJS8_SA_EEENS0_18inequality_wrapperIZN2at6native12_GLOBAL__N_124unique_dim_cuda_templateIdEESt5tupleIJNSF_6TensorESK_SK_EERKSK_lbbbEUlllE0_EEPmJS9_EEE10hipError_tPvRmT3_T4_T5_T6_T7_T9_mT8_P12ihipStream_tbDpT10_ENKUlT_T0_E_clISt17integral_constantIbLb1EES19_IbLb0EEEEDaS15_S16_EUlS15_E_NS1_11comp_targetILNS1_3genE10ELNS1_11target_archE1200ELNS1_3gpuE4ELNS1_3repE0EEENS1_30default_config_static_selectorELNS0_4arch9wavefront6targetE1EEEvT1_, .Lfunc_end860-_ZN7rocprim17ROCPRIM_400000_NS6detail17trampoline_kernelINS0_14default_configENS1_25partition_config_selectorILNS1_17partition_subalgoE9EllbEEZZNS1_14partition_implILS5_9ELb0ES3_jPlS8_PNS0_10empty_typeENS0_5tupleIJS8_S9_EEENSB_IJS8_SA_EEENS0_18inequality_wrapperIZN2at6native12_GLOBAL__N_124unique_dim_cuda_templateIdEESt5tupleIJNSF_6TensorESK_SK_EERKSK_lbbbEUlllE0_EEPmJS9_EEE10hipError_tPvRmT3_T4_T5_T6_T7_T9_mT8_P12ihipStream_tbDpT10_ENKUlT_T0_E_clISt17integral_constantIbLb1EES19_IbLb0EEEEDaS15_S16_EUlS15_E_NS1_11comp_targetILNS1_3genE10ELNS1_11target_archE1200ELNS1_3gpuE4ELNS1_3repE0EEENS1_30default_config_static_selectorELNS0_4arch9wavefront6targetE1EEEvT1_
                                        ; -- End function
	.section	.AMDGPU.csdata,"",@progbits
; Kernel info:
; codeLenInByte = 0
; NumSgprs: 4
; NumVgprs: 0
; NumAgprs: 0
; TotalNumVgprs: 0
; ScratchSize: 0
; MemoryBound: 0
; FloatMode: 240
; IeeeMode: 1
; LDSByteSize: 0 bytes/workgroup (compile time only)
; SGPRBlocks: 0
; VGPRBlocks: 0
; NumSGPRsForWavesPerEU: 4
; NumVGPRsForWavesPerEU: 1
; AccumOffset: 4
; Occupancy: 8
; WaveLimiterHint : 0
; COMPUTE_PGM_RSRC2:SCRATCH_EN: 0
; COMPUTE_PGM_RSRC2:USER_SGPR: 6
; COMPUTE_PGM_RSRC2:TRAP_HANDLER: 0
; COMPUTE_PGM_RSRC2:TGID_X_EN: 1
; COMPUTE_PGM_RSRC2:TGID_Y_EN: 0
; COMPUTE_PGM_RSRC2:TGID_Z_EN: 0
; COMPUTE_PGM_RSRC2:TIDIG_COMP_CNT: 0
; COMPUTE_PGM_RSRC3_GFX90A:ACCUM_OFFSET: 0
; COMPUTE_PGM_RSRC3_GFX90A:TG_SPLIT: 0
	.section	.text._ZN7rocprim17ROCPRIM_400000_NS6detail17trampoline_kernelINS0_14default_configENS1_25partition_config_selectorILNS1_17partition_subalgoE9EllbEEZZNS1_14partition_implILS5_9ELb0ES3_jPlS8_PNS0_10empty_typeENS0_5tupleIJS8_S9_EEENSB_IJS8_SA_EEENS0_18inequality_wrapperIZN2at6native12_GLOBAL__N_124unique_dim_cuda_templateIdEESt5tupleIJNSF_6TensorESK_SK_EERKSK_lbbbEUlllE0_EEPmJS9_EEE10hipError_tPvRmT3_T4_T5_T6_T7_T9_mT8_P12ihipStream_tbDpT10_ENKUlT_T0_E_clISt17integral_constantIbLb1EES19_IbLb0EEEEDaS15_S16_EUlS15_E_NS1_11comp_targetILNS1_3genE9ELNS1_11target_archE1100ELNS1_3gpuE3ELNS1_3repE0EEENS1_30default_config_static_selectorELNS0_4arch9wavefront6targetE1EEEvT1_,"axG",@progbits,_ZN7rocprim17ROCPRIM_400000_NS6detail17trampoline_kernelINS0_14default_configENS1_25partition_config_selectorILNS1_17partition_subalgoE9EllbEEZZNS1_14partition_implILS5_9ELb0ES3_jPlS8_PNS0_10empty_typeENS0_5tupleIJS8_S9_EEENSB_IJS8_SA_EEENS0_18inequality_wrapperIZN2at6native12_GLOBAL__N_124unique_dim_cuda_templateIdEESt5tupleIJNSF_6TensorESK_SK_EERKSK_lbbbEUlllE0_EEPmJS9_EEE10hipError_tPvRmT3_T4_T5_T6_T7_T9_mT8_P12ihipStream_tbDpT10_ENKUlT_T0_E_clISt17integral_constantIbLb1EES19_IbLb0EEEEDaS15_S16_EUlS15_E_NS1_11comp_targetILNS1_3genE9ELNS1_11target_archE1100ELNS1_3gpuE3ELNS1_3repE0EEENS1_30default_config_static_selectorELNS0_4arch9wavefront6targetE1EEEvT1_,comdat
	.globl	_ZN7rocprim17ROCPRIM_400000_NS6detail17trampoline_kernelINS0_14default_configENS1_25partition_config_selectorILNS1_17partition_subalgoE9EllbEEZZNS1_14partition_implILS5_9ELb0ES3_jPlS8_PNS0_10empty_typeENS0_5tupleIJS8_S9_EEENSB_IJS8_SA_EEENS0_18inequality_wrapperIZN2at6native12_GLOBAL__N_124unique_dim_cuda_templateIdEESt5tupleIJNSF_6TensorESK_SK_EERKSK_lbbbEUlllE0_EEPmJS9_EEE10hipError_tPvRmT3_T4_T5_T6_T7_T9_mT8_P12ihipStream_tbDpT10_ENKUlT_T0_E_clISt17integral_constantIbLb1EES19_IbLb0EEEEDaS15_S16_EUlS15_E_NS1_11comp_targetILNS1_3genE9ELNS1_11target_archE1100ELNS1_3gpuE3ELNS1_3repE0EEENS1_30default_config_static_selectorELNS0_4arch9wavefront6targetE1EEEvT1_ ; -- Begin function _ZN7rocprim17ROCPRIM_400000_NS6detail17trampoline_kernelINS0_14default_configENS1_25partition_config_selectorILNS1_17partition_subalgoE9EllbEEZZNS1_14partition_implILS5_9ELb0ES3_jPlS8_PNS0_10empty_typeENS0_5tupleIJS8_S9_EEENSB_IJS8_SA_EEENS0_18inequality_wrapperIZN2at6native12_GLOBAL__N_124unique_dim_cuda_templateIdEESt5tupleIJNSF_6TensorESK_SK_EERKSK_lbbbEUlllE0_EEPmJS9_EEE10hipError_tPvRmT3_T4_T5_T6_T7_T9_mT8_P12ihipStream_tbDpT10_ENKUlT_T0_E_clISt17integral_constantIbLb1EES19_IbLb0EEEEDaS15_S16_EUlS15_E_NS1_11comp_targetILNS1_3genE9ELNS1_11target_archE1100ELNS1_3gpuE3ELNS1_3repE0EEENS1_30default_config_static_selectorELNS0_4arch9wavefront6targetE1EEEvT1_
	.p2align	8
	.type	_ZN7rocprim17ROCPRIM_400000_NS6detail17trampoline_kernelINS0_14default_configENS1_25partition_config_selectorILNS1_17partition_subalgoE9EllbEEZZNS1_14partition_implILS5_9ELb0ES3_jPlS8_PNS0_10empty_typeENS0_5tupleIJS8_S9_EEENSB_IJS8_SA_EEENS0_18inequality_wrapperIZN2at6native12_GLOBAL__N_124unique_dim_cuda_templateIdEESt5tupleIJNSF_6TensorESK_SK_EERKSK_lbbbEUlllE0_EEPmJS9_EEE10hipError_tPvRmT3_T4_T5_T6_T7_T9_mT8_P12ihipStream_tbDpT10_ENKUlT_T0_E_clISt17integral_constantIbLb1EES19_IbLb0EEEEDaS15_S16_EUlS15_E_NS1_11comp_targetILNS1_3genE9ELNS1_11target_archE1100ELNS1_3gpuE3ELNS1_3repE0EEENS1_30default_config_static_selectorELNS0_4arch9wavefront6targetE1EEEvT1_,@function
_ZN7rocprim17ROCPRIM_400000_NS6detail17trampoline_kernelINS0_14default_configENS1_25partition_config_selectorILNS1_17partition_subalgoE9EllbEEZZNS1_14partition_implILS5_9ELb0ES3_jPlS8_PNS0_10empty_typeENS0_5tupleIJS8_S9_EEENSB_IJS8_SA_EEENS0_18inequality_wrapperIZN2at6native12_GLOBAL__N_124unique_dim_cuda_templateIdEESt5tupleIJNSF_6TensorESK_SK_EERKSK_lbbbEUlllE0_EEPmJS9_EEE10hipError_tPvRmT3_T4_T5_T6_T7_T9_mT8_P12ihipStream_tbDpT10_ENKUlT_T0_E_clISt17integral_constantIbLb1EES19_IbLb0EEEEDaS15_S16_EUlS15_E_NS1_11comp_targetILNS1_3genE9ELNS1_11target_archE1100ELNS1_3gpuE3ELNS1_3repE0EEENS1_30default_config_static_selectorELNS0_4arch9wavefront6targetE1EEEvT1_: ; @_ZN7rocprim17ROCPRIM_400000_NS6detail17trampoline_kernelINS0_14default_configENS1_25partition_config_selectorILNS1_17partition_subalgoE9EllbEEZZNS1_14partition_implILS5_9ELb0ES3_jPlS8_PNS0_10empty_typeENS0_5tupleIJS8_S9_EEENSB_IJS8_SA_EEENS0_18inequality_wrapperIZN2at6native12_GLOBAL__N_124unique_dim_cuda_templateIdEESt5tupleIJNSF_6TensorESK_SK_EERKSK_lbbbEUlllE0_EEPmJS9_EEE10hipError_tPvRmT3_T4_T5_T6_T7_T9_mT8_P12ihipStream_tbDpT10_ENKUlT_T0_E_clISt17integral_constantIbLb1EES19_IbLb0EEEEDaS15_S16_EUlS15_E_NS1_11comp_targetILNS1_3genE9ELNS1_11target_archE1100ELNS1_3gpuE3ELNS1_3repE0EEENS1_30default_config_static_selectorELNS0_4arch9wavefront6targetE1EEEvT1_
; %bb.0:
	.section	.rodata,"a",@progbits
	.p2align	6, 0x0
	.amdhsa_kernel _ZN7rocprim17ROCPRIM_400000_NS6detail17trampoline_kernelINS0_14default_configENS1_25partition_config_selectorILNS1_17partition_subalgoE9EllbEEZZNS1_14partition_implILS5_9ELb0ES3_jPlS8_PNS0_10empty_typeENS0_5tupleIJS8_S9_EEENSB_IJS8_SA_EEENS0_18inequality_wrapperIZN2at6native12_GLOBAL__N_124unique_dim_cuda_templateIdEESt5tupleIJNSF_6TensorESK_SK_EERKSK_lbbbEUlllE0_EEPmJS9_EEE10hipError_tPvRmT3_T4_T5_T6_T7_T9_mT8_P12ihipStream_tbDpT10_ENKUlT_T0_E_clISt17integral_constantIbLb1EES19_IbLb0EEEEDaS15_S16_EUlS15_E_NS1_11comp_targetILNS1_3genE9ELNS1_11target_archE1100ELNS1_3gpuE3ELNS1_3repE0EEENS1_30default_config_static_selectorELNS0_4arch9wavefront6targetE1EEEvT1_
		.amdhsa_group_segment_fixed_size 0
		.amdhsa_private_segment_fixed_size 0
		.amdhsa_kernarg_size 120
		.amdhsa_user_sgpr_count 6
		.amdhsa_user_sgpr_private_segment_buffer 1
		.amdhsa_user_sgpr_dispatch_ptr 0
		.amdhsa_user_sgpr_queue_ptr 0
		.amdhsa_user_sgpr_kernarg_segment_ptr 1
		.amdhsa_user_sgpr_dispatch_id 0
		.amdhsa_user_sgpr_flat_scratch_init 0
		.amdhsa_user_sgpr_kernarg_preload_length 0
		.amdhsa_user_sgpr_kernarg_preload_offset 0
		.amdhsa_user_sgpr_private_segment_size 0
		.amdhsa_uses_dynamic_stack 0
		.amdhsa_system_sgpr_private_segment_wavefront_offset 0
		.amdhsa_system_sgpr_workgroup_id_x 1
		.amdhsa_system_sgpr_workgroup_id_y 0
		.amdhsa_system_sgpr_workgroup_id_z 0
		.amdhsa_system_sgpr_workgroup_info 0
		.amdhsa_system_vgpr_workitem_id 0
		.amdhsa_next_free_vgpr 1
		.amdhsa_next_free_sgpr 0
		.amdhsa_accum_offset 4
		.amdhsa_reserve_vcc 0
		.amdhsa_reserve_flat_scratch 0
		.amdhsa_float_round_mode_32 0
		.amdhsa_float_round_mode_16_64 0
		.amdhsa_float_denorm_mode_32 3
		.amdhsa_float_denorm_mode_16_64 3
		.amdhsa_dx10_clamp 1
		.amdhsa_ieee_mode 1
		.amdhsa_fp16_overflow 0
		.amdhsa_tg_split 0
		.amdhsa_exception_fp_ieee_invalid_op 0
		.amdhsa_exception_fp_denorm_src 0
		.amdhsa_exception_fp_ieee_div_zero 0
		.amdhsa_exception_fp_ieee_overflow 0
		.amdhsa_exception_fp_ieee_underflow 0
		.amdhsa_exception_fp_ieee_inexact 0
		.amdhsa_exception_int_div_zero 0
	.end_amdhsa_kernel
	.section	.text._ZN7rocprim17ROCPRIM_400000_NS6detail17trampoline_kernelINS0_14default_configENS1_25partition_config_selectorILNS1_17partition_subalgoE9EllbEEZZNS1_14partition_implILS5_9ELb0ES3_jPlS8_PNS0_10empty_typeENS0_5tupleIJS8_S9_EEENSB_IJS8_SA_EEENS0_18inequality_wrapperIZN2at6native12_GLOBAL__N_124unique_dim_cuda_templateIdEESt5tupleIJNSF_6TensorESK_SK_EERKSK_lbbbEUlllE0_EEPmJS9_EEE10hipError_tPvRmT3_T4_T5_T6_T7_T9_mT8_P12ihipStream_tbDpT10_ENKUlT_T0_E_clISt17integral_constantIbLb1EES19_IbLb0EEEEDaS15_S16_EUlS15_E_NS1_11comp_targetILNS1_3genE9ELNS1_11target_archE1100ELNS1_3gpuE3ELNS1_3repE0EEENS1_30default_config_static_selectorELNS0_4arch9wavefront6targetE1EEEvT1_,"axG",@progbits,_ZN7rocprim17ROCPRIM_400000_NS6detail17trampoline_kernelINS0_14default_configENS1_25partition_config_selectorILNS1_17partition_subalgoE9EllbEEZZNS1_14partition_implILS5_9ELb0ES3_jPlS8_PNS0_10empty_typeENS0_5tupleIJS8_S9_EEENSB_IJS8_SA_EEENS0_18inequality_wrapperIZN2at6native12_GLOBAL__N_124unique_dim_cuda_templateIdEESt5tupleIJNSF_6TensorESK_SK_EERKSK_lbbbEUlllE0_EEPmJS9_EEE10hipError_tPvRmT3_T4_T5_T6_T7_T9_mT8_P12ihipStream_tbDpT10_ENKUlT_T0_E_clISt17integral_constantIbLb1EES19_IbLb0EEEEDaS15_S16_EUlS15_E_NS1_11comp_targetILNS1_3genE9ELNS1_11target_archE1100ELNS1_3gpuE3ELNS1_3repE0EEENS1_30default_config_static_selectorELNS0_4arch9wavefront6targetE1EEEvT1_,comdat
.Lfunc_end861:
	.size	_ZN7rocprim17ROCPRIM_400000_NS6detail17trampoline_kernelINS0_14default_configENS1_25partition_config_selectorILNS1_17partition_subalgoE9EllbEEZZNS1_14partition_implILS5_9ELb0ES3_jPlS8_PNS0_10empty_typeENS0_5tupleIJS8_S9_EEENSB_IJS8_SA_EEENS0_18inequality_wrapperIZN2at6native12_GLOBAL__N_124unique_dim_cuda_templateIdEESt5tupleIJNSF_6TensorESK_SK_EERKSK_lbbbEUlllE0_EEPmJS9_EEE10hipError_tPvRmT3_T4_T5_T6_T7_T9_mT8_P12ihipStream_tbDpT10_ENKUlT_T0_E_clISt17integral_constantIbLb1EES19_IbLb0EEEEDaS15_S16_EUlS15_E_NS1_11comp_targetILNS1_3genE9ELNS1_11target_archE1100ELNS1_3gpuE3ELNS1_3repE0EEENS1_30default_config_static_selectorELNS0_4arch9wavefront6targetE1EEEvT1_, .Lfunc_end861-_ZN7rocprim17ROCPRIM_400000_NS6detail17trampoline_kernelINS0_14default_configENS1_25partition_config_selectorILNS1_17partition_subalgoE9EllbEEZZNS1_14partition_implILS5_9ELb0ES3_jPlS8_PNS0_10empty_typeENS0_5tupleIJS8_S9_EEENSB_IJS8_SA_EEENS0_18inequality_wrapperIZN2at6native12_GLOBAL__N_124unique_dim_cuda_templateIdEESt5tupleIJNSF_6TensorESK_SK_EERKSK_lbbbEUlllE0_EEPmJS9_EEE10hipError_tPvRmT3_T4_T5_T6_T7_T9_mT8_P12ihipStream_tbDpT10_ENKUlT_T0_E_clISt17integral_constantIbLb1EES19_IbLb0EEEEDaS15_S16_EUlS15_E_NS1_11comp_targetILNS1_3genE9ELNS1_11target_archE1100ELNS1_3gpuE3ELNS1_3repE0EEENS1_30default_config_static_selectorELNS0_4arch9wavefront6targetE1EEEvT1_
                                        ; -- End function
	.section	.AMDGPU.csdata,"",@progbits
; Kernel info:
; codeLenInByte = 0
; NumSgprs: 4
; NumVgprs: 0
; NumAgprs: 0
; TotalNumVgprs: 0
; ScratchSize: 0
; MemoryBound: 0
; FloatMode: 240
; IeeeMode: 1
; LDSByteSize: 0 bytes/workgroup (compile time only)
; SGPRBlocks: 0
; VGPRBlocks: 0
; NumSGPRsForWavesPerEU: 4
; NumVGPRsForWavesPerEU: 1
; AccumOffset: 4
; Occupancy: 8
; WaveLimiterHint : 0
; COMPUTE_PGM_RSRC2:SCRATCH_EN: 0
; COMPUTE_PGM_RSRC2:USER_SGPR: 6
; COMPUTE_PGM_RSRC2:TRAP_HANDLER: 0
; COMPUTE_PGM_RSRC2:TGID_X_EN: 1
; COMPUTE_PGM_RSRC2:TGID_Y_EN: 0
; COMPUTE_PGM_RSRC2:TGID_Z_EN: 0
; COMPUTE_PGM_RSRC2:TIDIG_COMP_CNT: 0
; COMPUTE_PGM_RSRC3_GFX90A:ACCUM_OFFSET: 0
; COMPUTE_PGM_RSRC3_GFX90A:TG_SPLIT: 0
	.section	.text._ZN7rocprim17ROCPRIM_400000_NS6detail17trampoline_kernelINS0_14default_configENS1_25partition_config_selectorILNS1_17partition_subalgoE9EllbEEZZNS1_14partition_implILS5_9ELb0ES3_jPlS8_PNS0_10empty_typeENS0_5tupleIJS8_S9_EEENSB_IJS8_SA_EEENS0_18inequality_wrapperIZN2at6native12_GLOBAL__N_124unique_dim_cuda_templateIdEESt5tupleIJNSF_6TensorESK_SK_EERKSK_lbbbEUlllE0_EEPmJS9_EEE10hipError_tPvRmT3_T4_T5_T6_T7_T9_mT8_P12ihipStream_tbDpT10_ENKUlT_T0_E_clISt17integral_constantIbLb1EES19_IbLb0EEEEDaS15_S16_EUlS15_E_NS1_11comp_targetILNS1_3genE8ELNS1_11target_archE1030ELNS1_3gpuE2ELNS1_3repE0EEENS1_30default_config_static_selectorELNS0_4arch9wavefront6targetE1EEEvT1_,"axG",@progbits,_ZN7rocprim17ROCPRIM_400000_NS6detail17trampoline_kernelINS0_14default_configENS1_25partition_config_selectorILNS1_17partition_subalgoE9EllbEEZZNS1_14partition_implILS5_9ELb0ES3_jPlS8_PNS0_10empty_typeENS0_5tupleIJS8_S9_EEENSB_IJS8_SA_EEENS0_18inequality_wrapperIZN2at6native12_GLOBAL__N_124unique_dim_cuda_templateIdEESt5tupleIJNSF_6TensorESK_SK_EERKSK_lbbbEUlllE0_EEPmJS9_EEE10hipError_tPvRmT3_T4_T5_T6_T7_T9_mT8_P12ihipStream_tbDpT10_ENKUlT_T0_E_clISt17integral_constantIbLb1EES19_IbLb0EEEEDaS15_S16_EUlS15_E_NS1_11comp_targetILNS1_3genE8ELNS1_11target_archE1030ELNS1_3gpuE2ELNS1_3repE0EEENS1_30default_config_static_selectorELNS0_4arch9wavefront6targetE1EEEvT1_,comdat
	.globl	_ZN7rocprim17ROCPRIM_400000_NS6detail17trampoline_kernelINS0_14default_configENS1_25partition_config_selectorILNS1_17partition_subalgoE9EllbEEZZNS1_14partition_implILS5_9ELb0ES3_jPlS8_PNS0_10empty_typeENS0_5tupleIJS8_S9_EEENSB_IJS8_SA_EEENS0_18inequality_wrapperIZN2at6native12_GLOBAL__N_124unique_dim_cuda_templateIdEESt5tupleIJNSF_6TensorESK_SK_EERKSK_lbbbEUlllE0_EEPmJS9_EEE10hipError_tPvRmT3_T4_T5_T6_T7_T9_mT8_P12ihipStream_tbDpT10_ENKUlT_T0_E_clISt17integral_constantIbLb1EES19_IbLb0EEEEDaS15_S16_EUlS15_E_NS1_11comp_targetILNS1_3genE8ELNS1_11target_archE1030ELNS1_3gpuE2ELNS1_3repE0EEENS1_30default_config_static_selectorELNS0_4arch9wavefront6targetE1EEEvT1_ ; -- Begin function _ZN7rocprim17ROCPRIM_400000_NS6detail17trampoline_kernelINS0_14default_configENS1_25partition_config_selectorILNS1_17partition_subalgoE9EllbEEZZNS1_14partition_implILS5_9ELb0ES3_jPlS8_PNS0_10empty_typeENS0_5tupleIJS8_S9_EEENSB_IJS8_SA_EEENS0_18inequality_wrapperIZN2at6native12_GLOBAL__N_124unique_dim_cuda_templateIdEESt5tupleIJNSF_6TensorESK_SK_EERKSK_lbbbEUlllE0_EEPmJS9_EEE10hipError_tPvRmT3_T4_T5_T6_T7_T9_mT8_P12ihipStream_tbDpT10_ENKUlT_T0_E_clISt17integral_constantIbLb1EES19_IbLb0EEEEDaS15_S16_EUlS15_E_NS1_11comp_targetILNS1_3genE8ELNS1_11target_archE1030ELNS1_3gpuE2ELNS1_3repE0EEENS1_30default_config_static_selectorELNS0_4arch9wavefront6targetE1EEEvT1_
	.p2align	8
	.type	_ZN7rocprim17ROCPRIM_400000_NS6detail17trampoline_kernelINS0_14default_configENS1_25partition_config_selectorILNS1_17partition_subalgoE9EllbEEZZNS1_14partition_implILS5_9ELb0ES3_jPlS8_PNS0_10empty_typeENS0_5tupleIJS8_S9_EEENSB_IJS8_SA_EEENS0_18inequality_wrapperIZN2at6native12_GLOBAL__N_124unique_dim_cuda_templateIdEESt5tupleIJNSF_6TensorESK_SK_EERKSK_lbbbEUlllE0_EEPmJS9_EEE10hipError_tPvRmT3_T4_T5_T6_T7_T9_mT8_P12ihipStream_tbDpT10_ENKUlT_T0_E_clISt17integral_constantIbLb1EES19_IbLb0EEEEDaS15_S16_EUlS15_E_NS1_11comp_targetILNS1_3genE8ELNS1_11target_archE1030ELNS1_3gpuE2ELNS1_3repE0EEENS1_30default_config_static_selectorELNS0_4arch9wavefront6targetE1EEEvT1_,@function
_ZN7rocprim17ROCPRIM_400000_NS6detail17trampoline_kernelINS0_14default_configENS1_25partition_config_selectorILNS1_17partition_subalgoE9EllbEEZZNS1_14partition_implILS5_9ELb0ES3_jPlS8_PNS0_10empty_typeENS0_5tupleIJS8_S9_EEENSB_IJS8_SA_EEENS0_18inequality_wrapperIZN2at6native12_GLOBAL__N_124unique_dim_cuda_templateIdEESt5tupleIJNSF_6TensorESK_SK_EERKSK_lbbbEUlllE0_EEPmJS9_EEE10hipError_tPvRmT3_T4_T5_T6_T7_T9_mT8_P12ihipStream_tbDpT10_ENKUlT_T0_E_clISt17integral_constantIbLb1EES19_IbLb0EEEEDaS15_S16_EUlS15_E_NS1_11comp_targetILNS1_3genE8ELNS1_11target_archE1030ELNS1_3gpuE2ELNS1_3repE0EEENS1_30default_config_static_selectorELNS0_4arch9wavefront6targetE1EEEvT1_: ; @_ZN7rocprim17ROCPRIM_400000_NS6detail17trampoline_kernelINS0_14default_configENS1_25partition_config_selectorILNS1_17partition_subalgoE9EllbEEZZNS1_14partition_implILS5_9ELb0ES3_jPlS8_PNS0_10empty_typeENS0_5tupleIJS8_S9_EEENSB_IJS8_SA_EEENS0_18inequality_wrapperIZN2at6native12_GLOBAL__N_124unique_dim_cuda_templateIdEESt5tupleIJNSF_6TensorESK_SK_EERKSK_lbbbEUlllE0_EEPmJS9_EEE10hipError_tPvRmT3_T4_T5_T6_T7_T9_mT8_P12ihipStream_tbDpT10_ENKUlT_T0_E_clISt17integral_constantIbLb1EES19_IbLb0EEEEDaS15_S16_EUlS15_E_NS1_11comp_targetILNS1_3genE8ELNS1_11target_archE1030ELNS1_3gpuE2ELNS1_3repE0EEENS1_30default_config_static_selectorELNS0_4arch9wavefront6targetE1EEEvT1_
; %bb.0:
	.section	.rodata,"a",@progbits
	.p2align	6, 0x0
	.amdhsa_kernel _ZN7rocprim17ROCPRIM_400000_NS6detail17trampoline_kernelINS0_14default_configENS1_25partition_config_selectorILNS1_17partition_subalgoE9EllbEEZZNS1_14partition_implILS5_9ELb0ES3_jPlS8_PNS0_10empty_typeENS0_5tupleIJS8_S9_EEENSB_IJS8_SA_EEENS0_18inequality_wrapperIZN2at6native12_GLOBAL__N_124unique_dim_cuda_templateIdEESt5tupleIJNSF_6TensorESK_SK_EERKSK_lbbbEUlllE0_EEPmJS9_EEE10hipError_tPvRmT3_T4_T5_T6_T7_T9_mT8_P12ihipStream_tbDpT10_ENKUlT_T0_E_clISt17integral_constantIbLb1EES19_IbLb0EEEEDaS15_S16_EUlS15_E_NS1_11comp_targetILNS1_3genE8ELNS1_11target_archE1030ELNS1_3gpuE2ELNS1_3repE0EEENS1_30default_config_static_selectorELNS0_4arch9wavefront6targetE1EEEvT1_
		.amdhsa_group_segment_fixed_size 0
		.amdhsa_private_segment_fixed_size 0
		.amdhsa_kernarg_size 120
		.amdhsa_user_sgpr_count 6
		.amdhsa_user_sgpr_private_segment_buffer 1
		.amdhsa_user_sgpr_dispatch_ptr 0
		.amdhsa_user_sgpr_queue_ptr 0
		.amdhsa_user_sgpr_kernarg_segment_ptr 1
		.amdhsa_user_sgpr_dispatch_id 0
		.amdhsa_user_sgpr_flat_scratch_init 0
		.amdhsa_user_sgpr_kernarg_preload_length 0
		.amdhsa_user_sgpr_kernarg_preload_offset 0
		.amdhsa_user_sgpr_private_segment_size 0
		.amdhsa_uses_dynamic_stack 0
		.amdhsa_system_sgpr_private_segment_wavefront_offset 0
		.amdhsa_system_sgpr_workgroup_id_x 1
		.amdhsa_system_sgpr_workgroup_id_y 0
		.amdhsa_system_sgpr_workgroup_id_z 0
		.amdhsa_system_sgpr_workgroup_info 0
		.amdhsa_system_vgpr_workitem_id 0
		.amdhsa_next_free_vgpr 1
		.amdhsa_next_free_sgpr 0
		.amdhsa_accum_offset 4
		.amdhsa_reserve_vcc 0
		.amdhsa_reserve_flat_scratch 0
		.amdhsa_float_round_mode_32 0
		.amdhsa_float_round_mode_16_64 0
		.amdhsa_float_denorm_mode_32 3
		.amdhsa_float_denorm_mode_16_64 3
		.amdhsa_dx10_clamp 1
		.amdhsa_ieee_mode 1
		.amdhsa_fp16_overflow 0
		.amdhsa_tg_split 0
		.amdhsa_exception_fp_ieee_invalid_op 0
		.amdhsa_exception_fp_denorm_src 0
		.amdhsa_exception_fp_ieee_div_zero 0
		.amdhsa_exception_fp_ieee_overflow 0
		.amdhsa_exception_fp_ieee_underflow 0
		.amdhsa_exception_fp_ieee_inexact 0
		.amdhsa_exception_int_div_zero 0
	.end_amdhsa_kernel
	.section	.text._ZN7rocprim17ROCPRIM_400000_NS6detail17trampoline_kernelINS0_14default_configENS1_25partition_config_selectorILNS1_17partition_subalgoE9EllbEEZZNS1_14partition_implILS5_9ELb0ES3_jPlS8_PNS0_10empty_typeENS0_5tupleIJS8_S9_EEENSB_IJS8_SA_EEENS0_18inequality_wrapperIZN2at6native12_GLOBAL__N_124unique_dim_cuda_templateIdEESt5tupleIJNSF_6TensorESK_SK_EERKSK_lbbbEUlllE0_EEPmJS9_EEE10hipError_tPvRmT3_T4_T5_T6_T7_T9_mT8_P12ihipStream_tbDpT10_ENKUlT_T0_E_clISt17integral_constantIbLb1EES19_IbLb0EEEEDaS15_S16_EUlS15_E_NS1_11comp_targetILNS1_3genE8ELNS1_11target_archE1030ELNS1_3gpuE2ELNS1_3repE0EEENS1_30default_config_static_selectorELNS0_4arch9wavefront6targetE1EEEvT1_,"axG",@progbits,_ZN7rocprim17ROCPRIM_400000_NS6detail17trampoline_kernelINS0_14default_configENS1_25partition_config_selectorILNS1_17partition_subalgoE9EllbEEZZNS1_14partition_implILS5_9ELb0ES3_jPlS8_PNS0_10empty_typeENS0_5tupleIJS8_S9_EEENSB_IJS8_SA_EEENS0_18inequality_wrapperIZN2at6native12_GLOBAL__N_124unique_dim_cuda_templateIdEESt5tupleIJNSF_6TensorESK_SK_EERKSK_lbbbEUlllE0_EEPmJS9_EEE10hipError_tPvRmT3_T4_T5_T6_T7_T9_mT8_P12ihipStream_tbDpT10_ENKUlT_T0_E_clISt17integral_constantIbLb1EES19_IbLb0EEEEDaS15_S16_EUlS15_E_NS1_11comp_targetILNS1_3genE8ELNS1_11target_archE1030ELNS1_3gpuE2ELNS1_3repE0EEENS1_30default_config_static_selectorELNS0_4arch9wavefront6targetE1EEEvT1_,comdat
.Lfunc_end862:
	.size	_ZN7rocprim17ROCPRIM_400000_NS6detail17trampoline_kernelINS0_14default_configENS1_25partition_config_selectorILNS1_17partition_subalgoE9EllbEEZZNS1_14partition_implILS5_9ELb0ES3_jPlS8_PNS0_10empty_typeENS0_5tupleIJS8_S9_EEENSB_IJS8_SA_EEENS0_18inequality_wrapperIZN2at6native12_GLOBAL__N_124unique_dim_cuda_templateIdEESt5tupleIJNSF_6TensorESK_SK_EERKSK_lbbbEUlllE0_EEPmJS9_EEE10hipError_tPvRmT3_T4_T5_T6_T7_T9_mT8_P12ihipStream_tbDpT10_ENKUlT_T0_E_clISt17integral_constantIbLb1EES19_IbLb0EEEEDaS15_S16_EUlS15_E_NS1_11comp_targetILNS1_3genE8ELNS1_11target_archE1030ELNS1_3gpuE2ELNS1_3repE0EEENS1_30default_config_static_selectorELNS0_4arch9wavefront6targetE1EEEvT1_, .Lfunc_end862-_ZN7rocprim17ROCPRIM_400000_NS6detail17trampoline_kernelINS0_14default_configENS1_25partition_config_selectorILNS1_17partition_subalgoE9EllbEEZZNS1_14partition_implILS5_9ELb0ES3_jPlS8_PNS0_10empty_typeENS0_5tupleIJS8_S9_EEENSB_IJS8_SA_EEENS0_18inequality_wrapperIZN2at6native12_GLOBAL__N_124unique_dim_cuda_templateIdEESt5tupleIJNSF_6TensorESK_SK_EERKSK_lbbbEUlllE0_EEPmJS9_EEE10hipError_tPvRmT3_T4_T5_T6_T7_T9_mT8_P12ihipStream_tbDpT10_ENKUlT_T0_E_clISt17integral_constantIbLb1EES19_IbLb0EEEEDaS15_S16_EUlS15_E_NS1_11comp_targetILNS1_3genE8ELNS1_11target_archE1030ELNS1_3gpuE2ELNS1_3repE0EEENS1_30default_config_static_selectorELNS0_4arch9wavefront6targetE1EEEvT1_
                                        ; -- End function
	.section	.AMDGPU.csdata,"",@progbits
; Kernel info:
; codeLenInByte = 0
; NumSgprs: 4
; NumVgprs: 0
; NumAgprs: 0
; TotalNumVgprs: 0
; ScratchSize: 0
; MemoryBound: 0
; FloatMode: 240
; IeeeMode: 1
; LDSByteSize: 0 bytes/workgroup (compile time only)
; SGPRBlocks: 0
; VGPRBlocks: 0
; NumSGPRsForWavesPerEU: 4
; NumVGPRsForWavesPerEU: 1
; AccumOffset: 4
; Occupancy: 8
; WaveLimiterHint : 0
; COMPUTE_PGM_RSRC2:SCRATCH_EN: 0
; COMPUTE_PGM_RSRC2:USER_SGPR: 6
; COMPUTE_PGM_RSRC2:TRAP_HANDLER: 0
; COMPUTE_PGM_RSRC2:TGID_X_EN: 1
; COMPUTE_PGM_RSRC2:TGID_Y_EN: 0
; COMPUTE_PGM_RSRC2:TGID_Z_EN: 0
; COMPUTE_PGM_RSRC2:TIDIG_COMP_CNT: 0
; COMPUTE_PGM_RSRC3_GFX90A:ACCUM_OFFSET: 0
; COMPUTE_PGM_RSRC3_GFX90A:TG_SPLIT: 0
	.section	.text._ZN7rocprim17ROCPRIM_400000_NS6detail17trampoline_kernelINS0_14default_configENS1_25partition_config_selectorILNS1_17partition_subalgoE9EllbEEZZNS1_14partition_implILS5_9ELb0ES3_jPlS8_PNS0_10empty_typeENS0_5tupleIJS8_S9_EEENSB_IJS8_SA_EEENS0_18inequality_wrapperIZN2at6native12_GLOBAL__N_124unique_dim_cuda_templateIdEESt5tupleIJNSF_6TensorESK_SK_EERKSK_lbbbEUlllE0_EEPmJS9_EEE10hipError_tPvRmT3_T4_T5_T6_T7_T9_mT8_P12ihipStream_tbDpT10_ENKUlT_T0_E_clISt17integral_constantIbLb0EES19_IbLb1EEEEDaS15_S16_EUlS15_E_NS1_11comp_targetILNS1_3genE0ELNS1_11target_archE4294967295ELNS1_3gpuE0ELNS1_3repE0EEENS1_30default_config_static_selectorELNS0_4arch9wavefront6targetE1EEEvT1_,"axG",@progbits,_ZN7rocprim17ROCPRIM_400000_NS6detail17trampoline_kernelINS0_14default_configENS1_25partition_config_selectorILNS1_17partition_subalgoE9EllbEEZZNS1_14partition_implILS5_9ELb0ES3_jPlS8_PNS0_10empty_typeENS0_5tupleIJS8_S9_EEENSB_IJS8_SA_EEENS0_18inequality_wrapperIZN2at6native12_GLOBAL__N_124unique_dim_cuda_templateIdEESt5tupleIJNSF_6TensorESK_SK_EERKSK_lbbbEUlllE0_EEPmJS9_EEE10hipError_tPvRmT3_T4_T5_T6_T7_T9_mT8_P12ihipStream_tbDpT10_ENKUlT_T0_E_clISt17integral_constantIbLb0EES19_IbLb1EEEEDaS15_S16_EUlS15_E_NS1_11comp_targetILNS1_3genE0ELNS1_11target_archE4294967295ELNS1_3gpuE0ELNS1_3repE0EEENS1_30default_config_static_selectorELNS0_4arch9wavefront6targetE1EEEvT1_,comdat
	.globl	_ZN7rocprim17ROCPRIM_400000_NS6detail17trampoline_kernelINS0_14default_configENS1_25partition_config_selectorILNS1_17partition_subalgoE9EllbEEZZNS1_14partition_implILS5_9ELb0ES3_jPlS8_PNS0_10empty_typeENS0_5tupleIJS8_S9_EEENSB_IJS8_SA_EEENS0_18inequality_wrapperIZN2at6native12_GLOBAL__N_124unique_dim_cuda_templateIdEESt5tupleIJNSF_6TensorESK_SK_EERKSK_lbbbEUlllE0_EEPmJS9_EEE10hipError_tPvRmT3_T4_T5_T6_T7_T9_mT8_P12ihipStream_tbDpT10_ENKUlT_T0_E_clISt17integral_constantIbLb0EES19_IbLb1EEEEDaS15_S16_EUlS15_E_NS1_11comp_targetILNS1_3genE0ELNS1_11target_archE4294967295ELNS1_3gpuE0ELNS1_3repE0EEENS1_30default_config_static_selectorELNS0_4arch9wavefront6targetE1EEEvT1_ ; -- Begin function _ZN7rocprim17ROCPRIM_400000_NS6detail17trampoline_kernelINS0_14default_configENS1_25partition_config_selectorILNS1_17partition_subalgoE9EllbEEZZNS1_14partition_implILS5_9ELb0ES3_jPlS8_PNS0_10empty_typeENS0_5tupleIJS8_S9_EEENSB_IJS8_SA_EEENS0_18inequality_wrapperIZN2at6native12_GLOBAL__N_124unique_dim_cuda_templateIdEESt5tupleIJNSF_6TensorESK_SK_EERKSK_lbbbEUlllE0_EEPmJS9_EEE10hipError_tPvRmT3_T4_T5_T6_T7_T9_mT8_P12ihipStream_tbDpT10_ENKUlT_T0_E_clISt17integral_constantIbLb0EES19_IbLb1EEEEDaS15_S16_EUlS15_E_NS1_11comp_targetILNS1_3genE0ELNS1_11target_archE4294967295ELNS1_3gpuE0ELNS1_3repE0EEENS1_30default_config_static_selectorELNS0_4arch9wavefront6targetE1EEEvT1_
	.p2align	8
	.type	_ZN7rocprim17ROCPRIM_400000_NS6detail17trampoline_kernelINS0_14default_configENS1_25partition_config_selectorILNS1_17partition_subalgoE9EllbEEZZNS1_14partition_implILS5_9ELb0ES3_jPlS8_PNS0_10empty_typeENS0_5tupleIJS8_S9_EEENSB_IJS8_SA_EEENS0_18inequality_wrapperIZN2at6native12_GLOBAL__N_124unique_dim_cuda_templateIdEESt5tupleIJNSF_6TensorESK_SK_EERKSK_lbbbEUlllE0_EEPmJS9_EEE10hipError_tPvRmT3_T4_T5_T6_T7_T9_mT8_P12ihipStream_tbDpT10_ENKUlT_T0_E_clISt17integral_constantIbLb0EES19_IbLb1EEEEDaS15_S16_EUlS15_E_NS1_11comp_targetILNS1_3genE0ELNS1_11target_archE4294967295ELNS1_3gpuE0ELNS1_3repE0EEENS1_30default_config_static_selectorELNS0_4arch9wavefront6targetE1EEEvT1_,@function
_ZN7rocprim17ROCPRIM_400000_NS6detail17trampoline_kernelINS0_14default_configENS1_25partition_config_selectorILNS1_17partition_subalgoE9EllbEEZZNS1_14partition_implILS5_9ELb0ES3_jPlS8_PNS0_10empty_typeENS0_5tupleIJS8_S9_EEENSB_IJS8_SA_EEENS0_18inequality_wrapperIZN2at6native12_GLOBAL__N_124unique_dim_cuda_templateIdEESt5tupleIJNSF_6TensorESK_SK_EERKSK_lbbbEUlllE0_EEPmJS9_EEE10hipError_tPvRmT3_T4_T5_T6_T7_T9_mT8_P12ihipStream_tbDpT10_ENKUlT_T0_E_clISt17integral_constantIbLb0EES19_IbLb1EEEEDaS15_S16_EUlS15_E_NS1_11comp_targetILNS1_3genE0ELNS1_11target_archE4294967295ELNS1_3gpuE0ELNS1_3repE0EEENS1_30default_config_static_selectorELNS0_4arch9wavefront6targetE1EEEvT1_: ; @_ZN7rocprim17ROCPRIM_400000_NS6detail17trampoline_kernelINS0_14default_configENS1_25partition_config_selectorILNS1_17partition_subalgoE9EllbEEZZNS1_14partition_implILS5_9ELb0ES3_jPlS8_PNS0_10empty_typeENS0_5tupleIJS8_S9_EEENSB_IJS8_SA_EEENS0_18inequality_wrapperIZN2at6native12_GLOBAL__N_124unique_dim_cuda_templateIdEESt5tupleIJNSF_6TensorESK_SK_EERKSK_lbbbEUlllE0_EEPmJS9_EEE10hipError_tPvRmT3_T4_T5_T6_T7_T9_mT8_P12ihipStream_tbDpT10_ENKUlT_T0_E_clISt17integral_constantIbLb0EES19_IbLb1EEEEDaS15_S16_EUlS15_E_NS1_11comp_targetILNS1_3genE0ELNS1_11target_archE4294967295ELNS1_3gpuE0ELNS1_3repE0EEENS1_30default_config_static_selectorELNS0_4arch9wavefront6targetE1EEEvT1_
; %bb.0:
	.section	.rodata,"a",@progbits
	.p2align	6, 0x0
	.amdhsa_kernel _ZN7rocprim17ROCPRIM_400000_NS6detail17trampoline_kernelINS0_14default_configENS1_25partition_config_selectorILNS1_17partition_subalgoE9EllbEEZZNS1_14partition_implILS5_9ELb0ES3_jPlS8_PNS0_10empty_typeENS0_5tupleIJS8_S9_EEENSB_IJS8_SA_EEENS0_18inequality_wrapperIZN2at6native12_GLOBAL__N_124unique_dim_cuda_templateIdEESt5tupleIJNSF_6TensorESK_SK_EERKSK_lbbbEUlllE0_EEPmJS9_EEE10hipError_tPvRmT3_T4_T5_T6_T7_T9_mT8_P12ihipStream_tbDpT10_ENKUlT_T0_E_clISt17integral_constantIbLb0EES19_IbLb1EEEEDaS15_S16_EUlS15_E_NS1_11comp_targetILNS1_3genE0ELNS1_11target_archE4294967295ELNS1_3gpuE0ELNS1_3repE0EEENS1_30default_config_static_selectorELNS0_4arch9wavefront6targetE1EEEvT1_
		.amdhsa_group_segment_fixed_size 0
		.amdhsa_private_segment_fixed_size 0
		.amdhsa_kernarg_size 136
		.amdhsa_user_sgpr_count 6
		.amdhsa_user_sgpr_private_segment_buffer 1
		.amdhsa_user_sgpr_dispatch_ptr 0
		.amdhsa_user_sgpr_queue_ptr 0
		.amdhsa_user_sgpr_kernarg_segment_ptr 1
		.amdhsa_user_sgpr_dispatch_id 0
		.amdhsa_user_sgpr_flat_scratch_init 0
		.amdhsa_user_sgpr_kernarg_preload_length 0
		.amdhsa_user_sgpr_kernarg_preload_offset 0
		.amdhsa_user_sgpr_private_segment_size 0
		.amdhsa_uses_dynamic_stack 0
		.amdhsa_system_sgpr_private_segment_wavefront_offset 0
		.amdhsa_system_sgpr_workgroup_id_x 1
		.amdhsa_system_sgpr_workgroup_id_y 0
		.amdhsa_system_sgpr_workgroup_id_z 0
		.amdhsa_system_sgpr_workgroup_info 0
		.amdhsa_system_vgpr_workitem_id 0
		.amdhsa_next_free_vgpr 1
		.amdhsa_next_free_sgpr 0
		.amdhsa_accum_offset 4
		.amdhsa_reserve_vcc 0
		.amdhsa_reserve_flat_scratch 0
		.amdhsa_float_round_mode_32 0
		.amdhsa_float_round_mode_16_64 0
		.amdhsa_float_denorm_mode_32 3
		.amdhsa_float_denorm_mode_16_64 3
		.amdhsa_dx10_clamp 1
		.amdhsa_ieee_mode 1
		.amdhsa_fp16_overflow 0
		.amdhsa_tg_split 0
		.amdhsa_exception_fp_ieee_invalid_op 0
		.amdhsa_exception_fp_denorm_src 0
		.amdhsa_exception_fp_ieee_div_zero 0
		.amdhsa_exception_fp_ieee_overflow 0
		.amdhsa_exception_fp_ieee_underflow 0
		.amdhsa_exception_fp_ieee_inexact 0
		.amdhsa_exception_int_div_zero 0
	.end_amdhsa_kernel
	.section	.text._ZN7rocprim17ROCPRIM_400000_NS6detail17trampoline_kernelINS0_14default_configENS1_25partition_config_selectorILNS1_17partition_subalgoE9EllbEEZZNS1_14partition_implILS5_9ELb0ES3_jPlS8_PNS0_10empty_typeENS0_5tupleIJS8_S9_EEENSB_IJS8_SA_EEENS0_18inequality_wrapperIZN2at6native12_GLOBAL__N_124unique_dim_cuda_templateIdEESt5tupleIJNSF_6TensorESK_SK_EERKSK_lbbbEUlllE0_EEPmJS9_EEE10hipError_tPvRmT3_T4_T5_T6_T7_T9_mT8_P12ihipStream_tbDpT10_ENKUlT_T0_E_clISt17integral_constantIbLb0EES19_IbLb1EEEEDaS15_S16_EUlS15_E_NS1_11comp_targetILNS1_3genE0ELNS1_11target_archE4294967295ELNS1_3gpuE0ELNS1_3repE0EEENS1_30default_config_static_selectorELNS0_4arch9wavefront6targetE1EEEvT1_,"axG",@progbits,_ZN7rocprim17ROCPRIM_400000_NS6detail17trampoline_kernelINS0_14default_configENS1_25partition_config_selectorILNS1_17partition_subalgoE9EllbEEZZNS1_14partition_implILS5_9ELb0ES3_jPlS8_PNS0_10empty_typeENS0_5tupleIJS8_S9_EEENSB_IJS8_SA_EEENS0_18inequality_wrapperIZN2at6native12_GLOBAL__N_124unique_dim_cuda_templateIdEESt5tupleIJNSF_6TensorESK_SK_EERKSK_lbbbEUlllE0_EEPmJS9_EEE10hipError_tPvRmT3_T4_T5_T6_T7_T9_mT8_P12ihipStream_tbDpT10_ENKUlT_T0_E_clISt17integral_constantIbLb0EES19_IbLb1EEEEDaS15_S16_EUlS15_E_NS1_11comp_targetILNS1_3genE0ELNS1_11target_archE4294967295ELNS1_3gpuE0ELNS1_3repE0EEENS1_30default_config_static_selectorELNS0_4arch9wavefront6targetE1EEEvT1_,comdat
.Lfunc_end863:
	.size	_ZN7rocprim17ROCPRIM_400000_NS6detail17trampoline_kernelINS0_14default_configENS1_25partition_config_selectorILNS1_17partition_subalgoE9EllbEEZZNS1_14partition_implILS5_9ELb0ES3_jPlS8_PNS0_10empty_typeENS0_5tupleIJS8_S9_EEENSB_IJS8_SA_EEENS0_18inequality_wrapperIZN2at6native12_GLOBAL__N_124unique_dim_cuda_templateIdEESt5tupleIJNSF_6TensorESK_SK_EERKSK_lbbbEUlllE0_EEPmJS9_EEE10hipError_tPvRmT3_T4_T5_T6_T7_T9_mT8_P12ihipStream_tbDpT10_ENKUlT_T0_E_clISt17integral_constantIbLb0EES19_IbLb1EEEEDaS15_S16_EUlS15_E_NS1_11comp_targetILNS1_3genE0ELNS1_11target_archE4294967295ELNS1_3gpuE0ELNS1_3repE0EEENS1_30default_config_static_selectorELNS0_4arch9wavefront6targetE1EEEvT1_, .Lfunc_end863-_ZN7rocprim17ROCPRIM_400000_NS6detail17trampoline_kernelINS0_14default_configENS1_25partition_config_selectorILNS1_17partition_subalgoE9EllbEEZZNS1_14partition_implILS5_9ELb0ES3_jPlS8_PNS0_10empty_typeENS0_5tupleIJS8_S9_EEENSB_IJS8_SA_EEENS0_18inequality_wrapperIZN2at6native12_GLOBAL__N_124unique_dim_cuda_templateIdEESt5tupleIJNSF_6TensorESK_SK_EERKSK_lbbbEUlllE0_EEPmJS9_EEE10hipError_tPvRmT3_T4_T5_T6_T7_T9_mT8_P12ihipStream_tbDpT10_ENKUlT_T0_E_clISt17integral_constantIbLb0EES19_IbLb1EEEEDaS15_S16_EUlS15_E_NS1_11comp_targetILNS1_3genE0ELNS1_11target_archE4294967295ELNS1_3gpuE0ELNS1_3repE0EEENS1_30default_config_static_selectorELNS0_4arch9wavefront6targetE1EEEvT1_
                                        ; -- End function
	.section	.AMDGPU.csdata,"",@progbits
; Kernel info:
; codeLenInByte = 0
; NumSgprs: 4
; NumVgprs: 0
; NumAgprs: 0
; TotalNumVgprs: 0
; ScratchSize: 0
; MemoryBound: 0
; FloatMode: 240
; IeeeMode: 1
; LDSByteSize: 0 bytes/workgroup (compile time only)
; SGPRBlocks: 0
; VGPRBlocks: 0
; NumSGPRsForWavesPerEU: 4
; NumVGPRsForWavesPerEU: 1
; AccumOffset: 4
; Occupancy: 8
; WaveLimiterHint : 0
; COMPUTE_PGM_RSRC2:SCRATCH_EN: 0
; COMPUTE_PGM_RSRC2:USER_SGPR: 6
; COMPUTE_PGM_RSRC2:TRAP_HANDLER: 0
; COMPUTE_PGM_RSRC2:TGID_X_EN: 1
; COMPUTE_PGM_RSRC2:TGID_Y_EN: 0
; COMPUTE_PGM_RSRC2:TGID_Z_EN: 0
; COMPUTE_PGM_RSRC2:TIDIG_COMP_CNT: 0
; COMPUTE_PGM_RSRC3_GFX90A:ACCUM_OFFSET: 0
; COMPUTE_PGM_RSRC3_GFX90A:TG_SPLIT: 0
	.section	.text._ZN7rocprim17ROCPRIM_400000_NS6detail17trampoline_kernelINS0_14default_configENS1_25partition_config_selectorILNS1_17partition_subalgoE9EllbEEZZNS1_14partition_implILS5_9ELb0ES3_jPlS8_PNS0_10empty_typeENS0_5tupleIJS8_S9_EEENSB_IJS8_SA_EEENS0_18inequality_wrapperIZN2at6native12_GLOBAL__N_124unique_dim_cuda_templateIdEESt5tupleIJNSF_6TensorESK_SK_EERKSK_lbbbEUlllE0_EEPmJS9_EEE10hipError_tPvRmT3_T4_T5_T6_T7_T9_mT8_P12ihipStream_tbDpT10_ENKUlT_T0_E_clISt17integral_constantIbLb0EES19_IbLb1EEEEDaS15_S16_EUlS15_E_NS1_11comp_targetILNS1_3genE5ELNS1_11target_archE942ELNS1_3gpuE9ELNS1_3repE0EEENS1_30default_config_static_selectorELNS0_4arch9wavefront6targetE1EEEvT1_,"axG",@progbits,_ZN7rocprim17ROCPRIM_400000_NS6detail17trampoline_kernelINS0_14default_configENS1_25partition_config_selectorILNS1_17partition_subalgoE9EllbEEZZNS1_14partition_implILS5_9ELb0ES3_jPlS8_PNS0_10empty_typeENS0_5tupleIJS8_S9_EEENSB_IJS8_SA_EEENS0_18inequality_wrapperIZN2at6native12_GLOBAL__N_124unique_dim_cuda_templateIdEESt5tupleIJNSF_6TensorESK_SK_EERKSK_lbbbEUlllE0_EEPmJS9_EEE10hipError_tPvRmT3_T4_T5_T6_T7_T9_mT8_P12ihipStream_tbDpT10_ENKUlT_T0_E_clISt17integral_constantIbLb0EES19_IbLb1EEEEDaS15_S16_EUlS15_E_NS1_11comp_targetILNS1_3genE5ELNS1_11target_archE942ELNS1_3gpuE9ELNS1_3repE0EEENS1_30default_config_static_selectorELNS0_4arch9wavefront6targetE1EEEvT1_,comdat
	.globl	_ZN7rocprim17ROCPRIM_400000_NS6detail17trampoline_kernelINS0_14default_configENS1_25partition_config_selectorILNS1_17partition_subalgoE9EllbEEZZNS1_14partition_implILS5_9ELb0ES3_jPlS8_PNS0_10empty_typeENS0_5tupleIJS8_S9_EEENSB_IJS8_SA_EEENS0_18inequality_wrapperIZN2at6native12_GLOBAL__N_124unique_dim_cuda_templateIdEESt5tupleIJNSF_6TensorESK_SK_EERKSK_lbbbEUlllE0_EEPmJS9_EEE10hipError_tPvRmT3_T4_T5_T6_T7_T9_mT8_P12ihipStream_tbDpT10_ENKUlT_T0_E_clISt17integral_constantIbLb0EES19_IbLb1EEEEDaS15_S16_EUlS15_E_NS1_11comp_targetILNS1_3genE5ELNS1_11target_archE942ELNS1_3gpuE9ELNS1_3repE0EEENS1_30default_config_static_selectorELNS0_4arch9wavefront6targetE1EEEvT1_ ; -- Begin function _ZN7rocprim17ROCPRIM_400000_NS6detail17trampoline_kernelINS0_14default_configENS1_25partition_config_selectorILNS1_17partition_subalgoE9EllbEEZZNS1_14partition_implILS5_9ELb0ES3_jPlS8_PNS0_10empty_typeENS0_5tupleIJS8_S9_EEENSB_IJS8_SA_EEENS0_18inequality_wrapperIZN2at6native12_GLOBAL__N_124unique_dim_cuda_templateIdEESt5tupleIJNSF_6TensorESK_SK_EERKSK_lbbbEUlllE0_EEPmJS9_EEE10hipError_tPvRmT3_T4_T5_T6_T7_T9_mT8_P12ihipStream_tbDpT10_ENKUlT_T0_E_clISt17integral_constantIbLb0EES19_IbLb1EEEEDaS15_S16_EUlS15_E_NS1_11comp_targetILNS1_3genE5ELNS1_11target_archE942ELNS1_3gpuE9ELNS1_3repE0EEENS1_30default_config_static_selectorELNS0_4arch9wavefront6targetE1EEEvT1_
	.p2align	8
	.type	_ZN7rocprim17ROCPRIM_400000_NS6detail17trampoline_kernelINS0_14default_configENS1_25partition_config_selectorILNS1_17partition_subalgoE9EllbEEZZNS1_14partition_implILS5_9ELb0ES3_jPlS8_PNS0_10empty_typeENS0_5tupleIJS8_S9_EEENSB_IJS8_SA_EEENS0_18inequality_wrapperIZN2at6native12_GLOBAL__N_124unique_dim_cuda_templateIdEESt5tupleIJNSF_6TensorESK_SK_EERKSK_lbbbEUlllE0_EEPmJS9_EEE10hipError_tPvRmT3_T4_T5_T6_T7_T9_mT8_P12ihipStream_tbDpT10_ENKUlT_T0_E_clISt17integral_constantIbLb0EES19_IbLb1EEEEDaS15_S16_EUlS15_E_NS1_11comp_targetILNS1_3genE5ELNS1_11target_archE942ELNS1_3gpuE9ELNS1_3repE0EEENS1_30default_config_static_selectorELNS0_4arch9wavefront6targetE1EEEvT1_,@function
_ZN7rocprim17ROCPRIM_400000_NS6detail17trampoline_kernelINS0_14default_configENS1_25partition_config_selectorILNS1_17partition_subalgoE9EllbEEZZNS1_14partition_implILS5_9ELb0ES3_jPlS8_PNS0_10empty_typeENS0_5tupleIJS8_S9_EEENSB_IJS8_SA_EEENS0_18inequality_wrapperIZN2at6native12_GLOBAL__N_124unique_dim_cuda_templateIdEESt5tupleIJNSF_6TensorESK_SK_EERKSK_lbbbEUlllE0_EEPmJS9_EEE10hipError_tPvRmT3_T4_T5_T6_T7_T9_mT8_P12ihipStream_tbDpT10_ENKUlT_T0_E_clISt17integral_constantIbLb0EES19_IbLb1EEEEDaS15_S16_EUlS15_E_NS1_11comp_targetILNS1_3genE5ELNS1_11target_archE942ELNS1_3gpuE9ELNS1_3repE0EEENS1_30default_config_static_selectorELNS0_4arch9wavefront6targetE1EEEvT1_: ; @_ZN7rocprim17ROCPRIM_400000_NS6detail17trampoline_kernelINS0_14default_configENS1_25partition_config_selectorILNS1_17partition_subalgoE9EllbEEZZNS1_14partition_implILS5_9ELb0ES3_jPlS8_PNS0_10empty_typeENS0_5tupleIJS8_S9_EEENSB_IJS8_SA_EEENS0_18inequality_wrapperIZN2at6native12_GLOBAL__N_124unique_dim_cuda_templateIdEESt5tupleIJNSF_6TensorESK_SK_EERKSK_lbbbEUlllE0_EEPmJS9_EEE10hipError_tPvRmT3_T4_T5_T6_T7_T9_mT8_P12ihipStream_tbDpT10_ENKUlT_T0_E_clISt17integral_constantIbLb0EES19_IbLb1EEEEDaS15_S16_EUlS15_E_NS1_11comp_targetILNS1_3genE5ELNS1_11target_archE942ELNS1_3gpuE9ELNS1_3repE0EEENS1_30default_config_static_selectorELNS0_4arch9wavefront6targetE1EEEvT1_
; %bb.0:
	.section	.rodata,"a",@progbits
	.p2align	6, 0x0
	.amdhsa_kernel _ZN7rocprim17ROCPRIM_400000_NS6detail17trampoline_kernelINS0_14default_configENS1_25partition_config_selectorILNS1_17partition_subalgoE9EllbEEZZNS1_14partition_implILS5_9ELb0ES3_jPlS8_PNS0_10empty_typeENS0_5tupleIJS8_S9_EEENSB_IJS8_SA_EEENS0_18inequality_wrapperIZN2at6native12_GLOBAL__N_124unique_dim_cuda_templateIdEESt5tupleIJNSF_6TensorESK_SK_EERKSK_lbbbEUlllE0_EEPmJS9_EEE10hipError_tPvRmT3_T4_T5_T6_T7_T9_mT8_P12ihipStream_tbDpT10_ENKUlT_T0_E_clISt17integral_constantIbLb0EES19_IbLb1EEEEDaS15_S16_EUlS15_E_NS1_11comp_targetILNS1_3genE5ELNS1_11target_archE942ELNS1_3gpuE9ELNS1_3repE0EEENS1_30default_config_static_selectorELNS0_4arch9wavefront6targetE1EEEvT1_
		.amdhsa_group_segment_fixed_size 0
		.amdhsa_private_segment_fixed_size 0
		.amdhsa_kernarg_size 136
		.amdhsa_user_sgpr_count 6
		.amdhsa_user_sgpr_private_segment_buffer 1
		.amdhsa_user_sgpr_dispatch_ptr 0
		.amdhsa_user_sgpr_queue_ptr 0
		.amdhsa_user_sgpr_kernarg_segment_ptr 1
		.amdhsa_user_sgpr_dispatch_id 0
		.amdhsa_user_sgpr_flat_scratch_init 0
		.amdhsa_user_sgpr_kernarg_preload_length 0
		.amdhsa_user_sgpr_kernarg_preload_offset 0
		.amdhsa_user_sgpr_private_segment_size 0
		.amdhsa_uses_dynamic_stack 0
		.amdhsa_system_sgpr_private_segment_wavefront_offset 0
		.amdhsa_system_sgpr_workgroup_id_x 1
		.amdhsa_system_sgpr_workgroup_id_y 0
		.amdhsa_system_sgpr_workgroup_id_z 0
		.amdhsa_system_sgpr_workgroup_info 0
		.amdhsa_system_vgpr_workitem_id 0
		.amdhsa_next_free_vgpr 1
		.amdhsa_next_free_sgpr 0
		.amdhsa_accum_offset 4
		.amdhsa_reserve_vcc 0
		.amdhsa_reserve_flat_scratch 0
		.amdhsa_float_round_mode_32 0
		.amdhsa_float_round_mode_16_64 0
		.amdhsa_float_denorm_mode_32 3
		.amdhsa_float_denorm_mode_16_64 3
		.amdhsa_dx10_clamp 1
		.amdhsa_ieee_mode 1
		.amdhsa_fp16_overflow 0
		.amdhsa_tg_split 0
		.amdhsa_exception_fp_ieee_invalid_op 0
		.amdhsa_exception_fp_denorm_src 0
		.amdhsa_exception_fp_ieee_div_zero 0
		.amdhsa_exception_fp_ieee_overflow 0
		.amdhsa_exception_fp_ieee_underflow 0
		.amdhsa_exception_fp_ieee_inexact 0
		.amdhsa_exception_int_div_zero 0
	.end_amdhsa_kernel
	.section	.text._ZN7rocprim17ROCPRIM_400000_NS6detail17trampoline_kernelINS0_14default_configENS1_25partition_config_selectorILNS1_17partition_subalgoE9EllbEEZZNS1_14partition_implILS5_9ELb0ES3_jPlS8_PNS0_10empty_typeENS0_5tupleIJS8_S9_EEENSB_IJS8_SA_EEENS0_18inequality_wrapperIZN2at6native12_GLOBAL__N_124unique_dim_cuda_templateIdEESt5tupleIJNSF_6TensorESK_SK_EERKSK_lbbbEUlllE0_EEPmJS9_EEE10hipError_tPvRmT3_T4_T5_T6_T7_T9_mT8_P12ihipStream_tbDpT10_ENKUlT_T0_E_clISt17integral_constantIbLb0EES19_IbLb1EEEEDaS15_S16_EUlS15_E_NS1_11comp_targetILNS1_3genE5ELNS1_11target_archE942ELNS1_3gpuE9ELNS1_3repE0EEENS1_30default_config_static_selectorELNS0_4arch9wavefront6targetE1EEEvT1_,"axG",@progbits,_ZN7rocprim17ROCPRIM_400000_NS6detail17trampoline_kernelINS0_14default_configENS1_25partition_config_selectorILNS1_17partition_subalgoE9EllbEEZZNS1_14partition_implILS5_9ELb0ES3_jPlS8_PNS0_10empty_typeENS0_5tupleIJS8_S9_EEENSB_IJS8_SA_EEENS0_18inequality_wrapperIZN2at6native12_GLOBAL__N_124unique_dim_cuda_templateIdEESt5tupleIJNSF_6TensorESK_SK_EERKSK_lbbbEUlllE0_EEPmJS9_EEE10hipError_tPvRmT3_T4_T5_T6_T7_T9_mT8_P12ihipStream_tbDpT10_ENKUlT_T0_E_clISt17integral_constantIbLb0EES19_IbLb1EEEEDaS15_S16_EUlS15_E_NS1_11comp_targetILNS1_3genE5ELNS1_11target_archE942ELNS1_3gpuE9ELNS1_3repE0EEENS1_30default_config_static_selectorELNS0_4arch9wavefront6targetE1EEEvT1_,comdat
.Lfunc_end864:
	.size	_ZN7rocprim17ROCPRIM_400000_NS6detail17trampoline_kernelINS0_14default_configENS1_25partition_config_selectorILNS1_17partition_subalgoE9EllbEEZZNS1_14partition_implILS5_9ELb0ES3_jPlS8_PNS0_10empty_typeENS0_5tupleIJS8_S9_EEENSB_IJS8_SA_EEENS0_18inequality_wrapperIZN2at6native12_GLOBAL__N_124unique_dim_cuda_templateIdEESt5tupleIJNSF_6TensorESK_SK_EERKSK_lbbbEUlllE0_EEPmJS9_EEE10hipError_tPvRmT3_T4_T5_T6_T7_T9_mT8_P12ihipStream_tbDpT10_ENKUlT_T0_E_clISt17integral_constantIbLb0EES19_IbLb1EEEEDaS15_S16_EUlS15_E_NS1_11comp_targetILNS1_3genE5ELNS1_11target_archE942ELNS1_3gpuE9ELNS1_3repE0EEENS1_30default_config_static_selectorELNS0_4arch9wavefront6targetE1EEEvT1_, .Lfunc_end864-_ZN7rocprim17ROCPRIM_400000_NS6detail17trampoline_kernelINS0_14default_configENS1_25partition_config_selectorILNS1_17partition_subalgoE9EllbEEZZNS1_14partition_implILS5_9ELb0ES3_jPlS8_PNS0_10empty_typeENS0_5tupleIJS8_S9_EEENSB_IJS8_SA_EEENS0_18inequality_wrapperIZN2at6native12_GLOBAL__N_124unique_dim_cuda_templateIdEESt5tupleIJNSF_6TensorESK_SK_EERKSK_lbbbEUlllE0_EEPmJS9_EEE10hipError_tPvRmT3_T4_T5_T6_T7_T9_mT8_P12ihipStream_tbDpT10_ENKUlT_T0_E_clISt17integral_constantIbLb0EES19_IbLb1EEEEDaS15_S16_EUlS15_E_NS1_11comp_targetILNS1_3genE5ELNS1_11target_archE942ELNS1_3gpuE9ELNS1_3repE0EEENS1_30default_config_static_selectorELNS0_4arch9wavefront6targetE1EEEvT1_
                                        ; -- End function
	.section	.AMDGPU.csdata,"",@progbits
; Kernel info:
; codeLenInByte = 0
; NumSgprs: 4
; NumVgprs: 0
; NumAgprs: 0
; TotalNumVgprs: 0
; ScratchSize: 0
; MemoryBound: 0
; FloatMode: 240
; IeeeMode: 1
; LDSByteSize: 0 bytes/workgroup (compile time only)
; SGPRBlocks: 0
; VGPRBlocks: 0
; NumSGPRsForWavesPerEU: 4
; NumVGPRsForWavesPerEU: 1
; AccumOffset: 4
; Occupancy: 8
; WaveLimiterHint : 0
; COMPUTE_PGM_RSRC2:SCRATCH_EN: 0
; COMPUTE_PGM_RSRC2:USER_SGPR: 6
; COMPUTE_PGM_RSRC2:TRAP_HANDLER: 0
; COMPUTE_PGM_RSRC2:TGID_X_EN: 1
; COMPUTE_PGM_RSRC2:TGID_Y_EN: 0
; COMPUTE_PGM_RSRC2:TGID_Z_EN: 0
; COMPUTE_PGM_RSRC2:TIDIG_COMP_CNT: 0
; COMPUTE_PGM_RSRC3_GFX90A:ACCUM_OFFSET: 0
; COMPUTE_PGM_RSRC3_GFX90A:TG_SPLIT: 0
	.section	.text._ZN7rocprim17ROCPRIM_400000_NS6detail17trampoline_kernelINS0_14default_configENS1_25partition_config_selectorILNS1_17partition_subalgoE9EllbEEZZNS1_14partition_implILS5_9ELb0ES3_jPlS8_PNS0_10empty_typeENS0_5tupleIJS8_S9_EEENSB_IJS8_SA_EEENS0_18inequality_wrapperIZN2at6native12_GLOBAL__N_124unique_dim_cuda_templateIdEESt5tupleIJNSF_6TensorESK_SK_EERKSK_lbbbEUlllE0_EEPmJS9_EEE10hipError_tPvRmT3_T4_T5_T6_T7_T9_mT8_P12ihipStream_tbDpT10_ENKUlT_T0_E_clISt17integral_constantIbLb0EES19_IbLb1EEEEDaS15_S16_EUlS15_E_NS1_11comp_targetILNS1_3genE4ELNS1_11target_archE910ELNS1_3gpuE8ELNS1_3repE0EEENS1_30default_config_static_selectorELNS0_4arch9wavefront6targetE1EEEvT1_,"axG",@progbits,_ZN7rocprim17ROCPRIM_400000_NS6detail17trampoline_kernelINS0_14default_configENS1_25partition_config_selectorILNS1_17partition_subalgoE9EllbEEZZNS1_14partition_implILS5_9ELb0ES3_jPlS8_PNS0_10empty_typeENS0_5tupleIJS8_S9_EEENSB_IJS8_SA_EEENS0_18inequality_wrapperIZN2at6native12_GLOBAL__N_124unique_dim_cuda_templateIdEESt5tupleIJNSF_6TensorESK_SK_EERKSK_lbbbEUlllE0_EEPmJS9_EEE10hipError_tPvRmT3_T4_T5_T6_T7_T9_mT8_P12ihipStream_tbDpT10_ENKUlT_T0_E_clISt17integral_constantIbLb0EES19_IbLb1EEEEDaS15_S16_EUlS15_E_NS1_11comp_targetILNS1_3genE4ELNS1_11target_archE910ELNS1_3gpuE8ELNS1_3repE0EEENS1_30default_config_static_selectorELNS0_4arch9wavefront6targetE1EEEvT1_,comdat
	.globl	_ZN7rocprim17ROCPRIM_400000_NS6detail17trampoline_kernelINS0_14default_configENS1_25partition_config_selectorILNS1_17partition_subalgoE9EllbEEZZNS1_14partition_implILS5_9ELb0ES3_jPlS8_PNS0_10empty_typeENS0_5tupleIJS8_S9_EEENSB_IJS8_SA_EEENS0_18inequality_wrapperIZN2at6native12_GLOBAL__N_124unique_dim_cuda_templateIdEESt5tupleIJNSF_6TensorESK_SK_EERKSK_lbbbEUlllE0_EEPmJS9_EEE10hipError_tPvRmT3_T4_T5_T6_T7_T9_mT8_P12ihipStream_tbDpT10_ENKUlT_T0_E_clISt17integral_constantIbLb0EES19_IbLb1EEEEDaS15_S16_EUlS15_E_NS1_11comp_targetILNS1_3genE4ELNS1_11target_archE910ELNS1_3gpuE8ELNS1_3repE0EEENS1_30default_config_static_selectorELNS0_4arch9wavefront6targetE1EEEvT1_ ; -- Begin function _ZN7rocprim17ROCPRIM_400000_NS6detail17trampoline_kernelINS0_14default_configENS1_25partition_config_selectorILNS1_17partition_subalgoE9EllbEEZZNS1_14partition_implILS5_9ELb0ES3_jPlS8_PNS0_10empty_typeENS0_5tupleIJS8_S9_EEENSB_IJS8_SA_EEENS0_18inequality_wrapperIZN2at6native12_GLOBAL__N_124unique_dim_cuda_templateIdEESt5tupleIJNSF_6TensorESK_SK_EERKSK_lbbbEUlllE0_EEPmJS9_EEE10hipError_tPvRmT3_T4_T5_T6_T7_T9_mT8_P12ihipStream_tbDpT10_ENKUlT_T0_E_clISt17integral_constantIbLb0EES19_IbLb1EEEEDaS15_S16_EUlS15_E_NS1_11comp_targetILNS1_3genE4ELNS1_11target_archE910ELNS1_3gpuE8ELNS1_3repE0EEENS1_30default_config_static_selectorELNS0_4arch9wavefront6targetE1EEEvT1_
	.p2align	8
	.type	_ZN7rocprim17ROCPRIM_400000_NS6detail17trampoline_kernelINS0_14default_configENS1_25partition_config_selectorILNS1_17partition_subalgoE9EllbEEZZNS1_14partition_implILS5_9ELb0ES3_jPlS8_PNS0_10empty_typeENS0_5tupleIJS8_S9_EEENSB_IJS8_SA_EEENS0_18inequality_wrapperIZN2at6native12_GLOBAL__N_124unique_dim_cuda_templateIdEESt5tupleIJNSF_6TensorESK_SK_EERKSK_lbbbEUlllE0_EEPmJS9_EEE10hipError_tPvRmT3_T4_T5_T6_T7_T9_mT8_P12ihipStream_tbDpT10_ENKUlT_T0_E_clISt17integral_constantIbLb0EES19_IbLb1EEEEDaS15_S16_EUlS15_E_NS1_11comp_targetILNS1_3genE4ELNS1_11target_archE910ELNS1_3gpuE8ELNS1_3repE0EEENS1_30default_config_static_selectorELNS0_4arch9wavefront6targetE1EEEvT1_,@function
_ZN7rocprim17ROCPRIM_400000_NS6detail17trampoline_kernelINS0_14default_configENS1_25partition_config_selectorILNS1_17partition_subalgoE9EllbEEZZNS1_14partition_implILS5_9ELb0ES3_jPlS8_PNS0_10empty_typeENS0_5tupleIJS8_S9_EEENSB_IJS8_SA_EEENS0_18inequality_wrapperIZN2at6native12_GLOBAL__N_124unique_dim_cuda_templateIdEESt5tupleIJNSF_6TensorESK_SK_EERKSK_lbbbEUlllE0_EEPmJS9_EEE10hipError_tPvRmT3_T4_T5_T6_T7_T9_mT8_P12ihipStream_tbDpT10_ENKUlT_T0_E_clISt17integral_constantIbLb0EES19_IbLb1EEEEDaS15_S16_EUlS15_E_NS1_11comp_targetILNS1_3genE4ELNS1_11target_archE910ELNS1_3gpuE8ELNS1_3repE0EEENS1_30default_config_static_selectorELNS0_4arch9wavefront6targetE1EEEvT1_: ; @_ZN7rocprim17ROCPRIM_400000_NS6detail17trampoline_kernelINS0_14default_configENS1_25partition_config_selectorILNS1_17partition_subalgoE9EllbEEZZNS1_14partition_implILS5_9ELb0ES3_jPlS8_PNS0_10empty_typeENS0_5tupleIJS8_S9_EEENSB_IJS8_SA_EEENS0_18inequality_wrapperIZN2at6native12_GLOBAL__N_124unique_dim_cuda_templateIdEESt5tupleIJNSF_6TensorESK_SK_EERKSK_lbbbEUlllE0_EEPmJS9_EEE10hipError_tPvRmT3_T4_T5_T6_T7_T9_mT8_P12ihipStream_tbDpT10_ENKUlT_T0_E_clISt17integral_constantIbLb0EES19_IbLb1EEEEDaS15_S16_EUlS15_E_NS1_11comp_targetILNS1_3genE4ELNS1_11target_archE910ELNS1_3gpuE8ELNS1_3repE0EEENS1_30default_config_static_selectorELNS0_4arch9wavefront6targetE1EEEvT1_
; %bb.0:
	s_load_dwordx4 s[8:11], s[4:5], 0x8
	s_load_dwordx2 s[14:15], s[4:5], 0x18
	s_load_dwordx8 s[20:27], s[4:5], 0x40
	s_load_dwordx4 s[16:19], s[4:5], 0x60
	v_cmp_ne_u32_e64 s[2:3], 0, v0
	v_cmp_eq_u32_e64 s[0:1], 0, v0
	s_and_saveexec_b64 s[6:7], s[0:1]
	s_cbranch_execz .LBB865_4
; %bb.1:
	s_mov_b64 s[28:29], exec
	v_mbcnt_lo_u32_b32 v1, s28, 0
	v_mbcnt_hi_u32_b32 v1, s29, v1
	v_cmp_eq_u32_e32 vcc, 0, v1
                                        ; implicit-def: $vgpr2
	s_and_saveexec_b64 s[12:13], vcc
	s_cbranch_execz .LBB865_3
; %bb.2:
	s_load_dwordx2 s[30:31], s[4:5], 0x78
	s_bcnt1_i32_b64 s28, s[28:29]
	v_mov_b32_e32 v2, 0
	v_mov_b32_e32 v3, s28
	s_waitcnt lgkmcnt(0)
	global_atomic_add v2, v2, v3, s[30:31] glc
.LBB865_3:
	s_or_b64 exec, exec, s[12:13]
	s_waitcnt vmcnt(0)
	v_readfirstlane_b32 s12, v2
	v_add_u32_e32 v1, s12, v1
	v_mov_b32_e32 v2, 0
	ds_write_b32 v2, v1
.LBB865_4:
	s_or_b64 exec, exec, s[6:7]
	v_mov_b32_e32 v1, 0
	s_load_dwordx4 s[28:31], s[4:5], 0x28
	s_load_dword s6, s[4:5], 0x70
	s_waitcnt lgkmcnt(0)
	s_barrier
	ds_read_b32 v6, v1
	s_waitcnt lgkmcnt(0)
	s_barrier
	global_load_dwordx2 v[2:3], v1, s[22:23]
	s_lshl_b64 s[36:37], s[10:11], 3
	s_add_u32 s22, s8, s36
	s_addc_u32 s23, s9, s37
	s_add_i32 s12, s6, -1
	s_lshl_b32 s8, s6, 9
	s_lshl_b32 s6, s12, 9
	s_add_i32 s6, s10, s6
	v_readfirstlane_b32 s33, v6
	s_sub_i32 s48, s24, s6
	s_lshl_b32 s6, s33, 9
	s_add_u32 s8, s10, s8
	s_addc_u32 s9, s11, 0
	v_mov_b32_e32 v4, s24
	v_mov_b32_e32 v5, s25
	s_cmp_eq_u32 s33, s12
	v_cmp_ge_u64_e32 vcc, s[8:9], v[4:5]
	s_cselect_b64 s[24:25], -1, 0
	s_mov_b32 s7, 0
	s_and_b64 s[12:13], vcc, s[24:25]
	s_lshl_b64 s[8:9], s[6:7], 3
	s_xor_b64 s[34:35], s[12:13], -1
	s_add_u32 s6, s22, s8
	s_mov_b64 s[4:5], -1
	v_lshrrev_b32_e32 v18, 2, v0
	s_addc_u32 s7, s23, s9
	s_and_b64 vcc, exec, s[34:35]
	s_waitcnt vmcnt(0)
	v_readfirstlane_b32 s22, v2
	v_readfirstlane_b32 s23, v3
	s_cbranch_vccz .LBB865_6
; %bb.5:
	v_lshlrev_b32_e32 v1, 3, v0
	global_load_dwordx2 v[2:3], v1, s[6:7]
	global_load_dwordx2 v[4:5], v1, s[6:7] offset:1024
	global_load_dwordx2 v[6:7], v1, s[6:7] offset:2048
	;; [unrolled: 1-line block ×3, first 2 shown]
	v_or_b32_e32 v11, 0x80, v0
	v_or_b32_e32 v12, 0x100, v0
	;; [unrolled: 1-line block ×3, first 2 shown]
	v_and_b32_e32 v10, 24, v18
	v_lshrrev_b32_e32 v11, 2, v11
	v_lshrrev_b32_e32 v12, 2, v12
	;; [unrolled: 1-line block ×3, first 2 shown]
	v_add_u32_e32 v10, v10, v1
	v_and_b32_e32 v11, 56, v11
	v_and_b32_e32 v12, 0x58, v12
	;; [unrolled: 1-line block ×3, first 2 shown]
	v_add_u32_e32 v11, v11, v1
	v_add_u32_e32 v12, v12, v1
	;; [unrolled: 1-line block ×3, first 2 shown]
	s_mov_b64 s[4:5], 0
	s_waitcnt vmcnt(3)
	ds_write_b64 v10, v[2:3]
	s_waitcnt vmcnt(2)
	ds_write_b64 v11, v[4:5] offset:1024
	s_waitcnt vmcnt(1)
	ds_write_b64 v12, v[6:7] offset:2048
	;; [unrolled: 2-line block ×3, first 2 shown]
	s_waitcnt lgkmcnt(0)
	s_barrier
.LBB865_6:
	s_andn2_b64 vcc, exec, s[4:5]
	v_cmp_gt_u32_e64 s[4:5], s48, v0
	s_cbranch_vccnz .LBB865_16
; %bb.7:
                                        ; implicit-def: $vgpr2_vgpr3_vgpr4_vgpr5_vgpr6_vgpr7_vgpr8_vgpr9
	s_and_saveexec_b64 s[38:39], s[4:5]
	s_cbranch_execz .LBB865_9
; %bb.8:
	v_lshlrev_b32_e32 v1, 3, v0
	global_load_dwordx2 v[2:3], v1, s[6:7]
.LBB865_9:
	s_or_b64 exec, exec, s[38:39]
	v_or_b32_e32 v1, 0x80, v0
	v_cmp_gt_u32_e32 vcc, s48, v1
	s_and_saveexec_b64 s[4:5], vcc
	s_cbranch_execz .LBB865_11
; %bb.10:
	v_lshlrev_b32_e32 v4, 3, v0
	global_load_dwordx2 v[4:5], v4, s[6:7] offset:1024
.LBB865_11:
	s_or_b64 exec, exec, s[4:5]
	v_or_b32_e32 v10, 0x100, v0
	v_cmp_gt_u32_e32 vcc, s48, v10
	s_and_saveexec_b64 s[4:5], vcc
	s_cbranch_execz .LBB865_13
; %bb.12:
	v_lshlrev_b32_e32 v6, 3, v0
	global_load_dwordx2 v[6:7], v6, s[6:7] offset:2048
.LBB865_13:
	;; [unrolled: 9-line block ×3, first 2 shown]
	s_or_b64 exec, exec, s[4:5]
	v_lshrrev_b32_e32 v1, 2, v1
	v_lshlrev_b32_e32 v13, 3, v0
	v_and_b32_e32 v1, 56, v1
	v_add_u32_e32 v1, v1, v13
	s_waitcnt vmcnt(0)
	ds_write_b64 v1, v[4:5] offset:1024
	v_lshrrev_b32_e32 v1, 2, v10
	v_and_b32_e32 v1, 0x78, v1
	v_add_u32_e32 v1, v1, v13
	ds_write_b64 v1, v[6:7] offset:2048
	v_lshrrev_b32_e32 v1, 2, v11
	v_and_b32_e32 v12, 24, v18
	v_and_b32_e32 v1, 0x78, v1
	v_add_u32_e32 v12, v12, v13
	v_add_u32_e32 v1, v1, v13
	ds_write_b64 v12, v[2:3]
	ds_write_b64 v1, v[8:9] offset:3072
	s_waitcnt lgkmcnt(0)
	s_barrier
.LBB865_16:
	v_lshlrev_b32_e32 v1, 2, v0
	v_lshrrev_b32_e32 v2, 3, v0
	v_add_lshl_u32 v19, v2, v1, 3
	ds_read2_b64 v[14:17], v19 offset1:1
	ds_read2_b64 v[10:13], v19 offset0:2 offset1:3
	s_add_u32 s4, s14, s36
	s_addc_u32 s5, s15, s37
	s_add_u32 s4, s4, s8
	s_addc_u32 s5, s5, s9
	s_mov_b64 s[8:9], -1
	s_and_b64 vcc, exec, s[34:35]
	s_waitcnt lgkmcnt(0)
	s_barrier
	s_cbranch_vccz .LBB865_18
; %bb.17:
	v_lshlrev_b32_e32 v20, 3, v0
	global_load_dwordx2 v[2:3], v20, s[4:5]
	global_load_dwordx2 v[4:5], v20, s[4:5] offset:1024
	global_load_dwordx2 v[6:7], v20, s[4:5] offset:2048
	;; [unrolled: 1-line block ×3, first 2 shown]
	v_or_b32_e32 v22, 0x80, v0
	v_or_b32_e32 v23, 0x100, v0
	;; [unrolled: 1-line block ×3, first 2 shown]
	v_and_b32_e32 v21, 24, v18
	v_lshrrev_b32_e32 v22, 2, v22
	v_lshrrev_b32_e32 v23, 2, v23
	;; [unrolled: 1-line block ×3, first 2 shown]
	v_add_u32_e32 v21, v21, v20
	v_and_b32_e32 v22, 56, v22
	v_and_b32_e32 v23, 0x58, v23
	;; [unrolled: 1-line block ×3, first 2 shown]
	v_add_u32_e32 v22, v22, v20
	v_add_u32_e32 v23, v23, v20
	;; [unrolled: 1-line block ×3, first 2 shown]
	s_mov_b64 s[8:9], 0
	s_waitcnt vmcnt(3)
	ds_write_b64 v21, v[2:3]
	s_waitcnt vmcnt(2)
	ds_write_b64 v22, v[4:5] offset:1024
	s_waitcnt vmcnt(1)
	ds_write_b64 v23, v[6:7] offset:2048
	;; [unrolled: 2-line block ×3, first 2 shown]
	s_waitcnt lgkmcnt(0)
	s_barrier
.LBB865_18:
	s_andn2_b64 vcc, exec, s[8:9]
	s_cbranch_vccnz .LBB865_28
; %bb.19:
	v_cmp_gt_u32_e32 vcc, s48, v0
                                        ; implicit-def: $vgpr2_vgpr3
	s_and_saveexec_b64 s[8:9], vcc
	s_cbranch_execz .LBB865_21
; %bb.20:
	v_lshlrev_b32_e32 v2, 3, v0
	global_load_dwordx2 v[2:3], v2, s[4:5]
.LBB865_21:
	s_or_b64 exec, exec, s[8:9]
	v_or_b32_e32 v20, 0x80, v0
	v_cmp_gt_u32_e32 vcc, s48, v20
                                        ; implicit-def: $vgpr4_vgpr5
	s_and_saveexec_b64 s[8:9], vcc
	s_cbranch_execz .LBB865_23
; %bb.22:
	v_lshlrev_b32_e32 v4, 3, v0
	global_load_dwordx2 v[4:5], v4, s[4:5] offset:1024
.LBB865_23:
	s_or_b64 exec, exec, s[8:9]
	v_or_b32_e32 v21, 0x100, v0
	v_cmp_gt_u32_e32 vcc, s48, v21
                                        ; implicit-def: $vgpr6_vgpr7
	s_and_saveexec_b64 s[8:9], vcc
	s_cbranch_execz .LBB865_25
; %bb.24:
	v_lshlrev_b32_e32 v6, 3, v0
	global_load_dwordx2 v[6:7], v6, s[4:5] offset:2048
.LBB865_25:
	s_or_b64 exec, exec, s[8:9]
	v_or_b32_e32 v22, 0x180, v0
	v_cmp_gt_u32_e32 vcc, s48, v22
                                        ; implicit-def: $vgpr8_vgpr9
	s_and_saveexec_b64 s[8:9], vcc
	s_cbranch_execz .LBB865_27
; %bb.26:
	v_lshlrev_b32_e32 v8, 3, v0
	global_load_dwordx2 v[8:9], v8, s[4:5] offset:3072
.LBB865_27:
	s_or_b64 exec, exec, s[8:9]
	v_and_b32_e32 v18, 24, v18
	v_lshlrev_b32_e32 v23, 3, v0
	v_add_u32_e32 v18, v18, v23
	s_waitcnt vmcnt(0)
	ds_write_b64 v18, v[2:3]
	v_lshrrev_b32_e32 v2, 2, v20
	v_and_b32_e32 v2, 56, v2
	v_add_u32_e32 v2, v2, v23
	ds_write_b64 v2, v[4:5] offset:1024
	v_lshrrev_b32_e32 v2, 2, v21
	v_and_b32_e32 v2, 0x78, v2
	v_add_u32_e32 v2, v2, v23
	ds_write_b64 v2, v[6:7] offset:2048
	;; [unrolled: 4-line block ×3, first 2 shown]
	s_waitcnt lgkmcnt(0)
	s_barrier
.LBB865_28:
	ds_read2_b64 v[6:9], v19 offset1:1
	ds_read2_b64 v[2:5], v19 offset0:2 offset1:3
	s_cmp_lg_u32 s33, 0
	s_cselect_b64 s[36:37], -1, 0
	s_cmp_lg_u64 s[10:11], 0
	s_cselect_b64 s[4:5], -1, 0
	s_or_b64 s[4:5], s[4:5], s[36:37]
	s_mov_b64 s[14:15], 0
	s_and_b64 vcc, exec, s[4:5]
	v_cmp_gt_i64_e64 s[4:5], s[26:27], 0
	s_waitcnt lgkmcnt(0)
	s_barrier
	s_cbranch_vccz .LBB865_37
; %bb.29:
	v_mov_b32_e32 v18, 0
	global_load_dwordx2 v[18:19], v18, s[6:7] offset:-8
	v_cndmask_b32_e64 v20, 0, 1, s[4:5]
	v_lshlrev_b32_e32 v29, 3, v0
	s_mov_b64 s[10:11], 0
	s_and_b64 vcc, exec, s[34:35]
	v_cmp_ne_u32_e64 s[4:5], 1, v20
	ds_write_b64 v29, v[12:13]
	s_cbranch_vccz .LBB865_38
; %bb.30:
	v_mul_lo_u32 v22, v11, s26
	v_mul_lo_u32 v23, v10, s27
	v_mad_u64_u32 v[20:21], s[6:7], v10, s26, 0
	v_add3_u32 v21, v21, v23, v22
	s_and_b64 vcc, exec, s[4:5]
	v_lshlrev_b64 v[20:21], 3, v[20:21]
	s_cbranch_vccnz .LBB865_41
; %bb.31:
	v_mul_lo_u32 v24, v13, s26
	v_mul_lo_u32 v25, v12, s27
	v_mad_u64_u32 v[22:23], s[6:7], v12, s26, 0
	v_add3_u32 v23, v23, v25, v24
	v_mov_b32_e32 v25, s17
	v_add_co_u32_e32 v24, vcc, s16, v20
	v_addc_co_u32_e64 v25, s[6:7], v25, v21, vcc
	v_lshlrev_b64 v[22:23], 3, v[22:23]
	v_mov_b32_e32 v27, s17
	v_add_co_u32_e64 v26, s[6:7], s16, v22
	v_addc_co_u32_e64 v27, s[8:9], v27, v23, s[6:7]
	global_load_dwordx2 v[30:31], v[24:25], off
	global_load_dwordx2 v[32:33], v[26:27], off
	s_mov_b64 s[10:11], -1
	s_waitcnt vmcnt(0)
	v_cmp_eq_f64_e64 s[8:9], v[30:31], v[32:33]
	s_and_saveexec_b64 s[14:15], s[8:9]
	s_cbranch_execz .LBB865_40
; %bb.32:
	v_mov_b32_e32 v22, s17
	v_addc_co_u32_e64 v23, s[6:7], v23, v22, s[6:7]
	v_add_co_u32_e64 v22, s[6:7], 8, v26
	v_mov_b32_e32 v25, s17
	v_addc_co_u32_e64 v23, s[6:7], 0, v23, s[6:7]
	v_addc_co_u32_e32 v25, vcc, v21, v25, vcc
	v_add_co_u32_e32 v24, vcc, 8, v24
	s_add_u32 s6, s26, -1
	v_addc_co_u32_e32 v25, vcc, 0, v25, vcc
	s_addc_u32 s7, s27, -1
	s_mov_b64 s[8:9], 0
	s_mov_b64 s[38:39], 0
                                        ; implicit-def: $sgpr10_sgpr11
	s_branch .LBB865_35
.LBB865_33:                             ;   in Loop: Header=BB865_35 Depth=1
	global_load_dwordx2 v[26:27], v[24:25], off
	global_load_dwordx2 v[30:31], v[22:23], off
	v_add_co_u32_e32 v22, vcc, 8, v22
	v_addc_co_u32_e32 v23, vcc, 0, v23, vcc
	v_add_co_u32_e32 v24, vcc, 8, v24
	v_addc_co_u32_e32 v25, vcc, 0, v25, vcc
	s_add_u32 s38, s38, 1
	s_addc_u32 s39, s39, 0
	s_andn2_b64 s[10:11], s[10:11], exec
	s_waitcnt vmcnt(0)
	v_cmp_neq_f64_e32 vcc, v[26:27], v[30:31]
	s_and_b64 s[40:41], vcc, exec
	s_or_b64 s[10:11], s[10:11], s[40:41]
.LBB865_34:                             ;   in Loop: Header=BB865_35 Depth=1
	s_and_b64 s[40:41], exec, s[10:11]
	s_or_b64 s[8:9], s[40:41], s[8:9]
	v_pk_mov_b32 v[26:27], s[38:39], s[38:39] op_sel:[0,1]
	s_andn2_b64 exec, exec, s[8:9]
	s_cbranch_execz .LBB865_39
.LBB865_35:                             ; =>This Inner Loop Header: Depth=1
	s_or_b64 s[10:11], s[10:11], exec
	s_cmp_eq_u64 s[6:7], s[38:39]
	s_cbranch_scc0 .LBB865_33
; %bb.36:                               ;   in Loop: Header=BB865_35 Depth=1
                                        ; implicit-def: $vgpr22_vgpr23
                                        ; implicit-def: $vgpr24_vgpr25
	s_mov_b64 s[38:39], s[26:27]
	s_branch .LBB865_34
.LBB865_37:
                                        ; implicit-def: $sgpr38_sgpr39
                                        ; implicit-def: $vgpr28
	s_branch .LBB865_119
.LBB865_38:
                                        ; implicit-def: $sgpr38_sgpr39
                                        ; implicit-def: $vgpr28
	s_cbranch_execnz .LBB865_71
	s_branch .LBB865_118
.LBB865_39:
	s_or_b64 exec, exec, s[8:9]
	v_cmp_gt_i64_e32 vcc, s[26:27], v[26:27]
	s_orn2_b64 s[10:11], vcc, exec
.LBB865_40:
	s_or_b64 exec, exec, s[14:15]
.LBB865_41:
	v_mul_lo_u32 v24, v17, s26
	v_mul_lo_u32 v25, v16, s27
	v_mad_u64_u32 v[22:23], s[6:7], v16, s26, 0
	v_add3_u32 v23, v23, v25, v24
	s_mov_b64 s[14:15], 0
	s_and_b64 vcc, exec, s[4:5]
	v_lshlrev_b64 v[22:23], 3, v[22:23]
	s_mov_b64 s[38:39], 0
	s_cbranch_vccnz .LBB865_50
; %bb.42:
	v_mov_b32_e32 v25, s17
	v_add_co_u32_e32 v24, vcc, s16, v22
	v_addc_co_u32_e64 v25, s[6:7], v25, v23, vcc
	v_mov_b32_e32 v27, s17
	v_add_co_u32_e64 v26, s[6:7], s16, v20
	v_addc_co_u32_e64 v27, s[8:9], v27, v21, s[6:7]
	global_load_dwordx2 v[30:31], v[24:25], off
	global_load_dwordx2 v[32:33], v[26:27], off
	s_mov_b64 s[38:39], -1
	s_waitcnt vmcnt(0)
	v_cmp_eq_f64_e64 s[8:9], v[30:31], v[32:33]
	s_and_saveexec_b64 s[40:41], s[8:9]
	s_cbranch_execz .LBB865_49
; %bb.43:
	v_mov_b32_e32 v20, s17
	v_addc_co_u32_e64 v21, s[6:7], v21, v20, s[6:7]
	v_add_co_u32_e64 v20, s[6:7], 8, v26
	v_mov_b32_e32 v25, s17
	v_addc_co_u32_e64 v21, s[6:7], 0, v21, s[6:7]
	v_addc_co_u32_e32 v25, vcc, v23, v25, vcc
	v_add_co_u32_e32 v24, vcc, 8, v24
	s_add_u32 s6, s26, -1
	v_addc_co_u32_e32 v25, vcc, 0, v25, vcc
	s_addc_u32 s7, s27, -1
	s_mov_b64 s[8:9], 0
	s_mov_b64 s[42:43], 0
                                        ; implicit-def: $sgpr38_sgpr39
	s_branch .LBB865_46
.LBB865_44:                             ;   in Loop: Header=BB865_46 Depth=1
	global_load_dwordx2 v[26:27], v[24:25], off
	global_load_dwordx2 v[30:31], v[20:21], off
	v_add_co_u32_e32 v20, vcc, 8, v20
	v_addc_co_u32_e32 v21, vcc, 0, v21, vcc
	v_add_co_u32_e32 v24, vcc, 8, v24
	v_addc_co_u32_e32 v25, vcc, 0, v25, vcc
	s_add_u32 s42, s42, 1
	s_addc_u32 s43, s43, 0
	s_andn2_b64 s[38:39], s[38:39], exec
	s_waitcnt vmcnt(0)
	v_cmp_neq_f64_e32 vcc, v[26:27], v[30:31]
	s_and_b64 s[44:45], vcc, exec
	s_or_b64 s[38:39], s[38:39], s[44:45]
.LBB865_45:                             ;   in Loop: Header=BB865_46 Depth=1
	s_and_b64 s[44:45], exec, s[38:39]
	s_or_b64 s[8:9], s[44:45], s[8:9]
	v_pk_mov_b32 v[26:27], s[42:43], s[42:43] op_sel:[0,1]
	s_andn2_b64 exec, exec, s[8:9]
	s_cbranch_execz .LBB865_48
.LBB865_46:                             ; =>This Inner Loop Header: Depth=1
	s_or_b64 s[38:39], s[38:39], exec
	s_cmp_eq_u64 s[6:7], s[42:43]
	s_cbranch_scc0 .LBB865_44
; %bb.47:                               ;   in Loop: Header=BB865_46 Depth=1
                                        ; implicit-def: $vgpr20_vgpr21
                                        ; implicit-def: $vgpr24_vgpr25
	s_mov_b64 s[42:43], s[26:27]
	s_branch .LBB865_45
.LBB865_48:
	s_or_b64 exec, exec, s[8:9]
	v_cmp_gt_i64_e32 vcc, s[26:27], v[26:27]
	s_orn2_b64 s[38:39], vcc, exec
.LBB865_49:
	s_or_b64 exec, exec, s[40:41]
.LBB865_50:
	v_mul_lo_u32 v24, v15, s26
	v_mul_lo_u32 v25, v14, s27
	v_mad_u64_u32 v[20:21], s[6:7], v14, s26, 0
	v_add3_u32 v21, v21, v25, v24
	s_and_b64 vcc, exec, s[4:5]
	v_lshlrev_b64 v[20:21], 3, v[20:21]
	s_cbranch_vccnz .LBB865_59
; %bb.51:
	v_mov_b32_e32 v25, s17
	v_add_co_u32_e32 v24, vcc, s16, v20
	v_addc_co_u32_e64 v25, s[6:7], v25, v21, vcc
	v_mov_b32_e32 v27, s17
	v_add_co_u32_e64 v26, s[6:7], s16, v22
	v_addc_co_u32_e64 v27, s[8:9], v27, v23, s[6:7]
	global_load_dwordx2 v[30:31], v[24:25], off
	global_load_dwordx2 v[32:33], v[26:27], off
	s_mov_b64 s[14:15], -1
	s_waitcnt vmcnt(0)
	v_cmp_eq_f64_e64 s[8:9], v[30:31], v[32:33]
	s_and_saveexec_b64 s[40:41], s[8:9]
	s_cbranch_execz .LBB865_58
; %bb.52:
	v_mov_b32_e32 v22, s17
	v_addc_co_u32_e64 v23, s[6:7], v23, v22, s[6:7]
	v_add_co_u32_e64 v22, s[6:7], 8, v26
	v_mov_b32_e32 v25, s17
	v_addc_co_u32_e64 v23, s[6:7], 0, v23, s[6:7]
	v_addc_co_u32_e32 v25, vcc, v21, v25, vcc
	v_add_co_u32_e32 v24, vcc, 8, v24
	s_add_u32 s6, s26, -1
	v_addc_co_u32_e32 v25, vcc, 0, v25, vcc
	s_addc_u32 s7, s27, -1
	s_mov_b64 s[8:9], 0
	s_mov_b64 s[42:43], 0
                                        ; implicit-def: $sgpr14_sgpr15
	s_branch .LBB865_55
.LBB865_53:                             ;   in Loop: Header=BB865_55 Depth=1
	global_load_dwordx2 v[26:27], v[24:25], off
	global_load_dwordx2 v[30:31], v[22:23], off
	v_add_co_u32_e32 v22, vcc, 8, v22
	v_addc_co_u32_e32 v23, vcc, 0, v23, vcc
	v_add_co_u32_e32 v24, vcc, 8, v24
	v_addc_co_u32_e32 v25, vcc, 0, v25, vcc
	s_add_u32 s42, s42, 1
	s_addc_u32 s43, s43, 0
	s_andn2_b64 s[14:15], s[14:15], exec
	s_waitcnt vmcnt(0)
	v_cmp_neq_f64_e32 vcc, v[26:27], v[30:31]
	s_and_b64 s[44:45], vcc, exec
	s_or_b64 s[14:15], s[14:15], s[44:45]
.LBB865_54:                             ;   in Loop: Header=BB865_55 Depth=1
	s_and_b64 s[44:45], exec, s[14:15]
	s_or_b64 s[8:9], s[44:45], s[8:9]
	v_pk_mov_b32 v[26:27], s[42:43], s[42:43] op_sel:[0,1]
	s_andn2_b64 exec, exec, s[8:9]
	s_cbranch_execz .LBB865_57
.LBB865_55:                             ; =>This Inner Loop Header: Depth=1
	s_or_b64 s[14:15], s[14:15], exec
	s_cmp_eq_u64 s[6:7], s[42:43]
	s_cbranch_scc0 .LBB865_53
; %bb.56:                               ;   in Loop: Header=BB865_55 Depth=1
                                        ; implicit-def: $vgpr22_vgpr23
                                        ; implicit-def: $vgpr24_vgpr25
	s_mov_b64 s[42:43], s[26:27]
	s_branch .LBB865_54
.LBB865_57:
	s_or_b64 exec, exec, s[8:9]
	v_cmp_gt_i64_e32 vcc, s[26:27], v[26:27]
	s_orn2_b64 s[14:15], vcc, exec
.LBB865_58:
	s_or_b64 exec, exec, s[40:41]
.LBB865_59:
	s_waitcnt vmcnt(0)
	v_pk_mov_b32 v[22:23], v[18:19], v[18:19] op_sel:[0,1]
	s_waitcnt lgkmcnt(0)
	s_barrier
	s_and_saveexec_b64 s[6:7], s[2:3]
	s_cbranch_execz .LBB865_61
; %bb.60:
	v_add_u32_e32 v22, -8, v29
	ds_read_b64 v[22:23], v22
.LBB865_61:
	s_or_b64 exec, exec, s[6:7]
	v_cndmask_b32_e64 v25, 0, 1, s[10:11]
	v_cndmask_b32_e64 v24, 0, 1, s[38:39]
	v_cndmask_b32_e64 v26, 0, 1, s[14:15]
	v_lshlrev_b16_e32 v25, 8, v25
	v_lshlrev_b16_e32 v28, 8, v26
	v_or_b32_sdwa v30, v24, v25 dst_sel:WORD_1 dst_unused:UNUSED_PAD src0_sel:DWORD src1_sel:DWORD
	s_mov_b64 s[10:11], 0
	s_and_b64 vcc, exec, s[4:5]
	s_mov_b64 s[38:39], 0
	s_cbranch_vccnz .LBB865_70
; %bb.62:
	s_waitcnt lgkmcnt(0)
	v_mul_lo_u32 v24, v23, s26
	v_mul_lo_u32 v25, v22, s27
	v_mad_u64_u32 v[22:23], s[6:7], v22, s26, 0
	v_add3_u32 v23, v23, v25, v24
	v_lshlrev_b64 v[22:23], 3, v[22:23]
	v_mov_b32_e32 v25, s17
	v_add_co_u32_e32 v24, vcc, s16, v22
	v_addc_co_u32_e64 v25, s[6:7], v25, v23, vcc
	v_mov_b32_e32 v22, s17
	v_add_co_u32_e64 v26, s[6:7], s16, v20
	v_addc_co_u32_e64 v27, s[8:9], v22, v21, s[6:7]
	global_load_dwordx2 v[32:33], v[24:25], off
	global_load_dwordx2 v[34:35], v[26:27], off
	s_mov_b64 s[38:39], -1
	s_waitcnt vmcnt(0)
	v_cmp_eq_f64_e64 s[8:9], v[32:33], v[34:35]
	s_and_saveexec_b64 s[14:15], s[8:9]
	s_cbranch_execz .LBB865_69
; %bb.63:
	v_mov_b32_e32 v20, s17
	v_addc_co_u32_e64 v21, s[6:7], v21, v20, s[6:7]
	v_add_co_u32_e64 v20, s[6:7], 8, v26
	v_mov_b32_e32 v22, s17
	v_addc_co_u32_e64 v21, s[6:7], 0, v21, s[6:7]
	v_addc_co_u32_e32 v23, vcc, v23, v22, vcc
	v_add_co_u32_e32 v22, vcc, 8, v24
	s_add_u32 s6, s26, -1
	v_addc_co_u32_e32 v23, vcc, 0, v23, vcc
	s_addc_u32 s7, s27, -1
	s_mov_b64 s[8:9], 0
	s_mov_b64 s[40:41], 0
                                        ; implicit-def: $sgpr38_sgpr39
	s_branch .LBB865_66
.LBB865_64:                             ;   in Loop: Header=BB865_66 Depth=1
	global_load_dwordx2 v[24:25], v[22:23], off
	global_load_dwordx2 v[26:27], v[20:21], off
	v_add_co_u32_e32 v20, vcc, 8, v20
	v_addc_co_u32_e32 v21, vcc, 0, v21, vcc
	v_add_co_u32_e32 v22, vcc, 8, v22
	v_addc_co_u32_e32 v23, vcc, 0, v23, vcc
	s_add_u32 s40, s40, 1
	s_addc_u32 s41, s41, 0
	s_andn2_b64 s[38:39], s[38:39], exec
	s_waitcnt vmcnt(0)
	v_cmp_neq_f64_e32 vcc, v[24:25], v[26:27]
	s_and_b64 s[42:43], vcc, exec
	s_or_b64 s[38:39], s[38:39], s[42:43]
.LBB865_65:                             ;   in Loop: Header=BB865_66 Depth=1
	s_and_b64 s[42:43], exec, s[38:39]
	s_or_b64 s[8:9], s[42:43], s[8:9]
	v_pk_mov_b32 v[24:25], s[40:41], s[40:41] op_sel:[0,1]
	s_andn2_b64 exec, exec, s[8:9]
	s_cbranch_execz .LBB865_68
.LBB865_66:                             ; =>This Inner Loop Header: Depth=1
	s_or_b64 s[38:39], s[38:39], exec
	s_cmp_eq_u64 s[6:7], s[40:41]
	s_cbranch_scc0 .LBB865_64
; %bb.67:                               ;   in Loop: Header=BB865_66 Depth=1
                                        ; implicit-def: $vgpr20_vgpr21
                                        ; implicit-def: $vgpr22_vgpr23
	s_mov_b64 s[40:41], s[26:27]
	s_branch .LBB865_65
.LBB865_68:
	s_or_b64 exec, exec, s[8:9]
	v_cmp_gt_i64_e32 vcc, s[26:27], v[24:25]
	s_orn2_b64 s[38:39], vcc, exec
.LBB865_69:
	s_or_b64 exec, exec, s[14:15]
.LBB865_70:
	v_or_b32_e32 v28, v28, v30
	s_and_b64 vcc, exec, s[10:11]
	s_cbranch_vccz .LBB865_118
.LBB865_71:
	v_or_b32_e32 v20, 3, v1
	v_cmp_gt_u32_e32 vcc, s48, v20
	s_mov_b64 s[14:15], 0
	s_mov_b64 s[10:11], 0
	s_and_saveexec_b64 s[38:39], vcc
	s_cbranch_execz .LBB865_82
; %bb.72:
	s_and_b64 vcc, exec, s[4:5]
	s_mov_b64 s[40:41], 0
	s_cbranch_vccnz .LBB865_81
; %bb.73:
	s_waitcnt lgkmcnt(0)
	v_mul_lo_u32 v22, v11, s26
	v_mul_lo_u32 v23, v10, s27
	v_mad_u64_u32 v[20:21], s[6:7], v10, s26, 0
	v_add3_u32 v21, v21, v23, v22
	v_mul_lo_u32 v22, v13, s26
	v_mul_lo_u32 v23, v12, s27
	v_mad_u64_u32 v[26:27], s[6:7], v12, s26, 0
	v_add3_u32 v27, v27, v23, v22
	v_lshlrev_b64 v[22:23], 3, v[20:21]
	v_mov_b32_e32 v20, s17
	v_add_co_u32_e32 v24, vcc, s16, v22
	v_addc_co_u32_e64 v25, s[6:7], v20, v23, vcc
	v_lshlrev_b64 v[20:21], 3, v[26:27]
	v_mov_b32_e32 v22, s17
	v_add_co_u32_e64 v26, s[6:7], s16, v20
	v_addc_co_u32_e64 v27, s[8:9], v22, v21, s[6:7]
	global_load_dwordx2 v[30:31], v[24:25], off
	global_load_dwordx2 v[32:33], v[26:27], off
	s_mov_b64 s[40:41], -1
	s_waitcnt vmcnt(0)
	v_cmp_eq_f64_e64 s[8:9], v[30:31], v[32:33]
	s_and_saveexec_b64 s[10:11], s[8:9]
	s_cbranch_execz .LBB865_80
; %bb.74:
	v_mov_b32_e32 v20, s17
	v_addc_co_u32_e64 v21, s[6:7], v21, v20, s[6:7]
	v_add_co_u32_e64 v20, s[6:7], 8, v26
	v_mov_b32_e32 v22, s17
	v_addc_co_u32_e64 v21, s[6:7], 0, v21, s[6:7]
	v_addc_co_u32_e32 v23, vcc, v23, v22, vcc
	v_add_co_u32_e32 v22, vcc, 8, v24
	s_add_u32 s6, s26, -1
	v_addc_co_u32_e32 v23, vcc, 0, v23, vcc
	s_addc_u32 s7, s27, -1
	s_mov_b64 s[8:9], 0
	s_mov_b64 s[42:43], 0
                                        ; implicit-def: $sgpr40_sgpr41
	s_branch .LBB865_77
.LBB865_75:                             ;   in Loop: Header=BB865_77 Depth=1
	global_load_dwordx2 v[24:25], v[22:23], off
	global_load_dwordx2 v[26:27], v[20:21], off
	v_add_co_u32_e32 v20, vcc, 8, v20
	v_addc_co_u32_e32 v21, vcc, 0, v21, vcc
	v_add_co_u32_e32 v22, vcc, 8, v22
	v_addc_co_u32_e32 v23, vcc, 0, v23, vcc
	s_add_u32 s42, s42, 1
	s_addc_u32 s43, s43, 0
	s_andn2_b64 s[40:41], s[40:41], exec
	s_waitcnt vmcnt(0)
	v_cmp_neq_f64_e32 vcc, v[24:25], v[26:27]
	s_and_b64 s[44:45], vcc, exec
	s_or_b64 s[40:41], s[40:41], s[44:45]
.LBB865_76:                             ;   in Loop: Header=BB865_77 Depth=1
	s_and_b64 s[44:45], exec, s[40:41]
	s_or_b64 s[8:9], s[44:45], s[8:9]
	v_pk_mov_b32 v[24:25], s[42:43], s[42:43] op_sel:[0,1]
	s_andn2_b64 exec, exec, s[8:9]
	s_cbranch_execz .LBB865_79
.LBB865_77:                             ; =>This Inner Loop Header: Depth=1
	s_or_b64 s[40:41], s[40:41], exec
	s_cmp_eq_u64 s[6:7], s[42:43]
	s_cbranch_scc0 .LBB865_75
; %bb.78:                               ;   in Loop: Header=BB865_77 Depth=1
                                        ; implicit-def: $vgpr20_vgpr21
                                        ; implicit-def: $vgpr22_vgpr23
	s_mov_b64 s[42:43], s[26:27]
	s_branch .LBB865_76
.LBB865_79:
	s_or_b64 exec, exec, s[8:9]
	v_cmp_gt_i64_e32 vcc, s[26:27], v[24:25]
	s_orn2_b64 s[40:41], vcc, exec
.LBB865_80:
	s_or_b64 exec, exec, s[10:11]
.LBB865_81:
	s_and_b64 s[10:11], s[40:41], exec
.LBB865_82:
	s_or_b64 exec, exec, s[38:39]
	v_or_b32_e32 v20, 2, v1
	v_cmp_gt_u32_e32 vcc, s48, v20
	s_and_saveexec_b64 s[38:39], vcc
	s_cbranch_execz .LBB865_93
; %bb.83:
	s_and_b64 vcc, exec, s[4:5]
	s_mov_b64 s[40:41], 0
	s_cbranch_vccnz .LBB865_92
; %bb.84:
	s_waitcnt lgkmcnt(0)
	v_mul_lo_u32 v22, v17, s26
	v_mul_lo_u32 v23, v16, s27
	v_mad_u64_u32 v[20:21], s[6:7], v16, s26, 0
	v_add3_u32 v21, v21, v23, v22
	v_mul_lo_u32 v22, v11, s26
	v_mul_lo_u32 v23, v10, s27
	v_mad_u64_u32 v[26:27], s[6:7], v10, s26, 0
	v_add3_u32 v27, v27, v23, v22
	v_lshlrev_b64 v[22:23], 3, v[20:21]
	v_mov_b32_e32 v20, s17
	v_add_co_u32_e32 v24, vcc, s16, v22
	v_addc_co_u32_e64 v25, s[6:7], v20, v23, vcc
	v_lshlrev_b64 v[20:21], 3, v[26:27]
	v_mov_b32_e32 v22, s17
	v_add_co_u32_e64 v26, s[6:7], s16, v20
	v_addc_co_u32_e64 v27, s[8:9], v22, v21, s[6:7]
	global_load_dwordx2 v[30:31], v[24:25], off
	global_load_dwordx2 v[32:33], v[26:27], off
	s_mov_b64 s[40:41], -1
	s_waitcnt vmcnt(0)
	v_cmp_eq_f64_e64 s[8:9], v[30:31], v[32:33]
	s_and_saveexec_b64 s[14:15], s[8:9]
	s_cbranch_execz .LBB865_91
; %bb.85:
	v_mov_b32_e32 v20, s17
	v_addc_co_u32_e64 v21, s[6:7], v21, v20, s[6:7]
	v_add_co_u32_e64 v20, s[6:7], 8, v26
	v_mov_b32_e32 v22, s17
	v_addc_co_u32_e64 v21, s[6:7], 0, v21, s[6:7]
	v_addc_co_u32_e32 v23, vcc, v23, v22, vcc
	v_add_co_u32_e32 v22, vcc, 8, v24
	s_add_u32 s6, s26, -1
	v_addc_co_u32_e32 v23, vcc, 0, v23, vcc
	s_addc_u32 s7, s27, -1
	s_mov_b64 s[8:9], 0
	s_mov_b64 s[42:43], 0
                                        ; implicit-def: $sgpr40_sgpr41
	s_branch .LBB865_88
.LBB865_86:                             ;   in Loop: Header=BB865_88 Depth=1
	global_load_dwordx2 v[24:25], v[22:23], off
	global_load_dwordx2 v[26:27], v[20:21], off
	v_add_co_u32_e32 v20, vcc, 8, v20
	v_addc_co_u32_e32 v21, vcc, 0, v21, vcc
	v_add_co_u32_e32 v22, vcc, 8, v22
	v_addc_co_u32_e32 v23, vcc, 0, v23, vcc
	s_add_u32 s42, s42, 1
	s_addc_u32 s43, s43, 0
	s_andn2_b64 s[40:41], s[40:41], exec
	s_waitcnt vmcnt(0)
	v_cmp_neq_f64_e32 vcc, v[24:25], v[26:27]
	s_and_b64 s[44:45], vcc, exec
	s_or_b64 s[40:41], s[40:41], s[44:45]
.LBB865_87:                             ;   in Loop: Header=BB865_88 Depth=1
	s_and_b64 s[44:45], exec, s[40:41]
	s_or_b64 s[8:9], s[44:45], s[8:9]
	v_pk_mov_b32 v[24:25], s[42:43], s[42:43] op_sel:[0,1]
	s_andn2_b64 exec, exec, s[8:9]
	s_cbranch_execz .LBB865_90
.LBB865_88:                             ; =>This Inner Loop Header: Depth=1
	s_or_b64 s[40:41], s[40:41], exec
	s_cmp_eq_u64 s[6:7], s[42:43]
	s_cbranch_scc0 .LBB865_86
; %bb.89:                               ;   in Loop: Header=BB865_88 Depth=1
                                        ; implicit-def: $vgpr20_vgpr21
                                        ; implicit-def: $vgpr22_vgpr23
	s_mov_b64 s[42:43], s[26:27]
	s_branch .LBB865_87
.LBB865_90:
	s_or_b64 exec, exec, s[8:9]
	v_cmp_gt_i64_e32 vcc, s[26:27], v[24:25]
	s_orn2_b64 s[40:41], vcc, exec
.LBB865_91:
	s_or_b64 exec, exec, s[14:15]
.LBB865_92:
	s_and_b64 s[14:15], s[40:41], exec
.LBB865_93:
	s_or_b64 exec, exec, s[38:39]
	v_or_b32_e32 v20, 1, v1
	v_cmp_gt_u32_e32 vcc, s48, v20
	s_mov_b64 s[6:7], 0
	s_and_saveexec_b64 s[38:39], vcc
	s_cbranch_execz .LBB865_104
; %bb.94:
	s_and_b64 vcc, exec, s[4:5]
	s_mov_b64 s[42:43], 0
	s_cbranch_vccnz .LBB865_103
; %bb.95:
	s_waitcnt lgkmcnt(0)
	v_mul_lo_u32 v22, v15, s26
	v_mul_lo_u32 v23, v14, s27
	v_mad_u64_u32 v[20:21], s[6:7], v14, s26, 0
	v_add3_u32 v21, v21, v23, v22
	v_mul_lo_u32 v22, v17, s26
	v_mul_lo_u32 v23, v16, s27
	v_mad_u64_u32 v[26:27], s[6:7], v16, s26, 0
	v_add3_u32 v27, v27, v23, v22
	v_lshlrev_b64 v[22:23], 3, v[20:21]
	v_mov_b32_e32 v20, s17
	v_add_co_u32_e32 v24, vcc, s16, v22
	v_addc_co_u32_e64 v25, s[6:7], v20, v23, vcc
	v_lshlrev_b64 v[20:21], 3, v[26:27]
	v_mov_b32_e32 v22, s17
	v_add_co_u32_e64 v26, s[6:7], s16, v20
	v_addc_co_u32_e64 v27, s[8:9], v22, v21, s[6:7]
	global_load_dwordx2 v[30:31], v[24:25], off
	global_load_dwordx2 v[32:33], v[26:27], off
	s_mov_b64 s[42:43], -1
	s_waitcnt vmcnt(0)
	v_cmp_eq_f64_e64 s[8:9], v[30:31], v[32:33]
	s_and_saveexec_b64 s[40:41], s[8:9]
	s_cbranch_execz .LBB865_102
; %bb.96:
	v_mov_b32_e32 v20, s17
	v_addc_co_u32_e64 v21, s[6:7], v21, v20, s[6:7]
	v_add_co_u32_e64 v20, s[6:7], 8, v26
	v_mov_b32_e32 v22, s17
	v_addc_co_u32_e64 v21, s[6:7], 0, v21, s[6:7]
	v_addc_co_u32_e32 v23, vcc, v23, v22, vcc
	v_add_co_u32_e32 v22, vcc, 8, v24
	s_add_u32 s6, s26, -1
	v_addc_co_u32_e32 v23, vcc, 0, v23, vcc
	s_addc_u32 s7, s27, -1
	s_mov_b64 s[8:9], 0
	s_mov_b64 s[44:45], 0
                                        ; implicit-def: $sgpr42_sgpr43
	s_branch .LBB865_99
.LBB865_97:                             ;   in Loop: Header=BB865_99 Depth=1
	global_load_dwordx2 v[24:25], v[22:23], off
	global_load_dwordx2 v[26:27], v[20:21], off
	v_add_co_u32_e32 v20, vcc, 8, v20
	v_addc_co_u32_e32 v21, vcc, 0, v21, vcc
	v_add_co_u32_e32 v22, vcc, 8, v22
	v_addc_co_u32_e32 v23, vcc, 0, v23, vcc
	s_add_u32 s44, s44, 1
	s_addc_u32 s45, s45, 0
	s_andn2_b64 s[42:43], s[42:43], exec
	s_waitcnt vmcnt(0)
	v_cmp_neq_f64_e32 vcc, v[24:25], v[26:27]
	s_and_b64 s[46:47], vcc, exec
	s_or_b64 s[42:43], s[42:43], s[46:47]
.LBB865_98:                             ;   in Loop: Header=BB865_99 Depth=1
	s_and_b64 s[46:47], exec, s[42:43]
	s_or_b64 s[8:9], s[46:47], s[8:9]
	v_pk_mov_b32 v[24:25], s[44:45], s[44:45] op_sel:[0,1]
	s_andn2_b64 exec, exec, s[8:9]
	s_cbranch_execz .LBB865_101
.LBB865_99:                             ; =>This Inner Loop Header: Depth=1
	s_or_b64 s[42:43], s[42:43], exec
	s_cmp_eq_u64 s[6:7], s[44:45]
	s_cbranch_scc0 .LBB865_97
; %bb.100:                              ;   in Loop: Header=BB865_99 Depth=1
                                        ; implicit-def: $vgpr20_vgpr21
                                        ; implicit-def: $vgpr22_vgpr23
	s_mov_b64 s[44:45], s[26:27]
	s_branch .LBB865_98
.LBB865_101:
	s_or_b64 exec, exec, s[8:9]
	v_cmp_gt_i64_e32 vcc, s[26:27], v[24:25]
	s_orn2_b64 s[42:43], vcc, exec
.LBB865_102:
	s_or_b64 exec, exec, s[40:41]
.LBB865_103:
	s_and_b64 s[6:7], s[42:43], exec
.LBB865_104:
	s_or_b64 exec, exec, s[38:39]
	s_waitcnt lgkmcnt(0)
	s_barrier
	s_and_saveexec_b64 s[8:9], s[2:3]
	s_cbranch_execz .LBB865_106
; %bb.105:
	s_waitcnt vmcnt(0)
	v_add_u32_e32 v18, -8, v29
	ds_read_b64 v[18:19], v18
.LBB865_106:
	s_or_b64 exec, exec, s[8:9]
	v_cndmask_b32_e64 v21, 0, 1, s[10:11]
	v_cndmask_b32_e64 v20, 0, 1, s[14:15]
	;; [unrolled: 1-line block ×3, first 2 shown]
	v_lshlrev_b16_e32 v21, 8, v21
	v_lshlrev_b16_e32 v26, 8, v22
	v_or_b32_sdwa v27, v20, v21 dst_sel:WORD_1 dst_unused:UNUSED_PAD src0_sel:DWORD src1_sel:DWORD
	v_cmp_gt_u32_e32 vcc, s48, v1
	s_mov_b64 s[38:39], 0
	s_and_saveexec_b64 s[8:9], vcc
	s_cbranch_execz .LBB865_117
; %bb.107:
	s_and_b64 vcc, exec, s[4:5]
	s_mov_b64 s[14:15], 0
	s_cbranch_vccnz .LBB865_116
; %bb.108:
	s_waitcnt vmcnt(0) lgkmcnt(0)
	v_mul_lo_u32 v20, v19, s26
	v_mul_lo_u32 v21, v18, s27
	v_mad_u64_u32 v[18:19], s[4:5], v18, s26, 0
	v_add3_u32 v19, v19, v21, v20
	v_mul_lo_u32 v20, v15, s26
	v_mul_lo_u32 v21, v14, s27
	v_mad_u64_u32 v[24:25], s[4:5], v14, s26, 0
	v_add3_u32 v25, v25, v21, v20
	v_lshlrev_b64 v[20:21], 3, v[18:19]
	v_mov_b32_e32 v18, s17
	v_add_co_u32_e32 v22, vcc, s16, v20
	v_addc_co_u32_e64 v23, s[4:5], v18, v21, vcc
	v_lshlrev_b64 v[18:19], 3, v[24:25]
	v_mov_b32_e32 v20, s17
	v_add_co_u32_e64 v24, s[4:5], s16, v18
	v_addc_co_u32_e64 v25, s[6:7], v20, v19, s[4:5]
	global_load_dwordx2 v[28:29], v[22:23], off
	global_load_dwordx2 v[30:31], v[24:25], off
	s_mov_b64 s[14:15], -1
	s_waitcnt vmcnt(0)
	v_cmp_eq_f64_e64 s[6:7], v[28:29], v[30:31]
	s_and_saveexec_b64 s[10:11], s[6:7]
	s_cbranch_execz .LBB865_115
; %bb.109:
	v_mov_b32_e32 v18, s17
	v_addc_co_u32_e64 v19, s[4:5], v19, v18, s[4:5]
	v_add_co_u32_e64 v18, s[4:5], 8, v24
	v_mov_b32_e32 v20, s17
	v_addc_co_u32_e64 v19, s[4:5], 0, v19, s[4:5]
	v_addc_co_u32_e32 v21, vcc, v21, v20, vcc
	v_add_co_u32_e32 v20, vcc, 8, v22
	s_add_u32 s4, s26, -1
	v_addc_co_u32_e32 v21, vcc, 0, v21, vcc
	s_addc_u32 s5, s27, -1
	s_mov_b64 s[6:7], 0
                                        ; implicit-def: $sgpr14_sgpr15
	s_branch .LBB865_112
.LBB865_110:                            ;   in Loop: Header=BB865_112 Depth=1
	global_load_dwordx2 v[22:23], v[20:21], off
	global_load_dwordx2 v[24:25], v[18:19], off
	v_add_co_u32_e32 v18, vcc, 8, v18
	v_addc_co_u32_e32 v19, vcc, 0, v19, vcc
	v_add_co_u32_e32 v20, vcc, 8, v20
	v_addc_co_u32_e32 v21, vcc, 0, v21, vcc
	s_add_u32 s38, s38, 1
	s_addc_u32 s39, s39, 0
	s_andn2_b64 s[14:15], s[14:15], exec
	s_waitcnt vmcnt(0)
	v_cmp_neq_f64_e32 vcc, v[22:23], v[24:25]
	s_and_b64 s[40:41], vcc, exec
	s_or_b64 s[14:15], s[14:15], s[40:41]
.LBB865_111:                            ;   in Loop: Header=BB865_112 Depth=1
	s_and_b64 s[40:41], exec, s[14:15]
	s_or_b64 s[6:7], s[40:41], s[6:7]
	v_pk_mov_b32 v[22:23], s[38:39], s[38:39] op_sel:[0,1]
	s_andn2_b64 exec, exec, s[6:7]
	s_cbranch_execz .LBB865_114
.LBB865_112:                            ; =>This Inner Loop Header: Depth=1
	s_or_b64 s[14:15], s[14:15], exec
	s_cmp_eq_u64 s[4:5], s[38:39]
	s_cbranch_scc0 .LBB865_110
; %bb.113:                              ;   in Loop: Header=BB865_112 Depth=1
                                        ; implicit-def: $vgpr18_vgpr19
                                        ; implicit-def: $vgpr20_vgpr21
	s_mov_b64 s[38:39], s[26:27]
	s_branch .LBB865_111
.LBB865_114:
	s_or_b64 exec, exec, s[6:7]
	v_cmp_gt_i64_e32 vcc, s[26:27], v[22:23]
	s_orn2_b64 s[14:15], vcc, exec
.LBB865_115:
	s_or_b64 exec, exec, s[10:11]
.LBB865_116:
	s_and_b64 s[38:39], s[14:15], exec
.LBB865_117:
	s_or_b64 exec, exec, s[8:9]
	v_or_b32_e32 v28, v26, v27
.LBB865_118:
	s_mov_b64 s[14:15], -1
	s_cbranch_execnz .LBB865_207
.LBB865_119:
	v_lshlrev_b32_e32 v29, 3, v0
	s_mov_b64 s[38:39], 0
	v_cmp_gt_i64_e64 s[10:11], s[26:27], 0
	s_and_b64 vcc, exec, s[34:35]
	ds_write_b64 v29, v[12:13]
	s_cbranch_vccz .LBB865_127
; %bb.120:
	v_mul_lo_u32 v20, v11, s26
	v_mul_lo_u32 v21, v10, s27
	s_waitcnt vmcnt(0) lgkmcnt(1)
	v_mad_u64_u32 v[18:19], s[4:5], v10, s26, 0
	v_add3_u32 v19, v19, v21, v20
	v_cndmask_b32_e64 v20, 0, 1, s[10:11]
	v_cmp_ne_u32_e64 s[4:5], 1, v20
	s_andn2_b64 vcc, exec, s[10:11]
	v_lshlrev_b64 v[18:19], 3, v[18:19]
	s_cbranch_vccnz .LBB865_130
; %bb.121:
	v_mul_lo_u32 v22, v13, s26
	v_mul_lo_u32 v23, v12, s27
	v_mad_u64_u32 v[20:21], s[6:7], v12, s26, 0
	v_add3_u32 v21, v21, v23, v22
	v_mov_b32_e32 v23, s17
	v_add_co_u32_e32 v22, vcc, s16, v18
	v_addc_co_u32_e64 v23, s[6:7], v23, v19, vcc
	v_lshlrev_b64 v[20:21], 3, v[20:21]
	v_mov_b32_e32 v25, s17
	v_add_co_u32_e64 v24, s[6:7], s16, v20
	v_addc_co_u32_e64 v25, s[8:9], v25, v21, s[6:7]
	global_load_dwordx2 v[26:27], v[22:23], off
	global_load_dwordx2 v[30:31], v[24:25], off
	s_mov_b64 s[38:39], -1
	s_waitcnt vmcnt(0)
	v_cmp_eq_f64_e64 s[8:9], v[26:27], v[30:31]
	s_and_saveexec_b64 s[40:41], s[8:9]
	s_cbranch_execz .LBB865_129
; %bb.122:
	v_mov_b32_e32 v20, s17
	v_addc_co_u32_e64 v21, s[6:7], v21, v20, s[6:7]
	v_add_co_u32_e64 v20, s[6:7], 8, v24
	v_mov_b32_e32 v23, s17
	v_addc_co_u32_e64 v21, s[6:7], 0, v21, s[6:7]
	v_addc_co_u32_e32 v23, vcc, v19, v23, vcc
	v_add_co_u32_e32 v22, vcc, 8, v22
	s_add_u32 s6, s26, -1
	v_addc_co_u32_e32 v23, vcc, 0, v23, vcc
	s_addc_u32 s7, s27, -1
	s_mov_b64 s[8:9], 0
	s_mov_b64 s[42:43], 0
                                        ; implicit-def: $sgpr38_sgpr39
	s_branch .LBB865_125
.LBB865_123:                            ;   in Loop: Header=BB865_125 Depth=1
	global_load_dwordx2 v[24:25], v[22:23], off
	global_load_dwordx2 v[26:27], v[20:21], off
	v_add_co_u32_e32 v20, vcc, 8, v20
	v_addc_co_u32_e32 v21, vcc, 0, v21, vcc
	v_add_co_u32_e32 v22, vcc, 8, v22
	v_addc_co_u32_e32 v23, vcc, 0, v23, vcc
	s_add_u32 s42, s42, 1
	s_addc_u32 s43, s43, 0
	s_andn2_b64 s[38:39], s[38:39], exec
	s_waitcnt vmcnt(0)
	v_cmp_neq_f64_e32 vcc, v[24:25], v[26:27]
	s_and_b64 s[44:45], vcc, exec
	s_or_b64 s[38:39], s[38:39], s[44:45]
.LBB865_124:                            ;   in Loop: Header=BB865_125 Depth=1
	s_and_b64 s[44:45], exec, s[38:39]
	s_or_b64 s[8:9], s[44:45], s[8:9]
	v_pk_mov_b32 v[24:25], s[42:43], s[42:43] op_sel:[0,1]
	s_andn2_b64 exec, exec, s[8:9]
	s_cbranch_execz .LBB865_128
.LBB865_125:                            ; =>This Inner Loop Header: Depth=1
	s_or_b64 s[38:39], s[38:39], exec
	s_cmp_eq_u64 s[6:7], s[42:43]
	s_cbranch_scc0 .LBB865_123
; %bb.126:                              ;   in Loop: Header=BB865_125 Depth=1
                                        ; implicit-def: $vgpr20_vgpr21
                                        ; implicit-def: $vgpr22_vgpr23
	s_mov_b64 s[42:43], s[26:27]
	s_branch .LBB865_124
.LBB865_127:
                                        ; implicit-def: $sgpr38_sgpr39
                                        ; implicit-def: $vgpr28
	s_cbranch_execnz .LBB865_160
	s_branch .LBB865_207
.LBB865_128:
	s_or_b64 exec, exec, s[8:9]
	v_cmp_gt_i64_e32 vcc, s[26:27], v[24:25]
	s_orn2_b64 s[38:39], vcc, exec
.LBB865_129:
	s_or_b64 exec, exec, s[40:41]
.LBB865_130:
	v_mul_lo_u32 v22, v17, s26
	v_mul_lo_u32 v23, v16, s27
	v_mad_u64_u32 v[20:21], s[6:7], v16, s26, 0
	v_add3_u32 v21, v21, v23, v22
	s_mov_b64 s[40:41], 0
	s_and_b64 vcc, exec, s[4:5]
	v_lshlrev_b64 v[20:21], 3, v[20:21]
	s_mov_b64 s[42:43], 0
	s_cbranch_vccnz .LBB865_139
; %bb.131:
	v_mov_b32_e32 v23, s17
	v_add_co_u32_e32 v22, vcc, s16, v20
	v_addc_co_u32_e64 v23, s[6:7], v23, v21, vcc
	v_mov_b32_e32 v25, s17
	v_add_co_u32_e64 v24, s[6:7], s16, v18
	v_addc_co_u32_e64 v25, s[8:9], v25, v19, s[6:7]
	global_load_dwordx2 v[26:27], v[22:23], off
	global_load_dwordx2 v[30:31], v[24:25], off
	s_mov_b64 s[42:43], -1
	s_waitcnt vmcnt(0)
	v_cmp_eq_f64_e64 s[8:9], v[26:27], v[30:31]
	s_and_saveexec_b64 s[44:45], s[8:9]
	s_cbranch_execz .LBB865_138
; %bb.132:
	v_mov_b32_e32 v18, s17
	v_addc_co_u32_e64 v19, s[6:7], v19, v18, s[6:7]
	v_add_co_u32_e64 v18, s[6:7], 8, v24
	v_mov_b32_e32 v23, s17
	v_addc_co_u32_e64 v19, s[6:7], 0, v19, s[6:7]
	v_addc_co_u32_e32 v23, vcc, v21, v23, vcc
	v_add_co_u32_e32 v22, vcc, 8, v22
	s_add_u32 s6, s26, -1
	v_addc_co_u32_e32 v23, vcc, 0, v23, vcc
	s_addc_u32 s7, s27, -1
	s_mov_b64 s[8:9], 0
	s_mov_b64 s[46:47], 0
                                        ; implicit-def: $sgpr42_sgpr43
	s_branch .LBB865_135
.LBB865_133:                            ;   in Loop: Header=BB865_135 Depth=1
	global_load_dwordx2 v[24:25], v[22:23], off
	global_load_dwordx2 v[26:27], v[18:19], off
	v_add_co_u32_e32 v18, vcc, 8, v18
	v_addc_co_u32_e32 v19, vcc, 0, v19, vcc
	v_add_co_u32_e32 v22, vcc, 8, v22
	v_addc_co_u32_e32 v23, vcc, 0, v23, vcc
	s_add_u32 s46, s46, 1
	s_addc_u32 s47, s47, 0
	s_andn2_b64 s[42:43], s[42:43], exec
	s_waitcnt vmcnt(0)
	v_cmp_neq_f64_e32 vcc, v[24:25], v[26:27]
	s_and_b64 s[50:51], vcc, exec
	s_or_b64 s[42:43], s[42:43], s[50:51]
.LBB865_134:                            ;   in Loop: Header=BB865_135 Depth=1
	s_and_b64 s[50:51], exec, s[42:43]
	s_or_b64 s[8:9], s[50:51], s[8:9]
	v_pk_mov_b32 v[24:25], s[46:47], s[46:47] op_sel:[0,1]
	s_andn2_b64 exec, exec, s[8:9]
	s_cbranch_execz .LBB865_137
.LBB865_135:                            ; =>This Inner Loop Header: Depth=1
	s_or_b64 s[42:43], s[42:43], exec
	s_cmp_eq_u64 s[6:7], s[46:47]
	s_cbranch_scc0 .LBB865_133
; %bb.136:                              ;   in Loop: Header=BB865_135 Depth=1
                                        ; implicit-def: $vgpr18_vgpr19
                                        ; implicit-def: $vgpr22_vgpr23
	s_mov_b64 s[46:47], s[26:27]
	s_branch .LBB865_134
.LBB865_137:
	s_or_b64 exec, exec, s[8:9]
	v_cmp_gt_i64_e32 vcc, s[26:27], v[24:25]
	s_orn2_b64 s[42:43], vcc, exec
.LBB865_138:
	s_or_b64 exec, exec, s[44:45]
.LBB865_139:
	v_mul_lo_u32 v22, v15, s26
	v_mul_lo_u32 v23, v14, s27
	v_mad_u64_u32 v[18:19], s[6:7], v14, s26, 0
	s_and_b64 vcc, exec, s[4:5]
	v_add3_u32 v19, v19, v23, v22
	s_cbranch_vccnz .LBB865_148
; %bb.140:
	v_lshlrev_b64 v[22:23], 3, v[18:19]
	v_mov_b32_e32 v25, s17
	v_add_co_u32_e32 v24, vcc, s16, v22
	v_addc_co_u32_e64 v25, s[6:7], v25, v23, vcc
	v_mov_b32_e32 v22, s17
	v_add_co_u32_e64 v26, s[6:7], s16, v20
	v_addc_co_u32_e64 v27, s[8:9], v22, v21, s[6:7]
	global_load_dwordx2 v[30:31], v[24:25], off
	global_load_dwordx2 v[32:33], v[26:27], off
	s_mov_b64 s[40:41], -1
	s_waitcnt vmcnt(0)
	v_cmp_eq_f64_e64 s[8:9], v[30:31], v[32:33]
	s_and_saveexec_b64 s[44:45], s[8:9]
	s_cbranch_execz .LBB865_147
; %bb.141:
	v_mov_b32_e32 v20, s17
	v_addc_co_u32_e64 v21, s[6:7], v21, v20, s[6:7]
	v_add_co_u32_e64 v20, s[6:7], 8, v26
	v_mov_b32_e32 v22, s17
	v_addc_co_u32_e64 v21, s[6:7], 0, v21, s[6:7]
	v_addc_co_u32_e32 v23, vcc, v23, v22, vcc
	v_add_co_u32_e32 v22, vcc, 8, v24
	s_add_u32 s6, s26, -1
	v_addc_co_u32_e32 v23, vcc, 0, v23, vcc
	s_addc_u32 s7, s27, -1
	s_mov_b64 s[8:9], 0
	s_mov_b64 s[46:47], 0
                                        ; implicit-def: $sgpr40_sgpr41
	s_branch .LBB865_144
.LBB865_142:                            ;   in Loop: Header=BB865_144 Depth=1
	global_load_dwordx2 v[24:25], v[22:23], off
	global_load_dwordx2 v[26:27], v[20:21], off
	v_add_co_u32_e32 v20, vcc, 8, v20
	v_addc_co_u32_e32 v21, vcc, 0, v21, vcc
	v_add_co_u32_e32 v22, vcc, 8, v22
	v_addc_co_u32_e32 v23, vcc, 0, v23, vcc
	s_add_u32 s46, s46, 1
	s_addc_u32 s47, s47, 0
	s_andn2_b64 s[40:41], s[40:41], exec
	s_waitcnt vmcnt(0)
	v_cmp_neq_f64_e32 vcc, v[24:25], v[26:27]
	s_and_b64 s[50:51], vcc, exec
	s_or_b64 s[40:41], s[40:41], s[50:51]
.LBB865_143:                            ;   in Loop: Header=BB865_144 Depth=1
	s_and_b64 s[50:51], exec, s[40:41]
	s_or_b64 s[8:9], s[50:51], s[8:9]
	v_pk_mov_b32 v[24:25], s[46:47], s[46:47] op_sel:[0,1]
	s_andn2_b64 exec, exec, s[8:9]
	s_cbranch_execz .LBB865_146
.LBB865_144:                            ; =>This Inner Loop Header: Depth=1
	s_or_b64 s[40:41], s[40:41], exec
	s_cmp_eq_u64 s[6:7], s[46:47]
	s_cbranch_scc0 .LBB865_142
; %bb.145:                              ;   in Loop: Header=BB865_144 Depth=1
                                        ; implicit-def: $vgpr20_vgpr21
                                        ; implicit-def: $vgpr22_vgpr23
	s_mov_b64 s[46:47], s[26:27]
	s_branch .LBB865_143
.LBB865_146:
	s_or_b64 exec, exec, s[8:9]
	v_cmp_gt_i64_e32 vcc, s[26:27], v[24:25]
	s_orn2_b64 s[40:41], vcc, exec
.LBB865_147:
	s_or_b64 exec, exec, s[44:45]
.LBB865_148:
	v_cndmask_b32_e64 v21, 0, 1, s[38:39]
	v_cndmask_b32_e64 v22, 0, 1, s[40:41]
	;; [unrolled: 1-line block ×3, first 2 shown]
	v_lshlrev_b16_e32 v22, 8, v22
	v_lshlrev_b16_e32 v21, 8, v21
	v_or_b32_e32 v22, 1, v22
	v_or_b32_sdwa v20, v20, v21 dst_sel:WORD_1 dst_unused:UNUSED_PAD src0_sel:DWORD src1_sel:DWORD
	v_or_b32_sdwa v28, v22, v20 dst_sel:DWORD dst_unused:UNUSED_PAD src0_sel:WORD_0 src1_sel:DWORD
	s_waitcnt lgkmcnt(0)
	s_barrier
	s_waitcnt lgkmcnt(0)
                                        ; implicit-def: $sgpr38_sgpr39
	s_and_saveexec_b64 s[6:7], s[2:3]
	s_xor_b64 s[8:9], exec, s[6:7]
	s_cbranch_execz .LBB865_159
; %bb.149:
	s_and_b64 vcc, exec, s[4:5]
	s_mov_b64 s[40:41], 0
	s_cbranch_vccnz .LBB865_158
; %bb.150:
	v_add_u32_e32 v20, -8, v29
	ds_read_b64 v[20:21], v20
	v_mov_b32_e32 v23, s17
	v_lshlrev_b64 v[18:19], 3, v[18:19]
	s_mov_b64 s[40:41], -1
	s_waitcnt lgkmcnt(0)
	v_mul_lo_u32 v22, v21, s26
	v_mul_lo_u32 v24, v20, s27
	v_mad_u64_u32 v[20:21], s[4:5], v20, s26, 0
	v_add3_u32 v21, v21, v24, v22
	v_lshlrev_b64 v[20:21], 3, v[20:21]
	v_add_co_u32_e32 v22, vcc, s16, v20
	v_addc_co_u32_e64 v23, s[4:5], v23, v21, vcc
	v_mov_b32_e32 v20, s17
	v_add_co_u32_e64 v24, s[4:5], s16, v18
	v_addc_co_u32_e64 v25, s[6:7], v20, v19, s[4:5]
	global_load_dwordx2 v[26:27], v[22:23], off
	global_load_dwordx2 v[30:31], v[24:25], off
	s_waitcnt vmcnt(0)
	v_cmp_eq_f64_e64 s[6:7], v[26:27], v[30:31]
	s_and_saveexec_b64 s[38:39], s[6:7]
	s_cbranch_execz .LBB865_157
; %bb.151:
	v_mov_b32_e32 v18, s17
	v_addc_co_u32_e64 v19, s[4:5], v19, v18, s[4:5]
	v_add_co_u32_e64 v18, s[4:5], 8, v24
	v_mov_b32_e32 v20, s17
	v_addc_co_u32_e64 v19, s[4:5], 0, v19, s[4:5]
	v_addc_co_u32_e32 v21, vcc, v21, v20, vcc
	v_add_co_u32_e32 v20, vcc, 8, v22
	s_add_u32 s4, s26, -1
	v_addc_co_u32_e32 v21, vcc, 0, v21, vcc
	s_addc_u32 s5, s27, -1
	s_mov_b64 s[6:7], 0
	s_mov_b64 s[42:43], 0
                                        ; implicit-def: $sgpr40_sgpr41
	s_branch .LBB865_154
.LBB865_152:                            ;   in Loop: Header=BB865_154 Depth=1
	global_load_dwordx2 v[22:23], v[20:21], off
	global_load_dwordx2 v[24:25], v[18:19], off
	v_add_co_u32_e32 v18, vcc, 8, v18
	v_addc_co_u32_e32 v19, vcc, 0, v19, vcc
	v_add_co_u32_e32 v20, vcc, 8, v20
	v_addc_co_u32_e32 v21, vcc, 0, v21, vcc
	s_add_u32 s42, s42, 1
	s_addc_u32 s43, s43, 0
	s_andn2_b64 s[40:41], s[40:41], exec
	s_waitcnt vmcnt(0)
	v_cmp_neq_f64_e32 vcc, v[22:23], v[24:25]
	s_and_b64 s[44:45], vcc, exec
	s_or_b64 s[40:41], s[40:41], s[44:45]
.LBB865_153:                            ;   in Loop: Header=BB865_154 Depth=1
	s_and_b64 s[44:45], exec, s[40:41]
	s_or_b64 s[6:7], s[44:45], s[6:7]
	v_pk_mov_b32 v[22:23], s[42:43], s[42:43] op_sel:[0,1]
	s_andn2_b64 exec, exec, s[6:7]
	s_cbranch_execz .LBB865_156
.LBB865_154:                            ; =>This Inner Loop Header: Depth=1
	s_or_b64 s[40:41], s[40:41], exec
	s_cmp_eq_u64 s[4:5], s[42:43]
	s_cbranch_scc0 .LBB865_152
; %bb.155:                              ;   in Loop: Header=BB865_154 Depth=1
                                        ; implicit-def: $vgpr18_vgpr19
                                        ; implicit-def: $vgpr20_vgpr21
	s_mov_b64 s[42:43], s[26:27]
	s_branch .LBB865_153
.LBB865_156:
	s_or_b64 exec, exec, s[6:7]
	v_cmp_gt_i64_e32 vcc, s[26:27], v[22:23]
	s_orn2_b64 s[40:41], vcc, exec
.LBB865_157:
	s_or_b64 exec, exec, s[38:39]
.LBB865_158:
	s_and_b64 s[38:39], s[40:41], exec
	s_or_b64 s[14:15], s[14:15], exec
.LBB865_159:
	s_or_b64 exec, exec, s[8:9]
	s_branch .LBB865_207
.LBB865_160:
	s_waitcnt vmcnt(0) lgkmcnt(1)
	v_or_b32_e32 v18, 3, v1
	v_cmp_gt_u32_e32 vcc, s48, v18
	s_mov_b64 s[38:39], 0
	s_mov_b64 s[8:9], 0
	s_and_saveexec_b64 s[40:41], vcc
	s_cbranch_execz .LBB865_171
; %bb.161:
	s_andn2_b64 vcc, exec, s[10:11]
	s_mov_b64 s[42:43], 0
	s_cbranch_vccnz .LBB865_170
; %bb.162:
	v_mul_lo_u32 v20, v11, s26
	v_mul_lo_u32 v21, v10, s27
	v_mad_u64_u32 v[18:19], s[4:5], v10, s26, 0
	v_add3_u32 v19, v19, v21, v20
	v_mul_lo_u32 v20, v13, s26
	v_mul_lo_u32 v21, v12, s27
	v_mad_u64_u32 v[24:25], s[4:5], v12, s26, 0
	v_add3_u32 v25, v25, v21, v20
	v_lshlrev_b64 v[20:21], 3, v[18:19]
	v_mov_b32_e32 v18, s17
	v_add_co_u32_e32 v22, vcc, s16, v20
	v_addc_co_u32_e64 v23, s[4:5], v18, v21, vcc
	v_lshlrev_b64 v[18:19], 3, v[24:25]
	v_mov_b32_e32 v20, s17
	v_add_co_u32_e64 v24, s[4:5], s16, v18
	v_addc_co_u32_e64 v25, s[6:7], v20, v19, s[4:5]
	global_load_dwordx2 v[26:27], v[22:23], off
	global_load_dwordx2 v[30:31], v[24:25], off
	s_mov_b64 s[42:43], -1
	s_waitcnt vmcnt(0)
	v_cmp_eq_f64_e64 s[6:7], v[26:27], v[30:31]
	s_and_saveexec_b64 s[8:9], s[6:7]
	s_cbranch_execz .LBB865_169
; %bb.163:
	v_mov_b32_e32 v18, s17
	v_addc_co_u32_e64 v19, s[4:5], v19, v18, s[4:5]
	v_add_co_u32_e64 v18, s[4:5], 8, v24
	v_mov_b32_e32 v20, s17
	v_addc_co_u32_e64 v19, s[4:5], 0, v19, s[4:5]
	v_addc_co_u32_e32 v21, vcc, v21, v20, vcc
	v_add_co_u32_e32 v20, vcc, 8, v22
	s_add_u32 s4, s26, -1
	v_addc_co_u32_e32 v21, vcc, 0, v21, vcc
	s_addc_u32 s5, s27, -1
	s_mov_b64 s[6:7], 0
	s_mov_b64 s[44:45], 0
                                        ; implicit-def: $sgpr42_sgpr43
	s_branch .LBB865_166
.LBB865_164:                            ;   in Loop: Header=BB865_166 Depth=1
	global_load_dwordx2 v[22:23], v[20:21], off
	global_load_dwordx2 v[24:25], v[18:19], off
	v_add_co_u32_e32 v18, vcc, 8, v18
	v_addc_co_u32_e32 v19, vcc, 0, v19, vcc
	v_add_co_u32_e32 v20, vcc, 8, v20
	v_addc_co_u32_e32 v21, vcc, 0, v21, vcc
	s_add_u32 s44, s44, 1
	s_addc_u32 s45, s45, 0
	s_andn2_b64 s[42:43], s[42:43], exec
	s_waitcnt vmcnt(0)
	v_cmp_neq_f64_e32 vcc, v[22:23], v[24:25]
	s_and_b64 s[46:47], vcc, exec
	s_or_b64 s[42:43], s[42:43], s[46:47]
.LBB865_165:                            ;   in Loop: Header=BB865_166 Depth=1
	s_and_b64 s[46:47], exec, s[42:43]
	s_or_b64 s[6:7], s[46:47], s[6:7]
	v_pk_mov_b32 v[22:23], s[44:45], s[44:45] op_sel:[0,1]
	s_andn2_b64 exec, exec, s[6:7]
	s_cbranch_execz .LBB865_168
.LBB865_166:                            ; =>This Inner Loop Header: Depth=1
	s_or_b64 s[42:43], s[42:43], exec
	s_cmp_eq_u64 s[4:5], s[44:45]
	s_cbranch_scc0 .LBB865_164
; %bb.167:                              ;   in Loop: Header=BB865_166 Depth=1
                                        ; implicit-def: $vgpr18_vgpr19
                                        ; implicit-def: $vgpr20_vgpr21
	s_mov_b64 s[44:45], s[26:27]
	s_branch .LBB865_165
.LBB865_168:
	s_or_b64 exec, exec, s[6:7]
	v_cmp_gt_i64_e32 vcc, s[26:27], v[22:23]
	s_orn2_b64 s[42:43], vcc, exec
.LBB865_169:
	s_or_b64 exec, exec, s[8:9]
.LBB865_170:
	s_and_b64 s[8:9], s[42:43], exec
.LBB865_171:
	s_or_b64 exec, exec, s[40:41]
	v_or_b32_e32 v18, 2, v1
	v_cmp_gt_u32_e32 vcc, s48, v18
	s_and_saveexec_b64 s[40:41], vcc
	s_cbranch_execz .LBB865_182
; %bb.172:
	s_andn2_b64 vcc, exec, s[10:11]
	s_mov_b64 s[42:43], 0
	s_cbranch_vccnz .LBB865_181
; %bb.173:
	v_mul_lo_u32 v20, v17, s26
	v_mul_lo_u32 v21, v16, s27
	v_mad_u64_u32 v[18:19], s[4:5], v16, s26, 0
	v_add3_u32 v19, v19, v21, v20
	v_mul_lo_u32 v20, v11, s26
	v_mul_lo_u32 v21, v10, s27
	v_mad_u64_u32 v[24:25], s[4:5], v10, s26, 0
	v_add3_u32 v25, v25, v21, v20
	v_lshlrev_b64 v[20:21], 3, v[18:19]
	v_mov_b32_e32 v18, s17
	v_add_co_u32_e32 v22, vcc, s16, v20
	v_addc_co_u32_e64 v23, s[4:5], v18, v21, vcc
	v_lshlrev_b64 v[18:19], 3, v[24:25]
	v_mov_b32_e32 v20, s17
	v_add_co_u32_e64 v24, s[4:5], s16, v18
	v_addc_co_u32_e64 v25, s[6:7], v20, v19, s[4:5]
	global_load_dwordx2 v[26:27], v[22:23], off
	global_load_dwordx2 v[30:31], v[24:25], off
	s_mov_b64 s[42:43], -1
	s_waitcnt vmcnt(0)
	v_cmp_eq_f64_e64 s[6:7], v[26:27], v[30:31]
	s_and_saveexec_b64 s[38:39], s[6:7]
	s_cbranch_execz .LBB865_180
; %bb.174:
	v_mov_b32_e32 v18, s17
	v_addc_co_u32_e64 v19, s[4:5], v19, v18, s[4:5]
	v_add_co_u32_e64 v18, s[4:5], 8, v24
	v_mov_b32_e32 v20, s17
	v_addc_co_u32_e64 v19, s[4:5], 0, v19, s[4:5]
	v_addc_co_u32_e32 v21, vcc, v21, v20, vcc
	v_add_co_u32_e32 v20, vcc, 8, v22
	s_add_u32 s4, s26, -1
	v_addc_co_u32_e32 v21, vcc, 0, v21, vcc
	s_addc_u32 s5, s27, -1
	s_mov_b64 s[6:7], 0
	s_mov_b64 s[44:45], 0
                                        ; implicit-def: $sgpr42_sgpr43
	s_branch .LBB865_177
.LBB865_175:                            ;   in Loop: Header=BB865_177 Depth=1
	global_load_dwordx2 v[22:23], v[20:21], off
	global_load_dwordx2 v[24:25], v[18:19], off
	v_add_co_u32_e32 v18, vcc, 8, v18
	v_addc_co_u32_e32 v19, vcc, 0, v19, vcc
	v_add_co_u32_e32 v20, vcc, 8, v20
	v_addc_co_u32_e32 v21, vcc, 0, v21, vcc
	s_add_u32 s44, s44, 1
	s_addc_u32 s45, s45, 0
	s_andn2_b64 s[42:43], s[42:43], exec
	s_waitcnt vmcnt(0)
	v_cmp_neq_f64_e32 vcc, v[22:23], v[24:25]
	s_and_b64 s[46:47], vcc, exec
	s_or_b64 s[42:43], s[42:43], s[46:47]
.LBB865_176:                            ;   in Loop: Header=BB865_177 Depth=1
	s_and_b64 s[46:47], exec, s[42:43]
	s_or_b64 s[6:7], s[46:47], s[6:7]
	v_pk_mov_b32 v[22:23], s[44:45], s[44:45] op_sel:[0,1]
	s_andn2_b64 exec, exec, s[6:7]
	s_cbranch_execz .LBB865_179
.LBB865_177:                            ; =>This Inner Loop Header: Depth=1
	s_or_b64 s[42:43], s[42:43], exec
	s_cmp_eq_u64 s[4:5], s[44:45]
	s_cbranch_scc0 .LBB865_175
; %bb.178:                              ;   in Loop: Header=BB865_177 Depth=1
                                        ; implicit-def: $vgpr18_vgpr19
                                        ; implicit-def: $vgpr20_vgpr21
	s_mov_b64 s[44:45], s[26:27]
	s_branch .LBB865_176
.LBB865_179:
	s_or_b64 exec, exec, s[6:7]
	v_cmp_gt_i64_e32 vcc, s[26:27], v[22:23]
	s_orn2_b64 s[42:43], vcc, exec
.LBB865_180:
	s_or_b64 exec, exec, s[38:39]
.LBB865_181:
	s_and_b64 s[38:39], s[42:43], exec
.LBB865_182:
	s_or_b64 exec, exec, s[40:41]
	v_or_b32_e32 v18, 1, v1
	v_cmp_gt_u32_e32 vcc, s48, v18
	s_mov_b64 s[4:5], 0
	s_and_saveexec_b64 s[40:41], vcc
	s_cbranch_execz .LBB865_193
; %bb.183:
	s_andn2_b64 vcc, exec, s[10:11]
	s_mov_b64 s[44:45], 0
	s_cbranch_vccnz .LBB865_192
; %bb.184:
	v_mul_lo_u32 v20, v15, s26
	v_mul_lo_u32 v21, v14, s27
	v_mad_u64_u32 v[18:19], s[4:5], v14, s26, 0
	v_add3_u32 v19, v19, v21, v20
	v_mul_lo_u32 v20, v17, s26
	v_mul_lo_u32 v21, v16, s27
	v_mad_u64_u32 v[24:25], s[4:5], v16, s26, 0
	v_add3_u32 v25, v25, v21, v20
	v_lshlrev_b64 v[20:21], 3, v[18:19]
	v_mov_b32_e32 v18, s17
	v_add_co_u32_e32 v22, vcc, s16, v20
	v_addc_co_u32_e64 v23, s[4:5], v18, v21, vcc
	v_lshlrev_b64 v[18:19], 3, v[24:25]
	v_mov_b32_e32 v20, s17
	v_add_co_u32_e64 v24, s[4:5], s16, v18
	v_addc_co_u32_e64 v25, s[6:7], v20, v19, s[4:5]
	global_load_dwordx2 v[26:27], v[22:23], off
	global_load_dwordx2 v[30:31], v[24:25], off
	s_mov_b64 s[44:45], -1
	s_waitcnt vmcnt(0)
	v_cmp_eq_f64_e64 s[6:7], v[26:27], v[30:31]
	s_and_saveexec_b64 s[42:43], s[6:7]
	s_cbranch_execz .LBB865_191
; %bb.185:
	v_mov_b32_e32 v18, s17
	v_addc_co_u32_e64 v19, s[4:5], v19, v18, s[4:5]
	v_add_co_u32_e64 v18, s[4:5], 8, v24
	v_mov_b32_e32 v20, s17
	v_addc_co_u32_e64 v19, s[4:5], 0, v19, s[4:5]
	v_addc_co_u32_e32 v21, vcc, v21, v20, vcc
	v_add_co_u32_e32 v20, vcc, 8, v22
	s_add_u32 s4, s26, -1
	v_addc_co_u32_e32 v21, vcc, 0, v21, vcc
	s_addc_u32 s5, s27, -1
	s_mov_b64 s[6:7], 0
	s_mov_b64 s[46:47], 0
                                        ; implicit-def: $sgpr44_sgpr45
	s_branch .LBB865_188
.LBB865_186:                            ;   in Loop: Header=BB865_188 Depth=1
	global_load_dwordx2 v[22:23], v[20:21], off
	global_load_dwordx2 v[24:25], v[18:19], off
	v_add_co_u32_e32 v18, vcc, 8, v18
	v_addc_co_u32_e32 v19, vcc, 0, v19, vcc
	v_add_co_u32_e32 v20, vcc, 8, v20
	v_addc_co_u32_e32 v21, vcc, 0, v21, vcc
	s_add_u32 s46, s46, 1
	s_addc_u32 s47, s47, 0
	s_andn2_b64 s[44:45], s[44:45], exec
	s_waitcnt vmcnt(0)
	v_cmp_neq_f64_e32 vcc, v[22:23], v[24:25]
	s_and_b64 s[50:51], vcc, exec
	s_or_b64 s[44:45], s[44:45], s[50:51]
.LBB865_187:                            ;   in Loop: Header=BB865_188 Depth=1
	s_and_b64 s[50:51], exec, s[44:45]
	s_or_b64 s[6:7], s[50:51], s[6:7]
	v_pk_mov_b32 v[22:23], s[46:47], s[46:47] op_sel:[0,1]
	s_andn2_b64 exec, exec, s[6:7]
	s_cbranch_execz .LBB865_190
.LBB865_188:                            ; =>This Inner Loop Header: Depth=1
	s_or_b64 s[44:45], s[44:45], exec
	s_cmp_eq_u64 s[4:5], s[46:47]
	s_cbranch_scc0 .LBB865_186
; %bb.189:                              ;   in Loop: Header=BB865_188 Depth=1
                                        ; implicit-def: $vgpr18_vgpr19
                                        ; implicit-def: $vgpr20_vgpr21
	s_mov_b64 s[46:47], s[26:27]
	s_branch .LBB865_187
.LBB865_190:
	s_or_b64 exec, exec, s[6:7]
	v_cmp_gt_i64_e32 vcc, s[26:27], v[22:23]
	s_orn2_b64 s[44:45], vcc, exec
.LBB865_191:
	s_or_b64 exec, exec, s[42:43]
.LBB865_192:
	s_and_b64 s[4:5], s[44:45], exec
.LBB865_193:
	s_or_b64 exec, exec, s[40:41]
	v_cndmask_b32_e64 v19, 0, 1, s[8:9]
	v_cndmask_b32_e64 v20, 0, 1, s[4:5]
	;; [unrolled: 1-line block ×3, first 2 shown]
	v_lshlrev_b16_e32 v20, 8, v20
	v_lshlrev_b16_e32 v19, 8, v19
	v_or_b32_e32 v20, 1, v20
	v_or_b32_sdwa v18, v18, v19 dst_sel:WORD_1 dst_unused:UNUSED_PAD src0_sel:DWORD src1_sel:DWORD
	v_or_b32_sdwa v28, v20, v18 dst_sel:DWORD dst_unused:UNUSED_PAD src0_sel:WORD_0 src1_sel:DWORD
	s_waitcnt lgkmcnt(0)
	s_barrier
	s_waitcnt lgkmcnt(0)
                                        ; implicit-def: $sgpr38_sgpr39
	s_and_saveexec_b64 s[6:7], s[2:3]
	s_cbranch_execz .LBB865_206
; %bb.194:
	v_cmp_gt_u32_e32 vcc, s48, v1
	s_mov_b64 s[2:3], 0
	s_and_saveexec_b64 s[8:9], vcc
	s_cbranch_execz .LBB865_205
; %bb.195:
	s_andn2_b64 vcc, exec, s[10:11]
	s_mov_b64 s[38:39], 0
	s_cbranch_vccnz .LBB865_204
; %bb.196:
	v_add_u32_e32 v18, -8, v29
	ds_read_b64 v[18:19], v18
	v_mul_lo_u32 v20, v15, s26
	v_mad_u64_u32 v[24:25], s[2:3], v14, s26, 0
	s_mov_b64 s[38:39], -1
	s_waitcnt lgkmcnt(0)
	v_mul_lo_u32 v21, v19, s26
	v_mul_lo_u32 v22, v18, s27
	v_mad_u64_u32 v[18:19], s[2:3], v18, s26, 0
	v_add3_u32 v19, v19, v22, v21
	v_mul_lo_u32 v21, v14, s27
	v_add3_u32 v25, v25, v21, v20
	v_lshlrev_b64 v[20:21], 3, v[18:19]
	v_mov_b32_e32 v18, s17
	v_add_co_u32_e32 v22, vcc, s16, v20
	v_addc_co_u32_e64 v23, s[2:3], v18, v21, vcc
	v_lshlrev_b64 v[18:19], 3, v[24:25]
	v_mov_b32_e32 v20, s17
	v_add_co_u32_e64 v24, s[2:3], s16, v18
	v_addc_co_u32_e64 v25, s[4:5], v20, v19, s[2:3]
	global_load_dwordx2 v[26:27], v[22:23], off
	global_load_dwordx2 v[30:31], v[24:25], off
	s_waitcnt vmcnt(0)
	v_cmp_eq_f64_e64 s[4:5], v[26:27], v[30:31]
	s_and_saveexec_b64 s[10:11], s[4:5]
	s_cbranch_execz .LBB865_203
; %bb.197:
	v_mov_b32_e32 v18, s17
	v_addc_co_u32_e64 v19, s[2:3], v19, v18, s[2:3]
	v_add_co_u32_e64 v18, s[2:3], 8, v24
	v_mov_b32_e32 v20, s17
	v_addc_co_u32_e64 v19, s[2:3], 0, v19, s[2:3]
	v_addc_co_u32_e32 v21, vcc, v21, v20, vcc
	v_add_co_u32_e32 v20, vcc, 8, v22
	s_add_u32 s2, s26, -1
	v_addc_co_u32_e32 v21, vcc, 0, v21, vcc
	s_addc_u32 s3, s27, -1
	s_mov_b64 s[4:5], 0
	s_mov_b64 s[38:39], 0
                                        ; implicit-def: $sgpr16_sgpr17
	s_branch .LBB865_200
.LBB865_198:                            ;   in Loop: Header=BB865_200 Depth=1
	global_load_dwordx2 v[22:23], v[20:21], off
	global_load_dwordx2 v[24:25], v[18:19], off
	v_add_co_u32_e32 v18, vcc, 8, v18
	v_addc_co_u32_e32 v19, vcc, 0, v19, vcc
	v_add_co_u32_e32 v20, vcc, 8, v20
	v_addc_co_u32_e32 v21, vcc, 0, v21, vcc
	s_add_u32 s38, s38, 1
	s_addc_u32 s39, s39, 0
	s_andn2_b64 s[16:17], s[16:17], exec
	s_waitcnt vmcnt(0)
	v_cmp_neq_f64_e32 vcc, v[22:23], v[24:25]
	s_and_b64 s[40:41], vcc, exec
	s_or_b64 s[16:17], s[16:17], s[40:41]
.LBB865_199:                            ;   in Loop: Header=BB865_200 Depth=1
	s_and_b64 s[40:41], exec, s[16:17]
	s_or_b64 s[4:5], s[40:41], s[4:5]
	v_pk_mov_b32 v[22:23], s[38:39], s[38:39] op_sel:[0,1]
	s_andn2_b64 exec, exec, s[4:5]
	s_cbranch_execz .LBB865_202
.LBB865_200:                            ; =>This Inner Loop Header: Depth=1
	s_or_b64 s[16:17], s[16:17], exec
	s_cmp_eq_u64 s[2:3], s[38:39]
	s_cbranch_scc0 .LBB865_198
; %bb.201:                              ;   in Loop: Header=BB865_200 Depth=1
                                        ; implicit-def: $vgpr18_vgpr19
                                        ; implicit-def: $vgpr20_vgpr21
	s_mov_b64 s[38:39], s[26:27]
	s_branch .LBB865_199
.LBB865_202:
	s_or_b64 exec, exec, s[4:5]
	v_cmp_gt_i64_e32 vcc, s[26:27], v[22:23]
	s_orn2_b64 s[38:39], vcc, exec
.LBB865_203:
	s_or_b64 exec, exec, s[10:11]
.LBB865_204:
	s_and_b64 s[2:3], s[38:39], exec
.LBB865_205:
	s_or_b64 exec, exec, s[8:9]
	s_and_b64 s[38:39], s[2:3], exec
	s_or_b64 s[14:15], s[14:15], exec
.LBB865_206:
	s_or_b64 exec, exec, s[6:7]
.LBB865_207:
	s_and_saveexec_b64 s[2:3], s[14:15]
	s_cbranch_execz .LBB865_209
; %bb.208:
	s_waitcnt vmcnt(0) lgkmcnt(0)
	v_and_b32_e32 v18, 0xffffff00, v28
	v_cndmask_b32_e64 v19, 0, 1, s[38:39]
	v_or_b32_e32 v18, v19, v18
	v_and_b32_e32 v18, 0xffff, v18
	s_mov_b32 s4, 0xffff0000
	v_and_or_b32 v28, v28, s4, v18
.LBB865_209:
	s_or_b64 exec, exec, s[2:3]
	s_andn2_b64 vcc, exec, s[12:13]
	s_cbranch_vccnz .LBB865_211
; %bb.210:
	v_cmp_gt_u32_e32 vcc, s48, v1
	s_waitcnt vmcnt(0) lgkmcnt(0)
	v_cndmask_b32_e32 v18, 0, v28, vcc
	v_or_b32_e32 v19, 1, v1
	v_and_b32_e32 v18, 0xff, v18
	v_cmp_gt_u32_e32 vcc, s48, v19
	v_cndmask_b32_e32 v18, v18, v28, vcc
	v_or_b32_e32 v19, 2, v1
	v_and_b32_e32 v18, 0xffff, v18
	v_cmp_gt_u32_e32 vcc, s48, v19
	;; [unrolled: 4-line block ×3, first 2 shown]
	v_cndmask_b32_e32 v28, v18, v28, vcc
.LBB865_211:
	v_bfe_u32 v30, v28, 16, 8
	v_lshrrev_b32_e32 v29, 24, v28
	s_waitcnt vmcnt(0) lgkmcnt(0)
	v_add_u32_sdwa v18, v28, v28 dst_sel:DWORD dst_unused:UNUSED_PAD src0_sel:BYTE_1 src1_sel:BYTE_0
	v_add3_u32 v33, v18, v30, v29
	v_mbcnt_lo_u32_b32 v18, -1, 0
	v_mbcnt_hi_u32_b32 v31, -1, v18
	v_and_b32_e32 v18, 15, v31
	v_cmp_eq_u32_e64 s[14:15], 0, v18
	v_cmp_lt_u32_e64 s[12:13], 1, v18
	v_cmp_lt_u32_e64 s[10:11], 3, v18
	;; [unrolled: 1-line block ×3, first 2 shown]
	v_and_b32_e32 v18, 16, v31
	v_cmp_eq_u32_e64 s[6:7], 0, v18
	v_or_b32_e32 v18, 63, v0
	v_cmp_lt_u32_e64 s[2:3], 31, v31
	v_lshrrev_b32_e32 v32, 6, v0
	v_cmp_eq_u32_e64 s[4:5], v18, v0
	s_and_b64 vcc, exec, s[36:37]
	s_barrier
	s_cbranch_vccz .LBB865_238
; %bb.212:
	v_mov_b32_dpp v18, v33 row_shr:1 row_mask:0xf bank_mask:0xf
	v_cndmask_b32_e64 v18, v18, 0, s[14:15]
	v_add_u32_e32 v18, v18, v33
	s_nop 1
	v_mov_b32_dpp v19, v18 row_shr:2 row_mask:0xf bank_mask:0xf
	v_cndmask_b32_e64 v19, 0, v19, s[12:13]
	v_add_u32_e32 v18, v18, v19
	s_nop 1
	;; [unrolled: 4-line block ×4, first 2 shown]
	v_mov_b32_dpp v19, v18 row_bcast:15 row_mask:0xf bank_mask:0xf
	v_cndmask_b32_e64 v19, v19, 0, s[6:7]
	v_add_u32_e32 v18, v18, v19
	s_nop 1
	v_mov_b32_dpp v19, v18 row_bcast:31 row_mask:0xf bank_mask:0xf
	v_cndmask_b32_e64 v19, 0, v19, s[2:3]
	v_add_u32_e32 v18, v18, v19
	s_and_saveexec_b64 s[16:17], s[4:5]
	s_cbranch_execz .LBB865_214
; %bb.213:
	v_lshlrev_b32_e32 v19, 2, v32
	ds_write_b32 v19, v18
.LBB865_214:
	s_or_b64 exec, exec, s[16:17]
	v_cmp_gt_u32_e32 vcc, 2, v0
	s_waitcnt lgkmcnt(0)
	s_barrier
	s_and_saveexec_b64 s[16:17], vcc
	s_cbranch_execz .LBB865_216
; %bb.215:
	ds_read_b32 v19, v1
	v_bfe_i32 v20, v31, 0, 1
	s_waitcnt lgkmcnt(0)
	v_mov_b32_dpp v21, v19 row_shr:1 row_mask:0xf bank_mask:0xf
	v_and_b32_e32 v20, v20, v21
	v_add_u32_e32 v19, v20, v19
	ds_write_b32 v1, v19
.LBB865_216:
	s_or_b64 exec, exec, s[16:17]
	v_cmp_gt_u32_e32 vcc, 64, v0
	v_cmp_lt_u32_e64 s[16:17], 63, v0
	s_waitcnt lgkmcnt(0)
	s_barrier
	s_waitcnt lgkmcnt(0)
                                        ; implicit-def: $vgpr34
	s_and_saveexec_b64 s[26:27], s[16:17]
	s_cbranch_execz .LBB865_218
; %bb.217:
	v_lshl_add_u32 v19, v32, 2, -4
	ds_read_b32 v34, v19
	s_waitcnt lgkmcnt(0)
	v_add_u32_e32 v18, v34, v18
.LBB865_218:
	s_or_b64 exec, exec, s[26:27]
	v_add_u32_e32 v19, -1, v31
	v_and_b32_e32 v20, 64, v31
	v_cmp_lt_i32_e64 s[16:17], v19, v20
	v_cndmask_b32_e64 v19, v19, v31, s[16:17]
	v_lshlrev_b32_e32 v19, 2, v19
	ds_bpermute_b32 v35, v19, v18
	v_cmp_eq_u32_e64 s[16:17], 0, v31
	s_and_saveexec_b64 s[26:27], vcc
	s_cbranch_execz .LBB865_237
; %bb.219:
	v_mov_b32_e32 v25, 0
	ds_read_b32 v18, v25 offset:4
	s_and_saveexec_b64 s[36:37], s[16:17]
	s_cbranch_execz .LBB865_221
; %bb.220:
	s_add_i32 s38, s33, 64
	s_mov_b32 s39, 0
	s_lshl_b64 s[38:39], s[38:39], 3
	s_add_u32 s38, s18, s38
	v_mov_b32_e32 v19, 1
	s_addc_u32 s39, s19, s39
	s_waitcnt lgkmcnt(0)
	global_store_dwordx2 v25, v[18:19], s[38:39]
.LBB865_221:
	s_or_b64 exec, exec, s[36:37]
	v_xad_u32 v20, v31, -1, s33
	v_add_u32_e32 v24, 64, v20
	v_lshlrev_b64 v[22:23], 3, v[24:25]
	v_mov_b32_e32 v19, s19
	v_add_co_u32_e32 v26, vcc, s18, v22
	v_addc_co_u32_e32 v27, vcc, v19, v23, vcc
	global_load_dwordx2 v[22:23], v[26:27], off glc
	s_waitcnt vmcnt(0)
	v_cmp_eq_u16_sdwa s[38:39], v23, v25 src0_sel:BYTE_0 src1_sel:DWORD
	s_and_saveexec_b64 s[36:37], s[38:39]
	s_cbranch_execz .LBB865_225
; %bb.222:
	s_mov_b64 s[38:39], 0
	v_mov_b32_e32 v19, 0
.LBB865_223:                            ; =>This Inner Loop Header: Depth=1
	global_load_dwordx2 v[22:23], v[26:27], off glc
	s_waitcnt vmcnt(0)
	v_cmp_ne_u16_sdwa s[40:41], v23, v19 src0_sel:BYTE_0 src1_sel:DWORD
	s_or_b64 s[38:39], s[40:41], s[38:39]
	s_andn2_b64 exec, exec, s[38:39]
	s_cbranch_execnz .LBB865_223
; %bb.224:
	s_or_b64 exec, exec, s[38:39]
.LBB865_225:
	s_or_b64 exec, exec, s[36:37]
	v_and_b32_e32 v36, 63, v31
	v_mov_b32_e32 v19, 2
	v_cmp_ne_u32_e32 vcc, 63, v36
	v_cmp_eq_u16_sdwa s[36:37], v23, v19 src0_sel:BYTE_0 src1_sel:DWORD
	v_lshlrev_b64 v[24:25], v31, -1
	v_addc_co_u32_e32 v27, vcc, 0, v31, vcc
	v_and_b32_e32 v21, s37, v25
	v_lshlrev_b32_e32 v37, 2, v27
	v_or_b32_e32 v21, 0x80000000, v21
	ds_bpermute_b32 v27, v37, v22
	v_and_b32_e32 v26, s36, v24
	v_ffbl_b32_e32 v21, v21
	v_add_u32_e32 v21, 32, v21
	v_ffbl_b32_e32 v26, v26
	v_min_u32_e32 v21, v26, v21
	v_cmp_lt_u32_e32 vcc, v36, v21
	s_waitcnt lgkmcnt(0)
	v_cndmask_b32_e32 v26, 0, v27, vcc
	v_cmp_gt_u32_e32 vcc, 62, v36
	v_add_u32_e32 v22, v26, v22
	v_cndmask_b32_e64 v26, 0, 1, vcc
	v_lshlrev_b32_e32 v26, 1, v26
	v_add_lshl_u32 v38, v26, v31, 2
	ds_bpermute_b32 v26, v38, v22
	v_add_u32_e32 v39, 2, v36
	v_cmp_le_u32_e32 vcc, v39, v21
	v_add_u32_e32 v41, 4, v36
	v_add_u32_e32 v43, 8, v36
	s_waitcnt lgkmcnt(0)
	v_cndmask_b32_e32 v26, 0, v26, vcc
	v_cmp_gt_u32_e32 vcc, 60, v36
	v_add_u32_e32 v22, v22, v26
	v_cndmask_b32_e64 v26, 0, 1, vcc
	v_lshlrev_b32_e32 v26, 2, v26
	v_add_lshl_u32 v40, v26, v31, 2
	ds_bpermute_b32 v26, v40, v22
	v_cmp_le_u32_e32 vcc, v41, v21
	v_add_u32_e32 v46, 16, v36
	v_add_u32_e32 v48, 32, v36
	s_waitcnt lgkmcnt(0)
	v_cndmask_b32_e32 v26, 0, v26, vcc
	v_cmp_gt_u32_e32 vcc, 56, v36
	v_add_u32_e32 v22, v22, v26
	v_cndmask_b32_e64 v26, 0, 1, vcc
	v_lshlrev_b32_e32 v26, 3, v26
	v_add_lshl_u32 v42, v26, v31, 2
	ds_bpermute_b32 v26, v42, v22
	v_cmp_le_u32_e32 vcc, v43, v21
	s_waitcnt lgkmcnt(0)
	v_cndmask_b32_e32 v26, 0, v26, vcc
	v_cmp_gt_u32_e32 vcc, 48, v36
	v_add_u32_e32 v22, v22, v26
	v_cndmask_b32_e64 v26, 0, 1, vcc
	v_lshlrev_b32_e32 v26, 4, v26
	v_add_lshl_u32 v45, v26, v31, 2
	ds_bpermute_b32 v26, v45, v22
	v_cmp_le_u32_e32 vcc, v46, v21
	;; [unrolled: 9-line block ×3, first 2 shown]
	s_waitcnt lgkmcnt(0)
	v_cndmask_b32_e32 v21, 0, v26, vcc
	v_add_u32_e32 v22, v22, v21
	v_mov_b32_e32 v21, 0
	s_branch .LBB865_227
.LBB865_226:                            ;   in Loop: Header=BB865_227 Depth=1
	s_or_b64 exec, exec, s[36:37]
	v_cmp_eq_u16_sdwa s[36:37], v23, v19 src0_sel:BYTE_0 src1_sel:DWORD
	v_and_b32_e32 v26, s37, v25
	v_or_b32_e32 v26, 0x80000000, v26
	ds_bpermute_b32 v49, v37, v22
	v_and_b32_e32 v27, s36, v24
	v_ffbl_b32_e32 v26, v26
	v_add_u32_e32 v26, 32, v26
	v_ffbl_b32_e32 v27, v27
	v_min_u32_e32 v26, v27, v26
	v_cmp_lt_u32_e32 vcc, v36, v26
	s_waitcnt lgkmcnt(0)
	v_cndmask_b32_e32 v27, 0, v49, vcc
	v_add_u32_e32 v22, v27, v22
	ds_bpermute_b32 v27, v38, v22
	v_cmp_le_u32_e32 vcc, v39, v26
	v_subrev_u32_e32 v20, 64, v20
	s_waitcnt lgkmcnt(0)
	v_cndmask_b32_e32 v27, 0, v27, vcc
	v_add_u32_e32 v22, v22, v27
	ds_bpermute_b32 v27, v40, v22
	v_cmp_le_u32_e32 vcc, v41, v26
	s_waitcnt lgkmcnt(0)
	v_cndmask_b32_e32 v27, 0, v27, vcc
	v_add_u32_e32 v22, v22, v27
	ds_bpermute_b32 v27, v42, v22
	v_cmp_le_u32_e32 vcc, v43, v26
	;; [unrolled: 5-line block ×4, first 2 shown]
	s_waitcnt lgkmcnt(0)
	v_cndmask_b32_e32 v26, 0, v27, vcc
	v_add3_u32 v22, v26, v44, v22
.LBB865_227:                            ; =>This Loop Header: Depth=1
                                        ;     Child Loop BB865_230 Depth 2
	v_cmp_ne_u16_sdwa s[36:37], v23, v19 src0_sel:BYTE_0 src1_sel:DWORD
	v_cndmask_b32_e64 v23, 0, 1, s[36:37]
	;;#ASMSTART
	;;#ASMEND
	v_cmp_ne_u32_e32 vcc, 0, v23
	s_cmp_lg_u64 vcc, exec
	v_mov_b32_e32 v44, v22
	s_cbranch_scc1 .LBB865_232
; %bb.228:                              ;   in Loop: Header=BB865_227 Depth=1
	v_lshlrev_b64 v[22:23], 3, v[20:21]
	v_mov_b32_e32 v27, s19
	v_add_co_u32_e32 v26, vcc, s18, v22
	v_addc_co_u32_e32 v27, vcc, v27, v23, vcc
	global_load_dwordx2 v[22:23], v[26:27], off glc
	s_waitcnt vmcnt(0)
	v_cmp_eq_u16_sdwa s[38:39], v23, v21 src0_sel:BYTE_0 src1_sel:DWORD
	s_and_saveexec_b64 s[36:37], s[38:39]
	s_cbranch_execz .LBB865_226
; %bb.229:                              ;   in Loop: Header=BB865_227 Depth=1
	s_mov_b64 s[38:39], 0
.LBB865_230:                            ;   Parent Loop BB865_227 Depth=1
                                        ; =>  This Inner Loop Header: Depth=2
	global_load_dwordx2 v[22:23], v[26:27], off glc
	s_waitcnt vmcnt(0)
	v_cmp_ne_u16_sdwa s[40:41], v23, v21 src0_sel:BYTE_0 src1_sel:DWORD
	s_or_b64 s[38:39], s[40:41], s[38:39]
	s_andn2_b64 exec, exec, s[38:39]
	s_cbranch_execnz .LBB865_230
; %bb.231:                              ;   in Loop: Header=BB865_227 Depth=1
	s_or_b64 exec, exec, s[38:39]
	s_branch .LBB865_226
.LBB865_232:                            ;   in Loop: Header=BB865_227 Depth=1
                                        ; implicit-def: $vgpr22
                                        ; implicit-def: $vgpr23
	s_cbranch_execz .LBB865_227
; %bb.233:
	s_and_saveexec_b64 s[36:37], s[16:17]
	s_cbranch_execz .LBB865_235
; %bb.234:
	s_add_i32 s38, s33, 64
	s_mov_b32 s39, 0
	s_lshl_b64 s[38:39], s[38:39], 3
	s_add_u32 s38, s18, s38
	v_add_u32_e32 v20, v44, v18
	v_mov_b32_e32 v21, 2
	s_addc_u32 s39, s19, s39
	v_mov_b32_e32 v19, 0
	s_movk_i32 s33, 0x1000
	global_store_dwordx2 v19, v[20:21], s[38:39]
	v_add_u32_e64 v19, s33, 0
	ds_write2_b32 v19, v18, v44 offset0:32 offset1:34
.LBB865_235:
	s_or_b64 exec, exec, s[36:37]
	s_and_b64 exec, exec, s[0:1]
	s_cbranch_execz .LBB865_237
; %bb.236:
	v_mov_b32_e32 v18, 0
	ds_write_b32 v18, v44 offset:4
.LBB865_237:
	s_or_b64 exec, exec, s[26:27]
	v_mov_b32_e32 v19, 0
	s_waitcnt lgkmcnt(0)
	s_barrier
	ds_read_b32 v19, v19 offset:4
	v_cndmask_b32_e64 v18, v35, v34, s[16:17]
	s_movk_i32 s16, 0x1000
	v_add_u32_e64 v20, s16, 0
	s_waitcnt lgkmcnt(0)
	s_barrier
	ds_read2_b32 v[26:27], v20 offset0:32 offset1:34
	v_cndmask_b32_e64 v18, v18, 0, s[0:1]
	v_add_u32_e32 v24, v19, v18
	v_add_u32_sdwa v22, v24, v28 dst_sel:DWORD dst_unused:UNUSED_PAD src0_sel:DWORD src1_sel:BYTE_0
	v_add_u32_sdwa v20, v22, v28 dst_sel:DWORD dst_unused:UNUSED_PAD src0_sel:DWORD src1_sel:BYTE_1
	v_add_u32_e32 v18, v20, v30
	s_waitcnt lgkmcnt(0)
	v_readfirstlane_b32 s33, v26
	v_readfirstlane_b32 s16, v27
	s_branch .LBB865_248
.LBB865_238:
                                        ; implicit-def: $vgpr18
                                        ; implicit-def: $vgpr20
                                        ; implicit-def: $vgpr22
                                        ; implicit-def: $vgpr24
                                        ; implicit-def: $sgpr16
                                        ; implicit-def: $sgpr33
	s_cbranch_execz .LBB865_248
; %bb.239:
	s_nop 0
	v_mov_b32_dpp v18, v33 row_shr:1 row_mask:0xf bank_mask:0xf
	v_cndmask_b32_e64 v18, v18, 0, s[14:15]
	v_add_u32_e32 v18, v18, v33
	s_nop 1
	v_mov_b32_dpp v19, v18 row_shr:2 row_mask:0xf bank_mask:0xf
	v_cndmask_b32_e64 v19, 0, v19, s[12:13]
	v_add_u32_e32 v18, v18, v19
	;; [unrolled: 4-line block ×4, first 2 shown]
	s_nop 1
	v_mov_b32_dpp v19, v18 row_bcast:15 row_mask:0xf bank_mask:0xf
	v_cndmask_b32_e64 v19, v19, 0, s[6:7]
	v_add_u32_e32 v18, v18, v19
	s_nop 1
	v_mov_b32_dpp v19, v18 row_bcast:31 row_mask:0xf bank_mask:0xf
	v_cndmask_b32_e64 v19, 0, v19, s[2:3]
	v_add_u32_e32 v18, v18, v19
	s_and_saveexec_b64 s[2:3], s[4:5]
	s_cbranch_execz .LBB865_241
; %bb.240:
	v_lshlrev_b32_e32 v19, 2, v32
	ds_write_b32 v19, v18
.LBB865_241:
	s_or_b64 exec, exec, s[2:3]
	v_cmp_gt_u32_e32 vcc, 2, v0
	s_waitcnt lgkmcnt(0)
	s_barrier
	s_and_saveexec_b64 s[2:3], vcc
	s_cbranch_execz .LBB865_243
; %bb.242:
	ds_read_b32 v19, v1
	v_bfe_i32 v20, v31, 0, 1
	s_waitcnt lgkmcnt(0)
	v_mov_b32_dpp v21, v19 row_shr:1 row_mask:0xf bank_mask:0xf
	v_and_b32_e32 v20, v20, v21
	v_add_u32_e32 v19, v20, v19
	ds_write_b32 v1, v19
.LBB865_243:
	s_or_b64 exec, exec, s[2:3]
	v_cmp_lt_u32_e32 vcc, 63, v0
	v_mov_b32_e32 v19, 0
	v_mov_b32_e32 v1, 0
	s_waitcnt lgkmcnt(0)
	s_barrier
	s_and_saveexec_b64 s[2:3], vcc
	s_cbranch_execz .LBB865_245
; %bb.244:
	v_lshl_add_u32 v1, v32, 2, -4
	ds_read_b32 v1, v1
.LBB865_245:
	s_or_b64 exec, exec, s[2:3]
	v_add_u32_e32 v20, -1, v31
	v_and_b32_e32 v21, 64, v31
	v_cmp_lt_i32_e32 vcc, v20, v21
	v_cndmask_b32_e32 v20, v20, v31, vcc
	s_waitcnt lgkmcnt(0)
	v_add_u32_e32 v18, v1, v18
	v_lshlrev_b32_e32 v20, 2, v20
	ds_read_b32 v19, v19 offset:4
	ds_bpermute_b32 v18, v20, v18
	s_waitcnt lgkmcnt(1)
	v_readfirstlane_b32 s33, v19
	s_and_saveexec_b64 s[2:3], s[0:1]
	s_cbranch_execz .LBB865_247
; %bb.246:
	v_mov_b32_e32 v19, 0
	v_mov_b32_e32 v20, s33
	;; [unrolled: 1-line block ×3, first 2 shown]
	global_store_dwordx2 v19, v[20:21], s[18:19] offset:512
.LBB865_247:
	s_or_b64 exec, exec, s[2:3]
	v_cmp_eq_u32_e32 vcc, 0, v31
	s_waitcnt lgkmcnt(0)
	v_cndmask_b32_e32 v1, v18, v1, vcc
	v_cndmask_b32_e64 v24, v1, 0, s[0:1]
	v_add_u32_sdwa v22, v24, v28 dst_sel:DWORD dst_unused:UNUSED_PAD src0_sel:DWORD src1_sel:BYTE_0
	v_add_u32_sdwa v20, v22, v28 dst_sel:DWORD dst_unused:UNUSED_PAD src0_sel:DWORD src1_sel:BYTE_1
	s_mov_b32 s16, 0
	v_add_u32_e32 v18, v20, v30
	s_barrier
.LBB865_248:
	s_cmpk_lt_u32 s33, 0x81
	s_cselect_b64 s[4:5], -1, 0
	v_lshrrev_b32_e32 v1, 8, v28
	s_mov_b64 s[2:3], -1
	s_and_b64 vcc, exec, s[4:5]
	s_cbranch_vccz .LBB865_262
; %bb.249:
	s_add_i32 s6, s16, s33
	v_cmp_gt_u32_e32 vcc, s6, v24
	s_or_b64 s[8:9], s[34:35], vcc
	s_and_saveexec_b64 s[2:3], s[8:9]
	s_cbranch_execz .LBB865_252
; %bb.250:
	v_and_b32_e32 v19, 1, v28
	v_cmp_eq_u32_e32 vcc, 1, v19
	s_and_b64 exec, exec, vcc
	s_cbranch_execz .LBB865_252
; %bb.251:
	s_lshl_b64 s[8:9], s[22:23], 3
	s_add_u32 s7, s28, s8
	v_mov_b32_e32 v25, 0
	s_addc_u32 s8, s29, s9
	v_lshlrev_b64 v[26:27], 3, v[24:25]
	v_mov_b32_e32 v19, s8
	v_add_co_u32_e32 v26, vcc, s7, v26
	v_addc_co_u32_e32 v27, vcc, v19, v27, vcc
	global_store_dwordx2 v[26:27], v[14:15], off
.LBB865_252:
	s_or_b64 exec, exec, s[2:3]
	v_cmp_gt_u32_e32 vcc, s6, v22
	s_or_b64 s[8:9], s[34:35], vcc
	s_and_saveexec_b64 s[2:3], s[8:9]
	s_cbranch_execz .LBB865_255
; %bb.253:
	v_and_b32_e32 v19, 1, v1
	v_cmp_eq_u32_e32 vcc, 1, v19
	s_and_b64 exec, exec, vcc
	s_cbranch_execz .LBB865_255
; %bb.254:
	s_lshl_b64 s[8:9], s[22:23], 3
	s_add_u32 s7, s28, s8
	v_mov_b32_e32 v23, 0
	s_addc_u32 s8, s29, s9
	v_lshlrev_b64 v[26:27], 3, v[22:23]
	v_mov_b32_e32 v19, s8
	v_add_co_u32_e32 v26, vcc, s7, v26
	v_addc_co_u32_e32 v27, vcc, v19, v27, vcc
	global_store_dwordx2 v[26:27], v[16:17], off
.LBB865_255:
	s_or_b64 exec, exec, s[2:3]
	v_cmp_gt_u32_e32 vcc, s6, v20
	s_or_b64 s[8:9], s[34:35], vcc
	s_and_saveexec_b64 s[2:3], s[8:9]
	s_cbranch_execz .LBB865_258
; %bb.256:
	v_mov_b32_e32 v19, 1
	v_and_b32_sdwa v19, v19, v28 dst_sel:DWORD dst_unused:UNUSED_PAD src0_sel:DWORD src1_sel:WORD_1
	v_cmp_eq_u32_e32 vcc, 1, v19
	s_and_b64 exec, exec, vcc
	s_cbranch_execz .LBB865_258
; %bb.257:
	s_lshl_b64 s[8:9], s[22:23], 3
	s_add_u32 s7, s28, s8
	v_mov_b32_e32 v21, 0
	s_addc_u32 s8, s29, s9
	v_lshlrev_b64 v[26:27], 3, v[20:21]
	v_mov_b32_e32 v19, s8
	v_add_co_u32_e32 v26, vcc, s7, v26
	v_addc_co_u32_e32 v27, vcc, v19, v27, vcc
	global_store_dwordx2 v[26:27], v[10:11], off
.LBB865_258:
	s_or_b64 exec, exec, s[2:3]
	v_cmp_gt_u32_e32 vcc, s6, v18
	s_or_b64 s[6:7], s[34:35], vcc
	s_and_saveexec_b64 s[2:3], s[6:7]
	s_cbranch_execz .LBB865_261
; %bb.259:
	v_and_b32_e32 v19, 1, v29
	v_cmp_eq_u32_e32 vcc, 1, v19
	s_and_b64 exec, exec, vcc
	s_cbranch_execz .LBB865_261
; %bb.260:
	s_lshl_b64 s[6:7], s[22:23], 3
	s_add_u32 s6, s28, s6
	v_mov_b32_e32 v19, 0
	s_addc_u32 s7, s29, s7
	v_lshlrev_b64 v[26:27], 3, v[18:19]
	v_mov_b32_e32 v19, s7
	v_add_co_u32_e32 v26, vcc, s6, v26
	v_addc_co_u32_e32 v27, vcc, v19, v27, vcc
	global_store_dwordx2 v[26:27], v[12:13], off
.LBB865_261:
	s_or_b64 exec, exec, s[2:3]
	s_mov_b64 s[2:3], 0
.LBB865_262:
	v_and_b32_e32 v26, 1, v28
	s_and_b64 vcc, exec, s[2:3]
	v_cmp_eq_u32_e64 s[2:3], 1, v26
	s_cbranch_vccz .LBB865_275
; %bb.263:
	s_and_saveexec_b64 s[6:7], s[2:3]
	s_cbranch_execz .LBB865_265
; %bb.264:
	v_subrev_u32_e32 v19, s16, v24
	v_lshlrev_b32_e32 v19, 3, v19
	ds_write_b64 v19, v[14:15]
.LBB865_265:
	s_or_b64 exec, exec, s[6:7]
	v_and_b32_e32 v14, 1, v1
	v_cmp_eq_u32_e32 vcc, 1, v14
	s_and_saveexec_b64 s[2:3], vcc
	s_cbranch_execz .LBB865_267
; %bb.266:
	v_subrev_u32_e32 v14, s16, v22
	v_lshlrev_b32_e32 v14, 3, v14
	ds_write_b64 v14, v[16:17]
.LBB865_267:
	s_or_b64 exec, exec, s[2:3]
	v_mov_b32_e32 v14, 1
	v_and_b32_sdwa v14, v14, v28 dst_sel:DWORD dst_unused:UNUSED_PAD src0_sel:DWORD src1_sel:WORD_1
	v_cmp_eq_u32_e32 vcc, 1, v14
	s_and_saveexec_b64 s[2:3], vcc
	s_cbranch_execz .LBB865_269
; %bb.268:
	v_subrev_u32_e32 v14, s16, v20
	v_lshlrev_b32_e32 v14, 3, v14
	ds_write_b64 v14, v[10:11]
.LBB865_269:
	s_or_b64 exec, exec, s[2:3]
	v_and_b32_e32 v10, 1, v29
	v_cmp_eq_u32_e32 vcc, 1, v10
	s_and_saveexec_b64 s[2:3], vcc
	s_cbranch_execz .LBB865_271
; %bb.270:
	v_subrev_u32_e32 v10, s16, v18
	v_lshlrev_b32_e32 v10, 3, v10
	ds_write_b64 v10, v[12:13]
.LBB865_271:
	s_or_b64 exec, exec, s[2:3]
	v_cmp_gt_u32_e32 vcc, s33, v0
	s_waitcnt lgkmcnt(0)
	s_barrier
	s_and_saveexec_b64 s[2:3], vcc
	s_cbranch_execz .LBB865_274
; %bb.272:
	s_mov_b32 s17, 0
	s_lshl_b64 s[6:7], s[16:17], 3
	s_add_u32 s8, s28, s6
	s_addc_u32 s9, s29, s7
	s_lshl_b64 s[6:7], s[22:23], 3
	s_add_u32 s8, s8, s6
	s_addc_u32 s9, s9, s7
	v_lshlrev_b32_e32 v12, 3, v0
	s_mov_b64 s[6:7], 0
	v_mov_b32_e32 v11, 0
	v_mov_b32_e32 v13, s9
	;; [unrolled: 1-line block ×3, first 2 shown]
.LBB865_273:                            ; =>This Inner Loop Header: Depth=1
	ds_read_b64 v[14:15], v12
	v_lshlrev_b64 v[16:17], 3, v[10:11]
	v_add_co_u32_e32 v16, vcc, s8, v16
	v_add_u32_e32 v10, 0x80, v10
	v_addc_co_u32_e32 v17, vcc, v13, v17, vcc
	v_cmp_le_u32_e32 vcc, s33, v10
	v_add_u32_e32 v12, 0x400, v12
	s_or_b64 s[6:7], vcc, s[6:7]
	s_waitcnt lgkmcnt(0)
	global_store_dwordx2 v[16:17], v[14:15], off
	s_andn2_b64 exec, exec, s[6:7]
	s_cbranch_execnz .LBB865_273
.LBB865_274:
	s_or_b64 exec, exec, s[2:3]
.LBB865_275:
	s_mov_b64 s[2:3], -1
	s_and_b64 vcc, exec, s[4:5]
	s_barrier
	s_cbranch_vccnz .LBB865_279
; %bb.276:
	s_and_b64 vcc, exec, s[2:3]
	s_cbranch_vccnz .LBB865_292
.LBB865_277:
	s_and_b64 s[0:1], s[0:1], s[24:25]
	s_and_saveexec_b64 s[2:3], s[0:1]
	s_cbranch_execnz .LBB865_304
.LBB865_278:
	s_endpgm
.LBB865_279:
	s_add_i32 s4, s16, s33
	v_cmp_gt_u32_e32 vcc, s4, v24
	s_or_b64 s[6:7], s[34:35], vcc
	s_and_saveexec_b64 s[2:3], s[6:7]
	s_cbranch_execz .LBB865_282
; %bb.280:
	v_cmp_eq_u32_e32 vcc, 1, v26
	s_and_b64 exec, exec, vcc
	s_cbranch_execz .LBB865_282
; %bb.281:
	s_lshl_b64 s[6:7], s[22:23], 3
	s_add_u32 s5, s30, s6
	v_mov_b32_e32 v25, 0
	s_addc_u32 s6, s31, s7
	v_lshlrev_b64 v[10:11], 3, v[24:25]
	v_mov_b32_e32 v12, s6
	v_add_co_u32_e32 v10, vcc, s5, v10
	v_addc_co_u32_e32 v11, vcc, v12, v11, vcc
	global_store_dwordx2 v[10:11], v[6:7], off
.LBB865_282:
	s_or_b64 exec, exec, s[2:3]
	v_cmp_gt_u32_e32 vcc, s4, v22
	s_or_b64 s[6:7], s[34:35], vcc
	s_and_saveexec_b64 s[2:3], s[6:7]
	s_cbranch_execz .LBB865_285
; %bb.283:
	v_and_b32_e32 v10, 1, v1
	v_cmp_eq_u32_e32 vcc, 1, v10
	s_and_b64 exec, exec, vcc
	s_cbranch_execz .LBB865_285
; %bb.284:
	s_lshl_b64 s[6:7], s[22:23], 3
	s_add_u32 s5, s30, s6
	v_mov_b32_e32 v23, 0
	s_addc_u32 s6, s31, s7
	v_lshlrev_b64 v[10:11], 3, v[22:23]
	v_mov_b32_e32 v12, s6
	v_add_co_u32_e32 v10, vcc, s5, v10
	v_addc_co_u32_e32 v11, vcc, v12, v11, vcc
	global_store_dwordx2 v[10:11], v[8:9], off
.LBB865_285:
	s_or_b64 exec, exec, s[2:3]
	v_cmp_gt_u32_e32 vcc, s4, v20
	s_or_b64 s[6:7], s[34:35], vcc
	s_and_saveexec_b64 s[2:3], s[6:7]
	s_cbranch_execz .LBB865_288
; %bb.286:
	v_mov_b32_e32 v10, 1
	v_and_b32_sdwa v10, v10, v28 dst_sel:DWORD dst_unused:UNUSED_PAD src0_sel:DWORD src1_sel:WORD_1
	v_cmp_eq_u32_e32 vcc, 1, v10
	s_and_b64 exec, exec, vcc
	s_cbranch_execz .LBB865_288
; %bb.287:
	s_lshl_b64 s[6:7], s[22:23], 3
	s_add_u32 s5, s30, s6
	v_mov_b32_e32 v21, 0
	s_addc_u32 s6, s31, s7
	v_lshlrev_b64 v[10:11], 3, v[20:21]
	v_mov_b32_e32 v12, s6
	v_add_co_u32_e32 v10, vcc, s5, v10
	v_addc_co_u32_e32 v11, vcc, v12, v11, vcc
	global_store_dwordx2 v[10:11], v[2:3], off
.LBB865_288:
	s_or_b64 exec, exec, s[2:3]
	v_cmp_gt_u32_e32 vcc, s4, v18
	s_or_b64 s[4:5], s[34:35], vcc
	s_and_saveexec_b64 s[2:3], s[4:5]
	s_cbranch_execz .LBB865_291
; %bb.289:
	v_and_b32_e32 v10, 1, v29
	v_cmp_eq_u32_e32 vcc, 1, v10
	s_and_b64 exec, exec, vcc
	s_cbranch_execz .LBB865_291
; %bb.290:
	s_lshl_b64 s[4:5], s[22:23], 3
	s_add_u32 s4, s30, s4
	v_mov_b32_e32 v19, 0
	s_addc_u32 s5, s31, s5
	v_lshlrev_b64 v[10:11], 3, v[18:19]
	v_mov_b32_e32 v12, s5
	v_add_co_u32_e32 v10, vcc, s4, v10
	v_addc_co_u32_e32 v11, vcc, v12, v11, vcc
	global_store_dwordx2 v[10:11], v[4:5], off
.LBB865_291:
	s_or_b64 exec, exec, s[2:3]
	s_branch .LBB865_277
.LBB865_292:
	v_cmp_eq_u32_e32 vcc, 1, v26
	s_and_saveexec_b64 s[2:3], vcc
	s_cbranch_execz .LBB865_294
; %bb.293:
	v_subrev_u32_e32 v10, s16, v24
	v_lshlrev_b32_e32 v10, 3, v10
	ds_write_b64 v10, v[6:7]
.LBB865_294:
	s_or_b64 exec, exec, s[2:3]
	v_and_b32_e32 v1, 1, v1
	v_cmp_eq_u32_e32 vcc, 1, v1
	s_and_saveexec_b64 s[2:3], vcc
	s_cbranch_execz .LBB865_296
; %bb.295:
	v_subrev_u32_e32 v1, s16, v22
	v_lshlrev_b32_e32 v1, 3, v1
	ds_write_b64 v1, v[8:9]
.LBB865_296:
	s_or_b64 exec, exec, s[2:3]
	v_mov_b32_e32 v1, 1
	v_and_b32_sdwa v1, v1, v28 dst_sel:DWORD dst_unused:UNUSED_PAD src0_sel:DWORD src1_sel:WORD_1
	v_cmp_eq_u32_e32 vcc, 1, v1
	s_and_saveexec_b64 s[2:3], vcc
	s_cbranch_execz .LBB865_298
; %bb.297:
	v_subrev_u32_e32 v1, s16, v20
	v_lshlrev_b32_e32 v1, 3, v1
	ds_write_b64 v1, v[2:3]
.LBB865_298:
	s_or_b64 exec, exec, s[2:3]
	v_and_b32_e32 v1, 1, v29
	v_cmp_eq_u32_e32 vcc, 1, v1
	s_and_saveexec_b64 s[2:3], vcc
	s_cbranch_execz .LBB865_300
; %bb.299:
	v_subrev_u32_e32 v1, s16, v18
	v_lshlrev_b32_e32 v1, 3, v1
	ds_write_b64 v1, v[4:5]
.LBB865_300:
	s_or_b64 exec, exec, s[2:3]
	v_cmp_gt_u32_e32 vcc, s33, v0
	s_waitcnt lgkmcnt(0)
	s_barrier
	s_and_saveexec_b64 s[2:3], vcc
	s_cbranch_execz .LBB865_303
; %bb.301:
	s_mov_b32 s17, 0
	s_lshl_b64 s[4:5], s[16:17], 3
	s_add_u32 s6, s30, s4
	s_addc_u32 s7, s31, s5
	s_lshl_b64 s[4:5], s[22:23], 3
	s_add_u32 s6, s6, s4
	s_addc_u32 s7, s7, s5
	v_lshlrev_b32_e32 v2, 3, v0
	s_mov_b64 s[4:5], 0
	v_mov_b32_e32 v1, 0
	v_mov_b32_e32 v3, s7
.LBB865_302:                            ; =>This Inner Loop Header: Depth=1
	ds_read_b64 v[4:5], v2
	v_lshlrev_b64 v[6:7], 3, v[0:1]
	v_add_co_u32_e32 v6, vcc, s6, v6
	v_add_u32_e32 v0, 0x80, v0
	v_addc_co_u32_e32 v7, vcc, v3, v7, vcc
	v_cmp_le_u32_e32 vcc, s33, v0
	v_add_u32_e32 v2, 0x400, v2
	s_or_b64 s[4:5], vcc, s[4:5]
	s_waitcnt lgkmcnt(0)
	global_store_dwordx2 v[6:7], v[4:5], off
	s_andn2_b64 exec, exec, s[4:5]
	s_cbranch_execnz .LBB865_302
.LBB865_303:
	s_or_b64 exec, exec, s[2:3]
	s_and_b64 s[0:1], s[0:1], s[24:25]
	s_and_saveexec_b64 s[2:3], s[0:1]
	s_cbranch_execz .LBB865_278
.LBB865_304:
	s_add_u32 s0, s22, s33
	s_addc_u32 s1, s23, 0
	s_add_u32 s0, s0, s16
	s_addc_u32 s1, s1, 0
	v_mov_b32_e32 v2, 0
	v_pk_mov_b32 v[0:1], s[0:1], s[0:1] op_sel:[0,1]
	global_store_dwordx2 v2, v[0:1], s[20:21]
	s_endpgm
	.section	.rodata,"a",@progbits
	.p2align	6, 0x0
	.amdhsa_kernel _ZN7rocprim17ROCPRIM_400000_NS6detail17trampoline_kernelINS0_14default_configENS1_25partition_config_selectorILNS1_17partition_subalgoE9EllbEEZZNS1_14partition_implILS5_9ELb0ES3_jPlS8_PNS0_10empty_typeENS0_5tupleIJS8_S9_EEENSB_IJS8_SA_EEENS0_18inequality_wrapperIZN2at6native12_GLOBAL__N_124unique_dim_cuda_templateIdEESt5tupleIJNSF_6TensorESK_SK_EERKSK_lbbbEUlllE0_EEPmJS9_EEE10hipError_tPvRmT3_T4_T5_T6_T7_T9_mT8_P12ihipStream_tbDpT10_ENKUlT_T0_E_clISt17integral_constantIbLb0EES19_IbLb1EEEEDaS15_S16_EUlS15_E_NS1_11comp_targetILNS1_3genE4ELNS1_11target_archE910ELNS1_3gpuE8ELNS1_3repE0EEENS1_30default_config_static_selectorELNS0_4arch9wavefront6targetE1EEEvT1_
		.amdhsa_group_segment_fixed_size 4236
		.amdhsa_private_segment_fixed_size 0
		.amdhsa_kernarg_size 136
		.amdhsa_user_sgpr_count 6
		.amdhsa_user_sgpr_private_segment_buffer 1
		.amdhsa_user_sgpr_dispatch_ptr 0
		.amdhsa_user_sgpr_queue_ptr 0
		.amdhsa_user_sgpr_kernarg_segment_ptr 1
		.amdhsa_user_sgpr_dispatch_id 0
		.amdhsa_user_sgpr_flat_scratch_init 0
		.amdhsa_user_sgpr_kernarg_preload_length 0
		.amdhsa_user_sgpr_kernarg_preload_offset 0
		.amdhsa_user_sgpr_private_segment_size 0
		.amdhsa_uses_dynamic_stack 0
		.amdhsa_system_sgpr_private_segment_wavefront_offset 0
		.amdhsa_system_sgpr_workgroup_id_x 1
		.amdhsa_system_sgpr_workgroup_id_y 0
		.amdhsa_system_sgpr_workgroup_id_z 0
		.amdhsa_system_sgpr_workgroup_info 0
		.amdhsa_system_vgpr_workitem_id 0
		.amdhsa_next_free_vgpr 50
		.amdhsa_next_free_sgpr 52
		.amdhsa_accum_offset 52
		.amdhsa_reserve_vcc 1
		.amdhsa_reserve_flat_scratch 0
		.amdhsa_float_round_mode_32 0
		.amdhsa_float_round_mode_16_64 0
		.amdhsa_float_denorm_mode_32 3
		.amdhsa_float_denorm_mode_16_64 3
		.amdhsa_dx10_clamp 1
		.amdhsa_ieee_mode 1
		.amdhsa_fp16_overflow 0
		.amdhsa_tg_split 0
		.amdhsa_exception_fp_ieee_invalid_op 0
		.amdhsa_exception_fp_denorm_src 0
		.amdhsa_exception_fp_ieee_div_zero 0
		.amdhsa_exception_fp_ieee_overflow 0
		.amdhsa_exception_fp_ieee_underflow 0
		.amdhsa_exception_fp_ieee_inexact 0
		.amdhsa_exception_int_div_zero 0
	.end_amdhsa_kernel
	.section	.text._ZN7rocprim17ROCPRIM_400000_NS6detail17trampoline_kernelINS0_14default_configENS1_25partition_config_selectorILNS1_17partition_subalgoE9EllbEEZZNS1_14partition_implILS5_9ELb0ES3_jPlS8_PNS0_10empty_typeENS0_5tupleIJS8_S9_EEENSB_IJS8_SA_EEENS0_18inequality_wrapperIZN2at6native12_GLOBAL__N_124unique_dim_cuda_templateIdEESt5tupleIJNSF_6TensorESK_SK_EERKSK_lbbbEUlllE0_EEPmJS9_EEE10hipError_tPvRmT3_T4_T5_T6_T7_T9_mT8_P12ihipStream_tbDpT10_ENKUlT_T0_E_clISt17integral_constantIbLb0EES19_IbLb1EEEEDaS15_S16_EUlS15_E_NS1_11comp_targetILNS1_3genE4ELNS1_11target_archE910ELNS1_3gpuE8ELNS1_3repE0EEENS1_30default_config_static_selectorELNS0_4arch9wavefront6targetE1EEEvT1_,"axG",@progbits,_ZN7rocprim17ROCPRIM_400000_NS6detail17trampoline_kernelINS0_14default_configENS1_25partition_config_selectorILNS1_17partition_subalgoE9EllbEEZZNS1_14partition_implILS5_9ELb0ES3_jPlS8_PNS0_10empty_typeENS0_5tupleIJS8_S9_EEENSB_IJS8_SA_EEENS0_18inequality_wrapperIZN2at6native12_GLOBAL__N_124unique_dim_cuda_templateIdEESt5tupleIJNSF_6TensorESK_SK_EERKSK_lbbbEUlllE0_EEPmJS9_EEE10hipError_tPvRmT3_T4_T5_T6_T7_T9_mT8_P12ihipStream_tbDpT10_ENKUlT_T0_E_clISt17integral_constantIbLb0EES19_IbLb1EEEEDaS15_S16_EUlS15_E_NS1_11comp_targetILNS1_3genE4ELNS1_11target_archE910ELNS1_3gpuE8ELNS1_3repE0EEENS1_30default_config_static_selectorELNS0_4arch9wavefront6targetE1EEEvT1_,comdat
.Lfunc_end865:
	.size	_ZN7rocprim17ROCPRIM_400000_NS6detail17trampoline_kernelINS0_14default_configENS1_25partition_config_selectorILNS1_17partition_subalgoE9EllbEEZZNS1_14partition_implILS5_9ELb0ES3_jPlS8_PNS0_10empty_typeENS0_5tupleIJS8_S9_EEENSB_IJS8_SA_EEENS0_18inequality_wrapperIZN2at6native12_GLOBAL__N_124unique_dim_cuda_templateIdEESt5tupleIJNSF_6TensorESK_SK_EERKSK_lbbbEUlllE0_EEPmJS9_EEE10hipError_tPvRmT3_T4_T5_T6_T7_T9_mT8_P12ihipStream_tbDpT10_ENKUlT_T0_E_clISt17integral_constantIbLb0EES19_IbLb1EEEEDaS15_S16_EUlS15_E_NS1_11comp_targetILNS1_3genE4ELNS1_11target_archE910ELNS1_3gpuE8ELNS1_3repE0EEENS1_30default_config_static_selectorELNS0_4arch9wavefront6targetE1EEEvT1_, .Lfunc_end865-_ZN7rocprim17ROCPRIM_400000_NS6detail17trampoline_kernelINS0_14default_configENS1_25partition_config_selectorILNS1_17partition_subalgoE9EllbEEZZNS1_14partition_implILS5_9ELb0ES3_jPlS8_PNS0_10empty_typeENS0_5tupleIJS8_S9_EEENSB_IJS8_SA_EEENS0_18inequality_wrapperIZN2at6native12_GLOBAL__N_124unique_dim_cuda_templateIdEESt5tupleIJNSF_6TensorESK_SK_EERKSK_lbbbEUlllE0_EEPmJS9_EEE10hipError_tPvRmT3_T4_T5_T6_T7_T9_mT8_P12ihipStream_tbDpT10_ENKUlT_T0_E_clISt17integral_constantIbLb0EES19_IbLb1EEEEDaS15_S16_EUlS15_E_NS1_11comp_targetILNS1_3genE4ELNS1_11target_archE910ELNS1_3gpuE8ELNS1_3repE0EEENS1_30default_config_static_selectorELNS0_4arch9wavefront6targetE1EEEvT1_
                                        ; -- End function
	.section	.AMDGPU.csdata,"",@progbits
; Kernel info:
; codeLenInByte = 10900
; NumSgprs: 56
; NumVgprs: 50
; NumAgprs: 0
; TotalNumVgprs: 50
; ScratchSize: 0
; MemoryBound: 1
; FloatMode: 240
; IeeeMode: 1
; LDSByteSize: 4236 bytes/workgroup (compile time only)
; SGPRBlocks: 6
; VGPRBlocks: 6
; NumSGPRsForWavesPerEU: 56
; NumVGPRsForWavesPerEU: 50
; AccumOffset: 52
; Occupancy: 8
; WaveLimiterHint : 1
; COMPUTE_PGM_RSRC2:SCRATCH_EN: 0
; COMPUTE_PGM_RSRC2:USER_SGPR: 6
; COMPUTE_PGM_RSRC2:TRAP_HANDLER: 0
; COMPUTE_PGM_RSRC2:TGID_X_EN: 1
; COMPUTE_PGM_RSRC2:TGID_Y_EN: 0
; COMPUTE_PGM_RSRC2:TGID_Z_EN: 0
; COMPUTE_PGM_RSRC2:TIDIG_COMP_CNT: 0
; COMPUTE_PGM_RSRC3_GFX90A:ACCUM_OFFSET: 12
; COMPUTE_PGM_RSRC3_GFX90A:TG_SPLIT: 0
	.section	.text._ZN7rocprim17ROCPRIM_400000_NS6detail17trampoline_kernelINS0_14default_configENS1_25partition_config_selectorILNS1_17partition_subalgoE9EllbEEZZNS1_14partition_implILS5_9ELb0ES3_jPlS8_PNS0_10empty_typeENS0_5tupleIJS8_S9_EEENSB_IJS8_SA_EEENS0_18inequality_wrapperIZN2at6native12_GLOBAL__N_124unique_dim_cuda_templateIdEESt5tupleIJNSF_6TensorESK_SK_EERKSK_lbbbEUlllE0_EEPmJS9_EEE10hipError_tPvRmT3_T4_T5_T6_T7_T9_mT8_P12ihipStream_tbDpT10_ENKUlT_T0_E_clISt17integral_constantIbLb0EES19_IbLb1EEEEDaS15_S16_EUlS15_E_NS1_11comp_targetILNS1_3genE3ELNS1_11target_archE908ELNS1_3gpuE7ELNS1_3repE0EEENS1_30default_config_static_selectorELNS0_4arch9wavefront6targetE1EEEvT1_,"axG",@progbits,_ZN7rocprim17ROCPRIM_400000_NS6detail17trampoline_kernelINS0_14default_configENS1_25partition_config_selectorILNS1_17partition_subalgoE9EllbEEZZNS1_14partition_implILS5_9ELb0ES3_jPlS8_PNS0_10empty_typeENS0_5tupleIJS8_S9_EEENSB_IJS8_SA_EEENS0_18inequality_wrapperIZN2at6native12_GLOBAL__N_124unique_dim_cuda_templateIdEESt5tupleIJNSF_6TensorESK_SK_EERKSK_lbbbEUlllE0_EEPmJS9_EEE10hipError_tPvRmT3_T4_T5_T6_T7_T9_mT8_P12ihipStream_tbDpT10_ENKUlT_T0_E_clISt17integral_constantIbLb0EES19_IbLb1EEEEDaS15_S16_EUlS15_E_NS1_11comp_targetILNS1_3genE3ELNS1_11target_archE908ELNS1_3gpuE7ELNS1_3repE0EEENS1_30default_config_static_selectorELNS0_4arch9wavefront6targetE1EEEvT1_,comdat
	.globl	_ZN7rocprim17ROCPRIM_400000_NS6detail17trampoline_kernelINS0_14default_configENS1_25partition_config_selectorILNS1_17partition_subalgoE9EllbEEZZNS1_14partition_implILS5_9ELb0ES3_jPlS8_PNS0_10empty_typeENS0_5tupleIJS8_S9_EEENSB_IJS8_SA_EEENS0_18inequality_wrapperIZN2at6native12_GLOBAL__N_124unique_dim_cuda_templateIdEESt5tupleIJNSF_6TensorESK_SK_EERKSK_lbbbEUlllE0_EEPmJS9_EEE10hipError_tPvRmT3_T4_T5_T6_T7_T9_mT8_P12ihipStream_tbDpT10_ENKUlT_T0_E_clISt17integral_constantIbLb0EES19_IbLb1EEEEDaS15_S16_EUlS15_E_NS1_11comp_targetILNS1_3genE3ELNS1_11target_archE908ELNS1_3gpuE7ELNS1_3repE0EEENS1_30default_config_static_selectorELNS0_4arch9wavefront6targetE1EEEvT1_ ; -- Begin function _ZN7rocprim17ROCPRIM_400000_NS6detail17trampoline_kernelINS0_14default_configENS1_25partition_config_selectorILNS1_17partition_subalgoE9EllbEEZZNS1_14partition_implILS5_9ELb0ES3_jPlS8_PNS0_10empty_typeENS0_5tupleIJS8_S9_EEENSB_IJS8_SA_EEENS0_18inequality_wrapperIZN2at6native12_GLOBAL__N_124unique_dim_cuda_templateIdEESt5tupleIJNSF_6TensorESK_SK_EERKSK_lbbbEUlllE0_EEPmJS9_EEE10hipError_tPvRmT3_T4_T5_T6_T7_T9_mT8_P12ihipStream_tbDpT10_ENKUlT_T0_E_clISt17integral_constantIbLb0EES19_IbLb1EEEEDaS15_S16_EUlS15_E_NS1_11comp_targetILNS1_3genE3ELNS1_11target_archE908ELNS1_3gpuE7ELNS1_3repE0EEENS1_30default_config_static_selectorELNS0_4arch9wavefront6targetE1EEEvT1_
	.p2align	8
	.type	_ZN7rocprim17ROCPRIM_400000_NS6detail17trampoline_kernelINS0_14default_configENS1_25partition_config_selectorILNS1_17partition_subalgoE9EllbEEZZNS1_14partition_implILS5_9ELb0ES3_jPlS8_PNS0_10empty_typeENS0_5tupleIJS8_S9_EEENSB_IJS8_SA_EEENS0_18inequality_wrapperIZN2at6native12_GLOBAL__N_124unique_dim_cuda_templateIdEESt5tupleIJNSF_6TensorESK_SK_EERKSK_lbbbEUlllE0_EEPmJS9_EEE10hipError_tPvRmT3_T4_T5_T6_T7_T9_mT8_P12ihipStream_tbDpT10_ENKUlT_T0_E_clISt17integral_constantIbLb0EES19_IbLb1EEEEDaS15_S16_EUlS15_E_NS1_11comp_targetILNS1_3genE3ELNS1_11target_archE908ELNS1_3gpuE7ELNS1_3repE0EEENS1_30default_config_static_selectorELNS0_4arch9wavefront6targetE1EEEvT1_,@function
_ZN7rocprim17ROCPRIM_400000_NS6detail17trampoline_kernelINS0_14default_configENS1_25partition_config_selectorILNS1_17partition_subalgoE9EllbEEZZNS1_14partition_implILS5_9ELb0ES3_jPlS8_PNS0_10empty_typeENS0_5tupleIJS8_S9_EEENSB_IJS8_SA_EEENS0_18inequality_wrapperIZN2at6native12_GLOBAL__N_124unique_dim_cuda_templateIdEESt5tupleIJNSF_6TensorESK_SK_EERKSK_lbbbEUlllE0_EEPmJS9_EEE10hipError_tPvRmT3_T4_T5_T6_T7_T9_mT8_P12ihipStream_tbDpT10_ENKUlT_T0_E_clISt17integral_constantIbLb0EES19_IbLb1EEEEDaS15_S16_EUlS15_E_NS1_11comp_targetILNS1_3genE3ELNS1_11target_archE908ELNS1_3gpuE7ELNS1_3repE0EEENS1_30default_config_static_selectorELNS0_4arch9wavefront6targetE1EEEvT1_: ; @_ZN7rocprim17ROCPRIM_400000_NS6detail17trampoline_kernelINS0_14default_configENS1_25partition_config_selectorILNS1_17partition_subalgoE9EllbEEZZNS1_14partition_implILS5_9ELb0ES3_jPlS8_PNS0_10empty_typeENS0_5tupleIJS8_S9_EEENSB_IJS8_SA_EEENS0_18inequality_wrapperIZN2at6native12_GLOBAL__N_124unique_dim_cuda_templateIdEESt5tupleIJNSF_6TensorESK_SK_EERKSK_lbbbEUlllE0_EEPmJS9_EEE10hipError_tPvRmT3_T4_T5_T6_T7_T9_mT8_P12ihipStream_tbDpT10_ENKUlT_T0_E_clISt17integral_constantIbLb0EES19_IbLb1EEEEDaS15_S16_EUlS15_E_NS1_11comp_targetILNS1_3genE3ELNS1_11target_archE908ELNS1_3gpuE7ELNS1_3repE0EEENS1_30default_config_static_selectorELNS0_4arch9wavefront6targetE1EEEvT1_
; %bb.0:
	.section	.rodata,"a",@progbits
	.p2align	6, 0x0
	.amdhsa_kernel _ZN7rocprim17ROCPRIM_400000_NS6detail17trampoline_kernelINS0_14default_configENS1_25partition_config_selectorILNS1_17partition_subalgoE9EllbEEZZNS1_14partition_implILS5_9ELb0ES3_jPlS8_PNS0_10empty_typeENS0_5tupleIJS8_S9_EEENSB_IJS8_SA_EEENS0_18inequality_wrapperIZN2at6native12_GLOBAL__N_124unique_dim_cuda_templateIdEESt5tupleIJNSF_6TensorESK_SK_EERKSK_lbbbEUlllE0_EEPmJS9_EEE10hipError_tPvRmT3_T4_T5_T6_T7_T9_mT8_P12ihipStream_tbDpT10_ENKUlT_T0_E_clISt17integral_constantIbLb0EES19_IbLb1EEEEDaS15_S16_EUlS15_E_NS1_11comp_targetILNS1_3genE3ELNS1_11target_archE908ELNS1_3gpuE7ELNS1_3repE0EEENS1_30default_config_static_selectorELNS0_4arch9wavefront6targetE1EEEvT1_
		.amdhsa_group_segment_fixed_size 0
		.amdhsa_private_segment_fixed_size 0
		.amdhsa_kernarg_size 136
		.amdhsa_user_sgpr_count 6
		.amdhsa_user_sgpr_private_segment_buffer 1
		.amdhsa_user_sgpr_dispatch_ptr 0
		.amdhsa_user_sgpr_queue_ptr 0
		.amdhsa_user_sgpr_kernarg_segment_ptr 1
		.amdhsa_user_sgpr_dispatch_id 0
		.amdhsa_user_sgpr_flat_scratch_init 0
		.amdhsa_user_sgpr_kernarg_preload_length 0
		.amdhsa_user_sgpr_kernarg_preload_offset 0
		.amdhsa_user_sgpr_private_segment_size 0
		.amdhsa_uses_dynamic_stack 0
		.amdhsa_system_sgpr_private_segment_wavefront_offset 0
		.amdhsa_system_sgpr_workgroup_id_x 1
		.amdhsa_system_sgpr_workgroup_id_y 0
		.amdhsa_system_sgpr_workgroup_id_z 0
		.amdhsa_system_sgpr_workgroup_info 0
		.amdhsa_system_vgpr_workitem_id 0
		.amdhsa_next_free_vgpr 1
		.amdhsa_next_free_sgpr 0
		.amdhsa_accum_offset 4
		.amdhsa_reserve_vcc 0
		.amdhsa_reserve_flat_scratch 0
		.amdhsa_float_round_mode_32 0
		.amdhsa_float_round_mode_16_64 0
		.amdhsa_float_denorm_mode_32 3
		.amdhsa_float_denorm_mode_16_64 3
		.amdhsa_dx10_clamp 1
		.amdhsa_ieee_mode 1
		.amdhsa_fp16_overflow 0
		.amdhsa_tg_split 0
		.amdhsa_exception_fp_ieee_invalid_op 0
		.amdhsa_exception_fp_denorm_src 0
		.amdhsa_exception_fp_ieee_div_zero 0
		.amdhsa_exception_fp_ieee_overflow 0
		.amdhsa_exception_fp_ieee_underflow 0
		.amdhsa_exception_fp_ieee_inexact 0
		.amdhsa_exception_int_div_zero 0
	.end_amdhsa_kernel
	.section	.text._ZN7rocprim17ROCPRIM_400000_NS6detail17trampoline_kernelINS0_14default_configENS1_25partition_config_selectorILNS1_17partition_subalgoE9EllbEEZZNS1_14partition_implILS5_9ELb0ES3_jPlS8_PNS0_10empty_typeENS0_5tupleIJS8_S9_EEENSB_IJS8_SA_EEENS0_18inequality_wrapperIZN2at6native12_GLOBAL__N_124unique_dim_cuda_templateIdEESt5tupleIJNSF_6TensorESK_SK_EERKSK_lbbbEUlllE0_EEPmJS9_EEE10hipError_tPvRmT3_T4_T5_T6_T7_T9_mT8_P12ihipStream_tbDpT10_ENKUlT_T0_E_clISt17integral_constantIbLb0EES19_IbLb1EEEEDaS15_S16_EUlS15_E_NS1_11comp_targetILNS1_3genE3ELNS1_11target_archE908ELNS1_3gpuE7ELNS1_3repE0EEENS1_30default_config_static_selectorELNS0_4arch9wavefront6targetE1EEEvT1_,"axG",@progbits,_ZN7rocprim17ROCPRIM_400000_NS6detail17trampoline_kernelINS0_14default_configENS1_25partition_config_selectorILNS1_17partition_subalgoE9EllbEEZZNS1_14partition_implILS5_9ELb0ES3_jPlS8_PNS0_10empty_typeENS0_5tupleIJS8_S9_EEENSB_IJS8_SA_EEENS0_18inequality_wrapperIZN2at6native12_GLOBAL__N_124unique_dim_cuda_templateIdEESt5tupleIJNSF_6TensorESK_SK_EERKSK_lbbbEUlllE0_EEPmJS9_EEE10hipError_tPvRmT3_T4_T5_T6_T7_T9_mT8_P12ihipStream_tbDpT10_ENKUlT_T0_E_clISt17integral_constantIbLb0EES19_IbLb1EEEEDaS15_S16_EUlS15_E_NS1_11comp_targetILNS1_3genE3ELNS1_11target_archE908ELNS1_3gpuE7ELNS1_3repE0EEENS1_30default_config_static_selectorELNS0_4arch9wavefront6targetE1EEEvT1_,comdat
.Lfunc_end866:
	.size	_ZN7rocprim17ROCPRIM_400000_NS6detail17trampoline_kernelINS0_14default_configENS1_25partition_config_selectorILNS1_17partition_subalgoE9EllbEEZZNS1_14partition_implILS5_9ELb0ES3_jPlS8_PNS0_10empty_typeENS0_5tupleIJS8_S9_EEENSB_IJS8_SA_EEENS0_18inequality_wrapperIZN2at6native12_GLOBAL__N_124unique_dim_cuda_templateIdEESt5tupleIJNSF_6TensorESK_SK_EERKSK_lbbbEUlllE0_EEPmJS9_EEE10hipError_tPvRmT3_T4_T5_T6_T7_T9_mT8_P12ihipStream_tbDpT10_ENKUlT_T0_E_clISt17integral_constantIbLb0EES19_IbLb1EEEEDaS15_S16_EUlS15_E_NS1_11comp_targetILNS1_3genE3ELNS1_11target_archE908ELNS1_3gpuE7ELNS1_3repE0EEENS1_30default_config_static_selectorELNS0_4arch9wavefront6targetE1EEEvT1_, .Lfunc_end866-_ZN7rocprim17ROCPRIM_400000_NS6detail17trampoline_kernelINS0_14default_configENS1_25partition_config_selectorILNS1_17partition_subalgoE9EllbEEZZNS1_14partition_implILS5_9ELb0ES3_jPlS8_PNS0_10empty_typeENS0_5tupleIJS8_S9_EEENSB_IJS8_SA_EEENS0_18inequality_wrapperIZN2at6native12_GLOBAL__N_124unique_dim_cuda_templateIdEESt5tupleIJNSF_6TensorESK_SK_EERKSK_lbbbEUlllE0_EEPmJS9_EEE10hipError_tPvRmT3_T4_T5_T6_T7_T9_mT8_P12ihipStream_tbDpT10_ENKUlT_T0_E_clISt17integral_constantIbLb0EES19_IbLb1EEEEDaS15_S16_EUlS15_E_NS1_11comp_targetILNS1_3genE3ELNS1_11target_archE908ELNS1_3gpuE7ELNS1_3repE0EEENS1_30default_config_static_selectorELNS0_4arch9wavefront6targetE1EEEvT1_
                                        ; -- End function
	.section	.AMDGPU.csdata,"",@progbits
; Kernel info:
; codeLenInByte = 0
; NumSgprs: 4
; NumVgprs: 0
; NumAgprs: 0
; TotalNumVgprs: 0
; ScratchSize: 0
; MemoryBound: 0
; FloatMode: 240
; IeeeMode: 1
; LDSByteSize: 0 bytes/workgroup (compile time only)
; SGPRBlocks: 0
; VGPRBlocks: 0
; NumSGPRsForWavesPerEU: 4
; NumVGPRsForWavesPerEU: 1
; AccumOffset: 4
; Occupancy: 8
; WaveLimiterHint : 0
; COMPUTE_PGM_RSRC2:SCRATCH_EN: 0
; COMPUTE_PGM_RSRC2:USER_SGPR: 6
; COMPUTE_PGM_RSRC2:TRAP_HANDLER: 0
; COMPUTE_PGM_RSRC2:TGID_X_EN: 1
; COMPUTE_PGM_RSRC2:TGID_Y_EN: 0
; COMPUTE_PGM_RSRC2:TGID_Z_EN: 0
; COMPUTE_PGM_RSRC2:TIDIG_COMP_CNT: 0
; COMPUTE_PGM_RSRC3_GFX90A:ACCUM_OFFSET: 0
; COMPUTE_PGM_RSRC3_GFX90A:TG_SPLIT: 0
	.section	.text._ZN7rocprim17ROCPRIM_400000_NS6detail17trampoline_kernelINS0_14default_configENS1_25partition_config_selectorILNS1_17partition_subalgoE9EllbEEZZNS1_14partition_implILS5_9ELb0ES3_jPlS8_PNS0_10empty_typeENS0_5tupleIJS8_S9_EEENSB_IJS8_SA_EEENS0_18inequality_wrapperIZN2at6native12_GLOBAL__N_124unique_dim_cuda_templateIdEESt5tupleIJNSF_6TensorESK_SK_EERKSK_lbbbEUlllE0_EEPmJS9_EEE10hipError_tPvRmT3_T4_T5_T6_T7_T9_mT8_P12ihipStream_tbDpT10_ENKUlT_T0_E_clISt17integral_constantIbLb0EES19_IbLb1EEEEDaS15_S16_EUlS15_E_NS1_11comp_targetILNS1_3genE2ELNS1_11target_archE906ELNS1_3gpuE6ELNS1_3repE0EEENS1_30default_config_static_selectorELNS0_4arch9wavefront6targetE1EEEvT1_,"axG",@progbits,_ZN7rocprim17ROCPRIM_400000_NS6detail17trampoline_kernelINS0_14default_configENS1_25partition_config_selectorILNS1_17partition_subalgoE9EllbEEZZNS1_14partition_implILS5_9ELb0ES3_jPlS8_PNS0_10empty_typeENS0_5tupleIJS8_S9_EEENSB_IJS8_SA_EEENS0_18inequality_wrapperIZN2at6native12_GLOBAL__N_124unique_dim_cuda_templateIdEESt5tupleIJNSF_6TensorESK_SK_EERKSK_lbbbEUlllE0_EEPmJS9_EEE10hipError_tPvRmT3_T4_T5_T6_T7_T9_mT8_P12ihipStream_tbDpT10_ENKUlT_T0_E_clISt17integral_constantIbLb0EES19_IbLb1EEEEDaS15_S16_EUlS15_E_NS1_11comp_targetILNS1_3genE2ELNS1_11target_archE906ELNS1_3gpuE6ELNS1_3repE0EEENS1_30default_config_static_selectorELNS0_4arch9wavefront6targetE1EEEvT1_,comdat
	.globl	_ZN7rocprim17ROCPRIM_400000_NS6detail17trampoline_kernelINS0_14default_configENS1_25partition_config_selectorILNS1_17partition_subalgoE9EllbEEZZNS1_14partition_implILS5_9ELb0ES3_jPlS8_PNS0_10empty_typeENS0_5tupleIJS8_S9_EEENSB_IJS8_SA_EEENS0_18inequality_wrapperIZN2at6native12_GLOBAL__N_124unique_dim_cuda_templateIdEESt5tupleIJNSF_6TensorESK_SK_EERKSK_lbbbEUlllE0_EEPmJS9_EEE10hipError_tPvRmT3_T4_T5_T6_T7_T9_mT8_P12ihipStream_tbDpT10_ENKUlT_T0_E_clISt17integral_constantIbLb0EES19_IbLb1EEEEDaS15_S16_EUlS15_E_NS1_11comp_targetILNS1_3genE2ELNS1_11target_archE906ELNS1_3gpuE6ELNS1_3repE0EEENS1_30default_config_static_selectorELNS0_4arch9wavefront6targetE1EEEvT1_ ; -- Begin function _ZN7rocprim17ROCPRIM_400000_NS6detail17trampoline_kernelINS0_14default_configENS1_25partition_config_selectorILNS1_17partition_subalgoE9EllbEEZZNS1_14partition_implILS5_9ELb0ES3_jPlS8_PNS0_10empty_typeENS0_5tupleIJS8_S9_EEENSB_IJS8_SA_EEENS0_18inequality_wrapperIZN2at6native12_GLOBAL__N_124unique_dim_cuda_templateIdEESt5tupleIJNSF_6TensorESK_SK_EERKSK_lbbbEUlllE0_EEPmJS9_EEE10hipError_tPvRmT3_T4_T5_T6_T7_T9_mT8_P12ihipStream_tbDpT10_ENKUlT_T0_E_clISt17integral_constantIbLb0EES19_IbLb1EEEEDaS15_S16_EUlS15_E_NS1_11comp_targetILNS1_3genE2ELNS1_11target_archE906ELNS1_3gpuE6ELNS1_3repE0EEENS1_30default_config_static_selectorELNS0_4arch9wavefront6targetE1EEEvT1_
	.p2align	8
	.type	_ZN7rocprim17ROCPRIM_400000_NS6detail17trampoline_kernelINS0_14default_configENS1_25partition_config_selectorILNS1_17partition_subalgoE9EllbEEZZNS1_14partition_implILS5_9ELb0ES3_jPlS8_PNS0_10empty_typeENS0_5tupleIJS8_S9_EEENSB_IJS8_SA_EEENS0_18inequality_wrapperIZN2at6native12_GLOBAL__N_124unique_dim_cuda_templateIdEESt5tupleIJNSF_6TensorESK_SK_EERKSK_lbbbEUlllE0_EEPmJS9_EEE10hipError_tPvRmT3_T4_T5_T6_T7_T9_mT8_P12ihipStream_tbDpT10_ENKUlT_T0_E_clISt17integral_constantIbLb0EES19_IbLb1EEEEDaS15_S16_EUlS15_E_NS1_11comp_targetILNS1_3genE2ELNS1_11target_archE906ELNS1_3gpuE6ELNS1_3repE0EEENS1_30default_config_static_selectorELNS0_4arch9wavefront6targetE1EEEvT1_,@function
_ZN7rocprim17ROCPRIM_400000_NS6detail17trampoline_kernelINS0_14default_configENS1_25partition_config_selectorILNS1_17partition_subalgoE9EllbEEZZNS1_14partition_implILS5_9ELb0ES3_jPlS8_PNS0_10empty_typeENS0_5tupleIJS8_S9_EEENSB_IJS8_SA_EEENS0_18inequality_wrapperIZN2at6native12_GLOBAL__N_124unique_dim_cuda_templateIdEESt5tupleIJNSF_6TensorESK_SK_EERKSK_lbbbEUlllE0_EEPmJS9_EEE10hipError_tPvRmT3_T4_T5_T6_T7_T9_mT8_P12ihipStream_tbDpT10_ENKUlT_T0_E_clISt17integral_constantIbLb0EES19_IbLb1EEEEDaS15_S16_EUlS15_E_NS1_11comp_targetILNS1_3genE2ELNS1_11target_archE906ELNS1_3gpuE6ELNS1_3repE0EEENS1_30default_config_static_selectorELNS0_4arch9wavefront6targetE1EEEvT1_: ; @_ZN7rocprim17ROCPRIM_400000_NS6detail17trampoline_kernelINS0_14default_configENS1_25partition_config_selectorILNS1_17partition_subalgoE9EllbEEZZNS1_14partition_implILS5_9ELb0ES3_jPlS8_PNS0_10empty_typeENS0_5tupleIJS8_S9_EEENSB_IJS8_SA_EEENS0_18inequality_wrapperIZN2at6native12_GLOBAL__N_124unique_dim_cuda_templateIdEESt5tupleIJNSF_6TensorESK_SK_EERKSK_lbbbEUlllE0_EEPmJS9_EEE10hipError_tPvRmT3_T4_T5_T6_T7_T9_mT8_P12ihipStream_tbDpT10_ENKUlT_T0_E_clISt17integral_constantIbLb0EES19_IbLb1EEEEDaS15_S16_EUlS15_E_NS1_11comp_targetILNS1_3genE2ELNS1_11target_archE906ELNS1_3gpuE6ELNS1_3repE0EEENS1_30default_config_static_selectorELNS0_4arch9wavefront6targetE1EEEvT1_
; %bb.0:
	.section	.rodata,"a",@progbits
	.p2align	6, 0x0
	.amdhsa_kernel _ZN7rocprim17ROCPRIM_400000_NS6detail17trampoline_kernelINS0_14default_configENS1_25partition_config_selectorILNS1_17partition_subalgoE9EllbEEZZNS1_14partition_implILS5_9ELb0ES3_jPlS8_PNS0_10empty_typeENS0_5tupleIJS8_S9_EEENSB_IJS8_SA_EEENS0_18inequality_wrapperIZN2at6native12_GLOBAL__N_124unique_dim_cuda_templateIdEESt5tupleIJNSF_6TensorESK_SK_EERKSK_lbbbEUlllE0_EEPmJS9_EEE10hipError_tPvRmT3_T4_T5_T6_T7_T9_mT8_P12ihipStream_tbDpT10_ENKUlT_T0_E_clISt17integral_constantIbLb0EES19_IbLb1EEEEDaS15_S16_EUlS15_E_NS1_11comp_targetILNS1_3genE2ELNS1_11target_archE906ELNS1_3gpuE6ELNS1_3repE0EEENS1_30default_config_static_selectorELNS0_4arch9wavefront6targetE1EEEvT1_
		.amdhsa_group_segment_fixed_size 0
		.amdhsa_private_segment_fixed_size 0
		.amdhsa_kernarg_size 136
		.amdhsa_user_sgpr_count 6
		.amdhsa_user_sgpr_private_segment_buffer 1
		.amdhsa_user_sgpr_dispatch_ptr 0
		.amdhsa_user_sgpr_queue_ptr 0
		.amdhsa_user_sgpr_kernarg_segment_ptr 1
		.amdhsa_user_sgpr_dispatch_id 0
		.amdhsa_user_sgpr_flat_scratch_init 0
		.amdhsa_user_sgpr_kernarg_preload_length 0
		.amdhsa_user_sgpr_kernarg_preload_offset 0
		.amdhsa_user_sgpr_private_segment_size 0
		.amdhsa_uses_dynamic_stack 0
		.amdhsa_system_sgpr_private_segment_wavefront_offset 0
		.amdhsa_system_sgpr_workgroup_id_x 1
		.amdhsa_system_sgpr_workgroup_id_y 0
		.amdhsa_system_sgpr_workgroup_id_z 0
		.amdhsa_system_sgpr_workgroup_info 0
		.amdhsa_system_vgpr_workitem_id 0
		.amdhsa_next_free_vgpr 1
		.amdhsa_next_free_sgpr 0
		.amdhsa_accum_offset 4
		.amdhsa_reserve_vcc 0
		.amdhsa_reserve_flat_scratch 0
		.amdhsa_float_round_mode_32 0
		.amdhsa_float_round_mode_16_64 0
		.amdhsa_float_denorm_mode_32 3
		.amdhsa_float_denorm_mode_16_64 3
		.amdhsa_dx10_clamp 1
		.amdhsa_ieee_mode 1
		.amdhsa_fp16_overflow 0
		.amdhsa_tg_split 0
		.amdhsa_exception_fp_ieee_invalid_op 0
		.amdhsa_exception_fp_denorm_src 0
		.amdhsa_exception_fp_ieee_div_zero 0
		.amdhsa_exception_fp_ieee_overflow 0
		.amdhsa_exception_fp_ieee_underflow 0
		.amdhsa_exception_fp_ieee_inexact 0
		.amdhsa_exception_int_div_zero 0
	.end_amdhsa_kernel
	.section	.text._ZN7rocprim17ROCPRIM_400000_NS6detail17trampoline_kernelINS0_14default_configENS1_25partition_config_selectorILNS1_17partition_subalgoE9EllbEEZZNS1_14partition_implILS5_9ELb0ES3_jPlS8_PNS0_10empty_typeENS0_5tupleIJS8_S9_EEENSB_IJS8_SA_EEENS0_18inequality_wrapperIZN2at6native12_GLOBAL__N_124unique_dim_cuda_templateIdEESt5tupleIJNSF_6TensorESK_SK_EERKSK_lbbbEUlllE0_EEPmJS9_EEE10hipError_tPvRmT3_T4_T5_T6_T7_T9_mT8_P12ihipStream_tbDpT10_ENKUlT_T0_E_clISt17integral_constantIbLb0EES19_IbLb1EEEEDaS15_S16_EUlS15_E_NS1_11comp_targetILNS1_3genE2ELNS1_11target_archE906ELNS1_3gpuE6ELNS1_3repE0EEENS1_30default_config_static_selectorELNS0_4arch9wavefront6targetE1EEEvT1_,"axG",@progbits,_ZN7rocprim17ROCPRIM_400000_NS6detail17trampoline_kernelINS0_14default_configENS1_25partition_config_selectorILNS1_17partition_subalgoE9EllbEEZZNS1_14partition_implILS5_9ELb0ES3_jPlS8_PNS0_10empty_typeENS0_5tupleIJS8_S9_EEENSB_IJS8_SA_EEENS0_18inequality_wrapperIZN2at6native12_GLOBAL__N_124unique_dim_cuda_templateIdEESt5tupleIJNSF_6TensorESK_SK_EERKSK_lbbbEUlllE0_EEPmJS9_EEE10hipError_tPvRmT3_T4_T5_T6_T7_T9_mT8_P12ihipStream_tbDpT10_ENKUlT_T0_E_clISt17integral_constantIbLb0EES19_IbLb1EEEEDaS15_S16_EUlS15_E_NS1_11comp_targetILNS1_3genE2ELNS1_11target_archE906ELNS1_3gpuE6ELNS1_3repE0EEENS1_30default_config_static_selectorELNS0_4arch9wavefront6targetE1EEEvT1_,comdat
.Lfunc_end867:
	.size	_ZN7rocprim17ROCPRIM_400000_NS6detail17trampoline_kernelINS0_14default_configENS1_25partition_config_selectorILNS1_17partition_subalgoE9EllbEEZZNS1_14partition_implILS5_9ELb0ES3_jPlS8_PNS0_10empty_typeENS0_5tupleIJS8_S9_EEENSB_IJS8_SA_EEENS0_18inequality_wrapperIZN2at6native12_GLOBAL__N_124unique_dim_cuda_templateIdEESt5tupleIJNSF_6TensorESK_SK_EERKSK_lbbbEUlllE0_EEPmJS9_EEE10hipError_tPvRmT3_T4_T5_T6_T7_T9_mT8_P12ihipStream_tbDpT10_ENKUlT_T0_E_clISt17integral_constantIbLb0EES19_IbLb1EEEEDaS15_S16_EUlS15_E_NS1_11comp_targetILNS1_3genE2ELNS1_11target_archE906ELNS1_3gpuE6ELNS1_3repE0EEENS1_30default_config_static_selectorELNS0_4arch9wavefront6targetE1EEEvT1_, .Lfunc_end867-_ZN7rocprim17ROCPRIM_400000_NS6detail17trampoline_kernelINS0_14default_configENS1_25partition_config_selectorILNS1_17partition_subalgoE9EllbEEZZNS1_14partition_implILS5_9ELb0ES3_jPlS8_PNS0_10empty_typeENS0_5tupleIJS8_S9_EEENSB_IJS8_SA_EEENS0_18inequality_wrapperIZN2at6native12_GLOBAL__N_124unique_dim_cuda_templateIdEESt5tupleIJNSF_6TensorESK_SK_EERKSK_lbbbEUlllE0_EEPmJS9_EEE10hipError_tPvRmT3_T4_T5_T6_T7_T9_mT8_P12ihipStream_tbDpT10_ENKUlT_T0_E_clISt17integral_constantIbLb0EES19_IbLb1EEEEDaS15_S16_EUlS15_E_NS1_11comp_targetILNS1_3genE2ELNS1_11target_archE906ELNS1_3gpuE6ELNS1_3repE0EEENS1_30default_config_static_selectorELNS0_4arch9wavefront6targetE1EEEvT1_
                                        ; -- End function
	.section	.AMDGPU.csdata,"",@progbits
; Kernel info:
; codeLenInByte = 0
; NumSgprs: 4
; NumVgprs: 0
; NumAgprs: 0
; TotalNumVgprs: 0
; ScratchSize: 0
; MemoryBound: 0
; FloatMode: 240
; IeeeMode: 1
; LDSByteSize: 0 bytes/workgroup (compile time only)
; SGPRBlocks: 0
; VGPRBlocks: 0
; NumSGPRsForWavesPerEU: 4
; NumVGPRsForWavesPerEU: 1
; AccumOffset: 4
; Occupancy: 8
; WaveLimiterHint : 0
; COMPUTE_PGM_RSRC2:SCRATCH_EN: 0
; COMPUTE_PGM_RSRC2:USER_SGPR: 6
; COMPUTE_PGM_RSRC2:TRAP_HANDLER: 0
; COMPUTE_PGM_RSRC2:TGID_X_EN: 1
; COMPUTE_PGM_RSRC2:TGID_Y_EN: 0
; COMPUTE_PGM_RSRC2:TGID_Z_EN: 0
; COMPUTE_PGM_RSRC2:TIDIG_COMP_CNT: 0
; COMPUTE_PGM_RSRC3_GFX90A:ACCUM_OFFSET: 0
; COMPUTE_PGM_RSRC3_GFX90A:TG_SPLIT: 0
	.section	.text._ZN7rocprim17ROCPRIM_400000_NS6detail17trampoline_kernelINS0_14default_configENS1_25partition_config_selectorILNS1_17partition_subalgoE9EllbEEZZNS1_14partition_implILS5_9ELb0ES3_jPlS8_PNS0_10empty_typeENS0_5tupleIJS8_S9_EEENSB_IJS8_SA_EEENS0_18inequality_wrapperIZN2at6native12_GLOBAL__N_124unique_dim_cuda_templateIdEESt5tupleIJNSF_6TensorESK_SK_EERKSK_lbbbEUlllE0_EEPmJS9_EEE10hipError_tPvRmT3_T4_T5_T6_T7_T9_mT8_P12ihipStream_tbDpT10_ENKUlT_T0_E_clISt17integral_constantIbLb0EES19_IbLb1EEEEDaS15_S16_EUlS15_E_NS1_11comp_targetILNS1_3genE10ELNS1_11target_archE1200ELNS1_3gpuE4ELNS1_3repE0EEENS1_30default_config_static_selectorELNS0_4arch9wavefront6targetE1EEEvT1_,"axG",@progbits,_ZN7rocprim17ROCPRIM_400000_NS6detail17trampoline_kernelINS0_14default_configENS1_25partition_config_selectorILNS1_17partition_subalgoE9EllbEEZZNS1_14partition_implILS5_9ELb0ES3_jPlS8_PNS0_10empty_typeENS0_5tupleIJS8_S9_EEENSB_IJS8_SA_EEENS0_18inequality_wrapperIZN2at6native12_GLOBAL__N_124unique_dim_cuda_templateIdEESt5tupleIJNSF_6TensorESK_SK_EERKSK_lbbbEUlllE0_EEPmJS9_EEE10hipError_tPvRmT3_T4_T5_T6_T7_T9_mT8_P12ihipStream_tbDpT10_ENKUlT_T0_E_clISt17integral_constantIbLb0EES19_IbLb1EEEEDaS15_S16_EUlS15_E_NS1_11comp_targetILNS1_3genE10ELNS1_11target_archE1200ELNS1_3gpuE4ELNS1_3repE0EEENS1_30default_config_static_selectorELNS0_4arch9wavefront6targetE1EEEvT1_,comdat
	.globl	_ZN7rocprim17ROCPRIM_400000_NS6detail17trampoline_kernelINS0_14default_configENS1_25partition_config_selectorILNS1_17partition_subalgoE9EllbEEZZNS1_14partition_implILS5_9ELb0ES3_jPlS8_PNS0_10empty_typeENS0_5tupleIJS8_S9_EEENSB_IJS8_SA_EEENS0_18inequality_wrapperIZN2at6native12_GLOBAL__N_124unique_dim_cuda_templateIdEESt5tupleIJNSF_6TensorESK_SK_EERKSK_lbbbEUlllE0_EEPmJS9_EEE10hipError_tPvRmT3_T4_T5_T6_T7_T9_mT8_P12ihipStream_tbDpT10_ENKUlT_T0_E_clISt17integral_constantIbLb0EES19_IbLb1EEEEDaS15_S16_EUlS15_E_NS1_11comp_targetILNS1_3genE10ELNS1_11target_archE1200ELNS1_3gpuE4ELNS1_3repE0EEENS1_30default_config_static_selectorELNS0_4arch9wavefront6targetE1EEEvT1_ ; -- Begin function _ZN7rocprim17ROCPRIM_400000_NS6detail17trampoline_kernelINS0_14default_configENS1_25partition_config_selectorILNS1_17partition_subalgoE9EllbEEZZNS1_14partition_implILS5_9ELb0ES3_jPlS8_PNS0_10empty_typeENS0_5tupleIJS8_S9_EEENSB_IJS8_SA_EEENS0_18inequality_wrapperIZN2at6native12_GLOBAL__N_124unique_dim_cuda_templateIdEESt5tupleIJNSF_6TensorESK_SK_EERKSK_lbbbEUlllE0_EEPmJS9_EEE10hipError_tPvRmT3_T4_T5_T6_T7_T9_mT8_P12ihipStream_tbDpT10_ENKUlT_T0_E_clISt17integral_constantIbLb0EES19_IbLb1EEEEDaS15_S16_EUlS15_E_NS1_11comp_targetILNS1_3genE10ELNS1_11target_archE1200ELNS1_3gpuE4ELNS1_3repE0EEENS1_30default_config_static_selectorELNS0_4arch9wavefront6targetE1EEEvT1_
	.p2align	8
	.type	_ZN7rocprim17ROCPRIM_400000_NS6detail17trampoline_kernelINS0_14default_configENS1_25partition_config_selectorILNS1_17partition_subalgoE9EllbEEZZNS1_14partition_implILS5_9ELb0ES3_jPlS8_PNS0_10empty_typeENS0_5tupleIJS8_S9_EEENSB_IJS8_SA_EEENS0_18inequality_wrapperIZN2at6native12_GLOBAL__N_124unique_dim_cuda_templateIdEESt5tupleIJNSF_6TensorESK_SK_EERKSK_lbbbEUlllE0_EEPmJS9_EEE10hipError_tPvRmT3_T4_T5_T6_T7_T9_mT8_P12ihipStream_tbDpT10_ENKUlT_T0_E_clISt17integral_constantIbLb0EES19_IbLb1EEEEDaS15_S16_EUlS15_E_NS1_11comp_targetILNS1_3genE10ELNS1_11target_archE1200ELNS1_3gpuE4ELNS1_3repE0EEENS1_30default_config_static_selectorELNS0_4arch9wavefront6targetE1EEEvT1_,@function
_ZN7rocprim17ROCPRIM_400000_NS6detail17trampoline_kernelINS0_14default_configENS1_25partition_config_selectorILNS1_17partition_subalgoE9EllbEEZZNS1_14partition_implILS5_9ELb0ES3_jPlS8_PNS0_10empty_typeENS0_5tupleIJS8_S9_EEENSB_IJS8_SA_EEENS0_18inequality_wrapperIZN2at6native12_GLOBAL__N_124unique_dim_cuda_templateIdEESt5tupleIJNSF_6TensorESK_SK_EERKSK_lbbbEUlllE0_EEPmJS9_EEE10hipError_tPvRmT3_T4_T5_T6_T7_T9_mT8_P12ihipStream_tbDpT10_ENKUlT_T0_E_clISt17integral_constantIbLb0EES19_IbLb1EEEEDaS15_S16_EUlS15_E_NS1_11comp_targetILNS1_3genE10ELNS1_11target_archE1200ELNS1_3gpuE4ELNS1_3repE0EEENS1_30default_config_static_selectorELNS0_4arch9wavefront6targetE1EEEvT1_: ; @_ZN7rocprim17ROCPRIM_400000_NS6detail17trampoline_kernelINS0_14default_configENS1_25partition_config_selectorILNS1_17partition_subalgoE9EllbEEZZNS1_14partition_implILS5_9ELb0ES3_jPlS8_PNS0_10empty_typeENS0_5tupleIJS8_S9_EEENSB_IJS8_SA_EEENS0_18inequality_wrapperIZN2at6native12_GLOBAL__N_124unique_dim_cuda_templateIdEESt5tupleIJNSF_6TensorESK_SK_EERKSK_lbbbEUlllE0_EEPmJS9_EEE10hipError_tPvRmT3_T4_T5_T6_T7_T9_mT8_P12ihipStream_tbDpT10_ENKUlT_T0_E_clISt17integral_constantIbLb0EES19_IbLb1EEEEDaS15_S16_EUlS15_E_NS1_11comp_targetILNS1_3genE10ELNS1_11target_archE1200ELNS1_3gpuE4ELNS1_3repE0EEENS1_30default_config_static_selectorELNS0_4arch9wavefront6targetE1EEEvT1_
; %bb.0:
	.section	.rodata,"a",@progbits
	.p2align	6, 0x0
	.amdhsa_kernel _ZN7rocprim17ROCPRIM_400000_NS6detail17trampoline_kernelINS0_14default_configENS1_25partition_config_selectorILNS1_17partition_subalgoE9EllbEEZZNS1_14partition_implILS5_9ELb0ES3_jPlS8_PNS0_10empty_typeENS0_5tupleIJS8_S9_EEENSB_IJS8_SA_EEENS0_18inequality_wrapperIZN2at6native12_GLOBAL__N_124unique_dim_cuda_templateIdEESt5tupleIJNSF_6TensorESK_SK_EERKSK_lbbbEUlllE0_EEPmJS9_EEE10hipError_tPvRmT3_T4_T5_T6_T7_T9_mT8_P12ihipStream_tbDpT10_ENKUlT_T0_E_clISt17integral_constantIbLb0EES19_IbLb1EEEEDaS15_S16_EUlS15_E_NS1_11comp_targetILNS1_3genE10ELNS1_11target_archE1200ELNS1_3gpuE4ELNS1_3repE0EEENS1_30default_config_static_selectorELNS0_4arch9wavefront6targetE1EEEvT1_
		.amdhsa_group_segment_fixed_size 0
		.amdhsa_private_segment_fixed_size 0
		.amdhsa_kernarg_size 136
		.amdhsa_user_sgpr_count 6
		.amdhsa_user_sgpr_private_segment_buffer 1
		.amdhsa_user_sgpr_dispatch_ptr 0
		.amdhsa_user_sgpr_queue_ptr 0
		.amdhsa_user_sgpr_kernarg_segment_ptr 1
		.amdhsa_user_sgpr_dispatch_id 0
		.amdhsa_user_sgpr_flat_scratch_init 0
		.amdhsa_user_sgpr_kernarg_preload_length 0
		.amdhsa_user_sgpr_kernarg_preload_offset 0
		.amdhsa_user_sgpr_private_segment_size 0
		.amdhsa_uses_dynamic_stack 0
		.amdhsa_system_sgpr_private_segment_wavefront_offset 0
		.amdhsa_system_sgpr_workgroup_id_x 1
		.amdhsa_system_sgpr_workgroup_id_y 0
		.amdhsa_system_sgpr_workgroup_id_z 0
		.amdhsa_system_sgpr_workgroup_info 0
		.amdhsa_system_vgpr_workitem_id 0
		.amdhsa_next_free_vgpr 1
		.amdhsa_next_free_sgpr 0
		.amdhsa_accum_offset 4
		.amdhsa_reserve_vcc 0
		.amdhsa_reserve_flat_scratch 0
		.amdhsa_float_round_mode_32 0
		.amdhsa_float_round_mode_16_64 0
		.amdhsa_float_denorm_mode_32 3
		.amdhsa_float_denorm_mode_16_64 3
		.amdhsa_dx10_clamp 1
		.amdhsa_ieee_mode 1
		.amdhsa_fp16_overflow 0
		.amdhsa_tg_split 0
		.amdhsa_exception_fp_ieee_invalid_op 0
		.amdhsa_exception_fp_denorm_src 0
		.amdhsa_exception_fp_ieee_div_zero 0
		.amdhsa_exception_fp_ieee_overflow 0
		.amdhsa_exception_fp_ieee_underflow 0
		.amdhsa_exception_fp_ieee_inexact 0
		.amdhsa_exception_int_div_zero 0
	.end_amdhsa_kernel
	.section	.text._ZN7rocprim17ROCPRIM_400000_NS6detail17trampoline_kernelINS0_14default_configENS1_25partition_config_selectorILNS1_17partition_subalgoE9EllbEEZZNS1_14partition_implILS5_9ELb0ES3_jPlS8_PNS0_10empty_typeENS0_5tupleIJS8_S9_EEENSB_IJS8_SA_EEENS0_18inequality_wrapperIZN2at6native12_GLOBAL__N_124unique_dim_cuda_templateIdEESt5tupleIJNSF_6TensorESK_SK_EERKSK_lbbbEUlllE0_EEPmJS9_EEE10hipError_tPvRmT3_T4_T5_T6_T7_T9_mT8_P12ihipStream_tbDpT10_ENKUlT_T0_E_clISt17integral_constantIbLb0EES19_IbLb1EEEEDaS15_S16_EUlS15_E_NS1_11comp_targetILNS1_3genE10ELNS1_11target_archE1200ELNS1_3gpuE4ELNS1_3repE0EEENS1_30default_config_static_selectorELNS0_4arch9wavefront6targetE1EEEvT1_,"axG",@progbits,_ZN7rocprim17ROCPRIM_400000_NS6detail17trampoline_kernelINS0_14default_configENS1_25partition_config_selectorILNS1_17partition_subalgoE9EllbEEZZNS1_14partition_implILS5_9ELb0ES3_jPlS8_PNS0_10empty_typeENS0_5tupleIJS8_S9_EEENSB_IJS8_SA_EEENS0_18inequality_wrapperIZN2at6native12_GLOBAL__N_124unique_dim_cuda_templateIdEESt5tupleIJNSF_6TensorESK_SK_EERKSK_lbbbEUlllE0_EEPmJS9_EEE10hipError_tPvRmT3_T4_T5_T6_T7_T9_mT8_P12ihipStream_tbDpT10_ENKUlT_T0_E_clISt17integral_constantIbLb0EES19_IbLb1EEEEDaS15_S16_EUlS15_E_NS1_11comp_targetILNS1_3genE10ELNS1_11target_archE1200ELNS1_3gpuE4ELNS1_3repE0EEENS1_30default_config_static_selectorELNS0_4arch9wavefront6targetE1EEEvT1_,comdat
.Lfunc_end868:
	.size	_ZN7rocprim17ROCPRIM_400000_NS6detail17trampoline_kernelINS0_14default_configENS1_25partition_config_selectorILNS1_17partition_subalgoE9EllbEEZZNS1_14partition_implILS5_9ELb0ES3_jPlS8_PNS0_10empty_typeENS0_5tupleIJS8_S9_EEENSB_IJS8_SA_EEENS0_18inequality_wrapperIZN2at6native12_GLOBAL__N_124unique_dim_cuda_templateIdEESt5tupleIJNSF_6TensorESK_SK_EERKSK_lbbbEUlllE0_EEPmJS9_EEE10hipError_tPvRmT3_T4_T5_T6_T7_T9_mT8_P12ihipStream_tbDpT10_ENKUlT_T0_E_clISt17integral_constantIbLb0EES19_IbLb1EEEEDaS15_S16_EUlS15_E_NS1_11comp_targetILNS1_3genE10ELNS1_11target_archE1200ELNS1_3gpuE4ELNS1_3repE0EEENS1_30default_config_static_selectorELNS0_4arch9wavefront6targetE1EEEvT1_, .Lfunc_end868-_ZN7rocprim17ROCPRIM_400000_NS6detail17trampoline_kernelINS0_14default_configENS1_25partition_config_selectorILNS1_17partition_subalgoE9EllbEEZZNS1_14partition_implILS5_9ELb0ES3_jPlS8_PNS0_10empty_typeENS0_5tupleIJS8_S9_EEENSB_IJS8_SA_EEENS0_18inequality_wrapperIZN2at6native12_GLOBAL__N_124unique_dim_cuda_templateIdEESt5tupleIJNSF_6TensorESK_SK_EERKSK_lbbbEUlllE0_EEPmJS9_EEE10hipError_tPvRmT3_T4_T5_T6_T7_T9_mT8_P12ihipStream_tbDpT10_ENKUlT_T0_E_clISt17integral_constantIbLb0EES19_IbLb1EEEEDaS15_S16_EUlS15_E_NS1_11comp_targetILNS1_3genE10ELNS1_11target_archE1200ELNS1_3gpuE4ELNS1_3repE0EEENS1_30default_config_static_selectorELNS0_4arch9wavefront6targetE1EEEvT1_
                                        ; -- End function
	.section	.AMDGPU.csdata,"",@progbits
; Kernel info:
; codeLenInByte = 0
; NumSgprs: 4
; NumVgprs: 0
; NumAgprs: 0
; TotalNumVgprs: 0
; ScratchSize: 0
; MemoryBound: 0
; FloatMode: 240
; IeeeMode: 1
; LDSByteSize: 0 bytes/workgroup (compile time only)
; SGPRBlocks: 0
; VGPRBlocks: 0
; NumSGPRsForWavesPerEU: 4
; NumVGPRsForWavesPerEU: 1
; AccumOffset: 4
; Occupancy: 8
; WaveLimiterHint : 0
; COMPUTE_PGM_RSRC2:SCRATCH_EN: 0
; COMPUTE_PGM_RSRC2:USER_SGPR: 6
; COMPUTE_PGM_RSRC2:TRAP_HANDLER: 0
; COMPUTE_PGM_RSRC2:TGID_X_EN: 1
; COMPUTE_PGM_RSRC2:TGID_Y_EN: 0
; COMPUTE_PGM_RSRC2:TGID_Z_EN: 0
; COMPUTE_PGM_RSRC2:TIDIG_COMP_CNT: 0
; COMPUTE_PGM_RSRC3_GFX90A:ACCUM_OFFSET: 0
; COMPUTE_PGM_RSRC3_GFX90A:TG_SPLIT: 0
	.section	.text._ZN7rocprim17ROCPRIM_400000_NS6detail17trampoline_kernelINS0_14default_configENS1_25partition_config_selectorILNS1_17partition_subalgoE9EllbEEZZNS1_14partition_implILS5_9ELb0ES3_jPlS8_PNS0_10empty_typeENS0_5tupleIJS8_S9_EEENSB_IJS8_SA_EEENS0_18inequality_wrapperIZN2at6native12_GLOBAL__N_124unique_dim_cuda_templateIdEESt5tupleIJNSF_6TensorESK_SK_EERKSK_lbbbEUlllE0_EEPmJS9_EEE10hipError_tPvRmT3_T4_T5_T6_T7_T9_mT8_P12ihipStream_tbDpT10_ENKUlT_T0_E_clISt17integral_constantIbLb0EES19_IbLb1EEEEDaS15_S16_EUlS15_E_NS1_11comp_targetILNS1_3genE9ELNS1_11target_archE1100ELNS1_3gpuE3ELNS1_3repE0EEENS1_30default_config_static_selectorELNS0_4arch9wavefront6targetE1EEEvT1_,"axG",@progbits,_ZN7rocprim17ROCPRIM_400000_NS6detail17trampoline_kernelINS0_14default_configENS1_25partition_config_selectorILNS1_17partition_subalgoE9EllbEEZZNS1_14partition_implILS5_9ELb0ES3_jPlS8_PNS0_10empty_typeENS0_5tupleIJS8_S9_EEENSB_IJS8_SA_EEENS0_18inequality_wrapperIZN2at6native12_GLOBAL__N_124unique_dim_cuda_templateIdEESt5tupleIJNSF_6TensorESK_SK_EERKSK_lbbbEUlllE0_EEPmJS9_EEE10hipError_tPvRmT3_T4_T5_T6_T7_T9_mT8_P12ihipStream_tbDpT10_ENKUlT_T0_E_clISt17integral_constantIbLb0EES19_IbLb1EEEEDaS15_S16_EUlS15_E_NS1_11comp_targetILNS1_3genE9ELNS1_11target_archE1100ELNS1_3gpuE3ELNS1_3repE0EEENS1_30default_config_static_selectorELNS0_4arch9wavefront6targetE1EEEvT1_,comdat
	.globl	_ZN7rocprim17ROCPRIM_400000_NS6detail17trampoline_kernelINS0_14default_configENS1_25partition_config_selectorILNS1_17partition_subalgoE9EllbEEZZNS1_14partition_implILS5_9ELb0ES3_jPlS8_PNS0_10empty_typeENS0_5tupleIJS8_S9_EEENSB_IJS8_SA_EEENS0_18inequality_wrapperIZN2at6native12_GLOBAL__N_124unique_dim_cuda_templateIdEESt5tupleIJNSF_6TensorESK_SK_EERKSK_lbbbEUlllE0_EEPmJS9_EEE10hipError_tPvRmT3_T4_T5_T6_T7_T9_mT8_P12ihipStream_tbDpT10_ENKUlT_T0_E_clISt17integral_constantIbLb0EES19_IbLb1EEEEDaS15_S16_EUlS15_E_NS1_11comp_targetILNS1_3genE9ELNS1_11target_archE1100ELNS1_3gpuE3ELNS1_3repE0EEENS1_30default_config_static_selectorELNS0_4arch9wavefront6targetE1EEEvT1_ ; -- Begin function _ZN7rocprim17ROCPRIM_400000_NS6detail17trampoline_kernelINS0_14default_configENS1_25partition_config_selectorILNS1_17partition_subalgoE9EllbEEZZNS1_14partition_implILS5_9ELb0ES3_jPlS8_PNS0_10empty_typeENS0_5tupleIJS8_S9_EEENSB_IJS8_SA_EEENS0_18inequality_wrapperIZN2at6native12_GLOBAL__N_124unique_dim_cuda_templateIdEESt5tupleIJNSF_6TensorESK_SK_EERKSK_lbbbEUlllE0_EEPmJS9_EEE10hipError_tPvRmT3_T4_T5_T6_T7_T9_mT8_P12ihipStream_tbDpT10_ENKUlT_T0_E_clISt17integral_constantIbLb0EES19_IbLb1EEEEDaS15_S16_EUlS15_E_NS1_11comp_targetILNS1_3genE9ELNS1_11target_archE1100ELNS1_3gpuE3ELNS1_3repE0EEENS1_30default_config_static_selectorELNS0_4arch9wavefront6targetE1EEEvT1_
	.p2align	8
	.type	_ZN7rocprim17ROCPRIM_400000_NS6detail17trampoline_kernelINS0_14default_configENS1_25partition_config_selectorILNS1_17partition_subalgoE9EllbEEZZNS1_14partition_implILS5_9ELb0ES3_jPlS8_PNS0_10empty_typeENS0_5tupleIJS8_S9_EEENSB_IJS8_SA_EEENS0_18inequality_wrapperIZN2at6native12_GLOBAL__N_124unique_dim_cuda_templateIdEESt5tupleIJNSF_6TensorESK_SK_EERKSK_lbbbEUlllE0_EEPmJS9_EEE10hipError_tPvRmT3_T4_T5_T6_T7_T9_mT8_P12ihipStream_tbDpT10_ENKUlT_T0_E_clISt17integral_constantIbLb0EES19_IbLb1EEEEDaS15_S16_EUlS15_E_NS1_11comp_targetILNS1_3genE9ELNS1_11target_archE1100ELNS1_3gpuE3ELNS1_3repE0EEENS1_30default_config_static_selectorELNS0_4arch9wavefront6targetE1EEEvT1_,@function
_ZN7rocprim17ROCPRIM_400000_NS6detail17trampoline_kernelINS0_14default_configENS1_25partition_config_selectorILNS1_17partition_subalgoE9EllbEEZZNS1_14partition_implILS5_9ELb0ES3_jPlS8_PNS0_10empty_typeENS0_5tupleIJS8_S9_EEENSB_IJS8_SA_EEENS0_18inequality_wrapperIZN2at6native12_GLOBAL__N_124unique_dim_cuda_templateIdEESt5tupleIJNSF_6TensorESK_SK_EERKSK_lbbbEUlllE0_EEPmJS9_EEE10hipError_tPvRmT3_T4_T5_T6_T7_T9_mT8_P12ihipStream_tbDpT10_ENKUlT_T0_E_clISt17integral_constantIbLb0EES19_IbLb1EEEEDaS15_S16_EUlS15_E_NS1_11comp_targetILNS1_3genE9ELNS1_11target_archE1100ELNS1_3gpuE3ELNS1_3repE0EEENS1_30default_config_static_selectorELNS0_4arch9wavefront6targetE1EEEvT1_: ; @_ZN7rocprim17ROCPRIM_400000_NS6detail17trampoline_kernelINS0_14default_configENS1_25partition_config_selectorILNS1_17partition_subalgoE9EllbEEZZNS1_14partition_implILS5_9ELb0ES3_jPlS8_PNS0_10empty_typeENS0_5tupleIJS8_S9_EEENSB_IJS8_SA_EEENS0_18inequality_wrapperIZN2at6native12_GLOBAL__N_124unique_dim_cuda_templateIdEESt5tupleIJNSF_6TensorESK_SK_EERKSK_lbbbEUlllE0_EEPmJS9_EEE10hipError_tPvRmT3_T4_T5_T6_T7_T9_mT8_P12ihipStream_tbDpT10_ENKUlT_T0_E_clISt17integral_constantIbLb0EES19_IbLb1EEEEDaS15_S16_EUlS15_E_NS1_11comp_targetILNS1_3genE9ELNS1_11target_archE1100ELNS1_3gpuE3ELNS1_3repE0EEENS1_30default_config_static_selectorELNS0_4arch9wavefront6targetE1EEEvT1_
; %bb.0:
	.section	.rodata,"a",@progbits
	.p2align	6, 0x0
	.amdhsa_kernel _ZN7rocprim17ROCPRIM_400000_NS6detail17trampoline_kernelINS0_14default_configENS1_25partition_config_selectorILNS1_17partition_subalgoE9EllbEEZZNS1_14partition_implILS5_9ELb0ES3_jPlS8_PNS0_10empty_typeENS0_5tupleIJS8_S9_EEENSB_IJS8_SA_EEENS0_18inequality_wrapperIZN2at6native12_GLOBAL__N_124unique_dim_cuda_templateIdEESt5tupleIJNSF_6TensorESK_SK_EERKSK_lbbbEUlllE0_EEPmJS9_EEE10hipError_tPvRmT3_T4_T5_T6_T7_T9_mT8_P12ihipStream_tbDpT10_ENKUlT_T0_E_clISt17integral_constantIbLb0EES19_IbLb1EEEEDaS15_S16_EUlS15_E_NS1_11comp_targetILNS1_3genE9ELNS1_11target_archE1100ELNS1_3gpuE3ELNS1_3repE0EEENS1_30default_config_static_selectorELNS0_4arch9wavefront6targetE1EEEvT1_
		.amdhsa_group_segment_fixed_size 0
		.amdhsa_private_segment_fixed_size 0
		.amdhsa_kernarg_size 136
		.amdhsa_user_sgpr_count 6
		.amdhsa_user_sgpr_private_segment_buffer 1
		.amdhsa_user_sgpr_dispatch_ptr 0
		.amdhsa_user_sgpr_queue_ptr 0
		.amdhsa_user_sgpr_kernarg_segment_ptr 1
		.amdhsa_user_sgpr_dispatch_id 0
		.amdhsa_user_sgpr_flat_scratch_init 0
		.amdhsa_user_sgpr_kernarg_preload_length 0
		.amdhsa_user_sgpr_kernarg_preload_offset 0
		.amdhsa_user_sgpr_private_segment_size 0
		.amdhsa_uses_dynamic_stack 0
		.amdhsa_system_sgpr_private_segment_wavefront_offset 0
		.amdhsa_system_sgpr_workgroup_id_x 1
		.amdhsa_system_sgpr_workgroup_id_y 0
		.amdhsa_system_sgpr_workgroup_id_z 0
		.amdhsa_system_sgpr_workgroup_info 0
		.amdhsa_system_vgpr_workitem_id 0
		.amdhsa_next_free_vgpr 1
		.amdhsa_next_free_sgpr 0
		.amdhsa_accum_offset 4
		.amdhsa_reserve_vcc 0
		.amdhsa_reserve_flat_scratch 0
		.amdhsa_float_round_mode_32 0
		.amdhsa_float_round_mode_16_64 0
		.amdhsa_float_denorm_mode_32 3
		.amdhsa_float_denorm_mode_16_64 3
		.amdhsa_dx10_clamp 1
		.amdhsa_ieee_mode 1
		.amdhsa_fp16_overflow 0
		.amdhsa_tg_split 0
		.amdhsa_exception_fp_ieee_invalid_op 0
		.amdhsa_exception_fp_denorm_src 0
		.amdhsa_exception_fp_ieee_div_zero 0
		.amdhsa_exception_fp_ieee_overflow 0
		.amdhsa_exception_fp_ieee_underflow 0
		.amdhsa_exception_fp_ieee_inexact 0
		.amdhsa_exception_int_div_zero 0
	.end_amdhsa_kernel
	.section	.text._ZN7rocprim17ROCPRIM_400000_NS6detail17trampoline_kernelINS0_14default_configENS1_25partition_config_selectorILNS1_17partition_subalgoE9EllbEEZZNS1_14partition_implILS5_9ELb0ES3_jPlS8_PNS0_10empty_typeENS0_5tupleIJS8_S9_EEENSB_IJS8_SA_EEENS0_18inequality_wrapperIZN2at6native12_GLOBAL__N_124unique_dim_cuda_templateIdEESt5tupleIJNSF_6TensorESK_SK_EERKSK_lbbbEUlllE0_EEPmJS9_EEE10hipError_tPvRmT3_T4_T5_T6_T7_T9_mT8_P12ihipStream_tbDpT10_ENKUlT_T0_E_clISt17integral_constantIbLb0EES19_IbLb1EEEEDaS15_S16_EUlS15_E_NS1_11comp_targetILNS1_3genE9ELNS1_11target_archE1100ELNS1_3gpuE3ELNS1_3repE0EEENS1_30default_config_static_selectorELNS0_4arch9wavefront6targetE1EEEvT1_,"axG",@progbits,_ZN7rocprim17ROCPRIM_400000_NS6detail17trampoline_kernelINS0_14default_configENS1_25partition_config_selectorILNS1_17partition_subalgoE9EllbEEZZNS1_14partition_implILS5_9ELb0ES3_jPlS8_PNS0_10empty_typeENS0_5tupleIJS8_S9_EEENSB_IJS8_SA_EEENS0_18inequality_wrapperIZN2at6native12_GLOBAL__N_124unique_dim_cuda_templateIdEESt5tupleIJNSF_6TensorESK_SK_EERKSK_lbbbEUlllE0_EEPmJS9_EEE10hipError_tPvRmT3_T4_T5_T6_T7_T9_mT8_P12ihipStream_tbDpT10_ENKUlT_T0_E_clISt17integral_constantIbLb0EES19_IbLb1EEEEDaS15_S16_EUlS15_E_NS1_11comp_targetILNS1_3genE9ELNS1_11target_archE1100ELNS1_3gpuE3ELNS1_3repE0EEENS1_30default_config_static_selectorELNS0_4arch9wavefront6targetE1EEEvT1_,comdat
.Lfunc_end869:
	.size	_ZN7rocprim17ROCPRIM_400000_NS6detail17trampoline_kernelINS0_14default_configENS1_25partition_config_selectorILNS1_17partition_subalgoE9EllbEEZZNS1_14partition_implILS5_9ELb0ES3_jPlS8_PNS0_10empty_typeENS0_5tupleIJS8_S9_EEENSB_IJS8_SA_EEENS0_18inequality_wrapperIZN2at6native12_GLOBAL__N_124unique_dim_cuda_templateIdEESt5tupleIJNSF_6TensorESK_SK_EERKSK_lbbbEUlllE0_EEPmJS9_EEE10hipError_tPvRmT3_T4_T5_T6_T7_T9_mT8_P12ihipStream_tbDpT10_ENKUlT_T0_E_clISt17integral_constantIbLb0EES19_IbLb1EEEEDaS15_S16_EUlS15_E_NS1_11comp_targetILNS1_3genE9ELNS1_11target_archE1100ELNS1_3gpuE3ELNS1_3repE0EEENS1_30default_config_static_selectorELNS0_4arch9wavefront6targetE1EEEvT1_, .Lfunc_end869-_ZN7rocprim17ROCPRIM_400000_NS6detail17trampoline_kernelINS0_14default_configENS1_25partition_config_selectorILNS1_17partition_subalgoE9EllbEEZZNS1_14partition_implILS5_9ELb0ES3_jPlS8_PNS0_10empty_typeENS0_5tupleIJS8_S9_EEENSB_IJS8_SA_EEENS0_18inequality_wrapperIZN2at6native12_GLOBAL__N_124unique_dim_cuda_templateIdEESt5tupleIJNSF_6TensorESK_SK_EERKSK_lbbbEUlllE0_EEPmJS9_EEE10hipError_tPvRmT3_T4_T5_T6_T7_T9_mT8_P12ihipStream_tbDpT10_ENKUlT_T0_E_clISt17integral_constantIbLb0EES19_IbLb1EEEEDaS15_S16_EUlS15_E_NS1_11comp_targetILNS1_3genE9ELNS1_11target_archE1100ELNS1_3gpuE3ELNS1_3repE0EEENS1_30default_config_static_selectorELNS0_4arch9wavefront6targetE1EEEvT1_
                                        ; -- End function
	.section	.AMDGPU.csdata,"",@progbits
; Kernel info:
; codeLenInByte = 0
; NumSgprs: 4
; NumVgprs: 0
; NumAgprs: 0
; TotalNumVgprs: 0
; ScratchSize: 0
; MemoryBound: 0
; FloatMode: 240
; IeeeMode: 1
; LDSByteSize: 0 bytes/workgroup (compile time only)
; SGPRBlocks: 0
; VGPRBlocks: 0
; NumSGPRsForWavesPerEU: 4
; NumVGPRsForWavesPerEU: 1
; AccumOffset: 4
; Occupancy: 8
; WaveLimiterHint : 0
; COMPUTE_PGM_RSRC2:SCRATCH_EN: 0
; COMPUTE_PGM_RSRC2:USER_SGPR: 6
; COMPUTE_PGM_RSRC2:TRAP_HANDLER: 0
; COMPUTE_PGM_RSRC2:TGID_X_EN: 1
; COMPUTE_PGM_RSRC2:TGID_Y_EN: 0
; COMPUTE_PGM_RSRC2:TGID_Z_EN: 0
; COMPUTE_PGM_RSRC2:TIDIG_COMP_CNT: 0
; COMPUTE_PGM_RSRC3_GFX90A:ACCUM_OFFSET: 0
; COMPUTE_PGM_RSRC3_GFX90A:TG_SPLIT: 0
	.section	.text._ZN7rocprim17ROCPRIM_400000_NS6detail17trampoline_kernelINS0_14default_configENS1_25partition_config_selectorILNS1_17partition_subalgoE9EllbEEZZNS1_14partition_implILS5_9ELb0ES3_jPlS8_PNS0_10empty_typeENS0_5tupleIJS8_S9_EEENSB_IJS8_SA_EEENS0_18inequality_wrapperIZN2at6native12_GLOBAL__N_124unique_dim_cuda_templateIdEESt5tupleIJNSF_6TensorESK_SK_EERKSK_lbbbEUlllE0_EEPmJS9_EEE10hipError_tPvRmT3_T4_T5_T6_T7_T9_mT8_P12ihipStream_tbDpT10_ENKUlT_T0_E_clISt17integral_constantIbLb0EES19_IbLb1EEEEDaS15_S16_EUlS15_E_NS1_11comp_targetILNS1_3genE8ELNS1_11target_archE1030ELNS1_3gpuE2ELNS1_3repE0EEENS1_30default_config_static_selectorELNS0_4arch9wavefront6targetE1EEEvT1_,"axG",@progbits,_ZN7rocprim17ROCPRIM_400000_NS6detail17trampoline_kernelINS0_14default_configENS1_25partition_config_selectorILNS1_17partition_subalgoE9EllbEEZZNS1_14partition_implILS5_9ELb0ES3_jPlS8_PNS0_10empty_typeENS0_5tupleIJS8_S9_EEENSB_IJS8_SA_EEENS0_18inequality_wrapperIZN2at6native12_GLOBAL__N_124unique_dim_cuda_templateIdEESt5tupleIJNSF_6TensorESK_SK_EERKSK_lbbbEUlllE0_EEPmJS9_EEE10hipError_tPvRmT3_T4_T5_T6_T7_T9_mT8_P12ihipStream_tbDpT10_ENKUlT_T0_E_clISt17integral_constantIbLb0EES19_IbLb1EEEEDaS15_S16_EUlS15_E_NS1_11comp_targetILNS1_3genE8ELNS1_11target_archE1030ELNS1_3gpuE2ELNS1_3repE0EEENS1_30default_config_static_selectorELNS0_4arch9wavefront6targetE1EEEvT1_,comdat
	.globl	_ZN7rocprim17ROCPRIM_400000_NS6detail17trampoline_kernelINS0_14default_configENS1_25partition_config_selectorILNS1_17partition_subalgoE9EllbEEZZNS1_14partition_implILS5_9ELb0ES3_jPlS8_PNS0_10empty_typeENS0_5tupleIJS8_S9_EEENSB_IJS8_SA_EEENS0_18inequality_wrapperIZN2at6native12_GLOBAL__N_124unique_dim_cuda_templateIdEESt5tupleIJNSF_6TensorESK_SK_EERKSK_lbbbEUlllE0_EEPmJS9_EEE10hipError_tPvRmT3_T4_T5_T6_T7_T9_mT8_P12ihipStream_tbDpT10_ENKUlT_T0_E_clISt17integral_constantIbLb0EES19_IbLb1EEEEDaS15_S16_EUlS15_E_NS1_11comp_targetILNS1_3genE8ELNS1_11target_archE1030ELNS1_3gpuE2ELNS1_3repE0EEENS1_30default_config_static_selectorELNS0_4arch9wavefront6targetE1EEEvT1_ ; -- Begin function _ZN7rocprim17ROCPRIM_400000_NS6detail17trampoline_kernelINS0_14default_configENS1_25partition_config_selectorILNS1_17partition_subalgoE9EllbEEZZNS1_14partition_implILS5_9ELb0ES3_jPlS8_PNS0_10empty_typeENS0_5tupleIJS8_S9_EEENSB_IJS8_SA_EEENS0_18inequality_wrapperIZN2at6native12_GLOBAL__N_124unique_dim_cuda_templateIdEESt5tupleIJNSF_6TensorESK_SK_EERKSK_lbbbEUlllE0_EEPmJS9_EEE10hipError_tPvRmT3_T4_T5_T6_T7_T9_mT8_P12ihipStream_tbDpT10_ENKUlT_T0_E_clISt17integral_constantIbLb0EES19_IbLb1EEEEDaS15_S16_EUlS15_E_NS1_11comp_targetILNS1_3genE8ELNS1_11target_archE1030ELNS1_3gpuE2ELNS1_3repE0EEENS1_30default_config_static_selectorELNS0_4arch9wavefront6targetE1EEEvT1_
	.p2align	8
	.type	_ZN7rocprim17ROCPRIM_400000_NS6detail17trampoline_kernelINS0_14default_configENS1_25partition_config_selectorILNS1_17partition_subalgoE9EllbEEZZNS1_14partition_implILS5_9ELb0ES3_jPlS8_PNS0_10empty_typeENS0_5tupleIJS8_S9_EEENSB_IJS8_SA_EEENS0_18inequality_wrapperIZN2at6native12_GLOBAL__N_124unique_dim_cuda_templateIdEESt5tupleIJNSF_6TensorESK_SK_EERKSK_lbbbEUlllE0_EEPmJS9_EEE10hipError_tPvRmT3_T4_T5_T6_T7_T9_mT8_P12ihipStream_tbDpT10_ENKUlT_T0_E_clISt17integral_constantIbLb0EES19_IbLb1EEEEDaS15_S16_EUlS15_E_NS1_11comp_targetILNS1_3genE8ELNS1_11target_archE1030ELNS1_3gpuE2ELNS1_3repE0EEENS1_30default_config_static_selectorELNS0_4arch9wavefront6targetE1EEEvT1_,@function
_ZN7rocprim17ROCPRIM_400000_NS6detail17trampoline_kernelINS0_14default_configENS1_25partition_config_selectorILNS1_17partition_subalgoE9EllbEEZZNS1_14partition_implILS5_9ELb0ES3_jPlS8_PNS0_10empty_typeENS0_5tupleIJS8_S9_EEENSB_IJS8_SA_EEENS0_18inequality_wrapperIZN2at6native12_GLOBAL__N_124unique_dim_cuda_templateIdEESt5tupleIJNSF_6TensorESK_SK_EERKSK_lbbbEUlllE0_EEPmJS9_EEE10hipError_tPvRmT3_T4_T5_T6_T7_T9_mT8_P12ihipStream_tbDpT10_ENKUlT_T0_E_clISt17integral_constantIbLb0EES19_IbLb1EEEEDaS15_S16_EUlS15_E_NS1_11comp_targetILNS1_3genE8ELNS1_11target_archE1030ELNS1_3gpuE2ELNS1_3repE0EEENS1_30default_config_static_selectorELNS0_4arch9wavefront6targetE1EEEvT1_: ; @_ZN7rocprim17ROCPRIM_400000_NS6detail17trampoline_kernelINS0_14default_configENS1_25partition_config_selectorILNS1_17partition_subalgoE9EllbEEZZNS1_14partition_implILS5_9ELb0ES3_jPlS8_PNS0_10empty_typeENS0_5tupleIJS8_S9_EEENSB_IJS8_SA_EEENS0_18inequality_wrapperIZN2at6native12_GLOBAL__N_124unique_dim_cuda_templateIdEESt5tupleIJNSF_6TensorESK_SK_EERKSK_lbbbEUlllE0_EEPmJS9_EEE10hipError_tPvRmT3_T4_T5_T6_T7_T9_mT8_P12ihipStream_tbDpT10_ENKUlT_T0_E_clISt17integral_constantIbLb0EES19_IbLb1EEEEDaS15_S16_EUlS15_E_NS1_11comp_targetILNS1_3genE8ELNS1_11target_archE1030ELNS1_3gpuE2ELNS1_3repE0EEENS1_30default_config_static_selectorELNS0_4arch9wavefront6targetE1EEEvT1_
; %bb.0:
	.section	.rodata,"a",@progbits
	.p2align	6, 0x0
	.amdhsa_kernel _ZN7rocprim17ROCPRIM_400000_NS6detail17trampoline_kernelINS0_14default_configENS1_25partition_config_selectorILNS1_17partition_subalgoE9EllbEEZZNS1_14partition_implILS5_9ELb0ES3_jPlS8_PNS0_10empty_typeENS0_5tupleIJS8_S9_EEENSB_IJS8_SA_EEENS0_18inequality_wrapperIZN2at6native12_GLOBAL__N_124unique_dim_cuda_templateIdEESt5tupleIJNSF_6TensorESK_SK_EERKSK_lbbbEUlllE0_EEPmJS9_EEE10hipError_tPvRmT3_T4_T5_T6_T7_T9_mT8_P12ihipStream_tbDpT10_ENKUlT_T0_E_clISt17integral_constantIbLb0EES19_IbLb1EEEEDaS15_S16_EUlS15_E_NS1_11comp_targetILNS1_3genE8ELNS1_11target_archE1030ELNS1_3gpuE2ELNS1_3repE0EEENS1_30default_config_static_selectorELNS0_4arch9wavefront6targetE1EEEvT1_
		.amdhsa_group_segment_fixed_size 0
		.amdhsa_private_segment_fixed_size 0
		.amdhsa_kernarg_size 136
		.amdhsa_user_sgpr_count 6
		.amdhsa_user_sgpr_private_segment_buffer 1
		.amdhsa_user_sgpr_dispatch_ptr 0
		.amdhsa_user_sgpr_queue_ptr 0
		.amdhsa_user_sgpr_kernarg_segment_ptr 1
		.amdhsa_user_sgpr_dispatch_id 0
		.amdhsa_user_sgpr_flat_scratch_init 0
		.amdhsa_user_sgpr_kernarg_preload_length 0
		.amdhsa_user_sgpr_kernarg_preload_offset 0
		.amdhsa_user_sgpr_private_segment_size 0
		.amdhsa_uses_dynamic_stack 0
		.amdhsa_system_sgpr_private_segment_wavefront_offset 0
		.amdhsa_system_sgpr_workgroup_id_x 1
		.amdhsa_system_sgpr_workgroup_id_y 0
		.amdhsa_system_sgpr_workgroup_id_z 0
		.amdhsa_system_sgpr_workgroup_info 0
		.amdhsa_system_vgpr_workitem_id 0
		.amdhsa_next_free_vgpr 1
		.amdhsa_next_free_sgpr 0
		.amdhsa_accum_offset 4
		.amdhsa_reserve_vcc 0
		.amdhsa_reserve_flat_scratch 0
		.amdhsa_float_round_mode_32 0
		.amdhsa_float_round_mode_16_64 0
		.amdhsa_float_denorm_mode_32 3
		.amdhsa_float_denorm_mode_16_64 3
		.amdhsa_dx10_clamp 1
		.amdhsa_ieee_mode 1
		.amdhsa_fp16_overflow 0
		.amdhsa_tg_split 0
		.amdhsa_exception_fp_ieee_invalid_op 0
		.amdhsa_exception_fp_denorm_src 0
		.amdhsa_exception_fp_ieee_div_zero 0
		.amdhsa_exception_fp_ieee_overflow 0
		.amdhsa_exception_fp_ieee_underflow 0
		.amdhsa_exception_fp_ieee_inexact 0
		.amdhsa_exception_int_div_zero 0
	.end_amdhsa_kernel
	.section	.text._ZN7rocprim17ROCPRIM_400000_NS6detail17trampoline_kernelINS0_14default_configENS1_25partition_config_selectorILNS1_17partition_subalgoE9EllbEEZZNS1_14partition_implILS5_9ELb0ES3_jPlS8_PNS0_10empty_typeENS0_5tupleIJS8_S9_EEENSB_IJS8_SA_EEENS0_18inequality_wrapperIZN2at6native12_GLOBAL__N_124unique_dim_cuda_templateIdEESt5tupleIJNSF_6TensorESK_SK_EERKSK_lbbbEUlllE0_EEPmJS9_EEE10hipError_tPvRmT3_T4_T5_T6_T7_T9_mT8_P12ihipStream_tbDpT10_ENKUlT_T0_E_clISt17integral_constantIbLb0EES19_IbLb1EEEEDaS15_S16_EUlS15_E_NS1_11comp_targetILNS1_3genE8ELNS1_11target_archE1030ELNS1_3gpuE2ELNS1_3repE0EEENS1_30default_config_static_selectorELNS0_4arch9wavefront6targetE1EEEvT1_,"axG",@progbits,_ZN7rocprim17ROCPRIM_400000_NS6detail17trampoline_kernelINS0_14default_configENS1_25partition_config_selectorILNS1_17partition_subalgoE9EllbEEZZNS1_14partition_implILS5_9ELb0ES3_jPlS8_PNS0_10empty_typeENS0_5tupleIJS8_S9_EEENSB_IJS8_SA_EEENS0_18inequality_wrapperIZN2at6native12_GLOBAL__N_124unique_dim_cuda_templateIdEESt5tupleIJNSF_6TensorESK_SK_EERKSK_lbbbEUlllE0_EEPmJS9_EEE10hipError_tPvRmT3_T4_T5_T6_T7_T9_mT8_P12ihipStream_tbDpT10_ENKUlT_T0_E_clISt17integral_constantIbLb0EES19_IbLb1EEEEDaS15_S16_EUlS15_E_NS1_11comp_targetILNS1_3genE8ELNS1_11target_archE1030ELNS1_3gpuE2ELNS1_3repE0EEENS1_30default_config_static_selectorELNS0_4arch9wavefront6targetE1EEEvT1_,comdat
.Lfunc_end870:
	.size	_ZN7rocprim17ROCPRIM_400000_NS6detail17trampoline_kernelINS0_14default_configENS1_25partition_config_selectorILNS1_17partition_subalgoE9EllbEEZZNS1_14partition_implILS5_9ELb0ES3_jPlS8_PNS0_10empty_typeENS0_5tupleIJS8_S9_EEENSB_IJS8_SA_EEENS0_18inequality_wrapperIZN2at6native12_GLOBAL__N_124unique_dim_cuda_templateIdEESt5tupleIJNSF_6TensorESK_SK_EERKSK_lbbbEUlllE0_EEPmJS9_EEE10hipError_tPvRmT3_T4_T5_T6_T7_T9_mT8_P12ihipStream_tbDpT10_ENKUlT_T0_E_clISt17integral_constantIbLb0EES19_IbLb1EEEEDaS15_S16_EUlS15_E_NS1_11comp_targetILNS1_3genE8ELNS1_11target_archE1030ELNS1_3gpuE2ELNS1_3repE0EEENS1_30default_config_static_selectorELNS0_4arch9wavefront6targetE1EEEvT1_, .Lfunc_end870-_ZN7rocprim17ROCPRIM_400000_NS6detail17trampoline_kernelINS0_14default_configENS1_25partition_config_selectorILNS1_17partition_subalgoE9EllbEEZZNS1_14partition_implILS5_9ELb0ES3_jPlS8_PNS0_10empty_typeENS0_5tupleIJS8_S9_EEENSB_IJS8_SA_EEENS0_18inequality_wrapperIZN2at6native12_GLOBAL__N_124unique_dim_cuda_templateIdEESt5tupleIJNSF_6TensorESK_SK_EERKSK_lbbbEUlllE0_EEPmJS9_EEE10hipError_tPvRmT3_T4_T5_T6_T7_T9_mT8_P12ihipStream_tbDpT10_ENKUlT_T0_E_clISt17integral_constantIbLb0EES19_IbLb1EEEEDaS15_S16_EUlS15_E_NS1_11comp_targetILNS1_3genE8ELNS1_11target_archE1030ELNS1_3gpuE2ELNS1_3repE0EEENS1_30default_config_static_selectorELNS0_4arch9wavefront6targetE1EEEvT1_
                                        ; -- End function
	.section	.AMDGPU.csdata,"",@progbits
; Kernel info:
; codeLenInByte = 0
; NumSgprs: 4
; NumVgprs: 0
; NumAgprs: 0
; TotalNumVgprs: 0
; ScratchSize: 0
; MemoryBound: 0
; FloatMode: 240
; IeeeMode: 1
; LDSByteSize: 0 bytes/workgroup (compile time only)
; SGPRBlocks: 0
; VGPRBlocks: 0
; NumSGPRsForWavesPerEU: 4
; NumVGPRsForWavesPerEU: 1
; AccumOffset: 4
; Occupancy: 8
; WaveLimiterHint : 0
; COMPUTE_PGM_RSRC2:SCRATCH_EN: 0
; COMPUTE_PGM_RSRC2:USER_SGPR: 6
; COMPUTE_PGM_RSRC2:TRAP_HANDLER: 0
; COMPUTE_PGM_RSRC2:TGID_X_EN: 1
; COMPUTE_PGM_RSRC2:TGID_Y_EN: 0
; COMPUTE_PGM_RSRC2:TGID_Z_EN: 0
; COMPUTE_PGM_RSRC2:TIDIG_COMP_CNT: 0
; COMPUTE_PGM_RSRC3_GFX90A:ACCUM_OFFSET: 0
; COMPUTE_PGM_RSRC3_GFX90A:TG_SPLIT: 0
	.section	.text._ZN7rocprim17ROCPRIM_400000_NS6detail17trampoline_kernelINS0_14default_configENS1_37merge_sort_block_sort_config_selectorIlNS0_10empty_typeEEEZNS1_21merge_sort_block_sortIS3_PlS8_PS5_S9_ZN2at6native12_GLOBAL__N_124unique_dim_cuda_templateIfEESt5tupleIJNSA_6TensorESF_SF_EERKSF_lbbbEUlllE_EE10hipError_tT0_T1_T2_T3_mRjT4_P12ihipStream_tbNS1_7vsmem_tEEUlT_E_NS1_11comp_targetILNS1_3genE0ELNS1_11target_archE4294967295ELNS1_3gpuE0ELNS1_3repE0EEENS1_30default_config_static_selectorELNS0_4arch9wavefront6targetE1EEEvSM_,"axG",@progbits,_ZN7rocprim17ROCPRIM_400000_NS6detail17trampoline_kernelINS0_14default_configENS1_37merge_sort_block_sort_config_selectorIlNS0_10empty_typeEEEZNS1_21merge_sort_block_sortIS3_PlS8_PS5_S9_ZN2at6native12_GLOBAL__N_124unique_dim_cuda_templateIfEESt5tupleIJNSA_6TensorESF_SF_EERKSF_lbbbEUlllE_EE10hipError_tT0_T1_T2_T3_mRjT4_P12ihipStream_tbNS1_7vsmem_tEEUlT_E_NS1_11comp_targetILNS1_3genE0ELNS1_11target_archE4294967295ELNS1_3gpuE0ELNS1_3repE0EEENS1_30default_config_static_selectorELNS0_4arch9wavefront6targetE1EEEvSM_,comdat
	.globl	_ZN7rocprim17ROCPRIM_400000_NS6detail17trampoline_kernelINS0_14default_configENS1_37merge_sort_block_sort_config_selectorIlNS0_10empty_typeEEEZNS1_21merge_sort_block_sortIS3_PlS8_PS5_S9_ZN2at6native12_GLOBAL__N_124unique_dim_cuda_templateIfEESt5tupleIJNSA_6TensorESF_SF_EERKSF_lbbbEUlllE_EE10hipError_tT0_T1_T2_T3_mRjT4_P12ihipStream_tbNS1_7vsmem_tEEUlT_E_NS1_11comp_targetILNS1_3genE0ELNS1_11target_archE4294967295ELNS1_3gpuE0ELNS1_3repE0EEENS1_30default_config_static_selectorELNS0_4arch9wavefront6targetE1EEEvSM_ ; -- Begin function _ZN7rocprim17ROCPRIM_400000_NS6detail17trampoline_kernelINS0_14default_configENS1_37merge_sort_block_sort_config_selectorIlNS0_10empty_typeEEEZNS1_21merge_sort_block_sortIS3_PlS8_PS5_S9_ZN2at6native12_GLOBAL__N_124unique_dim_cuda_templateIfEESt5tupleIJNSA_6TensorESF_SF_EERKSF_lbbbEUlllE_EE10hipError_tT0_T1_T2_T3_mRjT4_P12ihipStream_tbNS1_7vsmem_tEEUlT_E_NS1_11comp_targetILNS1_3genE0ELNS1_11target_archE4294967295ELNS1_3gpuE0ELNS1_3repE0EEENS1_30default_config_static_selectorELNS0_4arch9wavefront6targetE1EEEvSM_
	.p2align	8
	.type	_ZN7rocprim17ROCPRIM_400000_NS6detail17trampoline_kernelINS0_14default_configENS1_37merge_sort_block_sort_config_selectorIlNS0_10empty_typeEEEZNS1_21merge_sort_block_sortIS3_PlS8_PS5_S9_ZN2at6native12_GLOBAL__N_124unique_dim_cuda_templateIfEESt5tupleIJNSA_6TensorESF_SF_EERKSF_lbbbEUlllE_EE10hipError_tT0_T1_T2_T3_mRjT4_P12ihipStream_tbNS1_7vsmem_tEEUlT_E_NS1_11comp_targetILNS1_3genE0ELNS1_11target_archE4294967295ELNS1_3gpuE0ELNS1_3repE0EEENS1_30default_config_static_selectorELNS0_4arch9wavefront6targetE1EEEvSM_,@function
_ZN7rocprim17ROCPRIM_400000_NS6detail17trampoline_kernelINS0_14default_configENS1_37merge_sort_block_sort_config_selectorIlNS0_10empty_typeEEEZNS1_21merge_sort_block_sortIS3_PlS8_PS5_S9_ZN2at6native12_GLOBAL__N_124unique_dim_cuda_templateIfEESt5tupleIJNSA_6TensorESF_SF_EERKSF_lbbbEUlllE_EE10hipError_tT0_T1_T2_T3_mRjT4_P12ihipStream_tbNS1_7vsmem_tEEUlT_E_NS1_11comp_targetILNS1_3genE0ELNS1_11target_archE4294967295ELNS1_3gpuE0ELNS1_3repE0EEENS1_30default_config_static_selectorELNS0_4arch9wavefront6targetE1EEEvSM_: ; @_ZN7rocprim17ROCPRIM_400000_NS6detail17trampoline_kernelINS0_14default_configENS1_37merge_sort_block_sort_config_selectorIlNS0_10empty_typeEEEZNS1_21merge_sort_block_sortIS3_PlS8_PS5_S9_ZN2at6native12_GLOBAL__N_124unique_dim_cuda_templateIfEESt5tupleIJNSA_6TensorESF_SF_EERKSF_lbbbEUlllE_EE10hipError_tT0_T1_T2_T3_mRjT4_P12ihipStream_tbNS1_7vsmem_tEEUlT_E_NS1_11comp_targetILNS1_3genE0ELNS1_11target_archE4294967295ELNS1_3gpuE0ELNS1_3repE0EEENS1_30default_config_static_selectorELNS0_4arch9wavefront6targetE1EEEvSM_
; %bb.0:
	.section	.rodata,"a",@progbits
	.p2align	6, 0x0
	.amdhsa_kernel _ZN7rocprim17ROCPRIM_400000_NS6detail17trampoline_kernelINS0_14default_configENS1_37merge_sort_block_sort_config_selectorIlNS0_10empty_typeEEEZNS1_21merge_sort_block_sortIS3_PlS8_PS5_S9_ZN2at6native12_GLOBAL__N_124unique_dim_cuda_templateIfEESt5tupleIJNSA_6TensorESF_SF_EERKSF_lbbbEUlllE_EE10hipError_tT0_T1_T2_T3_mRjT4_P12ihipStream_tbNS1_7vsmem_tEEUlT_E_NS1_11comp_targetILNS1_3genE0ELNS1_11target_archE4294967295ELNS1_3gpuE0ELNS1_3repE0EEENS1_30default_config_static_selectorELNS0_4arch9wavefront6targetE1EEEvSM_
		.amdhsa_group_segment_fixed_size 0
		.amdhsa_private_segment_fixed_size 0
		.amdhsa_kernarg_size 72
		.amdhsa_user_sgpr_count 6
		.amdhsa_user_sgpr_private_segment_buffer 1
		.amdhsa_user_sgpr_dispatch_ptr 0
		.amdhsa_user_sgpr_queue_ptr 0
		.amdhsa_user_sgpr_kernarg_segment_ptr 1
		.amdhsa_user_sgpr_dispatch_id 0
		.amdhsa_user_sgpr_flat_scratch_init 0
		.amdhsa_user_sgpr_kernarg_preload_length 0
		.amdhsa_user_sgpr_kernarg_preload_offset 0
		.amdhsa_user_sgpr_private_segment_size 0
		.amdhsa_uses_dynamic_stack 0
		.amdhsa_system_sgpr_private_segment_wavefront_offset 0
		.amdhsa_system_sgpr_workgroup_id_x 1
		.amdhsa_system_sgpr_workgroup_id_y 0
		.amdhsa_system_sgpr_workgroup_id_z 0
		.amdhsa_system_sgpr_workgroup_info 0
		.amdhsa_system_vgpr_workitem_id 0
		.amdhsa_next_free_vgpr 1
		.amdhsa_next_free_sgpr 0
		.amdhsa_accum_offset 4
		.amdhsa_reserve_vcc 0
		.amdhsa_reserve_flat_scratch 0
		.amdhsa_float_round_mode_32 0
		.amdhsa_float_round_mode_16_64 0
		.amdhsa_float_denorm_mode_32 3
		.amdhsa_float_denorm_mode_16_64 3
		.amdhsa_dx10_clamp 1
		.amdhsa_ieee_mode 1
		.amdhsa_fp16_overflow 0
		.amdhsa_tg_split 0
		.amdhsa_exception_fp_ieee_invalid_op 0
		.amdhsa_exception_fp_denorm_src 0
		.amdhsa_exception_fp_ieee_div_zero 0
		.amdhsa_exception_fp_ieee_overflow 0
		.amdhsa_exception_fp_ieee_underflow 0
		.amdhsa_exception_fp_ieee_inexact 0
		.amdhsa_exception_int_div_zero 0
	.end_amdhsa_kernel
	.section	.text._ZN7rocprim17ROCPRIM_400000_NS6detail17trampoline_kernelINS0_14default_configENS1_37merge_sort_block_sort_config_selectorIlNS0_10empty_typeEEEZNS1_21merge_sort_block_sortIS3_PlS8_PS5_S9_ZN2at6native12_GLOBAL__N_124unique_dim_cuda_templateIfEESt5tupleIJNSA_6TensorESF_SF_EERKSF_lbbbEUlllE_EE10hipError_tT0_T1_T2_T3_mRjT4_P12ihipStream_tbNS1_7vsmem_tEEUlT_E_NS1_11comp_targetILNS1_3genE0ELNS1_11target_archE4294967295ELNS1_3gpuE0ELNS1_3repE0EEENS1_30default_config_static_selectorELNS0_4arch9wavefront6targetE1EEEvSM_,"axG",@progbits,_ZN7rocprim17ROCPRIM_400000_NS6detail17trampoline_kernelINS0_14default_configENS1_37merge_sort_block_sort_config_selectorIlNS0_10empty_typeEEEZNS1_21merge_sort_block_sortIS3_PlS8_PS5_S9_ZN2at6native12_GLOBAL__N_124unique_dim_cuda_templateIfEESt5tupleIJNSA_6TensorESF_SF_EERKSF_lbbbEUlllE_EE10hipError_tT0_T1_T2_T3_mRjT4_P12ihipStream_tbNS1_7vsmem_tEEUlT_E_NS1_11comp_targetILNS1_3genE0ELNS1_11target_archE4294967295ELNS1_3gpuE0ELNS1_3repE0EEENS1_30default_config_static_selectorELNS0_4arch9wavefront6targetE1EEEvSM_,comdat
.Lfunc_end871:
	.size	_ZN7rocprim17ROCPRIM_400000_NS6detail17trampoline_kernelINS0_14default_configENS1_37merge_sort_block_sort_config_selectorIlNS0_10empty_typeEEEZNS1_21merge_sort_block_sortIS3_PlS8_PS5_S9_ZN2at6native12_GLOBAL__N_124unique_dim_cuda_templateIfEESt5tupleIJNSA_6TensorESF_SF_EERKSF_lbbbEUlllE_EE10hipError_tT0_T1_T2_T3_mRjT4_P12ihipStream_tbNS1_7vsmem_tEEUlT_E_NS1_11comp_targetILNS1_3genE0ELNS1_11target_archE4294967295ELNS1_3gpuE0ELNS1_3repE0EEENS1_30default_config_static_selectorELNS0_4arch9wavefront6targetE1EEEvSM_, .Lfunc_end871-_ZN7rocprim17ROCPRIM_400000_NS6detail17trampoline_kernelINS0_14default_configENS1_37merge_sort_block_sort_config_selectorIlNS0_10empty_typeEEEZNS1_21merge_sort_block_sortIS3_PlS8_PS5_S9_ZN2at6native12_GLOBAL__N_124unique_dim_cuda_templateIfEESt5tupleIJNSA_6TensorESF_SF_EERKSF_lbbbEUlllE_EE10hipError_tT0_T1_T2_T3_mRjT4_P12ihipStream_tbNS1_7vsmem_tEEUlT_E_NS1_11comp_targetILNS1_3genE0ELNS1_11target_archE4294967295ELNS1_3gpuE0ELNS1_3repE0EEENS1_30default_config_static_selectorELNS0_4arch9wavefront6targetE1EEEvSM_
                                        ; -- End function
	.section	.AMDGPU.csdata,"",@progbits
; Kernel info:
; codeLenInByte = 0
; NumSgprs: 4
; NumVgprs: 0
; NumAgprs: 0
; TotalNumVgprs: 0
; ScratchSize: 0
; MemoryBound: 0
; FloatMode: 240
; IeeeMode: 1
; LDSByteSize: 0 bytes/workgroup (compile time only)
; SGPRBlocks: 0
; VGPRBlocks: 0
; NumSGPRsForWavesPerEU: 4
; NumVGPRsForWavesPerEU: 1
; AccumOffset: 4
; Occupancy: 8
; WaveLimiterHint : 0
; COMPUTE_PGM_RSRC2:SCRATCH_EN: 0
; COMPUTE_PGM_RSRC2:USER_SGPR: 6
; COMPUTE_PGM_RSRC2:TRAP_HANDLER: 0
; COMPUTE_PGM_RSRC2:TGID_X_EN: 1
; COMPUTE_PGM_RSRC2:TGID_Y_EN: 0
; COMPUTE_PGM_RSRC2:TGID_Z_EN: 0
; COMPUTE_PGM_RSRC2:TIDIG_COMP_CNT: 0
; COMPUTE_PGM_RSRC3_GFX90A:ACCUM_OFFSET: 0
; COMPUTE_PGM_RSRC3_GFX90A:TG_SPLIT: 0
	.section	.text._ZN7rocprim17ROCPRIM_400000_NS6detail17trampoline_kernelINS0_14default_configENS1_37merge_sort_block_sort_config_selectorIlNS0_10empty_typeEEEZNS1_21merge_sort_block_sortIS3_PlS8_PS5_S9_ZN2at6native12_GLOBAL__N_124unique_dim_cuda_templateIfEESt5tupleIJNSA_6TensorESF_SF_EERKSF_lbbbEUlllE_EE10hipError_tT0_T1_T2_T3_mRjT4_P12ihipStream_tbNS1_7vsmem_tEEUlT_E_NS1_11comp_targetILNS1_3genE5ELNS1_11target_archE942ELNS1_3gpuE9ELNS1_3repE0EEENS1_30default_config_static_selectorELNS0_4arch9wavefront6targetE1EEEvSM_,"axG",@progbits,_ZN7rocprim17ROCPRIM_400000_NS6detail17trampoline_kernelINS0_14default_configENS1_37merge_sort_block_sort_config_selectorIlNS0_10empty_typeEEEZNS1_21merge_sort_block_sortIS3_PlS8_PS5_S9_ZN2at6native12_GLOBAL__N_124unique_dim_cuda_templateIfEESt5tupleIJNSA_6TensorESF_SF_EERKSF_lbbbEUlllE_EE10hipError_tT0_T1_T2_T3_mRjT4_P12ihipStream_tbNS1_7vsmem_tEEUlT_E_NS1_11comp_targetILNS1_3genE5ELNS1_11target_archE942ELNS1_3gpuE9ELNS1_3repE0EEENS1_30default_config_static_selectorELNS0_4arch9wavefront6targetE1EEEvSM_,comdat
	.globl	_ZN7rocprim17ROCPRIM_400000_NS6detail17trampoline_kernelINS0_14default_configENS1_37merge_sort_block_sort_config_selectorIlNS0_10empty_typeEEEZNS1_21merge_sort_block_sortIS3_PlS8_PS5_S9_ZN2at6native12_GLOBAL__N_124unique_dim_cuda_templateIfEESt5tupleIJNSA_6TensorESF_SF_EERKSF_lbbbEUlllE_EE10hipError_tT0_T1_T2_T3_mRjT4_P12ihipStream_tbNS1_7vsmem_tEEUlT_E_NS1_11comp_targetILNS1_3genE5ELNS1_11target_archE942ELNS1_3gpuE9ELNS1_3repE0EEENS1_30default_config_static_selectorELNS0_4arch9wavefront6targetE1EEEvSM_ ; -- Begin function _ZN7rocprim17ROCPRIM_400000_NS6detail17trampoline_kernelINS0_14default_configENS1_37merge_sort_block_sort_config_selectorIlNS0_10empty_typeEEEZNS1_21merge_sort_block_sortIS3_PlS8_PS5_S9_ZN2at6native12_GLOBAL__N_124unique_dim_cuda_templateIfEESt5tupleIJNSA_6TensorESF_SF_EERKSF_lbbbEUlllE_EE10hipError_tT0_T1_T2_T3_mRjT4_P12ihipStream_tbNS1_7vsmem_tEEUlT_E_NS1_11comp_targetILNS1_3genE5ELNS1_11target_archE942ELNS1_3gpuE9ELNS1_3repE0EEENS1_30default_config_static_selectorELNS0_4arch9wavefront6targetE1EEEvSM_
	.p2align	8
	.type	_ZN7rocprim17ROCPRIM_400000_NS6detail17trampoline_kernelINS0_14default_configENS1_37merge_sort_block_sort_config_selectorIlNS0_10empty_typeEEEZNS1_21merge_sort_block_sortIS3_PlS8_PS5_S9_ZN2at6native12_GLOBAL__N_124unique_dim_cuda_templateIfEESt5tupleIJNSA_6TensorESF_SF_EERKSF_lbbbEUlllE_EE10hipError_tT0_T1_T2_T3_mRjT4_P12ihipStream_tbNS1_7vsmem_tEEUlT_E_NS1_11comp_targetILNS1_3genE5ELNS1_11target_archE942ELNS1_3gpuE9ELNS1_3repE0EEENS1_30default_config_static_selectorELNS0_4arch9wavefront6targetE1EEEvSM_,@function
_ZN7rocprim17ROCPRIM_400000_NS6detail17trampoline_kernelINS0_14default_configENS1_37merge_sort_block_sort_config_selectorIlNS0_10empty_typeEEEZNS1_21merge_sort_block_sortIS3_PlS8_PS5_S9_ZN2at6native12_GLOBAL__N_124unique_dim_cuda_templateIfEESt5tupleIJNSA_6TensorESF_SF_EERKSF_lbbbEUlllE_EE10hipError_tT0_T1_T2_T3_mRjT4_P12ihipStream_tbNS1_7vsmem_tEEUlT_E_NS1_11comp_targetILNS1_3genE5ELNS1_11target_archE942ELNS1_3gpuE9ELNS1_3repE0EEENS1_30default_config_static_selectorELNS0_4arch9wavefront6targetE1EEEvSM_: ; @_ZN7rocprim17ROCPRIM_400000_NS6detail17trampoline_kernelINS0_14default_configENS1_37merge_sort_block_sort_config_selectorIlNS0_10empty_typeEEEZNS1_21merge_sort_block_sortIS3_PlS8_PS5_S9_ZN2at6native12_GLOBAL__N_124unique_dim_cuda_templateIfEESt5tupleIJNSA_6TensorESF_SF_EERKSF_lbbbEUlllE_EE10hipError_tT0_T1_T2_T3_mRjT4_P12ihipStream_tbNS1_7vsmem_tEEUlT_E_NS1_11comp_targetILNS1_3genE5ELNS1_11target_archE942ELNS1_3gpuE9ELNS1_3repE0EEENS1_30default_config_static_selectorELNS0_4arch9wavefront6targetE1EEEvSM_
; %bb.0:
	.section	.rodata,"a",@progbits
	.p2align	6, 0x0
	.amdhsa_kernel _ZN7rocprim17ROCPRIM_400000_NS6detail17trampoline_kernelINS0_14default_configENS1_37merge_sort_block_sort_config_selectorIlNS0_10empty_typeEEEZNS1_21merge_sort_block_sortIS3_PlS8_PS5_S9_ZN2at6native12_GLOBAL__N_124unique_dim_cuda_templateIfEESt5tupleIJNSA_6TensorESF_SF_EERKSF_lbbbEUlllE_EE10hipError_tT0_T1_T2_T3_mRjT4_P12ihipStream_tbNS1_7vsmem_tEEUlT_E_NS1_11comp_targetILNS1_3genE5ELNS1_11target_archE942ELNS1_3gpuE9ELNS1_3repE0EEENS1_30default_config_static_selectorELNS0_4arch9wavefront6targetE1EEEvSM_
		.amdhsa_group_segment_fixed_size 0
		.amdhsa_private_segment_fixed_size 0
		.amdhsa_kernarg_size 72
		.amdhsa_user_sgpr_count 6
		.amdhsa_user_sgpr_private_segment_buffer 1
		.amdhsa_user_sgpr_dispatch_ptr 0
		.amdhsa_user_sgpr_queue_ptr 0
		.amdhsa_user_sgpr_kernarg_segment_ptr 1
		.amdhsa_user_sgpr_dispatch_id 0
		.amdhsa_user_sgpr_flat_scratch_init 0
		.amdhsa_user_sgpr_kernarg_preload_length 0
		.amdhsa_user_sgpr_kernarg_preload_offset 0
		.amdhsa_user_sgpr_private_segment_size 0
		.amdhsa_uses_dynamic_stack 0
		.amdhsa_system_sgpr_private_segment_wavefront_offset 0
		.amdhsa_system_sgpr_workgroup_id_x 1
		.amdhsa_system_sgpr_workgroup_id_y 0
		.amdhsa_system_sgpr_workgroup_id_z 0
		.amdhsa_system_sgpr_workgroup_info 0
		.amdhsa_system_vgpr_workitem_id 0
		.amdhsa_next_free_vgpr 1
		.amdhsa_next_free_sgpr 0
		.amdhsa_accum_offset 4
		.amdhsa_reserve_vcc 0
		.amdhsa_reserve_flat_scratch 0
		.amdhsa_float_round_mode_32 0
		.amdhsa_float_round_mode_16_64 0
		.amdhsa_float_denorm_mode_32 3
		.amdhsa_float_denorm_mode_16_64 3
		.amdhsa_dx10_clamp 1
		.amdhsa_ieee_mode 1
		.amdhsa_fp16_overflow 0
		.amdhsa_tg_split 0
		.amdhsa_exception_fp_ieee_invalid_op 0
		.amdhsa_exception_fp_denorm_src 0
		.amdhsa_exception_fp_ieee_div_zero 0
		.amdhsa_exception_fp_ieee_overflow 0
		.amdhsa_exception_fp_ieee_underflow 0
		.amdhsa_exception_fp_ieee_inexact 0
		.amdhsa_exception_int_div_zero 0
	.end_amdhsa_kernel
	.section	.text._ZN7rocprim17ROCPRIM_400000_NS6detail17trampoline_kernelINS0_14default_configENS1_37merge_sort_block_sort_config_selectorIlNS0_10empty_typeEEEZNS1_21merge_sort_block_sortIS3_PlS8_PS5_S9_ZN2at6native12_GLOBAL__N_124unique_dim_cuda_templateIfEESt5tupleIJNSA_6TensorESF_SF_EERKSF_lbbbEUlllE_EE10hipError_tT0_T1_T2_T3_mRjT4_P12ihipStream_tbNS1_7vsmem_tEEUlT_E_NS1_11comp_targetILNS1_3genE5ELNS1_11target_archE942ELNS1_3gpuE9ELNS1_3repE0EEENS1_30default_config_static_selectorELNS0_4arch9wavefront6targetE1EEEvSM_,"axG",@progbits,_ZN7rocprim17ROCPRIM_400000_NS6detail17trampoline_kernelINS0_14default_configENS1_37merge_sort_block_sort_config_selectorIlNS0_10empty_typeEEEZNS1_21merge_sort_block_sortIS3_PlS8_PS5_S9_ZN2at6native12_GLOBAL__N_124unique_dim_cuda_templateIfEESt5tupleIJNSA_6TensorESF_SF_EERKSF_lbbbEUlllE_EE10hipError_tT0_T1_T2_T3_mRjT4_P12ihipStream_tbNS1_7vsmem_tEEUlT_E_NS1_11comp_targetILNS1_3genE5ELNS1_11target_archE942ELNS1_3gpuE9ELNS1_3repE0EEENS1_30default_config_static_selectorELNS0_4arch9wavefront6targetE1EEEvSM_,comdat
.Lfunc_end872:
	.size	_ZN7rocprim17ROCPRIM_400000_NS6detail17trampoline_kernelINS0_14default_configENS1_37merge_sort_block_sort_config_selectorIlNS0_10empty_typeEEEZNS1_21merge_sort_block_sortIS3_PlS8_PS5_S9_ZN2at6native12_GLOBAL__N_124unique_dim_cuda_templateIfEESt5tupleIJNSA_6TensorESF_SF_EERKSF_lbbbEUlllE_EE10hipError_tT0_T1_T2_T3_mRjT4_P12ihipStream_tbNS1_7vsmem_tEEUlT_E_NS1_11comp_targetILNS1_3genE5ELNS1_11target_archE942ELNS1_3gpuE9ELNS1_3repE0EEENS1_30default_config_static_selectorELNS0_4arch9wavefront6targetE1EEEvSM_, .Lfunc_end872-_ZN7rocprim17ROCPRIM_400000_NS6detail17trampoline_kernelINS0_14default_configENS1_37merge_sort_block_sort_config_selectorIlNS0_10empty_typeEEEZNS1_21merge_sort_block_sortIS3_PlS8_PS5_S9_ZN2at6native12_GLOBAL__N_124unique_dim_cuda_templateIfEESt5tupleIJNSA_6TensorESF_SF_EERKSF_lbbbEUlllE_EE10hipError_tT0_T1_T2_T3_mRjT4_P12ihipStream_tbNS1_7vsmem_tEEUlT_E_NS1_11comp_targetILNS1_3genE5ELNS1_11target_archE942ELNS1_3gpuE9ELNS1_3repE0EEENS1_30default_config_static_selectorELNS0_4arch9wavefront6targetE1EEEvSM_
                                        ; -- End function
	.section	.AMDGPU.csdata,"",@progbits
; Kernel info:
; codeLenInByte = 0
; NumSgprs: 4
; NumVgprs: 0
; NumAgprs: 0
; TotalNumVgprs: 0
; ScratchSize: 0
; MemoryBound: 0
; FloatMode: 240
; IeeeMode: 1
; LDSByteSize: 0 bytes/workgroup (compile time only)
; SGPRBlocks: 0
; VGPRBlocks: 0
; NumSGPRsForWavesPerEU: 4
; NumVGPRsForWavesPerEU: 1
; AccumOffset: 4
; Occupancy: 8
; WaveLimiterHint : 0
; COMPUTE_PGM_RSRC2:SCRATCH_EN: 0
; COMPUTE_PGM_RSRC2:USER_SGPR: 6
; COMPUTE_PGM_RSRC2:TRAP_HANDLER: 0
; COMPUTE_PGM_RSRC2:TGID_X_EN: 1
; COMPUTE_PGM_RSRC2:TGID_Y_EN: 0
; COMPUTE_PGM_RSRC2:TGID_Z_EN: 0
; COMPUTE_PGM_RSRC2:TIDIG_COMP_CNT: 0
; COMPUTE_PGM_RSRC3_GFX90A:ACCUM_OFFSET: 0
; COMPUTE_PGM_RSRC3_GFX90A:TG_SPLIT: 0
	.section	.text._ZN7rocprim17ROCPRIM_400000_NS6detail17trampoline_kernelINS0_14default_configENS1_37merge_sort_block_sort_config_selectorIlNS0_10empty_typeEEEZNS1_21merge_sort_block_sortIS3_PlS8_PS5_S9_ZN2at6native12_GLOBAL__N_124unique_dim_cuda_templateIfEESt5tupleIJNSA_6TensorESF_SF_EERKSF_lbbbEUlllE_EE10hipError_tT0_T1_T2_T3_mRjT4_P12ihipStream_tbNS1_7vsmem_tEEUlT_E_NS1_11comp_targetILNS1_3genE4ELNS1_11target_archE910ELNS1_3gpuE8ELNS1_3repE0EEENS1_30default_config_static_selectorELNS0_4arch9wavefront6targetE1EEEvSM_,"axG",@progbits,_ZN7rocprim17ROCPRIM_400000_NS6detail17trampoline_kernelINS0_14default_configENS1_37merge_sort_block_sort_config_selectorIlNS0_10empty_typeEEEZNS1_21merge_sort_block_sortIS3_PlS8_PS5_S9_ZN2at6native12_GLOBAL__N_124unique_dim_cuda_templateIfEESt5tupleIJNSA_6TensorESF_SF_EERKSF_lbbbEUlllE_EE10hipError_tT0_T1_T2_T3_mRjT4_P12ihipStream_tbNS1_7vsmem_tEEUlT_E_NS1_11comp_targetILNS1_3genE4ELNS1_11target_archE910ELNS1_3gpuE8ELNS1_3repE0EEENS1_30default_config_static_selectorELNS0_4arch9wavefront6targetE1EEEvSM_,comdat
	.globl	_ZN7rocprim17ROCPRIM_400000_NS6detail17trampoline_kernelINS0_14default_configENS1_37merge_sort_block_sort_config_selectorIlNS0_10empty_typeEEEZNS1_21merge_sort_block_sortIS3_PlS8_PS5_S9_ZN2at6native12_GLOBAL__N_124unique_dim_cuda_templateIfEESt5tupleIJNSA_6TensorESF_SF_EERKSF_lbbbEUlllE_EE10hipError_tT0_T1_T2_T3_mRjT4_P12ihipStream_tbNS1_7vsmem_tEEUlT_E_NS1_11comp_targetILNS1_3genE4ELNS1_11target_archE910ELNS1_3gpuE8ELNS1_3repE0EEENS1_30default_config_static_selectorELNS0_4arch9wavefront6targetE1EEEvSM_ ; -- Begin function _ZN7rocprim17ROCPRIM_400000_NS6detail17trampoline_kernelINS0_14default_configENS1_37merge_sort_block_sort_config_selectorIlNS0_10empty_typeEEEZNS1_21merge_sort_block_sortIS3_PlS8_PS5_S9_ZN2at6native12_GLOBAL__N_124unique_dim_cuda_templateIfEESt5tupleIJNSA_6TensorESF_SF_EERKSF_lbbbEUlllE_EE10hipError_tT0_T1_T2_T3_mRjT4_P12ihipStream_tbNS1_7vsmem_tEEUlT_E_NS1_11comp_targetILNS1_3genE4ELNS1_11target_archE910ELNS1_3gpuE8ELNS1_3repE0EEENS1_30default_config_static_selectorELNS0_4arch9wavefront6targetE1EEEvSM_
	.p2align	8
	.type	_ZN7rocprim17ROCPRIM_400000_NS6detail17trampoline_kernelINS0_14default_configENS1_37merge_sort_block_sort_config_selectorIlNS0_10empty_typeEEEZNS1_21merge_sort_block_sortIS3_PlS8_PS5_S9_ZN2at6native12_GLOBAL__N_124unique_dim_cuda_templateIfEESt5tupleIJNSA_6TensorESF_SF_EERKSF_lbbbEUlllE_EE10hipError_tT0_T1_T2_T3_mRjT4_P12ihipStream_tbNS1_7vsmem_tEEUlT_E_NS1_11comp_targetILNS1_3genE4ELNS1_11target_archE910ELNS1_3gpuE8ELNS1_3repE0EEENS1_30default_config_static_selectorELNS0_4arch9wavefront6targetE1EEEvSM_,@function
_ZN7rocprim17ROCPRIM_400000_NS6detail17trampoline_kernelINS0_14default_configENS1_37merge_sort_block_sort_config_selectorIlNS0_10empty_typeEEEZNS1_21merge_sort_block_sortIS3_PlS8_PS5_S9_ZN2at6native12_GLOBAL__N_124unique_dim_cuda_templateIfEESt5tupleIJNSA_6TensorESF_SF_EERKSF_lbbbEUlllE_EE10hipError_tT0_T1_T2_T3_mRjT4_P12ihipStream_tbNS1_7vsmem_tEEUlT_E_NS1_11comp_targetILNS1_3genE4ELNS1_11target_archE910ELNS1_3gpuE8ELNS1_3repE0EEENS1_30default_config_static_selectorELNS0_4arch9wavefront6targetE1EEEvSM_: ; @_ZN7rocprim17ROCPRIM_400000_NS6detail17trampoline_kernelINS0_14default_configENS1_37merge_sort_block_sort_config_selectorIlNS0_10empty_typeEEEZNS1_21merge_sort_block_sortIS3_PlS8_PS5_S9_ZN2at6native12_GLOBAL__N_124unique_dim_cuda_templateIfEESt5tupleIJNSA_6TensorESF_SF_EERKSF_lbbbEUlllE_EE10hipError_tT0_T1_T2_T3_mRjT4_P12ihipStream_tbNS1_7vsmem_tEEUlT_E_NS1_11comp_targetILNS1_3genE4ELNS1_11target_archE910ELNS1_3gpuE8ELNS1_3repE0EEENS1_30default_config_static_selectorELNS0_4arch9wavefront6targetE1EEEvSM_
; %bb.0:
	s_load_dwordx2 s[18:19], s[4:5], 0x48
	s_load_dword s0, s[4:5], 0x0
	s_add_u32 s10, s4, 0x48
	s_addc_u32 s11, s5, 0
	s_waitcnt lgkmcnt(0)
	s_mul_i32 s1, s19, s8
	s_add_i32 s1, s1, s7
	s_mul_i32 s1, s1, s18
	s_add_i32 s20, s1, s6
	s_cmp_ge_u32 s20, s0
	s_cbranch_scc1 .LBB873_725
; %bb.1:
	s_load_dwordx2 s[22:23], s[4:5], 0x8
	s_load_dwordx4 s[0:3], s[4:5], 0x18
	s_load_dwordx4 s[12:15], s[4:5], 0x38
	s_mov_b32 s21, 0
	s_lshl_b64 s[4:5], s[20:21], 13
	s_waitcnt lgkmcnt(0)
	s_lshr_b64 s[24:25], s[22:23], 10
	s_add_u32 s8, s0, s4
	s_addc_u32 s9, s1, s5
	s_add_u32 s16, s2, s4
	s_addc_u32 s17, s3, s5
	v_and_b32_e32 v12, 0x3ff, v0
	s_cmp_lg_u64 s[24:25], s[20:21]
	v_bfe_u32 v24, v0, 10, 10
	v_bfe_u32 v25, v0, 20, 10
	v_lshlrev_b32_e32 v22, 3, v12
	v_lshrrev_b32_e32 v27, 2, v12
	v_lshlrev_b32_e32 v23, 2, v12
	v_lshrrev_b32_e32 v26, 3, v12
	v_cmp_gt_i64_e64 s[26:27], s[12:13], 0
	s_cbranch_scc0 .LBB873_8
; %bb.2:
	v_mov_b32_e32 v0, s9
	v_add_co_u32_e32 v4, vcc, s8, v22
	v_addc_co_u32_e32 v5, vcc, 0, v0, vcc
	v_add_co_u32_e32 v4, vcc, 0x1000, v4
	v_addc_co_u32_e32 v5, vcc, 0, v5, vcc
	global_load_dwordx2 v[0:1], v22, s[8:9]
	global_load_dwordx2 v[2:3], v22, s[8:9] offset:2048
	global_load_dwordx2 v[6:7], v[4:5], off
	global_load_dwordx2 v[8:9], v[4:5], off offset:2048
	v_and_b32_e32 v4, 0xf8, v27
	v_add_u32_e32 v5, 0x100, v12
	v_add_u32_e32 v10, 0x200, v12
	;; [unrolled: 1-line block ×4, first 2 shown]
	v_lshrrev_b32_e32 v4, 2, v5
	v_lshrrev_b32_e32 v5, 2, v10
	;; [unrolled: 1-line block ×3, first 2 shown]
	v_add_lshl_u32 v29, v26, v23, 3
	v_and_b32_e32 v4, 0x1f8, v4
	v_and_b32_e32 v5, 0x1f8, v5
	;; [unrolled: 1-line block ×3, first 2 shown]
	v_add_u32_e32 v30, v4, v22
	v_add_u32_e32 v31, v5, v22
	;; [unrolled: 1-line block ×3, first 2 shown]
	v_mov_b32_e32 v13, 0
	v_cndmask_b32_e64 v15, 0, 1, s[26:27]
	s_waitcnt vmcnt(3)
	ds_write_b64 v28, v[0:1]
	s_waitcnt vmcnt(2)
	ds_write_b64 v30, v[2:3] offset:2048
	s_waitcnt vmcnt(1)
	ds_write_b64 v31, v[6:7] offset:4096
	;; [unrolled: 2-line block ×3, first 2 shown]
	s_waitcnt lgkmcnt(0)
	s_barrier
	ds_read2_b64 v[8:11], v29 offset1:1
	ds_read2_b64 v[4:7], v29 offset0:2 offset1:3
	s_waitcnt lgkmcnt(0)
	s_barrier
	s_load_dword s0, s[10:11], 0xc
	v_mov_b32_e32 v0, v8
	v_mov_b32_e32 v1, v9
	;; [unrolled: 1-line block ×4, first 2 shown]
	s_waitcnt lgkmcnt(0)
	s_lshr_b32 s2, s0, 16
	s_cmp_lt_u32 s6, s18
	s_cselect_b32 s0, 12, 18
	s_add_u32 s0, s10, s0
	s_addc_u32 s1, s11, 0
	global_load_ushort v14, v13, s[0:1]
	v_mad_u32_u24 v16, v25, s2, v24
	s_movk_i32 s0, 0x400
	s_waitcnt vmcnt(0)
	v_mul_lo_u32 v14, v16, v14
	v_add_lshl_u32 v33, v14, v12, 2
	v_cmp_gt_u32_e32 vcc, s0, v33
	v_cmp_ne_u32_e64 s[0:1], 1, v15
	s_and_saveexec_b64 s[24:25], vcc
	s_cbranch_execz .LBB873_60
; %bb.3:
	s_and_b64 vcc, exec, s[0:1]
	s_cbranch_vccnz .LBB873_14
; %bb.4:
	v_mul_lo_u32 v16, v11, s12
	v_mul_lo_u32 v17, v10, s13
	v_mad_u64_u32 v[14:15], s[2:3], v10, s12, 0
	v_add3_u32 v15, v15, v17, v16
	v_lshlrev_b64 v[14:15], 2, v[14:15]
	v_mov_b32_e32 v16, s15
	v_add_co_u32_e32 v14, vcc, s14, v14
	v_addc_co_u32_e32 v15, vcc, v16, v15, vcc
	v_mul_lo_u32 v18, v9, s12
	v_mul_lo_u32 v19, v8, s13
	v_mad_u64_u32 v[16:17], s[2:3], v8, s12, 0
	v_add3_u32 v17, v17, v19, v18
	v_lshlrev_b64 v[16:17], 2, v[16:17]
	v_mov_b32_e32 v18, s15
	v_add_co_u32_e32 v16, vcc, s14, v16
	v_addc_co_u32_e32 v17, vcc, v18, v17, vcc
	s_mov_b64 s[34:35], 0
	s_mov_b64 s[42:43], s[12:13]
                                        ; implicit-def: $sgpr28_sgpr29
                                        ; implicit-def: $sgpr30_sgpr31
                                        ; implicit-def: $sgpr38_sgpr39
                                        ; implicit-def: $sgpr36_sgpr37
                                        ; implicit-def: $sgpr40_sgpr41
                                        ; implicit-def: $sgpr44_sgpr45
	s_branch .LBB873_6
.LBB873_5:                              ;   in Loop: Header=BB873_6 Depth=1
	s_or_b64 exec, exec, s[46:47]
	s_and_b64 s[4:5], exec, s[38:39]
	s_or_b64 s[34:35], s[4:5], s[34:35]
	s_andn2_b64 s[4:5], s[44:45], exec
	s_and_b64 s[44:45], s[40:41], exec
	s_or_b64 s[44:45], s[4:5], s[44:45]
	s_andn2_b64 s[4:5], s[30:31], exec
	s_and_b64 s[30:31], s[36:37], exec
	;; [unrolled: 3-line block ×3, first 2 shown]
	s_or_b64 s[28:29], s[4:5], s[2:3]
	s_andn2_b64 exec, exec, s[34:35]
	s_cbranch_execz .LBB873_9
.LBB873_6:                              ; =>This Inner Loop Header: Depth=1
	global_load_dword v18, v[14:15], off
	global_load_dword v19, v[16:17], off
	s_andn2_b64 s[40:41], s[40:41], exec
	s_or_b64 s[36:37], s[36:37], exec
	s_or_b64 s[38:39], s[38:39], exec
	s_waitcnt vmcnt(0)
	v_cmp_ngt_f32_e64 s[2:3], v18, v19
	v_cmp_lt_f32_e32 vcc, v18, v19
	s_and_b64 s[2:3], s[2:3], s[44:45]
	v_cmp_nlg_f32_e64 s[4:5], v18, v19
	s_or_b64 s[2:3], vcc, s[2:3]
	s_and_saveexec_b64 s[46:47], s[4:5]
	s_cbranch_execz .LBB873_5
; %bb.7:                                ;   in Loop: Header=BB873_6 Depth=1
	s_add_u32 s42, s42, -1
	s_addc_u32 s43, s43, -1
	v_add_co_u32_e32 v14, vcc, 4, v14
	s_cmp_eq_u64 s[42:43], 0
	v_addc_co_u32_e32 v15, vcc, 0, v15, vcc
	s_cselect_b64 s[4:5], -1, 0
	v_add_co_u32_e32 v16, vcc, 4, v16
	s_andn2_b64 s[40:41], s[40:41], exec
	s_and_b64 s[44:45], s[2:3], exec
	s_andn2_b64 s[38:39], s[38:39], exec
	s_and_b64 s[4:5], s[4:5], exec
	v_addc_co_u32_e32 v17, vcc, 0, v17, vcc
	s_or_b64 s[40:41], s[40:41], s[44:45]
	s_andn2_b64 s[36:37], s[36:37], exec
	s_or_b64 s[38:39], s[38:39], s[4:5]
                                        ; implicit-def: $sgpr44_sgpr45
	s_branch .LBB873_5
.LBB873_8:
	s_mov_b64 s[24:25], 0
                                        ; implicit-def: $vgpr0_vgpr1
	s_cbranch_execnz .LBB873_429
	s_branch .LBB873_723
.LBB873_9:
	s_or_b64 exec, exec, s[34:35]
	s_and_saveexec_b64 s[2:3], s[30:31]
	s_xor_b64 s[2:3], exec, s[2:3]
	s_cbranch_execz .LBB873_13
; %bb.10:
	v_pk_mov_b32 v[14:15], v[10:11], v[10:11] op_sel:[0,1]
	s_and_saveexec_b64 s[4:5], s[28:29]
; %bb.11:
	v_mov_b32_e32 v0, v10
	v_mov_b32_e32 v1, v11
	;; [unrolled: 1-line block ×4, first 2 shown]
	v_pk_mov_b32 v[14:15], v[8:9], v[8:9] op_sel:[0,1]
	v_pk_mov_b32 v[8:9], v[10:11], v[10:11] op_sel:[0,1]
; %bb.12:
	s_or_b64 exec, exec, s[4:5]
	v_pk_mov_b32 v[10:11], v[14:15], v[14:15] op_sel:[0,1]
.LBB873_13:
	s_or_b64 exec, exec, s[2:3]
.LBB873_14:
	v_mov_b32_e32 v16, v6
	v_mov_b32_e32 v17, v7
	;; [unrolled: 1-line block ×3, first 2 shown]
	s_and_b64 vcc, exec, s[0:1]
	v_mov_b32_e32 v15, v5
	s_cbranch_vccnz .LBB873_24
; %bb.15:
	v_mul_lo_u32 v20, v7, s12
	v_mul_lo_u32 v21, v6, s13
	v_mad_u64_u32 v[18:19], s[2:3], v6, s12, 0
	v_add3_u32 v19, v19, v21, v20
	v_lshlrev_b64 v[18:19], 2, v[18:19]
	v_mov_b32_e32 v20, s15
	v_add_co_u32_e32 v18, vcc, s14, v18
	v_addc_co_u32_e32 v19, vcc, v20, v19, vcc
	v_mul_lo_u32 v34, v5, s12
	v_mul_lo_u32 v35, v4, s13
	v_mad_u64_u32 v[20:21], s[2:3], v4, s12, 0
	v_add3_u32 v21, v21, v35, v34
	v_lshlrev_b64 v[20:21], 2, v[20:21]
	v_mov_b32_e32 v34, s15
	v_add_co_u32_e32 v20, vcc, s14, v20
	v_addc_co_u32_e32 v21, vcc, v34, v21, vcc
	s_mov_b64 s[34:35], 0
	s_mov_b64 s[42:43], s[12:13]
                                        ; implicit-def: $sgpr28_sgpr29
                                        ; implicit-def: $sgpr30_sgpr31
                                        ; implicit-def: $sgpr38_sgpr39
                                        ; implicit-def: $sgpr36_sgpr37
                                        ; implicit-def: $sgpr40_sgpr41
                                        ; implicit-def: $sgpr44_sgpr45
	s_branch .LBB873_17
.LBB873_16:                             ;   in Loop: Header=BB873_17 Depth=1
	s_or_b64 exec, exec, s[46:47]
	s_and_b64 s[4:5], exec, s[38:39]
	s_or_b64 s[34:35], s[4:5], s[34:35]
	s_andn2_b64 s[4:5], s[44:45], exec
	s_and_b64 s[44:45], s[40:41], exec
	s_or_b64 s[44:45], s[4:5], s[44:45]
	s_andn2_b64 s[4:5], s[30:31], exec
	s_and_b64 s[30:31], s[36:37], exec
	;; [unrolled: 3-line block ×3, first 2 shown]
	s_or_b64 s[28:29], s[4:5], s[2:3]
	s_andn2_b64 exec, exec, s[34:35]
	s_cbranch_execz .LBB873_19
.LBB873_17:                             ; =>This Inner Loop Header: Depth=1
	global_load_dword v34, v[18:19], off
	global_load_dword v35, v[20:21], off
	s_andn2_b64 s[40:41], s[40:41], exec
	s_or_b64 s[36:37], s[36:37], exec
	s_or_b64 s[38:39], s[38:39], exec
	s_waitcnt vmcnt(0)
	v_cmp_ngt_f32_e64 s[2:3], v34, v35
	v_cmp_lt_f32_e32 vcc, v34, v35
	s_and_b64 s[2:3], s[2:3], s[44:45]
	v_cmp_nlg_f32_e64 s[4:5], v34, v35
	s_or_b64 s[2:3], vcc, s[2:3]
	s_and_saveexec_b64 s[46:47], s[4:5]
	s_cbranch_execz .LBB873_16
; %bb.18:                               ;   in Loop: Header=BB873_17 Depth=1
	s_add_u32 s42, s42, -1
	s_addc_u32 s43, s43, -1
	v_add_co_u32_e32 v18, vcc, 4, v18
	s_cmp_eq_u64 s[42:43], 0
	v_addc_co_u32_e32 v19, vcc, 0, v19, vcc
	s_cselect_b64 s[4:5], -1, 0
	v_add_co_u32_e32 v20, vcc, 4, v20
	s_andn2_b64 s[40:41], s[40:41], exec
	s_and_b64 s[44:45], s[2:3], exec
	s_andn2_b64 s[38:39], s[38:39], exec
	s_and_b64 s[4:5], s[4:5], exec
	v_addc_co_u32_e32 v21, vcc, 0, v21, vcc
	s_or_b64 s[40:41], s[40:41], s[44:45]
	s_andn2_b64 s[36:37], s[36:37], exec
	s_or_b64 s[38:39], s[38:39], s[4:5]
                                        ; implicit-def: $sgpr44_sgpr45
	s_branch .LBB873_16
.LBB873_19:
	s_or_b64 exec, exec, s[34:35]
	s_and_saveexec_b64 s[2:3], s[30:31]
	s_xor_b64 s[2:3], exec, s[2:3]
	s_cbranch_execz .LBB873_23
; %bb.20:
	s_and_saveexec_b64 s[4:5], s[28:29]
	s_cbranch_execz .LBB873_22
; %bb.21:
	v_mov_b32_e32 v34, v0
	v_mov_b32_e32 v35, v1
	;; [unrolled: 1-line block ×8, first 2 shown]
	v_pk_mov_b32 v[18:19], v[16:17], v[16:17] op_sel:[0,1]
	v_pk_mov_b32 v[0:1], v[34:35], v[34:35] op_sel:[0,1]
	;; [unrolled: 1-line block ×7, first 2 shown]
.LBB873_22:
	s_or_b64 exec, exec, s[4:5]
.LBB873_23:
	s_or_b64 exec, exec, s[2:3]
.LBB873_24:
	s_and_b64 vcc, exec, s[26:27]
	s_cbranch_vccz .LBB873_34
; %bb.25:
	v_mul_lo_u32 v20, v15, s12
	v_mul_lo_u32 v21, v14, s13
	v_mad_u64_u32 v[18:19], s[2:3], v14, s12, 0
	v_add3_u32 v19, v19, v21, v20
	v_lshlrev_b64 v[18:19], 2, v[18:19]
	v_mov_b32_e32 v20, s15
	v_add_co_u32_e32 v18, vcc, s14, v18
	v_addc_co_u32_e32 v19, vcc, v20, v19, vcc
	v_mul_lo_u32 v34, v11, s12
	v_mul_lo_u32 v35, v10, s13
	v_mad_u64_u32 v[20:21], s[2:3], v10, s12, 0
	v_add3_u32 v21, v21, v35, v34
	v_lshlrev_b64 v[20:21], 2, v[20:21]
	v_mov_b32_e32 v34, s15
	v_add_co_u32_e32 v20, vcc, s14, v20
	v_addc_co_u32_e32 v21, vcc, v34, v21, vcc
	s_mov_b64 s[30:31], 0
	s_mov_b64 s[40:41], s[12:13]
                                        ; implicit-def: $sgpr26_sgpr27
                                        ; implicit-def: $sgpr28_sgpr29
                                        ; implicit-def: $sgpr36_sgpr37
                                        ; implicit-def: $sgpr34_sgpr35
                                        ; implicit-def: $sgpr38_sgpr39
                                        ; implicit-def: $sgpr42_sgpr43
	s_branch .LBB873_27
.LBB873_26:                             ;   in Loop: Header=BB873_27 Depth=1
	s_or_b64 exec, exec, s[44:45]
	s_and_b64 s[4:5], exec, s[36:37]
	s_or_b64 s[30:31], s[4:5], s[30:31]
	s_andn2_b64 s[4:5], s[42:43], exec
	s_and_b64 s[42:43], s[38:39], exec
	s_or_b64 s[42:43], s[4:5], s[42:43]
	s_andn2_b64 s[4:5], s[28:29], exec
	s_and_b64 s[28:29], s[34:35], exec
	;; [unrolled: 3-line block ×3, first 2 shown]
	s_or_b64 s[26:27], s[4:5], s[2:3]
	s_andn2_b64 exec, exec, s[30:31]
	s_cbranch_execz .LBB873_29
.LBB873_27:                             ; =>This Inner Loop Header: Depth=1
	global_load_dword v34, v[18:19], off
	global_load_dword v35, v[20:21], off
	s_andn2_b64 s[38:39], s[38:39], exec
	s_or_b64 s[34:35], s[34:35], exec
	s_or_b64 s[36:37], s[36:37], exec
	s_waitcnt vmcnt(0)
	v_cmp_ngt_f32_e64 s[2:3], v34, v35
	v_cmp_lt_f32_e32 vcc, v34, v35
	s_and_b64 s[2:3], s[2:3], s[42:43]
	v_cmp_nlg_f32_e64 s[4:5], v34, v35
	s_or_b64 s[2:3], vcc, s[2:3]
	s_and_saveexec_b64 s[44:45], s[4:5]
	s_cbranch_execz .LBB873_26
; %bb.28:                               ;   in Loop: Header=BB873_27 Depth=1
	s_add_u32 s40, s40, -1
	s_addc_u32 s41, s41, -1
	v_add_co_u32_e32 v18, vcc, 4, v18
	s_cmp_eq_u64 s[40:41], 0
	v_addc_co_u32_e32 v19, vcc, 0, v19, vcc
	s_cselect_b64 s[4:5], -1, 0
	v_add_co_u32_e32 v20, vcc, 4, v20
	s_andn2_b64 s[38:39], s[38:39], exec
	s_and_b64 s[42:43], s[2:3], exec
	s_andn2_b64 s[36:37], s[36:37], exec
	s_and_b64 s[4:5], s[4:5], exec
	v_addc_co_u32_e32 v21, vcc, 0, v21, vcc
	s_or_b64 s[38:39], s[38:39], s[42:43]
	s_andn2_b64 s[34:35], s[34:35], exec
	s_or_b64 s[36:37], s[36:37], s[4:5]
                                        ; implicit-def: $sgpr42_sgpr43
	s_branch .LBB873_26
.LBB873_29:
	s_or_b64 exec, exec, s[30:31]
	s_and_saveexec_b64 s[2:3], s[28:29]
	s_xor_b64 s[2:3], exec, s[2:3]
	s_cbranch_execz .LBB873_33
; %bb.30:
	v_pk_mov_b32 v[18:19], v[10:11], v[10:11] op_sel:[0,1]
	s_and_saveexec_b64 s[4:5], s[26:27]
; %bb.31:
	v_mov_b32_e32 v2, v14
	v_mov_b32_e32 v3, v15
	;; [unrolled: 1-line block ×4, first 2 shown]
	v_pk_mov_b32 v[18:19], v[14:15], v[14:15] op_sel:[0,1]
	v_pk_mov_b32 v[14:15], v[10:11], v[10:11] op_sel:[0,1]
; %bb.32:
	s_or_b64 exec, exec, s[4:5]
	v_pk_mov_b32 v[10:11], v[18:19], v[18:19] op_sel:[0,1]
.LBB873_33:
	s_or_b64 exec, exec, s[2:3]
.LBB873_34:
	s_and_b64 vcc, exec, s[0:1]
	s_cbranch_vccnz .LBB873_44
; %bb.35:
	v_mul_lo_u32 v20, v11, s12
	v_mul_lo_u32 v21, v10, s13
	v_mad_u64_u32 v[18:19], s[2:3], v10, s12, 0
	v_add3_u32 v19, v19, v21, v20
	v_lshlrev_b64 v[18:19], 2, v[18:19]
	v_mov_b32_e32 v20, s15
	v_add_co_u32_e32 v18, vcc, s14, v18
	v_addc_co_u32_e32 v19, vcc, v20, v19, vcc
	v_mul_lo_u32 v34, v9, s12
	v_mul_lo_u32 v35, v8, s13
	v_mad_u64_u32 v[20:21], s[2:3], v8, s12, 0
	v_add3_u32 v21, v21, v35, v34
	v_lshlrev_b64 v[20:21], 2, v[20:21]
	v_mov_b32_e32 v34, s15
	v_add_co_u32_e32 v20, vcc, s14, v20
	v_addc_co_u32_e32 v21, vcc, v34, v21, vcc
	s_mov_b64 s[30:31], 0
	s_mov_b64 s[40:41], s[12:13]
                                        ; implicit-def: $sgpr26_sgpr27
                                        ; implicit-def: $sgpr28_sgpr29
                                        ; implicit-def: $sgpr36_sgpr37
                                        ; implicit-def: $sgpr34_sgpr35
                                        ; implicit-def: $sgpr38_sgpr39
                                        ; implicit-def: $sgpr42_sgpr43
	s_branch .LBB873_37
.LBB873_36:                             ;   in Loop: Header=BB873_37 Depth=1
	s_or_b64 exec, exec, s[44:45]
	s_and_b64 s[4:5], exec, s[36:37]
	s_or_b64 s[30:31], s[4:5], s[30:31]
	s_andn2_b64 s[4:5], s[42:43], exec
	s_and_b64 s[42:43], s[38:39], exec
	s_or_b64 s[42:43], s[4:5], s[42:43]
	s_andn2_b64 s[4:5], s[28:29], exec
	s_and_b64 s[28:29], s[34:35], exec
	;; [unrolled: 3-line block ×3, first 2 shown]
	s_or_b64 s[26:27], s[4:5], s[2:3]
	s_andn2_b64 exec, exec, s[30:31]
	s_cbranch_execz .LBB873_39
.LBB873_37:                             ; =>This Inner Loop Header: Depth=1
	global_load_dword v34, v[18:19], off
	global_load_dword v35, v[20:21], off
	s_andn2_b64 s[38:39], s[38:39], exec
	s_or_b64 s[34:35], s[34:35], exec
	s_or_b64 s[36:37], s[36:37], exec
	s_waitcnt vmcnt(0)
	v_cmp_ngt_f32_e64 s[2:3], v34, v35
	v_cmp_lt_f32_e32 vcc, v34, v35
	s_and_b64 s[2:3], s[2:3], s[42:43]
	v_cmp_nlg_f32_e64 s[4:5], v34, v35
	s_or_b64 s[2:3], vcc, s[2:3]
	s_and_saveexec_b64 s[44:45], s[4:5]
	s_cbranch_execz .LBB873_36
; %bb.38:                               ;   in Loop: Header=BB873_37 Depth=1
	s_add_u32 s40, s40, -1
	s_addc_u32 s41, s41, -1
	v_add_co_u32_e32 v18, vcc, 4, v18
	s_cmp_eq_u64 s[40:41], 0
	v_addc_co_u32_e32 v19, vcc, 0, v19, vcc
	s_cselect_b64 s[4:5], -1, 0
	v_add_co_u32_e32 v20, vcc, 4, v20
	s_andn2_b64 s[38:39], s[38:39], exec
	s_and_b64 s[42:43], s[2:3], exec
	s_andn2_b64 s[36:37], s[36:37], exec
	s_and_b64 s[4:5], s[4:5], exec
	v_addc_co_u32_e32 v21, vcc, 0, v21, vcc
	s_or_b64 s[38:39], s[38:39], s[42:43]
	s_andn2_b64 s[34:35], s[34:35], exec
	s_or_b64 s[36:37], s[36:37], s[4:5]
                                        ; implicit-def: $sgpr42_sgpr43
	s_branch .LBB873_36
.LBB873_39:
	s_or_b64 exec, exec, s[30:31]
	s_and_saveexec_b64 s[2:3], s[28:29]
	s_xor_b64 s[2:3], exec, s[2:3]
	s_cbranch_execz .LBB873_43
; %bb.40:
	v_pk_mov_b32 v[18:19], v[10:11], v[10:11] op_sel:[0,1]
	s_and_saveexec_b64 s[4:5], s[26:27]
; %bb.41:
	v_mov_b32_e32 v0, v10
	v_mov_b32_e32 v1, v11
	;; [unrolled: 1-line block ×4, first 2 shown]
	v_pk_mov_b32 v[18:19], v[8:9], v[8:9] op_sel:[0,1]
	v_pk_mov_b32 v[8:9], v[10:11], v[10:11] op_sel:[0,1]
; %bb.42:
	s_or_b64 exec, exec, s[4:5]
	v_pk_mov_b32 v[10:11], v[18:19], v[18:19] op_sel:[0,1]
.LBB873_43:
	s_or_b64 exec, exec, s[2:3]
.LBB873_44:
	s_and_b64 vcc, exec, s[0:1]
	s_cbranch_vccnz .LBB873_52
; %bb.45:
	v_mul_lo_u32 v20, v17, s12
	v_mul_lo_u32 v21, v16, s13
	v_mad_u64_u32 v[18:19], s[2:3], v16, s12, 0
	v_add3_u32 v19, v19, v21, v20
	v_lshlrev_b64 v[18:19], 2, v[18:19]
	v_mov_b32_e32 v20, s15
	v_add_co_u32_e32 v18, vcc, s14, v18
	v_addc_co_u32_e32 v19, vcc, v20, v19, vcc
	v_mul_lo_u32 v34, v15, s12
	v_mul_lo_u32 v35, v14, s13
	v_mad_u64_u32 v[20:21], s[2:3], v14, s12, 0
	v_add3_u32 v21, v21, v35, v34
	v_lshlrev_b64 v[20:21], 2, v[20:21]
	v_mov_b32_e32 v34, s15
	v_add_co_u32_e32 v20, vcc, s14, v20
	v_addc_co_u32_e32 v21, vcc, v34, v21, vcc
	s_mov_b64 s[28:29], 0
	s_mov_b64 s[40:41], s[12:13]
                                        ; implicit-def: $sgpr26_sgpr27
                                        ; implicit-def: $sgpr30_sgpr31
                                        ; implicit-def: $sgpr36_sgpr37
                                        ; implicit-def: $sgpr34_sgpr35
                                        ; implicit-def: $sgpr38_sgpr39
                                        ; implicit-def: $sgpr42_sgpr43
	s_branch .LBB873_47
.LBB873_46:                             ;   in Loop: Header=BB873_47 Depth=1
	s_or_b64 exec, exec, s[44:45]
	s_and_b64 s[4:5], exec, s[36:37]
	s_or_b64 s[28:29], s[4:5], s[28:29]
	s_andn2_b64 s[4:5], s[42:43], exec
	s_and_b64 s[42:43], s[38:39], exec
	s_or_b64 s[42:43], s[4:5], s[42:43]
	s_andn2_b64 s[4:5], s[30:31], exec
	s_and_b64 s[30:31], s[34:35], exec
	;; [unrolled: 3-line block ×3, first 2 shown]
	s_or_b64 s[26:27], s[4:5], s[2:3]
	s_andn2_b64 exec, exec, s[28:29]
	s_cbranch_execz .LBB873_49
.LBB873_47:                             ; =>This Inner Loop Header: Depth=1
	global_load_dword v34, v[18:19], off
	global_load_dword v35, v[20:21], off
	s_andn2_b64 s[38:39], s[38:39], exec
	s_or_b64 s[34:35], s[34:35], exec
	s_or_b64 s[36:37], s[36:37], exec
	s_waitcnt vmcnt(0)
	v_cmp_ngt_f32_e64 s[2:3], v34, v35
	v_cmp_lt_f32_e32 vcc, v34, v35
	s_and_b64 s[2:3], s[2:3], s[42:43]
	v_cmp_nlg_f32_e64 s[4:5], v34, v35
	s_or_b64 s[2:3], vcc, s[2:3]
	s_and_saveexec_b64 s[44:45], s[4:5]
	s_cbranch_execz .LBB873_46
; %bb.48:                               ;   in Loop: Header=BB873_47 Depth=1
	s_add_u32 s40, s40, -1
	s_addc_u32 s41, s41, -1
	v_add_co_u32_e32 v18, vcc, 4, v18
	s_cmp_eq_u64 s[40:41], 0
	v_addc_co_u32_e32 v19, vcc, 0, v19, vcc
	s_cselect_b64 s[4:5], -1, 0
	v_add_co_u32_e32 v20, vcc, 4, v20
	s_andn2_b64 s[38:39], s[38:39], exec
	s_and_b64 s[42:43], s[2:3], exec
	s_andn2_b64 s[36:37], s[36:37], exec
	s_and_b64 s[4:5], s[4:5], exec
	v_addc_co_u32_e32 v21, vcc, 0, v21, vcc
	s_or_b64 s[38:39], s[38:39], s[42:43]
	s_andn2_b64 s[34:35], s[34:35], exec
	s_or_b64 s[36:37], s[36:37], s[4:5]
                                        ; implicit-def: $sgpr42_sgpr43
	s_branch .LBB873_46
.LBB873_49:
	s_or_b64 exec, exec, s[28:29]
	s_and_saveexec_b64 s[2:3], s[30:31]
	s_xor_b64 s[2:3], exec, s[2:3]
; %bb.50:
	v_cndmask_b32_e64 v7, v7, v15, s[26:27]
	v_cndmask_b32_e64 v6, v6, v14, s[26:27]
	;; [unrolled: 1-line block ×6, first 2 shown]
; %bb.51:
	s_or_b64 exec, exec, s[2:3]
.LBB873_52:
	s_and_b64 vcc, exec, s[0:1]
	s_cbranch_vccnz .LBB873_60
; %bb.53:
	v_mul_lo_u32 v18, v15, s12
	v_mul_lo_u32 v19, v14, s13
	v_mad_u64_u32 v[16:17], s[2:3], v14, s12, 0
	v_add3_u32 v17, v17, v19, v18
	v_lshlrev_b64 v[16:17], 2, v[16:17]
	v_mov_b32_e32 v18, s15
	v_add_co_u32_e32 v16, vcc, s14, v16
	v_addc_co_u32_e32 v17, vcc, v18, v17, vcc
	v_mul_lo_u32 v20, v11, s12
	v_mul_lo_u32 v21, v10, s13
	v_mad_u64_u32 v[18:19], s[2:3], v10, s12, 0
	v_add3_u32 v19, v19, v21, v20
	v_lshlrev_b64 v[18:19], 2, v[18:19]
	v_mov_b32_e32 v20, s15
	v_add_co_u32_e32 v18, vcc, s14, v18
	v_addc_co_u32_e32 v19, vcc, v20, v19, vcc
	s_mov_b64 s[28:29], 0
	s_mov_b64 s[40:41], s[12:13]
                                        ; implicit-def: $sgpr26_sgpr27
                                        ; implicit-def: $sgpr30_sgpr31
                                        ; implicit-def: $sgpr36_sgpr37
                                        ; implicit-def: $sgpr34_sgpr35
                                        ; implicit-def: $sgpr38_sgpr39
                                        ; implicit-def: $sgpr42_sgpr43
	s_branch .LBB873_55
.LBB873_54:                             ;   in Loop: Header=BB873_55 Depth=1
	s_or_b64 exec, exec, s[44:45]
	s_and_b64 s[4:5], exec, s[36:37]
	s_or_b64 s[28:29], s[4:5], s[28:29]
	s_andn2_b64 s[4:5], s[42:43], exec
	s_and_b64 s[42:43], s[38:39], exec
	s_or_b64 s[42:43], s[4:5], s[42:43]
	s_andn2_b64 s[4:5], s[30:31], exec
	s_and_b64 s[30:31], s[34:35], exec
	;; [unrolled: 3-line block ×3, first 2 shown]
	s_or_b64 s[26:27], s[4:5], s[2:3]
	s_andn2_b64 exec, exec, s[28:29]
	s_cbranch_execz .LBB873_57
.LBB873_55:                             ; =>This Inner Loop Header: Depth=1
	global_load_dword v20, v[16:17], off
	global_load_dword v21, v[18:19], off
	s_andn2_b64 s[38:39], s[38:39], exec
	s_or_b64 s[34:35], s[34:35], exec
	s_or_b64 s[36:37], s[36:37], exec
	s_waitcnt vmcnt(0)
	v_cmp_ngt_f32_e64 s[2:3], v20, v21
	v_cmp_lt_f32_e32 vcc, v20, v21
	s_and_b64 s[2:3], s[2:3], s[42:43]
	v_cmp_nlg_f32_e64 s[4:5], v20, v21
	s_or_b64 s[2:3], vcc, s[2:3]
	s_and_saveexec_b64 s[44:45], s[4:5]
	s_cbranch_execz .LBB873_54
; %bb.56:                               ;   in Loop: Header=BB873_55 Depth=1
	s_add_u32 s40, s40, -1
	s_addc_u32 s41, s41, -1
	v_add_co_u32_e32 v16, vcc, 4, v16
	s_cmp_eq_u64 s[40:41], 0
	v_addc_co_u32_e32 v17, vcc, 0, v17, vcc
	s_cselect_b64 s[4:5], -1, 0
	v_add_co_u32_e32 v18, vcc, 4, v18
	s_andn2_b64 s[38:39], s[38:39], exec
	s_and_b64 s[42:43], s[2:3], exec
	s_andn2_b64 s[36:37], s[36:37], exec
	s_and_b64 s[4:5], s[4:5], exec
	v_addc_co_u32_e32 v19, vcc, 0, v19, vcc
	s_or_b64 s[38:39], s[38:39], s[42:43]
	s_andn2_b64 s[34:35], s[34:35], exec
	s_or_b64 s[36:37], s[36:37], s[4:5]
                                        ; implicit-def: $sgpr42_sgpr43
	s_branch .LBB873_54
.LBB873_57:
	s_or_b64 exec, exec, s[28:29]
	s_and_saveexec_b64 s[2:3], s[30:31]
	s_xor_b64 s[2:3], exec, s[2:3]
; %bb.58:
	v_cndmask_b32_e64 v5, v5, v11, s[26:27]
	v_cndmask_b32_e64 v4, v4, v10, s[26:27]
	;; [unrolled: 1-line block ×4, first 2 shown]
; %bb.59:
	s_or_b64 exec, exec, s[2:3]
.LBB873_60:
	s_or_b64 exec, exec, s[24:25]
	v_mbcnt_lo_u32_b32 v10, -1, 0
	v_and_b32_e32 v11, 0xffffff00, v33
	v_mbcnt_hi_u32_b32 v10, -1, v10
	s_movk_i32 s2, 0x400
	v_lshlrev_b32_e32 v14, 3, v11
	v_sub_u32_e64 v15, s2, v11 clamp
	v_lshlrev_b32_e32 v16, 2, v10
	v_lshl_add_u32 v17, v10, 5, v14
	v_mov_b32_e32 v10, v2
	v_mov_b32_e32 v11, v3
	ds_write_b128 v17, v[8:11]
	ds_write_b128 v17, v[4:7] offset:16
	v_or_b32_e32 v8, 4, v16
	v_min_u32_e32 v18, v15, v8
	v_add_u32_e32 v8, 4, v18
	v_and_b32_e32 v33, 0x1f8, v16
	v_min_u32_e32 v19, v15, v8
	v_and_b32_e32 v8, 4, v16
	v_min_u32_e32 v34, v15, v8
	v_sub_u32_e32 v8, v18, v33
	v_sub_u32_e32 v9, v19, v18
	v_sub_u32_e64 v21, v34, v9 clamp
	v_min_u32_e32 v35, v34, v8
	v_lshl_add_u32 v20, v33, 3, v14
	v_cmp_lt_u32_e32 vcc, v21, v35
	; wave barrier
	s_and_saveexec_b64 s[24:25], vcc
	s_cbranch_execz .LBB873_70
; %bb.61:
	v_lshlrev_b32_e32 v8, 3, v18
	v_lshlrev_b32_e32 v9, 3, v34
	v_add3_u32 v36, v14, v8, v9
	s_lshl_b64 s[28:29], s[12:13], 2
	s_mov_b64 s[26:27], 0
	s_branch .LBB873_64
.LBB873_62:                             ;   in Loop: Header=BB873_64 Depth=1
	s_or_b64 exec, exec, s[34:35]
.LBB873_63:                             ;   in Loop: Header=BB873_64 Depth=1
	v_add_u32_e32 v8, 1, v37
	v_cndmask_b32_e64 v35, v35, v37, s[30:31]
	v_cndmask_b32_e64 v21, v8, v21, s[30:31]
	v_cmp_ge_u32_e32 vcc, v21, v35
	s_or_b64 s[26:27], vcc, s[26:27]
	s_andn2_b64 exec, exec, s[26:27]
	s_cbranch_execz .LBB873_69
.LBB873_64:                             ; =>This Loop Header: Depth=1
                                        ;     Child Loop BB873_67 Depth 2
	v_add_u32_e32 v8, v35, v21
	v_lshrrev_b32_e32 v37, 1, v8
	s_and_b64 vcc, exec, s[0:1]
	s_mov_b64 s[30:31], 0
	s_cbranch_vccnz .LBB873_63
; %bb.65:                               ;   in Loop: Header=BB873_64 Depth=1
	v_not_b32_e32 v8, v37
	v_lshl_add_u32 v8, v8, 3, v36
	ds_read_b64 v[8:9], v8
	v_lshl_add_u32 v38, v37, 3, v20
	ds_read_b64 v[38:39], v38
	v_pk_mov_b32 v[10:11], s[14:15], s[14:15] op_sel:[0,1]
	s_mov_b64 s[34:35], 0
	s_waitcnt lgkmcnt(1)
	v_mul_lo_u32 v40, s28, v9
	v_mul_lo_u32 v41, s29, v8
	v_mad_u64_u32 v[8:9], s[2:3], s28, v8, v[10:11]
	v_add3_u32 v9, v41, v9, v40
	s_waitcnt lgkmcnt(0)
	v_mul_lo_u32 v39, s28, v39
	v_mul_lo_u32 v40, s29, v38
	v_mad_u64_u32 v[10:11], s[2:3], s28, v38, v[10:11]
	v_add3_u32 v11, v40, v11, v39
	s_mov_b64 s[40:41], s[12:13]
                                        ; implicit-def: $sgpr30_sgpr31
                                        ; implicit-def: $sgpr36_sgpr37
                                        ; implicit-def: $sgpr38_sgpr39
                                        ; implicit-def: $sgpr2_sgpr3
                                        ; implicit-def: $sgpr42_sgpr43
	s_branch .LBB873_67
.LBB873_66:                             ;   in Loop: Header=BB873_67 Depth=2
	s_or_b64 exec, exec, s[44:45]
	s_and_b64 s[4:5], exec, s[36:37]
	s_or_b64 s[34:35], s[4:5], s[34:35]
	s_andn2_b64 s[4:5], s[42:43], exec
	s_and_b64 s[42:43], s[38:39], exec
	s_or_b64 s[42:43], s[4:5], s[42:43]
	s_andn2_b64 s[4:5], s[30:31], exec
	s_and_b64 s[30:31], s[2:3], exec
	s_or_b64 s[30:31], s[4:5], s[30:31]
	s_andn2_b64 exec, exec, s[34:35]
	s_cbranch_execz .LBB873_62
.LBB873_67:                             ;   Parent Loop BB873_64 Depth=1
                                        ; =>  This Inner Loop Header: Depth=2
	global_load_dword v38, v[8:9], off
	global_load_dword v39, v[10:11], off
	s_andn2_b64 s[44:45], s[2:3], exec
	s_andn2_b64 s[38:39], s[38:39], exec
	s_or_b64 s[36:37], s[36:37], exec
	s_waitcnt vmcnt(0)
	v_cmp_ngt_f32_e64 s[2:3], v38, v39
	v_cmp_lt_f32_e32 vcc, v38, v39
	s_and_b64 s[2:3], s[2:3], s[42:43]
	s_or_b64 s[46:47], vcc, s[2:3]
	s_and_b64 s[2:3], s[46:47], exec
	v_cmp_nlg_f32_e64 s[4:5], v38, v39
	s_or_b64 s[2:3], s[44:45], s[2:3]
	s_and_saveexec_b64 s[44:45], s[4:5]
	s_cbranch_execz .LBB873_66
; %bb.68:                               ;   in Loop: Header=BB873_67 Depth=2
	s_add_u32 s40, s40, -1
	s_addc_u32 s41, s41, -1
	v_add_co_u32_e32 v8, vcc, 4, v8
	s_cmp_eq_u64 s[40:41], 0
	v_addc_co_u32_e32 v9, vcc, 0, v9, vcc
	s_cselect_b64 s[4:5], -1, 0
	v_add_co_u32_e32 v10, vcc, 4, v10
	s_andn2_b64 s[38:39], s[38:39], exec
	s_and_b64 s[42:43], s[46:47], exec
	s_andn2_b64 s[36:37], s[36:37], exec
	s_and_b64 s[4:5], s[4:5], exec
	v_addc_co_u32_e32 v11, vcc, 0, v11, vcc
	s_andn2_b64 s[2:3], s[2:3], exec
	s_or_b64 s[38:39], s[38:39], s[42:43]
	s_or_b64 s[36:37], s[36:37], s[4:5]
                                        ; implicit-def: $sgpr42_sgpr43
	s_branch .LBB873_66
.LBB873_69:
	s_or_b64 exec, exec, s[26:27]
.LBB873_70:
	s_or_b64 exec, exec, s[24:25]
	v_add_u32_e32 v9, v18, v34
	v_add_u32_e32 v8, v21, v33
	v_sub_u32_e32 v9, v9, v21
	v_cmp_le_u32_e32 vcc, v8, v18
	v_cmp_le_u32_e64 s[2:3], v9, v19
	v_cmp_lt_i64_e64 s[24:25], s[12:13], 1
	s_or_b64 s[2:3], vcc, s[2:3]
	s_and_saveexec_b64 s[26:27], s[2:3]
	s_cbranch_execz .LBB873_106
; %bb.71:
	v_cmp_ge_u32_e32 vcc, v8, v18
	v_cmp_lt_u32_e64 s[2:3], v8, v18
                                        ; implicit-def: $vgpr0_vgpr1
	s_and_saveexec_b64 s[4:5], s[2:3]
	s_cbranch_execz .LBB873_73
; %bb.72:
	v_lshl_add_u32 v0, v21, 3, v20
	ds_read_b64 v[0:1], v0
.LBB873_73:
	s_or_b64 exec, exec, s[4:5]
	v_cmp_ge_u32_e64 s[2:3], v9, v19
	v_cmp_lt_u32_e64 s[4:5], v9, v19
                                        ; implicit-def: $vgpr2_vgpr3
	s_and_saveexec_b64 s[28:29], s[4:5]
	s_cbranch_execz .LBB873_75
; %bb.74:
	v_lshl_add_u32 v2, v9, 3, v14
	ds_read_b64 v[2:3], v2
.LBB873_75:
	s_or_b64 exec, exec, s[28:29]
	s_or_b64 s[4:5], vcc, s[2:3]
	s_or_b64 s[4:5], s[4:5], s[24:25]
	s_xor_b64 s[28:29], vcc, -1
	s_xor_b64 s[4:5], s[4:5], -1
	s_or_b64 s[28:29], s[2:3], s[28:29]
	s_and_saveexec_b64 s[30:31], s[4:5]
	s_cbranch_execz .LBB873_81
; %bb.76:
	s_waitcnt lgkmcnt(0)
	v_mul_lo_u32 v6, v3, s12
	v_mul_lo_u32 v7, v2, s13
	v_mad_u64_u32 v[4:5], s[2:3], v2, s12, 0
	v_add3_u32 v5, v5, v7, v6
	v_lshlrev_b64 v[4:5], 2, v[4:5]
	v_mov_b32_e32 v6, s15
	v_add_co_u32_e32 v4, vcc, s14, v4
	v_addc_co_u32_e32 v5, vcc, v6, v5, vcc
	v_mul_lo_u32 v10, v1, s12
	v_mul_lo_u32 v11, v0, s13
	v_mad_u64_u32 v[6:7], s[2:3], v0, s12, 0
	v_add3_u32 v7, v7, v11, v10
	v_lshlrev_b64 v[6:7], 2, v[6:7]
	v_mov_b32_e32 v10, s15
	v_add_co_u32_e32 v6, vcc, s14, v6
	v_addc_co_u32_e32 v7, vcc, v10, v7, vcc
	s_mov_b64 s[34:35], 0
	s_mov_b64 s[42:43], s[12:13]
                                        ; implicit-def: $sgpr36_sgpr37
                                        ; implicit-def: $sgpr38_sgpr39
                                        ; implicit-def: $sgpr2_sgpr3
                                        ; implicit-def: $sgpr40_sgpr41
                                        ; implicit-def: $sgpr44_sgpr45
	s_branch .LBB873_78
.LBB873_77:                             ;   in Loop: Header=BB873_78 Depth=1
	s_or_b64 exec, exec, s[46:47]
	s_and_b64 s[4:5], exec, s[38:39]
	s_or_b64 s[34:35], s[4:5], s[34:35]
	s_andn2_b64 s[4:5], s[44:45], exec
	s_and_b64 s[44:45], s[40:41], exec
	s_or_b64 s[44:45], s[4:5], s[44:45]
	s_andn2_b64 s[4:5], s[36:37], exec
	s_and_b64 s[36:37], s[2:3], exec
	s_or_b64 s[36:37], s[4:5], s[36:37]
	s_andn2_b64 exec, exec, s[34:35]
	s_cbranch_execz .LBB873_80
.LBB873_78:                             ; =>This Inner Loop Header: Depth=1
	global_load_dword v10, v[4:5], off
	global_load_dword v11, v[6:7], off
	s_andn2_b64 s[46:47], s[2:3], exec
	s_andn2_b64 s[40:41], s[40:41], exec
	s_or_b64 s[38:39], s[38:39], exec
	s_waitcnt vmcnt(0)
	v_cmp_ngt_f32_e64 s[2:3], v10, v11
	v_cmp_lt_f32_e32 vcc, v10, v11
	s_and_b64 s[2:3], s[2:3], s[44:45]
	s_or_b64 s[48:49], vcc, s[2:3]
	s_and_b64 s[2:3], s[48:49], exec
	v_cmp_nlg_f32_e64 s[4:5], v10, v11
	s_or_b64 s[2:3], s[46:47], s[2:3]
	s_and_saveexec_b64 s[46:47], s[4:5]
	s_cbranch_execz .LBB873_77
; %bb.79:                               ;   in Loop: Header=BB873_78 Depth=1
	s_add_u32 s42, s42, -1
	s_addc_u32 s43, s43, -1
	v_add_co_u32_e32 v4, vcc, 4, v4
	s_cmp_eq_u64 s[42:43], 0
	v_addc_co_u32_e32 v5, vcc, 0, v5, vcc
	s_cselect_b64 s[4:5], -1, 0
	v_add_co_u32_e32 v6, vcc, 4, v6
	s_andn2_b64 s[40:41], s[40:41], exec
	s_and_b64 s[44:45], s[48:49], exec
	s_andn2_b64 s[38:39], s[38:39], exec
	s_and_b64 s[4:5], s[4:5], exec
	v_addc_co_u32_e32 v7, vcc, 0, v7, vcc
	s_or_b64 s[40:41], s[40:41], s[44:45]
	s_andn2_b64 s[2:3], s[2:3], exec
	s_or_b64 s[38:39], s[38:39], s[4:5]
                                        ; implicit-def: $sgpr44_sgpr45
	s_branch .LBB873_77
.LBB873_80:
	s_or_b64 exec, exec, s[34:35]
	s_xor_b64 s[2:3], s[36:37], -1
	s_andn2_b64 s[4:5], s[28:29], exec
	s_and_b64 s[2:3], s[2:3], exec
	s_or_b64 s[28:29], s[4:5], s[2:3]
.LBB873_81:
	s_or_b64 exec, exec, s[30:31]
	v_cndmask_b32_e64 v4, v9, v8, s[28:29]
	v_cndmask_b32_e64 v5, v19, v18, s[28:29]
	v_add_u32_e32 v6, 1, v4
	v_add_u32_e32 v4, -1, v5
	v_min_u32_e32 v4, v6, v4
	v_lshl_add_u32 v4, v4, 3, v14
	ds_read_b64 v[4:5], v4
	v_cndmask_b32_e64 v9, v6, v9, s[28:29]
	v_cndmask_b32_e64 v8, v8, v6, s[28:29]
	v_cmp_lt_u32_e32 vcc, v9, v19
	s_mov_b64 s[30:31], -1
	s_waitcnt lgkmcnt(0)
	v_cndmask_b32_e64 v10, v5, v3, s[28:29]
	v_cndmask_b32_e64 v11, v4, v2, s[28:29]
	;; [unrolled: 1-line block ×4, first 2 shown]
	s_mov_b64 s[34:35], -1
	s_and_saveexec_b64 s[36:37], vcc
	s_cbranch_execz .LBB873_89
; %bb.82:
	v_cmp_lt_u32_e64 s[34:35], v8, v18
	s_xor_b64 s[2:3], s[24:25], -1
	s_and_b64 s[2:3], s[34:35], s[2:3]
	s_and_saveexec_b64 s[38:39], s[2:3]
	s_cbranch_execz .LBB873_88
; %bb.83:
	v_mul_lo_u32 v6, v10, s12
	v_mul_lo_u32 v7, v11, s13
	v_mad_u64_u32 v[4:5], s[2:3], v11, s12, 0
	v_add3_u32 v5, v5, v7, v6
	v_lshlrev_b64 v[4:5], 2, v[4:5]
	v_mov_b32_e32 v6, s15
	v_add_co_u32_e32 v4, vcc, s14, v4
	v_addc_co_u32_e32 v5, vcc, v6, v5, vcc
	v_mul_lo_u32 v33, v20, s12
	v_mul_lo_u32 v34, v21, s13
	v_mad_u64_u32 v[6:7], s[2:3], v21, s12, 0
	v_add3_u32 v7, v7, v34, v33
	v_lshlrev_b64 v[6:7], 2, v[6:7]
	v_mov_b32_e32 v33, s15
	v_add_co_u32_e32 v6, vcc, s14, v6
	v_addc_co_u32_e32 v7, vcc, v33, v7, vcc
	s_mov_b64 s[40:41], 0
	s_mov_b64 s[48:49], s[12:13]
                                        ; implicit-def: $sgpr42_sgpr43
                                        ; implicit-def: $sgpr44_sgpr45
                                        ; implicit-def: $sgpr2_sgpr3
                                        ; implicit-def: $sgpr46_sgpr47
                                        ; implicit-def: $sgpr50_sgpr51
	s_branch .LBB873_85
.LBB873_84:                             ;   in Loop: Header=BB873_85 Depth=1
	s_or_b64 exec, exec, s[52:53]
	s_and_b64 s[4:5], exec, s[44:45]
	s_or_b64 s[40:41], s[4:5], s[40:41]
	s_andn2_b64 s[4:5], s[50:51], exec
	s_and_b64 s[50:51], s[46:47], exec
	s_or_b64 s[50:51], s[4:5], s[50:51]
	s_andn2_b64 s[4:5], s[42:43], exec
	s_and_b64 s[42:43], s[2:3], exec
	s_or_b64 s[42:43], s[4:5], s[42:43]
	s_andn2_b64 exec, exec, s[40:41]
	s_cbranch_execz .LBB873_87
.LBB873_85:                             ; =>This Inner Loop Header: Depth=1
	global_load_dword v33, v[4:5], off
	global_load_dword v34, v[6:7], off
	s_andn2_b64 s[52:53], s[2:3], exec
	s_andn2_b64 s[46:47], s[46:47], exec
	s_or_b64 s[44:45], s[44:45], exec
	s_waitcnt vmcnt(0)
	v_cmp_ngt_f32_e64 s[2:3], v33, v34
	v_cmp_lt_f32_e32 vcc, v33, v34
	s_and_b64 s[2:3], s[2:3], s[50:51]
	s_or_b64 s[54:55], vcc, s[2:3]
	s_and_b64 s[2:3], s[54:55], exec
	v_cmp_nlg_f32_e64 s[4:5], v33, v34
	s_or_b64 s[2:3], s[52:53], s[2:3]
	s_and_saveexec_b64 s[52:53], s[4:5]
	s_cbranch_execz .LBB873_84
; %bb.86:                               ;   in Loop: Header=BB873_85 Depth=1
	s_add_u32 s48, s48, -1
	s_addc_u32 s49, s49, -1
	v_add_co_u32_e32 v4, vcc, 4, v4
	s_cmp_eq_u64 s[48:49], 0
	v_addc_co_u32_e32 v5, vcc, 0, v5, vcc
	s_cselect_b64 s[4:5], -1, 0
	v_add_co_u32_e32 v6, vcc, 4, v6
	s_andn2_b64 s[46:47], s[46:47], exec
	s_and_b64 s[50:51], s[54:55], exec
	s_andn2_b64 s[44:45], s[44:45], exec
	s_and_b64 s[4:5], s[4:5], exec
	v_addc_co_u32_e32 v7, vcc, 0, v7, vcc
	s_or_b64 s[46:47], s[46:47], s[50:51]
	s_andn2_b64 s[2:3], s[2:3], exec
	s_or_b64 s[44:45], s[44:45], s[4:5]
                                        ; implicit-def: $sgpr50_sgpr51
	s_branch .LBB873_84
.LBB873_87:
	s_or_b64 exec, exec, s[40:41]
	s_xor_b64 s[2:3], s[42:43], -1
	s_andn2_b64 s[4:5], s[34:35], exec
	s_and_b64 s[2:3], s[2:3], exec
	s_or_b64 s[34:35], s[4:5], s[2:3]
.LBB873_88:
	s_or_b64 exec, exec, s[38:39]
	s_orn2_b64 s[34:35], s[34:35], exec
.LBB873_89:
	s_or_b64 exec, exec, s[36:37]
	v_cndmask_b32_e64 v4, v9, v8, s[34:35]
	v_cndmask_b32_e64 v5, v19, v18, s[34:35]
	v_add_u32_e32 v6, 1, v4
	v_add_u32_e32 v4, -1, v5
	v_min_u32_e32 v4, v6, v4
	v_lshl_add_u32 v4, v4, 3, v14
	ds_read_b64 v[4:5], v4
	v_cndmask_b32_e64 v9, v6, v9, s[34:35]
	v_cndmask_b32_e64 v8, v8, v6, s[34:35]
	v_cmp_lt_u32_e32 vcc, v9, v19
	s_waitcnt lgkmcnt(0)
	v_cndmask_b32_e64 v33, v5, v10, s[34:35]
	v_cndmask_b32_e64 v34, v4, v11, s[34:35]
	;; [unrolled: 1-line block ×4, first 2 shown]
	s_and_saveexec_b64 s[36:37], vcc
	s_cbranch_execz .LBB873_97
; %bb.90:
	v_cmp_lt_u32_e64 s[30:31], v8, v18
	s_xor_b64 s[2:3], s[24:25], -1
	s_and_b64 s[2:3], s[30:31], s[2:3]
	s_and_saveexec_b64 s[38:39], s[2:3]
	s_cbranch_execz .LBB873_96
; %bb.91:
	v_mul_lo_u32 v6, v33, s12
	v_mul_lo_u32 v7, v34, s13
	v_mad_u64_u32 v[4:5], s[2:3], v34, s12, 0
	v_add3_u32 v5, v5, v7, v6
	v_lshlrev_b64 v[4:5], 2, v[4:5]
	v_mov_b32_e32 v6, s15
	v_add_co_u32_e32 v4, vcc, s14, v4
	v_addc_co_u32_e32 v5, vcc, v6, v5, vcc
	v_mul_lo_u32 v37, v35, s12
	v_mul_lo_u32 v38, v36, s13
	v_mad_u64_u32 v[6:7], s[2:3], v36, s12, 0
	v_add3_u32 v7, v7, v38, v37
	v_lshlrev_b64 v[6:7], 2, v[6:7]
	v_mov_b32_e32 v37, s15
	v_add_co_u32_e32 v6, vcc, s14, v6
	v_addc_co_u32_e32 v7, vcc, v37, v7, vcc
	s_mov_b64 s[40:41], 0
	s_mov_b64 s[48:49], s[12:13]
                                        ; implicit-def: $sgpr42_sgpr43
                                        ; implicit-def: $sgpr44_sgpr45
                                        ; implicit-def: $sgpr2_sgpr3
                                        ; implicit-def: $sgpr46_sgpr47
                                        ; implicit-def: $sgpr50_sgpr51
	s_branch .LBB873_93
.LBB873_92:                             ;   in Loop: Header=BB873_93 Depth=1
	s_or_b64 exec, exec, s[52:53]
	s_and_b64 s[4:5], exec, s[44:45]
	s_or_b64 s[40:41], s[4:5], s[40:41]
	s_andn2_b64 s[4:5], s[50:51], exec
	s_and_b64 s[50:51], s[46:47], exec
	s_or_b64 s[50:51], s[4:5], s[50:51]
	s_andn2_b64 s[4:5], s[42:43], exec
	s_and_b64 s[42:43], s[2:3], exec
	s_or_b64 s[42:43], s[4:5], s[42:43]
	s_andn2_b64 exec, exec, s[40:41]
	s_cbranch_execz .LBB873_95
.LBB873_93:                             ; =>This Inner Loop Header: Depth=1
	global_load_dword v37, v[4:5], off
	global_load_dword v38, v[6:7], off
	s_andn2_b64 s[52:53], s[2:3], exec
	s_andn2_b64 s[46:47], s[46:47], exec
	s_or_b64 s[44:45], s[44:45], exec
	s_waitcnt vmcnt(0)
	v_cmp_ngt_f32_e64 s[2:3], v37, v38
	v_cmp_lt_f32_e32 vcc, v37, v38
	s_and_b64 s[2:3], s[2:3], s[50:51]
	s_or_b64 s[54:55], vcc, s[2:3]
	s_and_b64 s[2:3], s[54:55], exec
	v_cmp_nlg_f32_e64 s[4:5], v37, v38
	s_or_b64 s[2:3], s[52:53], s[2:3]
	s_and_saveexec_b64 s[52:53], s[4:5]
	s_cbranch_execz .LBB873_92
; %bb.94:                               ;   in Loop: Header=BB873_93 Depth=1
	s_add_u32 s48, s48, -1
	s_addc_u32 s49, s49, -1
	v_add_co_u32_e32 v4, vcc, 4, v4
	s_cmp_eq_u64 s[48:49], 0
	v_addc_co_u32_e32 v5, vcc, 0, v5, vcc
	s_cselect_b64 s[4:5], -1, 0
	v_add_co_u32_e32 v6, vcc, 4, v6
	s_andn2_b64 s[46:47], s[46:47], exec
	s_and_b64 s[50:51], s[54:55], exec
	s_andn2_b64 s[44:45], s[44:45], exec
	s_and_b64 s[4:5], s[4:5], exec
	v_addc_co_u32_e32 v7, vcc, 0, v7, vcc
	s_or_b64 s[46:47], s[46:47], s[50:51]
	s_andn2_b64 s[2:3], s[2:3], exec
	s_or_b64 s[44:45], s[44:45], s[4:5]
                                        ; implicit-def: $sgpr50_sgpr51
	s_branch .LBB873_92
.LBB873_95:
	s_or_b64 exec, exec, s[40:41]
	s_xor_b64 s[2:3], s[42:43], -1
	s_andn2_b64 s[4:5], s[30:31], exec
	s_and_b64 s[2:3], s[2:3], exec
	s_or_b64 s[30:31], s[4:5], s[2:3]
.LBB873_96:
	s_or_b64 exec, exec, s[38:39]
	s_orn2_b64 s[30:31], s[30:31], exec
.LBB873_97:
	s_or_b64 exec, exec, s[36:37]
	v_cndmask_b32_e64 v4, v9, v8, s[30:31]
	v_cndmask_b32_e64 v5, v19, v18, s[30:31]
	v_add_u32_e32 v38, 1, v4
	v_add_u32_e32 v4, -1, v5
	v_min_u32_e32 v4, v38, v4
	v_lshl_add_u32 v4, v4, 3, v14
	ds_read_b64 v[4:5], v4
	v_cndmask_b32_e64 v9, v38, v9, s[30:31]
	v_cmp_lt_u32_e32 vcc, v9, v19
	s_waitcnt lgkmcnt(0)
	v_cndmask_b32_e64 v7, v35, v5, s[30:31]
	v_cndmask_b32_e64 v6, v36, v4, s[30:31]
	s_and_saveexec_b64 s[36:37], vcc
	s_cbranch_execz .LBB873_105
; %bb.98:
	v_cndmask_b32_e64 v37, v4, v34, s[30:31]
	v_cndmask_b32_e64 v4, v8, v38, s[30:31]
	v_cmp_ge_u32_e32 vcc, v4, v18
	v_cndmask_b32_e64 v19, v5, v33, s[30:31]
	s_or_b64 s[2:3], vcc, s[24:25]
	v_cndmask_b32_e32 v5, v7, v19, vcc
	s_xor_b64 s[2:3], s[2:3], -1
	v_cndmask_b32_e32 v4, v6, v37, vcc
	s_and_saveexec_b64 s[38:39], s[2:3]
	s_cbranch_execz .LBB873_104
; %bb.99:
	v_mul_lo_u32 v8, v19, s12
	v_mul_lo_u32 v9, v37, s13
	v_mad_u64_u32 v[4:5], s[2:3], v37, s12, 0
	v_add3_u32 v5, v5, v9, v8
	v_lshlrev_b64 v[4:5], 2, v[4:5]
	v_mov_b32_e32 v8, s15
	v_add_co_u32_e32 v4, vcc, s14, v4
	v_addc_co_u32_e32 v5, vcc, v8, v5, vcc
	v_mul_lo_u32 v18, v7, s12
	v_mul_lo_u32 v38, v6, s13
	v_mad_u64_u32 v[8:9], s[2:3], v6, s12, 0
	v_add3_u32 v9, v9, v38, v18
	v_lshlrev_b64 v[8:9], 2, v[8:9]
	v_mov_b32_e32 v18, s15
	v_add_co_u32_e32 v8, vcc, s14, v8
	v_addc_co_u32_e32 v9, vcc, v18, v9, vcc
	s_mov_b64 s[40:41], 0
	s_mov_b64 s[48:49], s[12:13]
                                        ; implicit-def: $sgpr42_sgpr43
                                        ; implicit-def: $sgpr44_sgpr45
                                        ; implicit-def: $sgpr2_sgpr3
                                        ; implicit-def: $sgpr46_sgpr47
                                        ; implicit-def: $sgpr50_sgpr51
	s_branch .LBB873_101
.LBB873_100:                            ;   in Loop: Header=BB873_101 Depth=1
	s_or_b64 exec, exec, s[52:53]
	s_and_b64 s[4:5], exec, s[44:45]
	s_or_b64 s[40:41], s[4:5], s[40:41]
	s_andn2_b64 s[4:5], s[50:51], exec
	s_and_b64 s[50:51], s[46:47], exec
	s_or_b64 s[50:51], s[4:5], s[50:51]
	s_andn2_b64 s[4:5], s[42:43], exec
	s_and_b64 s[42:43], s[2:3], exec
	s_or_b64 s[42:43], s[4:5], s[42:43]
	s_andn2_b64 exec, exec, s[40:41]
	s_cbranch_execz .LBB873_103
.LBB873_101:                            ; =>This Inner Loop Header: Depth=1
	global_load_dword v18, v[4:5], off
	global_load_dword v38, v[8:9], off
	s_andn2_b64 s[52:53], s[2:3], exec
	s_andn2_b64 s[46:47], s[46:47], exec
	s_or_b64 s[44:45], s[44:45], exec
	s_waitcnt vmcnt(0)
	v_cmp_ngt_f32_e64 s[2:3], v18, v38
	v_cmp_lt_f32_e32 vcc, v18, v38
	s_and_b64 s[2:3], s[2:3], s[50:51]
	s_or_b64 s[54:55], vcc, s[2:3]
	s_and_b64 s[2:3], s[54:55], exec
	v_cmp_nlg_f32_e64 s[4:5], v18, v38
	s_or_b64 s[2:3], s[52:53], s[2:3]
	s_and_saveexec_b64 s[52:53], s[4:5]
	s_cbranch_execz .LBB873_100
; %bb.102:                              ;   in Loop: Header=BB873_101 Depth=1
	s_add_u32 s48, s48, -1
	s_addc_u32 s49, s49, -1
	v_add_co_u32_e32 v4, vcc, 4, v4
	s_cmp_eq_u64 s[48:49], 0
	v_addc_co_u32_e32 v5, vcc, 0, v5, vcc
	s_cselect_b64 s[4:5], -1, 0
	v_add_co_u32_e32 v8, vcc, 4, v8
	s_andn2_b64 s[46:47], s[46:47], exec
	s_and_b64 s[50:51], s[54:55], exec
	s_andn2_b64 s[44:45], s[44:45], exec
	s_and_b64 s[4:5], s[4:5], exec
	v_addc_co_u32_e32 v9, vcc, 0, v9, vcc
	s_or_b64 s[46:47], s[46:47], s[50:51]
	s_andn2_b64 s[2:3], s[2:3], exec
	s_or_b64 s[44:45], s[44:45], s[4:5]
                                        ; implicit-def: $sgpr50_sgpr51
	s_branch .LBB873_100
.LBB873_103:
	s_or_b64 exec, exec, s[40:41]
	v_cndmask_b32_e64 v5, v7, v19, s[42:43]
	v_cndmask_b32_e64 v4, v6, v37, s[42:43]
.LBB873_104:
	s_or_b64 exec, exec, s[38:39]
	v_pk_mov_b32 v[6:7], v[4:5], v[4:5] op_sel:[0,1]
.LBB873_105:
	s_or_b64 exec, exec, s[36:37]
	v_cndmask_b32_e64 v1, v3, v1, s[28:29]
	v_cndmask_b32_e64 v0, v2, v0, s[28:29]
	;; [unrolled: 1-line block ×6, first 2 shown]
.LBB873_106:
	s_or_b64 exec, exec, s[26:27]
	v_and_b32_e32 v21, 0x1f0, v16
	v_or_b32_e32 v8, 8, v21
	v_min_u32_e32 v18, v15, v8
	v_add_u32_e32 v8, 8, v18
	v_min_u32_e32 v19, v15, v8
	v_and_b32_e32 v8, 12, v16
	v_min_u32_e32 v34, v15, v8
	v_sub_u32_e32 v8, v18, v21
	v_sub_u32_e32 v9, v19, v18
	v_sub_u32_e64 v33, v34, v9 clamp
	v_min_u32_e32 v35, v34, v8
	v_lshl_add_u32 v20, v21, 3, v14
	v_cmp_lt_u32_e32 vcc, v33, v35
	; wave barrier
	ds_write_b128 v17, v[0:3]
	ds_write_b128 v17, v[4:7] offset:16
	; wave barrier
	s_and_saveexec_b64 s[26:27], vcc
	s_cbranch_execz .LBB873_116
; %bb.107:
	v_lshlrev_b32_e32 v8, 3, v18
	v_lshlrev_b32_e32 v9, 3, v34
	v_add3_u32 v36, v14, v8, v9
	s_lshl_b64 s[30:31], s[12:13], 2
	s_mov_b64 s[28:29], 0
	s_branch .LBB873_110
.LBB873_108:                            ;   in Loop: Header=BB873_110 Depth=1
	s_or_b64 exec, exec, s[36:37]
.LBB873_109:                            ;   in Loop: Header=BB873_110 Depth=1
	v_add_u32_e32 v8, 1, v37
	v_cndmask_b32_e64 v35, v35, v37, s[34:35]
	v_cndmask_b32_e64 v33, v8, v33, s[34:35]
	v_cmp_ge_u32_e32 vcc, v33, v35
	s_or_b64 s[28:29], vcc, s[28:29]
	s_andn2_b64 exec, exec, s[28:29]
	s_cbranch_execz .LBB873_115
.LBB873_110:                            ; =>This Loop Header: Depth=1
                                        ;     Child Loop BB873_113 Depth 2
	v_add_u32_e32 v8, v35, v33
	v_lshrrev_b32_e32 v37, 1, v8
	s_and_b64 vcc, exec, s[0:1]
	s_mov_b64 s[34:35], 0
	s_cbranch_vccnz .LBB873_109
; %bb.111:                              ;   in Loop: Header=BB873_110 Depth=1
	v_not_b32_e32 v8, v37
	v_lshl_add_u32 v8, v8, 3, v36
	ds_read_b64 v[8:9], v8
	v_lshl_add_u32 v38, v37, 3, v20
	ds_read_b64 v[38:39], v38
	v_pk_mov_b32 v[10:11], s[14:15], s[14:15] op_sel:[0,1]
	s_mov_b64 s[36:37], 0
	s_waitcnt lgkmcnt(1)
	v_mul_lo_u32 v40, s30, v9
	v_mul_lo_u32 v41, s31, v8
	v_mad_u64_u32 v[8:9], s[2:3], s30, v8, v[10:11]
	v_add3_u32 v9, v41, v9, v40
	s_waitcnt lgkmcnt(0)
	v_mul_lo_u32 v39, s30, v39
	v_mul_lo_u32 v40, s31, v38
	v_mad_u64_u32 v[10:11], s[2:3], s30, v38, v[10:11]
	v_add3_u32 v11, v40, v11, v39
	s_mov_b64 s[42:43], s[12:13]
                                        ; implicit-def: $sgpr34_sgpr35
                                        ; implicit-def: $sgpr38_sgpr39
                                        ; implicit-def: $sgpr40_sgpr41
                                        ; implicit-def: $sgpr2_sgpr3
                                        ; implicit-def: $sgpr44_sgpr45
	s_branch .LBB873_113
.LBB873_112:                            ;   in Loop: Header=BB873_113 Depth=2
	s_or_b64 exec, exec, s[46:47]
	s_and_b64 s[4:5], exec, s[38:39]
	s_or_b64 s[36:37], s[4:5], s[36:37]
	s_andn2_b64 s[4:5], s[44:45], exec
	s_and_b64 s[44:45], s[40:41], exec
	s_or_b64 s[44:45], s[4:5], s[44:45]
	s_andn2_b64 s[4:5], s[34:35], exec
	s_and_b64 s[34:35], s[2:3], exec
	s_or_b64 s[34:35], s[4:5], s[34:35]
	s_andn2_b64 exec, exec, s[36:37]
	s_cbranch_execz .LBB873_108
.LBB873_113:                            ;   Parent Loop BB873_110 Depth=1
                                        ; =>  This Inner Loop Header: Depth=2
	global_load_dword v38, v[8:9], off
	global_load_dword v39, v[10:11], off
	s_andn2_b64 s[46:47], s[2:3], exec
	s_andn2_b64 s[40:41], s[40:41], exec
	s_or_b64 s[38:39], s[38:39], exec
	s_waitcnt vmcnt(0)
	v_cmp_ngt_f32_e64 s[2:3], v38, v39
	v_cmp_lt_f32_e32 vcc, v38, v39
	s_and_b64 s[2:3], s[2:3], s[44:45]
	s_or_b64 s[48:49], vcc, s[2:3]
	s_and_b64 s[2:3], s[48:49], exec
	v_cmp_nlg_f32_e64 s[4:5], v38, v39
	s_or_b64 s[2:3], s[46:47], s[2:3]
	s_and_saveexec_b64 s[46:47], s[4:5]
	s_cbranch_execz .LBB873_112
; %bb.114:                              ;   in Loop: Header=BB873_113 Depth=2
	s_add_u32 s42, s42, -1
	s_addc_u32 s43, s43, -1
	v_add_co_u32_e32 v8, vcc, 4, v8
	s_cmp_eq_u64 s[42:43], 0
	v_addc_co_u32_e32 v9, vcc, 0, v9, vcc
	s_cselect_b64 s[4:5], -1, 0
	v_add_co_u32_e32 v10, vcc, 4, v10
	s_andn2_b64 s[40:41], s[40:41], exec
	s_and_b64 s[44:45], s[48:49], exec
	s_andn2_b64 s[38:39], s[38:39], exec
	s_and_b64 s[4:5], s[4:5], exec
	v_addc_co_u32_e32 v11, vcc, 0, v11, vcc
	s_andn2_b64 s[2:3], s[2:3], exec
	s_or_b64 s[40:41], s[40:41], s[44:45]
	s_or_b64 s[38:39], s[38:39], s[4:5]
                                        ; implicit-def: $sgpr44_sgpr45
	s_branch .LBB873_112
.LBB873_115:
	s_or_b64 exec, exec, s[28:29]
.LBB873_116:
	s_or_b64 exec, exec, s[26:27]
	v_add_u32_e32 v8, v18, v34
	v_add_u32_e32 v21, v33, v21
	v_sub_u32_e32 v34, v8, v33
	v_cmp_le_u32_e32 vcc, v21, v18
	v_cmp_le_u32_e64 s[2:3], v34, v19
	s_or_b64 s[2:3], vcc, s[2:3]
	s_and_saveexec_b64 s[26:27], s[2:3]
	s_cbranch_execz .LBB873_152
; %bb.117:
	v_cmp_ge_u32_e32 vcc, v21, v18
	v_cmp_lt_u32_e64 s[2:3], v21, v18
                                        ; implicit-def: $vgpr0_vgpr1
	s_and_saveexec_b64 s[4:5], s[2:3]
	s_cbranch_execz .LBB873_119
; %bb.118:
	v_lshl_add_u32 v0, v33, 3, v20
	ds_read_b64 v[0:1], v0
.LBB873_119:
	s_or_b64 exec, exec, s[4:5]
	v_cmp_ge_u32_e64 s[2:3], v34, v19
	v_cmp_lt_u32_e64 s[4:5], v34, v19
                                        ; implicit-def: $vgpr4_vgpr5
	s_and_saveexec_b64 s[28:29], s[4:5]
	s_cbranch_execz .LBB873_121
; %bb.120:
	v_lshl_add_u32 v2, v34, 3, v14
	ds_read_b64 v[4:5], v2
.LBB873_121:
	s_or_b64 exec, exec, s[28:29]
	s_or_b64 s[4:5], vcc, s[2:3]
	s_or_b64 s[4:5], s[4:5], s[24:25]
	s_xor_b64 s[28:29], vcc, -1
	s_xor_b64 s[4:5], s[4:5], -1
	s_or_b64 s[28:29], s[2:3], s[28:29]
	s_and_saveexec_b64 s[30:31], s[4:5]
	s_cbranch_execz .LBB873_127
; %bb.122:
	s_waitcnt lgkmcnt(0)
	v_mul_lo_u32 v6, v5, s12
	v_mul_lo_u32 v7, v4, s13
	v_mad_u64_u32 v[2:3], s[2:3], v4, s12, 0
	v_add3_u32 v3, v3, v7, v6
	v_lshlrev_b64 v[2:3], 2, v[2:3]
	v_mov_b32_e32 v6, s15
	v_add_co_u32_e32 v2, vcc, s14, v2
	v_addc_co_u32_e32 v3, vcc, v6, v3, vcc
	v_mul_lo_u32 v8, v1, s12
	v_mul_lo_u32 v9, v0, s13
	v_mad_u64_u32 v[6:7], s[2:3], v0, s12, 0
	v_add3_u32 v7, v7, v9, v8
	v_lshlrev_b64 v[6:7], 2, v[6:7]
	v_mov_b32_e32 v8, s15
	v_add_co_u32_e32 v6, vcc, s14, v6
	v_addc_co_u32_e32 v7, vcc, v8, v7, vcc
	s_mov_b64 s[34:35], 0
	s_mov_b64 s[42:43], s[12:13]
                                        ; implicit-def: $sgpr36_sgpr37
                                        ; implicit-def: $sgpr38_sgpr39
                                        ; implicit-def: $sgpr2_sgpr3
                                        ; implicit-def: $sgpr40_sgpr41
                                        ; implicit-def: $sgpr44_sgpr45
	s_branch .LBB873_124
.LBB873_123:                            ;   in Loop: Header=BB873_124 Depth=1
	s_or_b64 exec, exec, s[46:47]
	s_and_b64 s[4:5], exec, s[38:39]
	s_or_b64 s[34:35], s[4:5], s[34:35]
	s_andn2_b64 s[4:5], s[44:45], exec
	s_and_b64 s[44:45], s[40:41], exec
	s_or_b64 s[44:45], s[4:5], s[44:45]
	s_andn2_b64 s[4:5], s[36:37], exec
	s_and_b64 s[36:37], s[2:3], exec
	s_or_b64 s[36:37], s[4:5], s[36:37]
	s_andn2_b64 exec, exec, s[34:35]
	s_cbranch_execz .LBB873_126
.LBB873_124:                            ; =>This Inner Loop Header: Depth=1
	global_load_dword v8, v[2:3], off
	global_load_dword v9, v[6:7], off
	s_andn2_b64 s[46:47], s[2:3], exec
	s_andn2_b64 s[40:41], s[40:41], exec
	s_or_b64 s[38:39], s[38:39], exec
	s_waitcnt vmcnt(0)
	v_cmp_ngt_f32_e64 s[2:3], v8, v9
	v_cmp_lt_f32_e32 vcc, v8, v9
	s_and_b64 s[2:3], s[2:3], s[44:45]
	s_or_b64 s[48:49], vcc, s[2:3]
	s_and_b64 s[2:3], s[48:49], exec
	v_cmp_nlg_f32_e64 s[4:5], v8, v9
	s_or_b64 s[2:3], s[46:47], s[2:3]
	s_and_saveexec_b64 s[46:47], s[4:5]
	s_cbranch_execz .LBB873_123
; %bb.125:                              ;   in Loop: Header=BB873_124 Depth=1
	s_add_u32 s42, s42, -1
	s_addc_u32 s43, s43, -1
	v_add_co_u32_e32 v2, vcc, 4, v2
	s_cmp_eq_u64 s[42:43], 0
	v_addc_co_u32_e32 v3, vcc, 0, v3, vcc
	s_cselect_b64 s[4:5], -1, 0
	v_add_co_u32_e32 v6, vcc, 4, v6
	s_andn2_b64 s[40:41], s[40:41], exec
	s_and_b64 s[44:45], s[48:49], exec
	s_andn2_b64 s[38:39], s[38:39], exec
	s_and_b64 s[4:5], s[4:5], exec
	v_addc_co_u32_e32 v7, vcc, 0, v7, vcc
	s_or_b64 s[40:41], s[40:41], s[44:45]
	s_andn2_b64 s[2:3], s[2:3], exec
	s_or_b64 s[38:39], s[38:39], s[4:5]
                                        ; implicit-def: $sgpr44_sgpr45
	s_branch .LBB873_123
.LBB873_126:
	s_or_b64 exec, exec, s[34:35]
	s_xor_b64 s[2:3], s[36:37], -1
	s_andn2_b64 s[4:5], s[28:29], exec
	s_and_b64 s[2:3], s[2:3], exec
	s_or_b64 s[28:29], s[4:5], s[2:3]
.LBB873_127:
	s_or_b64 exec, exec, s[30:31]
	v_cndmask_b32_e64 v2, v34, v21, s[28:29]
	v_cndmask_b32_e64 v3, v19, v18, s[28:29]
	v_add_u32_e32 v6, 1, v2
	v_add_u32_e32 v2, -1, v3
	v_min_u32_e32 v2, v6, v2
	v_lshl_add_u32 v2, v2, 3, v14
	ds_read_b64 v[2:3], v2
	v_cndmask_b32_e64 v33, v6, v34, s[28:29]
	v_cndmask_b32_e64 v37, v21, v6, s[28:29]
	v_cmp_lt_u32_e32 vcc, v33, v19
	s_mov_b64 s[30:31], -1
	s_waitcnt lgkmcnt(0)
	v_cndmask_b32_e64 v8, v3, v5, s[28:29]
	v_cndmask_b32_e64 v9, v2, v4, s[28:29]
	;; [unrolled: 1-line block ×4, first 2 shown]
	s_mov_b64 s[34:35], -1
	s_and_saveexec_b64 s[36:37], vcc
	s_cbranch_execz .LBB873_135
; %bb.128:
	v_cmp_lt_u32_e64 s[34:35], v37, v18
	s_xor_b64 s[2:3], s[24:25], -1
	s_and_b64 s[2:3], s[34:35], s[2:3]
	s_and_saveexec_b64 s[38:39], s[2:3]
	s_cbranch_execz .LBB873_134
; %bb.129:
	v_mul_lo_u32 v6, v8, s12
	v_mul_lo_u32 v7, v9, s13
	v_mad_u64_u32 v[2:3], s[2:3], v9, s12, 0
	v_add3_u32 v3, v3, v7, v6
	v_lshlrev_b64 v[2:3], 2, v[2:3]
	v_mov_b32_e32 v6, s15
	v_add_co_u32_e32 v2, vcc, s14, v2
	v_addc_co_u32_e32 v3, vcc, v6, v3, vcc
	v_mul_lo_u32 v20, v10, s12
	v_mul_lo_u32 v21, v11, s13
	v_mad_u64_u32 v[6:7], s[2:3], v11, s12, 0
	v_add3_u32 v7, v7, v21, v20
	v_lshlrev_b64 v[6:7], 2, v[6:7]
	v_mov_b32_e32 v20, s15
	v_add_co_u32_e32 v6, vcc, s14, v6
	v_addc_co_u32_e32 v7, vcc, v20, v7, vcc
	s_mov_b64 s[40:41], 0
	s_mov_b64 s[48:49], s[12:13]
                                        ; implicit-def: $sgpr42_sgpr43
                                        ; implicit-def: $sgpr44_sgpr45
                                        ; implicit-def: $sgpr2_sgpr3
                                        ; implicit-def: $sgpr46_sgpr47
                                        ; implicit-def: $sgpr50_sgpr51
	s_branch .LBB873_131
.LBB873_130:                            ;   in Loop: Header=BB873_131 Depth=1
	s_or_b64 exec, exec, s[52:53]
	s_and_b64 s[4:5], exec, s[44:45]
	s_or_b64 s[40:41], s[4:5], s[40:41]
	s_andn2_b64 s[4:5], s[50:51], exec
	s_and_b64 s[50:51], s[46:47], exec
	s_or_b64 s[50:51], s[4:5], s[50:51]
	s_andn2_b64 s[4:5], s[42:43], exec
	s_and_b64 s[42:43], s[2:3], exec
	s_or_b64 s[42:43], s[4:5], s[42:43]
	s_andn2_b64 exec, exec, s[40:41]
	s_cbranch_execz .LBB873_133
.LBB873_131:                            ; =>This Inner Loop Header: Depth=1
	global_load_dword v20, v[2:3], off
	global_load_dword v21, v[6:7], off
	s_andn2_b64 s[52:53], s[2:3], exec
	s_andn2_b64 s[46:47], s[46:47], exec
	s_or_b64 s[44:45], s[44:45], exec
	s_waitcnt vmcnt(0)
	v_cmp_ngt_f32_e64 s[2:3], v20, v21
	v_cmp_lt_f32_e32 vcc, v20, v21
	s_and_b64 s[2:3], s[2:3], s[50:51]
	s_or_b64 s[54:55], vcc, s[2:3]
	s_and_b64 s[2:3], s[54:55], exec
	v_cmp_nlg_f32_e64 s[4:5], v20, v21
	s_or_b64 s[2:3], s[52:53], s[2:3]
	s_and_saveexec_b64 s[52:53], s[4:5]
	s_cbranch_execz .LBB873_130
; %bb.132:                              ;   in Loop: Header=BB873_131 Depth=1
	s_add_u32 s48, s48, -1
	s_addc_u32 s49, s49, -1
	v_add_co_u32_e32 v2, vcc, 4, v2
	s_cmp_eq_u64 s[48:49], 0
	v_addc_co_u32_e32 v3, vcc, 0, v3, vcc
	s_cselect_b64 s[4:5], -1, 0
	v_add_co_u32_e32 v6, vcc, 4, v6
	s_andn2_b64 s[46:47], s[46:47], exec
	s_and_b64 s[50:51], s[54:55], exec
	s_andn2_b64 s[44:45], s[44:45], exec
	s_and_b64 s[4:5], s[4:5], exec
	v_addc_co_u32_e32 v7, vcc, 0, v7, vcc
	s_or_b64 s[46:47], s[46:47], s[50:51]
	s_andn2_b64 s[2:3], s[2:3], exec
	s_or_b64 s[44:45], s[44:45], s[4:5]
                                        ; implicit-def: $sgpr50_sgpr51
	s_branch .LBB873_130
.LBB873_133:
	s_or_b64 exec, exec, s[40:41]
	s_xor_b64 s[2:3], s[42:43], -1
	s_andn2_b64 s[4:5], s[34:35], exec
	s_and_b64 s[2:3], s[2:3], exec
	s_or_b64 s[34:35], s[4:5], s[2:3]
.LBB873_134:
	s_or_b64 exec, exec, s[38:39]
	s_orn2_b64 s[34:35], s[34:35], exec
.LBB873_135:
	s_or_b64 exec, exec, s[36:37]
	v_cndmask_b32_e64 v2, v33, v37, s[34:35]
	v_cndmask_b32_e64 v3, v19, v18, s[34:35]
	v_add_u32_e32 v6, 1, v2
	v_add_u32_e32 v2, -1, v3
	v_min_u32_e32 v2, v6, v2
	v_lshl_add_u32 v2, v2, 3, v14
	ds_read_b64 v[2:3], v2
	v_cndmask_b32_e64 v34, v6, v33, s[34:35]
	v_cndmask_b32_e64 v33, v37, v6, s[34:35]
	v_cmp_lt_u32_e32 vcc, v34, v19
	s_waitcnt lgkmcnt(0)
	v_cndmask_b32_e64 v20, v3, v8, s[34:35]
	v_cndmask_b32_e64 v21, v2, v9, s[34:35]
	;; [unrolled: 1-line block ×4, first 2 shown]
	s_and_saveexec_b64 s[36:37], vcc
	s_cbranch_execz .LBB873_143
; %bb.136:
	v_cmp_lt_u32_e64 s[30:31], v33, v18
	s_xor_b64 s[2:3], s[24:25], -1
	s_and_b64 s[2:3], s[30:31], s[2:3]
	s_and_saveexec_b64 s[38:39], s[2:3]
	s_cbranch_execz .LBB873_142
; %bb.137:
	v_mul_lo_u32 v6, v20, s12
	v_mul_lo_u32 v7, v21, s13
	v_mad_u64_u32 v[2:3], s[2:3], v21, s12, 0
	v_add3_u32 v3, v3, v7, v6
	v_lshlrev_b64 v[2:3], 2, v[2:3]
	v_mov_b32_e32 v6, s15
	v_add_co_u32_e32 v2, vcc, s14, v2
	v_addc_co_u32_e32 v3, vcc, v6, v3, vcc
	v_mul_lo_u32 v37, v35, s12
	v_mul_lo_u32 v38, v36, s13
	v_mad_u64_u32 v[6:7], s[2:3], v36, s12, 0
	v_add3_u32 v7, v7, v38, v37
	v_lshlrev_b64 v[6:7], 2, v[6:7]
	v_mov_b32_e32 v37, s15
	v_add_co_u32_e32 v6, vcc, s14, v6
	v_addc_co_u32_e32 v7, vcc, v37, v7, vcc
	s_mov_b64 s[40:41], 0
	s_mov_b64 s[48:49], s[12:13]
                                        ; implicit-def: $sgpr42_sgpr43
                                        ; implicit-def: $sgpr44_sgpr45
                                        ; implicit-def: $sgpr2_sgpr3
                                        ; implicit-def: $sgpr46_sgpr47
                                        ; implicit-def: $sgpr50_sgpr51
	s_branch .LBB873_139
.LBB873_138:                            ;   in Loop: Header=BB873_139 Depth=1
	s_or_b64 exec, exec, s[52:53]
	s_and_b64 s[4:5], exec, s[44:45]
	s_or_b64 s[40:41], s[4:5], s[40:41]
	s_andn2_b64 s[4:5], s[50:51], exec
	s_and_b64 s[50:51], s[46:47], exec
	s_or_b64 s[50:51], s[4:5], s[50:51]
	s_andn2_b64 s[4:5], s[42:43], exec
	s_and_b64 s[42:43], s[2:3], exec
	s_or_b64 s[42:43], s[4:5], s[42:43]
	s_andn2_b64 exec, exec, s[40:41]
	s_cbranch_execz .LBB873_141
.LBB873_139:                            ; =>This Inner Loop Header: Depth=1
	global_load_dword v37, v[2:3], off
	global_load_dword v38, v[6:7], off
	s_andn2_b64 s[52:53], s[2:3], exec
	s_andn2_b64 s[46:47], s[46:47], exec
	s_or_b64 s[44:45], s[44:45], exec
	s_waitcnt vmcnt(0)
	v_cmp_ngt_f32_e64 s[2:3], v37, v38
	v_cmp_lt_f32_e32 vcc, v37, v38
	s_and_b64 s[2:3], s[2:3], s[50:51]
	s_or_b64 s[54:55], vcc, s[2:3]
	s_and_b64 s[2:3], s[54:55], exec
	v_cmp_nlg_f32_e64 s[4:5], v37, v38
	s_or_b64 s[2:3], s[52:53], s[2:3]
	s_and_saveexec_b64 s[52:53], s[4:5]
	s_cbranch_execz .LBB873_138
; %bb.140:                              ;   in Loop: Header=BB873_139 Depth=1
	s_add_u32 s48, s48, -1
	s_addc_u32 s49, s49, -1
	v_add_co_u32_e32 v2, vcc, 4, v2
	s_cmp_eq_u64 s[48:49], 0
	v_addc_co_u32_e32 v3, vcc, 0, v3, vcc
	s_cselect_b64 s[4:5], -1, 0
	v_add_co_u32_e32 v6, vcc, 4, v6
	s_andn2_b64 s[46:47], s[46:47], exec
	s_and_b64 s[50:51], s[54:55], exec
	s_andn2_b64 s[44:45], s[44:45], exec
	s_and_b64 s[4:5], s[4:5], exec
	v_addc_co_u32_e32 v7, vcc, 0, v7, vcc
	s_or_b64 s[46:47], s[46:47], s[50:51]
	s_andn2_b64 s[2:3], s[2:3], exec
	s_or_b64 s[44:45], s[44:45], s[4:5]
                                        ; implicit-def: $sgpr50_sgpr51
	s_branch .LBB873_138
.LBB873_141:
	s_or_b64 exec, exec, s[40:41]
	s_xor_b64 s[2:3], s[42:43], -1
	s_andn2_b64 s[4:5], s[30:31], exec
	s_and_b64 s[2:3], s[2:3], exec
	s_or_b64 s[30:31], s[4:5], s[2:3]
.LBB873_142:
	s_or_b64 exec, exec, s[38:39]
	s_orn2_b64 s[30:31], s[30:31], exec
.LBB873_143:
	s_or_b64 exec, exec, s[36:37]
	v_cndmask_b32_e64 v6, v34, v33, s[30:31]
	v_cndmask_b32_e64 v7, v19, v18, s[30:31]
	;; [unrolled: 1-line block ×3, first 2 shown]
	v_add_u32_e32 v10, 1, v6
	v_add_u32_e32 v6, -1, v7
	v_min_u32_e32 v6, v10, v6
	v_lshl_add_u32 v6, v6, 3, v14
	v_cndmask_b32_e64 v2, v9, v11, s[34:35]
	ds_read_b64 v[8:9], v6
	v_cndmask_b32_e64 v11, v10, v34, s[30:31]
	v_cndmask_b32_e64 v1, v5, v1, s[28:29]
	;; [unrolled: 1-line block ×5, first 2 shown]
	s_waitcnt lgkmcnt(0)
	v_cndmask_b32_e64 v7, v35, v9, s[30:31]
	v_cndmask_b32_e64 v6, v36, v8, s[30:31]
	v_cmp_lt_u32_e32 vcc, v11, v19
	s_and_saveexec_b64 s[28:29], vcc
	s_cbranch_execz .LBB873_151
; %bb.144:
	v_cndmask_b32_e64 v19, v9, v20, s[30:31]
	v_cndmask_b32_e64 v20, v8, v21, s[30:31]
	;; [unrolled: 1-line block ×3, first 2 shown]
	v_cmp_ge_u32_e32 vcc, v8, v18
	s_or_b64 s[2:3], vcc, s[24:25]
	v_cndmask_b32_e32 v9, v7, v19, vcc
	s_xor_b64 s[2:3], s[2:3], -1
	v_cndmask_b32_e32 v8, v6, v20, vcc
	s_and_saveexec_b64 s[30:31], s[2:3]
	s_cbranch_execz .LBB873_150
; %bb.145:
	v_mul_lo_u32 v10, v19, s12
	v_mul_lo_u32 v11, v20, s13
	v_mad_u64_u32 v[8:9], s[2:3], v20, s12, 0
	v_add3_u32 v9, v9, v11, v10
	v_lshlrev_b64 v[8:9], 2, v[8:9]
	v_mov_b32_e32 v10, s15
	v_add_co_u32_e32 v8, vcc, s14, v8
	v_addc_co_u32_e32 v9, vcc, v10, v9, vcc
	v_mul_lo_u32 v18, v7, s12
	v_mul_lo_u32 v21, v6, s13
	v_mad_u64_u32 v[10:11], s[2:3], v6, s12, 0
	v_add3_u32 v11, v11, v21, v18
	v_lshlrev_b64 v[10:11], 2, v[10:11]
	v_mov_b32_e32 v18, s15
	v_add_co_u32_e32 v10, vcc, s14, v10
	v_addc_co_u32_e32 v11, vcc, v18, v11, vcc
	s_mov_b64 s[34:35], 0
	s_mov_b64 s[42:43], s[12:13]
                                        ; implicit-def: $sgpr36_sgpr37
                                        ; implicit-def: $sgpr38_sgpr39
                                        ; implicit-def: $sgpr2_sgpr3
                                        ; implicit-def: $sgpr40_sgpr41
                                        ; implicit-def: $sgpr44_sgpr45
	s_branch .LBB873_147
.LBB873_146:                            ;   in Loop: Header=BB873_147 Depth=1
	s_or_b64 exec, exec, s[46:47]
	s_and_b64 s[4:5], exec, s[38:39]
	s_or_b64 s[34:35], s[4:5], s[34:35]
	s_andn2_b64 s[4:5], s[44:45], exec
	s_and_b64 s[44:45], s[40:41], exec
	s_or_b64 s[44:45], s[4:5], s[44:45]
	s_andn2_b64 s[4:5], s[36:37], exec
	s_and_b64 s[36:37], s[2:3], exec
	s_or_b64 s[36:37], s[4:5], s[36:37]
	s_andn2_b64 exec, exec, s[34:35]
	s_cbranch_execz .LBB873_149
.LBB873_147:                            ; =>This Inner Loop Header: Depth=1
	global_load_dword v18, v[8:9], off
	global_load_dword v21, v[10:11], off
	s_andn2_b64 s[46:47], s[2:3], exec
	s_andn2_b64 s[40:41], s[40:41], exec
	s_or_b64 s[38:39], s[38:39], exec
	s_waitcnt vmcnt(0)
	v_cmp_ngt_f32_e64 s[2:3], v18, v21
	v_cmp_lt_f32_e32 vcc, v18, v21
	s_and_b64 s[2:3], s[2:3], s[44:45]
	s_or_b64 s[48:49], vcc, s[2:3]
	s_and_b64 s[2:3], s[48:49], exec
	v_cmp_nlg_f32_e64 s[4:5], v18, v21
	s_or_b64 s[2:3], s[46:47], s[2:3]
	s_and_saveexec_b64 s[46:47], s[4:5]
	s_cbranch_execz .LBB873_146
; %bb.148:                              ;   in Loop: Header=BB873_147 Depth=1
	s_add_u32 s42, s42, -1
	s_addc_u32 s43, s43, -1
	v_add_co_u32_e32 v8, vcc, 4, v8
	s_cmp_eq_u64 s[42:43], 0
	v_addc_co_u32_e32 v9, vcc, 0, v9, vcc
	s_cselect_b64 s[4:5], -1, 0
	v_add_co_u32_e32 v10, vcc, 4, v10
	s_andn2_b64 s[40:41], s[40:41], exec
	s_and_b64 s[44:45], s[48:49], exec
	s_andn2_b64 s[38:39], s[38:39], exec
	s_and_b64 s[4:5], s[4:5], exec
	v_addc_co_u32_e32 v11, vcc, 0, v11, vcc
	s_or_b64 s[40:41], s[40:41], s[44:45]
	s_andn2_b64 s[2:3], s[2:3], exec
	s_or_b64 s[38:39], s[38:39], s[4:5]
                                        ; implicit-def: $sgpr44_sgpr45
	s_branch .LBB873_146
.LBB873_149:
	s_or_b64 exec, exec, s[34:35]
	v_cndmask_b32_e64 v9, v7, v19, s[36:37]
	v_cndmask_b32_e64 v8, v6, v20, s[36:37]
.LBB873_150:
	s_or_b64 exec, exec, s[30:31]
	v_pk_mov_b32 v[6:7], v[8:9], v[8:9] op_sel:[0,1]
.LBB873_151:
	s_or_b64 exec, exec, s[28:29]
.LBB873_152:
	s_or_b64 exec, exec, s[26:27]
	v_and_b32_e32 v21, 0x1e0, v16
	v_or_b32_e32 v8, 16, v21
	v_min_u32_e32 v18, v15, v8
	v_add_u32_e32 v8, 16, v18
	v_min_u32_e32 v19, v15, v8
	v_and_b32_e32 v8, 28, v16
	v_min_u32_e32 v34, v15, v8
	v_sub_u32_e32 v8, v18, v21
	v_sub_u32_e32 v9, v19, v18
	v_sub_u32_e64 v33, v34, v9 clamp
	v_min_u32_e32 v35, v34, v8
	v_lshl_add_u32 v20, v21, 3, v14
	v_cmp_lt_u32_e32 vcc, v33, v35
	; wave barrier
	ds_write_b128 v17, v[0:3]
	ds_write_b128 v17, v[4:7] offset:16
	; wave barrier
	s_and_saveexec_b64 s[26:27], vcc
	s_cbranch_execz .LBB873_162
; %bb.153:
	v_lshlrev_b32_e32 v8, 3, v18
	v_lshlrev_b32_e32 v9, 3, v34
	v_add3_u32 v36, v14, v8, v9
	s_lshl_b64 s[30:31], s[12:13], 2
	s_mov_b64 s[28:29], 0
	s_branch .LBB873_156
.LBB873_154:                            ;   in Loop: Header=BB873_156 Depth=1
	s_or_b64 exec, exec, s[36:37]
.LBB873_155:                            ;   in Loop: Header=BB873_156 Depth=1
	v_add_u32_e32 v8, 1, v37
	v_cndmask_b32_e64 v35, v35, v37, s[34:35]
	v_cndmask_b32_e64 v33, v8, v33, s[34:35]
	v_cmp_ge_u32_e32 vcc, v33, v35
	s_or_b64 s[28:29], vcc, s[28:29]
	s_andn2_b64 exec, exec, s[28:29]
	s_cbranch_execz .LBB873_161
.LBB873_156:                            ; =>This Loop Header: Depth=1
                                        ;     Child Loop BB873_159 Depth 2
	v_add_u32_e32 v8, v35, v33
	v_lshrrev_b32_e32 v37, 1, v8
	s_and_b64 vcc, exec, s[0:1]
	s_mov_b64 s[34:35], 0
	s_cbranch_vccnz .LBB873_155
; %bb.157:                              ;   in Loop: Header=BB873_156 Depth=1
	v_not_b32_e32 v8, v37
	v_lshl_add_u32 v8, v8, 3, v36
	ds_read_b64 v[8:9], v8
	v_lshl_add_u32 v38, v37, 3, v20
	ds_read_b64 v[38:39], v38
	v_pk_mov_b32 v[10:11], s[14:15], s[14:15] op_sel:[0,1]
	s_mov_b64 s[36:37], 0
	s_waitcnt lgkmcnt(1)
	v_mul_lo_u32 v40, s30, v9
	v_mul_lo_u32 v41, s31, v8
	v_mad_u64_u32 v[8:9], s[2:3], s30, v8, v[10:11]
	v_add3_u32 v9, v41, v9, v40
	s_waitcnt lgkmcnt(0)
	v_mul_lo_u32 v39, s30, v39
	v_mul_lo_u32 v40, s31, v38
	v_mad_u64_u32 v[10:11], s[2:3], s30, v38, v[10:11]
	v_add3_u32 v11, v40, v11, v39
	s_mov_b64 s[42:43], s[12:13]
                                        ; implicit-def: $sgpr34_sgpr35
                                        ; implicit-def: $sgpr38_sgpr39
                                        ; implicit-def: $sgpr40_sgpr41
                                        ; implicit-def: $sgpr2_sgpr3
                                        ; implicit-def: $sgpr44_sgpr45
	s_branch .LBB873_159
.LBB873_158:                            ;   in Loop: Header=BB873_159 Depth=2
	s_or_b64 exec, exec, s[46:47]
	s_and_b64 s[4:5], exec, s[38:39]
	s_or_b64 s[36:37], s[4:5], s[36:37]
	s_andn2_b64 s[4:5], s[44:45], exec
	s_and_b64 s[44:45], s[40:41], exec
	s_or_b64 s[44:45], s[4:5], s[44:45]
	s_andn2_b64 s[4:5], s[34:35], exec
	s_and_b64 s[34:35], s[2:3], exec
	s_or_b64 s[34:35], s[4:5], s[34:35]
	s_andn2_b64 exec, exec, s[36:37]
	s_cbranch_execz .LBB873_154
.LBB873_159:                            ;   Parent Loop BB873_156 Depth=1
                                        ; =>  This Inner Loop Header: Depth=2
	global_load_dword v38, v[8:9], off
	global_load_dword v39, v[10:11], off
	s_andn2_b64 s[46:47], s[2:3], exec
	s_andn2_b64 s[40:41], s[40:41], exec
	s_or_b64 s[38:39], s[38:39], exec
	s_waitcnt vmcnt(0)
	v_cmp_ngt_f32_e64 s[2:3], v38, v39
	v_cmp_lt_f32_e32 vcc, v38, v39
	s_and_b64 s[2:3], s[2:3], s[44:45]
	s_or_b64 s[48:49], vcc, s[2:3]
	s_and_b64 s[2:3], s[48:49], exec
	v_cmp_nlg_f32_e64 s[4:5], v38, v39
	s_or_b64 s[2:3], s[46:47], s[2:3]
	s_and_saveexec_b64 s[46:47], s[4:5]
	s_cbranch_execz .LBB873_158
; %bb.160:                              ;   in Loop: Header=BB873_159 Depth=2
	s_add_u32 s42, s42, -1
	s_addc_u32 s43, s43, -1
	v_add_co_u32_e32 v8, vcc, 4, v8
	s_cmp_eq_u64 s[42:43], 0
	v_addc_co_u32_e32 v9, vcc, 0, v9, vcc
	s_cselect_b64 s[4:5], -1, 0
	v_add_co_u32_e32 v10, vcc, 4, v10
	s_andn2_b64 s[40:41], s[40:41], exec
	s_and_b64 s[44:45], s[48:49], exec
	s_andn2_b64 s[38:39], s[38:39], exec
	s_and_b64 s[4:5], s[4:5], exec
	v_addc_co_u32_e32 v11, vcc, 0, v11, vcc
	s_andn2_b64 s[2:3], s[2:3], exec
	s_or_b64 s[40:41], s[40:41], s[44:45]
	s_or_b64 s[38:39], s[38:39], s[4:5]
                                        ; implicit-def: $sgpr44_sgpr45
	s_branch .LBB873_158
.LBB873_161:
	s_or_b64 exec, exec, s[28:29]
.LBB873_162:
	s_or_b64 exec, exec, s[26:27]
	v_add_u32_e32 v8, v18, v34
	v_add_u32_e32 v21, v33, v21
	v_sub_u32_e32 v34, v8, v33
	v_cmp_le_u32_e32 vcc, v21, v18
	v_cmp_le_u32_e64 s[2:3], v34, v19
	s_or_b64 s[2:3], vcc, s[2:3]
	s_and_saveexec_b64 s[26:27], s[2:3]
	s_cbranch_execz .LBB873_198
; %bb.163:
	v_cmp_ge_u32_e32 vcc, v21, v18
	v_cmp_lt_u32_e64 s[2:3], v21, v18
                                        ; implicit-def: $vgpr0_vgpr1
	s_and_saveexec_b64 s[4:5], s[2:3]
	s_cbranch_execz .LBB873_165
; %bb.164:
	v_lshl_add_u32 v0, v33, 3, v20
	ds_read_b64 v[0:1], v0
.LBB873_165:
	s_or_b64 exec, exec, s[4:5]
	v_cmp_ge_u32_e64 s[2:3], v34, v19
	v_cmp_lt_u32_e64 s[4:5], v34, v19
                                        ; implicit-def: $vgpr4_vgpr5
	s_and_saveexec_b64 s[28:29], s[4:5]
	s_cbranch_execz .LBB873_167
; %bb.166:
	v_lshl_add_u32 v2, v34, 3, v14
	ds_read_b64 v[4:5], v2
.LBB873_167:
	s_or_b64 exec, exec, s[28:29]
	s_or_b64 s[4:5], vcc, s[2:3]
	s_or_b64 s[4:5], s[4:5], s[24:25]
	s_xor_b64 s[28:29], vcc, -1
	s_xor_b64 s[4:5], s[4:5], -1
	s_or_b64 s[28:29], s[2:3], s[28:29]
	s_and_saveexec_b64 s[30:31], s[4:5]
	s_cbranch_execz .LBB873_173
; %bb.168:
	s_waitcnt lgkmcnt(0)
	v_mul_lo_u32 v6, v5, s12
	v_mul_lo_u32 v7, v4, s13
	v_mad_u64_u32 v[2:3], s[2:3], v4, s12, 0
	v_add3_u32 v3, v3, v7, v6
	v_lshlrev_b64 v[2:3], 2, v[2:3]
	v_mov_b32_e32 v6, s15
	v_add_co_u32_e32 v2, vcc, s14, v2
	v_addc_co_u32_e32 v3, vcc, v6, v3, vcc
	v_mul_lo_u32 v8, v1, s12
	v_mul_lo_u32 v9, v0, s13
	v_mad_u64_u32 v[6:7], s[2:3], v0, s12, 0
	v_add3_u32 v7, v7, v9, v8
	v_lshlrev_b64 v[6:7], 2, v[6:7]
	v_mov_b32_e32 v8, s15
	v_add_co_u32_e32 v6, vcc, s14, v6
	v_addc_co_u32_e32 v7, vcc, v8, v7, vcc
	s_mov_b64 s[34:35], 0
	s_mov_b64 s[42:43], s[12:13]
                                        ; implicit-def: $sgpr36_sgpr37
                                        ; implicit-def: $sgpr38_sgpr39
                                        ; implicit-def: $sgpr2_sgpr3
                                        ; implicit-def: $sgpr40_sgpr41
                                        ; implicit-def: $sgpr44_sgpr45
	s_branch .LBB873_170
.LBB873_169:                            ;   in Loop: Header=BB873_170 Depth=1
	s_or_b64 exec, exec, s[46:47]
	s_and_b64 s[4:5], exec, s[38:39]
	s_or_b64 s[34:35], s[4:5], s[34:35]
	s_andn2_b64 s[4:5], s[44:45], exec
	s_and_b64 s[44:45], s[40:41], exec
	s_or_b64 s[44:45], s[4:5], s[44:45]
	s_andn2_b64 s[4:5], s[36:37], exec
	s_and_b64 s[36:37], s[2:3], exec
	s_or_b64 s[36:37], s[4:5], s[36:37]
	s_andn2_b64 exec, exec, s[34:35]
	s_cbranch_execz .LBB873_172
.LBB873_170:                            ; =>This Inner Loop Header: Depth=1
	global_load_dword v8, v[2:3], off
	global_load_dword v9, v[6:7], off
	s_andn2_b64 s[46:47], s[2:3], exec
	s_andn2_b64 s[40:41], s[40:41], exec
	s_or_b64 s[38:39], s[38:39], exec
	s_waitcnt vmcnt(0)
	v_cmp_ngt_f32_e64 s[2:3], v8, v9
	v_cmp_lt_f32_e32 vcc, v8, v9
	s_and_b64 s[2:3], s[2:3], s[44:45]
	s_or_b64 s[48:49], vcc, s[2:3]
	s_and_b64 s[2:3], s[48:49], exec
	v_cmp_nlg_f32_e64 s[4:5], v8, v9
	s_or_b64 s[2:3], s[46:47], s[2:3]
	s_and_saveexec_b64 s[46:47], s[4:5]
	s_cbranch_execz .LBB873_169
; %bb.171:                              ;   in Loop: Header=BB873_170 Depth=1
	s_add_u32 s42, s42, -1
	s_addc_u32 s43, s43, -1
	v_add_co_u32_e32 v2, vcc, 4, v2
	s_cmp_eq_u64 s[42:43], 0
	v_addc_co_u32_e32 v3, vcc, 0, v3, vcc
	s_cselect_b64 s[4:5], -1, 0
	v_add_co_u32_e32 v6, vcc, 4, v6
	s_andn2_b64 s[40:41], s[40:41], exec
	s_and_b64 s[44:45], s[48:49], exec
	s_andn2_b64 s[38:39], s[38:39], exec
	s_and_b64 s[4:5], s[4:5], exec
	v_addc_co_u32_e32 v7, vcc, 0, v7, vcc
	s_or_b64 s[40:41], s[40:41], s[44:45]
	s_andn2_b64 s[2:3], s[2:3], exec
	s_or_b64 s[38:39], s[38:39], s[4:5]
                                        ; implicit-def: $sgpr44_sgpr45
	s_branch .LBB873_169
.LBB873_172:
	s_or_b64 exec, exec, s[34:35]
	s_xor_b64 s[2:3], s[36:37], -1
	s_andn2_b64 s[4:5], s[28:29], exec
	s_and_b64 s[2:3], s[2:3], exec
	s_or_b64 s[28:29], s[4:5], s[2:3]
.LBB873_173:
	s_or_b64 exec, exec, s[30:31]
	v_cndmask_b32_e64 v2, v34, v21, s[28:29]
	v_cndmask_b32_e64 v3, v19, v18, s[28:29]
	v_add_u32_e32 v6, 1, v2
	v_add_u32_e32 v2, -1, v3
	v_min_u32_e32 v2, v6, v2
	v_lshl_add_u32 v2, v2, 3, v14
	ds_read_b64 v[2:3], v2
	v_cndmask_b32_e64 v33, v6, v34, s[28:29]
	v_cndmask_b32_e64 v37, v21, v6, s[28:29]
	v_cmp_lt_u32_e32 vcc, v33, v19
	s_mov_b64 s[30:31], -1
	s_waitcnt lgkmcnt(0)
	v_cndmask_b32_e64 v8, v3, v5, s[28:29]
	v_cndmask_b32_e64 v9, v2, v4, s[28:29]
	;; [unrolled: 1-line block ×4, first 2 shown]
	s_mov_b64 s[34:35], -1
	s_and_saveexec_b64 s[36:37], vcc
	s_cbranch_execz .LBB873_181
; %bb.174:
	v_cmp_lt_u32_e64 s[34:35], v37, v18
	s_xor_b64 s[2:3], s[24:25], -1
	s_and_b64 s[2:3], s[34:35], s[2:3]
	s_and_saveexec_b64 s[38:39], s[2:3]
	s_cbranch_execz .LBB873_180
; %bb.175:
	v_mul_lo_u32 v6, v8, s12
	v_mul_lo_u32 v7, v9, s13
	v_mad_u64_u32 v[2:3], s[2:3], v9, s12, 0
	v_add3_u32 v3, v3, v7, v6
	v_lshlrev_b64 v[2:3], 2, v[2:3]
	v_mov_b32_e32 v6, s15
	v_add_co_u32_e32 v2, vcc, s14, v2
	v_addc_co_u32_e32 v3, vcc, v6, v3, vcc
	v_mul_lo_u32 v20, v10, s12
	v_mul_lo_u32 v21, v11, s13
	v_mad_u64_u32 v[6:7], s[2:3], v11, s12, 0
	v_add3_u32 v7, v7, v21, v20
	v_lshlrev_b64 v[6:7], 2, v[6:7]
	v_mov_b32_e32 v20, s15
	v_add_co_u32_e32 v6, vcc, s14, v6
	v_addc_co_u32_e32 v7, vcc, v20, v7, vcc
	s_mov_b64 s[40:41], 0
	s_mov_b64 s[48:49], s[12:13]
                                        ; implicit-def: $sgpr42_sgpr43
                                        ; implicit-def: $sgpr44_sgpr45
                                        ; implicit-def: $sgpr2_sgpr3
                                        ; implicit-def: $sgpr46_sgpr47
                                        ; implicit-def: $sgpr50_sgpr51
	s_branch .LBB873_177
.LBB873_176:                            ;   in Loop: Header=BB873_177 Depth=1
	s_or_b64 exec, exec, s[52:53]
	s_and_b64 s[4:5], exec, s[44:45]
	s_or_b64 s[40:41], s[4:5], s[40:41]
	s_andn2_b64 s[4:5], s[50:51], exec
	s_and_b64 s[50:51], s[46:47], exec
	s_or_b64 s[50:51], s[4:5], s[50:51]
	s_andn2_b64 s[4:5], s[42:43], exec
	s_and_b64 s[42:43], s[2:3], exec
	s_or_b64 s[42:43], s[4:5], s[42:43]
	s_andn2_b64 exec, exec, s[40:41]
	s_cbranch_execz .LBB873_179
.LBB873_177:                            ; =>This Inner Loop Header: Depth=1
	global_load_dword v20, v[2:3], off
	global_load_dword v21, v[6:7], off
	s_andn2_b64 s[52:53], s[2:3], exec
	s_andn2_b64 s[46:47], s[46:47], exec
	s_or_b64 s[44:45], s[44:45], exec
	s_waitcnt vmcnt(0)
	v_cmp_ngt_f32_e64 s[2:3], v20, v21
	v_cmp_lt_f32_e32 vcc, v20, v21
	s_and_b64 s[2:3], s[2:3], s[50:51]
	s_or_b64 s[54:55], vcc, s[2:3]
	s_and_b64 s[2:3], s[54:55], exec
	v_cmp_nlg_f32_e64 s[4:5], v20, v21
	s_or_b64 s[2:3], s[52:53], s[2:3]
	s_and_saveexec_b64 s[52:53], s[4:5]
	s_cbranch_execz .LBB873_176
; %bb.178:                              ;   in Loop: Header=BB873_177 Depth=1
	s_add_u32 s48, s48, -1
	s_addc_u32 s49, s49, -1
	v_add_co_u32_e32 v2, vcc, 4, v2
	s_cmp_eq_u64 s[48:49], 0
	v_addc_co_u32_e32 v3, vcc, 0, v3, vcc
	s_cselect_b64 s[4:5], -1, 0
	v_add_co_u32_e32 v6, vcc, 4, v6
	s_andn2_b64 s[46:47], s[46:47], exec
	s_and_b64 s[50:51], s[54:55], exec
	s_andn2_b64 s[44:45], s[44:45], exec
	s_and_b64 s[4:5], s[4:5], exec
	v_addc_co_u32_e32 v7, vcc, 0, v7, vcc
	s_or_b64 s[46:47], s[46:47], s[50:51]
	s_andn2_b64 s[2:3], s[2:3], exec
	s_or_b64 s[44:45], s[44:45], s[4:5]
                                        ; implicit-def: $sgpr50_sgpr51
	s_branch .LBB873_176
.LBB873_179:
	s_or_b64 exec, exec, s[40:41]
	s_xor_b64 s[2:3], s[42:43], -1
	s_andn2_b64 s[4:5], s[34:35], exec
	s_and_b64 s[2:3], s[2:3], exec
	s_or_b64 s[34:35], s[4:5], s[2:3]
.LBB873_180:
	s_or_b64 exec, exec, s[38:39]
	s_orn2_b64 s[34:35], s[34:35], exec
.LBB873_181:
	s_or_b64 exec, exec, s[36:37]
	v_cndmask_b32_e64 v2, v33, v37, s[34:35]
	v_cndmask_b32_e64 v3, v19, v18, s[34:35]
	v_add_u32_e32 v6, 1, v2
	v_add_u32_e32 v2, -1, v3
	v_min_u32_e32 v2, v6, v2
	v_lshl_add_u32 v2, v2, 3, v14
	ds_read_b64 v[2:3], v2
	v_cndmask_b32_e64 v34, v6, v33, s[34:35]
	v_cndmask_b32_e64 v33, v37, v6, s[34:35]
	v_cmp_lt_u32_e32 vcc, v34, v19
	s_waitcnt lgkmcnt(0)
	v_cndmask_b32_e64 v20, v3, v8, s[34:35]
	v_cndmask_b32_e64 v21, v2, v9, s[34:35]
	;; [unrolled: 1-line block ×4, first 2 shown]
	s_and_saveexec_b64 s[36:37], vcc
	s_cbranch_execz .LBB873_189
; %bb.182:
	v_cmp_lt_u32_e64 s[30:31], v33, v18
	s_xor_b64 s[2:3], s[24:25], -1
	s_and_b64 s[2:3], s[30:31], s[2:3]
	s_and_saveexec_b64 s[38:39], s[2:3]
	s_cbranch_execz .LBB873_188
; %bb.183:
	v_mul_lo_u32 v6, v20, s12
	v_mul_lo_u32 v7, v21, s13
	v_mad_u64_u32 v[2:3], s[2:3], v21, s12, 0
	v_add3_u32 v3, v3, v7, v6
	v_lshlrev_b64 v[2:3], 2, v[2:3]
	v_mov_b32_e32 v6, s15
	v_add_co_u32_e32 v2, vcc, s14, v2
	v_addc_co_u32_e32 v3, vcc, v6, v3, vcc
	v_mul_lo_u32 v37, v35, s12
	v_mul_lo_u32 v38, v36, s13
	v_mad_u64_u32 v[6:7], s[2:3], v36, s12, 0
	v_add3_u32 v7, v7, v38, v37
	v_lshlrev_b64 v[6:7], 2, v[6:7]
	v_mov_b32_e32 v37, s15
	v_add_co_u32_e32 v6, vcc, s14, v6
	v_addc_co_u32_e32 v7, vcc, v37, v7, vcc
	s_mov_b64 s[40:41], 0
	s_mov_b64 s[48:49], s[12:13]
                                        ; implicit-def: $sgpr42_sgpr43
                                        ; implicit-def: $sgpr44_sgpr45
                                        ; implicit-def: $sgpr2_sgpr3
                                        ; implicit-def: $sgpr46_sgpr47
                                        ; implicit-def: $sgpr50_sgpr51
	s_branch .LBB873_185
.LBB873_184:                            ;   in Loop: Header=BB873_185 Depth=1
	s_or_b64 exec, exec, s[52:53]
	s_and_b64 s[4:5], exec, s[44:45]
	s_or_b64 s[40:41], s[4:5], s[40:41]
	s_andn2_b64 s[4:5], s[50:51], exec
	s_and_b64 s[50:51], s[46:47], exec
	s_or_b64 s[50:51], s[4:5], s[50:51]
	s_andn2_b64 s[4:5], s[42:43], exec
	s_and_b64 s[42:43], s[2:3], exec
	s_or_b64 s[42:43], s[4:5], s[42:43]
	s_andn2_b64 exec, exec, s[40:41]
	s_cbranch_execz .LBB873_187
.LBB873_185:                            ; =>This Inner Loop Header: Depth=1
	global_load_dword v37, v[2:3], off
	global_load_dword v38, v[6:7], off
	s_andn2_b64 s[52:53], s[2:3], exec
	s_andn2_b64 s[46:47], s[46:47], exec
	s_or_b64 s[44:45], s[44:45], exec
	s_waitcnt vmcnt(0)
	v_cmp_ngt_f32_e64 s[2:3], v37, v38
	v_cmp_lt_f32_e32 vcc, v37, v38
	s_and_b64 s[2:3], s[2:3], s[50:51]
	s_or_b64 s[54:55], vcc, s[2:3]
	s_and_b64 s[2:3], s[54:55], exec
	v_cmp_nlg_f32_e64 s[4:5], v37, v38
	s_or_b64 s[2:3], s[52:53], s[2:3]
	s_and_saveexec_b64 s[52:53], s[4:5]
	s_cbranch_execz .LBB873_184
; %bb.186:                              ;   in Loop: Header=BB873_185 Depth=1
	s_add_u32 s48, s48, -1
	s_addc_u32 s49, s49, -1
	v_add_co_u32_e32 v2, vcc, 4, v2
	s_cmp_eq_u64 s[48:49], 0
	v_addc_co_u32_e32 v3, vcc, 0, v3, vcc
	s_cselect_b64 s[4:5], -1, 0
	v_add_co_u32_e32 v6, vcc, 4, v6
	s_andn2_b64 s[46:47], s[46:47], exec
	s_and_b64 s[50:51], s[54:55], exec
	s_andn2_b64 s[44:45], s[44:45], exec
	s_and_b64 s[4:5], s[4:5], exec
	v_addc_co_u32_e32 v7, vcc, 0, v7, vcc
	s_or_b64 s[46:47], s[46:47], s[50:51]
	s_andn2_b64 s[2:3], s[2:3], exec
	s_or_b64 s[44:45], s[44:45], s[4:5]
                                        ; implicit-def: $sgpr50_sgpr51
	s_branch .LBB873_184
.LBB873_187:
	s_or_b64 exec, exec, s[40:41]
	s_xor_b64 s[2:3], s[42:43], -1
	s_andn2_b64 s[4:5], s[30:31], exec
	s_and_b64 s[2:3], s[2:3], exec
	s_or_b64 s[30:31], s[4:5], s[2:3]
.LBB873_188:
	s_or_b64 exec, exec, s[38:39]
	s_orn2_b64 s[30:31], s[30:31], exec
.LBB873_189:
	s_or_b64 exec, exec, s[36:37]
	v_cndmask_b32_e64 v6, v34, v33, s[30:31]
	v_cndmask_b32_e64 v7, v19, v18, s[30:31]
	;; [unrolled: 1-line block ×3, first 2 shown]
	v_add_u32_e32 v10, 1, v6
	v_add_u32_e32 v6, -1, v7
	v_min_u32_e32 v6, v10, v6
	v_lshl_add_u32 v6, v6, 3, v14
	v_cndmask_b32_e64 v2, v9, v11, s[34:35]
	ds_read_b64 v[8:9], v6
	v_cndmask_b32_e64 v11, v10, v34, s[30:31]
	v_cndmask_b32_e64 v1, v5, v1, s[28:29]
	;; [unrolled: 1-line block ×5, first 2 shown]
	s_waitcnt lgkmcnt(0)
	v_cndmask_b32_e64 v7, v35, v9, s[30:31]
	v_cndmask_b32_e64 v6, v36, v8, s[30:31]
	v_cmp_lt_u32_e32 vcc, v11, v19
	s_and_saveexec_b64 s[28:29], vcc
	s_cbranch_execz .LBB873_197
; %bb.190:
	v_cndmask_b32_e64 v19, v9, v20, s[30:31]
	v_cndmask_b32_e64 v20, v8, v21, s[30:31]
	v_cndmask_b32_e64 v8, v33, v10, s[30:31]
	v_cmp_ge_u32_e32 vcc, v8, v18
	s_or_b64 s[2:3], vcc, s[24:25]
	v_cndmask_b32_e32 v9, v7, v19, vcc
	s_xor_b64 s[2:3], s[2:3], -1
	v_cndmask_b32_e32 v8, v6, v20, vcc
	s_and_saveexec_b64 s[30:31], s[2:3]
	s_cbranch_execz .LBB873_196
; %bb.191:
	v_mul_lo_u32 v10, v19, s12
	v_mul_lo_u32 v11, v20, s13
	v_mad_u64_u32 v[8:9], s[2:3], v20, s12, 0
	v_add3_u32 v9, v9, v11, v10
	v_lshlrev_b64 v[8:9], 2, v[8:9]
	v_mov_b32_e32 v10, s15
	v_add_co_u32_e32 v8, vcc, s14, v8
	v_addc_co_u32_e32 v9, vcc, v10, v9, vcc
	v_mul_lo_u32 v18, v7, s12
	v_mul_lo_u32 v21, v6, s13
	v_mad_u64_u32 v[10:11], s[2:3], v6, s12, 0
	v_add3_u32 v11, v11, v21, v18
	v_lshlrev_b64 v[10:11], 2, v[10:11]
	v_mov_b32_e32 v18, s15
	v_add_co_u32_e32 v10, vcc, s14, v10
	v_addc_co_u32_e32 v11, vcc, v18, v11, vcc
	s_mov_b64 s[34:35], 0
	s_mov_b64 s[42:43], s[12:13]
                                        ; implicit-def: $sgpr36_sgpr37
                                        ; implicit-def: $sgpr38_sgpr39
                                        ; implicit-def: $sgpr2_sgpr3
                                        ; implicit-def: $sgpr40_sgpr41
                                        ; implicit-def: $sgpr44_sgpr45
	s_branch .LBB873_193
.LBB873_192:                            ;   in Loop: Header=BB873_193 Depth=1
	s_or_b64 exec, exec, s[46:47]
	s_and_b64 s[4:5], exec, s[38:39]
	s_or_b64 s[34:35], s[4:5], s[34:35]
	s_andn2_b64 s[4:5], s[44:45], exec
	s_and_b64 s[44:45], s[40:41], exec
	s_or_b64 s[44:45], s[4:5], s[44:45]
	s_andn2_b64 s[4:5], s[36:37], exec
	s_and_b64 s[36:37], s[2:3], exec
	s_or_b64 s[36:37], s[4:5], s[36:37]
	s_andn2_b64 exec, exec, s[34:35]
	s_cbranch_execz .LBB873_195
.LBB873_193:                            ; =>This Inner Loop Header: Depth=1
	global_load_dword v18, v[8:9], off
	global_load_dword v21, v[10:11], off
	s_andn2_b64 s[46:47], s[2:3], exec
	s_andn2_b64 s[40:41], s[40:41], exec
	s_or_b64 s[38:39], s[38:39], exec
	s_waitcnt vmcnt(0)
	v_cmp_ngt_f32_e64 s[2:3], v18, v21
	v_cmp_lt_f32_e32 vcc, v18, v21
	s_and_b64 s[2:3], s[2:3], s[44:45]
	s_or_b64 s[48:49], vcc, s[2:3]
	s_and_b64 s[2:3], s[48:49], exec
	v_cmp_nlg_f32_e64 s[4:5], v18, v21
	s_or_b64 s[2:3], s[46:47], s[2:3]
	s_and_saveexec_b64 s[46:47], s[4:5]
	s_cbranch_execz .LBB873_192
; %bb.194:                              ;   in Loop: Header=BB873_193 Depth=1
	s_add_u32 s42, s42, -1
	s_addc_u32 s43, s43, -1
	v_add_co_u32_e32 v8, vcc, 4, v8
	s_cmp_eq_u64 s[42:43], 0
	v_addc_co_u32_e32 v9, vcc, 0, v9, vcc
	s_cselect_b64 s[4:5], -1, 0
	v_add_co_u32_e32 v10, vcc, 4, v10
	s_andn2_b64 s[40:41], s[40:41], exec
	s_and_b64 s[44:45], s[48:49], exec
	s_andn2_b64 s[38:39], s[38:39], exec
	s_and_b64 s[4:5], s[4:5], exec
	v_addc_co_u32_e32 v11, vcc, 0, v11, vcc
	s_or_b64 s[40:41], s[40:41], s[44:45]
	s_andn2_b64 s[2:3], s[2:3], exec
	s_or_b64 s[38:39], s[38:39], s[4:5]
                                        ; implicit-def: $sgpr44_sgpr45
	s_branch .LBB873_192
.LBB873_195:
	s_or_b64 exec, exec, s[34:35]
	v_cndmask_b32_e64 v9, v7, v19, s[36:37]
	v_cndmask_b32_e64 v8, v6, v20, s[36:37]
.LBB873_196:
	s_or_b64 exec, exec, s[30:31]
	v_pk_mov_b32 v[6:7], v[8:9], v[8:9] op_sel:[0,1]
.LBB873_197:
	s_or_b64 exec, exec, s[28:29]
.LBB873_198:
	s_or_b64 exec, exec, s[26:27]
	v_and_b32_e32 v20, 0x1c0, v16
	v_or_b32_e32 v8, 32, v20
	; wave barrier
	ds_write_b128 v17, v[0:3]
	ds_write_b128 v17, v[4:7] offset:16
	v_min_u32_e32 v17, v15, v8
	v_add_u32_e32 v8, 32, v17
	v_min_u32_e32 v18, v15, v8
	v_and_b32_e32 v8, 60, v16
	v_min_u32_e32 v21, v15, v8
	v_sub_u32_e32 v8, v17, v20
	v_sub_u32_e32 v9, v18, v17
	v_sub_u32_e64 v19, v21, v9 clamp
	v_min_u32_e32 v16, v21, v8
	v_lshl_add_u32 v15, v20, 3, v14
	v_cmp_lt_u32_e32 vcc, v19, v16
	; wave barrier
	s_and_saveexec_b64 s[26:27], vcc
	s_cbranch_execz .LBB873_208
; %bb.199:
	v_lshlrev_b32_e32 v8, 3, v17
	v_lshlrev_b32_e32 v9, 3, v21
	v_add3_u32 v33, v14, v8, v9
	s_lshl_b64 s[30:31], s[12:13], 2
	s_mov_b64 s[28:29], 0
	s_branch .LBB873_202
.LBB873_200:                            ;   in Loop: Header=BB873_202 Depth=1
	s_or_b64 exec, exec, s[36:37]
.LBB873_201:                            ;   in Loop: Header=BB873_202 Depth=1
	v_add_u32_e32 v8, 1, v34
	v_cndmask_b32_e64 v16, v16, v34, s[34:35]
	v_cndmask_b32_e64 v19, v8, v19, s[34:35]
	v_cmp_ge_u32_e32 vcc, v19, v16
	s_or_b64 s[28:29], vcc, s[28:29]
	s_andn2_b64 exec, exec, s[28:29]
	s_cbranch_execz .LBB873_207
.LBB873_202:                            ; =>This Loop Header: Depth=1
                                        ;     Child Loop BB873_205 Depth 2
	v_add_u32_e32 v8, v16, v19
	v_lshrrev_b32_e32 v34, 1, v8
	s_and_b64 vcc, exec, s[0:1]
	s_mov_b64 s[34:35], 0
	s_cbranch_vccnz .LBB873_201
; %bb.203:                              ;   in Loop: Header=BB873_202 Depth=1
	v_not_b32_e32 v8, v34
	v_lshl_add_u32 v8, v8, 3, v33
	ds_read_b64 v[8:9], v8
	v_lshl_add_u32 v35, v34, 3, v15
	ds_read_b64 v[36:37], v35
	v_pk_mov_b32 v[10:11], s[14:15], s[14:15] op_sel:[0,1]
	s_mov_b64 s[36:37], 0
	s_waitcnt lgkmcnt(1)
	v_mul_lo_u32 v35, s30, v9
	v_mul_lo_u32 v38, s31, v8
	v_mad_u64_u32 v[8:9], s[2:3], s30, v8, v[10:11]
	v_add3_u32 v9, v38, v9, v35
	s_waitcnt lgkmcnt(0)
	v_mul_lo_u32 v35, s30, v37
	v_mul_lo_u32 v37, s31, v36
	v_mad_u64_u32 v[10:11], s[2:3], s30, v36, v[10:11]
	v_add3_u32 v11, v37, v11, v35
	s_mov_b64 s[42:43], s[12:13]
                                        ; implicit-def: $sgpr34_sgpr35
                                        ; implicit-def: $sgpr38_sgpr39
                                        ; implicit-def: $sgpr40_sgpr41
                                        ; implicit-def: $sgpr2_sgpr3
                                        ; implicit-def: $sgpr44_sgpr45
	s_branch .LBB873_205
.LBB873_204:                            ;   in Loop: Header=BB873_205 Depth=2
	s_or_b64 exec, exec, s[46:47]
	s_and_b64 s[4:5], exec, s[38:39]
	s_or_b64 s[36:37], s[4:5], s[36:37]
	s_andn2_b64 s[4:5], s[44:45], exec
	s_and_b64 s[44:45], s[40:41], exec
	s_or_b64 s[44:45], s[4:5], s[44:45]
	s_andn2_b64 s[4:5], s[34:35], exec
	s_and_b64 s[34:35], s[2:3], exec
	s_or_b64 s[34:35], s[4:5], s[34:35]
	s_andn2_b64 exec, exec, s[36:37]
	s_cbranch_execz .LBB873_200
.LBB873_205:                            ;   Parent Loop BB873_202 Depth=1
                                        ; =>  This Inner Loop Header: Depth=2
	global_load_dword v35, v[8:9], off
	global_load_dword v36, v[10:11], off
	s_andn2_b64 s[46:47], s[2:3], exec
	s_andn2_b64 s[40:41], s[40:41], exec
	s_or_b64 s[38:39], s[38:39], exec
	s_waitcnt vmcnt(0)
	v_cmp_ngt_f32_e64 s[2:3], v35, v36
	v_cmp_lt_f32_e32 vcc, v35, v36
	s_and_b64 s[2:3], s[2:3], s[44:45]
	s_or_b64 s[48:49], vcc, s[2:3]
	s_and_b64 s[2:3], s[48:49], exec
	v_cmp_nlg_f32_e64 s[4:5], v35, v36
	s_or_b64 s[2:3], s[46:47], s[2:3]
	s_and_saveexec_b64 s[46:47], s[4:5]
	s_cbranch_execz .LBB873_204
; %bb.206:                              ;   in Loop: Header=BB873_205 Depth=2
	s_add_u32 s42, s42, -1
	s_addc_u32 s43, s43, -1
	v_add_co_u32_e32 v8, vcc, 4, v8
	s_cmp_eq_u64 s[42:43], 0
	v_addc_co_u32_e32 v9, vcc, 0, v9, vcc
	s_cselect_b64 s[4:5], -1, 0
	v_add_co_u32_e32 v10, vcc, 4, v10
	s_andn2_b64 s[40:41], s[40:41], exec
	s_and_b64 s[44:45], s[48:49], exec
	s_andn2_b64 s[38:39], s[38:39], exec
	s_and_b64 s[4:5], s[4:5], exec
	v_addc_co_u32_e32 v11, vcc, 0, v11, vcc
	s_andn2_b64 s[2:3], s[2:3], exec
	s_or_b64 s[40:41], s[40:41], s[44:45]
	s_or_b64 s[38:39], s[38:39], s[4:5]
                                        ; implicit-def: $sgpr44_sgpr45
	s_branch .LBB873_204
.LBB873_207:
	s_or_b64 exec, exec, s[28:29]
.LBB873_208:
	s_or_b64 exec, exec, s[26:27]
	v_add_u32_e32 v8, v17, v21
	v_add_u32_e32 v16, v19, v20
	v_sub_u32_e32 v20, v8, v19
	v_cmp_le_u32_e32 vcc, v16, v17
	v_cmp_le_u32_e64 s[2:3], v20, v18
	s_or_b64 s[2:3], vcc, s[2:3]
	s_and_saveexec_b64 s[26:27], s[2:3]
	s_cbranch_execz .LBB873_244
; %bb.209:
	v_cmp_ge_u32_e32 vcc, v16, v17
	v_cmp_lt_u32_e64 s[2:3], v16, v17
                                        ; implicit-def: $vgpr0_vgpr1
	s_and_saveexec_b64 s[4:5], s[2:3]
	s_cbranch_execz .LBB873_211
; %bb.210:
	v_lshl_add_u32 v0, v19, 3, v15
	ds_read_b64 v[0:1], v0
.LBB873_211:
	s_or_b64 exec, exec, s[4:5]
	v_cmp_ge_u32_e64 s[2:3], v20, v18
	v_cmp_lt_u32_e64 s[4:5], v20, v18
                                        ; implicit-def: $vgpr4_vgpr5
	s_and_saveexec_b64 s[28:29], s[4:5]
	s_cbranch_execz .LBB873_213
; %bb.212:
	v_lshl_add_u32 v2, v20, 3, v14
	ds_read_b64 v[4:5], v2
.LBB873_213:
	s_or_b64 exec, exec, s[28:29]
	s_or_b64 s[4:5], vcc, s[2:3]
	s_or_b64 s[4:5], s[4:5], s[24:25]
	s_xor_b64 s[28:29], vcc, -1
	s_xor_b64 s[4:5], s[4:5], -1
	s_or_b64 s[28:29], s[2:3], s[28:29]
	s_and_saveexec_b64 s[30:31], s[4:5]
	s_cbranch_execz .LBB873_219
; %bb.214:
	s_waitcnt lgkmcnt(0)
	v_mul_lo_u32 v6, v5, s12
	v_mul_lo_u32 v7, v4, s13
	v_mad_u64_u32 v[2:3], s[2:3], v4, s12, 0
	v_add3_u32 v3, v3, v7, v6
	v_lshlrev_b64 v[2:3], 2, v[2:3]
	v_mov_b32_e32 v6, s15
	v_add_co_u32_e32 v2, vcc, s14, v2
	v_addc_co_u32_e32 v3, vcc, v6, v3, vcc
	v_mul_lo_u32 v8, v1, s12
	v_mul_lo_u32 v9, v0, s13
	v_mad_u64_u32 v[6:7], s[2:3], v0, s12, 0
	v_add3_u32 v7, v7, v9, v8
	v_lshlrev_b64 v[6:7], 2, v[6:7]
	v_mov_b32_e32 v8, s15
	v_add_co_u32_e32 v6, vcc, s14, v6
	v_addc_co_u32_e32 v7, vcc, v8, v7, vcc
	s_mov_b64 s[34:35], 0
	s_mov_b64 s[42:43], s[12:13]
                                        ; implicit-def: $sgpr36_sgpr37
                                        ; implicit-def: $sgpr38_sgpr39
                                        ; implicit-def: $sgpr2_sgpr3
                                        ; implicit-def: $sgpr40_sgpr41
                                        ; implicit-def: $sgpr44_sgpr45
	s_branch .LBB873_216
.LBB873_215:                            ;   in Loop: Header=BB873_216 Depth=1
	s_or_b64 exec, exec, s[46:47]
	s_and_b64 s[4:5], exec, s[38:39]
	s_or_b64 s[34:35], s[4:5], s[34:35]
	s_andn2_b64 s[4:5], s[44:45], exec
	s_and_b64 s[44:45], s[40:41], exec
	s_or_b64 s[44:45], s[4:5], s[44:45]
	s_andn2_b64 s[4:5], s[36:37], exec
	s_and_b64 s[36:37], s[2:3], exec
	s_or_b64 s[36:37], s[4:5], s[36:37]
	s_andn2_b64 exec, exec, s[34:35]
	s_cbranch_execz .LBB873_218
.LBB873_216:                            ; =>This Inner Loop Header: Depth=1
	global_load_dword v8, v[2:3], off
	global_load_dword v9, v[6:7], off
	s_andn2_b64 s[46:47], s[2:3], exec
	s_andn2_b64 s[40:41], s[40:41], exec
	s_or_b64 s[38:39], s[38:39], exec
	s_waitcnt vmcnt(0)
	v_cmp_ngt_f32_e64 s[2:3], v8, v9
	v_cmp_lt_f32_e32 vcc, v8, v9
	s_and_b64 s[2:3], s[2:3], s[44:45]
	s_or_b64 s[48:49], vcc, s[2:3]
	s_and_b64 s[2:3], s[48:49], exec
	v_cmp_nlg_f32_e64 s[4:5], v8, v9
	s_or_b64 s[2:3], s[46:47], s[2:3]
	s_and_saveexec_b64 s[46:47], s[4:5]
	s_cbranch_execz .LBB873_215
; %bb.217:                              ;   in Loop: Header=BB873_216 Depth=1
	s_add_u32 s42, s42, -1
	s_addc_u32 s43, s43, -1
	v_add_co_u32_e32 v2, vcc, 4, v2
	s_cmp_eq_u64 s[42:43], 0
	v_addc_co_u32_e32 v3, vcc, 0, v3, vcc
	s_cselect_b64 s[4:5], -1, 0
	v_add_co_u32_e32 v6, vcc, 4, v6
	s_andn2_b64 s[40:41], s[40:41], exec
	s_and_b64 s[44:45], s[48:49], exec
	s_andn2_b64 s[38:39], s[38:39], exec
	s_and_b64 s[4:5], s[4:5], exec
	v_addc_co_u32_e32 v7, vcc, 0, v7, vcc
	s_or_b64 s[40:41], s[40:41], s[44:45]
	s_andn2_b64 s[2:3], s[2:3], exec
	s_or_b64 s[38:39], s[38:39], s[4:5]
                                        ; implicit-def: $sgpr44_sgpr45
	s_branch .LBB873_215
.LBB873_218:
	s_or_b64 exec, exec, s[34:35]
	s_xor_b64 s[2:3], s[36:37], -1
	s_andn2_b64 s[4:5], s[28:29], exec
	s_and_b64 s[2:3], s[2:3], exec
	s_or_b64 s[28:29], s[4:5], s[2:3]
.LBB873_219:
	s_or_b64 exec, exec, s[30:31]
	v_cndmask_b32_e64 v2, v20, v16, s[28:29]
	v_cndmask_b32_e64 v3, v18, v17, s[28:29]
	v_add_u32_e32 v6, 1, v2
	v_add_u32_e32 v2, -1, v3
	v_min_u32_e32 v2, v6, v2
	v_lshl_add_u32 v2, v2, 3, v14
	ds_read_b64 v[2:3], v2
	v_cndmask_b32_e64 v19, v6, v20, s[28:29]
	v_cndmask_b32_e64 v34, v16, v6, s[28:29]
	v_cmp_lt_u32_e32 vcc, v19, v18
	s_mov_b64 s[30:31], -1
	s_waitcnt lgkmcnt(0)
	v_cndmask_b32_e64 v8, v3, v5, s[28:29]
	v_cndmask_b32_e64 v9, v2, v4, s[28:29]
	;; [unrolled: 1-line block ×4, first 2 shown]
	s_mov_b64 s[34:35], -1
	s_and_saveexec_b64 s[36:37], vcc
	s_cbranch_execz .LBB873_227
; %bb.220:
	v_cmp_lt_u32_e64 s[34:35], v34, v17
	s_xor_b64 s[2:3], s[24:25], -1
	s_and_b64 s[2:3], s[34:35], s[2:3]
	s_and_saveexec_b64 s[38:39], s[2:3]
	s_cbranch_execz .LBB873_226
; %bb.221:
	v_mul_lo_u32 v6, v8, s12
	v_mul_lo_u32 v7, v9, s13
	v_mad_u64_u32 v[2:3], s[2:3], v9, s12, 0
	v_add3_u32 v3, v3, v7, v6
	v_lshlrev_b64 v[2:3], 2, v[2:3]
	v_mov_b32_e32 v6, s15
	v_add_co_u32_e32 v2, vcc, s14, v2
	v_addc_co_u32_e32 v3, vcc, v6, v3, vcc
	v_mul_lo_u32 v15, v10, s12
	v_mul_lo_u32 v16, v11, s13
	v_mad_u64_u32 v[6:7], s[2:3], v11, s12, 0
	v_add3_u32 v7, v7, v16, v15
	v_lshlrev_b64 v[6:7], 2, v[6:7]
	v_mov_b32_e32 v15, s15
	v_add_co_u32_e32 v6, vcc, s14, v6
	v_addc_co_u32_e32 v7, vcc, v15, v7, vcc
	s_mov_b64 s[40:41], 0
	s_mov_b64 s[48:49], s[12:13]
                                        ; implicit-def: $sgpr42_sgpr43
                                        ; implicit-def: $sgpr44_sgpr45
                                        ; implicit-def: $sgpr2_sgpr3
                                        ; implicit-def: $sgpr46_sgpr47
                                        ; implicit-def: $sgpr50_sgpr51
	s_branch .LBB873_223
.LBB873_222:                            ;   in Loop: Header=BB873_223 Depth=1
	s_or_b64 exec, exec, s[52:53]
	s_and_b64 s[4:5], exec, s[44:45]
	s_or_b64 s[40:41], s[4:5], s[40:41]
	s_andn2_b64 s[4:5], s[50:51], exec
	s_and_b64 s[50:51], s[46:47], exec
	s_or_b64 s[50:51], s[4:5], s[50:51]
	s_andn2_b64 s[4:5], s[42:43], exec
	s_and_b64 s[42:43], s[2:3], exec
	s_or_b64 s[42:43], s[4:5], s[42:43]
	s_andn2_b64 exec, exec, s[40:41]
	s_cbranch_execz .LBB873_225
.LBB873_223:                            ; =>This Inner Loop Header: Depth=1
	global_load_dword v15, v[2:3], off
	global_load_dword v16, v[6:7], off
	s_andn2_b64 s[52:53], s[2:3], exec
	s_andn2_b64 s[46:47], s[46:47], exec
	s_or_b64 s[44:45], s[44:45], exec
	s_waitcnt vmcnt(0)
	v_cmp_ngt_f32_e64 s[2:3], v15, v16
	v_cmp_lt_f32_e32 vcc, v15, v16
	s_and_b64 s[2:3], s[2:3], s[50:51]
	s_or_b64 s[54:55], vcc, s[2:3]
	s_and_b64 s[2:3], s[54:55], exec
	v_cmp_nlg_f32_e64 s[4:5], v15, v16
	s_or_b64 s[2:3], s[52:53], s[2:3]
	s_and_saveexec_b64 s[52:53], s[4:5]
	s_cbranch_execz .LBB873_222
; %bb.224:                              ;   in Loop: Header=BB873_223 Depth=1
	s_add_u32 s48, s48, -1
	s_addc_u32 s49, s49, -1
	v_add_co_u32_e32 v2, vcc, 4, v2
	s_cmp_eq_u64 s[48:49], 0
	v_addc_co_u32_e32 v3, vcc, 0, v3, vcc
	s_cselect_b64 s[4:5], -1, 0
	v_add_co_u32_e32 v6, vcc, 4, v6
	s_andn2_b64 s[46:47], s[46:47], exec
	s_and_b64 s[50:51], s[54:55], exec
	s_andn2_b64 s[44:45], s[44:45], exec
	s_and_b64 s[4:5], s[4:5], exec
	v_addc_co_u32_e32 v7, vcc, 0, v7, vcc
	s_or_b64 s[46:47], s[46:47], s[50:51]
	s_andn2_b64 s[2:3], s[2:3], exec
	s_or_b64 s[44:45], s[44:45], s[4:5]
                                        ; implicit-def: $sgpr50_sgpr51
	s_branch .LBB873_222
.LBB873_225:
	s_or_b64 exec, exec, s[40:41]
	s_xor_b64 s[2:3], s[42:43], -1
	s_andn2_b64 s[4:5], s[34:35], exec
	s_and_b64 s[2:3], s[2:3], exec
	s_or_b64 s[34:35], s[4:5], s[2:3]
.LBB873_226:
	s_or_b64 exec, exec, s[38:39]
	s_orn2_b64 s[34:35], s[34:35], exec
.LBB873_227:
	s_or_b64 exec, exec, s[36:37]
	v_cndmask_b32_e64 v2, v19, v34, s[34:35]
	v_cndmask_b32_e64 v3, v18, v17, s[34:35]
	v_add_u32_e32 v6, 1, v2
	v_add_u32_e32 v2, -1, v3
	v_min_u32_e32 v2, v6, v2
	v_lshl_add_u32 v2, v2, 3, v14
	ds_read_b64 v[2:3], v2
	v_cndmask_b32_e64 v20, v6, v19, s[34:35]
	v_cndmask_b32_e64 v19, v34, v6, s[34:35]
	v_cmp_lt_u32_e32 vcc, v20, v18
	s_waitcnt lgkmcnt(0)
	v_cndmask_b32_e64 v15, v3, v8, s[34:35]
	v_cndmask_b32_e64 v16, v2, v9, s[34:35]
	;; [unrolled: 1-line block ×4, first 2 shown]
	s_and_saveexec_b64 s[36:37], vcc
	s_cbranch_execz .LBB873_235
; %bb.228:
	v_cmp_lt_u32_e64 s[30:31], v19, v17
	s_xor_b64 s[2:3], s[24:25], -1
	s_and_b64 s[2:3], s[30:31], s[2:3]
	s_and_saveexec_b64 s[38:39], s[2:3]
	s_cbranch_execz .LBB873_234
; %bb.229:
	v_mul_lo_u32 v6, v15, s12
	v_mul_lo_u32 v7, v16, s13
	v_mad_u64_u32 v[2:3], s[2:3], v16, s12, 0
	v_add3_u32 v3, v3, v7, v6
	v_lshlrev_b64 v[2:3], 2, v[2:3]
	v_mov_b32_e32 v6, s15
	v_add_co_u32_e32 v2, vcc, s14, v2
	v_addc_co_u32_e32 v3, vcc, v6, v3, vcc
	v_mul_lo_u32 v34, v21, s12
	v_mul_lo_u32 v35, v33, s13
	v_mad_u64_u32 v[6:7], s[2:3], v33, s12, 0
	v_add3_u32 v7, v7, v35, v34
	v_lshlrev_b64 v[6:7], 2, v[6:7]
	v_mov_b32_e32 v34, s15
	v_add_co_u32_e32 v6, vcc, s14, v6
	v_addc_co_u32_e32 v7, vcc, v34, v7, vcc
	s_mov_b64 s[40:41], 0
	s_mov_b64 s[48:49], s[12:13]
                                        ; implicit-def: $sgpr42_sgpr43
                                        ; implicit-def: $sgpr44_sgpr45
                                        ; implicit-def: $sgpr2_sgpr3
                                        ; implicit-def: $sgpr46_sgpr47
                                        ; implicit-def: $sgpr50_sgpr51
	s_branch .LBB873_231
.LBB873_230:                            ;   in Loop: Header=BB873_231 Depth=1
	s_or_b64 exec, exec, s[52:53]
	s_and_b64 s[4:5], exec, s[44:45]
	s_or_b64 s[40:41], s[4:5], s[40:41]
	s_andn2_b64 s[4:5], s[50:51], exec
	s_and_b64 s[50:51], s[46:47], exec
	s_or_b64 s[50:51], s[4:5], s[50:51]
	s_andn2_b64 s[4:5], s[42:43], exec
	s_and_b64 s[42:43], s[2:3], exec
	s_or_b64 s[42:43], s[4:5], s[42:43]
	s_andn2_b64 exec, exec, s[40:41]
	s_cbranch_execz .LBB873_233
.LBB873_231:                            ; =>This Inner Loop Header: Depth=1
	global_load_dword v34, v[2:3], off
	global_load_dword v35, v[6:7], off
	s_andn2_b64 s[52:53], s[2:3], exec
	s_andn2_b64 s[46:47], s[46:47], exec
	s_or_b64 s[44:45], s[44:45], exec
	s_waitcnt vmcnt(0)
	v_cmp_ngt_f32_e64 s[2:3], v34, v35
	v_cmp_lt_f32_e32 vcc, v34, v35
	s_and_b64 s[2:3], s[2:3], s[50:51]
	s_or_b64 s[54:55], vcc, s[2:3]
	s_and_b64 s[2:3], s[54:55], exec
	v_cmp_nlg_f32_e64 s[4:5], v34, v35
	s_or_b64 s[2:3], s[52:53], s[2:3]
	s_and_saveexec_b64 s[52:53], s[4:5]
	s_cbranch_execz .LBB873_230
; %bb.232:                              ;   in Loop: Header=BB873_231 Depth=1
	s_add_u32 s48, s48, -1
	s_addc_u32 s49, s49, -1
	v_add_co_u32_e32 v2, vcc, 4, v2
	s_cmp_eq_u64 s[48:49], 0
	v_addc_co_u32_e32 v3, vcc, 0, v3, vcc
	s_cselect_b64 s[4:5], -1, 0
	v_add_co_u32_e32 v6, vcc, 4, v6
	s_andn2_b64 s[46:47], s[46:47], exec
	s_and_b64 s[50:51], s[54:55], exec
	s_andn2_b64 s[44:45], s[44:45], exec
	s_and_b64 s[4:5], s[4:5], exec
	v_addc_co_u32_e32 v7, vcc, 0, v7, vcc
	s_or_b64 s[46:47], s[46:47], s[50:51]
	s_andn2_b64 s[2:3], s[2:3], exec
	s_or_b64 s[44:45], s[44:45], s[4:5]
                                        ; implicit-def: $sgpr50_sgpr51
	s_branch .LBB873_230
.LBB873_233:
	s_or_b64 exec, exec, s[40:41]
	s_xor_b64 s[2:3], s[42:43], -1
	s_andn2_b64 s[4:5], s[30:31], exec
	s_and_b64 s[2:3], s[2:3], exec
	s_or_b64 s[30:31], s[4:5], s[2:3]
.LBB873_234:
	s_or_b64 exec, exec, s[38:39]
	s_orn2_b64 s[30:31], s[30:31], exec
.LBB873_235:
	s_or_b64 exec, exec, s[36:37]
	v_cndmask_b32_e64 v6, v20, v19, s[30:31]
	v_cndmask_b32_e64 v7, v18, v17, s[30:31]
	;; [unrolled: 1-line block ×3, first 2 shown]
	v_add_u32_e32 v10, 1, v6
	v_add_u32_e32 v6, -1, v7
	v_min_u32_e32 v6, v10, v6
	v_lshl_add_u32 v6, v6, 3, v14
	v_cndmask_b32_e64 v2, v9, v11, s[34:35]
	ds_read_b64 v[8:9], v6
	v_cndmask_b32_e64 v11, v10, v20, s[30:31]
	v_cndmask_b32_e64 v1, v5, v1, s[28:29]
	;; [unrolled: 1-line block ×5, first 2 shown]
	s_waitcnt lgkmcnt(0)
	v_cndmask_b32_e64 v7, v21, v9, s[30:31]
	v_cndmask_b32_e64 v6, v33, v8, s[30:31]
	v_cmp_lt_u32_e32 vcc, v11, v18
	s_and_saveexec_b64 s[28:29], vcc
	s_cbranch_execz .LBB873_243
; %bb.236:
	v_cndmask_b32_e64 v14, v9, v15, s[30:31]
	v_cndmask_b32_e64 v15, v8, v16, s[30:31]
	;; [unrolled: 1-line block ×3, first 2 shown]
	v_cmp_ge_u32_e32 vcc, v8, v17
	s_or_b64 s[2:3], vcc, s[24:25]
	v_cndmask_b32_e32 v9, v7, v14, vcc
	s_xor_b64 s[2:3], s[2:3], -1
	v_cndmask_b32_e32 v8, v6, v15, vcc
	s_and_saveexec_b64 s[30:31], s[2:3]
	s_cbranch_execz .LBB873_242
; %bb.237:
	v_mul_lo_u32 v10, v14, s12
	v_mul_lo_u32 v11, v15, s13
	v_mad_u64_u32 v[8:9], s[2:3], v15, s12, 0
	v_add3_u32 v9, v9, v11, v10
	v_lshlrev_b64 v[8:9], 2, v[8:9]
	v_mov_b32_e32 v10, s15
	v_add_co_u32_e32 v8, vcc, s14, v8
	v_addc_co_u32_e32 v9, vcc, v10, v9, vcc
	v_mul_lo_u32 v16, v7, s12
	v_mul_lo_u32 v17, v6, s13
	v_mad_u64_u32 v[10:11], s[2:3], v6, s12, 0
	v_add3_u32 v11, v11, v17, v16
	v_lshlrev_b64 v[10:11], 2, v[10:11]
	v_mov_b32_e32 v16, s15
	v_add_co_u32_e32 v10, vcc, s14, v10
	v_addc_co_u32_e32 v11, vcc, v16, v11, vcc
	s_mov_b64 s[34:35], 0
	s_mov_b64 s[42:43], s[12:13]
                                        ; implicit-def: $sgpr36_sgpr37
                                        ; implicit-def: $sgpr38_sgpr39
                                        ; implicit-def: $sgpr2_sgpr3
                                        ; implicit-def: $sgpr40_sgpr41
                                        ; implicit-def: $sgpr44_sgpr45
	s_branch .LBB873_239
.LBB873_238:                            ;   in Loop: Header=BB873_239 Depth=1
	s_or_b64 exec, exec, s[46:47]
	s_and_b64 s[4:5], exec, s[38:39]
	s_or_b64 s[34:35], s[4:5], s[34:35]
	s_andn2_b64 s[4:5], s[44:45], exec
	s_and_b64 s[44:45], s[40:41], exec
	s_or_b64 s[44:45], s[4:5], s[44:45]
	s_andn2_b64 s[4:5], s[36:37], exec
	s_and_b64 s[36:37], s[2:3], exec
	s_or_b64 s[36:37], s[4:5], s[36:37]
	s_andn2_b64 exec, exec, s[34:35]
	s_cbranch_execz .LBB873_241
.LBB873_239:                            ; =>This Inner Loop Header: Depth=1
	global_load_dword v16, v[8:9], off
	global_load_dword v17, v[10:11], off
	s_andn2_b64 s[46:47], s[2:3], exec
	s_andn2_b64 s[40:41], s[40:41], exec
	s_or_b64 s[38:39], s[38:39], exec
	s_waitcnt vmcnt(0)
	v_cmp_ngt_f32_e64 s[2:3], v16, v17
	v_cmp_lt_f32_e32 vcc, v16, v17
	s_and_b64 s[2:3], s[2:3], s[44:45]
	s_or_b64 s[48:49], vcc, s[2:3]
	s_and_b64 s[2:3], s[48:49], exec
	v_cmp_nlg_f32_e64 s[4:5], v16, v17
	s_or_b64 s[2:3], s[46:47], s[2:3]
	s_and_saveexec_b64 s[46:47], s[4:5]
	s_cbranch_execz .LBB873_238
; %bb.240:                              ;   in Loop: Header=BB873_239 Depth=1
	s_add_u32 s42, s42, -1
	s_addc_u32 s43, s43, -1
	v_add_co_u32_e32 v8, vcc, 4, v8
	s_cmp_eq_u64 s[42:43], 0
	v_addc_co_u32_e32 v9, vcc, 0, v9, vcc
	s_cselect_b64 s[4:5], -1, 0
	v_add_co_u32_e32 v10, vcc, 4, v10
	s_andn2_b64 s[40:41], s[40:41], exec
	s_and_b64 s[44:45], s[48:49], exec
	s_andn2_b64 s[38:39], s[38:39], exec
	s_and_b64 s[4:5], s[4:5], exec
	v_addc_co_u32_e32 v11, vcc, 0, v11, vcc
	s_or_b64 s[40:41], s[40:41], s[44:45]
	s_andn2_b64 s[2:3], s[2:3], exec
	s_or_b64 s[38:39], s[38:39], s[4:5]
                                        ; implicit-def: $sgpr44_sgpr45
	s_branch .LBB873_238
.LBB873_241:
	s_or_b64 exec, exec, s[34:35]
	v_cndmask_b32_e64 v9, v7, v14, s[36:37]
	v_cndmask_b32_e64 v8, v6, v15, s[36:37]
.LBB873_242:
	s_or_b64 exec, exec, s[30:31]
	v_pk_mov_b32 v[6:7], v[8:9], v[8:9] op_sel:[0,1]
.LBB873_243:
	s_or_b64 exec, exec, s[28:29]
.LBB873_244:
	s_or_b64 exec, exec, s[26:27]
	v_and_b32_e32 v17, 0xf80, v23
	v_or_b32_e32 v8, 64, v17
	v_min_u32_e32 v15, 0x400, v8
	v_min_u32_e32 v8, 0x3c0, v8
	v_add_u32_e32 v16, 64, v8
	v_and_b32_e32 v19, 0x7c, v23
	v_sub_u32_e32 v8, v15, v17
	v_sub_u32_e32 v9, v16, v15
	v_sub_u32_e64 v20, v19, v9 clamp
	v_min_u32_e32 v21, v19, v8
	v_lshlrev_b32_e32 v14, 3, v23
	v_lshlrev_b32_e32 v18, 3, v17
	v_cmp_lt_u32_e32 vcc, v20, v21
	; wave barrier
	s_waitcnt lgkmcnt(0)
	s_barrier
	ds_write_b128 v14, v[0:3]
	ds_write_b128 v14, v[4:7] offset:16
	s_waitcnt lgkmcnt(0)
	s_barrier
	s_and_saveexec_b64 s[26:27], vcc
	s_cbranch_execz .LBB873_254
; %bb.245:
	v_lshlrev_b32_e32 v8, 3, v19
	v_lshl_add_u32 v33, v15, 3, v8
	s_lshl_b64 s[30:31], s[12:13], 2
	s_mov_b64 s[28:29], 0
	s_branch .LBB873_248
.LBB873_246:                            ;   in Loop: Header=BB873_248 Depth=1
	s_or_b64 exec, exec, s[36:37]
.LBB873_247:                            ;   in Loop: Header=BB873_248 Depth=1
	v_add_u32_e32 v8, 1, v34
	v_cndmask_b32_e64 v21, v21, v34, s[34:35]
	v_cndmask_b32_e64 v20, v8, v20, s[34:35]
	v_cmp_ge_u32_e32 vcc, v20, v21
	s_or_b64 s[28:29], vcc, s[28:29]
	s_andn2_b64 exec, exec, s[28:29]
	s_cbranch_execz .LBB873_253
.LBB873_248:                            ; =>This Loop Header: Depth=1
                                        ;     Child Loop BB873_251 Depth 2
	v_add_u32_e32 v8, v21, v20
	v_lshrrev_b32_e32 v34, 1, v8
	s_and_b64 vcc, exec, s[0:1]
	s_mov_b64 s[34:35], 0
	s_cbranch_vccnz .LBB873_247
; %bb.249:                              ;   in Loop: Header=BB873_248 Depth=1
	v_not_b32_e32 v8, v34
	v_lshl_add_u32 v8, v8, 3, v33
	ds_read_b64 v[8:9], v8
	v_lshl_add_u32 v35, v34, 3, v18
	ds_read_b64 v[36:37], v35
	v_pk_mov_b32 v[10:11], s[14:15], s[14:15] op_sel:[0,1]
	s_mov_b64 s[36:37], 0
	s_waitcnt lgkmcnt(1)
	v_mul_lo_u32 v35, s30, v9
	v_mul_lo_u32 v38, s31, v8
	v_mad_u64_u32 v[8:9], s[2:3], s30, v8, v[10:11]
	v_add3_u32 v9, v38, v9, v35
	s_waitcnt lgkmcnt(0)
	v_mul_lo_u32 v35, s30, v37
	v_mul_lo_u32 v37, s31, v36
	v_mad_u64_u32 v[10:11], s[2:3], s30, v36, v[10:11]
	v_add3_u32 v11, v37, v11, v35
	s_mov_b64 s[42:43], s[12:13]
                                        ; implicit-def: $sgpr34_sgpr35
                                        ; implicit-def: $sgpr38_sgpr39
                                        ; implicit-def: $sgpr40_sgpr41
                                        ; implicit-def: $sgpr2_sgpr3
                                        ; implicit-def: $sgpr44_sgpr45
	s_branch .LBB873_251
.LBB873_250:                            ;   in Loop: Header=BB873_251 Depth=2
	s_or_b64 exec, exec, s[46:47]
	s_and_b64 s[4:5], exec, s[38:39]
	s_or_b64 s[36:37], s[4:5], s[36:37]
	s_andn2_b64 s[4:5], s[44:45], exec
	s_and_b64 s[44:45], s[40:41], exec
	s_or_b64 s[44:45], s[4:5], s[44:45]
	s_andn2_b64 s[4:5], s[34:35], exec
	s_and_b64 s[34:35], s[2:3], exec
	s_or_b64 s[34:35], s[4:5], s[34:35]
	s_andn2_b64 exec, exec, s[36:37]
	s_cbranch_execz .LBB873_246
.LBB873_251:                            ;   Parent Loop BB873_248 Depth=1
                                        ; =>  This Inner Loop Header: Depth=2
	global_load_dword v35, v[8:9], off
	global_load_dword v36, v[10:11], off
	s_andn2_b64 s[46:47], s[2:3], exec
	s_andn2_b64 s[40:41], s[40:41], exec
	s_or_b64 s[38:39], s[38:39], exec
	s_waitcnt vmcnt(0)
	v_cmp_ngt_f32_e64 s[2:3], v35, v36
	v_cmp_lt_f32_e32 vcc, v35, v36
	s_and_b64 s[2:3], s[2:3], s[44:45]
	s_or_b64 s[48:49], vcc, s[2:3]
	s_and_b64 s[2:3], s[48:49], exec
	v_cmp_nlg_f32_e64 s[4:5], v35, v36
	s_or_b64 s[2:3], s[46:47], s[2:3]
	s_and_saveexec_b64 s[46:47], s[4:5]
	s_cbranch_execz .LBB873_250
; %bb.252:                              ;   in Loop: Header=BB873_251 Depth=2
	s_add_u32 s42, s42, -1
	s_addc_u32 s43, s43, -1
	v_add_co_u32_e32 v8, vcc, 4, v8
	s_cmp_eq_u64 s[42:43], 0
	v_addc_co_u32_e32 v9, vcc, 0, v9, vcc
	s_cselect_b64 s[4:5], -1, 0
	v_add_co_u32_e32 v10, vcc, 4, v10
	s_andn2_b64 s[40:41], s[40:41], exec
	s_and_b64 s[44:45], s[48:49], exec
	s_andn2_b64 s[38:39], s[38:39], exec
	s_and_b64 s[4:5], s[4:5], exec
	v_addc_co_u32_e32 v11, vcc, 0, v11, vcc
	s_andn2_b64 s[2:3], s[2:3], exec
	s_or_b64 s[40:41], s[40:41], s[44:45]
	s_or_b64 s[38:39], s[38:39], s[4:5]
                                        ; implicit-def: $sgpr44_sgpr45
	s_branch .LBB873_250
.LBB873_253:
	s_or_b64 exec, exec, s[28:29]
.LBB873_254:
	s_or_b64 exec, exec, s[26:27]
	v_sub_u32_e32 v8, v19, v20
	v_add_u32_e32 v17, v20, v17
	v_add_u32_e32 v19, v8, v15
	v_cmp_le_u32_e32 vcc, v17, v15
	v_cmp_le_u32_e64 s[2:3], v19, v16
	s_or_b64 s[2:3], vcc, s[2:3]
	s_and_saveexec_b64 s[26:27], s[2:3]
	s_cbranch_execz .LBB873_290
; %bb.255:
	v_cmp_ge_u32_e32 vcc, v17, v15
	v_cmp_lt_u32_e64 s[2:3], v17, v15
                                        ; implicit-def: $vgpr0_vgpr1
	s_and_saveexec_b64 s[4:5], s[2:3]
	s_cbranch_execz .LBB873_257
; %bb.256:
	v_lshl_add_u32 v0, v20, 3, v18
	ds_read_b64 v[0:1], v0
.LBB873_257:
	s_or_b64 exec, exec, s[4:5]
	v_cmp_ge_u32_e64 s[2:3], v19, v16
	v_cmp_lt_u32_e64 s[4:5], v19, v16
                                        ; implicit-def: $vgpr4_vgpr5
	s_and_saveexec_b64 s[28:29], s[4:5]
	s_cbranch_execz .LBB873_259
; %bb.258:
	v_lshlrev_b32_e32 v2, 3, v19
	ds_read_b64 v[4:5], v2
.LBB873_259:
	s_or_b64 exec, exec, s[28:29]
	s_or_b64 s[4:5], vcc, s[2:3]
	s_or_b64 s[4:5], s[4:5], s[24:25]
	s_xor_b64 s[28:29], vcc, -1
	s_xor_b64 s[4:5], s[4:5], -1
	s_or_b64 s[28:29], s[2:3], s[28:29]
	s_and_saveexec_b64 s[30:31], s[4:5]
	s_cbranch_execz .LBB873_265
; %bb.260:
	s_waitcnt lgkmcnt(0)
	v_mul_lo_u32 v6, v5, s12
	v_mul_lo_u32 v7, v4, s13
	v_mad_u64_u32 v[2:3], s[2:3], v4, s12, 0
	v_add3_u32 v3, v3, v7, v6
	v_lshlrev_b64 v[2:3], 2, v[2:3]
	v_mov_b32_e32 v6, s15
	v_add_co_u32_e32 v2, vcc, s14, v2
	v_addc_co_u32_e32 v3, vcc, v6, v3, vcc
	v_mul_lo_u32 v8, v1, s12
	v_mul_lo_u32 v9, v0, s13
	v_mad_u64_u32 v[6:7], s[2:3], v0, s12, 0
	v_add3_u32 v7, v7, v9, v8
	v_lshlrev_b64 v[6:7], 2, v[6:7]
	v_mov_b32_e32 v8, s15
	v_add_co_u32_e32 v6, vcc, s14, v6
	v_addc_co_u32_e32 v7, vcc, v8, v7, vcc
	s_mov_b64 s[34:35], 0
	s_mov_b64 s[42:43], s[12:13]
                                        ; implicit-def: $sgpr36_sgpr37
                                        ; implicit-def: $sgpr38_sgpr39
                                        ; implicit-def: $sgpr2_sgpr3
                                        ; implicit-def: $sgpr40_sgpr41
                                        ; implicit-def: $sgpr44_sgpr45
	s_branch .LBB873_262
.LBB873_261:                            ;   in Loop: Header=BB873_262 Depth=1
	s_or_b64 exec, exec, s[46:47]
	s_and_b64 s[4:5], exec, s[38:39]
	s_or_b64 s[34:35], s[4:5], s[34:35]
	s_andn2_b64 s[4:5], s[44:45], exec
	s_and_b64 s[44:45], s[40:41], exec
	s_or_b64 s[44:45], s[4:5], s[44:45]
	s_andn2_b64 s[4:5], s[36:37], exec
	s_and_b64 s[36:37], s[2:3], exec
	s_or_b64 s[36:37], s[4:5], s[36:37]
	s_andn2_b64 exec, exec, s[34:35]
	s_cbranch_execz .LBB873_264
.LBB873_262:                            ; =>This Inner Loop Header: Depth=1
	global_load_dword v8, v[2:3], off
	global_load_dword v9, v[6:7], off
	s_andn2_b64 s[46:47], s[2:3], exec
	s_andn2_b64 s[40:41], s[40:41], exec
	s_or_b64 s[38:39], s[38:39], exec
	s_waitcnt vmcnt(0)
	v_cmp_ngt_f32_e64 s[2:3], v8, v9
	v_cmp_lt_f32_e32 vcc, v8, v9
	s_and_b64 s[2:3], s[2:3], s[44:45]
	s_or_b64 s[48:49], vcc, s[2:3]
	s_and_b64 s[2:3], s[48:49], exec
	v_cmp_nlg_f32_e64 s[4:5], v8, v9
	s_or_b64 s[2:3], s[46:47], s[2:3]
	s_and_saveexec_b64 s[46:47], s[4:5]
	s_cbranch_execz .LBB873_261
; %bb.263:                              ;   in Loop: Header=BB873_262 Depth=1
	s_add_u32 s42, s42, -1
	s_addc_u32 s43, s43, -1
	v_add_co_u32_e32 v2, vcc, 4, v2
	s_cmp_eq_u64 s[42:43], 0
	v_addc_co_u32_e32 v3, vcc, 0, v3, vcc
	s_cselect_b64 s[4:5], -1, 0
	v_add_co_u32_e32 v6, vcc, 4, v6
	s_andn2_b64 s[40:41], s[40:41], exec
	s_and_b64 s[44:45], s[48:49], exec
	s_andn2_b64 s[38:39], s[38:39], exec
	s_and_b64 s[4:5], s[4:5], exec
	v_addc_co_u32_e32 v7, vcc, 0, v7, vcc
	s_or_b64 s[40:41], s[40:41], s[44:45]
	s_andn2_b64 s[2:3], s[2:3], exec
	s_or_b64 s[38:39], s[38:39], s[4:5]
                                        ; implicit-def: $sgpr44_sgpr45
	s_branch .LBB873_261
.LBB873_264:
	s_or_b64 exec, exec, s[34:35]
	s_xor_b64 s[2:3], s[36:37], -1
	s_andn2_b64 s[4:5], s[28:29], exec
	s_and_b64 s[2:3], s[2:3], exec
	s_or_b64 s[28:29], s[4:5], s[2:3]
.LBB873_265:
	s_or_b64 exec, exec, s[30:31]
	v_cndmask_b32_e64 v2, v19, v17, s[28:29]
	v_cndmask_b32_e64 v3, v16, v15, s[28:29]
	v_add_u32_e32 v6, 1, v2
	v_add_u32_e32 v2, -1, v3
	v_min_u32_e32 v2, v6, v2
	v_lshlrev_b32_e32 v2, 3, v2
	ds_read_b64 v[2:3], v2
	v_cndmask_b32_e64 v19, v6, v19, s[28:29]
	v_cndmask_b32_e64 v34, v17, v6, s[28:29]
	v_cmp_lt_u32_e32 vcc, v19, v16
	s_mov_b64 s[30:31], -1
	s_waitcnt lgkmcnt(0)
	v_cndmask_b32_e64 v8, v3, v5, s[28:29]
	v_cndmask_b32_e64 v9, v2, v4, s[28:29]
	;; [unrolled: 1-line block ×4, first 2 shown]
	s_mov_b64 s[34:35], -1
	s_and_saveexec_b64 s[36:37], vcc
	s_cbranch_execz .LBB873_273
; %bb.266:
	v_cmp_lt_u32_e64 s[34:35], v34, v15
	s_xor_b64 s[2:3], s[24:25], -1
	s_and_b64 s[2:3], s[34:35], s[2:3]
	s_and_saveexec_b64 s[38:39], s[2:3]
	s_cbranch_execz .LBB873_272
; %bb.267:
	v_mul_lo_u32 v6, v8, s12
	v_mul_lo_u32 v7, v9, s13
	v_mad_u64_u32 v[2:3], s[2:3], v9, s12, 0
	v_add3_u32 v3, v3, v7, v6
	v_lshlrev_b64 v[2:3], 2, v[2:3]
	v_mov_b32_e32 v6, s15
	v_add_co_u32_e32 v2, vcc, s14, v2
	v_addc_co_u32_e32 v3, vcc, v6, v3, vcc
	v_mul_lo_u32 v17, v10, s12
	v_mul_lo_u32 v18, v11, s13
	v_mad_u64_u32 v[6:7], s[2:3], v11, s12, 0
	v_add3_u32 v7, v7, v18, v17
	v_lshlrev_b64 v[6:7], 2, v[6:7]
	v_mov_b32_e32 v17, s15
	v_add_co_u32_e32 v6, vcc, s14, v6
	v_addc_co_u32_e32 v7, vcc, v17, v7, vcc
	s_mov_b64 s[40:41], 0
	s_mov_b64 s[48:49], s[12:13]
                                        ; implicit-def: $sgpr42_sgpr43
                                        ; implicit-def: $sgpr44_sgpr45
                                        ; implicit-def: $sgpr2_sgpr3
                                        ; implicit-def: $sgpr46_sgpr47
                                        ; implicit-def: $sgpr50_sgpr51
	s_branch .LBB873_269
.LBB873_268:                            ;   in Loop: Header=BB873_269 Depth=1
	s_or_b64 exec, exec, s[52:53]
	s_and_b64 s[4:5], exec, s[44:45]
	s_or_b64 s[40:41], s[4:5], s[40:41]
	s_andn2_b64 s[4:5], s[50:51], exec
	s_and_b64 s[50:51], s[46:47], exec
	s_or_b64 s[50:51], s[4:5], s[50:51]
	s_andn2_b64 s[4:5], s[42:43], exec
	s_and_b64 s[42:43], s[2:3], exec
	s_or_b64 s[42:43], s[4:5], s[42:43]
	s_andn2_b64 exec, exec, s[40:41]
	s_cbranch_execz .LBB873_271
.LBB873_269:                            ; =>This Inner Loop Header: Depth=1
	global_load_dword v17, v[2:3], off
	global_load_dword v18, v[6:7], off
	s_andn2_b64 s[52:53], s[2:3], exec
	s_andn2_b64 s[46:47], s[46:47], exec
	s_or_b64 s[44:45], s[44:45], exec
	s_waitcnt vmcnt(0)
	v_cmp_ngt_f32_e64 s[2:3], v17, v18
	v_cmp_lt_f32_e32 vcc, v17, v18
	s_and_b64 s[2:3], s[2:3], s[50:51]
	s_or_b64 s[54:55], vcc, s[2:3]
	s_and_b64 s[2:3], s[54:55], exec
	v_cmp_nlg_f32_e64 s[4:5], v17, v18
	s_or_b64 s[2:3], s[52:53], s[2:3]
	s_and_saveexec_b64 s[52:53], s[4:5]
	s_cbranch_execz .LBB873_268
; %bb.270:                              ;   in Loop: Header=BB873_269 Depth=1
	s_add_u32 s48, s48, -1
	s_addc_u32 s49, s49, -1
	v_add_co_u32_e32 v2, vcc, 4, v2
	s_cmp_eq_u64 s[48:49], 0
	v_addc_co_u32_e32 v3, vcc, 0, v3, vcc
	s_cselect_b64 s[4:5], -1, 0
	v_add_co_u32_e32 v6, vcc, 4, v6
	s_andn2_b64 s[46:47], s[46:47], exec
	s_and_b64 s[50:51], s[54:55], exec
	s_andn2_b64 s[44:45], s[44:45], exec
	s_and_b64 s[4:5], s[4:5], exec
	v_addc_co_u32_e32 v7, vcc, 0, v7, vcc
	s_or_b64 s[46:47], s[46:47], s[50:51]
	s_andn2_b64 s[2:3], s[2:3], exec
	s_or_b64 s[44:45], s[44:45], s[4:5]
                                        ; implicit-def: $sgpr50_sgpr51
	s_branch .LBB873_268
.LBB873_271:
	s_or_b64 exec, exec, s[40:41]
	s_xor_b64 s[2:3], s[42:43], -1
	s_andn2_b64 s[4:5], s[34:35], exec
	s_and_b64 s[2:3], s[2:3], exec
	s_or_b64 s[34:35], s[4:5], s[2:3]
.LBB873_272:
	s_or_b64 exec, exec, s[38:39]
	s_orn2_b64 s[34:35], s[34:35], exec
.LBB873_273:
	s_or_b64 exec, exec, s[36:37]
	v_cndmask_b32_e64 v2, v19, v34, s[34:35]
	v_cndmask_b32_e64 v3, v16, v15, s[34:35]
	v_add_u32_e32 v6, 1, v2
	v_add_u32_e32 v2, -1, v3
	v_min_u32_e32 v2, v6, v2
	v_lshlrev_b32_e32 v2, 3, v2
	ds_read_b64 v[2:3], v2
	v_cndmask_b32_e64 v20, v6, v19, s[34:35]
	v_cndmask_b32_e64 v19, v34, v6, s[34:35]
	v_cmp_lt_u32_e32 vcc, v20, v16
	s_waitcnt lgkmcnt(0)
	v_cndmask_b32_e64 v17, v3, v8, s[34:35]
	v_cndmask_b32_e64 v18, v2, v9, s[34:35]
	;; [unrolled: 1-line block ×4, first 2 shown]
	s_and_saveexec_b64 s[36:37], vcc
	s_cbranch_execz .LBB873_281
; %bb.274:
	v_cmp_lt_u32_e64 s[30:31], v19, v15
	s_xor_b64 s[2:3], s[24:25], -1
	s_and_b64 s[2:3], s[30:31], s[2:3]
	s_and_saveexec_b64 s[38:39], s[2:3]
	s_cbranch_execz .LBB873_280
; %bb.275:
	v_mul_lo_u32 v6, v17, s12
	v_mul_lo_u32 v7, v18, s13
	v_mad_u64_u32 v[2:3], s[2:3], v18, s12, 0
	v_add3_u32 v3, v3, v7, v6
	v_lshlrev_b64 v[2:3], 2, v[2:3]
	v_mov_b32_e32 v6, s15
	v_add_co_u32_e32 v2, vcc, s14, v2
	v_addc_co_u32_e32 v3, vcc, v6, v3, vcc
	v_mul_lo_u32 v34, v21, s12
	v_mul_lo_u32 v35, v33, s13
	v_mad_u64_u32 v[6:7], s[2:3], v33, s12, 0
	v_add3_u32 v7, v7, v35, v34
	v_lshlrev_b64 v[6:7], 2, v[6:7]
	v_mov_b32_e32 v34, s15
	v_add_co_u32_e32 v6, vcc, s14, v6
	v_addc_co_u32_e32 v7, vcc, v34, v7, vcc
	s_mov_b64 s[40:41], 0
	s_mov_b64 s[48:49], s[12:13]
                                        ; implicit-def: $sgpr42_sgpr43
                                        ; implicit-def: $sgpr44_sgpr45
                                        ; implicit-def: $sgpr2_sgpr3
                                        ; implicit-def: $sgpr46_sgpr47
                                        ; implicit-def: $sgpr50_sgpr51
	s_branch .LBB873_277
.LBB873_276:                            ;   in Loop: Header=BB873_277 Depth=1
	s_or_b64 exec, exec, s[52:53]
	s_and_b64 s[4:5], exec, s[44:45]
	s_or_b64 s[40:41], s[4:5], s[40:41]
	s_andn2_b64 s[4:5], s[50:51], exec
	s_and_b64 s[50:51], s[46:47], exec
	s_or_b64 s[50:51], s[4:5], s[50:51]
	s_andn2_b64 s[4:5], s[42:43], exec
	s_and_b64 s[42:43], s[2:3], exec
	s_or_b64 s[42:43], s[4:5], s[42:43]
	s_andn2_b64 exec, exec, s[40:41]
	s_cbranch_execz .LBB873_279
.LBB873_277:                            ; =>This Inner Loop Header: Depth=1
	global_load_dword v34, v[2:3], off
	global_load_dword v35, v[6:7], off
	s_andn2_b64 s[52:53], s[2:3], exec
	s_andn2_b64 s[46:47], s[46:47], exec
	s_or_b64 s[44:45], s[44:45], exec
	s_waitcnt vmcnt(0)
	v_cmp_ngt_f32_e64 s[2:3], v34, v35
	v_cmp_lt_f32_e32 vcc, v34, v35
	s_and_b64 s[2:3], s[2:3], s[50:51]
	s_or_b64 s[54:55], vcc, s[2:3]
	s_and_b64 s[2:3], s[54:55], exec
	v_cmp_nlg_f32_e64 s[4:5], v34, v35
	s_or_b64 s[2:3], s[52:53], s[2:3]
	s_and_saveexec_b64 s[52:53], s[4:5]
	s_cbranch_execz .LBB873_276
; %bb.278:                              ;   in Loop: Header=BB873_277 Depth=1
	s_add_u32 s48, s48, -1
	s_addc_u32 s49, s49, -1
	v_add_co_u32_e32 v2, vcc, 4, v2
	s_cmp_eq_u64 s[48:49], 0
	v_addc_co_u32_e32 v3, vcc, 0, v3, vcc
	s_cselect_b64 s[4:5], -1, 0
	v_add_co_u32_e32 v6, vcc, 4, v6
	s_andn2_b64 s[46:47], s[46:47], exec
	s_and_b64 s[50:51], s[54:55], exec
	s_andn2_b64 s[44:45], s[44:45], exec
	s_and_b64 s[4:5], s[4:5], exec
	v_addc_co_u32_e32 v7, vcc, 0, v7, vcc
	s_or_b64 s[46:47], s[46:47], s[50:51]
	s_andn2_b64 s[2:3], s[2:3], exec
	s_or_b64 s[44:45], s[44:45], s[4:5]
                                        ; implicit-def: $sgpr50_sgpr51
	s_branch .LBB873_276
.LBB873_279:
	s_or_b64 exec, exec, s[40:41]
	s_xor_b64 s[2:3], s[42:43], -1
	s_andn2_b64 s[4:5], s[30:31], exec
	s_and_b64 s[2:3], s[2:3], exec
	s_or_b64 s[30:31], s[4:5], s[2:3]
.LBB873_280:
	s_or_b64 exec, exec, s[38:39]
	s_orn2_b64 s[30:31], s[30:31], exec
.LBB873_281:
	s_or_b64 exec, exec, s[36:37]
	v_cndmask_b32_e64 v6, v20, v19, s[30:31]
	v_cndmask_b32_e64 v7, v16, v15, s[30:31]
	;; [unrolled: 1-line block ×3, first 2 shown]
	v_add_u32_e32 v10, 1, v6
	v_add_u32_e32 v6, -1, v7
	v_min_u32_e32 v6, v10, v6
	v_lshlrev_b32_e32 v6, 3, v6
	v_cndmask_b32_e64 v2, v9, v11, s[34:35]
	ds_read_b64 v[8:9], v6
	v_cndmask_b32_e64 v11, v10, v20, s[30:31]
	v_cndmask_b32_e64 v1, v5, v1, s[28:29]
	;; [unrolled: 1-line block ×5, first 2 shown]
	s_waitcnt lgkmcnt(0)
	v_cndmask_b32_e64 v7, v21, v9, s[30:31]
	v_cndmask_b32_e64 v6, v33, v8, s[30:31]
	v_cmp_lt_u32_e32 vcc, v11, v16
	s_and_saveexec_b64 s[28:29], vcc
	s_cbranch_execz .LBB873_289
; %bb.282:
	v_cndmask_b32_e64 v16, v9, v17, s[30:31]
	v_cndmask_b32_e64 v17, v8, v18, s[30:31]
	v_cndmask_b32_e64 v8, v19, v10, s[30:31]
	v_cmp_ge_u32_e32 vcc, v8, v15
	s_or_b64 s[2:3], vcc, s[24:25]
	v_cndmask_b32_e32 v9, v7, v16, vcc
	s_xor_b64 s[2:3], s[2:3], -1
	v_cndmask_b32_e32 v8, v6, v17, vcc
	s_and_saveexec_b64 s[30:31], s[2:3]
	s_cbranch_execz .LBB873_288
; %bb.283:
	v_mul_lo_u32 v10, v16, s12
	v_mul_lo_u32 v11, v17, s13
	v_mad_u64_u32 v[8:9], s[2:3], v17, s12, 0
	v_add3_u32 v9, v9, v11, v10
	v_lshlrev_b64 v[8:9], 2, v[8:9]
	v_mov_b32_e32 v10, s15
	v_add_co_u32_e32 v8, vcc, s14, v8
	v_addc_co_u32_e32 v9, vcc, v10, v9, vcc
	v_mul_lo_u32 v15, v7, s12
	v_mul_lo_u32 v18, v6, s13
	v_mad_u64_u32 v[10:11], s[2:3], v6, s12, 0
	v_add3_u32 v11, v11, v18, v15
	v_lshlrev_b64 v[10:11], 2, v[10:11]
	v_mov_b32_e32 v15, s15
	v_add_co_u32_e32 v10, vcc, s14, v10
	v_addc_co_u32_e32 v11, vcc, v15, v11, vcc
	s_mov_b64 s[34:35], 0
	s_mov_b64 s[42:43], s[12:13]
                                        ; implicit-def: $sgpr36_sgpr37
                                        ; implicit-def: $sgpr38_sgpr39
                                        ; implicit-def: $sgpr2_sgpr3
                                        ; implicit-def: $sgpr40_sgpr41
                                        ; implicit-def: $sgpr44_sgpr45
	s_branch .LBB873_285
.LBB873_284:                            ;   in Loop: Header=BB873_285 Depth=1
	s_or_b64 exec, exec, s[46:47]
	s_and_b64 s[4:5], exec, s[38:39]
	s_or_b64 s[34:35], s[4:5], s[34:35]
	s_andn2_b64 s[4:5], s[44:45], exec
	s_and_b64 s[44:45], s[40:41], exec
	s_or_b64 s[44:45], s[4:5], s[44:45]
	s_andn2_b64 s[4:5], s[36:37], exec
	s_and_b64 s[36:37], s[2:3], exec
	s_or_b64 s[36:37], s[4:5], s[36:37]
	s_andn2_b64 exec, exec, s[34:35]
	s_cbranch_execz .LBB873_287
.LBB873_285:                            ; =>This Inner Loop Header: Depth=1
	global_load_dword v15, v[8:9], off
	global_load_dword v18, v[10:11], off
	s_andn2_b64 s[46:47], s[2:3], exec
	s_andn2_b64 s[40:41], s[40:41], exec
	s_or_b64 s[38:39], s[38:39], exec
	s_waitcnt vmcnt(0)
	v_cmp_ngt_f32_e64 s[2:3], v15, v18
	v_cmp_lt_f32_e32 vcc, v15, v18
	s_and_b64 s[2:3], s[2:3], s[44:45]
	s_or_b64 s[48:49], vcc, s[2:3]
	s_and_b64 s[2:3], s[48:49], exec
	v_cmp_nlg_f32_e64 s[4:5], v15, v18
	s_or_b64 s[2:3], s[46:47], s[2:3]
	s_and_saveexec_b64 s[46:47], s[4:5]
	s_cbranch_execz .LBB873_284
; %bb.286:                              ;   in Loop: Header=BB873_285 Depth=1
	s_add_u32 s42, s42, -1
	s_addc_u32 s43, s43, -1
	v_add_co_u32_e32 v8, vcc, 4, v8
	s_cmp_eq_u64 s[42:43], 0
	v_addc_co_u32_e32 v9, vcc, 0, v9, vcc
	s_cselect_b64 s[4:5], -1, 0
	v_add_co_u32_e32 v10, vcc, 4, v10
	s_andn2_b64 s[40:41], s[40:41], exec
	s_and_b64 s[44:45], s[48:49], exec
	s_andn2_b64 s[38:39], s[38:39], exec
	s_and_b64 s[4:5], s[4:5], exec
	v_addc_co_u32_e32 v11, vcc, 0, v11, vcc
	s_or_b64 s[40:41], s[40:41], s[44:45]
	s_andn2_b64 s[2:3], s[2:3], exec
	s_or_b64 s[38:39], s[38:39], s[4:5]
                                        ; implicit-def: $sgpr44_sgpr45
	s_branch .LBB873_284
.LBB873_287:
	s_or_b64 exec, exec, s[34:35]
	v_cndmask_b32_e64 v9, v7, v16, s[36:37]
	v_cndmask_b32_e64 v8, v6, v17, s[36:37]
.LBB873_288:
	s_or_b64 exec, exec, s[30:31]
	v_pk_mov_b32 v[6:7], v[8:9], v[8:9] op_sel:[0,1]
.LBB873_289:
	s_or_b64 exec, exec, s[28:29]
.LBB873_290:
	s_or_b64 exec, exec, s[26:27]
	v_and_b32_e32 v17, 0xf00, v23
	v_or_b32_e32 v8, 0x80, v17
	v_min_u32_e32 v15, 0x400, v8
	v_min_u32_e32 v8, 0x380, v8
	v_add_u32_e32 v16, 0x80, v8
	v_and_b32_e32 v19, 0xfc, v23
	v_sub_u32_e32 v8, v15, v17
	v_sub_u32_e32 v9, v16, v15
	v_sub_u32_e64 v20, v19, v9 clamp
	v_min_u32_e32 v21, v19, v8
	v_lshlrev_b32_e32 v18, 3, v17
	v_cmp_lt_u32_e32 vcc, v20, v21
	s_barrier
	ds_write_b128 v14, v[0:3]
	ds_write_b128 v14, v[4:7] offset:16
	s_waitcnt lgkmcnt(0)
	s_barrier
	s_and_saveexec_b64 s[26:27], vcc
	s_cbranch_execz .LBB873_300
; %bb.291:
	v_lshlrev_b32_e32 v8, 3, v19
	v_lshl_add_u32 v33, v15, 3, v8
	s_lshl_b64 s[30:31], s[12:13], 2
	s_mov_b64 s[28:29], 0
	s_branch .LBB873_294
.LBB873_292:                            ;   in Loop: Header=BB873_294 Depth=1
	s_or_b64 exec, exec, s[36:37]
.LBB873_293:                            ;   in Loop: Header=BB873_294 Depth=1
	v_add_u32_e32 v8, 1, v34
	v_cndmask_b32_e64 v21, v21, v34, s[34:35]
	v_cndmask_b32_e64 v20, v8, v20, s[34:35]
	v_cmp_ge_u32_e32 vcc, v20, v21
	s_or_b64 s[28:29], vcc, s[28:29]
	s_andn2_b64 exec, exec, s[28:29]
	s_cbranch_execz .LBB873_299
.LBB873_294:                            ; =>This Loop Header: Depth=1
                                        ;     Child Loop BB873_297 Depth 2
	v_add_u32_e32 v8, v21, v20
	v_lshrrev_b32_e32 v34, 1, v8
	s_and_b64 vcc, exec, s[0:1]
	s_mov_b64 s[34:35], 0
	s_cbranch_vccnz .LBB873_293
; %bb.295:                              ;   in Loop: Header=BB873_294 Depth=1
	v_not_b32_e32 v8, v34
	v_lshl_add_u32 v8, v8, 3, v33
	ds_read_b64 v[8:9], v8
	v_lshl_add_u32 v35, v34, 3, v18
	ds_read_b64 v[36:37], v35
	v_pk_mov_b32 v[10:11], s[14:15], s[14:15] op_sel:[0,1]
	s_mov_b64 s[36:37], 0
	s_waitcnt lgkmcnt(1)
	v_mul_lo_u32 v35, s30, v9
	v_mul_lo_u32 v38, s31, v8
	v_mad_u64_u32 v[8:9], s[2:3], s30, v8, v[10:11]
	v_add3_u32 v9, v38, v9, v35
	s_waitcnt lgkmcnt(0)
	v_mul_lo_u32 v35, s30, v37
	v_mul_lo_u32 v37, s31, v36
	v_mad_u64_u32 v[10:11], s[2:3], s30, v36, v[10:11]
	v_add3_u32 v11, v37, v11, v35
	s_mov_b64 s[42:43], s[12:13]
                                        ; implicit-def: $sgpr34_sgpr35
                                        ; implicit-def: $sgpr38_sgpr39
                                        ; implicit-def: $sgpr40_sgpr41
                                        ; implicit-def: $sgpr2_sgpr3
                                        ; implicit-def: $sgpr44_sgpr45
	s_branch .LBB873_297
.LBB873_296:                            ;   in Loop: Header=BB873_297 Depth=2
	s_or_b64 exec, exec, s[46:47]
	s_and_b64 s[4:5], exec, s[38:39]
	s_or_b64 s[36:37], s[4:5], s[36:37]
	s_andn2_b64 s[4:5], s[44:45], exec
	s_and_b64 s[44:45], s[40:41], exec
	s_or_b64 s[44:45], s[4:5], s[44:45]
	s_andn2_b64 s[4:5], s[34:35], exec
	s_and_b64 s[34:35], s[2:3], exec
	s_or_b64 s[34:35], s[4:5], s[34:35]
	s_andn2_b64 exec, exec, s[36:37]
	s_cbranch_execz .LBB873_292
.LBB873_297:                            ;   Parent Loop BB873_294 Depth=1
                                        ; =>  This Inner Loop Header: Depth=2
	global_load_dword v35, v[8:9], off
	global_load_dword v36, v[10:11], off
	s_andn2_b64 s[46:47], s[2:3], exec
	s_andn2_b64 s[40:41], s[40:41], exec
	s_or_b64 s[38:39], s[38:39], exec
	s_waitcnt vmcnt(0)
	v_cmp_ngt_f32_e64 s[2:3], v35, v36
	v_cmp_lt_f32_e32 vcc, v35, v36
	s_and_b64 s[2:3], s[2:3], s[44:45]
	s_or_b64 s[48:49], vcc, s[2:3]
	s_and_b64 s[2:3], s[48:49], exec
	v_cmp_nlg_f32_e64 s[4:5], v35, v36
	s_or_b64 s[2:3], s[46:47], s[2:3]
	s_and_saveexec_b64 s[46:47], s[4:5]
	s_cbranch_execz .LBB873_296
; %bb.298:                              ;   in Loop: Header=BB873_297 Depth=2
	s_add_u32 s42, s42, -1
	s_addc_u32 s43, s43, -1
	v_add_co_u32_e32 v8, vcc, 4, v8
	s_cmp_eq_u64 s[42:43], 0
	v_addc_co_u32_e32 v9, vcc, 0, v9, vcc
	s_cselect_b64 s[4:5], -1, 0
	v_add_co_u32_e32 v10, vcc, 4, v10
	s_andn2_b64 s[40:41], s[40:41], exec
	s_and_b64 s[44:45], s[48:49], exec
	s_andn2_b64 s[38:39], s[38:39], exec
	s_and_b64 s[4:5], s[4:5], exec
	v_addc_co_u32_e32 v11, vcc, 0, v11, vcc
	s_andn2_b64 s[2:3], s[2:3], exec
	s_or_b64 s[40:41], s[40:41], s[44:45]
	s_or_b64 s[38:39], s[38:39], s[4:5]
                                        ; implicit-def: $sgpr44_sgpr45
	s_branch .LBB873_296
.LBB873_299:
	s_or_b64 exec, exec, s[28:29]
.LBB873_300:
	s_or_b64 exec, exec, s[26:27]
	v_sub_u32_e32 v8, v19, v20
	v_add_u32_e32 v17, v20, v17
	v_add_u32_e32 v19, v8, v15
	v_cmp_le_u32_e32 vcc, v17, v15
	v_cmp_le_u32_e64 s[2:3], v19, v16
	s_or_b64 s[2:3], vcc, s[2:3]
	s_and_saveexec_b64 s[26:27], s[2:3]
	s_cbranch_execz .LBB873_336
; %bb.301:
	v_cmp_ge_u32_e32 vcc, v17, v15
	v_cmp_lt_u32_e64 s[2:3], v17, v15
                                        ; implicit-def: $vgpr0_vgpr1
	s_and_saveexec_b64 s[4:5], s[2:3]
	s_cbranch_execz .LBB873_303
; %bb.302:
	v_lshl_add_u32 v0, v20, 3, v18
	ds_read_b64 v[0:1], v0
.LBB873_303:
	s_or_b64 exec, exec, s[4:5]
	v_cmp_ge_u32_e64 s[2:3], v19, v16
	v_cmp_lt_u32_e64 s[4:5], v19, v16
                                        ; implicit-def: $vgpr4_vgpr5
	s_and_saveexec_b64 s[28:29], s[4:5]
	s_cbranch_execz .LBB873_305
; %bb.304:
	v_lshlrev_b32_e32 v2, 3, v19
	ds_read_b64 v[4:5], v2
.LBB873_305:
	s_or_b64 exec, exec, s[28:29]
	s_or_b64 s[4:5], vcc, s[2:3]
	s_or_b64 s[4:5], s[4:5], s[24:25]
	s_xor_b64 s[28:29], vcc, -1
	s_xor_b64 s[4:5], s[4:5], -1
	s_or_b64 s[28:29], s[2:3], s[28:29]
	s_and_saveexec_b64 s[30:31], s[4:5]
	s_cbranch_execz .LBB873_311
; %bb.306:
	s_waitcnt lgkmcnt(0)
	v_mul_lo_u32 v6, v5, s12
	v_mul_lo_u32 v7, v4, s13
	v_mad_u64_u32 v[2:3], s[2:3], v4, s12, 0
	v_add3_u32 v3, v3, v7, v6
	v_lshlrev_b64 v[2:3], 2, v[2:3]
	v_mov_b32_e32 v6, s15
	v_add_co_u32_e32 v2, vcc, s14, v2
	v_addc_co_u32_e32 v3, vcc, v6, v3, vcc
	v_mul_lo_u32 v8, v1, s12
	v_mul_lo_u32 v9, v0, s13
	v_mad_u64_u32 v[6:7], s[2:3], v0, s12, 0
	v_add3_u32 v7, v7, v9, v8
	v_lshlrev_b64 v[6:7], 2, v[6:7]
	v_mov_b32_e32 v8, s15
	v_add_co_u32_e32 v6, vcc, s14, v6
	v_addc_co_u32_e32 v7, vcc, v8, v7, vcc
	s_mov_b64 s[34:35], 0
	s_mov_b64 s[42:43], s[12:13]
                                        ; implicit-def: $sgpr36_sgpr37
                                        ; implicit-def: $sgpr38_sgpr39
                                        ; implicit-def: $sgpr2_sgpr3
                                        ; implicit-def: $sgpr40_sgpr41
                                        ; implicit-def: $sgpr44_sgpr45
	s_branch .LBB873_308
.LBB873_307:                            ;   in Loop: Header=BB873_308 Depth=1
	s_or_b64 exec, exec, s[46:47]
	s_and_b64 s[4:5], exec, s[38:39]
	s_or_b64 s[34:35], s[4:5], s[34:35]
	s_andn2_b64 s[4:5], s[44:45], exec
	s_and_b64 s[44:45], s[40:41], exec
	s_or_b64 s[44:45], s[4:5], s[44:45]
	s_andn2_b64 s[4:5], s[36:37], exec
	s_and_b64 s[36:37], s[2:3], exec
	s_or_b64 s[36:37], s[4:5], s[36:37]
	s_andn2_b64 exec, exec, s[34:35]
	s_cbranch_execz .LBB873_310
.LBB873_308:                            ; =>This Inner Loop Header: Depth=1
	global_load_dword v8, v[2:3], off
	global_load_dword v9, v[6:7], off
	s_andn2_b64 s[46:47], s[2:3], exec
	s_andn2_b64 s[40:41], s[40:41], exec
	s_or_b64 s[38:39], s[38:39], exec
	s_waitcnt vmcnt(0)
	v_cmp_ngt_f32_e64 s[2:3], v8, v9
	v_cmp_lt_f32_e32 vcc, v8, v9
	s_and_b64 s[2:3], s[2:3], s[44:45]
	s_or_b64 s[48:49], vcc, s[2:3]
	s_and_b64 s[2:3], s[48:49], exec
	v_cmp_nlg_f32_e64 s[4:5], v8, v9
	s_or_b64 s[2:3], s[46:47], s[2:3]
	s_and_saveexec_b64 s[46:47], s[4:5]
	s_cbranch_execz .LBB873_307
; %bb.309:                              ;   in Loop: Header=BB873_308 Depth=1
	s_add_u32 s42, s42, -1
	s_addc_u32 s43, s43, -1
	v_add_co_u32_e32 v2, vcc, 4, v2
	s_cmp_eq_u64 s[42:43], 0
	v_addc_co_u32_e32 v3, vcc, 0, v3, vcc
	s_cselect_b64 s[4:5], -1, 0
	v_add_co_u32_e32 v6, vcc, 4, v6
	s_andn2_b64 s[40:41], s[40:41], exec
	s_and_b64 s[44:45], s[48:49], exec
	s_andn2_b64 s[38:39], s[38:39], exec
	s_and_b64 s[4:5], s[4:5], exec
	v_addc_co_u32_e32 v7, vcc, 0, v7, vcc
	s_or_b64 s[40:41], s[40:41], s[44:45]
	s_andn2_b64 s[2:3], s[2:3], exec
	s_or_b64 s[38:39], s[38:39], s[4:5]
                                        ; implicit-def: $sgpr44_sgpr45
	s_branch .LBB873_307
.LBB873_310:
	s_or_b64 exec, exec, s[34:35]
	s_xor_b64 s[2:3], s[36:37], -1
	s_andn2_b64 s[4:5], s[28:29], exec
	s_and_b64 s[2:3], s[2:3], exec
	s_or_b64 s[28:29], s[4:5], s[2:3]
.LBB873_311:
	s_or_b64 exec, exec, s[30:31]
	v_cndmask_b32_e64 v2, v19, v17, s[28:29]
	v_cndmask_b32_e64 v3, v16, v15, s[28:29]
	v_add_u32_e32 v6, 1, v2
	v_add_u32_e32 v2, -1, v3
	v_min_u32_e32 v2, v6, v2
	v_lshlrev_b32_e32 v2, 3, v2
	ds_read_b64 v[2:3], v2
	v_cndmask_b32_e64 v19, v6, v19, s[28:29]
	v_cndmask_b32_e64 v34, v17, v6, s[28:29]
	v_cmp_lt_u32_e32 vcc, v19, v16
	s_mov_b64 s[30:31], -1
	s_waitcnt lgkmcnt(0)
	v_cndmask_b32_e64 v8, v3, v5, s[28:29]
	v_cndmask_b32_e64 v9, v2, v4, s[28:29]
	;; [unrolled: 1-line block ×4, first 2 shown]
	s_mov_b64 s[34:35], -1
	s_and_saveexec_b64 s[36:37], vcc
	s_cbranch_execz .LBB873_319
; %bb.312:
	v_cmp_lt_u32_e64 s[34:35], v34, v15
	s_xor_b64 s[2:3], s[24:25], -1
	s_and_b64 s[2:3], s[34:35], s[2:3]
	s_and_saveexec_b64 s[38:39], s[2:3]
	s_cbranch_execz .LBB873_318
; %bb.313:
	v_mul_lo_u32 v6, v8, s12
	v_mul_lo_u32 v7, v9, s13
	v_mad_u64_u32 v[2:3], s[2:3], v9, s12, 0
	v_add3_u32 v3, v3, v7, v6
	v_lshlrev_b64 v[2:3], 2, v[2:3]
	v_mov_b32_e32 v6, s15
	v_add_co_u32_e32 v2, vcc, s14, v2
	v_addc_co_u32_e32 v3, vcc, v6, v3, vcc
	v_mul_lo_u32 v17, v10, s12
	v_mul_lo_u32 v18, v11, s13
	v_mad_u64_u32 v[6:7], s[2:3], v11, s12, 0
	v_add3_u32 v7, v7, v18, v17
	v_lshlrev_b64 v[6:7], 2, v[6:7]
	v_mov_b32_e32 v17, s15
	v_add_co_u32_e32 v6, vcc, s14, v6
	v_addc_co_u32_e32 v7, vcc, v17, v7, vcc
	s_mov_b64 s[40:41], 0
	s_mov_b64 s[48:49], s[12:13]
                                        ; implicit-def: $sgpr42_sgpr43
                                        ; implicit-def: $sgpr44_sgpr45
                                        ; implicit-def: $sgpr2_sgpr3
                                        ; implicit-def: $sgpr46_sgpr47
                                        ; implicit-def: $sgpr50_sgpr51
	s_branch .LBB873_315
.LBB873_314:                            ;   in Loop: Header=BB873_315 Depth=1
	s_or_b64 exec, exec, s[52:53]
	s_and_b64 s[4:5], exec, s[44:45]
	s_or_b64 s[40:41], s[4:5], s[40:41]
	s_andn2_b64 s[4:5], s[50:51], exec
	s_and_b64 s[50:51], s[46:47], exec
	s_or_b64 s[50:51], s[4:5], s[50:51]
	s_andn2_b64 s[4:5], s[42:43], exec
	s_and_b64 s[42:43], s[2:3], exec
	s_or_b64 s[42:43], s[4:5], s[42:43]
	s_andn2_b64 exec, exec, s[40:41]
	s_cbranch_execz .LBB873_317
.LBB873_315:                            ; =>This Inner Loop Header: Depth=1
	global_load_dword v17, v[2:3], off
	global_load_dword v18, v[6:7], off
	s_andn2_b64 s[52:53], s[2:3], exec
	s_andn2_b64 s[46:47], s[46:47], exec
	s_or_b64 s[44:45], s[44:45], exec
	s_waitcnt vmcnt(0)
	v_cmp_ngt_f32_e64 s[2:3], v17, v18
	v_cmp_lt_f32_e32 vcc, v17, v18
	s_and_b64 s[2:3], s[2:3], s[50:51]
	s_or_b64 s[54:55], vcc, s[2:3]
	s_and_b64 s[2:3], s[54:55], exec
	v_cmp_nlg_f32_e64 s[4:5], v17, v18
	s_or_b64 s[2:3], s[52:53], s[2:3]
	s_and_saveexec_b64 s[52:53], s[4:5]
	s_cbranch_execz .LBB873_314
; %bb.316:                              ;   in Loop: Header=BB873_315 Depth=1
	s_add_u32 s48, s48, -1
	s_addc_u32 s49, s49, -1
	v_add_co_u32_e32 v2, vcc, 4, v2
	s_cmp_eq_u64 s[48:49], 0
	v_addc_co_u32_e32 v3, vcc, 0, v3, vcc
	s_cselect_b64 s[4:5], -1, 0
	v_add_co_u32_e32 v6, vcc, 4, v6
	s_andn2_b64 s[46:47], s[46:47], exec
	s_and_b64 s[50:51], s[54:55], exec
	s_andn2_b64 s[44:45], s[44:45], exec
	s_and_b64 s[4:5], s[4:5], exec
	v_addc_co_u32_e32 v7, vcc, 0, v7, vcc
	s_or_b64 s[46:47], s[46:47], s[50:51]
	s_andn2_b64 s[2:3], s[2:3], exec
	s_or_b64 s[44:45], s[44:45], s[4:5]
                                        ; implicit-def: $sgpr50_sgpr51
	s_branch .LBB873_314
.LBB873_317:
	s_or_b64 exec, exec, s[40:41]
	s_xor_b64 s[2:3], s[42:43], -1
	s_andn2_b64 s[4:5], s[34:35], exec
	s_and_b64 s[2:3], s[2:3], exec
	s_or_b64 s[34:35], s[4:5], s[2:3]
.LBB873_318:
	s_or_b64 exec, exec, s[38:39]
	s_orn2_b64 s[34:35], s[34:35], exec
.LBB873_319:
	s_or_b64 exec, exec, s[36:37]
	v_cndmask_b32_e64 v2, v19, v34, s[34:35]
	v_cndmask_b32_e64 v3, v16, v15, s[34:35]
	v_add_u32_e32 v6, 1, v2
	v_add_u32_e32 v2, -1, v3
	v_min_u32_e32 v2, v6, v2
	v_lshlrev_b32_e32 v2, 3, v2
	ds_read_b64 v[2:3], v2
	v_cndmask_b32_e64 v20, v6, v19, s[34:35]
	v_cndmask_b32_e64 v19, v34, v6, s[34:35]
	v_cmp_lt_u32_e32 vcc, v20, v16
	s_waitcnt lgkmcnt(0)
	v_cndmask_b32_e64 v17, v3, v8, s[34:35]
	v_cndmask_b32_e64 v18, v2, v9, s[34:35]
	;; [unrolled: 1-line block ×4, first 2 shown]
	s_and_saveexec_b64 s[36:37], vcc
	s_cbranch_execz .LBB873_327
; %bb.320:
	v_cmp_lt_u32_e64 s[30:31], v19, v15
	s_xor_b64 s[2:3], s[24:25], -1
	s_and_b64 s[2:3], s[30:31], s[2:3]
	s_and_saveexec_b64 s[38:39], s[2:3]
	s_cbranch_execz .LBB873_326
; %bb.321:
	v_mul_lo_u32 v6, v17, s12
	v_mul_lo_u32 v7, v18, s13
	v_mad_u64_u32 v[2:3], s[2:3], v18, s12, 0
	v_add3_u32 v3, v3, v7, v6
	v_lshlrev_b64 v[2:3], 2, v[2:3]
	v_mov_b32_e32 v6, s15
	v_add_co_u32_e32 v2, vcc, s14, v2
	v_addc_co_u32_e32 v3, vcc, v6, v3, vcc
	v_mul_lo_u32 v34, v21, s12
	v_mul_lo_u32 v35, v33, s13
	v_mad_u64_u32 v[6:7], s[2:3], v33, s12, 0
	v_add3_u32 v7, v7, v35, v34
	v_lshlrev_b64 v[6:7], 2, v[6:7]
	v_mov_b32_e32 v34, s15
	v_add_co_u32_e32 v6, vcc, s14, v6
	v_addc_co_u32_e32 v7, vcc, v34, v7, vcc
	s_mov_b64 s[40:41], 0
	s_mov_b64 s[48:49], s[12:13]
                                        ; implicit-def: $sgpr42_sgpr43
                                        ; implicit-def: $sgpr44_sgpr45
                                        ; implicit-def: $sgpr2_sgpr3
                                        ; implicit-def: $sgpr46_sgpr47
                                        ; implicit-def: $sgpr50_sgpr51
	s_branch .LBB873_323
.LBB873_322:                            ;   in Loop: Header=BB873_323 Depth=1
	s_or_b64 exec, exec, s[52:53]
	s_and_b64 s[4:5], exec, s[44:45]
	s_or_b64 s[40:41], s[4:5], s[40:41]
	s_andn2_b64 s[4:5], s[50:51], exec
	s_and_b64 s[50:51], s[46:47], exec
	s_or_b64 s[50:51], s[4:5], s[50:51]
	s_andn2_b64 s[4:5], s[42:43], exec
	s_and_b64 s[42:43], s[2:3], exec
	s_or_b64 s[42:43], s[4:5], s[42:43]
	s_andn2_b64 exec, exec, s[40:41]
	s_cbranch_execz .LBB873_325
.LBB873_323:                            ; =>This Inner Loop Header: Depth=1
	global_load_dword v34, v[2:3], off
	global_load_dword v35, v[6:7], off
	s_andn2_b64 s[52:53], s[2:3], exec
	s_andn2_b64 s[46:47], s[46:47], exec
	s_or_b64 s[44:45], s[44:45], exec
	s_waitcnt vmcnt(0)
	v_cmp_ngt_f32_e64 s[2:3], v34, v35
	v_cmp_lt_f32_e32 vcc, v34, v35
	s_and_b64 s[2:3], s[2:3], s[50:51]
	s_or_b64 s[54:55], vcc, s[2:3]
	s_and_b64 s[2:3], s[54:55], exec
	v_cmp_nlg_f32_e64 s[4:5], v34, v35
	s_or_b64 s[2:3], s[52:53], s[2:3]
	s_and_saveexec_b64 s[52:53], s[4:5]
	s_cbranch_execz .LBB873_322
; %bb.324:                              ;   in Loop: Header=BB873_323 Depth=1
	s_add_u32 s48, s48, -1
	s_addc_u32 s49, s49, -1
	v_add_co_u32_e32 v2, vcc, 4, v2
	s_cmp_eq_u64 s[48:49], 0
	v_addc_co_u32_e32 v3, vcc, 0, v3, vcc
	s_cselect_b64 s[4:5], -1, 0
	v_add_co_u32_e32 v6, vcc, 4, v6
	s_andn2_b64 s[46:47], s[46:47], exec
	s_and_b64 s[50:51], s[54:55], exec
	s_andn2_b64 s[44:45], s[44:45], exec
	s_and_b64 s[4:5], s[4:5], exec
	v_addc_co_u32_e32 v7, vcc, 0, v7, vcc
	s_or_b64 s[46:47], s[46:47], s[50:51]
	s_andn2_b64 s[2:3], s[2:3], exec
	s_or_b64 s[44:45], s[44:45], s[4:5]
                                        ; implicit-def: $sgpr50_sgpr51
	s_branch .LBB873_322
.LBB873_325:
	s_or_b64 exec, exec, s[40:41]
	s_xor_b64 s[2:3], s[42:43], -1
	s_andn2_b64 s[4:5], s[30:31], exec
	s_and_b64 s[2:3], s[2:3], exec
	s_or_b64 s[30:31], s[4:5], s[2:3]
.LBB873_326:
	s_or_b64 exec, exec, s[38:39]
	s_orn2_b64 s[30:31], s[30:31], exec
.LBB873_327:
	s_or_b64 exec, exec, s[36:37]
	v_cndmask_b32_e64 v6, v20, v19, s[30:31]
	v_cndmask_b32_e64 v7, v16, v15, s[30:31]
	;; [unrolled: 1-line block ×3, first 2 shown]
	v_add_u32_e32 v10, 1, v6
	v_add_u32_e32 v6, -1, v7
	v_min_u32_e32 v6, v10, v6
	v_lshlrev_b32_e32 v6, 3, v6
	v_cndmask_b32_e64 v2, v9, v11, s[34:35]
	ds_read_b64 v[8:9], v6
	v_cndmask_b32_e64 v11, v10, v20, s[30:31]
	v_cndmask_b32_e64 v1, v5, v1, s[28:29]
	;; [unrolled: 1-line block ×5, first 2 shown]
	s_waitcnt lgkmcnt(0)
	v_cndmask_b32_e64 v7, v21, v9, s[30:31]
	v_cndmask_b32_e64 v6, v33, v8, s[30:31]
	v_cmp_lt_u32_e32 vcc, v11, v16
	s_and_saveexec_b64 s[28:29], vcc
	s_cbranch_execz .LBB873_335
; %bb.328:
	v_cndmask_b32_e64 v16, v9, v17, s[30:31]
	v_cndmask_b32_e64 v17, v8, v18, s[30:31]
	;; [unrolled: 1-line block ×3, first 2 shown]
	v_cmp_ge_u32_e32 vcc, v8, v15
	s_or_b64 s[2:3], vcc, s[24:25]
	v_cndmask_b32_e32 v9, v7, v16, vcc
	s_xor_b64 s[2:3], s[2:3], -1
	v_cndmask_b32_e32 v8, v6, v17, vcc
	s_and_saveexec_b64 s[30:31], s[2:3]
	s_cbranch_execz .LBB873_334
; %bb.329:
	v_mul_lo_u32 v10, v16, s12
	v_mul_lo_u32 v11, v17, s13
	v_mad_u64_u32 v[8:9], s[2:3], v17, s12, 0
	v_add3_u32 v9, v9, v11, v10
	v_lshlrev_b64 v[8:9], 2, v[8:9]
	v_mov_b32_e32 v10, s15
	v_add_co_u32_e32 v8, vcc, s14, v8
	v_addc_co_u32_e32 v9, vcc, v10, v9, vcc
	v_mul_lo_u32 v15, v7, s12
	v_mul_lo_u32 v18, v6, s13
	v_mad_u64_u32 v[10:11], s[2:3], v6, s12, 0
	v_add3_u32 v11, v11, v18, v15
	v_lshlrev_b64 v[10:11], 2, v[10:11]
	v_mov_b32_e32 v15, s15
	v_add_co_u32_e32 v10, vcc, s14, v10
	v_addc_co_u32_e32 v11, vcc, v15, v11, vcc
	s_mov_b64 s[34:35], 0
	s_mov_b64 s[42:43], s[12:13]
                                        ; implicit-def: $sgpr36_sgpr37
                                        ; implicit-def: $sgpr38_sgpr39
                                        ; implicit-def: $sgpr2_sgpr3
                                        ; implicit-def: $sgpr40_sgpr41
                                        ; implicit-def: $sgpr44_sgpr45
	s_branch .LBB873_331
.LBB873_330:                            ;   in Loop: Header=BB873_331 Depth=1
	s_or_b64 exec, exec, s[46:47]
	s_and_b64 s[4:5], exec, s[38:39]
	s_or_b64 s[34:35], s[4:5], s[34:35]
	s_andn2_b64 s[4:5], s[44:45], exec
	s_and_b64 s[44:45], s[40:41], exec
	s_or_b64 s[44:45], s[4:5], s[44:45]
	s_andn2_b64 s[4:5], s[36:37], exec
	s_and_b64 s[36:37], s[2:3], exec
	s_or_b64 s[36:37], s[4:5], s[36:37]
	s_andn2_b64 exec, exec, s[34:35]
	s_cbranch_execz .LBB873_333
.LBB873_331:                            ; =>This Inner Loop Header: Depth=1
	global_load_dword v15, v[8:9], off
	global_load_dword v18, v[10:11], off
	s_andn2_b64 s[46:47], s[2:3], exec
	s_andn2_b64 s[40:41], s[40:41], exec
	s_or_b64 s[38:39], s[38:39], exec
	s_waitcnt vmcnt(0)
	v_cmp_ngt_f32_e64 s[2:3], v15, v18
	v_cmp_lt_f32_e32 vcc, v15, v18
	s_and_b64 s[2:3], s[2:3], s[44:45]
	s_or_b64 s[48:49], vcc, s[2:3]
	s_and_b64 s[2:3], s[48:49], exec
	v_cmp_nlg_f32_e64 s[4:5], v15, v18
	s_or_b64 s[2:3], s[46:47], s[2:3]
	s_and_saveexec_b64 s[46:47], s[4:5]
	s_cbranch_execz .LBB873_330
; %bb.332:                              ;   in Loop: Header=BB873_331 Depth=1
	s_add_u32 s42, s42, -1
	s_addc_u32 s43, s43, -1
	v_add_co_u32_e32 v8, vcc, 4, v8
	s_cmp_eq_u64 s[42:43], 0
	v_addc_co_u32_e32 v9, vcc, 0, v9, vcc
	s_cselect_b64 s[4:5], -1, 0
	v_add_co_u32_e32 v10, vcc, 4, v10
	s_andn2_b64 s[40:41], s[40:41], exec
	s_and_b64 s[44:45], s[48:49], exec
	s_andn2_b64 s[38:39], s[38:39], exec
	s_and_b64 s[4:5], s[4:5], exec
	v_addc_co_u32_e32 v11, vcc, 0, v11, vcc
	s_or_b64 s[40:41], s[40:41], s[44:45]
	s_andn2_b64 s[2:3], s[2:3], exec
	s_or_b64 s[38:39], s[38:39], s[4:5]
                                        ; implicit-def: $sgpr44_sgpr45
	s_branch .LBB873_330
.LBB873_333:
	s_or_b64 exec, exec, s[34:35]
	v_cndmask_b32_e64 v9, v7, v16, s[36:37]
	v_cndmask_b32_e64 v8, v6, v17, s[36:37]
.LBB873_334:
	s_or_b64 exec, exec, s[30:31]
	v_pk_mov_b32 v[6:7], v[8:9], v[8:9] op_sel:[0,1]
.LBB873_335:
	s_or_b64 exec, exec, s[28:29]
.LBB873_336:
	s_or_b64 exec, exec, s[26:27]
	v_and_b32_e32 v17, 0xe00, v23
	v_or_b32_e32 v8, 0x100, v17
	v_min_u32_e32 v15, 0x400, v8
	v_min_u32_e32 v8, 0x300, v8
	v_add_u32_e32 v16, 0x100, v8
	v_and_b32_e32 v19, 0x1fc, v23
	v_sub_u32_e32 v8, v15, v17
	v_sub_u32_e32 v9, v16, v15
	v_sub_u32_e64 v20, v19, v9 clamp
	v_min_u32_e32 v21, v19, v8
	v_lshlrev_b32_e32 v18, 3, v17
	v_cmp_lt_u32_e32 vcc, v20, v21
	s_barrier
	ds_write_b128 v14, v[0:3]
	ds_write_b128 v14, v[4:7] offset:16
	s_waitcnt lgkmcnt(0)
	s_barrier
	s_and_saveexec_b64 s[26:27], vcc
	s_cbranch_execz .LBB873_346
; %bb.337:
	v_lshlrev_b32_e32 v8, 3, v19
	v_lshl_add_u32 v33, v15, 3, v8
	s_lshl_b64 s[30:31], s[12:13], 2
	s_mov_b64 s[28:29], 0
	s_branch .LBB873_340
.LBB873_338:                            ;   in Loop: Header=BB873_340 Depth=1
	s_or_b64 exec, exec, s[36:37]
.LBB873_339:                            ;   in Loop: Header=BB873_340 Depth=1
	v_add_u32_e32 v8, 1, v34
	v_cndmask_b32_e64 v21, v21, v34, s[34:35]
	v_cndmask_b32_e64 v20, v8, v20, s[34:35]
	v_cmp_ge_u32_e32 vcc, v20, v21
	s_or_b64 s[28:29], vcc, s[28:29]
	s_andn2_b64 exec, exec, s[28:29]
	s_cbranch_execz .LBB873_345
.LBB873_340:                            ; =>This Loop Header: Depth=1
                                        ;     Child Loop BB873_343 Depth 2
	v_add_u32_e32 v8, v21, v20
	v_lshrrev_b32_e32 v34, 1, v8
	s_and_b64 vcc, exec, s[0:1]
	s_mov_b64 s[34:35], 0
	s_cbranch_vccnz .LBB873_339
; %bb.341:                              ;   in Loop: Header=BB873_340 Depth=1
	v_not_b32_e32 v8, v34
	v_lshl_add_u32 v8, v8, 3, v33
	ds_read_b64 v[8:9], v8
	v_lshl_add_u32 v35, v34, 3, v18
	ds_read_b64 v[36:37], v35
	v_pk_mov_b32 v[10:11], s[14:15], s[14:15] op_sel:[0,1]
	s_mov_b64 s[36:37], 0
	s_waitcnt lgkmcnt(1)
	v_mul_lo_u32 v35, s30, v9
	v_mul_lo_u32 v38, s31, v8
	v_mad_u64_u32 v[8:9], s[2:3], s30, v8, v[10:11]
	v_add3_u32 v9, v38, v9, v35
	s_waitcnt lgkmcnt(0)
	v_mul_lo_u32 v35, s30, v37
	v_mul_lo_u32 v37, s31, v36
	v_mad_u64_u32 v[10:11], s[2:3], s30, v36, v[10:11]
	v_add3_u32 v11, v37, v11, v35
	s_mov_b64 s[42:43], s[12:13]
                                        ; implicit-def: $sgpr34_sgpr35
                                        ; implicit-def: $sgpr38_sgpr39
                                        ; implicit-def: $sgpr40_sgpr41
                                        ; implicit-def: $sgpr2_sgpr3
                                        ; implicit-def: $sgpr44_sgpr45
	s_branch .LBB873_343
.LBB873_342:                            ;   in Loop: Header=BB873_343 Depth=2
	s_or_b64 exec, exec, s[46:47]
	s_and_b64 s[4:5], exec, s[38:39]
	s_or_b64 s[36:37], s[4:5], s[36:37]
	s_andn2_b64 s[4:5], s[44:45], exec
	s_and_b64 s[44:45], s[40:41], exec
	s_or_b64 s[44:45], s[4:5], s[44:45]
	s_andn2_b64 s[4:5], s[34:35], exec
	s_and_b64 s[34:35], s[2:3], exec
	s_or_b64 s[34:35], s[4:5], s[34:35]
	s_andn2_b64 exec, exec, s[36:37]
	s_cbranch_execz .LBB873_338
.LBB873_343:                            ;   Parent Loop BB873_340 Depth=1
                                        ; =>  This Inner Loop Header: Depth=2
	global_load_dword v35, v[8:9], off
	global_load_dword v36, v[10:11], off
	s_andn2_b64 s[46:47], s[2:3], exec
	s_andn2_b64 s[40:41], s[40:41], exec
	s_or_b64 s[38:39], s[38:39], exec
	s_waitcnt vmcnt(0)
	v_cmp_ngt_f32_e64 s[2:3], v35, v36
	v_cmp_lt_f32_e32 vcc, v35, v36
	s_and_b64 s[2:3], s[2:3], s[44:45]
	s_or_b64 s[48:49], vcc, s[2:3]
	s_and_b64 s[2:3], s[48:49], exec
	v_cmp_nlg_f32_e64 s[4:5], v35, v36
	s_or_b64 s[2:3], s[46:47], s[2:3]
	s_and_saveexec_b64 s[46:47], s[4:5]
	s_cbranch_execz .LBB873_342
; %bb.344:                              ;   in Loop: Header=BB873_343 Depth=2
	s_add_u32 s42, s42, -1
	s_addc_u32 s43, s43, -1
	v_add_co_u32_e32 v8, vcc, 4, v8
	s_cmp_eq_u64 s[42:43], 0
	v_addc_co_u32_e32 v9, vcc, 0, v9, vcc
	s_cselect_b64 s[4:5], -1, 0
	v_add_co_u32_e32 v10, vcc, 4, v10
	s_andn2_b64 s[40:41], s[40:41], exec
	s_and_b64 s[44:45], s[48:49], exec
	s_andn2_b64 s[38:39], s[38:39], exec
	s_and_b64 s[4:5], s[4:5], exec
	v_addc_co_u32_e32 v11, vcc, 0, v11, vcc
	s_andn2_b64 s[2:3], s[2:3], exec
	s_or_b64 s[40:41], s[40:41], s[44:45]
	s_or_b64 s[38:39], s[38:39], s[4:5]
                                        ; implicit-def: $sgpr44_sgpr45
	s_branch .LBB873_342
.LBB873_345:
	s_or_b64 exec, exec, s[28:29]
.LBB873_346:
	s_or_b64 exec, exec, s[26:27]
	v_sub_u32_e32 v8, v19, v20
	v_add_u32_e32 v17, v20, v17
	v_add_u32_e32 v19, v8, v15
	v_cmp_le_u32_e32 vcc, v17, v15
	v_cmp_le_u32_e64 s[2:3], v19, v16
	s_or_b64 s[2:3], vcc, s[2:3]
	s_and_saveexec_b64 s[26:27], s[2:3]
	s_cbranch_execz .LBB873_382
; %bb.347:
	v_cmp_ge_u32_e32 vcc, v17, v15
	v_cmp_lt_u32_e64 s[2:3], v17, v15
                                        ; implicit-def: $vgpr0_vgpr1
	s_and_saveexec_b64 s[4:5], s[2:3]
	s_cbranch_execz .LBB873_349
; %bb.348:
	v_lshl_add_u32 v0, v20, 3, v18
	ds_read_b64 v[0:1], v0
.LBB873_349:
	s_or_b64 exec, exec, s[4:5]
	v_cmp_ge_u32_e64 s[2:3], v19, v16
	v_cmp_lt_u32_e64 s[4:5], v19, v16
                                        ; implicit-def: $vgpr4_vgpr5
	s_and_saveexec_b64 s[28:29], s[4:5]
	s_cbranch_execz .LBB873_351
; %bb.350:
	v_lshlrev_b32_e32 v2, 3, v19
	ds_read_b64 v[4:5], v2
.LBB873_351:
	s_or_b64 exec, exec, s[28:29]
	s_or_b64 s[4:5], vcc, s[2:3]
	s_or_b64 s[4:5], s[4:5], s[24:25]
	s_xor_b64 s[28:29], vcc, -1
	s_xor_b64 s[4:5], s[4:5], -1
	s_or_b64 s[28:29], s[2:3], s[28:29]
	s_and_saveexec_b64 s[30:31], s[4:5]
	s_cbranch_execz .LBB873_357
; %bb.352:
	s_waitcnt lgkmcnt(0)
	v_mul_lo_u32 v6, v5, s12
	v_mul_lo_u32 v7, v4, s13
	v_mad_u64_u32 v[2:3], s[2:3], v4, s12, 0
	v_add3_u32 v3, v3, v7, v6
	v_lshlrev_b64 v[2:3], 2, v[2:3]
	v_mov_b32_e32 v6, s15
	v_add_co_u32_e32 v2, vcc, s14, v2
	v_addc_co_u32_e32 v3, vcc, v6, v3, vcc
	v_mul_lo_u32 v8, v1, s12
	v_mul_lo_u32 v9, v0, s13
	v_mad_u64_u32 v[6:7], s[2:3], v0, s12, 0
	v_add3_u32 v7, v7, v9, v8
	v_lshlrev_b64 v[6:7], 2, v[6:7]
	v_mov_b32_e32 v8, s15
	v_add_co_u32_e32 v6, vcc, s14, v6
	v_addc_co_u32_e32 v7, vcc, v8, v7, vcc
	s_mov_b64 s[34:35], 0
	s_mov_b64 s[42:43], s[12:13]
                                        ; implicit-def: $sgpr36_sgpr37
                                        ; implicit-def: $sgpr38_sgpr39
                                        ; implicit-def: $sgpr2_sgpr3
                                        ; implicit-def: $sgpr40_sgpr41
                                        ; implicit-def: $sgpr44_sgpr45
	s_branch .LBB873_354
.LBB873_353:                            ;   in Loop: Header=BB873_354 Depth=1
	s_or_b64 exec, exec, s[46:47]
	s_and_b64 s[4:5], exec, s[38:39]
	s_or_b64 s[34:35], s[4:5], s[34:35]
	s_andn2_b64 s[4:5], s[44:45], exec
	s_and_b64 s[44:45], s[40:41], exec
	s_or_b64 s[44:45], s[4:5], s[44:45]
	s_andn2_b64 s[4:5], s[36:37], exec
	s_and_b64 s[36:37], s[2:3], exec
	s_or_b64 s[36:37], s[4:5], s[36:37]
	s_andn2_b64 exec, exec, s[34:35]
	s_cbranch_execz .LBB873_356
.LBB873_354:                            ; =>This Inner Loop Header: Depth=1
	global_load_dword v8, v[2:3], off
	global_load_dword v9, v[6:7], off
	s_andn2_b64 s[46:47], s[2:3], exec
	s_andn2_b64 s[40:41], s[40:41], exec
	s_or_b64 s[38:39], s[38:39], exec
	s_waitcnt vmcnt(0)
	v_cmp_ngt_f32_e64 s[2:3], v8, v9
	v_cmp_lt_f32_e32 vcc, v8, v9
	s_and_b64 s[2:3], s[2:3], s[44:45]
	s_or_b64 s[48:49], vcc, s[2:3]
	s_and_b64 s[2:3], s[48:49], exec
	v_cmp_nlg_f32_e64 s[4:5], v8, v9
	s_or_b64 s[2:3], s[46:47], s[2:3]
	s_and_saveexec_b64 s[46:47], s[4:5]
	s_cbranch_execz .LBB873_353
; %bb.355:                              ;   in Loop: Header=BB873_354 Depth=1
	s_add_u32 s42, s42, -1
	s_addc_u32 s43, s43, -1
	v_add_co_u32_e32 v2, vcc, 4, v2
	s_cmp_eq_u64 s[42:43], 0
	v_addc_co_u32_e32 v3, vcc, 0, v3, vcc
	s_cselect_b64 s[4:5], -1, 0
	v_add_co_u32_e32 v6, vcc, 4, v6
	s_andn2_b64 s[40:41], s[40:41], exec
	s_and_b64 s[44:45], s[48:49], exec
	s_andn2_b64 s[38:39], s[38:39], exec
	s_and_b64 s[4:5], s[4:5], exec
	v_addc_co_u32_e32 v7, vcc, 0, v7, vcc
	s_or_b64 s[40:41], s[40:41], s[44:45]
	s_andn2_b64 s[2:3], s[2:3], exec
	s_or_b64 s[38:39], s[38:39], s[4:5]
                                        ; implicit-def: $sgpr44_sgpr45
	s_branch .LBB873_353
.LBB873_356:
	s_or_b64 exec, exec, s[34:35]
	s_xor_b64 s[2:3], s[36:37], -1
	s_andn2_b64 s[4:5], s[28:29], exec
	s_and_b64 s[2:3], s[2:3], exec
	s_or_b64 s[28:29], s[4:5], s[2:3]
.LBB873_357:
	s_or_b64 exec, exec, s[30:31]
	v_cndmask_b32_e64 v2, v19, v17, s[28:29]
	v_cndmask_b32_e64 v3, v16, v15, s[28:29]
	v_add_u32_e32 v6, 1, v2
	v_add_u32_e32 v2, -1, v3
	v_min_u32_e32 v2, v6, v2
	v_lshlrev_b32_e32 v2, 3, v2
	ds_read_b64 v[2:3], v2
	v_cndmask_b32_e64 v19, v6, v19, s[28:29]
	v_cndmask_b32_e64 v34, v17, v6, s[28:29]
	v_cmp_lt_u32_e32 vcc, v19, v16
	s_mov_b64 s[30:31], -1
	s_waitcnt lgkmcnt(0)
	v_cndmask_b32_e64 v8, v3, v5, s[28:29]
	v_cndmask_b32_e64 v9, v2, v4, s[28:29]
	;; [unrolled: 1-line block ×4, first 2 shown]
	s_mov_b64 s[34:35], -1
	s_and_saveexec_b64 s[36:37], vcc
	s_cbranch_execz .LBB873_365
; %bb.358:
	v_cmp_lt_u32_e64 s[34:35], v34, v15
	s_xor_b64 s[2:3], s[24:25], -1
	s_and_b64 s[2:3], s[34:35], s[2:3]
	s_and_saveexec_b64 s[38:39], s[2:3]
	s_cbranch_execz .LBB873_364
; %bb.359:
	v_mul_lo_u32 v6, v8, s12
	v_mul_lo_u32 v7, v9, s13
	v_mad_u64_u32 v[2:3], s[2:3], v9, s12, 0
	v_add3_u32 v3, v3, v7, v6
	v_lshlrev_b64 v[2:3], 2, v[2:3]
	v_mov_b32_e32 v6, s15
	v_add_co_u32_e32 v2, vcc, s14, v2
	v_addc_co_u32_e32 v3, vcc, v6, v3, vcc
	v_mul_lo_u32 v17, v10, s12
	v_mul_lo_u32 v18, v11, s13
	v_mad_u64_u32 v[6:7], s[2:3], v11, s12, 0
	v_add3_u32 v7, v7, v18, v17
	v_lshlrev_b64 v[6:7], 2, v[6:7]
	v_mov_b32_e32 v17, s15
	v_add_co_u32_e32 v6, vcc, s14, v6
	v_addc_co_u32_e32 v7, vcc, v17, v7, vcc
	s_mov_b64 s[40:41], 0
	s_mov_b64 s[48:49], s[12:13]
                                        ; implicit-def: $sgpr42_sgpr43
                                        ; implicit-def: $sgpr44_sgpr45
                                        ; implicit-def: $sgpr2_sgpr3
                                        ; implicit-def: $sgpr46_sgpr47
                                        ; implicit-def: $sgpr50_sgpr51
	s_branch .LBB873_361
.LBB873_360:                            ;   in Loop: Header=BB873_361 Depth=1
	s_or_b64 exec, exec, s[52:53]
	s_and_b64 s[4:5], exec, s[44:45]
	s_or_b64 s[40:41], s[4:5], s[40:41]
	s_andn2_b64 s[4:5], s[50:51], exec
	s_and_b64 s[50:51], s[46:47], exec
	s_or_b64 s[50:51], s[4:5], s[50:51]
	s_andn2_b64 s[4:5], s[42:43], exec
	s_and_b64 s[42:43], s[2:3], exec
	s_or_b64 s[42:43], s[4:5], s[42:43]
	s_andn2_b64 exec, exec, s[40:41]
	s_cbranch_execz .LBB873_363
.LBB873_361:                            ; =>This Inner Loop Header: Depth=1
	global_load_dword v17, v[2:3], off
	global_load_dword v18, v[6:7], off
	s_andn2_b64 s[52:53], s[2:3], exec
	s_andn2_b64 s[46:47], s[46:47], exec
	s_or_b64 s[44:45], s[44:45], exec
	s_waitcnt vmcnt(0)
	v_cmp_ngt_f32_e64 s[2:3], v17, v18
	v_cmp_lt_f32_e32 vcc, v17, v18
	s_and_b64 s[2:3], s[2:3], s[50:51]
	s_or_b64 s[54:55], vcc, s[2:3]
	s_and_b64 s[2:3], s[54:55], exec
	v_cmp_nlg_f32_e64 s[4:5], v17, v18
	s_or_b64 s[2:3], s[52:53], s[2:3]
	s_and_saveexec_b64 s[52:53], s[4:5]
	s_cbranch_execz .LBB873_360
; %bb.362:                              ;   in Loop: Header=BB873_361 Depth=1
	s_add_u32 s48, s48, -1
	s_addc_u32 s49, s49, -1
	v_add_co_u32_e32 v2, vcc, 4, v2
	s_cmp_eq_u64 s[48:49], 0
	v_addc_co_u32_e32 v3, vcc, 0, v3, vcc
	s_cselect_b64 s[4:5], -1, 0
	v_add_co_u32_e32 v6, vcc, 4, v6
	s_andn2_b64 s[46:47], s[46:47], exec
	s_and_b64 s[50:51], s[54:55], exec
	s_andn2_b64 s[44:45], s[44:45], exec
	s_and_b64 s[4:5], s[4:5], exec
	v_addc_co_u32_e32 v7, vcc, 0, v7, vcc
	s_or_b64 s[46:47], s[46:47], s[50:51]
	s_andn2_b64 s[2:3], s[2:3], exec
	s_or_b64 s[44:45], s[44:45], s[4:5]
                                        ; implicit-def: $sgpr50_sgpr51
	s_branch .LBB873_360
.LBB873_363:
	s_or_b64 exec, exec, s[40:41]
	s_xor_b64 s[2:3], s[42:43], -1
	s_andn2_b64 s[4:5], s[34:35], exec
	s_and_b64 s[2:3], s[2:3], exec
	s_or_b64 s[34:35], s[4:5], s[2:3]
.LBB873_364:
	s_or_b64 exec, exec, s[38:39]
	s_orn2_b64 s[34:35], s[34:35], exec
.LBB873_365:
	s_or_b64 exec, exec, s[36:37]
	v_cndmask_b32_e64 v2, v19, v34, s[34:35]
	v_cndmask_b32_e64 v3, v16, v15, s[34:35]
	v_add_u32_e32 v6, 1, v2
	v_add_u32_e32 v2, -1, v3
	v_min_u32_e32 v2, v6, v2
	v_lshlrev_b32_e32 v2, 3, v2
	ds_read_b64 v[2:3], v2
	v_cndmask_b32_e64 v20, v6, v19, s[34:35]
	v_cndmask_b32_e64 v19, v34, v6, s[34:35]
	v_cmp_lt_u32_e32 vcc, v20, v16
	s_waitcnt lgkmcnt(0)
	v_cndmask_b32_e64 v17, v3, v8, s[34:35]
	v_cndmask_b32_e64 v18, v2, v9, s[34:35]
	;; [unrolled: 1-line block ×4, first 2 shown]
	s_and_saveexec_b64 s[36:37], vcc
	s_cbranch_execz .LBB873_373
; %bb.366:
	v_cmp_lt_u32_e64 s[30:31], v19, v15
	s_xor_b64 s[2:3], s[24:25], -1
	s_and_b64 s[2:3], s[30:31], s[2:3]
	s_and_saveexec_b64 s[38:39], s[2:3]
	s_cbranch_execz .LBB873_372
; %bb.367:
	v_mul_lo_u32 v6, v17, s12
	v_mul_lo_u32 v7, v18, s13
	v_mad_u64_u32 v[2:3], s[2:3], v18, s12, 0
	v_add3_u32 v3, v3, v7, v6
	v_lshlrev_b64 v[2:3], 2, v[2:3]
	v_mov_b32_e32 v6, s15
	v_add_co_u32_e32 v2, vcc, s14, v2
	v_addc_co_u32_e32 v3, vcc, v6, v3, vcc
	v_mul_lo_u32 v34, v21, s12
	v_mul_lo_u32 v35, v33, s13
	v_mad_u64_u32 v[6:7], s[2:3], v33, s12, 0
	v_add3_u32 v7, v7, v35, v34
	v_lshlrev_b64 v[6:7], 2, v[6:7]
	v_mov_b32_e32 v34, s15
	v_add_co_u32_e32 v6, vcc, s14, v6
	v_addc_co_u32_e32 v7, vcc, v34, v7, vcc
	s_mov_b64 s[40:41], 0
	s_mov_b64 s[48:49], s[12:13]
                                        ; implicit-def: $sgpr42_sgpr43
                                        ; implicit-def: $sgpr44_sgpr45
                                        ; implicit-def: $sgpr2_sgpr3
                                        ; implicit-def: $sgpr46_sgpr47
                                        ; implicit-def: $sgpr50_sgpr51
	s_branch .LBB873_369
.LBB873_368:                            ;   in Loop: Header=BB873_369 Depth=1
	s_or_b64 exec, exec, s[52:53]
	s_and_b64 s[4:5], exec, s[44:45]
	s_or_b64 s[40:41], s[4:5], s[40:41]
	s_andn2_b64 s[4:5], s[50:51], exec
	s_and_b64 s[50:51], s[46:47], exec
	s_or_b64 s[50:51], s[4:5], s[50:51]
	s_andn2_b64 s[4:5], s[42:43], exec
	s_and_b64 s[42:43], s[2:3], exec
	s_or_b64 s[42:43], s[4:5], s[42:43]
	s_andn2_b64 exec, exec, s[40:41]
	s_cbranch_execz .LBB873_371
.LBB873_369:                            ; =>This Inner Loop Header: Depth=1
	global_load_dword v34, v[2:3], off
	global_load_dword v35, v[6:7], off
	s_andn2_b64 s[52:53], s[2:3], exec
	s_andn2_b64 s[46:47], s[46:47], exec
	s_or_b64 s[44:45], s[44:45], exec
	s_waitcnt vmcnt(0)
	v_cmp_ngt_f32_e64 s[2:3], v34, v35
	v_cmp_lt_f32_e32 vcc, v34, v35
	s_and_b64 s[2:3], s[2:3], s[50:51]
	s_or_b64 s[54:55], vcc, s[2:3]
	s_and_b64 s[2:3], s[54:55], exec
	v_cmp_nlg_f32_e64 s[4:5], v34, v35
	s_or_b64 s[2:3], s[52:53], s[2:3]
	s_and_saveexec_b64 s[52:53], s[4:5]
	s_cbranch_execz .LBB873_368
; %bb.370:                              ;   in Loop: Header=BB873_369 Depth=1
	s_add_u32 s48, s48, -1
	s_addc_u32 s49, s49, -1
	v_add_co_u32_e32 v2, vcc, 4, v2
	s_cmp_eq_u64 s[48:49], 0
	v_addc_co_u32_e32 v3, vcc, 0, v3, vcc
	s_cselect_b64 s[4:5], -1, 0
	v_add_co_u32_e32 v6, vcc, 4, v6
	s_andn2_b64 s[46:47], s[46:47], exec
	s_and_b64 s[50:51], s[54:55], exec
	s_andn2_b64 s[44:45], s[44:45], exec
	s_and_b64 s[4:5], s[4:5], exec
	v_addc_co_u32_e32 v7, vcc, 0, v7, vcc
	s_or_b64 s[46:47], s[46:47], s[50:51]
	s_andn2_b64 s[2:3], s[2:3], exec
	s_or_b64 s[44:45], s[44:45], s[4:5]
                                        ; implicit-def: $sgpr50_sgpr51
	s_branch .LBB873_368
.LBB873_371:
	s_or_b64 exec, exec, s[40:41]
	s_xor_b64 s[2:3], s[42:43], -1
	s_andn2_b64 s[4:5], s[30:31], exec
	s_and_b64 s[2:3], s[2:3], exec
	s_or_b64 s[30:31], s[4:5], s[2:3]
.LBB873_372:
	s_or_b64 exec, exec, s[38:39]
	s_orn2_b64 s[30:31], s[30:31], exec
.LBB873_373:
	s_or_b64 exec, exec, s[36:37]
	v_cndmask_b32_e64 v6, v20, v19, s[30:31]
	v_cndmask_b32_e64 v7, v16, v15, s[30:31]
	;; [unrolled: 1-line block ×3, first 2 shown]
	v_add_u32_e32 v10, 1, v6
	v_add_u32_e32 v6, -1, v7
	v_min_u32_e32 v6, v10, v6
	v_lshlrev_b32_e32 v6, 3, v6
	v_cndmask_b32_e64 v2, v9, v11, s[34:35]
	ds_read_b64 v[8:9], v6
	v_cndmask_b32_e64 v11, v10, v20, s[30:31]
	v_cndmask_b32_e64 v1, v5, v1, s[28:29]
	;; [unrolled: 1-line block ×5, first 2 shown]
	s_waitcnt lgkmcnt(0)
	v_cndmask_b32_e64 v7, v21, v9, s[30:31]
	v_cndmask_b32_e64 v6, v33, v8, s[30:31]
	v_cmp_lt_u32_e32 vcc, v11, v16
	s_and_saveexec_b64 s[28:29], vcc
	s_cbranch_execz .LBB873_381
; %bb.374:
	v_cndmask_b32_e64 v16, v9, v17, s[30:31]
	v_cndmask_b32_e64 v17, v8, v18, s[30:31]
	;; [unrolled: 1-line block ×3, first 2 shown]
	v_cmp_ge_u32_e32 vcc, v8, v15
	s_or_b64 s[2:3], vcc, s[24:25]
	v_cndmask_b32_e32 v9, v7, v16, vcc
	s_xor_b64 s[2:3], s[2:3], -1
	v_cndmask_b32_e32 v8, v6, v17, vcc
	s_and_saveexec_b64 s[30:31], s[2:3]
	s_cbranch_execz .LBB873_380
; %bb.375:
	v_mul_lo_u32 v10, v16, s12
	v_mul_lo_u32 v11, v17, s13
	v_mad_u64_u32 v[8:9], s[2:3], v17, s12, 0
	v_add3_u32 v9, v9, v11, v10
	v_lshlrev_b64 v[8:9], 2, v[8:9]
	v_mov_b32_e32 v10, s15
	v_add_co_u32_e32 v8, vcc, s14, v8
	v_addc_co_u32_e32 v9, vcc, v10, v9, vcc
	v_mul_lo_u32 v15, v7, s12
	v_mul_lo_u32 v18, v6, s13
	v_mad_u64_u32 v[10:11], s[2:3], v6, s12, 0
	v_add3_u32 v11, v11, v18, v15
	v_lshlrev_b64 v[10:11], 2, v[10:11]
	v_mov_b32_e32 v15, s15
	v_add_co_u32_e32 v10, vcc, s14, v10
	v_addc_co_u32_e32 v11, vcc, v15, v11, vcc
	s_mov_b64 s[34:35], 0
	s_mov_b64 s[42:43], s[12:13]
                                        ; implicit-def: $sgpr36_sgpr37
                                        ; implicit-def: $sgpr38_sgpr39
                                        ; implicit-def: $sgpr2_sgpr3
                                        ; implicit-def: $sgpr40_sgpr41
                                        ; implicit-def: $sgpr44_sgpr45
	s_branch .LBB873_377
.LBB873_376:                            ;   in Loop: Header=BB873_377 Depth=1
	s_or_b64 exec, exec, s[46:47]
	s_and_b64 s[4:5], exec, s[38:39]
	s_or_b64 s[34:35], s[4:5], s[34:35]
	s_andn2_b64 s[4:5], s[44:45], exec
	s_and_b64 s[44:45], s[40:41], exec
	s_or_b64 s[44:45], s[4:5], s[44:45]
	s_andn2_b64 s[4:5], s[36:37], exec
	s_and_b64 s[36:37], s[2:3], exec
	s_or_b64 s[36:37], s[4:5], s[36:37]
	s_andn2_b64 exec, exec, s[34:35]
	s_cbranch_execz .LBB873_379
.LBB873_377:                            ; =>This Inner Loop Header: Depth=1
	global_load_dword v15, v[8:9], off
	global_load_dword v18, v[10:11], off
	s_andn2_b64 s[46:47], s[2:3], exec
	s_andn2_b64 s[40:41], s[40:41], exec
	s_or_b64 s[38:39], s[38:39], exec
	s_waitcnt vmcnt(0)
	v_cmp_ngt_f32_e64 s[2:3], v15, v18
	v_cmp_lt_f32_e32 vcc, v15, v18
	s_and_b64 s[2:3], s[2:3], s[44:45]
	s_or_b64 s[48:49], vcc, s[2:3]
	s_and_b64 s[2:3], s[48:49], exec
	v_cmp_nlg_f32_e64 s[4:5], v15, v18
	s_or_b64 s[2:3], s[46:47], s[2:3]
	s_and_saveexec_b64 s[46:47], s[4:5]
	s_cbranch_execz .LBB873_376
; %bb.378:                              ;   in Loop: Header=BB873_377 Depth=1
	s_add_u32 s42, s42, -1
	s_addc_u32 s43, s43, -1
	v_add_co_u32_e32 v8, vcc, 4, v8
	s_cmp_eq_u64 s[42:43], 0
	v_addc_co_u32_e32 v9, vcc, 0, v9, vcc
	s_cselect_b64 s[4:5], -1, 0
	v_add_co_u32_e32 v10, vcc, 4, v10
	s_andn2_b64 s[40:41], s[40:41], exec
	s_and_b64 s[44:45], s[48:49], exec
	s_andn2_b64 s[38:39], s[38:39], exec
	s_and_b64 s[4:5], s[4:5], exec
	v_addc_co_u32_e32 v11, vcc, 0, v11, vcc
	s_or_b64 s[40:41], s[40:41], s[44:45]
	s_andn2_b64 s[2:3], s[2:3], exec
	s_or_b64 s[38:39], s[38:39], s[4:5]
                                        ; implicit-def: $sgpr44_sgpr45
	s_branch .LBB873_376
.LBB873_379:
	s_or_b64 exec, exec, s[34:35]
	v_cndmask_b32_e64 v9, v7, v16, s[36:37]
	v_cndmask_b32_e64 v8, v6, v17, s[36:37]
.LBB873_380:
	s_or_b64 exec, exec, s[30:31]
	v_pk_mov_b32 v[6:7], v[8:9], v[8:9] op_sel:[0,1]
.LBB873_381:
	s_or_b64 exec, exec, s[28:29]
.LBB873_382:
	s_or_b64 exec, exec, s[26:27]
	v_and_b32_e32 v16, 0xc00, v23
	v_or_b32_e32 v8, 0x200, v16
	s_barrier
	ds_write_b128 v14, v[0:3]
	ds_write_b128 v14, v[4:7] offset:16
	v_min_u32_e32 v14, 0x400, v8
	v_and_b32_e32 v17, 0x3fc, v23
	v_sub_u32_e32 v8, v14, v16
	v_sub_u32_e32 v9, 0x400, v14
	v_sub_u32_e64 v18, v17, v9 clamp
	v_min_u32_e32 v19, v17, v8
	v_lshlrev_b32_e32 v15, 3, v16
	v_cmp_lt_u32_e32 vcc, v18, v19
	s_waitcnt lgkmcnt(0)
	s_barrier
	s_and_saveexec_b64 s[26:27], vcc
	s_cbranch_execz .LBB873_392
; %bb.383:
	v_lshlrev_b32_e32 v8, 3, v17
	v_lshl_add_u32 v20, v14, 3, v8
	s_lshl_b64 s[30:31], s[12:13], 2
	s_mov_b64 s[28:29], 0
	s_branch .LBB873_386
.LBB873_384:                            ;   in Loop: Header=BB873_386 Depth=1
	s_or_b64 exec, exec, s[36:37]
.LBB873_385:                            ;   in Loop: Header=BB873_386 Depth=1
	v_add_u32_e32 v8, 1, v21
	v_cndmask_b32_e64 v19, v19, v21, s[34:35]
	v_cndmask_b32_e64 v18, v8, v18, s[34:35]
	v_cmp_ge_u32_e32 vcc, v18, v19
	s_or_b64 s[28:29], vcc, s[28:29]
	s_andn2_b64 exec, exec, s[28:29]
	s_cbranch_execz .LBB873_391
.LBB873_386:                            ; =>This Loop Header: Depth=1
                                        ;     Child Loop BB873_389 Depth 2
	v_add_u32_e32 v8, v19, v18
	v_lshrrev_b32_e32 v21, 1, v8
	s_and_b64 vcc, exec, s[0:1]
	s_mov_b64 s[34:35], 0
	s_cbranch_vccnz .LBB873_385
; %bb.387:                              ;   in Loop: Header=BB873_386 Depth=1
	v_not_b32_e32 v8, v21
	v_lshl_add_u32 v8, v8, 3, v20
	ds_read_b64 v[8:9], v8
	v_lshl_add_u32 v33, v21, 3, v15
	ds_read_b64 v[34:35], v33
	v_pk_mov_b32 v[10:11], s[14:15], s[14:15] op_sel:[0,1]
	s_mov_b64 s[36:37], 0
	s_waitcnt lgkmcnt(1)
	v_mul_lo_u32 v33, s30, v9
	v_mul_lo_u32 v36, s31, v8
	v_mad_u64_u32 v[8:9], s[2:3], s30, v8, v[10:11]
	v_add3_u32 v9, v36, v9, v33
	s_waitcnt lgkmcnt(0)
	v_mul_lo_u32 v33, s30, v35
	v_mul_lo_u32 v35, s31, v34
	v_mad_u64_u32 v[10:11], s[2:3], s30, v34, v[10:11]
	v_add3_u32 v11, v35, v11, v33
	s_mov_b64 s[42:43], s[12:13]
                                        ; implicit-def: $sgpr34_sgpr35
                                        ; implicit-def: $sgpr38_sgpr39
                                        ; implicit-def: $sgpr40_sgpr41
                                        ; implicit-def: $sgpr2_sgpr3
                                        ; implicit-def: $sgpr44_sgpr45
	s_branch .LBB873_389
.LBB873_388:                            ;   in Loop: Header=BB873_389 Depth=2
	s_or_b64 exec, exec, s[46:47]
	s_and_b64 s[4:5], exec, s[38:39]
	s_or_b64 s[36:37], s[4:5], s[36:37]
	s_andn2_b64 s[4:5], s[44:45], exec
	s_and_b64 s[44:45], s[40:41], exec
	s_or_b64 s[44:45], s[4:5], s[44:45]
	s_andn2_b64 s[4:5], s[34:35], exec
	s_and_b64 s[34:35], s[2:3], exec
	s_or_b64 s[34:35], s[4:5], s[34:35]
	s_andn2_b64 exec, exec, s[36:37]
	s_cbranch_execz .LBB873_384
.LBB873_389:                            ;   Parent Loop BB873_386 Depth=1
                                        ; =>  This Inner Loop Header: Depth=2
	global_load_dword v33, v[8:9], off
	global_load_dword v34, v[10:11], off
	s_andn2_b64 s[46:47], s[2:3], exec
	s_andn2_b64 s[40:41], s[40:41], exec
	s_or_b64 s[38:39], s[38:39], exec
	s_waitcnt vmcnt(0)
	v_cmp_ngt_f32_e64 s[2:3], v33, v34
	v_cmp_lt_f32_e32 vcc, v33, v34
	s_and_b64 s[2:3], s[2:3], s[44:45]
	s_or_b64 s[48:49], vcc, s[2:3]
	s_and_b64 s[2:3], s[48:49], exec
	v_cmp_nlg_f32_e64 s[4:5], v33, v34
	s_or_b64 s[2:3], s[46:47], s[2:3]
	s_and_saveexec_b64 s[46:47], s[4:5]
	s_cbranch_execz .LBB873_388
; %bb.390:                              ;   in Loop: Header=BB873_389 Depth=2
	s_add_u32 s42, s42, -1
	s_addc_u32 s43, s43, -1
	v_add_co_u32_e32 v8, vcc, 4, v8
	s_cmp_eq_u64 s[42:43], 0
	v_addc_co_u32_e32 v9, vcc, 0, v9, vcc
	s_cselect_b64 s[4:5], -1, 0
	v_add_co_u32_e32 v10, vcc, 4, v10
	s_andn2_b64 s[40:41], s[40:41], exec
	s_and_b64 s[44:45], s[48:49], exec
	s_andn2_b64 s[38:39], s[38:39], exec
	s_and_b64 s[4:5], s[4:5], exec
	v_addc_co_u32_e32 v11, vcc, 0, v11, vcc
	s_andn2_b64 s[2:3], s[2:3], exec
	s_or_b64 s[40:41], s[40:41], s[44:45]
	s_or_b64 s[38:39], s[38:39], s[4:5]
                                        ; implicit-def: $sgpr44_sgpr45
	s_branch .LBB873_388
.LBB873_391:
	s_or_b64 exec, exec, s[28:29]
.LBB873_392:
	s_or_b64 exec, exec, s[26:27]
	v_sub_u32_e32 v8, v17, v18
	v_add_u32_e32 v16, v18, v16
	v_add_u32_e32 v17, v8, v14
	s_movk_i32 s0, 0x401
	v_cmp_le_u32_e32 vcc, v16, v14
	v_cmp_gt_u32_e64 s[0:1], s0, v17
	s_or_b64 s[0:1], vcc, s[0:1]
	s_and_saveexec_b64 s[4:5], s[0:1]
	s_cbranch_execz .LBB873_428
; %bb.393:
	v_cmp_ge_u32_e32 vcc, v16, v14
	v_cmp_lt_u32_e64 s[0:1], v16, v14
                                        ; implicit-def: $vgpr0_vgpr1
	s_and_saveexec_b64 s[2:3], s[0:1]
	s_cbranch_execz .LBB873_395
; %bb.394:
	v_lshl_add_u32 v0, v18, 3, v15
	ds_read_b64 v[0:1], v0
.LBB873_395:
	s_or_b64 exec, exec, s[2:3]
	s_movk_i32 s0, 0x3ff
	s_movk_i32 s2, 0x400
	v_cmp_lt_u32_e64 s[0:1], s0, v17
	v_cmp_gt_u32_e64 s[2:3], s2, v17
                                        ; implicit-def: $vgpr4_vgpr5
	s_and_saveexec_b64 s[26:27], s[2:3]
	s_cbranch_execz .LBB873_397
; %bb.396:
	v_lshlrev_b32_e32 v2, 3, v17
	ds_read_b64 v[4:5], v2
.LBB873_397:
	s_or_b64 exec, exec, s[26:27]
	s_or_b64 s[2:3], vcc, s[0:1]
	s_or_b64 s[2:3], s[2:3], s[24:25]
	s_xor_b64 s[26:27], vcc, -1
	s_xor_b64 s[2:3], s[2:3], -1
	s_or_b64 s[26:27], s[0:1], s[26:27]
	s_and_saveexec_b64 s[28:29], s[2:3]
	s_cbranch_execz .LBB873_403
; %bb.398:
	s_waitcnt lgkmcnt(0)
	v_mul_lo_u32 v6, v5, s12
	v_mul_lo_u32 v7, v4, s13
	v_mad_u64_u32 v[2:3], s[0:1], v4, s12, 0
	v_add3_u32 v3, v3, v7, v6
	v_lshlrev_b64 v[2:3], 2, v[2:3]
	v_mov_b32_e32 v6, s15
	v_add_co_u32_e32 v2, vcc, s14, v2
	v_addc_co_u32_e32 v3, vcc, v6, v3, vcc
	v_mul_lo_u32 v8, v1, s12
	v_mul_lo_u32 v9, v0, s13
	v_mad_u64_u32 v[6:7], s[0:1], v0, s12, 0
	v_add3_u32 v7, v7, v9, v8
	v_lshlrev_b64 v[6:7], 2, v[6:7]
	v_mov_b32_e32 v8, s15
	v_add_co_u32_e32 v6, vcc, s14, v6
	v_addc_co_u32_e32 v7, vcc, v8, v7, vcc
	s_mov_b64 s[30:31], 0
	s_mov_b64 s[40:41], s[12:13]
                                        ; implicit-def: $sgpr34_sgpr35
                                        ; implicit-def: $sgpr36_sgpr37
                                        ; implicit-def: $sgpr0_sgpr1
                                        ; implicit-def: $sgpr38_sgpr39
                                        ; implicit-def: $sgpr42_sgpr43
	s_branch .LBB873_400
.LBB873_399:                            ;   in Loop: Header=BB873_400 Depth=1
	s_or_b64 exec, exec, s[44:45]
	s_and_b64 s[2:3], exec, s[36:37]
	s_or_b64 s[30:31], s[2:3], s[30:31]
	s_andn2_b64 s[2:3], s[42:43], exec
	s_and_b64 s[42:43], s[38:39], exec
	s_or_b64 s[42:43], s[2:3], s[42:43]
	s_andn2_b64 s[2:3], s[34:35], exec
	s_and_b64 s[34:35], s[0:1], exec
	s_or_b64 s[34:35], s[2:3], s[34:35]
	s_andn2_b64 exec, exec, s[30:31]
	s_cbranch_execz .LBB873_402
.LBB873_400:                            ; =>This Inner Loop Header: Depth=1
	global_load_dword v8, v[2:3], off
	global_load_dword v9, v[6:7], off
	s_andn2_b64 s[44:45], s[0:1], exec
	s_andn2_b64 s[38:39], s[38:39], exec
	s_or_b64 s[36:37], s[36:37], exec
	s_waitcnt vmcnt(0)
	v_cmp_ngt_f32_e64 s[0:1], v8, v9
	v_cmp_lt_f32_e32 vcc, v8, v9
	s_and_b64 s[0:1], s[0:1], s[42:43]
	s_or_b64 s[46:47], vcc, s[0:1]
	s_and_b64 s[0:1], s[46:47], exec
	v_cmp_nlg_f32_e64 s[2:3], v8, v9
	s_or_b64 s[0:1], s[44:45], s[0:1]
	s_and_saveexec_b64 s[44:45], s[2:3]
	s_cbranch_execz .LBB873_399
; %bb.401:                              ;   in Loop: Header=BB873_400 Depth=1
	s_add_u32 s40, s40, -1
	s_addc_u32 s41, s41, -1
	v_add_co_u32_e32 v2, vcc, 4, v2
	s_cmp_eq_u64 s[40:41], 0
	v_addc_co_u32_e32 v3, vcc, 0, v3, vcc
	s_cselect_b64 s[2:3], -1, 0
	v_add_co_u32_e32 v6, vcc, 4, v6
	s_andn2_b64 s[38:39], s[38:39], exec
	s_and_b64 s[42:43], s[46:47], exec
	s_andn2_b64 s[36:37], s[36:37], exec
	s_and_b64 s[2:3], s[2:3], exec
	v_addc_co_u32_e32 v7, vcc, 0, v7, vcc
	s_or_b64 s[38:39], s[38:39], s[42:43]
	s_andn2_b64 s[0:1], s[0:1], exec
	s_or_b64 s[36:37], s[36:37], s[2:3]
                                        ; implicit-def: $sgpr42_sgpr43
	s_branch .LBB873_399
.LBB873_402:
	s_or_b64 exec, exec, s[30:31]
	s_xor_b64 s[0:1], s[34:35], -1
	s_andn2_b64 s[2:3], s[26:27], exec
	s_and_b64 s[0:1], s[0:1], exec
	s_or_b64 s[26:27], s[2:3], s[0:1]
.LBB873_403:
	s_or_b64 exec, exec, s[28:29]
	v_cndmask_b32_e64 v2, v17, v16, s[26:27]
	v_add_u32_e32 v8, -1, v14
	v_mov_b32_e32 v18, 0x3ff
	v_add_u32_e32 v6, 1, v2
	v_cndmask_b32_e64 v2, v18, v8, s[26:27]
	v_min_u32_e32 v2, v6, v2
	v_lshlrev_b32_e32 v2, 3, v2
	ds_read_b64 v[2:3], v2
	v_cndmask_b32_e64 v19, v6, v17, s[26:27]
	s_movk_i32 s7, 0x400
	v_cndmask_b32_e64 v33, v16, v6, s[26:27]
	v_cmp_gt_u32_e32 vcc, s7, v19
	s_waitcnt lgkmcnt(0)
	v_cndmask_b32_e64 v9, v3, v5, s[26:27]
	v_cndmask_b32_e64 v10, v2, v4, s[26:27]
	;; [unrolled: 1-line block ×4, first 2 shown]
	s_mov_b64 s[28:29], -1
	s_mov_b64 s[30:31], -1
	s_and_saveexec_b64 s[34:35], vcc
	s_cbranch_execz .LBB873_411
; %bb.404:
	v_cmp_lt_u32_e64 s[30:31], v33, v14
	s_xor_b64 s[0:1], s[24:25], -1
	s_and_b64 s[0:1], s[30:31], s[0:1]
	s_and_saveexec_b64 s[36:37], s[0:1]
	s_cbranch_execz .LBB873_410
; %bb.405:
	v_mul_lo_u32 v6, v9, s12
	v_mul_lo_u32 v7, v10, s13
	v_mad_u64_u32 v[2:3], s[0:1], v10, s12, 0
	v_add3_u32 v3, v3, v7, v6
	v_lshlrev_b64 v[2:3], 2, v[2:3]
	v_mov_b32_e32 v6, s15
	v_add_co_u32_e32 v2, vcc, s14, v2
	v_addc_co_u32_e32 v3, vcc, v6, v3, vcc
	v_mul_lo_u32 v16, v11, s12
	v_mul_lo_u32 v17, v15, s13
	v_mad_u64_u32 v[6:7], s[0:1], v15, s12, 0
	v_add3_u32 v7, v7, v17, v16
	v_lshlrev_b64 v[6:7], 2, v[6:7]
	v_mov_b32_e32 v16, s15
	v_add_co_u32_e32 v6, vcc, s14, v6
	v_addc_co_u32_e32 v7, vcc, v16, v7, vcc
	s_mov_b64 s[38:39], 0
	s_mov_b64 s[46:47], s[12:13]
                                        ; implicit-def: $sgpr40_sgpr41
                                        ; implicit-def: $sgpr42_sgpr43
                                        ; implicit-def: $sgpr0_sgpr1
                                        ; implicit-def: $sgpr44_sgpr45
                                        ; implicit-def: $sgpr48_sgpr49
	s_branch .LBB873_407
.LBB873_406:                            ;   in Loop: Header=BB873_407 Depth=1
	s_or_b64 exec, exec, s[50:51]
	s_and_b64 s[2:3], exec, s[42:43]
	s_or_b64 s[38:39], s[2:3], s[38:39]
	s_andn2_b64 s[2:3], s[48:49], exec
	s_and_b64 s[48:49], s[44:45], exec
	s_or_b64 s[48:49], s[2:3], s[48:49]
	s_andn2_b64 s[2:3], s[40:41], exec
	s_and_b64 s[40:41], s[0:1], exec
	s_or_b64 s[40:41], s[2:3], s[40:41]
	s_andn2_b64 exec, exec, s[38:39]
	s_cbranch_execz .LBB873_409
.LBB873_407:                            ; =>This Inner Loop Header: Depth=1
	global_load_dword v16, v[2:3], off
	global_load_dword v17, v[6:7], off
	s_andn2_b64 s[50:51], s[0:1], exec
	s_andn2_b64 s[44:45], s[44:45], exec
	s_or_b64 s[42:43], s[42:43], exec
	s_waitcnt vmcnt(0)
	v_cmp_ngt_f32_e64 s[0:1], v16, v17
	v_cmp_lt_f32_e32 vcc, v16, v17
	s_and_b64 s[0:1], s[0:1], s[48:49]
	s_or_b64 s[52:53], vcc, s[0:1]
	s_and_b64 s[0:1], s[52:53], exec
	v_cmp_nlg_f32_e64 s[2:3], v16, v17
	s_or_b64 s[0:1], s[50:51], s[0:1]
	s_and_saveexec_b64 s[50:51], s[2:3]
	s_cbranch_execz .LBB873_406
; %bb.408:                              ;   in Loop: Header=BB873_407 Depth=1
	s_add_u32 s46, s46, -1
	s_addc_u32 s47, s47, -1
	v_add_co_u32_e32 v2, vcc, 4, v2
	s_cmp_eq_u64 s[46:47], 0
	v_addc_co_u32_e32 v3, vcc, 0, v3, vcc
	s_cselect_b64 s[2:3], -1, 0
	v_add_co_u32_e32 v6, vcc, 4, v6
	s_andn2_b64 s[44:45], s[44:45], exec
	s_and_b64 s[48:49], s[52:53], exec
	s_andn2_b64 s[42:43], s[42:43], exec
	s_and_b64 s[2:3], s[2:3], exec
	v_addc_co_u32_e32 v7, vcc, 0, v7, vcc
	s_or_b64 s[44:45], s[44:45], s[48:49]
	s_andn2_b64 s[0:1], s[0:1], exec
	s_or_b64 s[42:43], s[42:43], s[2:3]
                                        ; implicit-def: $sgpr48_sgpr49
	s_branch .LBB873_406
.LBB873_409:
	s_or_b64 exec, exec, s[38:39]
	s_xor_b64 s[0:1], s[40:41], -1
	s_andn2_b64 s[2:3], s[30:31], exec
	s_and_b64 s[0:1], s[0:1], exec
	s_or_b64 s[30:31], s[2:3], s[0:1]
.LBB873_410:
	s_or_b64 exec, exec, s[36:37]
	s_orn2_b64 s[30:31], s[30:31], exec
.LBB873_411:
	s_or_b64 exec, exec, s[34:35]
	v_cndmask_b32_e64 v2, v19, v33, s[30:31]
	v_add_u32_e32 v6, 1, v2
	v_cndmask_b32_e64 v2, v18, v8, s[30:31]
	v_min_u32_e32 v2, v6, v2
	v_lshlrev_b32_e32 v2, 3, v2
	ds_read_b64 v[2:3], v2
	v_cndmask_b32_e64 v19, v6, v19, s[30:31]
	v_cndmask_b32_e64 v18, v33, v6, s[30:31]
	v_cmp_gt_u32_e32 vcc, s7, v19
	s_waitcnt lgkmcnt(0)
	v_cndmask_b32_e64 v16, v3, v9, s[30:31]
	v_cndmask_b32_e64 v17, v2, v10, s[30:31]
	;; [unrolled: 1-line block ×4, first 2 shown]
	s_and_saveexec_b64 s[34:35], vcc
	s_cbranch_execz .LBB873_419
; %bb.412:
	v_cmp_lt_u32_e64 s[28:29], v18, v14
	s_xor_b64 s[0:1], s[24:25], -1
	s_and_b64 s[0:1], s[28:29], s[0:1]
	s_and_saveexec_b64 s[36:37], s[0:1]
	s_cbranch_execz .LBB873_418
; %bb.413:
	v_mul_lo_u32 v6, v16, s12
	v_mul_lo_u32 v7, v17, s13
	v_mad_u64_u32 v[2:3], s[0:1], v17, s12, 0
	v_add3_u32 v3, v3, v7, v6
	v_lshlrev_b64 v[2:3], 2, v[2:3]
	v_mov_b32_e32 v6, s15
	v_add_co_u32_e32 v2, vcc, s14, v2
	v_addc_co_u32_e32 v3, vcc, v6, v3, vcc
	v_mul_lo_u32 v33, v20, s12
	v_mul_lo_u32 v34, v21, s13
	v_mad_u64_u32 v[6:7], s[0:1], v21, s12, 0
	v_add3_u32 v7, v7, v34, v33
	v_lshlrev_b64 v[6:7], 2, v[6:7]
	v_mov_b32_e32 v33, s15
	v_add_co_u32_e32 v6, vcc, s14, v6
	v_addc_co_u32_e32 v7, vcc, v33, v7, vcc
	s_mov_b64 s[38:39], 0
	s_mov_b64 s[46:47], s[12:13]
                                        ; implicit-def: $sgpr40_sgpr41
                                        ; implicit-def: $sgpr42_sgpr43
                                        ; implicit-def: $sgpr0_sgpr1
                                        ; implicit-def: $sgpr44_sgpr45
                                        ; implicit-def: $sgpr48_sgpr49
	s_branch .LBB873_415
.LBB873_414:                            ;   in Loop: Header=BB873_415 Depth=1
	s_or_b64 exec, exec, s[50:51]
	s_and_b64 s[2:3], exec, s[42:43]
	s_or_b64 s[38:39], s[2:3], s[38:39]
	s_andn2_b64 s[2:3], s[48:49], exec
	s_and_b64 s[48:49], s[44:45], exec
	s_or_b64 s[48:49], s[2:3], s[48:49]
	s_andn2_b64 s[2:3], s[40:41], exec
	s_and_b64 s[40:41], s[0:1], exec
	s_or_b64 s[40:41], s[2:3], s[40:41]
	s_andn2_b64 exec, exec, s[38:39]
	s_cbranch_execz .LBB873_417
.LBB873_415:                            ; =>This Inner Loop Header: Depth=1
	global_load_dword v33, v[2:3], off
	global_load_dword v34, v[6:7], off
	s_andn2_b64 s[50:51], s[0:1], exec
	s_andn2_b64 s[44:45], s[44:45], exec
	s_or_b64 s[42:43], s[42:43], exec
	s_waitcnt vmcnt(0)
	v_cmp_ngt_f32_e64 s[0:1], v33, v34
	v_cmp_lt_f32_e32 vcc, v33, v34
	s_and_b64 s[0:1], s[0:1], s[48:49]
	s_or_b64 s[52:53], vcc, s[0:1]
	s_and_b64 s[0:1], s[52:53], exec
	v_cmp_nlg_f32_e64 s[2:3], v33, v34
	s_or_b64 s[0:1], s[50:51], s[0:1]
	s_and_saveexec_b64 s[50:51], s[2:3]
	s_cbranch_execz .LBB873_414
; %bb.416:                              ;   in Loop: Header=BB873_415 Depth=1
	s_add_u32 s46, s46, -1
	s_addc_u32 s47, s47, -1
	v_add_co_u32_e32 v2, vcc, 4, v2
	s_cmp_eq_u64 s[46:47], 0
	v_addc_co_u32_e32 v3, vcc, 0, v3, vcc
	s_cselect_b64 s[2:3], -1, 0
	v_add_co_u32_e32 v6, vcc, 4, v6
	s_andn2_b64 s[44:45], s[44:45], exec
	s_and_b64 s[48:49], s[52:53], exec
	s_andn2_b64 s[42:43], s[42:43], exec
	s_and_b64 s[2:3], s[2:3], exec
	v_addc_co_u32_e32 v7, vcc, 0, v7, vcc
	s_or_b64 s[44:45], s[44:45], s[48:49]
	s_andn2_b64 s[0:1], s[0:1], exec
	s_or_b64 s[42:43], s[42:43], s[2:3]
                                        ; implicit-def: $sgpr48_sgpr49
	s_branch .LBB873_414
.LBB873_417:
	s_or_b64 exec, exec, s[38:39]
	s_xor_b64 s[0:1], s[40:41], -1
	s_andn2_b64 s[2:3], s[28:29], exec
	s_and_b64 s[0:1], s[0:1], exec
	s_or_b64 s[28:29], s[2:3], s[0:1]
.LBB873_418:
	s_or_b64 exec, exec, s[36:37]
	s_orn2_b64 s[28:29], s[28:29], exec
.LBB873_419:
	s_or_b64 exec, exec, s[34:35]
	v_cndmask_b32_e64 v6, v19, v18, s[28:29]
	v_cndmask_b32_e64 v2, v10, v15, s[30:31]
	v_add_u32_e32 v10, 1, v6
	v_mov_b32_e32 v6, 0x3ff
	v_cndmask_b32_e64 v6, v6, v8, s[28:29]
	v_min_u32_e32 v6, v10, v6
	v_lshlrev_b32_e32 v6, 3, v6
	v_cndmask_b32_e64 v3, v9, v11, s[30:31]
	ds_read_b64 v[8:9], v6
	v_cndmask_b32_e64 v11, v10, v19, s[28:29]
	s_movk_i32 s0, 0x400
	v_cndmask_b32_e64 v1, v5, v1, s[26:27]
	v_cndmask_b32_e64 v0, v4, v0, s[26:27]
	;; [unrolled: 1-line block ×4, first 2 shown]
	s_waitcnt lgkmcnt(0)
	v_cndmask_b32_e64 v7, v20, v9, s[28:29]
	v_cndmask_b32_e64 v6, v21, v8, s[28:29]
	v_cmp_gt_u32_e32 vcc, s0, v11
	s_and_saveexec_b64 s[26:27], vcc
	s_cbranch_execz .LBB873_427
; %bb.420:
	v_cndmask_b32_e64 v15, v9, v16, s[28:29]
	v_cndmask_b32_e64 v16, v8, v17, s[28:29]
	;; [unrolled: 1-line block ×3, first 2 shown]
	v_cmp_ge_u32_e32 vcc, v8, v14
	s_or_b64 s[0:1], vcc, s[24:25]
	v_cndmask_b32_e32 v9, v7, v15, vcc
	s_xor_b64 s[0:1], s[0:1], -1
	v_cndmask_b32_e32 v8, v6, v16, vcc
	s_and_saveexec_b64 s[24:25], s[0:1]
	s_cbranch_execz .LBB873_426
; %bb.421:
	v_mul_lo_u32 v10, v15, s12
	v_mul_lo_u32 v11, v16, s13
	v_mad_u64_u32 v[8:9], s[0:1], v16, s12, 0
	v_add3_u32 v9, v9, v11, v10
	v_lshlrev_b64 v[8:9], 2, v[8:9]
	v_mov_b32_e32 v10, s15
	v_add_co_u32_e32 v8, vcc, s14, v8
	v_addc_co_u32_e32 v9, vcc, v10, v9, vcc
	v_mul_lo_u32 v14, v7, s12
	v_mul_lo_u32 v17, v6, s13
	v_mad_u64_u32 v[10:11], s[0:1], v6, s12, 0
	v_add3_u32 v11, v11, v17, v14
	v_lshlrev_b64 v[10:11], 2, v[10:11]
	v_mov_b32_e32 v14, s15
	v_add_co_u32_e32 v10, vcc, s14, v10
	v_addc_co_u32_e32 v11, vcc, v14, v11, vcc
	s_mov_b64 s[28:29], 0
	s_mov_b64 s[38:39], s[12:13]
                                        ; implicit-def: $sgpr30_sgpr31
                                        ; implicit-def: $sgpr34_sgpr35
                                        ; implicit-def: $sgpr0_sgpr1
                                        ; implicit-def: $sgpr36_sgpr37
                                        ; implicit-def: $sgpr40_sgpr41
	s_branch .LBB873_423
.LBB873_422:                            ;   in Loop: Header=BB873_423 Depth=1
	s_or_b64 exec, exec, s[42:43]
	s_and_b64 s[2:3], exec, s[34:35]
	s_or_b64 s[28:29], s[2:3], s[28:29]
	s_andn2_b64 s[2:3], s[40:41], exec
	s_and_b64 s[40:41], s[36:37], exec
	s_or_b64 s[40:41], s[2:3], s[40:41]
	s_andn2_b64 s[2:3], s[30:31], exec
	s_and_b64 s[30:31], s[0:1], exec
	s_or_b64 s[30:31], s[2:3], s[30:31]
	s_andn2_b64 exec, exec, s[28:29]
	s_cbranch_execz .LBB873_425
.LBB873_423:                            ; =>This Inner Loop Header: Depth=1
	global_load_dword v14, v[8:9], off
	global_load_dword v17, v[10:11], off
	s_andn2_b64 s[42:43], s[0:1], exec
	s_andn2_b64 s[36:37], s[36:37], exec
	s_or_b64 s[34:35], s[34:35], exec
	s_waitcnt vmcnt(0)
	v_cmp_ngt_f32_e64 s[0:1], v14, v17
	v_cmp_lt_f32_e32 vcc, v14, v17
	s_and_b64 s[0:1], s[0:1], s[40:41]
	s_or_b64 s[44:45], vcc, s[0:1]
	s_and_b64 s[0:1], s[44:45], exec
	v_cmp_nlg_f32_e64 s[2:3], v14, v17
	s_or_b64 s[0:1], s[42:43], s[0:1]
	s_and_saveexec_b64 s[42:43], s[2:3]
	s_cbranch_execz .LBB873_422
; %bb.424:                              ;   in Loop: Header=BB873_423 Depth=1
	s_add_u32 s38, s38, -1
	s_addc_u32 s39, s39, -1
	v_add_co_u32_e32 v8, vcc, 4, v8
	s_cmp_eq_u64 s[38:39], 0
	v_addc_co_u32_e32 v9, vcc, 0, v9, vcc
	s_cselect_b64 s[2:3], -1, 0
	v_add_co_u32_e32 v10, vcc, 4, v10
	s_andn2_b64 s[36:37], s[36:37], exec
	s_and_b64 s[40:41], s[44:45], exec
	s_andn2_b64 s[34:35], s[34:35], exec
	s_and_b64 s[2:3], s[2:3], exec
	v_addc_co_u32_e32 v11, vcc, 0, v11, vcc
	s_or_b64 s[36:37], s[36:37], s[40:41]
	s_andn2_b64 s[0:1], s[0:1], exec
	s_or_b64 s[34:35], s[34:35], s[2:3]
                                        ; implicit-def: $sgpr40_sgpr41
	s_branch .LBB873_422
.LBB873_425:
	s_or_b64 exec, exec, s[28:29]
	v_cndmask_b32_e64 v9, v7, v15, s[30:31]
	v_cndmask_b32_e64 v8, v6, v16, s[30:31]
.LBB873_426:
	s_or_b64 exec, exec, s[24:25]
	v_pk_mov_b32 v[6:7], v[8:9], v[8:9] op_sel:[0,1]
.LBB873_427:
	s_or_b64 exec, exec, s[26:27]
.LBB873_428:
	s_or_b64 exec, exec, s[4:5]
	s_barrier
	s_barrier
	ds_write2_b64 v29, v[0:1], v[2:3] offset1:1
	ds_write2_b64 v29, v[4:5], v[6:7] offset0:2 offset1:3
	s_waitcnt lgkmcnt(0)
	s_barrier
	ds_read_b64 v[2:3], v28
	ds_read_b64 v[4:5], v30 offset:2048
	ds_read_b64 v[6:7], v31 offset:4096
	;; [unrolled: 1-line block ×3, first 2 shown]
	v_mov_b32_e32 v8, s17
	v_add_co_u32_e32 v9, vcc, s16, v22
	v_addc_co_u32_e32 v8, vcc, 0, v8, vcc
	s_waitcnt lgkmcnt(3)
	global_store_dwordx2 v22, v[2:3], s[16:17]
	s_waitcnt lgkmcnt(2)
	global_store_dwordx2 v22, v[4:5], s[16:17] offset:2048
	v_add_co_u32_e32 v2, vcc, 0x1000, v9
	v_addc_co_u32_e32 v3, vcc, 0, v8, vcc
	s_waitcnt lgkmcnt(1)
	global_store_dwordx2 v[2:3], v[6:7], off
	s_mov_b64 s[24:25], -1
	s_branch .LBB873_723
.LBB873_429:
	s_lshl_b64 s[0:1], s[20:21], 10
	s_sub_i32 s33, s22, s0
	v_cmp_gt_u32_e64 s[0:1], s33, v12
                                        ; implicit-def: $vgpr0_vgpr1_vgpr2_vgpr3_vgpr4_vgpr5_vgpr6_vgpr7
	s_and_saveexec_b64 s[2:3], s[0:1]
	s_cbranch_execz .LBB873_431
; %bb.430:
	s_waitcnt lgkmcnt(0)
	global_load_dwordx2 v[0:1], v22, s[8:9]
.LBB873_431:
	s_or_b64 exec, exec, s[2:3]
	v_add_u32_e32 v8, 0x100, v12
	v_cmp_gt_u32_e64 s[2:3], s33, v8
	s_and_saveexec_b64 s[4:5], s[2:3]
	s_cbranch_execz .LBB873_433
; %bb.432:
	global_load_dwordx2 v[2:3], v22, s[8:9] offset:2048
.LBB873_433:
	s_or_b64 exec, exec, s[4:5]
	v_add_u32_e32 v9, 0x200, v12
	v_cmp_gt_u32_e64 s[4:5], s33, v9
	s_and_saveexec_b64 s[20:21], s[4:5]
	s_cbranch_execz .LBB873_435
; %bb.434:
	v_lshlrev_b32_e32 v4, 3, v9
	global_load_dwordx2 v[4:5], v4, s[8:9]
.LBB873_435:
	s_or_b64 exec, exec, s[20:21]
	v_add_u32_e32 v10, 0x300, v12
	v_cmp_gt_u32_e64 s[24:25], s33, v10
	s_and_saveexec_b64 s[20:21], s[24:25]
	s_cbranch_execz .LBB873_437
; %bb.436:
	v_lshlrev_b32_e32 v6, 3, v10
	global_load_dwordx2 v[6:7], v6, s[8:9]
.LBB873_437:
	s_or_b64 exec, exec, s[20:21]
	v_and_b32_e32 v11, 0xf8, v27
	v_add_u32_e32 v14, v11, v22
	s_waitcnt vmcnt(0) lgkmcnt(0)
	ds_write_b64 v14, v[0:1]
	v_lshrrev_b32_e32 v0, 2, v8
	v_and_b32_e32 v0, 0x1f8, v0
	v_add_u32_e32 v13, v0, v22
	v_lshrrev_b32_e32 v0, 2, v9
	v_and_b32_e32 v0, 0x1f8, v0
	v_add_u32_e32 v15, v0, v22
	;; [unrolled: 3-line block ×3, first 2 shown]
	v_add_lshl_u32 v17, v26, v23, 3
	ds_write_b64 v13, v[2:3] offset:2048
	ds_write_b64 v15, v[4:5] offset:4096
	;; [unrolled: 1-line block ×3, first 2 shown]
	s_waitcnt lgkmcnt(0)
	s_barrier
	ds_read2_b64 v[0:3], v17 offset1:1
	ds_read2_b64 v[4:7], v17 offset0:2 offset1:3
	s_waitcnt lgkmcnt(0)
	s_barrier
	s_load_dword s7, s[10:11], 0xc
	v_mov_b32_e32 v8, 0
	s_mov_b64 s[26:27], 0
	s_waitcnt lgkmcnt(0)
	s_lshr_b32 s8, s7, 16
	s_cmp_lt_u32 s6, s18
	s_cselect_b32 s6, 12, 18
	s_add_u32 s6, s10, s6
	s_addc_u32 s7, s11, 0
	global_load_ushort v8, v8, s[6:7]
	v_mad_u32_u24 v9, v25, s8, v24
	v_cmp_gt_i64_e64 s[10:11], s[12:13], 0
	v_cmp_lt_i64_e64 s[18:19], s[12:13], 1
	s_waitcnt vmcnt(0)
	v_mul_lo_u32 v8, v9, v8
	v_add_lshl_u32 v18, v8, v12, 2
	v_sub_u32_e64 v19, s33, v18 clamp
	v_cmp_lt_u32_e32 vcc, 1, v19
	s_and_b64 s[22:23], vcc, s[10:11]
	s_and_saveexec_b64 s[20:21], s[22:23]
	s_cbranch_execz .LBB873_445
; %bb.438:
	v_mul_lo_u32 v10, v3, s12
	v_mul_lo_u32 v11, v2, s13
	v_mad_u64_u32 v[8:9], s[6:7], v2, s12, 0
	v_add3_u32 v9, v9, v11, v10
	v_lshlrev_b64 v[8:9], 2, v[8:9]
	v_mov_b32_e32 v10, s15
	v_add_co_u32_e32 v8, vcc, s14, v8
	v_addc_co_u32_e32 v9, vcc, v10, v9, vcc
	v_mul_lo_u32 v20, v1, s12
	v_mul_lo_u32 v21, v0, s13
	v_mad_u64_u32 v[10:11], s[6:7], v0, s12, 0
	v_add3_u32 v11, v11, v21, v20
	v_lshlrev_b64 v[10:11], 2, v[10:11]
	v_mov_b32_e32 v20, s15
	v_add_co_u32_e32 v10, vcc, s14, v10
	v_addc_co_u32_e32 v11, vcc, v20, v11, vcc
	s_mov_b64 s[40:41], s[12:13]
                                        ; implicit-def: $sgpr28_sgpr29
                                        ; implicit-def: $sgpr30_sgpr31
                                        ; implicit-def: $sgpr36_sgpr37
                                        ; implicit-def: $sgpr34_sgpr35
                                        ; implicit-def: $sgpr38_sgpr39
                                        ; implicit-def: $sgpr42_sgpr43
	s_branch .LBB873_440
.LBB873_439:                            ;   in Loop: Header=BB873_440 Depth=1
	s_or_b64 exec, exec, s[44:45]
	s_and_b64 s[8:9], exec, s[36:37]
	s_or_b64 s[26:27], s[8:9], s[26:27]
	s_andn2_b64 s[8:9], s[42:43], exec
	s_and_b64 s[42:43], s[38:39], exec
	s_or_b64 s[42:43], s[8:9], s[42:43]
	s_andn2_b64 s[8:9], s[30:31], exec
	s_and_b64 s[30:31], s[34:35], exec
	;; [unrolled: 3-line block ×3, first 2 shown]
	s_or_b64 s[28:29], s[8:9], s[6:7]
	s_andn2_b64 exec, exec, s[26:27]
	s_cbranch_execz .LBB873_442
.LBB873_440:                            ; =>This Inner Loop Header: Depth=1
	global_load_dword v20, v[8:9], off
	global_load_dword v21, v[10:11], off
	s_andn2_b64 s[38:39], s[38:39], exec
	s_or_b64 s[34:35], s[34:35], exec
	s_or_b64 s[36:37], s[36:37], exec
	s_waitcnt vmcnt(0)
	v_cmp_ngt_f32_e64 s[6:7], v20, v21
	v_cmp_lt_f32_e32 vcc, v20, v21
	s_and_b64 s[6:7], s[6:7], s[42:43]
	v_cmp_nlg_f32_e64 s[8:9], v20, v21
	s_or_b64 s[6:7], vcc, s[6:7]
	s_and_saveexec_b64 s[44:45], s[8:9]
	s_cbranch_execz .LBB873_439
; %bb.441:                              ;   in Loop: Header=BB873_440 Depth=1
	s_add_u32 s40, s40, -1
	s_addc_u32 s41, s41, -1
	v_add_co_u32_e32 v8, vcc, 4, v8
	s_cmp_eq_u64 s[40:41], 0
	v_addc_co_u32_e32 v9, vcc, 0, v9, vcc
	s_cselect_b64 s[8:9], -1, 0
	v_add_co_u32_e32 v10, vcc, 4, v10
	s_andn2_b64 s[38:39], s[38:39], exec
	s_and_b64 s[42:43], s[6:7], exec
	s_andn2_b64 s[36:37], s[36:37], exec
	s_and_b64 s[8:9], s[8:9], exec
	v_addc_co_u32_e32 v11, vcc, 0, v11, vcc
	s_or_b64 s[38:39], s[38:39], s[42:43]
	s_andn2_b64 s[34:35], s[34:35], exec
	s_or_b64 s[36:37], s[36:37], s[8:9]
                                        ; implicit-def: $sgpr42_sgpr43
	s_branch .LBB873_439
.LBB873_442:
	s_or_b64 exec, exec, s[26:27]
	s_and_saveexec_b64 s[6:7], s[30:31]
	s_xor_b64 s[6:7], exec, s[6:7]
	s_cbranch_execz .LBB873_444
; %bb.443:
	v_cndmask_b32_e64 v25, v1, v3, s[28:29]
	v_cndmask_b32_e64 v24, v0, v2, s[28:29]
	;; [unrolled: 1-line block ×4, first 2 shown]
	v_mov_b32_e32 v28, v4
	v_mov_b32_e32 v29, v5
	;; [unrolled: 1-line block ×4, first 2 shown]
	v_pk_mov_b32 v[0:1], v[24:25], v[24:25] op_sel:[0,1]
	v_pk_mov_b32 v[2:3], v[26:27], v[26:27] op_sel:[0,1]
	v_pk_mov_b32 v[4:5], v[28:29], v[28:29] op_sel:[0,1]
	v_pk_mov_b32 v[6:7], v[30:31], v[30:31] op_sel:[0,1]
.LBB873_444:
	s_or_b64 exec, exec, s[6:7]
.LBB873_445:
	s_or_b64 exec, exec, s[20:21]
	v_cmp_lt_u32_e32 vcc, 3, v19
	s_xor_b64 s[20:21], s[18:19], -1
	s_and_b64 s[26:27], vcc, s[20:21]
	s_and_saveexec_b64 s[28:29], s[26:27]
	s_cbranch_execz .LBB873_453
; %bb.446:
	v_mul_lo_u32 v10, v7, s12
	v_mul_lo_u32 v11, v6, s13
	v_mad_u64_u32 v[8:9], s[6:7], v6, s12, 0
	v_add3_u32 v9, v9, v11, v10
	v_lshlrev_b64 v[8:9], 2, v[8:9]
	v_mov_b32_e32 v10, s15
	v_add_co_u32_e32 v8, vcc, s14, v8
	v_addc_co_u32_e32 v9, vcc, v10, v9, vcc
	v_mul_lo_u32 v20, v5, s12
	v_mul_lo_u32 v21, v4, s13
	v_mad_u64_u32 v[10:11], s[6:7], v4, s12, 0
	v_add3_u32 v11, v11, v21, v20
	v_lshlrev_b64 v[10:11], 2, v[10:11]
	v_mov_b32_e32 v20, s15
	v_add_co_u32_e32 v10, vcc, s14, v10
	v_addc_co_u32_e32 v11, vcc, v20, v11, vcc
	s_mov_b64 s[34:35], 0
	s_mov_b64 s[44:45], s[12:13]
                                        ; implicit-def: $sgpr30_sgpr31
                                        ; implicit-def: $sgpr36_sgpr37
                                        ; implicit-def: $sgpr40_sgpr41
                                        ; implicit-def: $sgpr38_sgpr39
                                        ; implicit-def: $sgpr42_sgpr43
                                        ; implicit-def: $sgpr46_sgpr47
	s_branch .LBB873_448
.LBB873_447:                            ;   in Loop: Header=BB873_448 Depth=1
	s_or_b64 exec, exec, s[48:49]
	s_and_b64 s[8:9], exec, s[40:41]
	s_or_b64 s[34:35], s[8:9], s[34:35]
	s_andn2_b64 s[8:9], s[46:47], exec
	s_and_b64 s[46:47], s[42:43], exec
	s_or_b64 s[46:47], s[8:9], s[46:47]
	s_andn2_b64 s[8:9], s[36:37], exec
	s_and_b64 s[36:37], s[38:39], exec
	;; [unrolled: 3-line block ×3, first 2 shown]
	s_or_b64 s[30:31], s[8:9], s[6:7]
	s_andn2_b64 exec, exec, s[34:35]
	s_cbranch_execz .LBB873_450
.LBB873_448:                            ; =>This Inner Loop Header: Depth=1
	global_load_dword v20, v[8:9], off
	global_load_dword v21, v[10:11], off
	s_andn2_b64 s[42:43], s[42:43], exec
	s_or_b64 s[38:39], s[38:39], exec
	s_or_b64 s[40:41], s[40:41], exec
	s_waitcnt vmcnt(0)
	v_cmp_ngt_f32_e64 s[6:7], v20, v21
	v_cmp_lt_f32_e32 vcc, v20, v21
	s_and_b64 s[6:7], s[6:7], s[46:47]
	v_cmp_nlg_f32_e64 s[8:9], v20, v21
	s_or_b64 s[6:7], vcc, s[6:7]
	s_and_saveexec_b64 s[48:49], s[8:9]
	s_cbranch_execz .LBB873_447
; %bb.449:                              ;   in Loop: Header=BB873_448 Depth=1
	s_add_u32 s44, s44, -1
	s_addc_u32 s45, s45, -1
	v_add_co_u32_e32 v8, vcc, 4, v8
	s_cmp_eq_u64 s[44:45], 0
	v_addc_co_u32_e32 v9, vcc, 0, v9, vcc
	s_cselect_b64 s[8:9], -1, 0
	v_add_co_u32_e32 v10, vcc, 4, v10
	s_andn2_b64 s[42:43], s[42:43], exec
	s_and_b64 s[46:47], s[6:7], exec
	s_andn2_b64 s[40:41], s[40:41], exec
	s_and_b64 s[8:9], s[8:9], exec
	v_addc_co_u32_e32 v11, vcc, 0, v11, vcc
	s_or_b64 s[42:43], s[42:43], s[46:47]
	s_andn2_b64 s[38:39], s[38:39], exec
	s_or_b64 s[40:41], s[40:41], s[8:9]
                                        ; implicit-def: $sgpr46_sgpr47
	s_branch .LBB873_447
.LBB873_450:
	s_or_b64 exec, exec, s[34:35]
	s_and_saveexec_b64 s[6:7], s[36:37]
	s_xor_b64 s[6:7], exec, s[6:7]
; %bb.451:
	v_cndmask_b32_e64 v8, v7, v5, s[30:31]
	v_cndmask_b32_e64 v9, v6, v4, s[30:31]
	;; [unrolled: 1-line block ×4, first 2 shown]
	v_mov_b32_e32 v6, v9
	v_mov_b32_e32 v7, v8
; %bb.452:
	s_or_b64 exec, exec, s[6:7]
.LBB873_453:
	s_or_b64 exec, exec, s[28:29]
	v_cmp_lt_u32_e32 vcc, 2, v19
	s_and_b64 s[28:29], vcc, s[20:21]
	s_and_saveexec_b64 s[6:7], s[28:29]
	s_xor_b64 s[30:31], exec, s[6:7]
	s_cbranch_execnz .LBB873_457
; %bb.454:
	s_or_b64 exec, exec, s[30:31]
	s_and_saveexec_b64 s[30:31], s[22:23]
	s_cbranch_execnz .LBB873_464
.LBB873_455:
	s_or_b64 exec, exec, s[30:31]
	s_and_saveexec_b64 s[22:23], s[26:27]
	s_cbranch_execnz .LBB873_471
.LBB873_456:
	s_or_b64 exec, exec, s[22:23]
	s_and_saveexec_b64 s[22:23], s[28:29]
	s_cbranch_execnz .LBB873_478
	s_branch .LBB873_485
.LBB873_457:
	v_mul_lo_u32 v10, v5, s12
	v_mul_lo_u32 v11, v4, s13
	v_mad_u64_u32 v[8:9], s[6:7], v4, s12, 0
	v_add3_u32 v9, v9, v11, v10
	v_lshlrev_b64 v[8:9], 2, v[8:9]
	v_mov_b32_e32 v10, s15
	v_add_co_u32_e32 v8, vcc, s14, v8
	v_addc_co_u32_e32 v9, vcc, v10, v9, vcc
	v_mul_lo_u32 v19, v3, s12
	v_mul_lo_u32 v20, v2, s13
	v_mad_u64_u32 v[10:11], s[6:7], v2, s12, 0
	v_add3_u32 v11, v11, v20, v19
	v_lshlrev_b64 v[10:11], 2, v[10:11]
	v_mov_b32_e32 v19, s15
	v_add_co_u32_e32 v10, vcc, s14, v10
	v_addc_co_u32_e32 v11, vcc, v19, v11, vcc
	s_mov_b64 s[36:37], 0
	s_mov_b64 s[46:47], s[12:13]
                                        ; implicit-def: $sgpr34_sgpr35
                                        ; implicit-def: $sgpr38_sgpr39
                                        ; implicit-def: $sgpr42_sgpr43
                                        ; implicit-def: $sgpr40_sgpr41
                                        ; implicit-def: $sgpr44_sgpr45
                                        ; implicit-def: $sgpr48_sgpr49
	s_branch .LBB873_459
.LBB873_458:                            ;   in Loop: Header=BB873_459 Depth=1
	s_or_b64 exec, exec, s[50:51]
	s_and_b64 s[8:9], exec, s[42:43]
	s_or_b64 s[36:37], s[8:9], s[36:37]
	s_andn2_b64 s[8:9], s[48:49], exec
	s_and_b64 s[48:49], s[44:45], exec
	s_or_b64 s[48:49], s[8:9], s[48:49]
	s_andn2_b64 s[8:9], s[38:39], exec
	s_and_b64 s[38:39], s[40:41], exec
	;; [unrolled: 3-line block ×3, first 2 shown]
	s_or_b64 s[34:35], s[8:9], s[6:7]
	s_andn2_b64 exec, exec, s[36:37]
	s_cbranch_execz .LBB873_461
.LBB873_459:                            ; =>This Inner Loop Header: Depth=1
	global_load_dword v19, v[8:9], off
	global_load_dword v20, v[10:11], off
	s_andn2_b64 s[44:45], s[44:45], exec
	s_or_b64 s[40:41], s[40:41], exec
	s_or_b64 s[42:43], s[42:43], exec
	s_waitcnt vmcnt(0)
	v_cmp_ngt_f32_e64 s[6:7], v19, v20
	v_cmp_lt_f32_e32 vcc, v19, v20
	s_and_b64 s[6:7], s[6:7], s[48:49]
	v_cmp_nlg_f32_e64 s[8:9], v19, v20
	s_or_b64 s[6:7], vcc, s[6:7]
	s_and_saveexec_b64 s[50:51], s[8:9]
	s_cbranch_execz .LBB873_458
; %bb.460:                              ;   in Loop: Header=BB873_459 Depth=1
	s_add_u32 s46, s46, -1
	s_addc_u32 s47, s47, -1
	v_add_co_u32_e32 v8, vcc, 4, v8
	s_cmp_eq_u64 s[46:47], 0
	v_addc_co_u32_e32 v9, vcc, 0, v9, vcc
	s_cselect_b64 s[8:9], -1, 0
	v_add_co_u32_e32 v10, vcc, 4, v10
	s_andn2_b64 s[44:45], s[44:45], exec
	s_and_b64 s[48:49], s[6:7], exec
	s_andn2_b64 s[42:43], s[42:43], exec
	s_and_b64 s[8:9], s[8:9], exec
	v_addc_co_u32_e32 v11, vcc, 0, v11, vcc
	s_or_b64 s[44:45], s[44:45], s[48:49]
	s_andn2_b64 s[40:41], s[40:41], exec
	s_or_b64 s[42:43], s[42:43], s[8:9]
                                        ; implicit-def: $sgpr48_sgpr49
	s_branch .LBB873_458
.LBB873_461:
	s_or_b64 exec, exec, s[36:37]
	s_and_saveexec_b64 s[6:7], s[38:39]
	s_xor_b64 s[6:7], exec, s[6:7]
; %bb.462:
	v_cndmask_b32_e64 v8, v5, v3, s[34:35]
	v_cndmask_b32_e64 v9, v4, v2, s[34:35]
	;; [unrolled: 1-line block ×4, first 2 shown]
	v_mov_b32_e32 v4, v9
	v_mov_b32_e32 v5, v8
; %bb.463:
	s_or_b64 exec, exec, s[6:7]
	s_or_b64 exec, exec, s[30:31]
	s_and_saveexec_b64 s[30:31], s[22:23]
	s_cbranch_execz .LBB873_455
.LBB873_464:
	v_mul_lo_u32 v10, v3, s12
	v_mul_lo_u32 v11, v2, s13
	v_mad_u64_u32 v[8:9], s[6:7], v2, s12, 0
	v_add3_u32 v9, v9, v11, v10
	v_lshlrev_b64 v[8:9], 2, v[8:9]
	v_mov_b32_e32 v10, s15
	v_add_co_u32_e32 v8, vcc, s14, v8
	v_addc_co_u32_e32 v9, vcc, v10, v9, vcc
	v_mul_lo_u32 v19, v1, s12
	v_mul_lo_u32 v20, v0, s13
	v_mad_u64_u32 v[10:11], s[6:7], v0, s12, 0
	v_add3_u32 v11, v11, v20, v19
	v_lshlrev_b64 v[10:11], 2, v[10:11]
	v_mov_b32_e32 v19, s15
	v_add_co_u32_e32 v10, vcc, s14, v10
	v_addc_co_u32_e32 v11, vcc, v19, v11, vcc
	s_mov_b64 s[34:35], 0
	s_mov_b64 s[44:45], s[12:13]
                                        ; implicit-def: $sgpr22_sgpr23
                                        ; implicit-def: $sgpr36_sgpr37
                                        ; implicit-def: $sgpr40_sgpr41
                                        ; implicit-def: $sgpr38_sgpr39
                                        ; implicit-def: $sgpr42_sgpr43
                                        ; implicit-def: $sgpr46_sgpr47
	s_branch .LBB873_466
.LBB873_465:                            ;   in Loop: Header=BB873_466 Depth=1
	s_or_b64 exec, exec, s[48:49]
	s_and_b64 s[8:9], exec, s[40:41]
	s_or_b64 s[34:35], s[8:9], s[34:35]
	s_andn2_b64 s[8:9], s[46:47], exec
	s_and_b64 s[46:47], s[42:43], exec
	s_or_b64 s[46:47], s[8:9], s[46:47]
	s_andn2_b64 s[8:9], s[36:37], exec
	s_and_b64 s[36:37], s[38:39], exec
	;; [unrolled: 3-line block ×3, first 2 shown]
	s_or_b64 s[22:23], s[8:9], s[6:7]
	s_andn2_b64 exec, exec, s[34:35]
	s_cbranch_execz .LBB873_468
.LBB873_466:                            ; =>This Inner Loop Header: Depth=1
	global_load_dword v19, v[8:9], off
	global_load_dword v20, v[10:11], off
	s_andn2_b64 s[42:43], s[42:43], exec
	s_or_b64 s[38:39], s[38:39], exec
	s_or_b64 s[40:41], s[40:41], exec
	s_waitcnt vmcnt(0)
	v_cmp_ngt_f32_e64 s[6:7], v19, v20
	v_cmp_lt_f32_e32 vcc, v19, v20
	s_and_b64 s[6:7], s[6:7], s[46:47]
	v_cmp_nlg_f32_e64 s[8:9], v19, v20
	s_or_b64 s[6:7], vcc, s[6:7]
	s_and_saveexec_b64 s[48:49], s[8:9]
	s_cbranch_execz .LBB873_465
; %bb.467:                              ;   in Loop: Header=BB873_466 Depth=1
	s_add_u32 s44, s44, -1
	s_addc_u32 s45, s45, -1
	v_add_co_u32_e32 v8, vcc, 4, v8
	s_cmp_eq_u64 s[44:45], 0
	v_addc_co_u32_e32 v9, vcc, 0, v9, vcc
	s_cselect_b64 s[8:9], -1, 0
	v_add_co_u32_e32 v10, vcc, 4, v10
	s_andn2_b64 s[42:43], s[42:43], exec
	s_and_b64 s[46:47], s[6:7], exec
	s_andn2_b64 s[40:41], s[40:41], exec
	s_and_b64 s[8:9], s[8:9], exec
	v_addc_co_u32_e32 v11, vcc, 0, v11, vcc
	s_or_b64 s[42:43], s[42:43], s[46:47]
	s_andn2_b64 s[38:39], s[38:39], exec
	s_or_b64 s[40:41], s[40:41], s[8:9]
                                        ; implicit-def: $sgpr46_sgpr47
	s_branch .LBB873_465
.LBB873_468:
	s_or_b64 exec, exec, s[34:35]
	s_and_saveexec_b64 s[6:7], s[36:37]
	s_xor_b64 s[6:7], exec, s[6:7]
	s_cbranch_execz .LBB873_470
; %bb.469:
	v_cndmask_b32_e64 v25, v1, v3, s[22:23]
	v_cndmask_b32_e64 v24, v0, v2, s[22:23]
	;; [unrolled: 1-line block ×4, first 2 shown]
	v_mov_b32_e32 v28, v4
	v_mov_b32_e32 v29, v5
	;; [unrolled: 1-line block ×4, first 2 shown]
	v_pk_mov_b32 v[0:1], v[24:25], v[24:25] op_sel:[0,1]
	v_pk_mov_b32 v[2:3], v[26:27], v[26:27] op_sel:[0,1]
	;; [unrolled: 1-line block ×4, first 2 shown]
.LBB873_470:
	s_or_b64 exec, exec, s[6:7]
	s_or_b64 exec, exec, s[30:31]
	s_and_saveexec_b64 s[22:23], s[26:27]
	s_cbranch_execz .LBB873_456
.LBB873_471:
	v_mul_lo_u32 v10, v7, s12
	v_mul_lo_u32 v11, v6, s13
	v_mad_u64_u32 v[8:9], s[6:7], v6, s12, 0
	v_add3_u32 v9, v9, v11, v10
	v_lshlrev_b64 v[8:9], 2, v[8:9]
	v_mov_b32_e32 v10, s15
	v_add_co_u32_e32 v8, vcc, s14, v8
	v_addc_co_u32_e32 v9, vcc, v10, v9, vcc
	v_mul_lo_u32 v19, v5, s12
	v_mul_lo_u32 v20, v4, s13
	v_mad_u64_u32 v[10:11], s[6:7], v4, s12, 0
	v_add3_u32 v11, v11, v20, v19
	v_lshlrev_b64 v[10:11], 2, v[10:11]
	v_mov_b32_e32 v19, s15
	v_add_co_u32_e32 v10, vcc, s14, v10
	v_addc_co_u32_e32 v11, vcc, v19, v11, vcc
	s_mov_b64 s[30:31], 0
	s_mov_b64 s[42:43], s[12:13]
                                        ; implicit-def: $sgpr26_sgpr27
                                        ; implicit-def: $sgpr34_sgpr35
                                        ; implicit-def: $sgpr38_sgpr39
                                        ; implicit-def: $sgpr36_sgpr37
                                        ; implicit-def: $sgpr40_sgpr41
                                        ; implicit-def: $sgpr44_sgpr45
	s_branch .LBB873_473
.LBB873_472:                            ;   in Loop: Header=BB873_473 Depth=1
	s_or_b64 exec, exec, s[46:47]
	s_and_b64 s[8:9], exec, s[38:39]
	s_or_b64 s[30:31], s[8:9], s[30:31]
	s_andn2_b64 s[8:9], s[44:45], exec
	s_and_b64 s[44:45], s[40:41], exec
	s_or_b64 s[44:45], s[8:9], s[44:45]
	s_andn2_b64 s[8:9], s[34:35], exec
	s_and_b64 s[34:35], s[36:37], exec
	;; [unrolled: 3-line block ×3, first 2 shown]
	s_or_b64 s[26:27], s[8:9], s[6:7]
	s_andn2_b64 exec, exec, s[30:31]
	s_cbranch_execz .LBB873_475
.LBB873_473:                            ; =>This Inner Loop Header: Depth=1
	global_load_dword v19, v[8:9], off
	global_load_dword v20, v[10:11], off
	s_andn2_b64 s[40:41], s[40:41], exec
	s_or_b64 s[36:37], s[36:37], exec
	s_or_b64 s[38:39], s[38:39], exec
	s_waitcnt vmcnt(0)
	v_cmp_ngt_f32_e64 s[6:7], v19, v20
	v_cmp_lt_f32_e32 vcc, v19, v20
	s_and_b64 s[6:7], s[6:7], s[44:45]
	v_cmp_nlg_f32_e64 s[8:9], v19, v20
	s_or_b64 s[6:7], vcc, s[6:7]
	s_and_saveexec_b64 s[46:47], s[8:9]
	s_cbranch_execz .LBB873_472
; %bb.474:                              ;   in Loop: Header=BB873_473 Depth=1
	s_add_u32 s42, s42, -1
	s_addc_u32 s43, s43, -1
	v_add_co_u32_e32 v8, vcc, 4, v8
	s_cmp_eq_u64 s[42:43], 0
	v_addc_co_u32_e32 v9, vcc, 0, v9, vcc
	s_cselect_b64 s[8:9], -1, 0
	v_add_co_u32_e32 v10, vcc, 4, v10
	s_andn2_b64 s[40:41], s[40:41], exec
	s_and_b64 s[44:45], s[6:7], exec
	s_andn2_b64 s[38:39], s[38:39], exec
	s_and_b64 s[8:9], s[8:9], exec
	v_addc_co_u32_e32 v11, vcc, 0, v11, vcc
	s_or_b64 s[40:41], s[40:41], s[44:45]
	s_andn2_b64 s[36:37], s[36:37], exec
	s_or_b64 s[38:39], s[38:39], s[8:9]
                                        ; implicit-def: $sgpr44_sgpr45
	s_branch .LBB873_472
.LBB873_475:
	s_or_b64 exec, exec, s[30:31]
	s_and_saveexec_b64 s[6:7], s[34:35]
	s_xor_b64 s[6:7], exec, s[6:7]
; %bb.476:
	v_cndmask_b32_e64 v8, v7, v5, s[26:27]
	v_cndmask_b32_e64 v9, v6, v4, s[26:27]
	v_cndmask_b32_e64 v5, v5, v7, s[26:27]
	v_cndmask_b32_e64 v4, v4, v6, s[26:27]
	v_mov_b32_e32 v6, v9
	v_mov_b32_e32 v7, v8
; %bb.477:
	s_or_b64 exec, exec, s[6:7]
	s_or_b64 exec, exec, s[22:23]
	s_and_saveexec_b64 s[22:23], s[28:29]
	s_cbranch_execz .LBB873_485
.LBB873_478:
	v_mul_lo_u32 v10, v5, s12
	v_mul_lo_u32 v11, v4, s13
	v_mad_u64_u32 v[8:9], s[6:7], v4, s12, 0
	v_add3_u32 v9, v9, v11, v10
	v_lshlrev_b64 v[8:9], 2, v[8:9]
	v_mov_b32_e32 v10, s15
	v_add_co_u32_e32 v8, vcc, s14, v8
	v_addc_co_u32_e32 v9, vcc, v10, v9, vcc
	v_mul_lo_u32 v19, v3, s12
	v_mul_lo_u32 v20, v2, s13
	v_mad_u64_u32 v[10:11], s[6:7], v2, s12, 0
	v_add3_u32 v11, v11, v20, v19
	v_lshlrev_b64 v[10:11], 2, v[10:11]
	v_mov_b32_e32 v19, s15
	v_add_co_u32_e32 v10, vcc, s14, v10
	v_addc_co_u32_e32 v11, vcc, v19, v11, vcc
	s_mov_b64 s[28:29], 0
	s_mov_b64 s[40:41], s[12:13]
                                        ; implicit-def: $sgpr26_sgpr27
                                        ; implicit-def: $sgpr30_sgpr31
                                        ; implicit-def: $sgpr36_sgpr37
                                        ; implicit-def: $sgpr34_sgpr35
                                        ; implicit-def: $sgpr38_sgpr39
                                        ; implicit-def: $sgpr42_sgpr43
	s_branch .LBB873_480
.LBB873_479:                            ;   in Loop: Header=BB873_480 Depth=1
	s_or_b64 exec, exec, s[44:45]
	s_and_b64 s[8:9], exec, s[36:37]
	s_or_b64 s[28:29], s[8:9], s[28:29]
	s_andn2_b64 s[8:9], s[42:43], exec
	s_and_b64 s[42:43], s[38:39], exec
	s_or_b64 s[42:43], s[8:9], s[42:43]
	s_andn2_b64 s[8:9], s[30:31], exec
	s_and_b64 s[30:31], s[34:35], exec
	;; [unrolled: 3-line block ×3, first 2 shown]
	s_or_b64 s[26:27], s[8:9], s[6:7]
	s_andn2_b64 exec, exec, s[28:29]
	s_cbranch_execz .LBB873_482
.LBB873_480:                            ; =>This Inner Loop Header: Depth=1
	global_load_dword v19, v[8:9], off
	global_load_dword v20, v[10:11], off
	s_andn2_b64 s[38:39], s[38:39], exec
	s_or_b64 s[34:35], s[34:35], exec
	s_or_b64 s[36:37], s[36:37], exec
	s_waitcnt vmcnt(0)
	v_cmp_ngt_f32_e64 s[6:7], v19, v20
	v_cmp_lt_f32_e32 vcc, v19, v20
	s_and_b64 s[6:7], s[6:7], s[42:43]
	v_cmp_nlg_f32_e64 s[8:9], v19, v20
	s_or_b64 s[6:7], vcc, s[6:7]
	s_and_saveexec_b64 s[44:45], s[8:9]
	s_cbranch_execz .LBB873_479
; %bb.481:                              ;   in Loop: Header=BB873_480 Depth=1
	s_add_u32 s40, s40, -1
	s_addc_u32 s41, s41, -1
	v_add_co_u32_e32 v8, vcc, 4, v8
	s_cmp_eq_u64 s[40:41], 0
	v_addc_co_u32_e32 v9, vcc, 0, v9, vcc
	s_cselect_b64 s[8:9], -1, 0
	v_add_co_u32_e32 v10, vcc, 4, v10
	s_andn2_b64 s[38:39], s[38:39], exec
	s_and_b64 s[42:43], s[6:7], exec
	s_andn2_b64 s[36:37], s[36:37], exec
	s_and_b64 s[8:9], s[8:9], exec
	v_addc_co_u32_e32 v11, vcc, 0, v11, vcc
	s_or_b64 s[38:39], s[38:39], s[42:43]
	s_andn2_b64 s[34:35], s[34:35], exec
	s_or_b64 s[36:37], s[36:37], s[8:9]
                                        ; implicit-def: $sgpr42_sgpr43
	s_branch .LBB873_479
.LBB873_482:
	s_or_b64 exec, exec, s[28:29]
	s_and_saveexec_b64 s[6:7], s[30:31]
	s_xor_b64 s[6:7], exec, s[6:7]
; %bb.483:
	v_cndmask_b32_e64 v8, v5, v3, s[26:27]
	v_cndmask_b32_e64 v9, v4, v2, s[26:27]
	;; [unrolled: 1-line block ×4, first 2 shown]
	v_mov_b32_e32 v4, v9
	v_mov_b32_e32 v5, v8
; %bb.484:
	s_or_b64 exec, exec, s[6:7]
.LBB873_485:
	s_or_b64 exec, exec, s[22:23]
	v_mbcnt_lo_u32_b32 v8, -1, 0
	v_mbcnt_hi_u32_b32 v8, -1, v8
	v_and_b32_e32 v9, 0xffffff00, v18
	v_lshlrev_b32_e32 v18, 3, v9
	v_lshlrev_b32_e32 v20, 2, v8
	v_sub_u32_e64 v19, s33, v9 clamp
	v_lshl_add_u32 v21, v8, 5, v18
	v_or_b32_e32 v8, 4, v20
	v_min_u32_e32 v24, v19, v8
	v_add_u32_e32 v8, 4, v24
	v_and_b32_e32 v28, 0x1f8, v20
	v_min_u32_e32 v25, v19, v8
	v_and_b32_e32 v8, 4, v20
	v_min_u32_e32 v29, v19, v8
	v_sub_u32_e32 v8, v24, v28
	v_sub_u32_e32 v9, v25, v24
	v_sub_u32_e64 v27, v29, v9 clamp
	v_min_u32_e32 v30, v29, v8
	v_cndmask_b32_e64 v8, 0, 1, s[10:11]
	v_lshl_add_u32 v26, v28, 3, v18
	v_cmp_lt_u32_e32 vcc, v27, v30
	v_cmp_ne_u32_e64 s[6:7], 1, v8
	ds_write_b128 v21, v[0:3]
	ds_write_b128 v21, v[4:7] offset:16
	; wave barrier
	s_and_saveexec_b64 s[22:23], vcc
	s_cbranch_execz .LBB873_495
; %bb.486:
	v_lshlrev_b32_e32 v8, 3, v24
	v_lshlrev_b32_e32 v9, 3, v29
	v_add3_u32 v31, v18, v8, v9
	s_lshl_b64 s[28:29], s[12:13], 2
	s_mov_b64 s[26:27], 0
	s_branch .LBB873_489
.LBB873_487:                            ;   in Loop: Header=BB873_489 Depth=1
	s_or_b64 exec, exec, s[34:35]
.LBB873_488:                            ;   in Loop: Header=BB873_489 Depth=1
	v_add_u32_e32 v8, 1, v32
	v_cndmask_b32_e64 v30, v30, v32, s[30:31]
	v_cndmask_b32_e64 v27, v8, v27, s[30:31]
	v_cmp_ge_u32_e32 vcc, v27, v30
	s_or_b64 s[26:27], vcc, s[26:27]
	s_andn2_b64 exec, exec, s[26:27]
	s_cbranch_execz .LBB873_494
.LBB873_489:                            ; =>This Loop Header: Depth=1
                                        ;     Child Loop BB873_492 Depth 2
	v_add_u32_e32 v8, v30, v27
	v_lshrrev_b32_e32 v32, 1, v8
	s_and_b64 vcc, exec, s[6:7]
	s_mov_b64 s[30:31], 0
	s_cbranch_vccnz .LBB873_488
; %bb.490:                              ;   in Loop: Header=BB873_489 Depth=1
	v_not_b32_e32 v8, v32
	v_lshl_add_u32 v8, v8, 3, v31
	ds_read_b64 v[8:9], v8
	v_lshl_add_u32 v33, v32, 3, v26
	ds_read_b64 v[34:35], v33
	v_pk_mov_b32 v[10:11], s[14:15], s[14:15] op_sel:[0,1]
	s_mov_b64 s[34:35], 0
	s_waitcnt lgkmcnt(1)
	v_mul_lo_u32 v33, s28, v9
	v_mul_lo_u32 v36, s29, v8
	v_mad_u64_u32 v[8:9], s[8:9], s28, v8, v[10:11]
	v_add3_u32 v9, v36, v9, v33
	s_waitcnt lgkmcnt(0)
	v_mul_lo_u32 v33, s28, v35
	v_mul_lo_u32 v35, s29, v34
	v_mad_u64_u32 v[10:11], s[8:9], s28, v34, v[10:11]
	v_add3_u32 v11, v35, v11, v33
	s_mov_b64 s[40:41], s[12:13]
                                        ; implicit-def: $sgpr30_sgpr31
                                        ; implicit-def: $sgpr36_sgpr37
                                        ; implicit-def: $sgpr38_sgpr39
                                        ; implicit-def: $sgpr8_sgpr9
                                        ; implicit-def: $sgpr42_sgpr43
	s_branch .LBB873_492
.LBB873_491:                            ;   in Loop: Header=BB873_492 Depth=2
	s_or_b64 exec, exec, s[44:45]
	s_and_b64 s[10:11], exec, s[36:37]
	s_or_b64 s[34:35], s[10:11], s[34:35]
	s_andn2_b64 s[10:11], s[42:43], exec
	s_and_b64 s[42:43], s[38:39], exec
	s_or_b64 s[42:43], s[10:11], s[42:43]
	s_andn2_b64 s[10:11], s[30:31], exec
	s_and_b64 s[30:31], s[8:9], exec
	s_or_b64 s[30:31], s[10:11], s[30:31]
	s_andn2_b64 exec, exec, s[34:35]
	s_cbranch_execz .LBB873_487
.LBB873_492:                            ;   Parent Loop BB873_489 Depth=1
                                        ; =>  This Inner Loop Header: Depth=2
	global_load_dword v33, v[8:9], off
	global_load_dword v34, v[10:11], off
	s_andn2_b64 s[44:45], s[8:9], exec
	s_andn2_b64 s[38:39], s[38:39], exec
	s_or_b64 s[36:37], s[36:37], exec
	s_waitcnt vmcnt(0)
	v_cmp_ngt_f32_e64 s[8:9], v33, v34
	v_cmp_lt_f32_e32 vcc, v33, v34
	s_and_b64 s[8:9], s[8:9], s[42:43]
	s_or_b64 s[46:47], vcc, s[8:9]
	s_and_b64 s[8:9], s[46:47], exec
	v_cmp_nlg_f32_e64 s[10:11], v33, v34
	s_or_b64 s[8:9], s[44:45], s[8:9]
	s_and_saveexec_b64 s[44:45], s[10:11]
	s_cbranch_execz .LBB873_491
; %bb.493:                              ;   in Loop: Header=BB873_492 Depth=2
	s_add_u32 s40, s40, -1
	s_addc_u32 s41, s41, -1
	v_add_co_u32_e32 v8, vcc, 4, v8
	s_cmp_eq_u64 s[40:41], 0
	v_addc_co_u32_e32 v9, vcc, 0, v9, vcc
	s_cselect_b64 s[10:11], -1, 0
	v_add_co_u32_e32 v10, vcc, 4, v10
	s_andn2_b64 s[38:39], s[38:39], exec
	s_and_b64 s[42:43], s[46:47], exec
	s_andn2_b64 s[36:37], s[36:37], exec
	s_and_b64 s[10:11], s[10:11], exec
	v_addc_co_u32_e32 v11, vcc, 0, v11, vcc
	s_andn2_b64 s[8:9], s[8:9], exec
	s_or_b64 s[38:39], s[38:39], s[42:43]
	s_or_b64 s[36:37], s[36:37], s[10:11]
                                        ; implicit-def: $sgpr42_sgpr43
	s_branch .LBB873_491
.LBB873_494:
	s_or_b64 exec, exec, s[26:27]
.LBB873_495:
	s_or_b64 exec, exec, s[22:23]
	v_add_u32_e32 v9, v24, v29
	v_add_u32_e32 v8, v27, v28
	v_sub_u32_e32 v9, v9, v27
	v_cmp_le_u32_e32 vcc, v8, v24
	v_cmp_le_u32_e64 s[8:9], v9, v25
	s_or_b64 s[8:9], vcc, s[8:9]
	s_and_saveexec_b64 s[22:23], s[8:9]
	s_cbranch_execz .LBB873_531
; %bb.496:
	v_cmp_ge_u32_e32 vcc, v8, v24
	v_cmp_lt_u32_e64 s[8:9], v8, v24
                                        ; implicit-def: $vgpr0_vgpr1
	s_and_saveexec_b64 s[10:11], s[8:9]
	s_cbranch_execz .LBB873_498
; %bb.497:
	v_lshl_add_u32 v0, v27, 3, v26
	ds_read_b64 v[0:1], v0
.LBB873_498:
	s_or_b64 exec, exec, s[10:11]
	v_cmp_ge_u32_e64 s[8:9], v9, v25
	v_cmp_lt_u32_e64 s[10:11], v9, v25
                                        ; implicit-def: $vgpr2_vgpr3
	s_and_saveexec_b64 s[26:27], s[10:11]
	s_cbranch_execz .LBB873_500
; %bb.499:
	v_lshl_add_u32 v2, v9, 3, v18
	ds_read_b64 v[2:3], v2
.LBB873_500:
	s_or_b64 exec, exec, s[26:27]
	s_or_b64 s[10:11], vcc, s[8:9]
	s_or_b64 s[10:11], s[10:11], s[18:19]
	s_xor_b64 s[26:27], vcc, -1
	s_xor_b64 s[10:11], s[10:11], -1
	s_or_b64 s[26:27], s[8:9], s[26:27]
	s_and_saveexec_b64 s[28:29], s[10:11]
	s_cbranch_execz .LBB873_506
; %bb.501:
	s_waitcnt lgkmcnt(0)
	v_mul_lo_u32 v6, v3, s12
	v_mul_lo_u32 v7, v2, s13
	v_mad_u64_u32 v[4:5], s[8:9], v2, s12, 0
	v_add3_u32 v5, v5, v7, v6
	v_lshlrev_b64 v[4:5], 2, v[4:5]
	v_mov_b32_e32 v6, s15
	v_add_co_u32_e32 v4, vcc, s14, v4
	v_addc_co_u32_e32 v5, vcc, v6, v5, vcc
	v_mul_lo_u32 v10, v1, s12
	v_mul_lo_u32 v11, v0, s13
	v_mad_u64_u32 v[6:7], s[8:9], v0, s12, 0
	v_add3_u32 v7, v7, v11, v10
	v_lshlrev_b64 v[6:7], 2, v[6:7]
	v_mov_b32_e32 v10, s15
	v_add_co_u32_e32 v6, vcc, s14, v6
	v_addc_co_u32_e32 v7, vcc, v10, v7, vcc
	s_mov_b64 s[30:31], 0
	s_mov_b64 s[40:41], s[12:13]
                                        ; implicit-def: $sgpr34_sgpr35
                                        ; implicit-def: $sgpr36_sgpr37
                                        ; implicit-def: $sgpr8_sgpr9
                                        ; implicit-def: $sgpr38_sgpr39
                                        ; implicit-def: $sgpr42_sgpr43
	s_branch .LBB873_503
.LBB873_502:                            ;   in Loop: Header=BB873_503 Depth=1
	s_or_b64 exec, exec, s[44:45]
	s_and_b64 s[10:11], exec, s[36:37]
	s_or_b64 s[30:31], s[10:11], s[30:31]
	s_andn2_b64 s[10:11], s[42:43], exec
	s_and_b64 s[42:43], s[38:39], exec
	s_or_b64 s[42:43], s[10:11], s[42:43]
	s_andn2_b64 s[10:11], s[34:35], exec
	s_and_b64 s[34:35], s[8:9], exec
	s_or_b64 s[34:35], s[10:11], s[34:35]
	s_andn2_b64 exec, exec, s[30:31]
	s_cbranch_execz .LBB873_505
.LBB873_503:                            ; =>This Inner Loop Header: Depth=1
	global_load_dword v10, v[4:5], off
	global_load_dword v11, v[6:7], off
	s_andn2_b64 s[44:45], s[8:9], exec
	s_andn2_b64 s[38:39], s[38:39], exec
	s_or_b64 s[36:37], s[36:37], exec
	s_waitcnt vmcnt(0)
	v_cmp_ngt_f32_e64 s[8:9], v10, v11
	v_cmp_lt_f32_e32 vcc, v10, v11
	s_and_b64 s[8:9], s[8:9], s[42:43]
	s_or_b64 s[46:47], vcc, s[8:9]
	s_and_b64 s[8:9], s[46:47], exec
	v_cmp_nlg_f32_e64 s[10:11], v10, v11
	s_or_b64 s[8:9], s[44:45], s[8:9]
	s_and_saveexec_b64 s[44:45], s[10:11]
	s_cbranch_execz .LBB873_502
; %bb.504:                              ;   in Loop: Header=BB873_503 Depth=1
	s_add_u32 s40, s40, -1
	s_addc_u32 s41, s41, -1
	v_add_co_u32_e32 v4, vcc, 4, v4
	s_cmp_eq_u64 s[40:41], 0
	v_addc_co_u32_e32 v5, vcc, 0, v5, vcc
	s_cselect_b64 s[10:11], -1, 0
	v_add_co_u32_e32 v6, vcc, 4, v6
	s_andn2_b64 s[38:39], s[38:39], exec
	s_and_b64 s[42:43], s[46:47], exec
	s_andn2_b64 s[36:37], s[36:37], exec
	s_and_b64 s[10:11], s[10:11], exec
	v_addc_co_u32_e32 v7, vcc, 0, v7, vcc
	s_or_b64 s[38:39], s[38:39], s[42:43]
	s_andn2_b64 s[8:9], s[8:9], exec
	s_or_b64 s[36:37], s[36:37], s[10:11]
                                        ; implicit-def: $sgpr42_sgpr43
	s_branch .LBB873_502
.LBB873_505:
	s_or_b64 exec, exec, s[30:31]
	s_xor_b64 s[8:9], s[34:35], -1
	s_andn2_b64 s[10:11], s[26:27], exec
	s_and_b64 s[8:9], s[8:9], exec
	s_or_b64 s[26:27], s[10:11], s[8:9]
.LBB873_506:
	s_or_b64 exec, exec, s[28:29]
	v_cndmask_b32_e64 v4, v9, v8, s[26:27]
	v_cndmask_b32_e64 v5, v25, v24, s[26:27]
	v_add_u32_e32 v6, 1, v4
	v_add_u32_e32 v4, -1, v5
	v_min_u32_e32 v4, v6, v4
	v_lshl_add_u32 v4, v4, 3, v18
	ds_read_b64 v[4:5], v4
	v_cndmask_b32_e64 v9, v6, v9, s[26:27]
	v_cndmask_b32_e64 v8, v8, v6, s[26:27]
	v_cmp_lt_u32_e32 vcc, v9, v25
	s_mov_b64 s[28:29], -1
	s_waitcnt lgkmcnt(0)
	v_cndmask_b32_e64 v10, v5, v3, s[26:27]
	v_cndmask_b32_e64 v11, v4, v2, s[26:27]
	;; [unrolled: 1-line block ×4, first 2 shown]
	s_mov_b64 s[30:31], -1
	s_and_saveexec_b64 s[34:35], vcc
	s_cbranch_execz .LBB873_514
; %bb.507:
	v_cmp_lt_u32_e64 s[30:31], v8, v24
	s_and_b64 s[8:9], s[30:31], s[20:21]
	s_and_saveexec_b64 s[36:37], s[8:9]
	s_cbranch_execz .LBB873_513
; %bb.508:
	v_mul_lo_u32 v6, v10, s12
	v_mul_lo_u32 v7, v11, s13
	v_mad_u64_u32 v[4:5], s[8:9], v11, s12, 0
	v_add3_u32 v5, v5, v7, v6
	v_lshlrev_b64 v[4:5], 2, v[4:5]
	v_mov_b32_e32 v6, s15
	v_add_co_u32_e32 v4, vcc, s14, v4
	v_addc_co_u32_e32 v5, vcc, v6, v5, vcc
	v_mul_lo_u32 v28, v26, s12
	v_mul_lo_u32 v29, v27, s13
	v_mad_u64_u32 v[6:7], s[8:9], v27, s12, 0
	v_add3_u32 v7, v7, v29, v28
	v_lshlrev_b64 v[6:7], 2, v[6:7]
	v_mov_b32_e32 v28, s15
	v_add_co_u32_e32 v6, vcc, s14, v6
	v_addc_co_u32_e32 v7, vcc, v28, v7, vcc
	s_mov_b64 s[38:39], 0
	s_mov_b64 s[46:47], s[12:13]
                                        ; implicit-def: $sgpr40_sgpr41
                                        ; implicit-def: $sgpr42_sgpr43
                                        ; implicit-def: $sgpr8_sgpr9
                                        ; implicit-def: $sgpr44_sgpr45
                                        ; implicit-def: $sgpr48_sgpr49
	s_branch .LBB873_510
.LBB873_509:                            ;   in Loop: Header=BB873_510 Depth=1
	s_or_b64 exec, exec, s[50:51]
	s_and_b64 s[10:11], exec, s[42:43]
	s_or_b64 s[38:39], s[10:11], s[38:39]
	s_andn2_b64 s[10:11], s[48:49], exec
	s_and_b64 s[48:49], s[44:45], exec
	s_or_b64 s[48:49], s[10:11], s[48:49]
	s_andn2_b64 s[10:11], s[40:41], exec
	s_and_b64 s[40:41], s[8:9], exec
	s_or_b64 s[40:41], s[10:11], s[40:41]
	s_andn2_b64 exec, exec, s[38:39]
	s_cbranch_execz .LBB873_512
.LBB873_510:                            ; =>This Inner Loop Header: Depth=1
	global_load_dword v28, v[4:5], off
	global_load_dword v29, v[6:7], off
	s_andn2_b64 s[50:51], s[8:9], exec
	s_andn2_b64 s[44:45], s[44:45], exec
	s_or_b64 s[42:43], s[42:43], exec
	s_waitcnt vmcnt(0)
	v_cmp_ngt_f32_e64 s[8:9], v28, v29
	v_cmp_lt_f32_e32 vcc, v28, v29
	s_and_b64 s[8:9], s[8:9], s[48:49]
	s_or_b64 s[52:53], vcc, s[8:9]
	s_and_b64 s[8:9], s[52:53], exec
	v_cmp_nlg_f32_e64 s[10:11], v28, v29
	s_or_b64 s[8:9], s[50:51], s[8:9]
	s_and_saveexec_b64 s[50:51], s[10:11]
	s_cbranch_execz .LBB873_509
; %bb.511:                              ;   in Loop: Header=BB873_510 Depth=1
	s_add_u32 s46, s46, -1
	s_addc_u32 s47, s47, -1
	v_add_co_u32_e32 v4, vcc, 4, v4
	s_cmp_eq_u64 s[46:47], 0
	v_addc_co_u32_e32 v5, vcc, 0, v5, vcc
	s_cselect_b64 s[10:11], -1, 0
	v_add_co_u32_e32 v6, vcc, 4, v6
	s_andn2_b64 s[44:45], s[44:45], exec
	s_and_b64 s[48:49], s[52:53], exec
	s_andn2_b64 s[42:43], s[42:43], exec
	s_and_b64 s[10:11], s[10:11], exec
	v_addc_co_u32_e32 v7, vcc, 0, v7, vcc
	s_or_b64 s[44:45], s[44:45], s[48:49]
	s_andn2_b64 s[8:9], s[8:9], exec
	s_or_b64 s[42:43], s[42:43], s[10:11]
                                        ; implicit-def: $sgpr48_sgpr49
	s_branch .LBB873_509
.LBB873_512:
	s_or_b64 exec, exec, s[38:39]
	s_xor_b64 s[8:9], s[40:41], -1
	s_andn2_b64 s[10:11], s[30:31], exec
	s_and_b64 s[8:9], s[8:9], exec
	s_or_b64 s[30:31], s[10:11], s[8:9]
.LBB873_513:
	s_or_b64 exec, exec, s[36:37]
	s_orn2_b64 s[30:31], s[30:31], exec
.LBB873_514:
	s_or_b64 exec, exec, s[34:35]
	v_cndmask_b32_e64 v4, v9, v8, s[30:31]
	v_cndmask_b32_e64 v5, v25, v24, s[30:31]
	v_add_u32_e32 v6, 1, v4
	v_add_u32_e32 v4, -1, v5
	v_min_u32_e32 v4, v6, v4
	v_lshl_add_u32 v4, v4, 3, v18
	ds_read_b64 v[4:5], v4
	v_cndmask_b32_e64 v9, v6, v9, s[30:31]
	v_cndmask_b32_e64 v8, v8, v6, s[30:31]
	v_cmp_lt_u32_e32 vcc, v9, v25
	s_waitcnt lgkmcnt(0)
	v_cndmask_b32_e64 v28, v5, v10, s[30:31]
	v_cndmask_b32_e64 v29, v4, v11, s[30:31]
	;; [unrolled: 1-line block ×4, first 2 shown]
	s_and_saveexec_b64 s[34:35], vcc
	s_cbranch_execz .LBB873_522
; %bb.515:
	v_cmp_lt_u32_e64 s[28:29], v8, v24
	s_and_b64 s[8:9], s[28:29], s[20:21]
	s_and_saveexec_b64 s[36:37], s[8:9]
	s_cbranch_execz .LBB873_521
; %bb.516:
	v_mul_lo_u32 v6, v28, s12
	v_mul_lo_u32 v7, v29, s13
	v_mad_u64_u32 v[4:5], s[8:9], v29, s12, 0
	v_add3_u32 v5, v5, v7, v6
	v_lshlrev_b64 v[4:5], 2, v[4:5]
	v_mov_b32_e32 v6, s15
	v_add_co_u32_e32 v4, vcc, s14, v4
	v_addc_co_u32_e32 v5, vcc, v6, v5, vcc
	v_mul_lo_u32 v32, v30, s12
	v_mul_lo_u32 v33, v31, s13
	v_mad_u64_u32 v[6:7], s[8:9], v31, s12, 0
	v_add3_u32 v7, v7, v33, v32
	v_lshlrev_b64 v[6:7], 2, v[6:7]
	v_mov_b32_e32 v32, s15
	v_add_co_u32_e32 v6, vcc, s14, v6
	v_addc_co_u32_e32 v7, vcc, v32, v7, vcc
	s_mov_b64 s[38:39], 0
	s_mov_b64 s[46:47], s[12:13]
                                        ; implicit-def: $sgpr40_sgpr41
                                        ; implicit-def: $sgpr42_sgpr43
                                        ; implicit-def: $sgpr8_sgpr9
                                        ; implicit-def: $sgpr44_sgpr45
                                        ; implicit-def: $sgpr48_sgpr49
	s_branch .LBB873_518
.LBB873_517:                            ;   in Loop: Header=BB873_518 Depth=1
	s_or_b64 exec, exec, s[50:51]
	s_and_b64 s[10:11], exec, s[42:43]
	s_or_b64 s[38:39], s[10:11], s[38:39]
	s_andn2_b64 s[10:11], s[48:49], exec
	s_and_b64 s[48:49], s[44:45], exec
	s_or_b64 s[48:49], s[10:11], s[48:49]
	s_andn2_b64 s[10:11], s[40:41], exec
	s_and_b64 s[40:41], s[8:9], exec
	s_or_b64 s[40:41], s[10:11], s[40:41]
	s_andn2_b64 exec, exec, s[38:39]
	s_cbranch_execz .LBB873_520
.LBB873_518:                            ; =>This Inner Loop Header: Depth=1
	global_load_dword v32, v[4:5], off
	global_load_dword v33, v[6:7], off
	s_andn2_b64 s[50:51], s[8:9], exec
	s_andn2_b64 s[44:45], s[44:45], exec
	s_or_b64 s[42:43], s[42:43], exec
	s_waitcnt vmcnt(0)
	v_cmp_ngt_f32_e64 s[8:9], v32, v33
	v_cmp_lt_f32_e32 vcc, v32, v33
	s_and_b64 s[8:9], s[8:9], s[48:49]
	s_or_b64 s[52:53], vcc, s[8:9]
	s_and_b64 s[8:9], s[52:53], exec
	v_cmp_nlg_f32_e64 s[10:11], v32, v33
	s_or_b64 s[8:9], s[50:51], s[8:9]
	s_and_saveexec_b64 s[50:51], s[10:11]
	s_cbranch_execz .LBB873_517
; %bb.519:                              ;   in Loop: Header=BB873_518 Depth=1
	s_add_u32 s46, s46, -1
	s_addc_u32 s47, s47, -1
	v_add_co_u32_e32 v4, vcc, 4, v4
	s_cmp_eq_u64 s[46:47], 0
	v_addc_co_u32_e32 v5, vcc, 0, v5, vcc
	s_cselect_b64 s[10:11], -1, 0
	v_add_co_u32_e32 v6, vcc, 4, v6
	s_andn2_b64 s[44:45], s[44:45], exec
	s_and_b64 s[48:49], s[52:53], exec
	s_andn2_b64 s[42:43], s[42:43], exec
	s_and_b64 s[10:11], s[10:11], exec
	v_addc_co_u32_e32 v7, vcc, 0, v7, vcc
	s_or_b64 s[44:45], s[44:45], s[48:49]
	s_andn2_b64 s[8:9], s[8:9], exec
	s_or_b64 s[42:43], s[42:43], s[10:11]
                                        ; implicit-def: $sgpr48_sgpr49
	s_branch .LBB873_517
.LBB873_520:
	s_or_b64 exec, exec, s[38:39]
	s_xor_b64 s[8:9], s[40:41], -1
	s_andn2_b64 s[10:11], s[28:29], exec
	s_and_b64 s[8:9], s[8:9], exec
	s_or_b64 s[28:29], s[10:11], s[8:9]
.LBB873_521:
	s_or_b64 exec, exec, s[36:37]
	s_orn2_b64 s[28:29], s[28:29], exec
.LBB873_522:
	s_or_b64 exec, exec, s[34:35]
	v_cndmask_b32_e64 v4, v9, v8, s[28:29]
	v_cndmask_b32_e64 v5, v25, v24, s[28:29]
	v_add_u32_e32 v33, 1, v4
	v_add_u32_e32 v4, -1, v5
	v_min_u32_e32 v4, v33, v4
	v_lshl_add_u32 v4, v4, 3, v18
	ds_read_b64 v[4:5], v4
	v_cndmask_b32_e64 v9, v33, v9, s[28:29]
	v_cmp_lt_u32_e32 vcc, v9, v25
	s_waitcnt lgkmcnt(0)
	v_cndmask_b32_e64 v7, v30, v5, s[28:29]
	v_cndmask_b32_e64 v6, v31, v4, s[28:29]
	s_and_saveexec_b64 s[34:35], vcc
	s_cbranch_execz .LBB873_530
; %bb.523:
	v_cndmask_b32_e64 v32, v4, v29, s[28:29]
	v_cndmask_b32_e64 v4, v8, v33, s[28:29]
	v_cmp_ge_u32_e32 vcc, v4, v24
	v_cndmask_b32_e64 v25, v5, v28, s[28:29]
	s_or_b64 s[8:9], vcc, s[18:19]
	v_cndmask_b32_e32 v5, v7, v25, vcc
	s_xor_b64 s[8:9], s[8:9], -1
	v_cndmask_b32_e32 v4, v6, v32, vcc
	s_and_saveexec_b64 s[36:37], s[8:9]
	s_cbranch_execz .LBB873_529
; %bb.524:
	v_mul_lo_u32 v8, v25, s12
	v_mul_lo_u32 v9, v32, s13
	v_mad_u64_u32 v[4:5], s[8:9], v32, s12, 0
	v_add3_u32 v5, v5, v9, v8
	v_lshlrev_b64 v[4:5], 2, v[4:5]
	v_mov_b32_e32 v8, s15
	v_add_co_u32_e32 v4, vcc, s14, v4
	v_addc_co_u32_e32 v5, vcc, v8, v5, vcc
	v_mul_lo_u32 v24, v7, s12
	v_mul_lo_u32 v33, v6, s13
	v_mad_u64_u32 v[8:9], s[8:9], v6, s12, 0
	v_add3_u32 v9, v9, v33, v24
	v_lshlrev_b64 v[8:9], 2, v[8:9]
	v_mov_b32_e32 v24, s15
	v_add_co_u32_e32 v8, vcc, s14, v8
	v_addc_co_u32_e32 v9, vcc, v24, v9, vcc
	s_mov_b64 s[38:39], 0
	s_mov_b64 s[46:47], s[12:13]
                                        ; implicit-def: $sgpr40_sgpr41
                                        ; implicit-def: $sgpr42_sgpr43
                                        ; implicit-def: $sgpr8_sgpr9
                                        ; implicit-def: $sgpr44_sgpr45
                                        ; implicit-def: $sgpr48_sgpr49
	s_branch .LBB873_526
.LBB873_525:                            ;   in Loop: Header=BB873_526 Depth=1
	s_or_b64 exec, exec, s[50:51]
	s_and_b64 s[10:11], exec, s[42:43]
	s_or_b64 s[38:39], s[10:11], s[38:39]
	s_andn2_b64 s[10:11], s[48:49], exec
	s_and_b64 s[48:49], s[44:45], exec
	s_or_b64 s[48:49], s[10:11], s[48:49]
	s_andn2_b64 s[10:11], s[40:41], exec
	s_and_b64 s[40:41], s[8:9], exec
	s_or_b64 s[40:41], s[10:11], s[40:41]
	s_andn2_b64 exec, exec, s[38:39]
	s_cbranch_execz .LBB873_528
.LBB873_526:                            ; =>This Inner Loop Header: Depth=1
	global_load_dword v24, v[4:5], off
	global_load_dword v33, v[8:9], off
	s_andn2_b64 s[50:51], s[8:9], exec
	s_andn2_b64 s[44:45], s[44:45], exec
	s_or_b64 s[42:43], s[42:43], exec
	s_waitcnt vmcnt(0)
	v_cmp_ngt_f32_e64 s[8:9], v24, v33
	v_cmp_lt_f32_e32 vcc, v24, v33
	s_and_b64 s[8:9], s[8:9], s[48:49]
	s_or_b64 s[52:53], vcc, s[8:9]
	s_and_b64 s[8:9], s[52:53], exec
	v_cmp_nlg_f32_e64 s[10:11], v24, v33
	s_or_b64 s[8:9], s[50:51], s[8:9]
	s_and_saveexec_b64 s[50:51], s[10:11]
	s_cbranch_execz .LBB873_525
; %bb.527:                              ;   in Loop: Header=BB873_526 Depth=1
	s_add_u32 s46, s46, -1
	s_addc_u32 s47, s47, -1
	v_add_co_u32_e32 v4, vcc, 4, v4
	s_cmp_eq_u64 s[46:47], 0
	v_addc_co_u32_e32 v5, vcc, 0, v5, vcc
	s_cselect_b64 s[10:11], -1, 0
	v_add_co_u32_e32 v8, vcc, 4, v8
	s_andn2_b64 s[44:45], s[44:45], exec
	s_and_b64 s[48:49], s[52:53], exec
	s_andn2_b64 s[42:43], s[42:43], exec
	s_and_b64 s[10:11], s[10:11], exec
	v_addc_co_u32_e32 v9, vcc, 0, v9, vcc
	s_or_b64 s[44:45], s[44:45], s[48:49]
	s_andn2_b64 s[8:9], s[8:9], exec
	s_or_b64 s[42:43], s[42:43], s[10:11]
                                        ; implicit-def: $sgpr48_sgpr49
	s_branch .LBB873_525
.LBB873_528:
	s_or_b64 exec, exec, s[38:39]
	v_cndmask_b32_e64 v5, v7, v25, s[40:41]
	v_cndmask_b32_e64 v4, v6, v32, s[40:41]
.LBB873_529:
	s_or_b64 exec, exec, s[36:37]
	v_pk_mov_b32 v[6:7], v[4:5], v[4:5] op_sel:[0,1]
.LBB873_530:
	s_or_b64 exec, exec, s[34:35]
	v_cndmask_b32_e64 v1, v3, v1, s[26:27]
	v_cndmask_b32_e64 v0, v2, v0, s[26:27]
	;; [unrolled: 1-line block ×6, first 2 shown]
.LBB873_531:
	s_or_b64 exec, exec, s[22:23]
	v_and_b32_e32 v28, 0x1f0, v20
	v_or_b32_e32 v8, 8, v28
	v_min_u32_e32 v24, v19, v8
	v_add_u32_e32 v8, 8, v24
	v_min_u32_e32 v25, v19, v8
	v_and_b32_e32 v8, 12, v20
	v_min_u32_e32 v29, v19, v8
	v_sub_u32_e32 v8, v24, v28
	v_sub_u32_e32 v9, v25, v24
	v_sub_u32_e64 v27, v29, v9 clamp
	v_min_u32_e32 v30, v29, v8
	v_lshl_add_u32 v26, v28, 3, v18
	v_cmp_lt_u32_e32 vcc, v27, v30
	; wave barrier
	ds_write_b128 v21, v[0:3]
	ds_write_b128 v21, v[4:7] offset:16
	; wave barrier
	s_and_saveexec_b64 s[22:23], vcc
	s_cbranch_execz .LBB873_541
; %bb.532:
	v_lshlrev_b32_e32 v8, 3, v24
	v_lshlrev_b32_e32 v9, 3, v29
	v_add3_u32 v31, v18, v8, v9
	s_lshl_b64 s[28:29], s[12:13], 2
	s_mov_b64 s[26:27], 0
	s_branch .LBB873_535
.LBB873_533:                            ;   in Loop: Header=BB873_535 Depth=1
	s_or_b64 exec, exec, s[34:35]
.LBB873_534:                            ;   in Loop: Header=BB873_535 Depth=1
	v_add_u32_e32 v8, 1, v32
	v_cndmask_b32_e64 v30, v30, v32, s[30:31]
	v_cndmask_b32_e64 v27, v8, v27, s[30:31]
	v_cmp_ge_u32_e32 vcc, v27, v30
	s_or_b64 s[26:27], vcc, s[26:27]
	s_andn2_b64 exec, exec, s[26:27]
	s_cbranch_execz .LBB873_540
.LBB873_535:                            ; =>This Loop Header: Depth=1
                                        ;     Child Loop BB873_538 Depth 2
	v_add_u32_e32 v8, v30, v27
	v_lshrrev_b32_e32 v32, 1, v8
	s_and_b64 vcc, exec, s[6:7]
	s_mov_b64 s[30:31], 0
	s_cbranch_vccnz .LBB873_534
; %bb.536:                              ;   in Loop: Header=BB873_535 Depth=1
	v_not_b32_e32 v8, v32
	v_lshl_add_u32 v8, v8, 3, v31
	ds_read_b64 v[8:9], v8
	v_lshl_add_u32 v33, v32, 3, v26
	ds_read_b64 v[34:35], v33
	v_pk_mov_b32 v[10:11], s[14:15], s[14:15] op_sel:[0,1]
	s_mov_b64 s[34:35], 0
	s_waitcnt lgkmcnt(1)
	v_mul_lo_u32 v33, s28, v9
	v_mul_lo_u32 v36, s29, v8
	v_mad_u64_u32 v[8:9], s[8:9], s28, v8, v[10:11]
	v_add3_u32 v9, v36, v9, v33
	s_waitcnt lgkmcnt(0)
	v_mul_lo_u32 v33, s28, v35
	v_mul_lo_u32 v35, s29, v34
	v_mad_u64_u32 v[10:11], s[8:9], s28, v34, v[10:11]
	v_add3_u32 v11, v35, v11, v33
	s_mov_b64 s[40:41], s[12:13]
                                        ; implicit-def: $sgpr30_sgpr31
                                        ; implicit-def: $sgpr36_sgpr37
                                        ; implicit-def: $sgpr38_sgpr39
                                        ; implicit-def: $sgpr8_sgpr9
                                        ; implicit-def: $sgpr42_sgpr43
	s_branch .LBB873_538
.LBB873_537:                            ;   in Loop: Header=BB873_538 Depth=2
	s_or_b64 exec, exec, s[44:45]
	s_and_b64 s[10:11], exec, s[36:37]
	s_or_b64 s[34:35], s[10:11], s[34:35]
	s_andn2_b64 s[10:11], s[42:43], exec
	s_and_b64 s[42:43], s[38:39], exec
	s_or_b64 s[42:43], s[10:11], s[42:43]
	s_andn2_b64 s[10:11], s[30:31], exec
	s_and_b64 s[30:31], s[8:9], exec
	s_or_b64 s[30:31], s[10:11], s[30:31]
	s_andn2_b64 exec, exec, s[34:35]
	s_cbranch_execz .LBB873_533
.LBB873_538:                            ;   Parent Loop BB873_535 Depth=1
                                        ; =>  This Inner Loop Header: Depth=2
	global_load_dword v33, v[8:9], off
	global_load_dword v34, v[10:11], off
	s_andn2_b64 s[44:45], s[8:9], exec
	s_andn2_b64 s[38:39], s[38:39], exec
	s_or_b64 s[36:37], s[36:37], exec
	s_waitcnt vmcnt(0)
	v_cmp_ngt_f32_e64 s[8:9], v33, v34
	v_cmp_lt_f32_e32 vcc, v33, v34
	s_and_b64 s[8:9], s[8:9], s[42:43]
	s_or_b64 s[46:47], vcc, s[8:9]
	s_and_b64 s[8:9], s[46:47], exec
	v_cmp_nlg_f32_e64 s[10:11], v33, v34
	s_or_b64 s[8:9], s[44:45], s[8:9]
	s_and_saveexec_b64 s[44:45], s[10:11]
	s_cbranch_execz .LBB873_537
; %bb.539:                              ;   in Loop: Header=BB873_538 Depth=2
	s_add_u32 s40, s40, -1
	s_addc_u32 s41, s41, -1
	v_add_co_u32_e32 v8, vcc, 4, v8
	s_cmp_eq_u64 s[40:41], 0
	v_addc_co_u32_e32 v9, vcc, 0, v9, vcc
	s_cselect_b64 s[10:11], -1, 0
	v_add_co_u32_e32 v10, vcc, 4, v10
	s_andn2_b64 s[38:39], s[38:39], exec
	s_and_b64 s[42:43], s[46:47], exec
	s_andn2_b64 s[36:37], s[36:37], exec
	s_and_b64 s[10:11], s[10:11], exec
	v_addc_co_u32_e32 v11, vcc, 0, v11, vcc
	s_andn2_b64 s[8:9], s[8:9], exec
	s_or_b64 s[38:39], s[38:39], s[42:43]
	s_or_b64 s[36:37], s[36:37], s[10:11]
                                        ; implicit-def: $sgpr42_sgpr43
	s_branch .LBB873_537
.LBB873_540:
	s_or_b64 exec, exec, s[26:27]
.LBB873_541:
	s_or_b64 exec, exec, s[22:23]
	v_add_u32_e32 v9, v24, v29
	v_add_u32_e32 v8, v27, v28
	v_sub_u32_e32 v9, v9, v27
	v_cmp_le_u32_e32 vcc, v8, v24
	v_cmp_le_u32_e64 s[8:9], v9, v25
	s_or_b64 s[8:9], vcc, s[8:9]
	s_and_saveexec_b64 s[22:23], s[8:9]
	s_cbranch_execz .LBB873_577
; %bb.542:
	v_cmp_ge_u32_e32 vcc, v8, v24
	v_cmp_lt_u32_e64 s[8:9], v8, v24
                                        ; implicit-def: $vgpr0_vgpr1
	s_and_saveexec_b64 s[10:11], s[8:9]
	s_cbranch_execz .LBB873_544
; %bb.543:
	v_lshl_add_u32 v0, v27, 3, v26
	ds_read_b64 v[0:1], v0
.LBB873_544:
	s_or_b64 exec, exec, s[10:11]
	v_cmp_ge_u32_e64 s[8:9], v9, v25
	v_cmp_lt_u32_e64 s[10:11], v9, v25
                                        ; implicit-def: $vgpr2_vgpr3
	s_and_saveexec_b64 s[26:27], s[10:11]
	s_cbranch_execz .LBB873_546
; %bb.545:
	v_lshl_add_u32 v2, v9, 3, v18
	ds_read_b64 v[2:3], v2
.LBB873_546:
	s_or_b64 exec, exec, s[26:27]
	s_or_b64 s[10:11], vcc, s[8:9]
	s_or_b64 s[10:11], s[10:11], s[18:19]
	s_xor_b64 s[26:27], vcc, -1
	s_xor_b64 s[10:11], s[10:11], -1
	s_or_b64 s[26:27], s[8:9], s[26:27]
	s_and_saveexec_b64 s[28:29], s[10:11]
	s_cbranch_execz .LBB873_552
; %bb.547:
	s_waitcnt lgkmcnt(0)
	v_mul_lo_u32 v6, v3, s12
	v_mul_lo_u32 v7, v2, s13
	v_mad_u64_u32 v[4:5], s[8:9], v2, s12, 0
	v_add3_u32 v5, v5, v7, v6
	v_lshlrev_b64 v[4:5], 2, v[4:5]
	v_mov_b32_e32 v6, s15
	v_add_co_u32_e32 v4, vcc, s14, v4
	v_addc_co_u32_e32 v5, vcc, v6, v5, vcc
	v_mul_lo_u32 v10, v1, s12
	v_mul_lo_u32 v11, v0, s13
	v_mad_u64_u32 v[6:7], s[8:9], v0, s12, 0
	v_add3_u32 v7, v7, v11, v10
	v_lshlrev_b64 v[6:7], 2, v[6:7]
	v_mov_b32_e32 v10, s15
	v_add_co_u32_e32 v6, vcc, s14, v6
	v_addc_co_u32_e32 v7, vcc, v10, v7, vcc
	s_mov_b64 s[30:31], 0
	s_mov_b64 s[40:41], s[12:13]
                                        ; implicit-def: $sgpr34_sgpr35
                                        ; implicit-def: $sgpr36_sgpr37
                                        ; implicit-def: $sgpr8_sgpr9
                                        ; implicit-def: $sgpr38_sgpr39
                                        ; implicit-def: $sgpr42_sgpr43
	s_branch .LBB873_549
.LBB873_548:                            ;   in Loop: Header=BB873_549 Depth=1
	s_or_b64 exec, exec, s[44:45]
	s_and_b64 s[10:11], exec, s[36:37]
	s_or_b64 s[30:31], s[10:11], s[30:31]
	s_andn2_b64 s[10:11], s[42:43], exec
	s_and_b64 s[42:43], s[38:39], exec
	s_or_b64 s[42:43], s[10:11], s[42:43]
	s_andn2_b64 s[10:11], s[34:35], exec
	s_and_b64 s[34:35], s[8:9], exec
	s_or_b64 s[34:35], s[10:11], s[34:35]
	s_andn2_b64 exec, exec, s[30:31]
	s_cbranch_execz .LBB873_551
.LBB873_549:                            ; =>This Inner Loop Header: Depth=1
	global_load_dword v10, v[4:5], off
	global_load_dword v11, v[6:7], off
	s_andn2_b64 s[44:45], s[8:9], exec
	s_andn2_b64 s[38:39], s[38:39], exec
	s_or_b64 s[36:37], s[36:37], exec
	s_waitcnt vmcnt(0)
	v_cmp_ngt_f32_e64 s[8:9], v10, v11
	v_cmp_lt_f32_e32 vcc, v10, v11
	s_and_b64 s[8:9], s[8:9], s[42:43]
	s_or_b64 s[46:47], vcc, s[8:9]
	s_and_b64 s[8:9], s[46:47], exec
	v_cmp_nlg_f32_e64 s[10:11], v10, v11
	s_or_b64 s[8:9], s[44:45], s[8:9]
	s_and_saveexec_b64 s[44:45], s[10:11]
	s_cbranch_execz .LBB873_548
; %bb.550:                              ;   in Loop: Header=BB873_549 Depth=1
	s_add_u32 s40, s40, -1
	s_addc_u32 s41, s41, -1
	v_add_co_u32_e32 v4, vcc, 4, v4
	s_cmp_eq_u64 s[40:41], 0
	v_addc_co_u32_e32 v5, vcc, 0, v5, vcc
	s_cselect_b64 s[10:11], -1, 0
	v_add_co_u32_e32 v6, vcc, 4, v6
	s_andn2_b64 s[38:39], s[38:39], exec
	s_and_b64 s[42:43], s[46:47], exec
	s_andn2_b64 s[36:37], s[36:37], exec
	s_and_b64 s[10:11], s[10:11], exec
	v_addc_co_u32_e32 v7, vcc, 0, v7, vcc
	s_or_b64 s[38:39], s[38:39], s[42:43]
	s_andn2_b64 s[8:9], s[8:9], exec
	s_or_b64 s[36:37], s[36:37], s[10:11]
                                        ; implicit-def: $sgpr42_sgpr43
	s_branch .LBB873_548
.LBB873_551:
	s_or_b64 exec, exec, s[30:31]
	s_xor_b64 s[8:9], s[34:35], -1
	s_andn2_b64 s[10:11], s[26:27], exec
	s_and_b64 s[8:9], s[8:9], exec
	s_or_b64 s[26:27], s[10:11], s[8:9]
.LBB873_552:
	s_or_b64 exec, exec, s[28:29]
	v_cndmask_b32_e64 v4, v9, v8, s[26:27]
	v_cndmask_b32_e64 v5, v25, v24, s[26:27]
	v_add_u32_e32 v6, 1, v4
	v_add_u32_e32 v4, -1, v5
	v_min_u32_e32 v4, v6, v4
	v_lshl_add_u32 v4, v4, 3, v18
	ds_read_b64 v[4:5], v4
	v_cndmask_b32_e64 v9, v6, v9, s[26:27]
	v_cndmask_b32_e64 v8, v8, v6, s[26:27]
	v_cmp_lt_u32_e32 vcc, v9, v25
	s_mov_b64 s[28:29], -1
	s_waitcnt lgkmcnt(0)
	v_cndmask_b32_e64 v10, v5, v3, s[26:27]
	v_cndmask_b32_e64 v11, v4, v2, s[26:27]
	;; [unrolled: 1-line block ×4, first 2 shown]
	s_mov_b64 s[30:31], -1
	s_and_saveexec_b64 s[34:35], vcc
	s_cbranch_execz .LBB873_560
; %bb.553:
	v_cmp_lt_u32_e64 s[30:31], v8, v24
	s_and_b64 s[8:9], s[30:31], s[20:21]
	s_and_saveexec_b64 s[36:37], s[8:9]
	s_cbranch_execz .LBB873_559
; %bb.554:
	v_mul_lo_u32 v6, v10, s12
	v_mul_lo_u32 v7, v11, s13
	v_mad_u64_u32 v[4:5], s[8:9], v11, s12, 0
	v_add3_u32 v5, v5, v7, v6
	v_lshlrev_b64 v[4:5], 2, v[4:5]
	v_mov_b32_e32 v6, s15
	v_add_co_u32_e32 v4, vcc, s14, v4
	v_addc_co_u32_e32 v5, vcc, v6, v5, vcc
	v_mul_lo_u32 v28, v26, s12
	v_mul_lo_u32 v29, v27, s13
	v_mad_u64_u32 v[6:7], s[8:9], v27, s12, 0
	v_add3_u32 v7, v7, v29, v28
	v_lshlrev_b64 v[6:7], 2, v[6:7]
	v_mov_b32_e32 v28, s15
	v_add_co_u32_e32 v6, vcc, s14, v6
	v_addc_co_u32_e32 v7, vcc, v28, v7, vcc
	s_mov_b64 s[38:39], 0
	s_mov_b64 s[46:47], s[12:13]
                                        ; implicit-def: $sgpr40_sgpr41
                                        ; implicit-def: $sgpr42_sgpr43
                                        ; implicit-def: $sgpr8_sgpr9
                                        ; implicit-def: $sgpr44_sgpr45
                                        ; implicit-def: $sgpr48_sgpr49
	s_branch .LBB873_556
.LBB873_555:                            ;   in Loop: Header=BB873_556 Depth=1
	s_or_b64 exec, exec, s[50:51]
	s_and_b64 s[10:11], exec, s[42:43]
	s_or_b64 s[38:39], s[10:11], s[38:39]
	s_andn2_b64 s[10:11], s[48:49], exec
	s_and_b64 s[48:49], s[44:45], exec
	s_or_b64 s[48:49], s[10:11], s[48:49]
	s_andn2_b64 s[10:11], s[40:41], exec
	s_and_b64 s[40:41], s[8:9], exec
	s_or_b64 s[40:41], s[10:11], s[40:41]
	s_andn2_b64 exec, exec, s[38:39]
	s_cbranch_execz .LBB873_558
.LBB873_556:                            ; =>This Inner Loop Header: Depth=1
	global_load_dword v28, v[4:5], off
	global_load_dword v29, v[6:7], off
	s_andn2_b64 s[50:51], s[8:9], exec
	s_andn2_b64 s[44:45], s[44:45], exec
	s_or_b64 s[42:43], s[42:43], exec
	s_waitcnt vmcnt(0)
	v_cmp_ngt_f32_e64 s[8:9], v28, v29
	v_cmp_lt_f32_e32 vcc, v28, v29
	s_and_b64 s[8:9], s[8:9], s[48:49]
	s_or_b64 s[52:53], vcc, s[8:9]
	s_and_b64 s[8:9], s[52:53], exec
	v_cmp_nlg_f32_e64 s[10:11], v28, v29
	s_or_b64 s[8:9], s[50:51], s[8:9]
	s_and_saveexec_b64 s[50:51], s[10:11]
	s_cbranch_execz .LBB873_555
; %bb.557:                              ;   in Loop: Header=BB873_556 Depth=1
	s_add_u32 s46, s46, -1
	s_addc_u32 s47, s47, -1
	v_add_co_u32_e32 v4, vcc, 4, v4
	s_cmp_eq_u64 s[46:47], 0
	v_addc_co_u32_e32 v5, vcc, 0, v5, vcc
	s_cselect_b64 s[10:11], -1, 0
	v_add_co_u32_e32 v6, vcc, 4, v6
	s_andn2_b64 s[44:45], s[44:45], exec
	s_and_b64 s[48:49], s[52:53], exec
	s_andn2_b64 s[42:43], s[42:43], exec
	s_and_b64 s[10:11], s[10:11], exec
	v_addc_co_u32_e32 v7, vcc, 0, v7, vcc
	s_or_b64 s[44:45], s[44:45], s[48:49]
	s_andn2_b64 s[8:9], s[8:9], exec
	s_or_b64 s[42:43], s[42:43], s[10:11]
                                        ; implicit-def: $sgpr48_sgpr49
	s_branch .LBB873_555
.LBB873_558:
	s_or_b64 exec, exec, s[38:39]
	s_xor_b64 s[8:9], s[40:41], -1
	s_andn2_b64 s[10:11], s[30:31], exec
	s_and_b64 s[8:9], s[8:9], exec
	s_or_b64 s[30:31], s[10:11], s[8:9]
.LBB873_559:
	s_or_b64 exec, exec, s[36:37]
	s_orn2_b64 s[30:31], s[30:31], exec
.LBB873_560:
	s_or_b64 exec, exec, s[34:35]
	v_cndmask_b32_e64 v4, v9, v8, s[30:31]
	v_cndmask_b32_e64 v5, v25, v24, s[30:31]
	v_add_u32_e32 v6, 1, v4
	v_add_u32_e32 v4, -1, v5
	v_min_u32_e32 v4, v6, v4
	v_lshl_add_u32 v4, v4, 3, v18
	ds_read_b64 v[4:5], v4
	v_cndmask_b32_e64 v9, v6, v9, s[30:31]
	v_cndmask_b32_e64 v8, v8, v6, s[30:31]
	v_cmp_lt_u32_e32 vcc, v9, v25
	s_waitcnt lgkmcnt(0)
	v_cndmask_b32_e64 v28, v5, v10, s[30:31]
	v_cndmask_b32_e64 v29, v4, v11, s[30:31]
	;; [unrolled: 1-line block ×4, first 2 shown]
	s_and_saveexec_b64 s[34:35], vcc
	s_cbranch_execz .LBB873_568
; %bb.561:
	v_cmp_lt_u32_e64 s[28:29], v8, v24
	s_and_b64 s[8:9], s[28:29], s[20:21]
	s_and_saveexec_b64 s[36:37], s[8:9]
	s_cbranch_execz .LBB873_567
; %bb.562:
	v_mul_lo_u32 v6, v28, s12
	v_mul_lo_u32 v7, v29, s13
	v_mad_u64_u32 v[4:5], s[8:9], v29, s12, 0
	v_add3_u32 v5, v5, v7, v6
	v_lshlrev_b64 v[4:5], 2, v[4:5]
	v_mov_b32_e32 v6, s15
	v_add_co_u32_e32 v4, vcc, s14, v4
	v_addc_co_u32_e32 v5, vcc, v6, v5, vcc
	v_mul_lo_u32 v32, v30, s12
	v_mul_lo_u32 v33, v31, s13
	v_mad_u64_u32 v[6:7], s[8:9], v31, s12, 0
	v_add3_u32 v7, v7, v33, v32
	v_lshlrev_b64 v[6:7], 2, v[6:7]
	v_mov_b32_e32 v32, s15
	v_add_co_u32_e32 v6, vcc, s14, v6
	v_addc_co_u32_e32 v7, vcc, v32, v7, vcc
	s_mov_b64 s[38:39], 0
	s_mov_b64 s[46:47], s[12:13]
                                        ; implicit-def: $sgpr40_sgpr41
                                        ; implicit-def: $sgpr42_sgpr43
                                        ; implicit-def: $sgpr8_sgpr9
                                        ; implicit-def: $sgpr44_sgpr45
                                        ; implicit-def: $sgpr48_sgpr49
	s_branch .LBB873_564
.LBB873_563:                            ;   in Loop: Header=BB873_564 Depth=1
	s_or_b64 exec, exec, s[50:51]
	s_and_b64 s[10:11], exec, s[42:43]
	s_or_b64 s[38:39], s[10:11], s[38:39]
	s_andn2_b64 s[10:11], s[48:49], exec
	s_and_b64 s[48:49], s[44:45], exec
	s_or_b64 s[48:49], s[10:11], s[48:49]
	s_andn2_b64 s[10:11], s[40:41], exec
	s_and_b64 s[40:41], s[8:9], exec
	s_or_b64 s[40:41], s[10:11], s[40:41]
	s_andn2_b64 exec, exec, s[38:39]
	s_cbranch_execz .LBB873_566
.LBB873_564:                            ; =>This Inner Loop Header: Depth=1
	global_load_dword v32, v[4:5], off
	global_load_dword v33, v[6:7], off
	s_andn2_b64 s[50:51], s[8:9], exec
	s_andn2_b64 s[44:45], s[44:45], exec
	s_or_b64 s[42:43], s[42:43], exec
	s_waitcnt vmcnt(0)
	v_cmp_ngt_f32_e64 s[8:9], v32, v33
	v_cmp_lt_f32_e32 vcc, v32, v33
	s_and_b64 s[8:9], s[8:9], s[48:49]
	s_or_b64 s[52:53], vcc, s[8:9]
	s_and_b64 s[8:9], s[52:53], exec
	v_cmp_nlg_f32_e64 s[10:11], v32, v33
	s_or_b64 s[8:9], s[50:51], s[8:9]
	s_and_saveexec_b64 s[50:51], s[10:11]
	s_cbranch_execz .LBB873_563
; %bb.565:                              ;   in Loop: Header=BB873_564 Depth=1
	s_add_u32 s46, s46, -1
	s_addc_u32 s47, s47, -1
	v_add_co_u32_e32 v4, vcc, 4, v4
	s_cmp_eq_u64 s[46:47], 0
	v_addc_co_u32_e32 v5, vcc, 0, v5, vcc
	s_cselect_b64 s[10:11], -1, 0
	v_add_co_u32_e32 v6, vcc, 4, v6
	s_andn2_b64 s[44:45], s[44:45], exec
	s_and_b64 s[48:49], s[52:53], exec
	s_andn2_b64 s[42:43], s[42:43], exec
	s_and_b64 s[10:11], s[10:11], exec
	v_addc_co_u32_e32 v7, vcc, 0, v7, vcc
	s_or_b64 s[44:45], s[44:45], s[48:49]
	s_andn2_b64 s[8:9], s[8:9], exec
	s_or_b64 s[42:43], s[42:43], s[10:11]
                                        ; implicit-def: $sgpr48_sgpr49
	s_branch .LBB873_563
.LBB873_566:
	s_or_b64 exec, exec, s[38:39]
	s_xor_b64 s[8:9], s[40:41], -1
	s_andn2_b64 s[10:11], s[28:29], exec
	s_and_b64 s[8:9], s[8:9], exec
	s_or_b64 s[28:29], s[10:11], s[8:9]
.LBB873_567:
	s_or_b64 exec, exec, s[36:37]
	s_orn2_b64 s[28:29], s[28:29], exec
.LBB873_568:
	s_or_b64 exec, exec, s[34:35]
	v_cndmask_b32_e64 v4, v9, v8, s[28:29]
	v_cndmask_b32_e64 v5, v25, v24, s[28:29]
	v_add_u32_e32 v33, 1, v4
	v_add_u32_e32 v4, -1, v5
	v_min_u32_e32 v4, v33, v4
	v_lshl_add_u32 v4, v4, 3, v18
	ds_read_b64 v[4:5], v4
	v_cndmask_b32_e64 v9, v33, v9, s[28:29]
	v_cmp_lt_u32_e32 vcc, v9, v25
	s_waitcnt lgkmcnt(0)
	v_cndmask_b32_e64 v7, v30, v5, s[28:29]
	v_cndmask_b32_e64 v6, v31, v4, s[28:29]
	s_and_saveexec_b64 s[34:35], vcc
	s_cbranch_execz .LBB873_576
; %bb.569:
	v_cndmask_b32_e64 v32, v4, v29, s[28:29]
	v_cndmask_b32_e64 v4, v8, v33, s[28:29]
	v_cmp_ge_u32_e32 vcc, v4, v24
	v_cndmask_b32_e64 v25, v5, v28, s[28:29]
	s_or_b64 s[8:9], vcc, s[18:19]
	v_cndmask_b32_e32 v5, v7, v25, vcc
	s_xor_b64 s[8:9], s[8:9], -1
	v_cndmask_b32_e32 v4, v6, v32, vcc
	s_and_saveexec_b64 s[36:37], s[8:9]
	s_cbranch_execz .LBB873_575
; %bb.570:
	v_mul_lo_u32 v8, v25, s12
	v_mul_lo_u32 v9, v32, s13
	v_mad_u64_u32 v[4:5], s[8:9], v32, s12, 0
	v_add3_u32 v5, v5, v9, v8
	v_lshlrev_b64 v[4:5], 2, v[4:5]
	v_mov_b32_e32 v8, s15
	v_add_co_u32_e32 v4, vcc, s14, v4
	v_addc_co_u32_e32 v5, vcc, v8, v5, vcc
	v_mul_lo_u32 v24, v7, s12
	v_mul_lo_u32 v33, v6, s13
	v_mad_u64_u32 v[8:9], s[8:9], v6, s12, 0
	v_add3_u32 v9, v9, v33, v24
	v_lshlrev_b64 v[8:9], 2, v[8:9]
	v_mov_b32_e32 v24, s15
	v_add_co_u32_e32 v8, vcc, s14, v8
	v_addc_co_u32_e32 v9, vcc, v24, v9, vcc
	s_mov_b64 s[38:39], 0
	s_mov_b64 s[46:47], s[12:13]
                                        ; implicit-def: $sgpr40_sgpr41
                                        ; implicit-def: $sgpr42_sgpr43
                                        ; implicit-def: $sgpr8_sgpr9
                                        ; implicit-def: $sgpr44_sgpr45
                                        ; implicit-def: $sgpr48_sgpr49
	s_branch .LBB873_572
.LBB873_571:                            ;   in Loop: Header=BB873_572 Depth=1
	s_or_b64 exec, exec, s[50:51]
	s_and_b64 s[10:11], exec, s[42:43]
	s_or_b64 s[38:39], s[10:11], s[38:39]
	s_andn2_b64 s[10:11], s[48:49], exec
	s_and_b64 s[48:49], s[44:45], exec
	s_or_b64 s[48:49], s[10:11], s[48:49]
	s_andn2_b64 s[10:11], s[40:41], exec
	s_and_b64 s[40:41], s[8:9], exec
	s_or_b64 s[40:41], s[10:11], s[40:41]
	s_andn2_b64 exec, exec, s[38:39]
	s_cbranch_execz .LBB873_574
.LBB873_572:                            ; =>This Inner Loop Header: Depth=1
	global_load_dword v24, v[4:5], off
	global_load_dword v33, v[8:9], off
	s_andn2_b64 s[50:51], s[8:9], exec
	s_andn2_b64 s[44:45], s[44:45], exec
	s_or_b64 s[42:43], s[42:43], exec
	s_waitcnt vmcnt(0)
	v_cmp_ngt_f32_e64 s[8:9], v24, v33
	v_cmp_lt_f32_e32 vcc, v24, v33
	s_and_b64 s[8:9], s[8:9], s[48:49]
	s_or_b64 s[52:53], vcc, s[8:9]
	s_and_b64 s[8:9], s[52:53], exec
	v_cmp_nlg_f32_e64 s[10:11], v24, v33
	s_or_b64 s[8:9], s[50:51], s[8:9]
	s_and_saveexec_b64 s[50:51], s[10:11]
	s_cbranch_execz .LBB873_571
; %bb.573:                              ;   in Loop: Header=BB873_572 Depth=1
	s_add_u32 s46, s46, -1
	s_addc_u32 s47, s47, -1
	v_add_co_u32_e32 v4, vcc, 4, v4
	s_cmp_eq_u64 s[46:47], 0
	v_addc_co_u32_e32 v5, vcc, 0, v5, vcc
	s_cselect_b64 s[10:11], -1, 0
	v_add_co_u32_e32 v8, vcc, 4, v8
	s_andn2_b64 s[44:45], s[44:45], exec
	s_and_b64 s[48:49], s[52:53], exec
	s_andn2_b64 s[42:43], s[42:43], exec
	s_and_b64 s[10:11], s[10:11], exec
	v_addc_co_u32_e32 v9, vcc, 0, v9, vcc
	s_or_b64 s[44:45], s[44:45], s[48:49]
	s_andn2_b64 s[8:9], s[8:9], exec
	s_or_b64 s[42:43], s[42:43], s[10:11]
                                        ; implicit-def: $sgpr48_sgpr49
	s_branch .LBB873_571
.LBB873_574:
	s_or_b64 exec, exec, s[38:39]
	v_cndmask_b32_e64 v5, v7, v25, s[40:41]
	v_cndmask_b32_e64 v4, v6, v32, s[40:41]
.LBB873_575:
	s_or_b64 exec, exec, s[36:37]
	v_pk_mov_b32 v[6:7], v[4:5], v[4:5] op_sel:[0,1]
.LBB873_576:
	s_or_b64 exec, exec, s[34:35]
	v_cndmask_b32_e64 v1, v3, v1, s[26:27]
	v_cndmask_b32_e64 v0, v2, v0, s[26:27]
	;; [unrolled: 1-line block ×6, first 2 shown]
.LBB873_577:
	s_or_b64 exec, exec, s[22:23]
	v_and_b32_e32 v28, 0x1e0, v20
	v_or_b32_e32 v8, 16, v28
	v_min_u32_e32 v24, v19, v8
	v_add_u32_e32 v8, 16, v24
	v_min_u32_e32 v25, v19, v8
	v_and_b32_e32 v8, 28, v20
	v_min_u32_e32 v29, v19, v8
	v_sub_u32_e32 v8, v24, v28
	v_sub_u32_e32 v9, v25, v24
	v_sub_u32_e64 v27, v29, v9 clamp
	v_min_u32_e32 v30, v29, v8
	v_lshl_add_u32 v26, v28, 3, v18
	v_cmp_lt_u32_e32 vcc, v27, v30
	; wave barrier
	ds_write_b128 v21, v[0:3]
	ds_write_b128 v21, v[4:7] offset:16
	; wave barrier
	s_and_saveexec_b64 s[22:23], vcc
	s_cbranch_execz .LBB873_587
; %bb.578:
	v_lshlrev_b32_e32 v8, 3, v24
	v_lshlrev_b32_e32 v9, 3, v29
	v_add3_u32 v31, v18, v8, v9
	s_lshl_b64 s[28:29], s[12:13], 2
	s_mov_b64 s[26:27], 0
	s_branch .LBB873_581
.LBB873_579:                            ;   in Loop: Header=BB873_581 Depth=1
	s_or_b64 exec, exec, s[34:35]
.LBB873_580:                            ;   in Loop: Header=BB873_581 Depth=1
	v_add_u32_e32 v8, 1, v32
	v_cndmask_b32_e64 v30, v30, v32, s[30:31]
	v_cndmask_b32_e64 v27, v8, v27, s[30:31]
	v_cmp_ge_u32_e32 vcc, v27, v30
	s_or_b64 s[26:27], vcc, s[26:27]
	s_andn2_b64 exec, exec, s[26:27]
	s_cbranch_execz .LBB873_586
.LBB873_581:                            ; =>This Loop Header: Depth=1
                                        ;     Child Loop BB873_584 Depth 2
	v_add_u32_e32 v8, v30, v27
	v_lshrrev_b32_e32 v32, 1, v8
	s_and_b64 vcc, exec, s[6:7]
	s_mov_b64 s[30:31], 0
	s_cbranch_vccnz .LBB873_580
; %bb.582:                              ;   in Loop: Header=BB873_581 Depth=1
	v_not_b32_e32 v8, v32
	v_lshl_add_u32 v8, v8, 3, v31
	ds_read_b64 v[8:9], v8
	v_lshl_add_u32 v33, v32, 3, v26
	ds_read_b64 v[34:35], v33
	v_pk_mov_b32 v[10:11], s[14:15], s[14:15] op_sel:[0,1]
	s_mov_b64 s[34:35], 0
	s_waitcnt lgkmcnt(1)
	v_mul_lo_u32 v33, s28, v9
	v_mul_lo_u32 v36, s29, v8
	v_mad_u64_u32 v[8:9], s[8:9], s28, v8, v[10:11]
	v_add3_u32 v9, v36, v9, v33
	s_waitcnt lgkmcnt(0)
	v_mul_lo_u32 v33, s28, v35
	v_mul_lo_u32 v35, s29, v34
	v_mad_u64_u32 v[10:11], s[8:9], s28, v34, v[10:11]
	v_add3_u32 v11, v35, v11, v33
	s_mov_b64 s[40:41], s[12:13]
                                        ; implicit-def: $sgpr30_sgpr31
                                        ; implicit-def: $sgpr36_sgpr37
                                        ; implicit-def: $sgpr38_sgpr39
                                        ; implicit-def: $sgpr8_sgpr9
                                        ; implicit-def: $sgpr42_sgpr43
	s_branch .LBB873_584
.LBB873_583:                            ;   in Loop: Header=BB873_584 Depth=2
	s_or_b64 exec, exec, s[44:45]
	s_and_b64 s[10:11], exec, s[36:37]
	s_or_b64 s[34:35], s[10:11], s[34:35]
	s_andn2_b64 s[10:11], s[42:43], exec
	s_and_b64 s[42:43], s[38:39], exec
	s_or_b64 s[42:43], s[10:11], s[42:43]
	s_andn2_b64 s[10:11], s[30:31], exec
	s_and_b64 s[30:31], s[8:9], exec
	s_or_b64 s[30:31], s[10:11], s[30:31]
	s_andn2_b64 exec, exec, s[34:35]
	s_cbranch_execz .LBB873_579
.LBB873_584:                            ;   Parent Loop BB873_581 Depth=1
                                        ; =>  This Inner Loop Header: Depth=2
	global_load_dword v33, v[8:9], off
	global_load_dword v34, v[10:11], off
	s_andn2_b64 s[44:45], s[8:9], exec
	s_andn2_b64 s[38:39], s[38:39], exec
	s_or_b64 s[36:37], s[36:37], exec
	s_waitcnt vmcnt(0)
	v_cmp_ngt_f32_e64 s[8:9], v33, v34
	v_cmp_lt_f32_e32 vcc, v33, v34
	s_and_b64 s[8:9], s[8:9], s[42:43]
	s_or_b64 s[46:47], vcc, s[8:9]
	s_and_b64 s[8:9], s[46:47], exec
	v_cmp_nlg_f32_e64 s[10:11], v33, v34
	s_or_b64 s[8:9], s[44:45], s[8:9]
	s_and_saveexec_b64 s[44:45], s[10:11]
	s_cbranch_execz .LBB873_583
; %bb.585:                              ;   in Loop: Header=BB873_584 Depth=2
	s_add_u32 s40, s40, -1
	s_addc_u32 s41, s41, -1
	v_add_co_u32_e32 v8, vcc, 4, v8
	s_cmp_eq_u64 s[40:41], 0
	v_addc_co_u32_e32 v9, vcc, 0, v9, vcc
	s_cselect_b64 s[10:11], -1, 0
	v_add_co_u32_e32 v10, vcc, 4, v10
	s_andn2_b64 s[38:39], s[38:39], exec
	s_and_b64 s[42:43], s[46:47], exec
	s_andn2_b64 s[36:37], s[36:37], exec
	s_and_b64 s[10:11], s[10:11], exec
	v_addc_co_u32_e32 v11, vcc, 0, v11, vcc
	s_andn2_b64 s[8:9], s[8:9], exec
	s_or_b64 s[38:39], s[38:39], s[42:43]
	s_or_b64 s[36:37], s[36:37], s[10:11]
                                        ; implicit-def: $sgpr42_sgpr43
	s_branch .LBB873_583
.LBB873_586:
	s_or_b64 exec, exec, s[26:27]
.LBB873_587:
	s_or_b64 exec, exec, s[22:23]
	v_add_u32_e32 v9, v24, v29
	v_add_u32_e32 v8, v27, v28
	v_sub_u32_e32 v9, v9, v27
	v_cmp_le_u32_e32 vcc, v8, v24
	v_cmp_le_u32_e64 s[8:9], v9, v25
	s_or_b64 s[8:9], vcc, s[8:9]
	s_and_saveexec_b64 s[22:23], s[8:9]
	s_cbranch_execz .LBB873_623
; %bb.588:
	v_cmp_ge_u32_e32 vcc, v8, v24
	v_cmp_lt_u32_e64 s[8:9], v8, v24
                                        ; implicit-def: $vgpr0_vgpr1
	s_and_saveexec_b64 s[10:11], s[8:9]
	s_cbranch_execz .LBB873_590
; %bb.589:
	v_lshl_add_u32 v0, v27, 3, v26
	ds_read_b64 v[0:1], v0
.LBB873_590:
	s_or_b64 exec, exec, s[10:11]
	v_cmp_ge_u32_e64 s[8:9], v9, v25
	v_cmp_lt_u32_e64 s[10:11], v9, v25
                                        ; implicit-def: $vgpr2_vgpr3
	s_and_saveexec_b64 s[26:27], s[10:11]
	s_cbranch_execz .LBB873_592
; %bb.591:
	v_lshl_add_u32 v2, v9, 3, v18
	ds_read_b64 v[2:3], v2
.LBB873_592:
	s_or_b64 exec, exec, s[26:27]
	s_or_b64 s[10:11], vcc, s[8:9]
	s_or_b64 s[10:11], s[10:11], s[18:19]
	s_xor_b64 s[26:27], vcc, -1
	s_xor_b64 s[10:11], s[10:11], -1
	s_or_b64 s[26:27], s[8:9], s[26:27]
	s_and_saveexec_b64 s[28:29], s[10:11]
	s_cbranch_execz .LBB873_598
; %bb.593:
	s_waitcnt lgkmcnt(0)
	v_mul_lo_u32 v6, v3, s12
	v_mul_lo_u32 v7, v2, s13
	v_mad_u64_u32 v[4:5], s[8:9], v2, s12, 0
	v_add3_u32 v5, v5, v7, v6
	v_lshlrev_b64 v[4:5], 2, v[4:5]
	v_mov_b32_e32 v6, s15
	v_add_co_u32_e32 v4, vcc, s14, v4
	v_addc_co_u32_e32 v5, vcc, v6, v5, vcc
	v_mul_lo_u32 v10, v1, s12
	v_mul_lo_u32 v11, v0, s13
	v_mad_u64_u32 v[6:7], s[8:9], v0, s12, 0
	v_add3_u32 v7, v7, v11, v10
	v_lshlrev_b64 v[6:7], 2, v[6:7]
	v_mov_b32_e32 v10, s15
	v_add_co_u32_e32 v6, vcc, s14, v6
	v_addc_co_u32_e32 v7, vcc, v10, v7, vcc
	s_mov_b64 s[30:31], 0
	s_mov_b64 s[40:41], s[12:13]
                                        ; implicit-def: $sgpr34_sgpr35
                                        ; implicit-def: $sgpr36_sgpr37
                                        ; implicit-def: $sgpr8_sgpr9
                                        ; implicit-def: $sgpr38_sgpr39
                                        ; implicit-def: $sgpr42_sgpr43
	s_branch .LBB873_595
.LBB873_594:                            ;   in Loop: Header=BB873_595 Depth=1
	s_or_b64 exec, exec, s[44:45]
	s_and_b64 s[10:11], exec, s[36:37]
	s_or_b64 s[30:31], s[10:11], s[30:31]
	s_andn2_b64 s[10:11], s[42:43], exec
	s_and_b64 s[42:43], s[38:39], exec
	s_or_b64 s[42:43], s[10:11], s[42:43]
	s_andn2_b64 s[10:11], s[34:35], exec
	s_and_b64 s[34:35], s[8:9], exec
	s_or_b64 s[34:35], s[10:11], s[34:35]
	s_andn2_b64 exec, exec, s[30:31]
	s_cbranch_execz .LBB873_597
.LBB873_595:                            ; =>This Inner Loop Header: Depth=1
	global_load_dword v10, v[4:5], off
	global_load_dword v11, v[6:7], off
	s_andn2_b64 s[44:45], s[8:9], exec
	s_andn2_b64 s[38:39], s[38:39], exec
	s_or_b64 s[36:37], s[36:37], exec
	s_waitcnt vmcnt(0)
	v_cmp_ngt_f32_e64 s[8:9], v10, v11
	v_cmp_lt_f32_e32 vcc, v10, v11
	s_and_b64 s[8:9], s[8:9], s[42:43]
	s_or_b64 s[46:47], vcc, s[8:9]
	s_and_b64 s[8:9], s[46:47], exec
	v_cmp_nlg_f32_e64 s[10:11], v10, v11
	s_or_b64 s[8:9], s[44:45], s[8:9]
	s_and_saveexec_b64 s[44:45], s[10:11]
	s_cbranch_execz .LBB873_594
; %bb.596:                              ;   in Loop: Header=BB873_595 Depth=1
	s_add_u32 s40, s40, -1
	s_addc_u32 s41, s41, -1
	v_add_co_u32_e32 v4, vcc, 4, v4
	s_cmp_eq_u64 s[40:41], 0
	v_addc_co_u32_e32 v5, vcc, 0, v5, vcc
	s_cselect_b64 s[10:11], -1, 0
	v_add_co_u32_e32 v6, vcc, 4, v6
	s_andn2_b64 s[38:39], s[38:39], exec
	s_and_b64 s[42:43], s[46:47], exec
	s_andn2_b64 s[36:37], s[36:37], exec
	s_and_b64 s[10:11], s[10:11], exec
	v_addc_co_u32_e32 v7, vcc, 0, v7, vcc
	s_or_b64 s[38:39], s[38:39], s[42:43]
	s_andn2_b64 s[8:9], s[8:9], exec
	s_or_b64 s[36:37], s[36:37], s[10:11]
                                        ; implicit-def: $sgpr42_sgpr43
	s_branch .LBB873_594
.LBB873_597:
	s_or_b64 exec, exec, s[30:31]
	s_xor_b64 s[8:9], s[34:35], -1
	s_andn2_b64 s[10:11], s[26:27], exec
	s_and_b64 s[8:9], s[8:9], exec
	s_or_b64 s[26:27], s[10:11], s[8:9]
.LBB873_598:
	s_or_b64 exec, exec, s[28:29]
	v_cndmask_b32_e64 v4, v9, v8, s[26:27]
	v_cndmask_b32_e64 v5, v25, v24, s[26:27]
	v_add_u32_e32 v6, 1, v4
	v_add_u32_e32 v4, -1, v5
	v_min_u32_e32 v4, v6, v4
	v_lshl_add_u32 v4, v4, 3, v18
	ds_read_b64 v[4:5], v4
	v_cndmask_b32_e64 v9, v6, v9, s[26:27]
	v_cndmask_b32_e64 v8, v8, v6, s[26:27]
	v_cmp_lt_u32_e32 vcc, v9, v25
	s_mov_b64 s[28:29], -1
	s_waitcnt lgkmcnt(0)
	v_cndmask_b32_e64 v10, v5, v3, s[26:27]
	v_cndmask_b32_e64 v11, v4, v2, s[26:27]
	;; [unrolled: 1-line block ×4, first 2 shown]
	s_mov_b64 s[30:31], -1
	s_and_saveexec_b64 s[34:35], vcc
	s_cbranch_execz .LBB873_606
; %bb.599:
	v_cmp_lt_u32_e64 s[30:31], v8, v24
	s_and_b64 s[8:9], s[30:31], s[20:21]
	s_and_saveexec_b64 s[36:37], s[8:9]
	s_cbranch_execz .LBB873_605
; %bb.600:
	v_mul_lo_u32 v6, v10, s12
	v_mul_lo_u32 v7, v11, s13
	v_mad_u64_u32 v[4:5], s[8:9], v11, s12, 0
	v_add3_u32 v5, v5, v7, v6
	v_lshlrev_b64 v[4:5], 2, v[4:5]
	v_mov_b32_e32 v6, s15
	v_add_co_u32_e32 v4, vcc, s14, v4
	v_addc_co_u32_e32 v5, vcc, v6, v5, vcc
	v_mul_lo_u32 v28, v26, s12
	v_mul_lo_u32 v29, v27, s13
	v_mad_u64_u32 v[6:7], s[8:9], v27, s12, 0
	v_add3_u32 v7, v7, v29, v28
	v_lshlrev_b64 v[6:7], 2, v[6:7]
	v_mov_b32_e32 v28, s15
	v_add_co_u32_e32 v6, vcc, s14, v6
	v_addc_co_u32_e32 v7, vcc, v28, v7, vcc
	s_mov_b64 s[38:39], 0
	s_mov_b64 s[46:47], s[12:13]
                                        ; implicit-def: $sgpr40_sgpr41
                                        ; implicit-def: $sgpr42_sgpr43
                                        ; implicit-def: $sgpr8_sgpr9
                                        ; implicit-def: $sgpr44_sgpr45
                                        ; implicit-def: $sgpr48_sgpr49
	s_branch .LBB873_602
.LBB873_601:                            ;   in Loop: Header=BB873_602 Depth=1
	s_or_b64 exec, exec, s[50:51]
	s_and_b64 s[10:11], exec, s[42:43]
	s_or_b64 s[38:39], s[10:11], s[38:39]
	s_andn2_b64 s[10:11], s[48:49], exec
	s_and_b64 s[48:49], s[44:45], exec
	s_or_b64 s[48:49], s[10:11], s[48:49]
	s_andn2_b64 s[10:11], s[40:41], exec
	s_and_b64 s[40:41], s[8:9], exec
	s_or_b64 s[40:41], s[10:11], s[40:41]
	s_andn2_b64 exec, exec, s[38:39]
	s_cbranch_execz .LBB873_604
.LBB873_602:                            ; =>This Inner Loop Header: Depth=1
	global_load_dword v28, v[4:5], off
	global_load_dword v29, v[6:7], off
	s_andn2_b64 s[50:51], s[8:9], exec
	s_andn2_b64 s[44:45], s[44:45], exec
	s_or_b64 s[42:43], s[42:43], exec
	s_waitcnt vmcnt(0)
	v_cmp_ngt_f32_e64 s[8:9], v28, v29
	v_cmp_lt_f32_e32 vcc, v28, v29
	s_and_b64 s[8:9], s[8:9], s[48:49]
	s_or_b64 s[52:53], vcc, s[8:9]
	s_and_b64 s[8:9], s[52:53], exec
	v_cmp_nlg_f32_e64 s[10:11], v28, v29
	s_or_b64 s[8:9], s[50:51], s[8:9]
	s_and_saveexec_b64 s[50:51], s[10:11]
	s_cbranch_execz .LBB873_601
; %bb.603:                              ;   in Loop: Header=BB873_602 Depth=1
	s_add_u32 s46, s46, -1
	s_addc_u32 s47, s47, -1
	v_add_co_u32_e32 v4, vcc, 4, v4
	s_cmp_eq_u64 s[46:47], 0
	v_addc_co_u32_e32 v5, vcc, 0, v5, vcc
	s_cselect_b64 s[10:11], -1, 0
	v_add_co_u32_e32 v6, vcc, 4, v6
	s_andn2_b64 s[44:45], s[44:45], exec
	s_and_b64 s[48:49], s[52:53], exec
	s_andn2_b64 s[42:43], s[42:43], exec
	s_and_b64 s[10:11], s[10:11], exec
	v_addc_co_u32_e32 v7, vcc, 0, v7, vcc
	s_or_b64 s[44:45], s[44:45], s[48:49]
	s_andn2_b64 s[8:9], s[8:9], exec
	s_or_b64 s[42:43], s[42:43], s[10:11]
                                        ; implicit-def: $sgpr48_sgpr49
	s_branch .LBB873_601
.LBB873_604:
	s_or_b64 exec, exec, s[38:39]
	s_xor_b64 s[8:9], s[40:41], -1
	s_andn2_b64 s[10:11], s[30:31], exec
	s_and_b64 s[8:9], s[8:9], exec
	s_or_b64 s[30:31], s[10:11], s[8:9]
.LBB873_605:
	s_or_b64 exec, exec, s[36:37]
	s_orn2_b64 s[30:31], s[30:31], exec
.LBB873_606:
	s_or_b64 exec, exec, s[34:35]
	v_cndmask_b32_e64 v4, v9, v8, s[30:31]
	v_cndmask_b32_e64 v5, v25, v24, s[30:31]
	v_add_u32_e32 v6, 1, v4
	v_add_u32_e32 v4, -1, v5
	v_min_u32_e32 v4, v6, v4
	v_lshl_add_u32 v4, v4, 3, v18
	ds_read_b64 v[4:5], v4
	v_cndmask_b32_e64 v9, v6, v9, s[30:31]
	v_cndmask_b32_e64 v8, v8, v6, s[30:31]
	v_cmp_lt_u32_e32 vcc, v9, v25
	s_waitcnt lgkmcnt(0)
	v_cndmask_b32_e64 v28, v5, v10, s[30:31]
	v_cndmask_b32_e64 v29, v4, v11, s[30:31]
	;; [unrolled: 1-line block ×4, first 2 shown]
	s_and_saveexec_b64 s[34:35], vcc
	s_cbranch_execz .LBB873_614
; %bb.607:
	v_cmp_lt_u32_e64 s[28:29], v8, v24
	s_and_b64 s[8:9], s[28:29], s[20:21]
	s_and_saveexec_b64 s[36:37], s[8:9]
	s_cbranch_execz .LBB873_613
; %bb.608:
	v_mul_lo_u32 v6, v28, s12
	v_mul_lo_u32 v7, v29, s13
	v_mad_u64_u32 v[4:5], s[8:9], v29, s12, 0
	v_add3_u32 v5, v5, v7, v6
	v_lshlrev_b64 v[4:5], 2, v[4:5]
	v_mov_b32_e32 v6, s15
	v_add_co_u32_e32 v4, vcc, s14, v4
	v_addc_co_u32_e32 v5, vcc, v6, v5, vcc
	v_mul_lo_u32 v32, v30, s12
	v_mul_lo_u32 v33, v31, s13
	v_mad_u64_u32 v[6:7], s[8:9], v31, s12, 0
	v_add3_u32 v7, v7, v33, v32
	v_lshlrev_b64 v[6:7], 2, v[6:7]
	v_mov_b32_e32 v32, s15
	v_add_co_u32_e32 v6, vcc, s14, v6
	v_addc_co_u32_e32 v7, vcc, v32, v7, vcc
	s_mov_b64 s[38:39], 0
	s_mov_b64 s[46:47], s[12:13]
                                        ; implicit-def: $sgpr40_sgpr41
                                        ; implicit-def: $sgpr42_sgpr43
                                        ; implicit-def: $sgpr8_sgpr9
                                        ; implicit-def: $sgpr44_sgpr45
                                        ; implicit-def: $sgpr48_sgpr49
	s_branch .LBB873_610
.LBB873_609:                            ;   in Loop: Header=BB873_610 Depth=1
	s_or_b64 exec, exec, s[50:51]
	s_and_b64 s[10:11], exec, s[42:43]
	s_or_b64 s[38:39], s[10:11], s[38:39]
	s_andn2_b64 s[10:11], s[48:49], exec
	s_and_b64 s[48:49], s[44:45], exec
	s_or_b64 s[48:49], s[10:11], s[48:49]
	s_andn2_b64 s[10:11], s[40:41], exec
	s_and_b64 s[40:41], s[8:9], exec
	s_or_b64 s[40:41], s[10:11], s[40:41]
	s_andn2_b64 exec, exec, s[38:39]
	s_cbranch_execz .LBB873_612
.LBB873_610:                            ; =>This Inner Loop Header: Depth=1
	global_load_dword v32, v[4:5], off
	global_load_dword v33, v[6:7], off
	s_andn2_b64 s[50:51], s[8:9], exec
	s_andn2_b64 s[44:45], s[44:45], exec
	s_or_b64 s[42:43], s[42:43], exec
	s_waitcnt vmcnt(0)
	v_cmp_ngt_f32_e64 s[8:9], v32, v33
	v_cmp_lt_f32_e32 vcc, v32, v33
	s_and_b64 s[8:9], s[8:9], s[48:49]
	s_or_b64 s[52:53], vcc, s[8:9]
	s_and_b64 s[8:9], s[52:53], exec
	v_cmp_nlg_f32_e64 s[10:11], v32, v33
	s_or_b64 s[8:9], s[50:51], s[8:9]
	s_and_saveexec_b64 s[50:51], s[10:11]
	s_cbranch_execz .LBB873_609
; %bb.611:                              ;   in Loop: Header=BB873_610 Depth=1
	s_add_u32 s46, s46, -1
	s_addc_u32 s47, s47, -1
	v_add_co_u32_e32 v4, vcc, 4, v4
	s_cmp_eq_u64 s[46:47], 0
	v_addc_co_u32_e32 v5, vcc, 0, v5, vcc
	s_cselect_b64 s[10:11], -1, 0
	v_add_co_u32_e32 v6, vcc, 4, v6
	s_andn2_b64 s[44:45], s[44:45], exec
	s_and_b64 s[48:49], s[52:53], exec
	s_andn2_b64 s[42:43], s[42:43], exec
	s_and_b64 s[10:11], s[10:11], exec
	v_addc_co_u32_e32 v7, vcc, 0, v7, vcc
	s_or_b64 s[44:45], s[44:45], s[48:49]
	s_andn2_b64 s[8:9], s[8:9], exec
	s_or_b64 s[42:43], s[42:43], s[10:11]
                                        ; implicit-def: $sgpr48_sgpr49
	s_branch .LBB873_609
.LBB873_612:
	s_or_b64 exec, exec, s[38:39]
	s_xor_b64 s[8:9], s[40:41], -1
	s_andn2_b64 s[10:11], s[28:29], exec
	s_and_b64 s[8:9], s[8:9], exec
	s_or_b64 s[28:29], s[10:11], s[8:9]
.LBB873_613:
	s_or_b64 exec, exec, s[36:37]
	s_orn2_b64 s[28:29], s[28:29], exec
.LBB873_614:
	s_or_b64 exec, exec, s[34:35]
	v_cndmask_b32_e64 v4, v9, v8, s[28:29]
	v_cndmask_b32_e64 v5, v25, v24, s[28:29]
	v_add_u32_e32 v33, 1, v4
	v_add_u32_e32 v4, -1, v5
	v_min_u32_e32 v4, v33, v4
	v_lshl_add_u32 v4, v4, 3, v18
	ds_read_b64 v[4:5], v4
	v_cndmask_b32_e64 v9, v33, v9, s[28:29]
	v_cmp_lt_u32_e32 vcc, v9, v25
	s_waitcnt lgkmcnt(0)
	v_cndmask_b32_e64 v7, v30, v5, s[28:29]
	v_cndmask_b32_e64 v6, v31, v4, s[28:29]
	s_and_saveexec_b64 s[34:35], vcc
	s_cbranch_execz .LBB873_622
; %bb.615:
	v_cndmask_b32_e64 v32, v4, v29, s[28:29]
	v_cndmask_b32_e64 v4, v8, v33, s[28:29]
	v_cmp_ge_u32_e32 vcc, v4, v24
	v_cndmask_b32_e64 v25, v5, v28, s[28:29]
	s_or_b64 s[8:9], vcc, s[18:19]
	v_cndmask_b32_e32 v5, v7, v25, vcc
	s_xor_b64 s[8:9], s[8:9], -1
	v_cndmask_b32_e32 v4, v6, v32, vcc
	s_and_saveexec_b64 s[36:37], s[8:9]
	s_cbranch_execz .LBB873_621
; %bb.616:
	v_mul_lo_u32 v8, v25, s12
	v_mul_lo_u32 v9, v32, s13
	v_mad_u64_u32 v[4:5], s[8:9], v32, s12, 0
	v_add3_u32 v5, v5, v9, v8
	v_lshlrev_b64 v[4:5], 2, v[4:5]
	v_mov_b32_e32 v8, s15
	v_add_co_u32_e32 v4, vcc, s14, v4
	v_addc_co_u32_e32 v5, vcc, v8, v5, vcc
	v_mul_lo_u32 v24, v7, s12
	v_mul_lo_u32 v33, v6, s13
	v_mad_u64_u32 v[8:9], s[8:9], v6, s12, 0
	v_add3_u32 v9, v9, v33, v24
	v_lshlrev_b64 v[8:9], 2, v[8:9]
	v_mov_b32_e32 v24, s15
	v_add_co_u32_e32 v8, vcc, s14, v8
	v_addc_co_u32_e32 v9, vcc, v24, v9, vcc
	s_mov_b64 s[38:39], 0
	s_mov_b64 s[46:47], s[12:13]
                                        ; implicit-def: $sgpr40_sgpr41
                                        ; implicit-def: $sgpr42_sgpr43
                                        ; implicit-def: $sgpr8_sgpr9
                                        ; implicit-def: $sgpr44_sgpr45
                                        ; implicit-def: $sgpr48_sgpr49
	s_branch .LBB873_618
.LBB873_617:                            ;   in Loop: Header=BB873_618 Depth=1
	s_or_b64 exec, exec, s[50:51]
	s_and_b64 s[10:11], exec, s[42:43]
	s_or_b64 s[38:39], s[10:11], s[38:39]
	s_andn2_b64 s[10:11], s[48:49], exec
	s_and_b64 s[48:49], s[44:45], exec
	s_or_b64 s[48:49], s[10:11], s[48:49]
	s_andn2_b64 s[10:11], s[40:41], exec
	s_and_b64 s[40:41], s[8:9], exec
	s_or_b64 s[40:41], s[10:11], s[40:41]
	s_andn2_b64 exec, exec, s[38:39]
	s_cbranch_execz .LBB873_620
.LBB873_618:                            ; =>This Inner Loop Header: Depth=1
	global_load_dword v24, v[4:5], off
	global_load_dword v33, v[8:9], off
	s_andn2_b64 s[50:51], s[8:9], exec
	s_andn2_b64 s[44:45], s[44:45], exec
	s_or_b64 s[42:43], s[42:43], exec
	s_waitcnt vmcnt(0)
	v_cmp_ngt_f32_e64 s[8:9], v24, v33
	v_cmp_lt_f32_e32 vcc, v24, v33
	s_and_b64 s[8:9], s[8:9], s[48:49]
	s_or_b64 s[52:53], vcc, s[8:9]
	s_and_b64 s[8:9], s[52:53], exec
	v_cmp_nlg_f32_e64 s[10:11], v24, v33
	s_or_b64 s[8:9], s[50:51], s[8:9]
	s_and_saveexec_b64 s[50:51], s[10:11]
	s_cbranch_execz .LBB873_617
; %bb.619:                              ;   in Loop: Header=BB873_618 Depth=1
	s_add_u32 s46, s46, -1
	s_addc_u32 s47, s47, -1
	v_add_co_u32_e32 v4, vcc, 4, v4
	s_cmp_eq_u64 s[46:47], 0
	v_addc_co_u32_e32 v5, vcc, 0, v5, vcc
	s_cselect_b64 s[10:11], -1, 0
	v_add_co_u32_e32 v8, vcc, 4, v8
	s_andn2_b64 s[44:45], s[44:45], exec
	s_and_b64 s[48:49], s[52:53], exec
	s_andn2_b64 s[42:43], s[42:43], exec
	s_and_b64 s[10:11], s[10:11], exec
	v_addc_co_u32_e32 v9, vcc, 0, v9, vcc
	s_or_b64 s[44:45], s[44:45], s[48:49]
	s_andn2_b64 s[8:9], s[8:9], exec
	s_or_b64 s[42:43], s[42:43], s[10:11]
                                        ; implicit-def: $sgpr48_sgpr49
	s_branch .LBB873_617
.LBB873_620:
	s_or_b64 exec, exec, s[38:39]
	v_cndmask_b32_e64 v5, v7, v25, s[40:41]
	v_cndmask_b32_e64 v4, v6, v32, s[40:41]
.LBB873_621:
	s_or_b64 exec, exec, s[36:37]
	v_pk_mov_b32 v[6:7], v[4:5], v[4:5] op_sel:[0,1]
.LBB873_622:
	s_or_b64 exec, exec, s[34:35]
	v_cndmask_b32_e64 v1, v3, v1, s[26:27]
	v_cndmask_b32_e64 v0, v2, v0, s[26:27]
	;; [unrolled: 1-line block ×6, first 2 shown]
.LBB873_623:
	s_or_b64 exec, exec, s[22:23]
	v_and_b32_e32 v25, 0x1c0, v20
	v_or_b32_e32 v8, 32, v25
	; wave barrier
	ds_write_b128 v21, v[0:3]
	ds_write_b128 v21, v[4:7] offset:16
	v_min_u32_e32 v21, v19, v8
	v_add_u32_e32 v8, 32, v21
	v_min_u32_e32 v24, v19, v8
	v_and_b32_e32 v8, 60, v20
	v_min_u32_e32 v26, v19, v8
	v_sub_u32_e32 v8, v21, v25
	v_sub_u32_e32 v9, v24, v21
	v_sub_u32_e64 v20, v26, v9 clamp
	v_min_u32_e32 v27, v26, v8
	v_lshl_add_u32 v19, v25, 3, v18
	v_cmp_lt_u32_e32 vcc, v20, v27
	; wave barrier
	s_and_saveexec_b64 s[22:23], vcc
	s_cbranch_execz .LBB873_633
; %bb.624:
	v_lshlrev_b32_e32 v8, 3, v21
	v_lshlrev_b32_e32 v9, 3, v26
	v_add3_u32 v28, v18, v8, v9
	s_lshl_b64 s[28:29], s[12:13], 2
	s_mov_b64 s[26:27], 0
	s_branch .LBB873_627
.LBB873_625:                            ;   in Loop: Header=BB873_627 Depth=1
	s_or_b64 exec, exec, s[34:35]
.LBB873_626:                            ;   in Loop: Header=BB873_627 Depth=1
	v_add_u32_e32 v8, 1, v29
	v_cndmask_b32_e64 v27, v27, v29, s[30:31]
	v_cndmask_b32_e64 v20, v8, v20, s[30:31]
	v_cmp_ge_u32_e32 vcc, v20, v27
	s_or_b64 s[26:27], vcc, s[26:27]
	s_andn2_b64 exec, exec, s[26:27]
	s_cbranch_execz .LBB873_632
.LBB873_627:                            ; =>This Loop Header: Depth=1
                                        ;     Child Loop BB873_630 Depth 2
	v_add_u32_e32 v8, v27, v20
	v_lshrrev_b32_e32 v29, 1, v8
	s_and_b64 vcc, exec, s[6:7]
	s_mov_b64 s[30:31], 0
	s_cbranch_vccnz .LBB873_626
; %bb.628:                              ;   in Loop: Header=BB873_627 Depth=1
	v_not_b32_e32 v8, v29
	v_lshl_add_u32 v8, v8, 3, v28
	ds_read_b64 v[8:9], v8
	v_lshl_add_u32 v30, v29, 3, v19
	ds_read_b64 v[30:31], v30
	v_pk_mov_b32 v[10:11], s[14:15], s[14:15] op_sel:[0,1]
	s_mov_b64 s[34:35], 0
	s_waitcnt lgkmcnt(1)
	v_mul_lo_u32 v32, s28, v9
	v_mul_lo_u32 v33, s29, v8
	v_mad_u64_u32 v[8:9], s[8:9], s28, v8, v[10:11]
	v_add3_u32 v9, v33, v9, v32
	s_waitcnt lgkmcnt(0)
	v_mul_lo_u32 v31, s28, v31
	v_mul_lo_u32 v32, s29, v30
	v_mad_u64_u32 v[10:11], s[8:9], s28, v30, v[10:11]
	v_add3_u32 v11, v32, v11, v31
	s_mov_b64 s[40:41], s[12:13]
                                        ; implicit-def: $sgpr30_sgpr31
                                        ; implicit-def: $sgpr36_sgpr37
                                        ; implicit-def: $sgpr38_sgpr39
                                        ; implicit-def: $sgpr8_sgpr9
                                        ; implicit-def: $sgpr42_sgpr43
	s_branch .LBB873_630
.LBB873_629:                            ;   in Loop: Header=BB873_630 Depth=2
	s_or_b64 exec, exec, s[44:45]
	s_and_b64 s[10:11], exec, s[36:37]
	s_or_b64 s[34:35], s[10:11], s[34:35]
	s_andn2_b64 s[10:11], s[42:43], exec
	s_and_b64 s[42:43], s[38:39], exec
	s_or_b64 s[42:43], s[10:11], s[42:43]
	s_andn2_b64 s[10:11], s[30:31], exec
	s_and_b64 s[30:31], s[8:9], exec
	s_or_b64 s[30:31], s[10:11], s[30:31]
	s_andn2_b64 exec, exec, s[34:35]
	s_cbranch_execz .LBB873_625
.LBB873_630:                            ;   Parent Loop BB873_627 Depth=1
                                        ; =>  This Inner Loop Header: Depth=2
	global_load_dword v30, v[8:9], off
	global_load_dword v31, v[10:11], off
	s_andn2_b64 s[44:45], s[8:9], exec
	s_andn2_b64 s[38:39], s[38:39], exec
	s_or_b64 s[36:37], s[36:37], exec
	s_waitcnt vmcnt(0)
	v_cmp_ngt_f32_e64 s[8:9], v30, v31
	v_cmp_lt_f32_e32 vcc, v30, v31
	s_and_b64 s[8:9], s[8:9], s[42:43]
	s_or_b64 s[46:47], vcc, s[8:9]
	s_and_b64 s[8:9], s[46:47], exec
	v_cmp_nlg_f32_e64 s[10:11], v30, v31
	s_or_b64 s[8:9], s[44:45], s[8:9]
	s_and_saveexec_b64 s[44:45], s[10:11]
	s_cbranch_execz .LBB873_629
; %bb.631:                              ;   in Loop: Header=BB873_630 Depth=2
	s_add_u32 s40, s40, -1
	s_addc_u32 s41, s41, -1
	v_add_co_u32_e32 v8, vcc, 4, v8
	s_cmp_eq_u64 s[40:41], 0
	v_addc_co_u32_e32 v9, vcc, 0, v9, vcc
	s_cselect_b64 s[10:11], -1, 0
	v_add_co_u32_e32 v10, vcc, 4, v10
	s_andn2_b64 s[38:39], s[38:39], exec
	s_and_b64 s[42:43], s[46:47], exec
	s_andn2_b64 s[36:37], s[36:37], exec
	s_and_b64 s[10:11], s[10:11], exec
	v_addc_co_u32_e32 v11, vcc, 0, v11, vcc
	s_andn2_b64 s[8:9], s[8:9], exec
	s_or_b64 s[38:39], s[38:39], s[42:43]
	s_or_b64 s[36:37], s[36:37], s[10:11]
                                        ; implicit-def: $sgpr42_sgpr43
	s_branch .LBB873_629
.LBB873_632:
	s_or_b64 exec, exec, s[26:27]
.LBB873_633:
	s_or_b64 exec, exec, s[22:23]
	v_add_u32_e32 v9, v21, v26
	v_add_u32_e32 v8, v20, v25
	v_sub_u32_e32 v9, v9, v20
	v_cmp_le_u32_e32 vcc, v8, v21
	v_cmp_le_u32_e64 s[8:9], v9, v24
	s_or_b64 s[8:9], vcc, s[8:9]
	s_and_saveexec_b64 s[22:23], s[8:9]
	s_cbranch_execz .LBB873_669
; %bb.634:
	v_cmp_ge_u32_e32 vcc, v8, v21
	v_cmp_lt_u32_e64 s[8:9], v8, v21
                                        ; implicit-def: $vgpr0_vgpr1
	s_and_saveexec_b64 s[10:11], s[8:9]
	s_cbranch_execz .LBB873_636
; %bb.635:
	v_lshl_add_u32 v0, v20, 3, v19
	ds_read_b64 v[0:1], v0
.LBB873_636:
	s_or_b64 exec, exec, s[10:11]
	v_cmp_ge_u32_e64 s[8:9], v9, v24
	v_cmp_lt_u32_e64 s[10:11], v9, v24
                                        ; implicit-def: $vgpr2_vgpr3
	s_and_saveexec_b64 s[26:27], s[10:11]
	s_cbranch_execz .LBB873_638
; %bb.637:
	v_lshl_add_u32 v2, v9, 3, v18
	ds_read_b64 v[2:3], v2
.LBB873_638:
	s_or_b64 exec, exec, s[26:27]
	s_or_b64 s[10:11], vcc, s[8:9]
	s_or_b64 s[10:11], s[10:11], s[18:19]
	s_xor_b64 s[26:27], vcc, -1
	s_xor_b64 s[10:11], s[10:11], -1
	s_or_b64 s[26:27], s[8:9], s[26:27]
	s_and_saveexec_b64 s[28:29], s[10:11]
	s_cbranch_execz .LBB873_644
; %bb.639:
	s_waitcnt lgkmcnt(0)
	v_mul_lo_u32 v6, v3, s12
	v_mul_lo_u32 v7, v2, s13
	v_mad_u64_u32 v[4:5], s[8:9], v2, s12, 0
	v_add3_u32 v5, v5, v7, v6
	v_lshlrev_b64 v[4:5], 2, v[4:5]
	v_mov_b32_e32 v6, s15
	v_add_co_u32_e32 v4, vcc, s14, v4
	v_addc_co_u32_e32 v5, vcc, v6, v5, vcc
	v_mul_lo_u32 v10, v1, s12
	v_mul_lo_u32 v11, v0, s13
	v_mad_u64_u32 v[6:7], s[8:9], v0, s12, 0
	v_add3_u32 v7, v7, v11, v10
	v_lshlrev_b64 v[6:7], 2, v[6:7]
	v_mov_b32_e32 v10, s15
	v_add_co_u32_e32 v6, vcc, s14, v6
	v_addc_co_u32_e32 v7, vcc, v10, v7, vcc
	s_mov_b64 s[30:31], 0
	s_mov_b64 s[40:41], s[12:13]
                                        ; implicit-def: $sgpr34_sgpr35
                                        ; implicit-def: $sgpr36_sgpr37
                                        ; implicit-def: $sgpr8_sgpr9
                                        ; implicit-def: $sgpr38_sgpr39
                                        ; implicit-def: $sgpr42_sgpr43
	s_branch .LBB873_641
.LBB873_640:                            ;   in Loop: Header=BB873_641 Depth=1
	s_or_b64 exec, exec, s[44:45]
	s_and_b64 s[10:11], exec, s[36:37]
	s_or_b64 s[30:31], s[10:11], s[30:31]
	s_andn2_b64 s[10:11], s[42:43], exec
	s_and_b64 s[42:43], s[38:39], exec
	s_or_b64 s[42:43], s[10:11], s[42:43]
	s_andn2_b64 s[10:11], s[34:35], exec
	s_and_b64 s[34:35], s[8:9], exec
	s_or_b64 s[34:35], s[10:11], s[34:35]
	s_andn2_b64 exec, exec, s[30:31]
	s_cbranch_execz .LBB873_643
.LBB873_641:                            ; =>This Inner Loop Header: Depth=1
	global_load_dword v10, v[4:5], off
	global_load_dword v11, v[6:7], off
	s_andn2_b64 s[44:45], s[8:9], exec
	s_andn2_b64 s[38:39], s[38:39], exec
	s_or_b64 s[36:37], s[36:37], exec
	s_waitcnt vmcnt(0)
	v_cmp_ngt_f32_e64 s[8:9], v10, v11
	v_cmp_lt_f32_e32 vcc, v10, v11
	s_and_b64 s[8:9], s[8:9], s[42:43]
	s_or_b64 s[46:47], vcc, s[8:9]
	s_and_b64 s[8:9], s[46:47], exec
	v_cmp_nlg_f32_e64 s[10:11], v10, v11
	s_or_b64 s[8:9], s[44:45], s[8:9]
	s_and_saveexec_b64 s[44:45], s[10:11]
	s_cbranch_execz .LBB873_640
; %bb.642:                              ;   in Loop: Header=BB873_641 Depth=1
	s_add_u32 s40, s40, -1
	s_addc_u32 s41, s41, -1
	v_add_co_u32_e32 v4, vcc, 4, v4
	s_cmp_eq_u64 s[40:41], 0
	v_addc_co_u32_e32 v5, vcc, 0, v5, vcc
	s_cselect_b64 s[10:11], -1, 0
	v_add_co_u32_e32 v6, vcc, 4, v6
	s_andn2_b64 s[38:39], s[38:39], exec
	s_and_b64 s[42:43], s[46:47], exec
	s_andn2_b64 s[36:37], s[36:37], exec
	s_and_b64 s[10:11], s[10:11], exec
	v_addc_co_u32_e32 v7, vcc, 0, v7, vcc
	s_or_b64 s[38:39], s[38:39], s[42:43]
	s_andn2_b64 s[8:9], s[8:9], exec
	s_or_b64 s[36:37], s[36:37], s[10:11]
                                        ; implicit-def: $sgpr42_sgpr43
	s_branch .LBB873_640
.LBB873_643:
	s_or_b64 exec, exec, s[30:31]
	s_xor_b64 s[8:9], s[34:35], -1
	s_andn2_b64 s[10:11], s[26:27], exec
	s_and_b64 s[8:9], s[8:9], exec
	s_or_b64 s[26:27], s[10:11], s[8:9]
.LBB873_644:
	s_or_b64 exec, exec, s[28:29]
	v_cndmask_b32_e64 v4, v9, v8, s[26:27]
	v_cndmask_b32_e64 v5, v24, v21, s[26:27]
	v_add_u32_e32 v6, 1, v4
	v_add_u32_e32 v4, -1, v5
	v_min_u32_e32 v4, v6, v4
	v_lshl_add_u32 v4, v4, 3, v18
	ds_read_b64 v[4:5], v4
	v_cndmask_b32_e64 v9, v6, v9, s[26:27]
	v_cndmask_b32_e64 v8, v8, v6, s[26:27]
	v_cmp_lt_u32_e32 vcc, v9, v24
	s_mov_b64 s[28:29], -1
	s_waitcnt lgkmcnt(0)
	v_cndmask_b32_e64 v10, v5, v3, s[26:27]
	v_cndmask_b32_e64 v11, v4, v2, s[26:27]
	v_cndmask_b32_e64 v19, v1, v5, s[26:27]
	v_cndmask_b32_e64 v20, v0, v4, s[26:27]
	s_mov_b64 s[30:31], -1
	s_and_saveexec_b64 s[34:35], vcc
	s_cbranch_execz .LBB873_652
; %bb.645:
	v_cmp_lt_u32_e64 s[30:31], v8, v21
	s_and_b64 s[8:9], s[30:31], s[20:21]
	s_and_saveexec_b64 s[36:37], s[8:9]
	s_cbranch_execz .LBB873_651
; %bb.646:
	v_mul_lo_u32 v6, v10, s12
	v_mul_lo_u32 v7, v11, s13
	v_mad_u64_u32 v[4:5], s[8:9], v11, s12, 0
	v_add3_u32 v5, v5, v7, v6
	v_lshlrev_b64 v[4:5], 2, v[4:5]
	v_mov_b32_e32 v6, s15
	v_add_co_u32_e32 v4, vcc, s14, v4
	v_addc_co_u32_e32 v5, vcc, v6, v5, vcc
	v_mul_lo_u32 v25, v19, s12
	v_mul_lo_u32 v26, v20, s13
	v_mad_u64_u32 v[6:7], s[8:9], v20, s12, 0
	v_add3_u32 v7, v7, v26, v25
	v_lshlrev_b64 v[6:7], 2, v[6:7]
	v_mov_b32_e32 v25, s15
	v_add_co_u32_e32 v6, vcc, s14, v6
	v_addc_co_u32_e32 v7, vcc, v25, v7, vcc
	s_mov_b64 s[38:39], 0
	s_mov_b64 s[46:47], s[12:13]
                                        ; implicit-def: $sgpr40_sgpr41
                                        ; implicit-def: $sgpr42_sgpr43
                                        ; implicit-def: $sgpr8_sgpr9
                                        ; implicit-def: $sgpr44_sgpr45
                                        ; implicit-def: $sgpr48_sgpr49
	s_branch .LBB873_648
.LBB873_647:                            ;   in Loop: Header=BB873_648 Depth=1
	s_or_b64 exec, exec, s[50:51]
	s_and_b64 s[10:11], exec, s[42:43]
	s_or_b64 s[38:39], s[10:11], s[38:39]
	s_andn2_b64 s[10:11], s[48:49], exec
	s_and_b64 s[48:49], s[44:45], exec
	s_or_b64 s[48:49], s[10:11], s[48:49]
	s_andn2_b64 s[10:11], s[40:41], exec
	s_and_b64 s[40:41], s[8:9], exec
	s_or_b64 s[40:41], s[10:11], s[40:41]
	s_andn2_b64 exec, exec, s[38:39]
	s_cbranch_execz .LBB873_650
.LBB873_648:                            ; =>This Inner Loop Header: Depth=1
	global_load_dword v25, v[4:5], off
	global_load_dword v26, v[6:7], off
	s_andn2_b64 s[50:51], s[8:9], exec
	s_andn2_b64 s[44:45], s[44:45], exec
	s_or_b64 s[42:43], s[42:43], exec
	s_waitcnt vmcnt(0)
	v_cmp_ngt_f32_e64 s[8:9], v25, v26
	v_cmp_lt_f32_e32 vcc, v25, v26
	s_and_b64 s[8:9], s[8:9], s[48:49]
	s_or_b64 s[52:53], vcc, s[8:9]
	s_and_b64 s[8:9], s[52:53], exec
	v_cmp_nlg_f32_e64 s[10:11], v25, v26
	s_or_b64 s[8:9], s[50:51], s[8:9]
	s_and_saveexec_b64 s[50:51], s[10:11]
	s_cbranch_execz .LBB873_647
; %bb.649:                              ;   in Loop: Header=BB873_648 Depth=1
	s_add_u32 s46, s46, -1
	s_addc_u32 s47, s47, -1
	v_add_co_u32_e32 v4, vcc, 4, v4
	s_cmp_eq_u64 s[46:47], 0
	v_addc_co_u32_e32 v5, vcc, 0, v5, vcc
	s_cselect_b64 s[10:11], -1, 0
	v_add_co_u32_e32 v6, vcc, 4, v6
	s_andn2_b64 s[44:45], s[44:45], exec
	s_and_b64 s[48:49], s[52:53], exec
	s_andn2_b64 s[42:43], s[42:43], exec
	s_and_b64 s[10:11], s[10:11], exec
	v_addc_co_u32_e32 v7, vcc, 0, v7, vcc
	s_or_b64 s[44:45], s[44:45], s[48:49]
	s_andn2_b64 s[8:9], s[8:9], exec
	s_or_b64 s[42:43], s[42:43], s[10:11]
                                        ; implicit-def: $sgpr48_sgpr49
	s_branch .LBB873_647
.LBB873_650:
	s_or_b64 exec, exec, s[38:39]
	s_xor_b64 s[8:9], s[40:41], -1
	s_andn2_b64 s[10:11], s[30:31], exec
	s_and_b64 s[8:9], s[8:9], exec
	s_or_b64 s[30:31], s[10:11], s[8:9]
.LBB873_651:
	s_or_b64 exec, exec, s[36:37]
	s_orn2_b64 s[30:31], s[30:31], exec
.LBB873_652:
	s_or_b64 exec, exec, s[34:35]
	v_cndmask_b32_e64 v4, v9, v8, s[30:31]
	v_cndmask_b32_e64 v5, v24, v21, s[30:31]
	v_add_u32_e32 v6, 1, v4
	v_add_u32_e32 v4, -1, v5
	v_min_u32_e32 v4, v6, v4
	v_lshl_add_u32 v4, v4, 3, v18
	ds_read_b64 v[4:5], v4
	v_cndmask_b32_e64 v9, v6, v9, s[30:31]
	v_cndmask_b32_e64 v8, v8, v6, s[30:31]
	v_cmp_lt_u32_e32 vcc, v9, v24
	s_waitcnt lgkmcnt(0)
	v_cndmask_b32_e64 v25, v5, v10, s[30:31]
	v_cndmask_b32_e64 v26, v4, v11, s[30:31]
	;; [unrolled: 1-line block ×4, first 2 shown]
	s_and_saveexec_b64 s[34:35], vcc
	s_cbranch_execz .LBB873_660
; %bb.653:
	v_cmp_lt_u32_e64 s[28:29], v8, v21
	s_and_b64 s[8:9], s[28:29], s[20:21]
	s_and_saveexec_b64 s[36:37], s[8:9]
	s_cbranch_execz .LBB873_659
; %bb.654:
	v_mul_lo_u32 v6, v25, s12
	v_mul_lo_u32 v7, v26, s13
	v_mad_u64_u32 v[4:5], s[8:9], v26, s12, 0
	v_add3_u32 v5, v5, v7, v6
	v_lshlrev_b64 v[4:5], 2, v[4:5]
	v_mov_b32_e32 v6, s15
	v_add_co_u32_e32 v4, vcc, s14, v4
	v_addc_co_u32_e32 v5, vcc, v6, v5, vcc
	v_mul_lo_u32 v29, v27, s12
	v_mul_lo_u32 v30, v28, s13
	v_mad_u64_u32 v[6:7], s[8:9], v28, s12, 0
	v_add3_u32 v7, v7, v30, v29
	v_lshlrev_b64 v[6:7], 2, v[6:7]
	v_mov_b32_e32 v29, s15
	v_add_co_u32_e32 v6, vcc, s14, v6
	v_addc_co_u32_e32 v7, vcc, v29, v7, vcc
	s_mov_b64 s[38:39], 0
	s_mov_b64 s[46:47], s[12:13]
                                        ; implicit-def: $sgpr40_sgpr41
                                        ; implicit-def: $sgpr42_sgpr43
                                        ; implicit-def: $sgpr8_sgpr9
                                        ; implicit-def: $sgpr44_sgpr45
                                        ; implicit-def: $sgpr48_sgpr49
	s_branch .LBB873_656
.LBB873_655:                            ;   in Loop: Header=BB873_656 Depth=1
	s_or_b64 exec, exec, s[50:51]
	s_and_b64 s[10:11], exec, s[42:43]
	s_or_b64 s[38:39], s[10:11], s[38:39]
	s_andn2_b64 s[10:11], s[48:49], exec
	s_and_b64 s[48:49], s[44:45], exec
	s_or_b64 s[48:49], s[10:11], s[48:49]
	s_andn2_b64 s[10:11], s[40:41], exec
	s_and_b64 s[40:41], s[8:9], exec
	s_or_b64 s[40:41], s[10:11], s[40:41]
	s_andn2_b64 exec, exec, s[38:39]
	s_cbranch_execz .LBB873_658
.LBB873_656:                            ; =>This Inner Loop Header: Depth=1
	global_load_dword v29, v[4:5], off
	global_load_dword v30, v[6:7], off
	s_andn2_b64 s[50:51], s[8:9], exec
	s_andn2_b64 s[44:45], s[44:45], exec
	s_or_b64 s[42:43], s[42:43], exec
	s_waitcnt vmcnt(0)
	v_cmp_ngt_f32_e64 s[8:9], v29, v30
	v_cmp_lt_f32_e32 vcc, v29, v30
	s_and_b64 s[8:9], s[8:9], s[48:49]
	s_or_b64 s[52:53], vcc, s[8:9]
	s_and_b64 s[8:9], s[52:53], exec
	v_cmp_nlg_f32_e64 s[10:11], v29, v30
	s_or_b64 s[8:9], s[50:51], s[8:9]
	s_and_saveexec_b64 s[50:51], s[10:11]
	s_cbranch_execz .LBB873_655
; %bb.657:                              ;   in Loop: Header=BB873_656 Depth=1
	s_add_u32 s46, s46, -1
	s_addc_u32 s47, s47, -1
	v_add_co_u32_e32 v4, vcc, 4, v4
	s_cmp_eq_u64 s[46:47], 0
	v_addc_co_u32_e32 v5, vcc, 0, v5, vcc
	s_cselect_b64 s[10:11], -1, 0
	v_add_co_u32_e32 v6, vcc, 4, v6
	s_andn2_b64 s[44:45], s[44:45], exec
	s_and_b64 s[48:49], s[52:53], exec
	s_andn2_b64 s[42:43], s[42:43], exec
	s_and_b64 s[10:11], s[10:11], exec
	v_addc_co_u32_e32 v7, vcc, 0, v7, vcc
	s_or_b64 s[44:45], s[44:45], s[48:49]
	s_andn2_b64 s[8:9], s[8:9], exec
	s_or_b64 s[42:43], s[42:43], s[10:11]
                                        ; implicit-def: $sgpr48_sgpr49
	s_branch .LBB873_655
.LBB873_658:
	s_or_b64 exec, exec, s[38:39]
	s_xor_b64 s[8:9], s[40:41], -1
	s_andn2_b64 s[10:11], s[28:29], exec
	s_and_b64 s[8:9], s[8:9], exec
	s_or_b64 s[28:29], s[10:11], s[8:9]
.LBB873_659:
	s_or_b64 exec, exec, s[36:37]
	s_orn2_b64 s[28:29], s[28:29], exec
.LBB873_660:
	s_or_b64 exec, exec, s[34:35]
	v_cndmask_b32_e64 v4, v9, v8, s[28:29]
	v_cndmask_b32_e64 v5, v24, v21, s[28:29]
	v_add_u32_e32 v29, 1, v4
	v_add_u32_e32 v4, -1, v5
	v_min_u32_e32 v4, v29, v4
	v_lshl_add_u32 v4, v4, 3, v18
	ds_read_b64 v[4:5], v4
	v_cndmask_b32_e64 v9, v29, v9, s[28:29]
	v_cmp_lt_u32_e32 vcc, v9, v24
	s_waitcnt lgkmcnt(0)
	v_cndmask_b32_e64 v7, v27, v5, s[28:29]
	v_cndmask_b32_e64 v6, v28, v4, s[28:29]
	s_and_saveexec_b64 s[34:35], vcc
	s_cbranch_execz .LBB873_668
; %bb.661:
	v_cndmask_b32_e64 v24, v4, v26, s[28:29]
	v_cndmask_b32_e64 v4, v8, v29, s[28:29]
	v_cmp_ge_u32_e32 vcc, v4, v21
	v_cndmask_b32_e64 v18, v5, v25, s[28:29]
	s_or_b64 s[8:9], vcc, s[18:19]
	v_cndmask_b32_e32 v5, v7, v18, vcc
	s_xor_b64 s[8:9], s[8:9], -1
	v_cndmask_b32_e32 v4, v6, v24, vcc
	s_and_saveexec_b64 s[36:37], s[8:9]
	s_cbranch_execz .LBB873_667
; %bb.662:
	v_mul_lo_u32 v8, v18, s12
	v_mul_lo_u32 v9, v24, s13
	v_mad_u64_u32 v[4:5], s[8:9], v24, s12, 0
	v_add3_u32 v5, v5, v9, v8
	v_lshlrev_b64 v[4:5], 2, v[4:5]
	v_mov_b32_e32 v8, s15
	v_add_co_u32_e32 v4, vcc, s14, v4
	v_addc_co_u32_e32 v5, vcc, v8, v5, vcc
	v_mul_lo_u32 v21, v7, s12
	v_mul_lo_u32 v29, v6, s13
	v_mad_u64_u32 v[8:9], s[8:9], v6, s12, 0
	v_add3_u32 v9, v9, v29, v21
	v_lshlrev_b64 v[8:9], 2, v[8:9]
	v_mov_b32_e32 v21, s15
	v_add_co_u32_e32 v8, vcc, s14, v8
	v_addc_co_u32_e32 v9, vcc, v21, v9, vcc
	s_mov_b64 s[38:39], 0
	s_mov_b64 s[46:47], s[12:13]
                                        ; implicit-def: $sgpr40_sgpr41
                                        ; implicit-def: $sgpr42_sgpr43
                                        ; implicit-def: $sgpr8_sgpr9
                                        ; implicit-def: $sgpr44_sgpr45
                                        ; implicit-def: $sgpr48_sgpr49
	s_branch .LBB873_664
.LBB873_663:                            ;   in Loop: Header=BB873_664 Depth=1
	s_or_b64 exec, exec, s[50:51]
	s_and_b64 s[10:11], exec, s[42:43]
	s_or_b64 s[38:39], s[10:11], s[38:39]
	s_andn2_b64 s[10:11], s[48:49], exec
	s_and_b64 s[48:49], s[44:45], exec
	s_or_b64 s[48:49], s[10:11], s[48:49]
	s_andn2_b64 s[10:11], s[40:41], exec
	s_and_b64 s[40:41], s[8:9], exec
	s_or_b64 s[40:41], s[10:11], s[40:41]
	s_andn2_b64 exec, exec, s[38:39]
	s_cbranch_execz .LBB873_666
.LBB873_664:                            ; =>This Inner Loop Header: Depth=1
	global_load_dword v21, v[4:5], off
	global_load_dword v29, v[8:9], off
	s_andn2_b64 s[50:51], s[8:9], exec
	s_andn2_b64 s[44:45], s[44:45], exec
	s_or_b64 s[42:43], s[42:43], exec
	s_waitcnt vmcnt(0)
	v_cmp_ngt_f32_e64 s[8:9], v21, v29
	v_cmp_lt_f32_e32 vcc, v21, v29
	s_and_b64 s[8:9], s[8:9], s[48:49]
	s_or_b64 s[52:53], vcc, s[8:9]
	s_and_b64 s[8:9], s[52:53], exec
	v_cmp_nlg_f32_e64 s[10:11], v21, v29
	s_or_b64 s[8:9], s[50:51], s[8:9]
	s_and_saveexec_b64 s[50:51], s[10:11]
	s_cbranch_execz .LBB873_663
; %bb.665:                              ;   in Loop: Header=BB873_664 Depth=1
	s_add_u32 s46, s46, -1
	s_addc_u32 s47, s47, -1
	v_add_co_u32_e32 v4, vcc, 4, v4
	s_cmp_eq_u64 s[46:47], 0
	v_addc_co_u32_e32 v5, vcc, 0, v5, vcc
	s_cselect_b64 s[10:11], -1, 0
	v_add_co_u32_e32 v8, vcc, 4, v8
	s_andn2_b64 s[44:45], s[44:45], exec
	s_and_b64 s[48:49], s[52:53], exec
	s_andn2_b64 s[42:43], s[42:43], exec
	s_and_b64 s[10:11], s[10:11], exec
	v_addc_co_u32_e32 v9, vcc, 0, v9, vcc
	s_or_b64 s[44:45], s[44:45], s[48:49]
	s_andn2_b64 s[8:9], s[8:9], exec
	s_or_b64 s[42:43], s[42:43], s[10:11]
                                        ; implicit-def: $sgpr48_sgpr49
	s_branch .LBB873_663
.LBB873_666:
	s_or_b64 exec, exec, s[38:39]
	v_cndmask_b32_e64 v5, v7, v18, s[40:41]
	v_cndmask_b32_e64 v4, v6, v24, s[40:41]
.LBB873_667:
	s_or_b64 exec, exec, s[36:37]
	v_pk_mov_b32 v[6:7], v[4:5], v[4:5] op_sel:[0,1]
.LBB873_668:
	s_or_b64 exec, exec, s[34:35]
	v_cndmask_b32_e64 v1, v3, v1, s[26:27]
	v_cndmask_b32_e64 v0, v2, v0, s[26:27]
	;; [unrolled: 1-line block ×6, first 2 shown]
.LBB873_669:
	s_or_b64 exec, exec, s[22:23]
	s_cmpk_lt_u32 s33, 0x41
	; wave barrier
	s_waitcnt lgkmcnt(0)
	s_barrier
	s_cbranch_scc1 .LBB873_718
; %bb.670:
	v_lshlrev_b32_e32 v18, 3, v23
	s_lshl_b64 s[22:23], s[12:13], 2
	s_mov_b32 s56, 64
	s_branch .LBB873_675
.LBB873_671:                            ;   in Loop: Header=BB873_675 Depth=1
	s_or_b64 exec, exec, s[40:41]
	v_cndmask_b32_e64 v5, v7, v20, s[42:43]
	v_cndmask_b32_e64 v4, v6, v29, s[42:43]
.LBB873_672:                            ;   in Loop: Header=BB873_675 Depth=1
	s_or_b64 exec, exec, s[38:39]
	v_pk_mov_b32 v[6:7], v[4:5], v[4:5] op_sel:[0,1]
.LBB873_673:                            ;   in Loop: Header=BB873_675 Depth=1
	s_or_b64 exec, exec, s[36:37]
	v_cndmask_b32_e64 v1, v3, v1, s[28:29]
	v_cndmask_b32_e64 v0, v2, v0, s[28:29]
	;; [unrolled: 1-line block ×6, first 2 shown]
.LBB873_674:                            ;   in Loop: Header=BB873_675 Depth=1
	s_or_b64 exec, exec, s[26:27]
	s_cmp_lt_u32 s56, s33
	s_barrier
	s_cbranch_scc0 .LBB873_718
.LBB873_675:                            ; =>This Loop Header: Depth=1
                                        ;     Child Loop BB873_679 Depth 2
                                        ;       Child Loop BB873_682 Depth 3
                                        ;     Child Loop BB873_693 Depth 2
                                        ;     Child Loop BB873_700 Depth 2
	;; [unrolled: 1-line block ×4, first 2 shown]
	s_mov_b32 s8, s56
	s_lshl_b32 s56, s56, 1
	s_sub_i32 s10, 0, s56
	v_and_b32_e32 v25, s10, v23
	v_add_u32_e32 v8, s8, v25
	v_min_u32_e32 v19, s33, v8
	s_add_i32 s9, s56, -1
	v_add_u32_e32 v8, s8, v19
	v_min_u32_e32 v20, s33, v8
	v_and_b32_e32 v8, s9, v23
	v_min_u32_e32 v26, s33, v8
	v_sub_u32_e32 v8, v19, v25
	v_sub_u32_e32 v9, v20, v19
	v_sub_u32_e64 v24, v26, v9 clamp
	v_min_u32_e32 v27, v26, v8
	v_lshlrev_b32_e32 v21, 3, v25
	v_cmp_lt_u32_e32 vcc, v24, v27
	ds_write_b128 v18, v[0:3]
	ds_write_b128 v18, v[4:7] offset:16
	s_waitcnt lgkmcnt(0)
	s_barrier
	s_and_saveexec_b64 s[26:27], vcc
	s_cbranch_execz .LBB873_685
; %bb.676:                              ;   in Loop: Header=BB873_675 Depth=1
	v_lshlrev_b32_e32 v8, 3, v26
	v_lshl_add_u32 v28, v19, 3, v8
	s_mov_b64 s[28:29], 0
	s_branch .LBB873_679
.LBB873_677:                            ;   in Loop: Header=BB873_679 Depth=2
	s_or_b64 exec, exec, s[34:35]
.LBB873_678:                            ;   in Loop: Header=BB873_679 Depth=2
	v_add_u32_e32 v8, 1, v29
	v_cndmask_b32_e64 v27, v27, v29, s[30:31]
	v_cndmask_b32_e64 v24, v8, v24, s[30:31]
	v_cmp_ge_u32_e32 vcc, v24, v27
	s_or_b64 s[28:29], vcc, s[28:29]
	s_andn2_b64 exec, exec, s[28:29]
	s_cbranch_execz .LBB873_684
.LBB873_679:                            ;   Parent Loop BB873_675 Depth=1
                                        ; =>  This Loop Header: Depth=2
                                        ;       Child Loop BB873_682 Depth 3
	v_add_u32_e32 v8, v27, v24
	v_lshrrev_b32_e32 v29, 1, v8
	s_and_b64 vcc, exec, s[6:7]
	s_mov_b64 s[30:31], 0
	s_cbranch_vccnz .LBB873_678
; %bb.680:                              ;   in Loop: Header=BB873_679 Depth=2
	v_not_b32_e32 v8, v29
	v_lshl_add_u32 v8, v8, 3, v28
	ds_read_b64 v[8:9], v8
	v_lshl_add_u32 v30, v29, 3, v21
	ds_read_b64 v[30:31], v30
	v_pk_mov_b32 v[10:11], s[14:15], s[14:15] op_sel:[0,1]
	s_mov_b64 s[34:35], 0
	s_waitcnt lgkmcnt(1)
	v_mul_lo_u32 v32, s22, v9
	v_mul_lo_u32 v33, s23, v8
	v_mad_u64_u32 v[8:9], s[8:9], s22, v8, v[10:11]
	v_add3_u32 v9, v33, v9, v32
	s_waitcnt lgkmcnt(0)
	v_mul_lo_u32 v31, s22, v31
	v_mul_lo_u32 v32, s23, v30
	v_mad_u64_u32 v[10:11], s[8:9], s22, v30, v[10:11]
	v_add3_u32 v11, v32, v11, v31
	s_mov_b64 s[40:41], s[12:13]
                                        ; implicit-def: $sgpr30_sgpr31
                                        ; implicit-def: $sgpr36_sgpr37
                                        ; implicit-def: $sgpr38_sgpr39
                                        ; implicit-def: $sgpr8_sgpr9
                                        ; implicit-def: $sgpr42_sgpr43
	s_branch .LBB873_682
.LBB873_681:                            ;   in Loop: Header=BB873_682 Depth=3
	s_or_b64 exec, exec, s[44:45]
	s_and_b64 s[10:11], exec, s[36:37]
	s_or_b64 s[34:35], s[10:11], s[34:35]
	s_andn2_b64 s[10:11], s[42:43], exec
	s_and_b64 s[42:43], s[38:39], exec
	s_or_b64 s[42:43], s[10:11], s[42:43]
	s_andn2_b64 s[10:11], s[30:31], exec
	s_and_b64 s[30:31], s[8:9], exec
	s_or_b64 s[30:31], s[10:11], s[30:31]
	s_andn2_b64 exec, exec, s[34:35]
	s_cbranch_execz .LBB873_677
.LBB873_682:                            ;   Parent Loop BB873_675 Depth=1
                                        ;     Parent Loop BB873_679 Depth=2
                                        ; =>    This Inner Loop Header: Depth=3
	global_load_dword v30, v[8:9], off
	global_load_dword v31, v[10:11], off
	s_andn2_b64 s[44:45], s[8:9], exec
	s_andn2_b64 s[38:39], s[38:39], exec
	s_or_b64 s[36:37], s[36:37], exec
	s_waitcnt vmcnt(0)
	v_cmp_ngt_f32_e64 s[8:9], v30, v31
	v_cmp_lt_f32_e32 vcc, v30, v31
	s_and_b64 s[8:9], s[8:9], s[42:43]
	s_or_b64 s[46:47], vcc, s[8:9]
	s_and_b64 s[8:9], s[46:47], exec
	v_cmp_nlg_f32_e64 s[10:11], v30, v31
	s_or_b64 s[8:9], s[44:45], s[8:9]
	s_and_saveexec_b64 s[44:45], s[10:11]
	s_cbranch_execz .LBB873_681
; %bb.683:                              ;   in Loop: Header=BB873_682 Depth=3
	s_add_u32 s40, s40, -1
	s_addc_u32 s41, s41, -1
	v_add_co_u32_e32 v8, vcc, 4, v8
	s_cmp_eq_u64 s[40:41], 0
	v_addc_co_u32_e32 v9, vcc, 0, v9, vcc
	s_cselect_b64 s[10:11], -1, 0
	v_add_co_u32_e32 v10, vcc, 4, v10
	s_andn2_b64 s[38:39], s[38:39], exec
	s_and_b64 s[42:43], s[46:47], exec
	s_andn2_b64 s[36:37], s[36:37], exec
	s_and_b64 s[10:11], s[10:11], exec
	v_addc_co_u32_e32 v11, vcc, 0, v11, vcc
	s_andn2_b64 s[8:9], s[8:9], exec
	s_or_b64 s[38:39], s[38:39], s[42:43]
	s_or_b64 s[36:37], s[36:37], s[10:11]
                                        ; implicit-def: $sgpr42_sgpr43
	s_branch .LBB873_681
.LBB873_684:                            ;   in Loop: Header=BB873_675 Depth=1
	s_or_b64 exec, exec, s[28:29]
.LBB873_685:                            ;   in Loop: Header=BB873_675 Depth=1
	s_or_b64 exec, exec, s[26:27]
	v_sub_u32_e32 v9, v26, v24
	v_add_u32_e32 v8, v24, v25
	v_add_u32_e32 v9, v9, v19
	v_cmp_le_u32_e32 vcc, v8, v19
	v_cmp_le_u32_e64 s[8:9], v9, v20
	s_or_b64 s[8:9], vcc, s[8:9]
	s_and_saveexec_b64 s[26:27], s[8:9]
	s_cbranch_execz .LBB873_674
; %bb.686:                              ;   in Loop: Header=BB873_675 Depth=1
	v_cmp_ge_u32_e32 vcc, v8, v19
	v_cmp_lt_u32_e64 s[8:9], v8, v19
                                        ; implicit-def: $vgpr0_vgpr1
	s_and_saveexec_b64 s[10:11], s[8:9]
	s_cbranch_execz .LBB873_688
; %bb.687:                              ;   in Loop: Header=BB873_675 Depth=1
	v_lshl_add_u32 v0, v24, 3, v21
	ds_read_b64 v[0:1], v0
.LBB873_688:                            ;   in Loop: Header=BB873_675 Depth=1
	s_or_b64 exec, exec, s[10:11]
	v_cmp_ge_u32_e64 s[8:9], v9, v20
	v_cmp_lt_u32_e64 s[10:11], v9, v20
                                        ; implicit-def: $vgpr2_vgpr3
	s_and_saveexec_b64 s[28:29], s[10:11]
	s_cbranch_execz .LBB873_690
; %bb.689:                              ;   in Loop: Header=BB873_675 Depth=1
	v_lshlrev_b32_e32 v2, 3, v9
	ds_read_b64 v[2:3], v2
.LBB873_690:                            ;   in Loop: Header=BB873_675 Depth=1
	s_or_b64 exec, exec, s[28:29]
	s_or_b64 s[10:11], vcc, s[8:9]
	s_or_b64 s[10:11], s[10:11], s[18:19]
	s_xor_b64 s[28:29], vcc, -1
	s_xor_b64 s[10:11], s[10:11], -1
	s_or_b64 s[28:29], s[8:9], s[28:29]
	s_and_saveexec_b64 s[30:31], s[10:11]
	s_cbranch_execz .LBB873_696
; %bb.691:                              ;   in Loop: Header=BB873_675 Depth=1
	v_pk_mov_b32 v[6:7], s[14:15], s[14:15] op_sel:[0,1]
	s_waitcnt lgkmcnt(0)
	v_mad_u64_u32 v[4:5], s[8:9], s22, v2, v[6:7]
	v_mul_lo_u32 v10, s22, v3
	v_mul_lo_u32 v11, s23, v2
	v_add3_u32 v5, v11, v5, v10
	v_mad_u64_u32 v[6:7], s[8:9], s22, v0, v[6:7]
	v_mul_lo_u32 v10, s22, v1
	v_mul_lo_u32 v11, s23, v0
	v_add3_u32 v7, v11, v7, v10
	s_mov_b64 s[34:35], 0
	s_mov_b64 s[42:43], s[12:13]
                                        ; implicit-def: $sgpr36_sgpr37
                                        ; implicit-def: $sgpr38_sgpr39
                                        ; implicit-def: $sgpr8_sgpr9
                                        ; implicit-def: $sgpr40_sgpr41
                                        ; implicit-def: $sgpr44_sgpr45
	s_branch .LBB873_693
.LBB873_692:                            ;   in Loop: Header=BB873_693 Depth=2
	s_or_b64 exec, exec, s[46:47]
	s_and_b64 s[10:11], exec, s[38:39]
	s_or_b64 s[34:35], s[10:11], s[34:35]
	s_andn2_b64 s[10:11], s[44:45], exec
	s_and_b64 s[44:45], s[40:41], exec
	s_or_b64 s[44:45], s[10:11], s[44:45]
	s_andn2_b64 s[10:11], s[36:37], exec
	s_and_b64 s[36:37], s[8:9], exec
	s_or_b64 s[36:37], s[10:11], s[36:37]
	s_andn2_b64 exec, exec, s[34:35]
	s_cbranch_execz .LBB873_695
.LBB873_693:                            ;   Parent Loop BB873_675 Depth=1
                                        ; =>  This Inner Loop Header: Depth=2
	global_load_dword v10, v[4:5], off
	global_load_dword v11, v[6:7], off
	s_andn2_b64 s[46:47], s[8:9], exec
	s_andn2_b64 s[40:41], s[40:41], exec
	s_or_b64 s[38:39], s[38:39], exec
	s_waitcnt vmcnt(0)
	v_cmp_ngt_f32_e64 s[8:9], v10, v11
	v_cmp_lt_f32_e32 vcc, v10, v11
	s_and_b64 s[8:9], s[8:9], s[44:45]
	s_or_b64 s[48:49], vcc, s[8:9]
	s_and_b64 s[8:9], s[48:49], exec
	v_cmp_nlg_f32_e64 s[10:11], v10, v11
	s_or_b64 s[8:9], s[46:47], s[8:9]
	s_and_saveexec_b64 s[46:47], s[10:11]
	s_cbranch_execz .LBB873_692
; %bb.694:                              ;   in Loop: Header=BB873_693 Depth=2
	s_add_u32 s42, s42, -1
	s_addc_u32 s43, s43, -1
	v_add_co_u32_e32 v4, vcc, 4, v4
	s_cmp_eq_u64 s[42:43], 0
	v_addc_co_u32_e32 v5, vcc, 0, v5, vcc
	s_cselect_b64 s[10:11], -1, 0
	v_add_co_u32_e32 v6, vcc, 4, v6
	s_andn2_b64 s[40:41], s[40:41], exec
	s_and_b64 s[44:45], s[48:49], exec
	s_andn2_b64 s[38:39], s[38:39], exec
	s_and_b64 s[10:11], s[10:11], exec
	v_addc_co_u32_e32 v7, vcc, 0, v7, vcc
	s_or_b64 s[40:41], s[40:41], s[44:45]
	s_andn2_b64 s[8:9], s[8:9], exec
	s_or_b64 s[38:39], s[38:39], s[10:11]
                                        ; implicit-def: $sgpr44_sgpr45
	s_branch .LBB873_692
.LBB873_695:                            ;   in Loop: Header=BB873_675 Depth=1
	s_or_b64 exec, exec, s[34:35]
	s_xor_b64 s[8:9], s[36:37], -1
	s_andn2_b64 s[10:11], s[28:29], exec
	s_and_b64 s[8:9], s[8:9], exec
	s_or_b64 s[28:29], s[10:11], s[8:9]
.LBB873_696:                            ;   in Loop: Header=BB873_675 Depth=1
	s_or_b64 exec, exec, s[30:31]
	v_cndmask_b32_e64 v4, v9, v8, s[28:29]
	v_cndmask_b32_e64 v5, v20, v19, s[28:29]
	v_add_u32_e32 v6, 1, v4
	v_add_u32_e32 v4, -1, v5
	v_min_u32_e32 v4, v6, v4
	v_lshlrev_b32_e32 v4, 3, v4
	ds_read_b64 v[4:5], v4
	v_cndmask_b32_e64 v9, v6, v9, s[28:29]
	v_cndmask_b32_e64 v8, v8, v6, s[28:29]
	v_cmp_lt_u32_e32 vcc, v9, v20
	s_mov_b64 s[30:31], -1
	s_waitcnt lgkmcnt(0)
	v_cndmask_b32_e64 v10, v5, v3, s[28:29]
	v_cndmask_b32_e64 v11, v4, v2, s[28:29]
	;; [unrolled: 1-line block ×4, first 2 shown]
	s_mov_b64 s[34:35], -1
	s_and_saveexec_b64 s[36:37], vcc
	s_cbranch_execz .LBB873_704
; %bb.697:                              ;   in Loop: Header=BB873_675 Depth=1
	v_cmp_lt_u32_e64 s[34:35], v8, v19
	s_and_b64 s[8:9], s[34:35], s[20:21]
	s_and_saveexec_b64 s[38:39], s[8:9]
	s_cbranch_execz .LBB873_703
; %bb.698:                              ;   in Loop: Header=BB873_675 Depth=1
	v_pk_mov_b32 v[6:7], s[14:15], s[14:15] op_sel:[0,1]
	v_mad_u64_u32 v[4:5], s[8:9], s22, v11, v[6:7]
	v_mul_lo_u32 v25, s22, v10
	v_mul_lo_u32 v26, s23, v11
	v_add3_u32 v5, v26, v5, v25
	v_mad_u64_u32 v[6:7], s[8:9], s22, v24, v[6:7]
	v_mul_lo_u32 v25, s22, v21
	v_mul_lo_u32 v26, s23, v24
	v_add3_u32 v7, v26, v7, v25
	s_mov_b64 s[40:41], 0
	s_mov_b64 s[48:49], s[12:13]
                                        ; implicit-def: $sgpr42_sgpr43
                                        ; implicit-def: $sgpr44_sgpr45
                                        ; implicit-def: $sgpr8_sgpr9
                                        ; implicit-def: $sgpr46_sgpr47
                                        ; implicit-def: $sgpr50_sgpr51
	s_branch .LBB873_700
.LBB873_699:                            ;   in Loop: Header=BB873_700 Depth=2
	s_or_b64 exec, exec, s[52:53]
	s_and_b64 s[10:11], exec, s[44:45]
	s_or_b64 s[40:41], s[10:11], s[40:41]
	s_andn2_b64 s[10:11], s[50:51], exec
	s_and_b64 s[50:51], s[46:47], exec
	s_or_b64 s[50:51], s[10:11], s[50:51]
	s_andn2_b64 s[10:11], s[42:43], exec
	s_and_b64 s[42:43], s[8:9], exec
	s_or_b64 s[42:43], s[10:11], s[42:43]
	s_andn2_b64 exec, exec, s[40:41]
	s_cbranch_execz .LBB873_702
.LBB873_700:                            ;   Parent Loop BB873_675 Depth=1
                                        ; =>  This Inner Loop Header: Depth=2
	global_load_dword v25, v[4:5], off
	global_load_dword v26, v[6:7], off
	s_andn2_b64 s[52:53], s[8:9], exec
	s_andn2_b64 s[46:47], s[46:47], exec
	s_or_b64 s[44:45], s[44:45], exec
	s_waitcnt vmcnt(0)
	v_cmp_ngt_f32_e64 s[8:9], v25, v26
	v_cmp_lt_f32_e32 vcc, v25, v26
	s_and_b64 s[8:9], s[8:9], s[50:51]
	s_or_b64 s[54:55], vcc, s[8:9]
	s_and_b64 s[8:9], s[54:55], exec
	v_cmp_nlg_f32_e64 s[10:11], v25, v26
	s_or_b64 s[8:9], s[52:53], s[8:9]
	s_and_saveexec_b64 s[52:53], s[10:11]
	s_cbranch_execz .LBB873_699
; %bb.701:                              ;   in Loop: Header=BB873_700 Depth=2
	s_add_u32 s48, s48, -1
	s_addc_u32 s49, s49, -1
	v_add_co_u32_e32 v4, vcc, 4, v4
	s_cmp_eq_u64 s[48:49], 0
	v_addc_co_u32_e32 v5, vcc, 0, v5, vcc
	s_cselect_b64 s[10:11], -1, 0
	v_add_co_u32_e32 v6, vcc, 4, v6
	s_andn2_b64 s[46:47], s[46:47], exec
	s_and_b64 s[50:51], s[54:55], exec
	s_andn2_b64 s[44:45], s[44:45], exec
	s_and_b64 s[10:11], s[10:11], exec
	v_addc_co_u32_e32 v7, vcc, 0, v7, vcc
	s_or_b64 s[46:47], s[46:47], s[50:51]
	s_andn2_b64 s[8:9], s[8:9], exec
	s_or_b64 s[44:45], s[44:45], s[10:11]
                                        ; implicit-def: $sgpr50_sgpr51
	s_branch .LBB873_699
.LBB873_702:                            ;   in Loop: Header=BB873_675 Depth=1
	s_or_b64 exec, exec, s[40:41]
	s_xor_b64 s[8:9], s[42:43], -1
	s_andn2_b64 s[10:11], s[34:35], exec
	s_and_b64 s[8:9], s[8:9], exec
	s_or_b64 s[34:35], s[10:11], s[8:9]
.LBB873_703:                            ;   in Loop: Header=BB873_675 Depth=1
	s_or_b64 exec, exec, s[38:39]
	s_orn2_b64 s[34:35], s[34:35], exec
.LBB873_704:                            ;   in Loop: Header=BB873_675 Depth=1
	s_or_b64 exec, exec, s[36:37]
	v_cndmask_b32_e64 v4, v9, v8, s[34:35]
	v_cndmask_b32_e64 v5, v20, v19, s[34:35]
	v_add_u32_e32 v6, 1, v4
	v_add_u32_e32 v4, -1, v5
	v_min_u32_e32 v4, v6, v4
	v_lshlrev_b32_e32 v4, 3, v4
	ds_read_b64 v[4:5], v4
	v_cndmask_b32_e64 v9, v6, v9, s[34:35]
	v_cndmask_b32_e64 v8, v8, v6, s[34:35]
	v_cmp_lt_u32_e32 vcc, v9, v20
	s_waitcnt lgkmcnt(0)
	v_cndmask_b32_e64 v25, v5, v10, s[34:35]
	v_cndmask_b32_e64 v26, v4, v11, s[34:35]
	;; [unrolled: 1-line block ×4, first 2 shown]
	s_and_saveexec_b64 s[36:37], vcc
	s_cbranch_execz .LBB873_712
; %bb.705:                              ;   in Loop: Header=BB873_675 Depth=1
	v_cmp_lt_u32_e64 s[30:31], v8, v19
	s_and_b64 s[8:9], s[30:31], s[20:21]
	s_and_saveexec_b64 s[38:39], s[8:9]
	s_cbranch_execz .LBB873_711
; %bb.706:                              ;   in Loop: Header=BB873_675 Depth=1
	v_pk_mov_b32 v[6:7], s[14:15], s[14:15] op_sel:[0,1]
	v_mad_u64_u32 v[4:5], s[8:9], s22, v26, v[6:7]
	v_mul_lo_u32 v29, s22, v25
	v_mul_lo_u32 v30, s23, v26
	v_add3_u32 v5, v30, v5, v29
	v_mad_u64_u32 v[6:7], s[8:9], s22, v28, v[6:7]
	v_mul_lo_u32 v29, s22, v27
	v_mul_lo_u32 v30, s23, v28
	v_add3_u32 v7, v30, v7, v29
	s_mov_b64 s[40:41], 0
	s_mov_b64 s[48:49], s[12:13]
                                        ; implicit-def: $sgpr42_sgpr43
                                        ; implicit-def: $sgpr44_sgpr45
                                        ; implicit-def: $sgpr8_sgpr9
                                        ; implicit-def: $sgpr46_sgpr47
                                        ; implicit-def: $sgpr50_sgpr51
	s_branch .LBB873_708
.LBB873_707:                            ;   in Loop: Header=BB873_708 Depth=2
	s_or_b64 exec, exec, s[52:53]
	s_and_b64 s[10:11], exec, s[44:45]
	s_or_b64 s[40:41], s[10:11], s[40:41]
	s_andn2_b64 s[10:11], s[50:51], exec
	s_and_b64 s[50:51], s[46:47], exec
	s_or_b64 s[50:51], s[10:11], s[50:51]
	s_andn2_b64 s[10:11], s[42:43], exec
	s_and_b64 s[42:43], s[8:9], exec
	s_or_b64 s[42:43], s[10:11], s[42:43]
	s_andn2_b64 exec, exec, s[40:41]
	s_cbranch_execz .LBB873_710
.LBB873_708:                            ;   Parent Loop BB873_675 Depth=1
                                        ; =>  This Inner Loop Header: Depth=2
	global_load_dword v29, v[4:5], off
	global_load_dword v30, v[6:7], off
	s_andn2_b64 s[52:53], s[8:9], exec
	s_andn2_b64 s[46:47], s[46:47], exec
	s_or_b64 s[44:45], s[44:45], exec
	s_waitcnt vmcnt(0)
	v_cmp_ngt_f32_e64 s[8:9], v29, v30
	v_cmp_lt_f32_e32 vcc, v29, v30
	s_and_b64 s[8:9], s[8:9], s[50:51]
	s_or_b64 s[54:55], vcc, s[8:9]
	s_and_b64 s[8:9], s[54:55], exec
	v_cmp_nlg_f32_e64 s[10:11], v29, v30
	s_or_b64 s[8:9], s[52:53], s[8:9]
	s_and_saveexec_b64 s[52:53], s[10:11]
	s_cbranch_execz .LBB873_707
; %bb.709:                              ;   in Loop: Header=BB873_708 Depth=2
	s_add_u32 s48, s48, -1
	s_addc_u32 s49, s49, -1
	v_add_co_u32_e32 v4, vcc, 4, v4
	s_cmp_eq_u64 s[48:49], 0
	v_addc_co_u32_e32 v5, vcc, 0, v5, vcc
	s_cselect_b64 s[10:11], -1, 0
	v_add_co_u32_e32 v6, vcc, 4, v6
	s_andn2_b64 s[46:47], s[46:47], exec
	s_and_b64 s[50:51], s[54:55], exec
	s_andn2_b64 s[44:45], s[44:45], exec
	s_and_b64 s[10:11], s[10:11], exec
	v_addc_co_u32_e32 v7, vcc, 0, v7, vcc
	s_or_b64 s[46:47], s[46:47], s[50:51]
	s_andn2_b64 s[8:9], s[8:9], exec
	s_or_b64 s[44:45], s[44:45], s[10:11]
                                        ; implicit-def: $sgpr50_sgpr51
	s_branch .LBB873_707
.LBB873_710:                            ;   in Loop: Header=BB873_675 Depth=1
	s_or_b64 exec, exec, s[40:41]
	s_xor_b64 s[8:9], s[42:43], -1
	s_andn2_b64 s[10:11], s[30:31], exec
	s_and_b64 s[8:9], s[8:9], exec
	s_or_b64 s[30:31], s[10:11], s[8:9]
.LBB873_711:                            ;   in Loop: Header=BB873_675 Depth=1
	s_or_b64 exec, exec, s[38:39]
	s_orn2_b64 s[30:31], s[30:31], exec
.LBB873_712:                            ;   in Loop: Header=BB873_675 Depth=1
	s_or_b64 exec, exec, s[36:37]
	v_cndmask_b32_e64 v4, v9, v8, s[30:31]
	v_cndmask_b32_e64 v5, v20, v19, s[30:31]
	v_add_u32_e32 v30, 1, v4
	v_add_u32_e32 v4, -1, v5
	v_min_u32_e32 v4, v30, v4
	v_lshlrev_b32_e32 v4, 3, v4
	ds_read_b64 v[4:5], v4
	v_cndmask_b32_e64 v9, v30, v9, s[30:31]
	v_cmp_lt_u32_e32 vcc, v9, v20
	s_waitcnt lgkmcnt(0)
	v_cndmask_b32_e64 v7, v27, v5, s[30:31]
	v_cndmask_b32_e64 v6, v28, v4, s[30:31]
	s_and_saveexec_b64 s[36:37], vcc
	s_cbranch_execz .LBB873_673
; %bb.713:                              ;   in Loop: Header=BB873_675 Depth=1
	v_cndmask_b32_e64 v29, v4, v26, s[30:31]
	v_cndmask_b32_e64 v4, v8, v30, s[30:31]
	v_cmp_ge_u32_e32 vcc, v4, v19
	v_cndmask_b32_e64 v20, v5, v25, s[30:31]
	s_or_b64 s[8:9], vcc, s[18:19]
	v_cndmask_b32_e32 v5, v7, v20, vcc
	s_xor_b64 s[8:9], s[8:9], -1
	v_cndmask_b32_e32 v4, v6, v29, vcc
	s_and_saveexec_b64 s[38:39], s[8:9]
	s_cbranch_execz .LBB873_672
; %bb.714:                              ;   in Loop: Header=BB873_675 Depth=1
	v_pk_mov_b32 v[8:9], s[14:15], s[14:15] op_sel:[0,1]
	v_mad_u64_u32 v[4:5], s[8:9], s22, v29, v[8:9]
	v_mul_lo_u32 v19, s22, v20
	v_mul_lo_u32 v30, s23, v29
	v_add3_u32 v5, v30, v5, v19
	v_mad_u64_u32 v[8:9], s[8:9], s22, v6, v[8:9]
	v_mul_lo_u32 v19, s22, v7
	v_mul_lo_u32 v30, s23, v6
	v_add3_u32 v9, v30, v9, v19
	s_mov_b64 s[40:41], 0
	s_mov_b64 s[48:49], s[12:13]
                                        ; implicit-def: $sgpr42_sgpr43
                                        ; implicit-def: $sgpr44_sgpr45
                                        ; implicit-def: $sgpr8_sgpr9
                                        ; implicit-def: $sgpr46_sgpr47
                                        ; implicit-def: $sgpr50_sgpr51
	s_branch .LBB873_716
.LBB873_715:                            ;   in Loop: Header=BB873_716 Depth=2
	s_or_b64 exec, exec, s[52:53]
	s_and_b64 s[10:11], exec, s[44:45]
	s_or_b64 s[40:41], s[10:11], s[40:41]
	s_andn2_b64 s[10:11], s[50:51], exec
	s_and_b64 s[50:51], s[46:47], exec
	s_or_b64 s[50:51], s[10:11], s[50:51]
	s_andn2_b64 s[10:11], s[42:43], exec
	s_and_b64 s[42:43], s[8:9], exec
	s_or_b64 s[42:43], s[10:11], s[42:43]
	s_andn2_b64 exec, exec, s[40:41]
	s_cbranch_execz .LBB873_671
.LBB873_716:                            ;   Parent Loop BB873_675 Depth=1
                                        ; =>  This Inner Loop Header: Depth=2
	global_load_dword v19, v[4:5], off
	global_load_dword v30, v[8:9], off
	s_andn2_b64 s[52:53], s[8:9], exec
	s_andn2_b64 s[46:47], s[46:47], exec
	s_or_b64 s[44:45], s[44:45], exec
	s_waitcnt vmcnt(0)
	v_cmp_ngt_f32_e64 s[8:9], v19, v30
	v_cmp_lt_f32_e32 vcc, v19, v30
	s_and_b64 s[8:9], s[8:9], s[50:51]
	s_or_b64 s[54:55], vcc, s[8:9]
	s_and_b64 s[8:9], s[54:55], exec
	v_cmp_nlg_f32_e64 s[10:11], v19, v30
	s_or_b64 s[8:9], s[52:53], s[8:9]
	s_and_saveexec_b64 s[52:53], s[10:11]
	s_cbranch_execz .LBB873_715
; %bb.717:                              ;   in Loop: Header=BB873_716 Depth=2
	s_add_u32 s48, s48, -1
	s_addc_u32 s49, s49, -1
	v_add_co_u32_e32 v4, vcc, 4, v4
	s_cmp_eq_u64 s[48:49], 0
	v_addc_co_u32_e32 v5, vcc, 0, v5, vcc
	s_cselect_b64 s[10:11], -1, 0
	v_add_co_u32_e32 v8, vcc, 4, v8
	s_andn2_b64 s[46:47], s[46:47], exec
	s_and_b64 s[50:51], s[54:55], exec
	s_andn2_b64 s[44:45], s[44:45], exec
	s_and_b64 s[10:11], s[10:11], exec
	v_addc_co_u32_e32 v9, vcc, 0, v9, vcc
	s_or_b64 s[46:47], s[46:47], s[50:51]
	s_andn2_b64 s[8:9], s[8:9], exec
	s_or_b64 s[44:45], s[44:45], s[10:11]
                                        ; implicit-def: $sgpr50_sgpr51
	s_branch .LBB873_715
.LBB873_718:
	s_barrier
	ds_write2_b64 v17, v[0:1], v[2:3] offset1:1
	ds_write2_b64 v17, v[4:5], v[6:7] offset0:2 offset1:3
	s_waitcnt lgkmcnt(0)
	s_barrier
	ds_read_b64 v[6:7], v13 offset:2048
	ds_read_b64 v[2:3], v15 offset:4096
	ds_read_b64 v[0:1], v16 offset:6144
	v_mov_b32_e32 v5, s17
	v_add_co_u32_e32 v4, vcc, s16, v22
	v_mov_b32_e32 v13, 0
	v_addc_co_u32_e32 v5, vcc, 0, v5, vcc
	s_and_saveexec_b64 s[6:7], s[0:1]
	s_cbranch_execnz .LBB873_726
; %bb.719:
	s_or_b64 exec, exec, s[6:7]
	s_and_saveexec_b64 s[0:1], s[2:3]
	s_cbranch_execnz .LBB873_727
.LBB873_720:
	s_or_b64 exec, exec, s[0:1]
	s_and_saveexec_b64 s[0:1], s[4:5]
	s_cbranch_execz .LBB873_722
.LBB873_721:
	v_add_co_u32_e32 v4, vcc, 0x1000, v4
	v_addc_co_u32_e32 v5, vcc, 0, v5, vcc
	s_waitcnt lgkmcnt(1)
	global_store_dwordx2 v[4:5], v[2:3], off
.LBB873_722:
	s_or_b64 exec, exec, s[0:1]
.LBB873_723:
	s_and_saveexec_b64 s[0:1], s[24:25]
	s_cbranch_execz .LBB873_725
; %bb.724:
	s_waitcnt lgkmcnt(1)
	v_lshlrev_b64 v[2:3], 3, v[12:13]
	v_mov_b32_e32 v4, s17
	v_add_co_u32_e32 v2, vcc, s16, v2
	v_addc_co_u32_e32 v3, vcc, v4, v3, vcc
	v_add_co_u32_e32 v2, vcc, 0x1000, v2
	v_addc_co_u32_e32 v3, vcc, 0, v3, vcc
	s_waitcnt lgkmcnt(0)
	global_store_dwordx2 v[2:3], v[0:1], off offset:2048
.LBB873_725:
	s_endpgm
.LBB873_726:
	ds_read_b64 v[8:9], v14
	s_waitcnt lgkmcnt(0)
	global_store_dwordx2 v[4:5], v[8:9], off
	s_or_b64 exec, exec, s[6:7]
	s_and_saveexec_b64 s[0:1], s[2:3]
	s_cbranch_execz .LBB873_720
.LBB873_727:
	s_waitcnt lgkmcnt(2)
	global_store_dwordx2 v[4:5], v[6:7], off offset:2048
	s_or_b64 exec, exec, s[0:1]
	s_and_saveexec_b64 s[0:1], s[4:5]
	s_cbranch_execnz .LBB873_721
	s_branch .LBB873_722
	.section	.rodata,"a",@progbits
	.p2align	6, 0x0
	.amdhsa_kernel _ZN7rocprim17ROCPRIM_400000_NS6detail17trampoline_kernelINS0_14default_configENS1_37merge_sort_block_sort_config_selectorIlNS0_10empty_typeEEEZNS1_21merge_sort_block_sortIS3_PlS8_PS5_S9_ZN2at6native12_GLOBAL__N_124unique_dim_cuda_templateIfEESt5tupleIJNSA_6TensorESF_SF_EERKSF_lbbbEUlllE_EE10hipError_tT0_T1_T2_T3_mRjT4_P12ihipStream_tbNS1_7vsmem_tEEUlT_E_NS1_11comp_targetILNS1_3genE4ELNS1_11target_archE910ELNS1_3gpuE8ELNS1_3repE0EEENS1_30default_config_static_selectorELNS0_4arch9wavefront6targetE1EEEvSM_
		.amdhsa_group_segment_fixed_size 8448
		.amdhsa_private_segment_fixed_size 0
		.amdhsa_kernarg_size 328
		.amdhsa_user_sgpr_count 6
		.amdhsa_user_sgpr_private_segment_buffer 1
		.amdhsa_user_sgpr_dispatch_ptr 0
		.amdhsa_user_sgpr_queue_ptr 0
		.amdhsa_user_sgpr_kernarg_segment_ptr 1
		.amdhsa_user_sgpr_dispatch_id 0
		.amdhsa_user_sgpr_flat_scratch_init 0
		.amdhsa_user_sgpr_kernarg_preload_length 0
		.amdhsa_user_sgpr_kernarg_preload_offset 0
		.amdhsa_user_sgpr_private_segment_size 0
		.amdhsa_uses_dynamic_stack 0
		.amdhsa_system_sgpr_private_segment_wavefront_offset 0
		.amdhsa_system_sgpr_workgroup_id_x 1
		.amdhsa_system_sgpr_workgroup_id_y 1
		.amdhsa_system_sgpr_workgroup_id_z 1
		.amdhsa_system_sgpr_workgroup_info 0
		.amdhsa_system_vgpr_workitem_id 2
		.amdhsa_next_free_vgpr 42
		.amdhsa_next_free_sgpr 57
		.amdhsa_accum_offset 44
		.amdhsa_reserve_vcc 1
		.amdhsa_reserve_flat_scratch 0
		.amdhsa_float_round_mode_32 0
		.amdhsa_float_round_mode_16_64 0
		.amdhsa_float_denorm_mode_32 3
		.amdhsa_float_denorm_mode_16_64 3
		.amdhsa_dx10_clamp 1
		.amdhsa_ieee_mode 1
		.amdhsa_fp16_overflow 0
		.amdhsa_tg_split 0
		.amdhsa_exception_fp_ieee_invalid_op 0
		.amdhsa_exception_fp_denorm_src 0
		.amdhsa_exception_fp_ieee_div_zero 0
		.amdhsa_exception_fp_ieee_overflow 0
		.amdhsa_exception_fp_ieee_underflow 0
		.amdhsa_exception_fp_ieee_inexact 0
		.amdhsa_exception_int_div_zero 0
	.end_amdhsa_kernel
	.section	.text._ZN7rocprim17ROCPRIM_400000_NS6detail17trampoline_kernelINS0_14default_configENS1_37merge_sort_block_sort_config_selectorIlNS0_10empty_typeEEEZNS1_21merge_sort_block_sortIS3_PlS8_PS5_S9_ZN2at6native12_GLOBAL__N_124unique_dim_cuda_templateIfEESt5tupleIJNSA_6TensorESF_SF_EERKSF_lbbbEUlllE_EE10hipError_tT0_T1_T2_T3_mRjT4_P12ihipStream_tbNS1_7vsmem_tEEUlT_E_NS1_11comp_targetILNS1_3genE4ELNS1_11target_archE910ELNS1_3gpuE8ELNS1_3repE0EEENS1_30default_config_static_selectorELNS0_4arch9wavefront6targetE1EEEvSM_,"axG",@progbits,_ZN7rocprim17ROCPRIM_400000_NS6detail17trampoline_kernelINS0_14default_configENS1_37merge_sort_block_sort_config_selectorIlNS0_10empty_typeEEEZNS1_21merge_sort_block_sortIS3_PlS8_PS5_S9_ZN2at6native12_GLOBAL__N_124unique_dim_cuda_templateIfEESt5tupleIJNSA_6TensorESF_SF_EERKSF_lbbbEUlllE_EE10hipError_tT0_T1_T2_T3_mRjT4_P12ihipStream_tbNS1_7vsmem_tEEUlT_E_NS1_11comp_targetILNS1_3genE4ELNS1_11target_archE910ELNS1_3gpuE8ELNS1_3repE0EEENS1_30default_config_static_selectorELNS0_4arch9wavefront6targetE1EEEvSM_,comdat
.Lfunc_end873:
	.size	_ZN7rocprim17ROCPRIM_400000_NS6detail17trampoline_kernelINS0_14default_configENS1_37merge_sort_block_sort_config_selectorIlNS0_10empty_typeEEEZNS1_21merge_sort_block_sortIS3_PlS8_PS5_S9_ZN2at6native12_GLOBAL__N_124unique_dim_cuda_templateIfEESt5tupleIJNSA_6TensorESF_SF_EERKSF_lbbbEUlllE_EE10hipError_tT0_T1_T2_T3_mRjT4_P12ihipStream_tbNS1_7vsmem_tEEUlT_E_NS1_11comp_targetILNS1_3genE4ELNS1_11target_archE910ELNS1_3gpuE8ELNS1_3repE0EEENS1_30default_config_static_selectorELNS0_4arch9wavefront6targetE1EEEvSM_, .Lfunc_end873-_ZN7rocprim17ROCPRIM_400000_NS6detail17trampoline_kernelINS0_14default_configENS1_37merge_sort_block_sort_config_selectorIlNS0_10empty_typeEEEZNS1_21merge_sort_block_sortIS3_PlS8_PS5_S9_ZN2at6native12_GLOBAL__N_124unique_dim_cuda_templateIfEESt5tupleIJNSA_6TensorESF_SF_EERKSF_lbbbEUlllE_EE10hipError_tT0_T1_T2_T3_mRjT4_P12ihipStream_tbNS1_7vsmem_tEEUlT_E_NS1_11comp_targetILNS1_3genE4ELNS1_11target_archE910ELNS1_3gpuE8ELNS1_3repE0EEENS1_30default_config_static_selectorELNS0_4arch9wavefront6targetE1EEEvSM_
                                        ; -- End function
	.section	.AMDGPU.csdata,"",@progbits
; Kernel info:
; codeLenInByte = 37688
; NumSgprs: 61
; NumVgprs: 42
; NumAgprs: 0
; TotalNumVgprs: 42
; ScratchSize: 0
; MemoryBound: 0
; FloatMode: 240
; IeeeMode: 1
; LDSByteSize: 8448 bytes/workgroup (compile time only)
; SGPRBlocks: 7
; VGPRBlocks: 5
; NumSGPRsForWavesPerEU: 61
; NumVGPRsForWavesPerEU: 42
; AccumOffset: 44
; Occupancy: 7
; WaveLimiterHint : 1
; COMPUTE_PGM_RSRC2:SCRATCH_EN: 0
; COMPUTE_PGM_RSRC2:USER_SGPR: 6
; COMPUTE_PGM_RSRC2:TRAP_HANDLER: 0
; COMPUTE_PGM_RSRC2:TGID_X_EN: 1
; COMPUTE_PGM_RSRC2:TGID_Y_EN: 1
; COMPUTE_PGM_RSRC2:TGID_Z_EN: 1
; COMPUTE_PGM_RSRC2:TIDIG_COMP_CNT: 2
; COMPUTE_PGM_RSRC3_GFX90A:ACCUM_OFFSET: 10
; COMPUTE_PGM_RSRC3_GFX90A:TG_SPLIT: 0
	.section	.text._ZN7rocprim17ROCPRIM_400000_NS6detail17trampoline_kernelINS0_14default_configENS1_37merge_sort_block_sort_config_selectorIlNS0_10empty_typeEEEZNS1_21merge_sort_block_sortIS3_PlS8_PS5_S9_ZN2at6native12_GLOBAL__N_124unique_dim_cuda_templateIfEESt5tupleIJNSA_6TensorESF_SF_EERKSF_lbbbEUlllE_EE10hipError_tT0_T1_T2_T3_mRjT4_P12ihipStream_tbNS1_7vsmem_tEEUlT_E_NS1_11comp_targetILNS1_3genE3ELNS1_11target_archE908ELNS1_3gpuE7ELNS1_3repE0EEENS1_30default_config_static_selectorELNS0_4arch9wavefront6targetE1EEEvSM_,"axG",@progbits,_ZN7rocprim17ROCPRIM_400000_NS6detail17trampoline_kernelINS0_14default_configENS1_37merge_sort_block_sort_config_selectorIlNS0_10empty_typeEEEZNS1_21merge_sort_block_sortIS3_PlS8_PS5_S9_ZN2at6native12_GLOBAL__N_124unique_dim_cuda_templateIfEESt5tupleIJNSA_6TensorESF_SF_EERKSF_lbbbEUlllE_EE10hipError_tT0_T1_T2_T3_mRjT4_P12ihipStream_tbNS1_7vsmem_tEEUlT_E_NS1_11comp_targetILNS1_3genE3ELNS1_11target_archE908ELNS1_3gpuE7ELNS1_3repE0EEENS1_30default_config_static_selectorELNS0_4arch9wavefront6targetE1EEEvSM_,comdat
	.globl	_ZN7rocprim17ROCPRIM_400000_NS6detail17trampoline_kernelINS0_14default_configENS1_37merge_sort_block_sort_config_selectorIlNS0_10empty_typeEEEZNS1_21merge_sort_block_sortIS3_PlS8_PS5_S9_ZN2at6native12_GLOBAL__N_124unique_dim_cuda_templateIfEESt5tupleIJNSA_6TensorESF_SF_EERKSF_lbbbEUlllE_EE10hipError_tT0_T1_T2_T3_mRjT4_P12ihipStream_tbNS1_7vsmem_tEEUlT_E_NS1_11comp_targetILNS1_3genE3ELNS1_11target_archE908ELNS1_3gpuE7ELNS1_3repE0EEENS1_30default_config_static_selectorELNS0_4arch9wavefront6targetE1EEEvSM_ ; -- Begin function _ZN7rocprim17ROCPRIM_400000_NS6detail17trampoline_kernelINS0_14default_configENS1_37merge_sort_block_sort_config_selectorIlNS0_10empty_typeEEEZNS1_21merge_sort_block_sortIS3_PlS8_PS5_S9_ZN2at6native12_GLOBAL__N_124unique_dim_cuda_templateIfEESt5tupleIJNSA_6TensorESF_SF_EERKSF_lbbbEUlllE_EE10hipError_tT0_T1_T2_T3_mRjT4_P12ihipStream_tbNS1_7vsmem_tEEUlT_E_NS1_11comp_targetILNS1_3genE3ELNS1_11target_archE908ELNS1_3gpuE7ELNS1_3repE0EEENS1_30default_config_static_selectorELNS0_4arch9wavefront6targetE1EEEvSM_
	.p2align	8
	.type	_ZN7rocprim17ROCPRIM_400000_NS6detail17trampoline_kernelINS0_14default_configENS1_37merge_sort_block_sort_config_selectorIlNS0_10empty_typeEEEZNS1_21merge_sort_block_sortIS3_PlS8_PS5_S9_ZN2at6native12_GLOBAL__N_124unique_dim_cuda_templateIfEESt5tupleIJNSA_6TensorESF_SF_EERKSF_lbbbEUlllE_EE10hipError_tT0_T1_T2_T3_mRjT4_P12ihipStream_tbNS1_7vsmem_tEEUlT_E_NS1_11comp_targetILNS1_3genE3ELNS1_11target_archE908ELNS1_3gpuE7ELNS1_3repE0EEENS1_30default_config_static_selectorELNS0_4arch9wavefront6targetE1EEEvSM_,@function
_ZN7rocprim17ROCPRIM_400000_NS6detail17trampoline_kernelINS0_14default_configENS1_37merge_sort_block_sort_config_selectorIlNS0_10empty_typeEEEZNS1_21merge_sort_block_sortIS3_PlS8_PS5_S9_ZN2at6native12_GLOBAL__N_124unique_dim_cuda_templateIfEESt5tupleIJNSA_6TensorESF_SF_EERKSF_lbbbEUlllE_EE10hipError_tT0_T1_T2_T3_mRjT4_P12ihipStream_tbNS1_7vsmem_tEEUlT_E_NS1_11comp_targetILNS1_3genE3ELNS1_11target_archE908ELNS1_3gpuE7ELNS1_3repE0EEENS1_30default_config_static_selectorELNS0_4arch9wavefront6targetE1EEEvSM_: ; @_ZN7rocprim17ROCPRIM_400000_NS6detail17trampoline_kernelINS0_14default_configENS1_37merge_sort_block_sort_config_selectorIlNS0_10empty_typeEEEZNS1_21merge_sort_block_sortIS3_PlS8_PS5_S9_ZN2at6native12_GLOBAL__N_124unique_dim_cuda_templateIfEESt5tupleIJNSA_6TensorESF_SF_EERKSF_lbbbEUlllE_EE10hipError_tT0_T1_T2_T3_mRjT4_P12ihipStream_tbNS1_7vsmem_tEEUlT_E_NS1_11comp_targetILNS1_3genE3ELNS1_11target_archE908ELNS1_3gpuE7ELNS1_3repE0EEENS1_30default_config_static_selectorELNS0_4arch9wavefront6targetE1EEEvSM_
; %bb.0:
	.section	.rodata,"a",@progbits
	.p2align	6, 0x0
	.amdhsa_kernel _ZN7rocprim17ROCPRIM_400000_NS6detail17trampoline_kernelINS0_14default_configENS1_37merge_sort_block_sort_config_selectorIlNS0_10empty_typeEEEZNS1_21merge_sort_block_sortIS3_PlS8_PS5_S9_ZN2at6native12_GLOBAL__N_124unique_dim_cuda_templateIfEESt5tupleIJNSA_6TensorESF_SF_EERKSF_lbbbEUlllE_EE10hipError_tT0_T1_T2_T3_mRjT4_P12ihipStream_tbNS1_7vsmem_tEEUlT_E_NS1_11comp_targetILNS1_3genE3ELNS1_11target_archE908ELNS1_3gpuE7ELNS1_3repE0EEENS1_30default_config_static_selectorELNS0_4arch9wavefront6targetE1EEEvSM_
		.amdhsa_group_segment_fixed_size 0
		.amdhsa_private_segment_fixed_size 0
		.amdhsa_kernarg_size 72
		.amdhsa_user_sgpr_count 6
		.amdhsa_user_sgpr_private_segment_buffer 1
		.amdhsa_user_sgpr_dispatch_ptr 0
		.amdhsa_user_sgpr_queue_ptr 0
		.amdhsa_user_sgpr_kernarg_segment_ptr 1
		.amdhsa_user_sgpr_dispatch_id 0
		.amdhsa_user_sgpr_flat_scratch_init 0
		.amdhsa_user_sgpr_kernarg_preload_length 0
		.amdhsa_user_sgpr_kernarg_preload_offset 0
		.amdhsa_user_sgpr_private_segment_size 0
		.amdhsa_uses_dynamic_stack 0
		.amdhsa_system_sgpr_private_segment_wavefront_offset 0
		.amdhsa_system_sgpr_workgroup_id_x 1
		.amdhsa_system_sgpr_workgroup_id_y 0
		.amdhsa_system_sgpr_workgroup_id_z 0
		.amdhsa_system_sgpr_workgroup_info 0
		.amdhsa_system_vgpr_workitem_id 0
		.amdhsa_next_free_vgpr 1
		.amdhsa_next_free_sgpr 0
		.amdhsa_accum_offset 4
		.amdhsa_reserve_vcc 0
		.amdhsa_reserve_flat_scratch 0
		.amdhsa_float_round_mode_32 0
		.amdhsa_float_round_mode_16_64 0
		.amdhsa_float_denorm_mode_32 3
		.amdhsa_float_denorm_mode_16_64 3
		.amdhsa_dx10_clamp 1
		.amdhsa_ieee_mode 1
		.amdhsa_fp16_overflow 0
		.amdhsa_tg_split 0
		.amdhsa_exception_fp_ieee_invalid_op 0
		.amdhsa_exception_fp_denorm_src 0
		.amdhsa_exception_fp_ieee_div_zero 0
		.amdhsa_exception_fp_ieee_overflow 0
		.amdhsa_exception_fp_ieee_underflow 0
		.amdhsa_exception_fp_ieee_inexact 0
		.amdhsa_exception_int_div_zero 0
	.end_amdhsa_kernel
	.section	.text._ZN7rocprim17ROCPRIM_400000_NS6detail17trampoline_kernelINS0_14default_configENS1_37merge_sort_block_sort_config_selectorIlNS0_10empty_typeEEEZNS1_21merge_sort_block_sortIS3_PlS8_PS5_S9_ZN2at6native12_GLOBAL__N_124unique_dim_cuda_templateIfEESt5tupleIJNSA_6TensorESF_SF_EERKSF_lbbbEUlllE_EE10hipError_tT0_T1_T2_T3_mRjT4_P12ihipStream_tbNS1_7vsmem_tEEUlT_E_NS1_11comp_targetILNS1_3genE3ELNS1_11target_archE908ELNS1_3gpuE7ELNS1_3repE0EEENS1_30default_config_static_selectorELNS0_4arch9wavefront6targetE1EEEvSM_,"axG",@progbits,_ZN7rocprim17ROCPRIM_400000_NS6detail17trampoline_kernelINS0_14default_configENS1_37merge_sort_block_sort_config_selectorIlNS0_10empty_typeEEEZNS1_21merge_sort_block_sortIS3_PlS8_PS5_S9_ZN2at6native12_GLOBAL__N_124unique_dim_cuda_templateIfEESt5tupleIJNSA_6TensorESF_SF_EERKSF_lbbbEUlllE_EE10hipError_tT0_T1_T2_T3_mRjT4_P12ihipStream_tbNS1_7vsmem_tEEUlT_E_NS1_11comp_targetILNS1_3genE3ELNS1_11target_archE908ELNS1_3gpuE7ELNS1_3repE0EEENS1_30default_config_static_selectorELNS0_4arch9wavefront6targetE1EEEvSM_,comdat
.Lfunc_end874:
	.size	_ZN7rocprim17ROCPRIM_400000_NS6detail17trampoline_kernelINS0_14default_configENS1_37merge_sort_block_sort_config_selectorIlNS0_10empty_typeEEEZNS1_21merge_sort_block_sortIS3_PlS8_PS5_S9_ZN2at6native12_GLOBAL__N_124unique_dim_cuda_templateIfEESt5tupleIJNSA_6TensorESF_SF_EERKSF_lbbbEUlllE_EE10hipError_tT0_T1_T2_T3_mRjT4_P12ihipStream_tbNS1_7vsmem_tEEUlT_E_NS1_11comp_targetILNS1_3genE3ELNS1_11target_archE908ELNS1_3gpuE7ELNS1_3repE0EEENS1_30default_config_static_selectorELNS0_4arch9wavefront6targetE1EEEvSM_, .Lfunc_end874-_ZN7rocprim17ROCPRIM_400000_NS6detail17trampoline_kernelINS0_14default_configENS1_37merge_sort_block_sort_config_selectorIlNS0_10empty_typeEEEZNS1_21merge_sort_block_sortIS3_PlS8_PS5_S9_ZN2at6native12_GLOBAL__N_124unique_dim_cuda_templateIfEESt5tupleIJNSA_6TensorESF_SF_EERKSF_lbbbEUlllE_EE10hipError_tT0_T1_T2_T3_mRjT4_P12ihipStream_tbNS1_7vsmem_tEEUlT_E_NS1_11comp_targetILNS1_3genE3ELNS1_11target_archE908ELNS1_3gpuE7ELNS1_3repE0EEENS1_30default_config_static_selectorELNS0_4arch9wavefront6targetE1EEEvSM_
                                        ; -- End function
	.section	.AMDGPU.csdata,"",@progbits
; Kernel info:
; codeLenInByte = 0
; NumSgprs: 4
; NumVgprs: 0
; NumAgprs: 0
; TotalNumVgprs: 0
; ScratchSize: 0
; MemoryBound: 0
; FloatMode: 240
; IeeeMode: 1
; LDSByteSize: 0 bytes/workgroup (compile time only)
; SGPRBlocks: 0
; VGPRBlocks: 0
; NumSGPRsForWavesPerEU: 4
; NumVGPRsForWavesPerEU: 1
; AccumOffset: 4
; Occupancy: 8
; WaveLimiterHint : 0
; COMPUTE_PGM_RSRC2:SCRATCH_EN: 0
; COMPUTE_PGM_RSRC2:USER_SGPR: 6
; COMPUTE_PGM_RSRC2:TRAP_HANDLER: 0
; COMPUTE_PGM_RSRC2:TGID_X_EN: 1
; COMPUTE_PGM_RSRC2:TGID_Y_EN: 0
; COMPUTE_PGM_RSRC2:TGID_Z_EN: 0
; COMPUTE_PGM_RSRC2:TIDIG_COMP_CNT: 0
; COMPUTE_PGM_RSRC3_GFX90A:ACCUM_OFFSET: 0
; COMPUTE_PGM_RSRC3_GFX90A:TG_SPLIT: 0
	.section	.text._ZN7rocprim17ROCPRIM_400000_NS6detail17trampoline_kernelINS0_14default_configENS1_37merge_sort_block_sort_config_selectorIlNS0_10empty_typeEEEZNS1_21merge_sort_block_sortIS3_PlS8_PS5_S9_ZN2at6native12_GLOBAL__N_124unique_dim_cuda_templateIfEESt5tupleIJNSA_6TensorESF_SF_EERKSF_lbbbEUlllE_EE10hipError_tT0_T1_T2_T3_mRjT4_P12ihipStream_tbNS1_7vsmem_tEEUlT_E_NS1_11comp_targetILNS1_3genE2ELNS1_11target_archE906ELNS1_3gpuE6ELNS1_3repE0EEENS1_30default_config_static_selectorELNS0_4arch9wavefront6targetE1EEEvSM_,"axG",@progbits,_ZN7rocprim17ROCPRIM_400000_NS6detail17trampoline_kernelINS0_14default_configENS1_37merge_sort_block_sort_config_selectorIlNS0_10empty_typeEEEZNS1_21merge_sort_block_sortIS3_PlS8_PS5_S9_ZN2at6native12_GLOBAL__N_124unique_dim_cuda_templateIfEESt5tupleIJNSA_6TensorESF_SF_EERKSF_lbbbEUlllE_EE10hipError_tT0_T1_T2_T3_mRjT4_P12ihipStream_tbNS1_7vsmem_tEEUlT_E_NS1_11comp_targetILNS1_3genE2ELNS1_11target_archE906ELNS1_3gpuE6ELNS1_3repE0EEENS1_30default_config_static_selectorELNS0_4arch9wavefront6targetE1EEEvSM_,comdat
	.globl	_ZN7rocprim17ROCPRIM_400000_NS6detail17trampoline_kernelINS0_14default_configENS1_37merge_sort_block_sort_config_selectorIlNS0_10empty_typeEEEZNS1_21merge_sort_block_sortIS3_PlS8_PS5_S9_ZN2at6native12_GLOBAL__N_124unique_dim_cuda_templateIfEESt5tupleIJNSA_6TensorESF_SF_EERKSF_lbbbEUlllE_EE10hipError_tT0_T1_T2_T3_mRjT4_P12ihipStream_tbNS1_7vsmem_tEEUlT_E_NS1_11comp_targetILNS1_3genE2ELNS1_11target_archE906ELNS1_3gpuE6ELNS1_3repE0EEENS1_30default_config_static_selectorELNS0_4arch9wavefront6targetE1EEEvSM_ ; -- Begin function _ZN7rocprim17ROCPRIM_400000_NS6detail17trampoline_kernelINS0_14default_configENS1_37merge_sort_block_sort_config_selectorIlNS0_10empty_typeEEEZNS1_21merge_sort_block_sortIS3_PlS8_PS5_S9_ZN2at6native12_GLOBAL__N_124unique_dim_cuda_templateIfEESt5tupleIJNSA_6TensorESF_SF_EERKSF_lbbbEUlllE_EE10hipError_tT0_T1_T2_T3_mRjT4_P12ihipStream_tbNS1_7vsmem_tEEUlT_E_NS1_11comp_targetILNS1_3genE2ELNS1_11target_archE906ELNS1_3gpuE6ELNS1_3repE0EEENS1_30default_config_static_selectorELNS0_4arch9wavefront6targetE1EEEvSM_
	.p2align	8
	.type	_ZN7rocprim17ROCPRIM_400000_NS6detail17trampoline_kernelINS0_14default_configENS1_37merge_sort_block_sort_config_selectorIlNS0_10empty_typeEEEZNS1_21merge_sort_block_sortIS3_PlS8_PS5_S9_ZN2at6native12_GLOBAL__N_124unique_dim_cuda_templateIfEESt5tupleIJNSA_6TensorESF_SF_EERKSF_lbbbEUlllE_EE10hipError_tT0_T1_T2_T3_mRjT4_P12ihipStream_tbNS1_7vsmem_tEEUlT_E_NS1_11comp_targetILNS1_3genE2ELNS1_11target_archE906ELNS1_3gpuE6ELNS1_3repE0EEENS1_30default_config_static_selectorELNS0_4arch9wavefront6targetE1EEEvSM_,@function
_ZN7rocprim17ROCPRIM_400000_NS6detail17trampoline_kernelINS0_14default_configENS1_37merge_sort_block_sort_config_selectorIlNS0_10empty_typeEEEZNS1_21merge_sort_block_sortIS3_PlS8_PS5_S9_ZN2at6native12_GLOBAL__N_124unique_dim_cuda_templateIfEESt5tupleIJNSA_6TensorESF_SF_EERKSF_lbbbEUlllE_EE10hipError_tT0_T1_T2_T3_mRjT4_P12ihipStream_tbNS1_7vsmem_tEEUlT_E_NS1_11comp_targetILNS1_3genE2ELNS1_11target_archE906ELNS1_3gpuE6ELNS1_3repE0EEENS1_30default_config_static_selectorELNS0_4arch9wavefront6targetE1EEEvSM_: ; @_ZN7rocprim17ROCPRIM_400000_NS6detail17trampoline_kernelINS0_14default_configENS1_37merge_sort_block_sort_config_selectorIlNS0_10empty_typeEEEZNS1_21merge_sort_block_sortIS3_PlS8_PS5_S9_ZN2at6native12_GLOBAL__N_124unique_dim_cuda_templateIfEESt5tupleIJNSA_6TensorESF_SF_EERKSF_lbbbEUlllE_EE10hipError_tT0_T1_T2_T3_mRjT4_P12ihipStream_tbNS1_7vsmem_tEEUlT_E_NS1_11comp_targetILNS1_3genE2ELNS1_11target_archE906ELNS1_3gpuE6ELNS1_3repE0EEENS1_30default_config_static_selectorELNS0_4arch9wavefront6targetE1EEEvSM_
; %bb.0:
	.section	.rodata,"a",@progbits
	.p2align	6, 0x0
	.amdhsa_kernel _ZN7rocprim17ROCPRIM_400000_NS6detail17trampoline_kernelINS0_14default_configENS1_37merge_sort_block_sort_config_selectorIlNS0_10empty_typeEEEZNS1_21merge_sort_block_sortIS3_PlS8_PS5_S9_ZN2at6native12_GLOBAL__N_124unique_dim_cuda_templateIfEESt5tupleIJNSA_6TensorESF_SF_EERKSF_lbbbEUlllE_EE10hipError_tT0_T1_T2_T3_mRjT4_P12ihipStream_tbNS1_7vsmem_tEEUlT_E_NS1_11comp_targetILNS1_3genE2ELNS1_11target_archE906ELNS1_3gpuE6ELNS1_3repE0EEENS1_30default_config_static_selectorELNS0_4arch9wavefront6targetE1EEEvSM_
		.amdhsa_group_segment_fixed_size 0
		.amdhsa_private_segment_fixed_size 0
		.amdhsa_kernarg_size 72
		.amdhsa_user_sgpr_count 6
		.amdhsa_user_sgpr_private_segment_buffer 1
		.amdhsa_user_sgpr_dispatch_ptr 0
		.amdhsa_user_sgpr_queue_ptr 0
		.amdhsa_user_sgpr_kernarg_segment_ptr 1
		.amdhsa_user_sgpr_dispatch_id 0
		.amdhsa_user_sgpr_flat_scratch_init 0
		.amdhsa_user_sgpr_kernarg_preload_length 0
		.amdhsa_user_sgpr_kernarg_preload_offset 0
		.amdhsa_user_sgpr_private_segment_size 0
		.amdhsa_uses_dynamic_stack 0
		.amdhsa_system_sgpr_private_segment_wavefront_offset 0
		.amdhsa_system_sgpr_workgroup_id_x 1
		.amdhsa_system_sgpr_workgroup_id_y 0
		.amdhsa_system_sgpr_workgroup_id_z 0
		.amdhsa_system_sgpr_workgroup_info 0
		.amdhsa_system_vgpr_workitem_id 0
		.amdhsa_next_free_vgpr 1
		.amdhsa_next_free_sgpr 0
		.amdhsa_accum_offset 4
		.amdhsa_reserve_vcc 0
		.amdhsa_reserve_flat_scratch 0
		.amdhsa_float_round_mode_32 0
		.amdhsa_float_round_mode_16_64 0
		.amdhsa_float_denorm_mode_32 3
		.amdhsa_float_denorm_mode_16_64 3
		.amdhsa_dx10_clamp 1
		.amdhsa_ieee_mode 1
		.amdhsa_fp16_overflow 0
		.amdhsa_tg_split 0
		.amdhsa_exception_fp_ieee_invalid_op 0
		.amdhsa_exception_fp_denorm_src 0
		.amdhsa_exception_fp_ieee_div_zero 0
		.amdhsa_exception_fp_ieee_overflow 0
		.amdhsa_exception_fp_ieee_underflow 0
		.amdhsa_exception_fp_ieee_inexact 0
		.amdhsa_exception_int_div_zero 0
	.end_amdhsa_kernel
	.section	.text._ZN7rocprim17ROCPRIM_400000_NS6detail17trampoline_kernelINS0_14default_configENS1_37merge_sort_block_sort_config_selectorIlNS0_10empty_typeEEEZNS1_21merge_sort_block_sortIS3_PlS8_PS5_S9_ZN2at6native12_GLOBAL__N_124unique_dim_cuda_templateIfEESt5tupleIJNSA_6TensorESF_SF_EERKSF_lbbbEUlllE_EE10hipError_tT0_T1_T2_T3_mRjT4_P12ihipStream_tbNS1_7vsmem_tEEUlT_E_NS1_11comp_targetILNS1_3genE2ELNS1_11target_archE906ELNS1_3gpuE6ELNS1_3repE0EEENS1_30default_config_static_selectorELNS0_4arch9wavefront6targetE1EEEvSM_,"axG",@progbits,_ZN7rocprim17ROCPRIM_400000_NS6detail17trampoline_kernelINS0_14default_configENS1_37merge_sort_block_sort_config_selectorIlNS0_10empty_typeEEEZNS1_21merge_sort_block_sortIS3_PlS8_PS5_S9_ZN2at6native12_GLOBAL__N_124unique_dim_cuda_templateIfEESt5tupleIJNSA_6TensorESF_SF_EERKSF_lbbbEUlllE_EE10hipError_tT0_T1_T2_T3_mRjT4_P12ihipStream_tbNS1_7vsmem_tEEUlT_E_NS1_11comp_targetILNS1_3genE2ELNS1_11target_archE906ELNS1_3gpuE6ELNS1_3repE0EEENS1_30default_config_static_selectorELNS0_4arch9wavefront6targetE1EEEvSM_,comdat
.Lfunc_end875:
	.size	_ZN7rocprim17ROCPRIM_400000_NS6detail17trampoline_kernelINS0_14default_configENS1_37merge_sort_block_sort_config_selectorIlNS0_10empty_typeEEEZNS1_21merge_sort_block_sortIS3_PlS8_PS5_S9_ZN2at6native12_GLOBAL__N_124unique_dim_cuda_templateIfEESt5tupleIJNSA_6TensorESF_SF_EERKSF_lbbbEUlllE_EE10hipError_tT0_T1_T2_T3_mRjT4_P12ihipStream_tbNS1_7vsmem_tEEUlT_E_NS1_11comp_targetILNS1_3genE2ELNS1_11target_archE906ELNS1_3gpuE6ELNS1_3repE0EEENS1_30default_config_static_selectorELNS0_4arch9wavefront6targetE1EEEvSM_, .Lfunc_end875-_ZN7rocprim17ROCPRIM_400000_NS6detail17trampoline_kernelINS0_14default_configENS1_37merge_sort_block_sort_config_selectorIlNS0_10empty_typeEEEZNS1_21merge_sort_block_sortIS3_PlS8_PS5_S9_ZN2at6native12_GLOBAL__N_124unique_dim_cuda_templateIfEESt5tupleIJNSA_6TensorESF_SF_EERKSF_lbbbEUlllE_EE10hipError_tT0_T1_T2_T3_mRjT4_P12ihipStream_tbNS1_7vsmem_tEEUlT_E_NS1_11comp_targetILNS1_3genE2ELNS1_11target_archE906ELNS1_3gpuE6ELNS1_3repE0EEENS1_30default_config_static_selectorELNS0_4arch9wavefront6targetE1EEEvSM_
                                        ; -- End function
	.section	.AMDGPU.csdata,"",@progbits
; Kernel info:
; codeLenInByte = 0
; NumSgprs: 4
; NumVgprs: 0
; NumAgprs: 0
; TotalNumVgprs: 0
; ScratchSize: 0
; MemoryBound: 0
; FloatMode: 240
; IeeeMode: 1
; LDSByteSize: 0 bytes/workgroup (compile time only)
; SGPRBlocks: 0
; VGPRBlocks: 0
; NumSGPRsForWavesPerEU: 4
; NumVGPRsForWavesPerEU: 1
; AccumOffset: 4
; Occupancy: 8
; WaveLimiterHint : 0
; COMPUTE_PGM_RSRC2:SCRATCH_EN: 0
; COMPUTE_PGM_RSRC2:USER_SGPR: 6
; COMPUTE_PGM_RSRC2:TRAP_HANDLER: 0
; COMPUTE_PGM_RSRC2:TGID_X_EN: 1
; COMPUTE_PGM_RSRC2:TGID_Y_EN: 0
; COMPUTE_PGM_RSRC2:TGID_Z_EN: 0
; COMPUTE_PGM_RSRC2:TIDIG_COMP_CNT: 0
; COMPUTE_PGM_RSRC3_GFX90A:ACCUM_OFFSET: 0
; COMPUTE_PGM_RSRC3_GFX90A:TG_SPLIT: 0
	.section	.text._ZN7rocprim17ROCPRIM_400000_NS6detail17trampoline_kernelINS0_14default_configENS1_37merge_sort_block_sort_config_selectorIlNS0_10empty_typeEEEZNS1_21merge_sort_block_sortIS3_PlS8_PS5_S9_ZN2at6native12_GLOBAL__N_124unique_dim_cuda_templateIfEESt5tupleIJNSA_6TensorESF_SF_EERKSF_lbbbEUlllE_EE10hipError_tT0_T1_T2_T3_mRjT4_P12ihipStream_tbNS1_7vsmem_tEEUlT_E_NS1_11comp_targetILNS1_3genE10ELNS1_11target_archE1201ELNS1_3gpuE5ELNS1_3repE0EEENS1_30default_config_static_selectorELNS0_4arch9wavefront6targetE1EEEvSM_,"axG",@progbits,_ZN7rocprim17ROCPRIM_400000_NS6detail17trampoline_kernelINS0_14default_configENS1_37merge_sort_block_sort_config_selectorIlNS0_10empty_typeEEEZNS1_21merge_sort_block_sortIS3_PlS8_PS5_S9_ZN2at6native12_GLOBAL__N_124unique_dim_cuda_templateIfEESt5tupleIJNSA_6TensorESF_SF_EERKSF_lbbbEUlllE_EE10hipError_tT0_T1_T2_T3_mRjT4_P12ihipStream_tbNS1_7vsmem_tEEUlT_E_NS1_11comp_targetILNS1_3genE10ELNS1_11target_archE1201ELNS1_3gpuE5ELNS1_3repE0EEENS1_30default_config_static_selectorELNS0_4arch9wavefront6targetE1EEEvSM_,comdat
	.globl	_ZN7rocprim17ROCPRIM_400000_NS6detail17trampoline_kernelINS0_14default_configENS1_37merge_sort_block_sort_config_selectorIlNS0_10empty_typeEEEZNS1_21merge_sort_block_sortIS3_PlS8_PS5_S9_ZN2at6native12_GLOBAL__N_124unique_dim_cuda_templateIfEESt5tupleIJNSA_6TensorESF_SF_EERKSF_lbbbEUlllE_EE10hipError_tT0_T1_T2_T3_mRjT4_P12ihipStream_tbNS1_7vsmem_tEEUlT_E_NS1_11comp_targetILNS1_3genE10ELNS1_11target_archE1201ELNS1_3gpuE5ELNS1_3repE0EEENS1_30default_config_static_selectorELNS0_4arch9wavefront6targetE1EEEvSM_ ; -- Begin function _ZN7rocprim17ROCPRIM_400000_NS6detail17trampoline_kernelINS0_14default_configENS1_37merge_sort_block_sort_config_selectorIlNS0_10empty_typeEEEZNS1_21merge_sort_block_sortIS3_PlS8_PS5_S9_ZN2at6native12_GLOBAL__N_124unique_dim_cuda_templateIfEESt5tupleIJNSA_6TensorESF_SF_EERKSF_lbbbEUlllE_EE10hipError_tT0_T1_T2_T3_mRjT4_P12ihipStream_tbNS1_7vsmem_tEEUlT_E_NS1_11comp_targetILNS1_3genE10ELNS1_11target_archE1201ELNS1_3gpuE5ELNS1_3repE0EEENS1_30default_config_static_selectorELNS0_4arch9wavefront6targetE1EEEvSM_
	.p2align	8
	.type	_ZN7rocprim17ROCPRIM_400000_NS6detail17trampoline_kernelINS0_14default_configENS1_37merge_sort_block_sort_config_selectorIlNS0_10empty_typeEEEZNS1_21merge_sort_block_sortIS3_PlS8_PS5_S9_ZN2at6native12_GLOBAL__N_124unique_dim_cuda_templateIfEESt5tupleIJNSA_6TensorESF_SF_EERKSF_lbbbEUlllE_EE10hipError_tT0_T1_T2_T3_mRjT4_P12ihipStream_tbNS1_7vsmem_tEEUlT_E_NS1_11comp_targetILNS1_3genE10ELNS1_11target_archE1201ELNS1_3gpuE5ELNS1_3repE0EEENS1_30default_config_static_selectorELNS0_4arch9wavefront6targetE1EEEvSM_,@function
_ZN7rocprim17ROCPRIM_400000_NS6detail17trampoline_kernelINS0_14default_configENS1_37merge_sort_block_sort_config_selectorIlNS0_10empty_typeEEEZNS1_21merge_sort_block_sortIS3_PlS8_PS5_S9_ZN2at6native12_GLOBAL__N_124unique_dim_cuda_templateIfEESt5tupleIJNSA_6TensorESF_SF_EERKSF_lbbbEUlllE_EE10hipError_tT0_T1_T2_T3_mRjT4_P12ihipStream_tbNS1_7vsmem_tEEUlT_E_NS1_11comp_targetILNS1_3genE10ELNS1_11target_archE1201ELNS1_3gpuE5ELNS1_3repE0EEENS1_30default_config_static_selectorELNS0_4arch9wavefront6targetE1EEEvSM_: ; @_ZN7rocprim17ROCPRIM_400000_NS6detail17trampoline_kernelINS0_14default_configENS1_37merge_sort_block_sort_config_selectorIlNS0_10empty_typeEEEZNS1_21merge_sort_block_sortIS3_PlS8_PS5_S9_ZN2at6native12_GLOBAL__N_124unique_dim_cuda_templateIfEESt5tupleIJNSA_6TensorESF_SF_EERKSF_lbbbEUlllE_EE10hipError_tT0_T1_T2_T3_mRjT4_P12ihipStream_tbNS1_7vsmem_tEEUlT_E_NS1_11comp_targetILNS1_3genE10ELNS1_11target_archE1201ELNS1_3gpuE5ELNS1_3repE0EEENS1_30default_config_static_selectorELNS0_4arch9wavefront6targetE1EEEvSM_
; %bb.0:
	.section	.rodata,"a",@progbits
	.p2align	6, 0x0
	.amdhsa_kernel _ZN7rocprim17ROCPRIM_400000_NS6detail17trampoline_kernelINS0_14default_configENS1_37merge_sort_block_sort_config_selectorIlNS0_10empty_typeEEEZNS1_21merge_sort_block_sortIS3_PlS8_PS5_S9_ZN2at6native12_GLOBAL__N_124unique_dim_cuda_templateIfEESt5tupleIJNSA_6TensorESF_SF_EERKSF_lbbbEUlllE_EE10hipError_tT0_T1_T2_T3_mRjT4_P12ihipStream_tbNS1_7vsmem_tEEUlT_E_NS1_11comp_targetILNS1_3genE10ELNS1_11target_archE1201ELNS1_3gpuE5ELNS1_3repE0EEENS1_30default_config_static_selectorELNS0_4arch9wavefront6targetE1EEEvSM_
		.amdhsa_group_segment_fixed_size 0
		.amdhsa_private_segment_fixed_size 0
		.amdhsa_kernarg_size 72
		.amdhsa_user_sgpr_count 6
		.amdhsa_user_sgpr_private_segment_buffer 1
		.amdhsa_user_sgpr_dispatch_ptr 0
		.amdhsa_user_sgpr_queue_ptr 0
		.amdhsa_user_sgpr_kernarg_segment_ptr 1
		.amdhsa_user_sgpr_dispatch_id 0
		.amdhsa_user_sgpr_flat_scratch_init 0
		.amdhsa_user_sgpr_kernarg_preload_length 0
		.amdhsa_user_sgpr_kernarg_preload_offset 0
		.amdhsa_user_sgpr_private_segment_size 0
		.amdhsa_uses_dynamic_stack 0
		.amdhsa_system_sgpr_private_segment_wavefront_offset 0
		.amdhsa_system_sgpr_workgroup_id_x 1
		.amdhsa_system_sgpr_workgroup_id_y 0
		.amdhsa_system_sgpr_workgroup_id_z 0
		.amdhsa_system_sgpr_workgroup_info 0
		.amdhsa_system_vgpr_workitem_id 0
		.amdhsa_next_free_vgpr 1
		.amdhsa_next_free_sgpr 0
		.amdhsa_accum_offset 4
		.amdhsa_reserve_vcc 0
		.amdhsa_reserve_flat_scratch 0
		.amdhsa_float_round_mode_32 0
		.amdhsa_float_round_mode_16_64 0
		.amdhsa_float_denorm_mode_32 3
		.amdhsa_float_denorm_mode_16_64 3
		.amdhsa_dx10_clamp 1
		.amdhsa_ieee_mode 1
		.amdhsa_fp16_overflow 0
		.amdhsa_tg_split 0
		.amdhsa_exception_fp_ieee_invalid_op 0
		.amdhsa_exception_fp_denorm_src 0
		.amdhsa_exception_fp_ieee_div_zero 0
		.amdhsa_exception_fp_ieee_overflow 0
		.amdhsa_exception_fp_ieee_underflow 0
		.amdhsa_exception_fp_ieee_inexact 0
		.amdhsa_exception_int_div_zero 0
	.end_amdhsa_kernel
	.section	.text._ZN7rocprim17ROCPRIM_400000_NS6detail17trampoline_kernelINS0_14default_configENS1_37merge_sort_block_sort_config_selectorIlNS0_10empty_typeEEEZNS1_21merge_sort_block_sortIS3_PlS8_PS5_S9_ZN2at6native12_GLOBAL__N_124unique_dim_cuda_templateIfEESt5tupleIJNSA_6TensorESF_SF_EERKSF_lbbbEUlllE_EE10hipError_tT0_T1_T2_T3_mRjT4_P12ihipStream_tbNS1_7vsmem_tEEUlT_E_NS1_11comp_targetILNS1_3genE10ELNS1_11target_archE1201ELNS1_3gpuE5ELNS1_3repE0EEENS1_30default_config_static_selectorELNS0_4arch9wavefront6targetE1EEEvSM_,"axG",@progbits,_ZN7rocprim17ROCPRIM_400000_NS6detail17trampoline_kernelINS0_14default_configENS1_37merge_sort_block_sort_config_selectorIlNS0_10empty_typeEEEZNS1_21merge_sort_block_sortIS3_PlS8_PS5_S9_ZN2at6native12_GLOBAL__N_124unique_dim_cuda_templateIfEESt5tupleIJNSA_6TensorESF_SF_EERKSF_lbbbEUlllE_EE10hipError_tT0_T1_T2_T3_mRjT4_P12ihipStream_tbNS1_7vsmem_tEEUlT_E_NS1_11comp_targetILNS1_3genE10ELNS1_11target_archE1201ELNS1_3gpuE5ELNS1_3repE0EEENS1_30default_config_static_selectorELNS0_4arch9wavefront6targetE1EEEvSM_,comdat
.Lfunc_end876:
	.size	_ZN7rocprim17ROCPRIM_400000_NS6detail17trampoline_kernelINS0_14default_configENS1_37merge_sort_block_sort_config_selectorIlNS0_10empty_typeEEEZNS1_21merge_sort_block_sortIS3_PlS8_PS5_S9_ZN2at6native12_GLOBAL__N_124unique_dim_cuda_templateIfEESt5tupleIJNSA_6TensorESF_SF_EERKSF_lbbbEUlllE_EE10hipError_tT0_T1_T2_T3_mRjT4_P12ihipStream_tbNS1_7vsmem_tEEUlT_E_NS1_11comp_targetILNS1_3genE10ELNS1_11target_archE1201ELNS1_3gpuE5ELNS1_3repE0EEENS1_30default_config_static_selectorELNS0_4arch9wavefront6targetE1EEEvSM_, .Lfunc_end876-_ZN7rocprim17ROCPRIM_400000_NS6detail17trampoline_kernelINS0_14default_configENS1_37merge_sort_block_sort_config_selectorIlNS0_10empty_typeEEEZNS1_21merge_sort_block_sortIS3_PlS8_PS5_S9_ZN2at6native12_GLOBAL__N_124unique_dim_cuda_templateIfEESt5tupleIJNSA_6TensorESF_SF_EERKSF_lbbbEUlllE_EE10hipError_tT0_T1_T2_T3_mRjT4_P12ihipStream_tbNS1_7vsmem_tEEUlT_E_NS1_11comp_targetILNS1_3genE10ELNS1_11target_archE1201ELNS1_3gpuE5ELNS1_3repE0EEENS1_30default_config_static_selectorELNS0_4arch9wavefront6targetE1EEEvSM_
                                        ; -- End function
	.section	.AMDGPU.csdata,"",@progbits
; Kernel info:
; codeLenInByte = 0
; NumSgprs: 4
; NumVgprs: 0
; NumAgprs: 0
; TotalNumVgprs: 0
; ScratchSize: 0
; MemoryBound: 0
; FloatMode: 240
; IeeeMode: 1
; LDSByteSize: 0 bytes/workgroup (compile time only)
; SGPRBlocks: 0
; VGPRBlocks: 0
; NumSGPRsForWavesPerEU: 4
; NumVGPRsForWavesPerEU: 1
; AccumOffset: 4
; Occupancy: 8
; WaveLimiterHint : 0
; COMPUTE_PGM_RSRC2:SCRATCH_EN: 0
; COMPUTE_PGM_RSRC2:USER_SGPR: 6
; COMPUTE_PGM_RSRC2:TRAP_HANDLER: 0
; COMPUTE_PGM_RSRC2:TGID_X_EN: 1
; COMPUTE_PGM_RSRC2:TGID_Y_EN: 0
; COMPUTE_PGM_RSRC2:TGID_Z_EN: 0
; COMPUTE_PGM_RSRC2:TIDIG_COMP_CNT: 0
; COMPUTE_PGM_RSRC3_GFX90A:ACCUM_OFFSET: 0
; COMPUTE_PGM_RSRC3_GFX90A:TG_SPLIT: 0
	.section	.text._ZN7rocprim17ROCPRIM_400000_NS6detail17trampoline_kernelINS0_14default_configENS1_37merge_sort_block_sort_config_selectorIlNS0_10empty_typeEEEZNS1_21merge_sort_block_sortIS3_PlS8_PS5_S9_ZN2at6native12_GLOBAL__N_124unique_dim_cuda_templateIfEESt5tupleIJNSA_6TensorESF_SF_EERKSF_lbbbEUlllE_EE10hipError_tT0_T1_T2_T3_mRjT4_P12ihipStream_tbNS1_7vsmem_tEEUlT_E_NS1_11comp_targetILNS1_3genE10ELNS1_11target_archE1200ELNS1_3gpuE4ELNS1_3repE0EEENS1_30default_config_static_selectorELNS0_4arch9wavefront6targetE1EEEvSM_,"axG",@progbits,_ZN7rocprim17ROCPRIM_400000_NS6detail17trampoline_kernelINS0_14default_configENS1_37merge_sort_block_sort_config_selectorIlNS0_10empty_typeEEEZNS1_21merge_sort_block_sortIS3_PlS8_PS5_S9_ZN2at6native12_GLOBAL__N_124unique_dim_cuda_templateIfEESt5tupleIJNSA_6TensorESF_SF_EERKSF_lbbbEUlllE_EE10hipError_tT0_T1_T2_T3_mRjT4_P12ihipStream_tbNS1_7vsmem_tEEUlT_E_NS1_11comp_targetILNS1_3genE10ELNS1_11target_archE1200ELNS1_3gpuE4ELNS1_3repE0EEENS1_30default_config_static_selectorELNS0_4arch9wavefront6targetE1EEEvSM_,comdat
	.globl	_ZN7rocprim17ROCPRIM_400000_NS6detail17trampoline_kernelINS0_14default_configENS1_37merge_sort_block_sort_config_selectorIlNS0_10empty_typeEEEZNS1_21merge_sort_block_sortIS3_PlS8_PS5_S9_ZN2at6native12_GLOBAL__N_124unique_dim_cuda_templateIfEESt5tupleIJNSA_6TensorESF_SF_EERKSF_lbbbEUlllE_EE10hipError_tT0_T1_T2_T3_mRjT4_P12ihipStream_tbNS1_7vsmem_tEEUlT_E_NS1_11comp_targetILNS1_3genE10ELNS1_11target_archE1200ELNS1_3gpuE4ELNS1_3repE0EEENS1_30default_config_static_selectorELNS0_4arch9wavefront6targetE1EEEvSM_ ; -- Begin function _ZN7rocprim17ROCPRIM_400000_NS6detail17trampoline_kernelINS0_14default_configENS1_37merge_sort_block_sort_config_selectorIlNS0_10empty_typeEEEZNS1_21merge_sort_block_sortIS3_PlS8_PS5_S9_ZN2at6native12_GLOBAL__N_124unique_dim_cuda_templateIfEESt5tupleIJNSA_6TensorESF_SF_EERKSF_lbbbEUlllE_EE10hipError_tT0_T1_T2_T3_mRjT4_P12ihipStream_tbNS1_7vsmem_tEEUlT_E_NS1_11comp_targetILNS1_3genE10ELNS1_11target_archE1200ELNS1_3gpuE4ELNS1_3repE0EEENS1_30default_config_static_selectorELNS0_4arch9wavefront6targetE1EEEvSM_
	.p2align	8
	.type	_ZN7rocprim17ROCPRIM_400000_NS6detail17trampoline_kernelINS0_14default_configENS1_37merge_sort_block_sort_config_selectorIlNS0_10empty_typeEEEZNS1_21merge_sort_block_sortIS3_PlS8_PS5_S9_ZN2at6native12_GLOBAL__N_124unique_dim_cuda_templateIfEESt5tupleIJNSA_6TensorESF_SF_EERKSF_lbbbEUlllE_EE10hipError_tT0_T1_T2_T3_mRjT4_P12ihipStream_tbNS1_7vsmem_tEEUlT_E_NS1_11comp_targetILNS1_3genE10ELNS1_11target_archE1200ELNS1_3gpuE4ELNS1_3repE0EEENS1_30default_config_static_selectorELNS0_4arch9wavefront6targetE1EEEvSM_,@function
_ZN7rocprim17ROCPRIM_400000_NS6detail17trampoline_kernelINS0_14default_configENS1_37merge_sort_block_sort_config_selectorIlNS0_10empty_typeEEEZNS1_21merge_sort_block_sortIS3_PlS8_PS5_S9_ZN2at6native12_GLOBAL__N_124unique_dim_cuda_templateIfEESt5tupleIJNSA_6TensorESF_SF_EERKSF_lbbbEUlllE_EE10hipError_tT0_T1_T2_T3_mRjT4_P12ihipStream_tbNS1_7vsmem_tEEUlT_E_NS1_11comp_targetILNS1_3genE10ELNS1_11target_archE1200ELNS1_3gpuE4ELNS1_3repE0EEENS1_30default_config_static_selectorELNS0_4arch9wavefront6targetE1EEEvSM_: ; @_ZN7rocprim17ROCPRIM_400000_NS6detail17trampoline_kernelINS0_14default_configENS1_37merge_sort_block_sort_config_selectorIlNS0_10empty_typeEEEZNS1_21merge_sort_block_sortIS3_PlS8_PS5_S9_ZN2at6native12_GLOBAL__N_124unique_dim_cuda_templateIfEESt5tupleIJNSA_6TensorESF_SF_EERKSF_lbbbEUlllE_EE10hipError_tT0_T1_T2_T3_mRjT4_P12ihipStream_tbNS1_7vsmem_tEEUlT_E_NS1_11comp_targetILNS1_3genE10ELNS1_11target_archE1200ELNS1_3gpuE4ELNS1_3repE0EEENS1_30default_config_static_selectorELNS0_4arch9wavefront6targetE1EEEvSM_
; %bb.0:
	.section	.rodata,"a",@progbits
	.p2align	6, 0x0
	.amdhsa_kernel _ZN7rocprim17ROCPRIM_400000_NS6detail17trampoline_kernelINS0_14default_configENS1_37merge_sort_block_sort_config_selectorIlNS0_10empty_typeEEEZNS1_21merge_sort_block_sortIS3_PlS8_PS5_S9_ZN2at6native12_GLOBAL__N_124unique_dim_cuda_templateIfEESt5tupleIJNSA_6TensorESF_SF_EERKSF_lbbbEUlllE_EE10hipError_tT0_T1_T2_T3_mRjT4_P12ihipStream_tbNS1_7vsmem_tEEUlT_E_NS1_11comp_targetILNS1_3genE10ELNS1_11target_archE1200ELNS1_3gpuE4ELNS1_3repE0EEENS1_30default_config_static_selectorELNS0_4arch9wavefront6targetE1EEEvSM_
		.amdhsa_group_segment_fixed_size 0
		.amdhsa_private_segment_fixed_size 0
		.amdhsa_kernarg_size 72
		.amdhsa_user_sgpr_count 6
		.amdhsa_user_sgpr_private_segment_buffer 1
		.amdhsa_user_sgpr_dispatch_ptr 0
		.amdhsa_user_sgpr_queue_ptr 0
		.amdhsa_user_sgpr_kernarg_segment_ptr 1
		.amdhsa_user_sgpr_dispatch_id 0
		.amdhsa_user_sgpr_flat_scratch_init 0
		.amdhsa_user_sgpr_kernarg_preload_length 0
		.amdhsa_user_sgpr_kernarg_preload_offset 0
		.amdhsa_user_sgpr_private_segment_size 0
		.amdhsa_uses_dynamic_stack 0
		.amdhsa_system_sgpr_private_segment_wavefront_offset 0
		.amdhsa_system_sgpr_workgroup_id_x 1
		.amdhsa_system_sgpr_workgroup_id_y 0
		.amdhsa_system_sgpr_workgroup_id_z 0
		.amdhsa_system_sgpr_workgroup_info 0
		.amdhsa_system_vgpr_workitem_id 0
		.amdhsa_next_free_vgpr 1
		.amdhsa_next_free_sgpr 0
		.amdhsa_accum_offset 4
		.amdhsa_reserve_vcc 0
		.amdhsa_reserve_flat_scratch 0
		.amdhsa_float_round_mode_32 0
		.amdhsa_float_round_mode_16_64 0
		.amdhsa_float_denorm_mode_32 3
		.amdhsa_float_denorm_mode_16_64 3
		.amdhsa_dx10_clamp 1
		.amdhsa_ieee_mode 1
		.amdhsa_fp16_overflow 0
		.amdhsa_tg_split 0
		.amdhsa_exception_fp_ieee_invalid_op 0
		.amdhsa_exception_fp_denorm_src 0
		.amdhsa_exception_fp_ieee_div_zero 0
		.amdhsa_exception_fp_ieee_overflow 0
		.amdhsa_exception_fp_ieee_underflow 0
		.amdhsa_exception_fp_ieee_inexact 0
		.amdhsa_exception_int_div_zero 0
	.end_amdhsa_kernel
	.section	.text._ZN7rocprim17ROCPRIM_400000_NS6detail17trampoline_kernelINS0_14default_configENS1_37merge_sort_block_sort_config_selectorIlNS0_10empty_typeEEEZNS1_21merge_sort_block_sortIS3_PlS8_PS5_S9_ZN2at6native12_GLOBAL__N_124unique_dim_cuda_templateIfEESt5tupleIJNSA_6TensorESF_SF_EERKSF_lbbbEUlllE_EE10hipError_tT0_T1_T2_T3_mRjT4_P12ihipStream_tbNS1_7vsmem_tEEUlT_E_NS1_11comp_targetILNS1_3genE10ELNS1_11target_archE1200ELNS1_3gpuE4ELNS1_3repE0EEENS1_30default_config_static_selectorELNS0_4arch9wavefront6targetE1EEEvSM_,"axG",@progbits,_ZN7rocprim17ROCPRIM_400000_NS6detail17trampoline_kernelINS0_14default_configENS1_37merge_sort_block_sort_config_selectorIlNS0_10empty_typeEEEZNS1_21merge_sort_block_sortIS3_PlS8_PS5_S9_ZN2at6native12_GLOBAL__N_124unique_dim_cuda_templateIfEESt5tupleIJNSA_6TensorESF_SF_EERKSF_lbbbEUlllE_EE10hipError_tT0_T1_T2_T3_mRjT4_P12ihipStream_tbNS1_7vsmem_tEEUlT_E_NS1_11comp_targetILNS1_3genE10ELNS1_11target_archE1200ELNS1_3gpuE4ELNS1_3repE0EEENS1_30default_config_static_selectorELNS0_4arch9wavefront6targetE1EEEvSM_,comdat
.Lfunc_end877:
	.size	_ZN7rocprim17ROCPRIM_400000_NS6detail17trampoline_kernelINS0_14default_configENS1_37merge_sort_block_sort_config_selectorIlNS0_10empty_typeEEEZNS1_21merge_sort_block_sortIS3_PlS8_PS5_S9_ZN2at6native12_GLOBAL__N_124unique_dim_cuda_templateIfEESt5tupleIJNSA_6TensorESF_SF_EERKSF_lbbbEUlllE_EE10hipError_tT0_T1_T2_T3_mRjT4_P12ihipStream_tbNS1_7vsmem_tEEUlT_E_NS1_11comp_targetILNS1_3genE10ELNS1_11target_archE1200ELNS1_3gpuE4ELNS1_3repE0EEENS1_30default_config_static_selectorELNS0_4arch9wavefront6targetE1EEEvSM_, .Lfunc_end877-_ZN7rocprim17ROCPRIM_400000_NS6detail17trampoline_kernelINS0_14default_configENS1_37merge_sort_block_sort_config_selectorIlNS0_10empty_typeEEEZNS1_21merge_sort_block_sortIS3_PlS8_PS5_S9_ZN2at6native12_GLOBAL__N_124unique_dim_cuda_templateIfEESt5tupleIJNSA_6TensorESF_SF_EERKSF_lbbbEUlllE_EE10hipError_tT0_T1_T2_T3_mRjT4_P12ihipStream_tbNS1_7vsmem_tEEUlT_E_NS1_11comp_targetILNS1_3genE10ELNS1_11target_archE1200ELNS1_3gpuE4ELNS1_3repE0EEENS1_30default_config_static_selectorELNS0_4arch9wavefront6targetE1EEEvSM_
                                        ; -- End function
	.section	.AMDGPU.csdata,"",@progbits
; Kernel info:
; codeLenInByte = 0
; NumSgprs: 4
; NumVgprs: 0
; NumAgprs: 0
; TotalNumVgprs: 0
; ScratchSize: 0
; MemoryBound: 0
; FloatMode: 240
; IeeeMode: 1
; LDSByteSize: 0 bytes/workgroup (compile time only)
; SGPRBlocks: 0
; VGPRBlocks: 0
; NumSGPRsForWavesPerEU: 4
; NumVGPRsForWavesPerEU: 1
; AccumOffset: 4
; Occupancy: 8
; WaveLimiterHint : 0
; COMPUTE_PGM_RSRC2:SCRATCH_EN: 0
; COMPUTE_PGM_RSRC2:USER_SGPR: 6
; COMPUTE_PGM_RSRC2:TRAP_HANDLER: 0
; COMPUTE_PGM_RSRC2:TGID_X_EN: 1
; COMPUTE_PGM_RSRC2:TGID_Y_EN: 0
; COMPUTE_PGM_RSRC2:TGID_Z_EN: 0
; COMPUTE_PGM_RSRC2:TIDIG_COMP_CNT: 0
; COMPUTE_PGM_RSRC3_GFX90A:ACCUM_OFFSET: 0
; COMPUTE_PGM_RSRC3_GFX90A:TG_SPLIT: 0
	.section	.text._ZN7rocprim17ROCPRIM_400000_NS6detail17trampoline_kernelINS0_14default_configENS1_37merge_sort_block_sort_config_selectorIlNS0_10empty_typeEEEZNS1_21merge_sort_block_sortIS3_PlS8_PS5_S9_ZN2at6native12_GLOBAL__N_124unique_dim_cuda_templateIfEESt5tupleIJNSA_6TensorESF_SF_EERKSF_lbbbEUlllE_EE10hipError_tT0_T1_T2_T3_mRjT4_P12ihipStream_tbNS1_7vsmem_tEEUlT_E_NS1_11comp_targetILNS1_3genE9ELNS1_11target_archE1100ELNS1_3gpuE3ELNS1_3repE0EEENS1_30default_config_static_selectorELNS0_4arch9wavefront6targetE1EEEvSM_,"axG",@progbits,_ZN7rocprim17ROCPRIM_400000_NS6detail17trampoline_kernelINS0_14default_configENS1_37merge_sort_block_sort_config_selectorIlNS0_10empty_typeEEEZNS1_21merge_sort_block_sortIS3_PlS8_PS5_S9_ZN2at6native12_GLOBAL__N_124unique_dim_cuda_templateIfEESt5tupleIJNSA_6TensorESF_SF_EERKSF_lbbbEUlllE_EE10hipError_tT0_T1_T2_T3_mRjT4_P12ihipStream_tbNS1_7vsmem_tEEUlT_E_NS1_11comp_targetILNS1_3genE9ELNS1_11target_archE1100ELNS1_3gpuE3ELNS1_3repE0EEENS1_30default_config_static_selectorELNS0_4arch9wavefront6targetE1EEEvSM_,comdat
	.globl	_ZN7rocprim17ROCPRIM_400000_NS6detail17trampoline_kernelINS0_14default_configENS1_37merge_sort_block_sort_config_selectorIlNS0_10empty_typeEEEZNS1_21merge_sort_block_sortIS3_PlS8_PS5_S9_ZN2at6native12_GLOBAL__N_124unique_dim_cuda_templateIfEESt5tupleIJNSA_6TensorESF_SF_EERKSF_lbbbEUlllE_EE10hipError_tT0_T1_T2_T3_mRjT4_P12ihipStream_tbNS1_7vsmem_tEEUlT_E_NS1_11comp_targetILNS1_3genE9ELNS1_11target_archE1100ELNS1_3gpuE3ELNS1_3repE0EEENS1_30default_config_static_selectorELNS0_4arch9wavefront6targetE1EEEvSM_ ; -- Begin function _ZN7rocprim17ROCPRIM_400000_NS6detail17trampoline_kernelINS0_14default_configENS1_37merge_sort_block_sort_config_selectorIlNS0_10empty_typeEEEZNS1_21merge_sort_block_sortIS3_PlS8_PS5_S9_ZN2at6native12_GLOBAL__N_124unique_dim_cuda_templateIfEESt5tupleIJNSA_6TensorESF_SF_EERKSF_lbbbEUlllE_EE10hipError_tT0_T1_T2_T3_mRjT4_P12ihipStream_tbNS1_7vsmem_tEEUlT_E_NS1_11comp_targetILNS1_3genE9ELNS1_11target_archE1100ELNS1_3gpuE3ELNS1_3repE0EEENS1_30default_config_static_selectorELNS0_4arch9wavefront6targetE1EEEvSM_
	.p2align	8
	.type	_ZN7rocprim17ROCPRIM_400000_NS6detail17trampoline_kernelINS0_14default_configENS1_37merge_sort_block_sort_config_selectorIlNS0_10empty_typeEEEZNS1_21merge_sort_block_sortIS3_PlS8_PS5_S9_ZN2at6native12_GLOBAL__N_124unique_dim_cuda_templateIfEESt5tupleIJNSA_6TensorESF_SF_EERKSF_lbbbEUlllE_EE10hipError_tT0_T1_T2_T3_mRjT4_P12ihipStream_tbNS1_7vsmem_tEEUlT_E_NS1_11comp_targetILNS1_3genE9ELNS1_11target_archE1100ELNS1_3gpuE3ELNS1_3repE0EEENS1_30default_config_static_selectorELNS0_4arch9wavefront6targetE1EEEvSM_,@function
_ZN7rocprim17ROCPRIM_400000_NS6detail17trampoline_kernelINS0_14default_configENS1_37merge_sort_block_sort_config_selectorIlNS0_10empty_typeEEEZNS1_21merge_sort_block_sortIS3_PlS8_PS5_S9_ZN2at6native12_GLOBAL__N_124unique_dim_cuda_templateIfEESt5tupleIJNSA_6TensorESF_SF_EERKSF_lbbbEUlllE_EE10hipError_tT0_T1_T2_T3_mRjT4_P12ihipStream_tbNS1_7vsmem_tEEUlT_E_NS1_11comp_targetILNS1_3genE9ELNS1_11target_archE1100ELNS1_3gpuE3ELNS1_3repE0EEENS1_30default_config_static_selectorELNS0_4arch9wavefront6targetE1EEEvSM_: ; @_ZN7rocprim17ROCPRIM_400000_NS6detail17trampoline_kernelINS0_14default_configENS1_37merge_sort_block_sort_config_selectorIlNS0_10empty_typeEEEZNS1_21merge_sort_block_sortIS3_PlS8_PS5_S9_ZN2at6native12_GLOBAL__N_124unique_dim_cuda_templateIfEESt5tupleIJNSA_6TensorESF_SF_EERKSF_lbbbEUlllE_EE10hipError_tT0_T1_T2_T3_mRjT4_P12ihipStream_tbNS1_7vsmem_tEEUlT_E_NS1_11comp_targetILNS1_3genE9ELNS1_11target_archE1100ELNS1_3gpuE3ELNS1_3repE0EEENS1_30default_config_static_selectorELNS0_4arch9wavefront6targetE1EEEvSM_
; %bb.0:
	.section	.rodata,"a",@progbits
	.p2align	6, 0x0
	.amdhsa_kernel _ZN7rocprim17ROCPRIM_400000_NS6detail17trampoline_kernelINS0_14default_configENS1_37merge_sort_block_sort_config_selectorIlNS0_10empty_typeEEEZNS1_21merge_sort_block_sortIS3_PlS8_PS5_S9_ZN2at6native12_GLOBAL__N_124unique_dim_cuda_templateIfEESt5tupleIJNSA_6TensorESF_SF_EERKSF_lbbbEUlllE_EE10hipError_tT0_T1_T2_T3_mRjT4_P12ihipStream_tbNS1_7vsmem_tEEUlT_E_NS1_11comp_targetILNS1_3genE9ELNS1_11target_archE1100ELNS1_3gpuE3ELNS1_3repE0EEENS1_30default_config_static_selectorELNS0_4arch9wavefront6targetE1EEEvSM_
		.amdhsa_group_segment_fixed_size 0
		.amdhsa_private_segment_fixed_size 0
		.amdhsa_kernarg_size 72
		.amdhsa_user_sgpr_count 6
		.amdhsa_user_sgpr_private_segment_buffer 1
		.amdhsa_user_sgpr_dispatch_ptr 0
		.amdhsa_user_sgpr_queue_ptr 0
		.amdhsa_user_sgpr_kernarg_segment_ptr 1
		.amdhsa_user_sgpr_dispatch_id 0
		.amdhsa_user_sgpr_flat_scratch_init 0
		.amdhsa_user_sgpr_kernarg_preload_length 0
		.amdhsa_user_sgpr_kernarg_preload_offset 0
		.amdhsa_user_sgpr_private_segment_size 0
		.amdhsa_uses_dynamic_stack 0
		.amdhsa_system_sgpr_private_segment_wavefront_offset 0
		.amdhsa_system_sgpr_workgroup_id_x 1
		.amdhsa_system_sgpr_workgroup_id_y 0
		.amdhsa_system_sgpr_workgroup_id_z 0
		.amdhsa_system_sgpr_workgroup_info 0
		.amdhsa_system_vgpr_workitem_id 0
		.amdhsa_next_free_vgpr 1
		.amdhsa_next_free_sgpr 0
		.amdhsa_accum_offset 4
		.amdhsa_reserve_vcc 0
		.amdhsa_reserve_flat_scratch 0
		.amdhsa_float_round_mode_32 0
		.amdhsa_float_round_mode_16_64 0
		.amdhsa_float_denorm_mode_32 3
		.amdhsa_float_denorm_mode_16_64 3
		.amdhsa_dx10_clamp 1
		.amdhsa_ieee_mode 1
		.amdhsa_fp16_overflow 0
		.amdhsa_tg_split 0
		.amdhsa_exception_fp_ieee_invalid_op 0
		.amdhsa_exception_fp_denorm_src 0
		.amdhsa_exception_fp_ieee_div_zero 0
		.amdhsa_exception_fp_ieee_overflow 0
		.amdhsa_exception_fp_ieee_underflow 0
		.amdhsa_exception_fp_ieee_inexact 0
		.amdhsa_exception_int_div_zero 0
	.end_amdhsa_kernel
	.section	.text._ZN7rocprim17ROCPRIM_400000_NS6detail17trampoline_kernelINS0_14default_configENS1_37merge_sort_block_sort_config_selectorIlNS0_10empty_typeEEEZNS1_21merge_sort_block_sortIS3_PlS8_PS5_S9_ZN2at6native12_GLOBAL__N_124unique_dim_cuda_templateIfEESt5tupleIJNSA_6TensorESF_SF_EERKSF_lbbbEUlllE_EE10hipError_tT0_T1_T2_T3_mRjT4_P12ihipStream_tbNS1_7vsmem_tEEUlT_E_NS1_11comp_targetILNS1_3genE9ELNS1_11target_archE1100ELNS1_3gpuE3ELNS1_3repE0EEENS1_30default_config_static_selectorELNS0_4arch9wavefront6targetE1EEEvSM_,"axG",@progbits,_ZN7rocprim17ROCPRIM_400000_NS6detail17trampoline_kernelINS0_14default_configENS1_37merge_sort_block_sort_config_selectorIlNS0_10empty_typeEEEZNS1_21merge_sort_block_sortIS3_PlS8_PS5_S9_ZN2at6native12_GLOBAL__N_124unique_dim_cuda_templateIfEESt5tupleIJNSA_6TensorESF_SF_EERKSF_lbbbEUlllE_EE10hipError_tT0_T1_T2_T3_mRjT4_P12ihipStream_tbNS1_7vsmem_tEEUlT_E_NS1_11comp_targetILNS1_3genE9ELNS1_11target_archE1100ELNS1_3gpuE3ELNS1_3repE0EEENS1_30default_config_static_selectorELNS0_4arch9wavefront6targetE1EEEvSM_,comdat
.Lfunc_end878:
	.size	_ZN7rocprim17ROCPRIM_400000_NS6detail17trampoline_kernelINS0_14default_configENS1_37merge_sort_block_sort_config_selectorIlNS0_10empty_typeEEEZNS1_21merge_sort_block_sortIS3_PlS8_PS5_S9_ZN2at6native12_GLOBAL__N_124unique_dim_cuda_templateIfEESt5tupleIJNSA_6TensorESF_SF_EERKSF_lbbbEUlllE_EE10hipError_tT0_T1_T2_T3_mRjT4_P12ihipStream_tbNS1_7vsmem_tEEUlT_E_NS1_11comp_targetILNS1_3genE9ELNS1_11target_archE1100ELNS1_3gpuE3ELNS1_3repE0EEENS1_30default_config_static_selectorELNS0_4arch9wavefront6targetE1EEEvSM_, .Lfunc_end878-_ZN7rocprim17ROCPRIM_400000_NS6detail17trampoline_kernelINS0_14default_configENS1_37merge_sort_block_sort_config_selectorIlNS0_10empty_typeEEEZNS1_21merge_sort_block_sortIS3_PlS8_PS5_S9_ZN2at6native12_GLOBAL__N_124unique_dim_cuda_templateIfEESt5tupleIJNSA_6TensorESF_SF_EERKSF_lbbbEUlllE_EE10hipError_tT0_T1_T2_T3_mRjT4_P12ihipStream_tbNS1_7vsmem_tEEUlT_E_NS1_11comp_targetILNS1_3genE9ELNS1_11target_archE1100ELNS1_3gpuE3ELNS1_3repE0EEENS1_30default_config_static_selectorELNS0_4arch9wavefront6targetE1EEEvSM_
                                        ; -- End function
	.section	.AMDGPU.csdata,"",@progbits
; Kernel info:
; codeLenInByte = 0
; NumSgprs: 4
; NumVgprs: 0
; NumAgprs: 0
; TotalNumVgprs: 0
; ScratchSize: 0
; MemoryBound: 0
; FloatMode: 240
; IeeeMode: 1
; LDSByteSize: 0 bytes/workgroup (compile time only)
; SGPRBlocks: 0
; VGPRBlocks: 0
; NumSGPRsForWavesPerEU: 4
; NumVGPRsForWavesPerEU: 1
; AccumOffset: 4
; Occupancy: 8
; WaveLimiterHint : 0
; COMPUTE_PGM_RSRC2:SCRATCH_EN: 0
; COMPUTE_PGM_RSRC2:USER_SGPR: 6
; COMPUTE_PGM_RSRC2:TRAP_HANDLER: 0
; COMPUTE_PGM_RSRC2:TGID_X_EN: 1
; COMPUTE_PGM_RSRC2:TGID_Y_EN: 0
; COMPUTE_PGM_RSRC2:TGID_Z_EN: 0
; COMPUTE_PGM_RSRC2:TIDIG_COMP_CNT: 0
; COMPUTE_PGM_RSRC3_GFX90A:ACCUM_OFFSET: 0
; COMPUTE_PGM_RSRC3_GFX90A:TG_SPLIT: 0
	.section	.text._ZN7rocprim17ROCPRIM_400000_NS6detail17trampoline_kernelINS0_14default_configENS1_37merge_sort_block_sort_config_selectorIlNS0_10empty_typeEEEZNS1_21merge_sort_block_sortIS3_PlS8_PS5_S9_ZN2at6native12_GLOBAL__N_124unique_dim_cuda_templateIfEESt5tupleIJNSA_6TensorESF_SF_EERKSF_lbbbEUlllE_EE10hipError_tT0_T1_T2_T3_mRjT4_P12ihipStream_tbNS1_7vsmem_tEEUlT_E_NS1_11comp_targetILNS1_3genE8ELNS1_11target_archE1030ELNS1_3gpuE2ELNS1_3repE0EEENS1_30default_config_static_selectorELNS0_4arch9wavefront6targetE1EEEvSM_,"axG",@progbits,_ZN7rocprim17ROCPRIM_400000_NS6detail17trampoline_kernelINS0_14default_configENS1_37merge_sort_block_sort_config_selectorIlNS0_10empty_typeEEEZNS1_21merge_sort_block_sortIS3_PlS8_PS5_S9_ZN2at6native12_GLOBAL__N_124unique_dim_cuda_templateIfEESt5tupleIJNSA_6TensorESF_SF_EERKSF_lbbbEUlllE_EE10hipError_tT0_T1_T2_T3_mRjT4_P12ihipStream_tbNS1_7vsmem_tEEUlT_E_NS1_11comp_targetILNS1_3genE8ELNS1_11target_archE1030ELNS1_3gpuE2ELNS1_3repE0EEENS1_30default_config_static_selectorELNS0_4arch9wavefront6targetE1EEEvSM_,comdat
	.globl	_ZN7rocprim17ROCPRIM_400000_NS6detail17trampoline_kernelINS0_14default_configENS1_37merge_sort_block_sort_config_selectorIlNS0_10empty_typeEEEZNS1_21merge_sort_block_sortIS3_PlS8_PS5_S9_ZN2at6native12_GLOBAL__N_124unique_dim_cuda_templateIfEESt5tupleIJNSA_6TensorESF_SF_EERKSF_lbbbEUlllE_EE10hipError_tT0_T1_T2_T3_mRjT4_P12ihipStream_tbNS1_7vsmem_tEEUlT_E_NS1_11comp_targetILNS1_3genE8ELNS1_11target_archE1030ELNS1_3gpuE2ELNS1_3repE0EEENS1_30default_config_static_selectorELNS0_4arch9wavefront6targetE1EEEvSM_ ; -- Begin function _ZN7rocprim17ROCPRIM_400000_NS6detail17trampoline_kernelINS0_14default_configENS1_37merge_sort_block_sort_config_selectorIlNS0_10empty_typeEEEZNS1_21merge_sort_block_sortIS3_PlS8_PS5_S9_ZN2at6native12_GLOBAL__N_124unique_dim_cuda_templateIfEESt5tupleIJNSA_6TensorESF_SF_EERKSF_lbbbEUlllE_EE10hipError_tT0_T1_T2_T3_mRjT4_P12ihipStream_tbNS1_7vsmem_tEEUlT_E_NS1_11comp_targetILNS1_3genE8ELNS1_11target_archE1030ELNS1_3gpuE2ELNS1_3repE0EEENS1_30default_config_static_selectorELNS0_4arch9wavefront6targetE1EEEvSM_
	.p2align	8
	.type	_ZN7rocprim17ROCPRIM_400000_NS6detail17trampoline_kernelINS0_14default_configENS1_37merge_sort_block_sort_config_selectorIlNS0_10empty_typeEEEZNS1_21merge_sort_block_sortIS3_PlS8_PS5_S9_ZN2at6native12_GLOBAL__N_124unique_dim_cuda_templateIfEESt5tupleIJNSA_6TensorESF_SF_EERKSF_lbbbEUlllE_EE10hipError_tT0_T1_T2_T3_mRjT4_P12ihipStream_tbNS1_7vsmem_tEEUlT_E_NS1_11comp_targetILNS1_3genE8ELNS1_11target_archE1030ELNS1_3gpuE2ELNS1_3repE0EEENS1_30default_config_static_selectorELNS0_4arch9wavefront6targetE1EEEvSM_,@function
_ZN7rocprim17ROCPRIM_400000_NS6detail17trampoline_kernelINS0_14default_configENS1_37merge_sort_block_sort_config_selectorIlNS0_10empty_typeEEEZNS1_21merge_sort_block_sortIS3_PlS8_PS5_S9_ZN2at6native12_GLOBAL__N_124unique_dim_cuda_templateIfEESt5tupleIJNSA_6TensorESF_SF_EERKSF_lbbbEUlllE_EE10hipError_tT0_T1_T2_T3_mRjT4_P12ihipStream_tbNS1_7vsmem_tEEUlT_E_NS1_11comp_targetILNS1_3genE8ELNS1_11target_archE1030ELNS1_3gpuE2ELNS1_3repE0EEENS1_30default_config_static_selectorELNS0_4arch9wavefront6targetE1EEEvSM_: ; @_ZN7rocprim17ROCPRIM_400000_NS6detail17trampoline_kernelINS0_14default_configENS1_37merge_sort_block_sort_config_selectorIlNS0_10empty_typeEEEZNS1_21merge_sort_block_sortIS3_PlS8_PS5_S9_ZN2at6native12_GLOBAL__N_124unique_dim_cuda_templateIfEESt5tupleIJNSA_6TensorESF_SF_EERKSF_lbbbEUlllE_EE10hipError_tT0_T1_T2_T3_mRjT4_P12ihipStream_tbNS1_7vsmem_tEEUlT_E_NS1_11comp_targetILNS1_3genE8ELNS1_11target_archE1030ELNS1_3gpuE2ELNS1_3repE0EEENS1_30default_config_static_selectorELNS0_4arch9wavefront6targetE1EEEvSM_
; %bb.0:
	.section	.rodata,"a",@progbits
	.p2align	6, 0x0
	.amdhsa_kernel _ZN7rocprim17ROCPRIM_400000_NS6detail17trampoline_kernelINS0_14default_configENS1_37merge_sort_block_sort_config_selectorIlNS0_10empty_typeEEEZNS1_21merge_sort_block_sortIS3_PlS8_PS5_S9_ZN2at6native12_GLOBAL__N_124unique_dim_cuda_templateIfEESt5tupleIJNSA_6TensorESF_SF_EERKSF_lbbbEUlllE_EE10hipError_tT0_T1_T2_T3_mRjT4_P12ihipStream_tbNS1_7vsmem_tEEUlT_E_NS1_11comp_targetILNS1_3genE8ELNS1_11target_archE1030ELNS1_3gpuE2ELNS1_3repE0EEENS1_30default_config_static_selectorELNS0_4arch9wavefront6targetE1EEEvSM_
		.amdhsa_group_segment_fixed_size 0
		.amdhsa_private_segment_fixed_size 0
		.amdhsa_kernarg_size 72
		.amdhsa_user_sgpr_count 6
		.amdhsa_user_sgpr_private_segment_buffer 1
		.amdhsa_user_sgpr_dispatch_ptr 0
		.amdhsa_user_sgpr_queue_ptr 0
		.amdhsa_user_sgpr_kernarg_segment_ptr 1
		.amdhsa_user_sgpr_dispatch_id 0
		.amdhsa_user_sgpr_flat_scratch_init 0
		.amdhsa_user_sgpr_kernarg_preload_length 0
		.amdhsa_user_sgpr_kernarg_preload_offset 0
		.amdhsa_user_sgpr_private_segment_size 0
		.amdhsa_uses_dynamic_stack 0
		.amdhsa_system_sgpr_private_segment_wavefront_offset 0
		.amdhsa_system_sgpr_workgroup_id_x 1
		.amdhsa_system_sgpr_workgroup_id_y 0
		.amdhsa_system_sgpr_workgroup_id_z 0
		.amdhsa_system_sgpr_workgroup_info 0
		.amdhsa_system_vgpr_workitem_id 0
		.amdhsa_next_free_vgpr 1
		.amdhsa_next_free_sgpr 0
		.amdhsa_accum_offset 4
		.amdhsa_reserve_vcc 0
		.amdhsa_reserve_flat_scratch 0
		.amdhsa_float_round_mode_32 0
		.amdhsa_float_round_mode_16_64 0
		.amdhsa_float_denorm_mode_32 3
		.amdhsa_float_denorm_mode_16_64 3
		.amdhsa_dx10_clamp 1
		.amdhsa_ieee_mode 1
		.amdhsa_fp16_overflow 0
		.amdhsa_tg_split 0
		.amdhsa_exception_fp_ieee_invalid_op 0
		.amdhsa_exception_fp_denorm_src 0
		.amdhsa_exception_fp_ieee_div_zero 0
		.amdhsa_exception_fp_ieee_overflow 0
		.amdhsa_exception_fp_ieee_underflow 0
		.amdhsa_exception_fp_ieee_inexact 0
		.amdhsa_exception_int_div_zero 0
	.end_amdhsa_kernel
	.section	.text._ZN7rocprim17ROCPRIM_400000_NS6detail17trampoline_kernelINS0_14default_configENS1_37merge_sort_block_sort_config_selectorIlNS0_10empty_typeEEEZNS1_21merge_sort_block_sortIS3_PlS8_PS5_S9_ZN2at6native12_GLOBAL__N_124unique_dim_cuda_templateIfEESt5tupleIJNSA_6TensorESF_SF_EERKSF_lbbbEUlllE_EE10hipError_tT0_T1_T2_T3_mRjT4_P12ihipStream_tbNS1_7vsmem_tEEUlT_E_NS1_11comp_targetILNS1_3genE8ELNS1_11target_archE1030ELNS1_3gpuE2ELNS1_3repE0EEENS1_30default_config_static_selectorELNS0_4arch9wavefront6targetE1EEEvSM_,"axG",@progbits,_ZN7rocprim17ROCPRIM_400000_NS6detail17trampoline_kernelINS0_14default_configENS1_37merge_sort_block_sort_config_selectorIlNS0_10empty_typeEEEZNS1_21merge_sort_block_sortIS3_PlS8_PS5_S9_ZN2at6native12_GLOBAL__N_124unique_dim_cuda_templateIfEESt5tupleIJNSA_6TensorESF_SF_EERKSF_lbbbEUlllE_EE10hipError_tT0_T1_T2_T3_mRjT4_P12ihipStream_tbNS1_7vsmem_tEEUlT_E_NS1_11comp_targetILNS1_3genE8ELNS1_11target_archE1030ELNS1_3gpuE2ELNS1_3repE0EEENS1_30default_config_static_selectorELNS0_4arch9wavefront6targetE1EEEvSM_,comdat
.Lfunc_end879:
	.size	_ZN7rocprim17ROCPRIM_400000_NS6detail17trampoline_kernelINS0_14default_configENS1_37merge_sort_block_sort_config_selectorIlNS0_10empty_typeEEEZNS1_21merge_sort_block_sortIS3_PlS8_PS5_S9_ZN2at6native12_GLOBAL__N_124unique_dim_cuda_templateIfEESt5tupleIJNSA_6TensorESF_SF_EERKSF_lbbbEUlllE_EE10hipError_tT0_T1_T2_T3_mRjT4_P12ihipStream_tbNS1_7vsmem_tEEUlT_E_NS1_11comp_targetILNS1_3genE8ELNS1_11target_archE1030ELNS1_3gpuE2ELNS1_3repE0EEENS1_30default_config_static_selectorELNS0_4arch9wavefront6targetE1EEEvSM_, .Lfunc_end879-_ZN7rocprim17ROCPRIM_400000_NS6detail17trampoline_kernelINS0_14default_configENS1_37merge_sort_block_sort_config_selectorIlNS0_10empty_typeEEEZNS1_21merge_sort_block_sortIS3_PlS8_PS5_S9_ZN2at6native12_GLOBAL__N_124unique_dim_cuda_templateIfEESt5tupleIJNSA_6TensorESF_SF_EERKSF_lbbbEUlllE_EE10hipError_tT0_T1_T2_T3_mRjT4_P12ihipStream_tbNS1_7vsmem_tEEUlT_E_NS1_11comp_targetILNS1_3genE8ELNS1_11target_archE1030ELNS1_3gpuE2ELNS1_3repE0EEENS1_30default_config_static_selectorELNS0_4arch9wavefront6targetE1EEEvSM_
                                        ; -- End function
	.section	.AMDGPU.csdata,"",@progbits
; Kernel info:
; codeLenInByte = 0
; NumSgprs: 4
; NumVgprs: 0
; NumAgprs: 0
; TotalNumVgprs: 0
; ScratchSize: 0
; MemoryBound: 0
; FloatMode: 240
; IeeeMode: 1
; LDSByteSize: 0 bytes/workgroup (compile time only)
; SGPRBlocks: 0
; VGPRBlocks: 0
; NumSGPRsForWavesPerEU: 4
; NumVGPRsForWavesPerEU: 1
; AccumOffset: 4
; Occupancy: 8
; WaveLimiterHint : 0
; COMPUTE_PGM_RSRC2:SCRATCH_EN: 0
; COMPUTE_PGM_RSRC2:USER_SGPR: 6
; COMPUTE_PGM_RSRC2:TRAP_HANDLER: 0
; COMPUTE_PGM_RSRC2:TGID_X_EN: 1
; COMPUTE_PGM_RSRC2:TGID_Y_EN: 0
; COMPUTE_PGM_RSRC2:TGID_Z_EN: 0
; COMPUTE_PGM_RSRC2:TIDIG_COMP_CNT: 0
; COMPUTE_PGM_RSRC3_GFX90A:ACCUM_OFFSET: 0
; COMPUTE_PGM_RSRC3_GFX90A:TG_SPLIT: 0
	.section	.text._ZN7rocprim17ROCPRIM_400000_NS6detail17trampoline_kernelINS0_14default_configENS1_38merge_sort_block_merge_config_selectorIlNS0_10empty_typeEEEZZNS1_27merge_sort_block_merge_implIS3_PlPS5_mZN2at6native12_GLOBAL__N_124unique_dim_cuda_templateIfEESt5tupleIJNSA_6TensorESF_SF_EERKSF_lbbbEUlllE_EE10hipError_tT0_T1_T2_jT3_P12ihipStream_tbPNSt15iterator_traitsISL_E10value_typeEPNSR_ISM_E10value_typeEPSN_NS1_7vsmem_tEENKUlT_SL_SM_SN_E_clIS8_S8_S9_S9_EESK_S10_SL_SM_SN_EUlS10_E_NS1_11comp_targetILNS1_3genE0ELNS1_11target_archE4294967295ELNS1_3gpuE0ELNS1_3repE0EEENS1_48merge_mergepath_partition_config_static_selectorELNS0_4arch9wavefront6targetE1EEEvSM_,"axG",@progbits,_ZN7rocprim17ROCPRIM_400000_NS6detail17trampoline_kernelINS0_14default_configENS1_38merge_sort_block_merge_config_selectorIlNS0_10empty_typeEEEZZNS1_27merge_sort_block_merge_implIS3_PlPS5_mZN2at6native12_GLOBAL__N_124unique_dim_cuda_templateIfEESt5tupleIJNSA_6TensorESF_SF_EERKSF_lbbbEUlllE_EE10hipError_tT0_T1_T2_jT3_P12ihipStream_tbPNSt15iterator_traitsISL_E10value_typeEPNSR_ISM_E10value_typeEPSN_NS1_7vsmem_tEENKUlT_SL_SM_SN_E_clIS8_S8_S9_S9_EESK_S10_SL_SM_SN_EUlS10_E_NS1_11comp_targetILNS1_3genE0ELNS1_11target_archE4294967295ELNS1_3gpuE0ELNS1_3repE0EEENS1_48merge_mergepath_partition_config_static_selectorELNS0_4arch9wavefront6targetE1EEEvSM_,comdat
	.globl	_ZN7rocprim17ROCPRIM_400000_NS6detail17trampoline_kernelINS0_14default_configENS1_38merge_sort_block_merge_config_selectorIlNS0_10empty_typeEEEZZNS1_27merge_sort_block_merge_implIS3_PlPS5_mZN2at6native12_GLOBAL__N_124unique_dim_cuda_templateIfEESt5tupleIJNSA_6TensorESF_SF_EERKSF_lbbbEUlllE_EE10hipError_tT0_T1_T2_jT3_P12ihipStream_tbPNSt15iterator_traitsISL_E10value_typeEPNSR_ISM_E10value_typeEPSN_NS1_7vsmem_tEENKUlT_SL_SM_SN_E_clIS8_S8_S9_S9_EESK_S10_SL_SM_SN_EUlS10_E_NS1_11comp_targetILNS1_3genE0ELNS1_11target_archE4294967295ELNS1_3gpuE0ELNS1_3repE0EEENS1_48merge_mergepath_partition_config_static_selectorELNS0_4arch9wavefront6targetE1EEEvSM_ ; -- Begin function _ZN7rocprim17ROCPRIM_400000_NS6detail17trampoline_kernelINS0_14default_configENS1_38merge_sort_block_merge_config_selectorIlNS0_10empty_typeEEEZZNS1_27merge_sort_block_merge_implIS3_PlPS5_mZN2at6native12_GLOBAL__N_124unique_dim_cuda_templateIfEESt5tupleIJNSA_6TensorESF_SF_EERKSF_lbbbEUlllE_EE10hipError_tT0_T1_T2_jT3_P12ihipStream_tbPNSt15iterator_traitsISL_E10value_typeEPNSR_ISM_E10value_typeEPSN_NS1_7vsmem_tEENKUlT_SL_SM_SN_E_clIS8_S8_S9_S9_EESK_S10_SL_SM_SN_EUlS10_E_NS1_11comp_targetILNS1_3genE0ELNS1_11target_archE4294967295ELNS1_3gpuE0ELNS1_3repE0EEENS1_48merge_mergepath_partition_config_static_selectorELNS0_4arch9wavefront6targetE1EEEvSM_
	.p2align	8
	.type	_ZN7rocprim17ROCPRIM_400000_NS6detail17trampoline_kernelINS0_14default_configENS1_38merge_sort_block_merge_config_selectorIlNS0_10empty_typeEEEZZNS1_27merge_sort_block_merge_implIS3_PlPS5_mZN2at6native12_GLOBAL__N_124unique_dim_cuda_templateIfEESt5tupleIJNSA_6TensorESF_SF_EERKSF_lbbbEUlllE_EE10hipError_tT0_T1_T2_jT3_P12ihipStream_tbPNSt15iterator_traitsISL_E10value_typeEPNSR_ISM_E10value_typeEPSN_NS1_7vsmem_tEENKUlT_SL_SM_SN_E_clIS8_S8_S9_S9_EESK_S10_SL_SM_SN_EUlS10_E_NS1_11comp_targetILNS1_3genE0ELNS1_11target_archE4294967295ELNS1_3gpuE0ELNS1_3repE0EEENS1_48merge_mergepath_partition_config_static_selectorELNS0_4arch9wavefront6targetE1EEEvSM_,@function
_ZN7rocprim17ROCPRIM_400000_NS6detail17trampoline_kernelINS0_14default_configENS1_38merge_sort_block_merge_config_selectorIlNS0_10empty_typeEEEZZNS1_27merge_sort_block_merge_implIS3_PlPS5_mZN2at6native12_GLOBAL__N_124unique_dim_cuda_templateIfEESt5tupleIJNSA_6TensorESF_SF_EERKSF_lbbbEUlllE_EE10hipError_tT0_T1_T2_jT3_P12ihipStream_tbPNSt15iterator_traitsISL_E10value_typeEPNSR_ISM_E10value_typeEPSN_NS1_7vsmem_tEENKUlT_SL_SM_SN_E_clIS8_S8_S9_S9_EESK_S10_SL_SM_SN_EUlS10_E_NS1_11comp_targetILNS1_3genE0ELNS1_11target_archE4294967295ELNS1_3gpuE0ELNS1_3repE0EEENS1_48merge_mergepath_partition_config_static_selectorELNS0_4arch9wavefront6targetE1EEEvSM_: ; @_ZN7rocprim17ROCPRIM_400000_NS6detail17trampoline_kernelINS0_14default_configENS1_38merge_sort_block_merge_config_selectorIlNS0_10empty_typeEEEZZNS1_27merge_sort_block_merge_implIS3_PlPS5_mZN2at6native12_GLOBAL__N_124unique_dim_cuda_templateIfEESt5tupleIJNSA_6TensorESF_SF_EERKSF_lbbbEUlllE_EE10hipError_tT0_T1_T2_jT3_P12ihipStream_tbPNSt15iterator_traitsISL_E10value_typeEPNSR_ISM_E10value_typeEPSN_NS1_7vsmem_tEENKUlT_SL_SM_SN_E_clIS8_S8_S9_S9_EESK_S10_SL_SM_SN_EUlS10_E_NS1_11comp_targetILNS1_3genE0ELNS1_11target_archE4294967295ELNS1_3gpuE0ELNS1_3repE0EEENS1_48merge_mergepath_partition_config_static_selectorELNS0_4arch9wavefront6targetE1EEEvSM_
; %bb.0:
	.section	.rodata,"a",@progbits
	.p2align	6, 0x0
	.amdhsa_kernel _ZN7rocprim17ROCPRIM_400000_NS6detail17trampoline_kernelINS0_14default_configENS1_38merge_sort_block_merge_config_selectorIlNS0_10empty_typeEEEZZNS1_27merge_sort_block_merge_implIS3_PlPS5_mZN2at6native12_GLOBAL__N_124unique_dim_cuda_templateIfEESt5tupleIJNSA_6TensorESF_SF_EERKSF_lbbbEUlllE_EE10hipError_tT0_T1_T2_jT3_P12ihipStream_tbPNSt15iterator_traitsISL_E10value_typeEPNSR_ISM_E10value_typeEPSN_NS1_7vsmem_tEENKUlT_SL_SM_SN_E_clIS8_S8_S9_S9_EESK_S10_SL_SM_SN_EUlS10_E_NS1_11comp_targetILNS1_3genE0ELNS1_11target_archE4294967295ELNS1_3gpuE0ELNS1_3repE0EEENS1_48merge_mergepath_partition_config_static_selectorELNS0_4arch9wavefront6targetE1EEEvSM_
		.amdhsa_group_segment_fixed_size 0
		.amdhsa_private_segment_fixed_size 0
		.amdhsa_kernarg_size 56
		.amdhsa_user_sgpr_count 6
		.amdhsa_user_sgpr_private_segment_buffer 1
		.amdhsa_user_sgpr_dispatch_ptr 0
		.amdhsa_user_sgpr_queue_ptr 0
		.amdhsa_user_sgpr_kernarg_segment_ptr 1
		.amdhsa_user_sgpr_dispatch_id 0
		.amdhsa_user_sgpr_flat_scratch_init 0
		.amdhsa_user_sgpr_kernarg_preload_length 0
		.amdhsa_user_sgpr_kernarg_preload_offset 0
		.amdhsa_user_sgpr_private_segment_size 0
		.amdhsa_uses_dynamic_stack 0
		.amdhsa_system_sgpr_private_segment_wavefront_offset 0
		.amdhsa_system_sgpr_workgroup_id_x 1
		.amdhsa_system_sgpr_workgroup_id_y 0
		.amdhsa_system_sgpr_workgroup_id_z 0
		.amdhsa_system_sgpr_workgroup_info 0
		.amdhsa_system_vgpr_workitem_id 0
		.amdhsa_next_free_vgpr 1
		.amdhsa_next_free_sgpr 0
		.amdhsa_accum_offset 4
		.amdhsa_reserve_vcc 0
		.amdhsa_reserve_flat_scratch 0
		.amdhsa_float_round_mode_32 0
		.amdhsa_float_round_mode_16_64 0
		.amdhsa_float_denorm_mode_32 3
		.amdhsa_float_denorm_mode_16_64 3
		.amdhsa_dx10_clamp 1
		.amdhsa_ieee_mode 1
		.amdhsa_fp16_overflow 0
		.amdhsa_tg_split 0
		.amdhsa_exception_fp_ieee_invalid_op 0
		.amdhsa_exception_fp_denorm_src 0
		.amdhsa_exception_fp_ieee_div_zero 0
		.amdhsa_exception_fp_ieee_overflow 0
		.amdhsa_exception_fp_ieee_underflow 0
		.amdhsa_exception_fp_ieee_inexact 0
		.amdhsa_exception_int_div_zero 0
	.end_amdhsa_kernel
	.section	.text._ZN7rocprim17ROCPRIM_400000_NS6detail17trampoline_kernelINS0_14default_configENS1_38merge_sort_block_merge_config_selectorIlNS0_10empty_typeEEEZZNS1_27merge_sort_block_merge_implIS3_PlPS5_mZN2at6native12_GLOBAL__N_124unique_dim_cuda_templateIfEESt5tupleIJNSA_6TensorESF_SF_EERKSF_lbbbEUlllE_EE10hipError_tT0_T1_T2_jT3_P12ihipStream_tbPNSt15iterator_traitsISL_E10value_typeEPNSR_ISM_E10value_typeEPSN_NS1_7vsmem_tEENKUlT_SL_SM_SN_E_clIS8_S8_S9_S9_EESK_S10_SL_SM_SN_EUlS10_E_NS1_11comp_targetILNS1_3genE0ELNS1_11target_archE4294967295ELNS1_3gpuE0ELNS1_3repE0EEENS1_48merge_mergepath_partition_config_static_selectorELNS0_4arch9wavefront6targetE1EEEvSM_,"axG",@progbits,_ZN7rocprim17ROCPRIM_400000_NS6detail17trampoline_kernelINS0_14default_configENS1_38merge_sort_block_merge_config_selectorIlNS0_10empty_typeEEEZZNS1_27merge_sort_block_merge_implIS3_PlPS5_mZN2at6native12_GLOBAL__N_124unique_dim_cuda_templateIfEESt5tupleIJNSA_6TensorESF_SF_EERKSF_lbbbEUlllE_EE10hipError_tT0_T1_T2_jT3_P12ihipStream_tbPNSt15iterator_traitsISL_E10value_typeEPNSR_ISM_E10value_typeEPSN_NS1_7vsmem_tEENKUlT_SL_SM_SN_E_clIS8_S8_S9_S9_EESK_S10_SL_SM_SN_EUlS10_E_NS1_11comp_targetILNS1_3genE0ELNS1_11target_archE4294967295ELNS1_3gpuE0ELNS1_3repE0EEENS1_48merge_mergepath_partition_config_static_selectorELNS0_4arch9wavefront6targetE1EEEvSM_,comdat
.Lfunc_end880:
	.size	_ZN7rocprim17ROCPRIM_400000_NS6detail17trampoline_kernelINS0_14default_configENS1_38merge_sort_block_merge_config_selectorIlNS0_10empty_typeEEEZZNS1_27merge_sort_block_merge_implIS3_PlPS5_mZN2at6native12_GLOBAL__N_124unique_dim_cuda_templateIfEESt5tupleIJNSA_6TensorESF_SF_EERKSF_lbbbEUlllE_EE10hipError_tT0_T1_T2_jT3_P12ihipStream_tbPNSt15iterator_traitsISL_E10value_typeEPNSR_ISM_E10value_typeEPSN_NS1_7vsmem_tEENKUlT_SL_SM_SN_E_clIS8_S8_S9_S9_EESK_S10_SL_SM_SN_EUlS10_E_NS1_11comp_targetILNS1_3genE0ELNS1_11target_archE4294967295ELNS1_3gpuE0ELNS1_3repE0EEENS1_48merge_mergepath_partition_config_static_selectorELNS0_4arch9wavefront6targetE1EEEvSM_, .Lfunc_end880-_ZN7rocprim17ROCPRIM_400000_NS6detail17trampoline_kernelINS0_14default_configENS1_38merge_sort_block_merge_config_selectorIlNS0_10empty_typeEEEZZNS1_27merge_sort_block_merge_implIS3_PlPS5_mZN2at6native12_GLOBAL__N_124unique_dim_cuda_templateIfEESt5tupleIJNSA_6TensorESF_SF_EERKSF_lbbbEUlllE_EE10hipError_tT0_T1_T2_jT3_P12ihipStream_tbPNSt15iterator_traitsISL_E10value_typeEPNSR_ISM_E10value_typeEPSN_NS1_7vsmem_tEENKUlT_SL_SM_SN_E_clIS8_S8_S9_S9_EESK_S10_SL_SM_SN_EUlS10_E_NS1_11comp_targetILNS1_3genE0ELNS1_11target_archE4294967295ELNS1_3gpuE0ELNS1_3repE0EEENS1_48merge_mergepath_partition_config_static_selectorELNS0_4arch9wavefront6targetE1EEEvSM_
                                        ; -- End function
	.section	.AMDGPU.csdata,"",@progbits
; Kernel info:
; codeLenInByte = 0
; NumSgprs: 4
; NumVgprs: 0
; NumAgprs: 0
; TotalNumVgprs: 0
; ScratchSize: 0
; MemoryBound: 0
; FloatMode: 240
; IeeeMode: 1
; LDSByteSize: 0 bytes/workgroup (compile time only)
; SGPRBlocks: 0
; VGPRBlocks: 0
; NumSGPRsForWavesPerEU: 4
; NumVGPRsForWavesPerEU: 1
; AccumOffset: 4
; Occupancy: 8
; WaveLimiterHint : 0
; COMPUTE_PGM_RSRC2:SCRATCH_EN: 0
; COMPUTE_PGM_RSRC2:USER_SGPR: 6
; COMPUTE_PGM_RSRC2:TRAP_HANDLER: 0
; COMPUTE_PGM_RSRC2:TGID_X_EN: 1
; COMPUTE_PGM_RSRC2:TGID_Y_EN: 0
; COMPUTE_PGM_RSRC2:TGID_Z_EN: 0
; COMPUTE_PGM_RSRC2:TIDIG_COMP_CNT: 0
; COMPUTE_PGM_RSRC3_GFX90A:ACCUM_OFFSET: 0
; COMPUTE_PGM_RSRC3_GFX90A:TG_SPLIT: 0
	.section	.text._ZN7rocprim17ROCPRIM_400000_NS6detail17trampoline_kernelINS0_14default_configENS1_38merge_sort_block_merge_config_selectorIlNS0_10empty_typeEEEZZNS1_27merge_sort_block_merge_implIS3_PlPS5_mZN2at6native12_GLOBAL__N_124unique_dim_cuda_templateIfEESt5tupleIJNSA_6TensorESF_SF_EERKSF_lbbbEUlllE_EE10hipError_tT0_T1_T2_jT3_P12ihipStream_tbPNSt15iterator_traitsISL_E10value_typeEPNSR_ISM_E10value_typeEPSN_NS1_7vsmem_tEENKUlT_SL_SM_SN_E_clIS8_S8_S9_S9_EESK_S10_SL_SM_SN_EUlS10_E_NS1_11comp_targetILNS1_3genE10ELNS1_11target_archE1201ELNS1_3gpuE5ELNS1_3repE0EEENS1_48merge_mergepath_partition_config_static_selectorELNS0_4arch9wavefront6targetE1EEEvSM_,"axG",@progbits,_ZN7rocprim17ROCPRIM_400000_NS6detail17trampoline_kernelINS0_14default_configENS1_38merge_sort_block_merge_config_selectorIlNS0_10empty_typeEEEZZNS1_27merge_sort_block_merge_implIS3_PlPS5_mZN2at6native12_GLOBAL__N_124unique_dim_cuda_templateIfEESt5tupleIJNSA_6TensorESF_SF_EERKSF_lbbbEUlllE_EE10hipError_tT0_T1_T2_jT3_P12ihipStream_tbPNSt15iterator_traitsISL_E10value_typeEPNSR_ISM_E10value_typeEPSN_NS1_7vsmem_tEENKUlT_SL_SM_SN_E_clIS8_S8_S9_S9_EESK_S10_SL_SM_SN_EUlS10_E_NS1_11comp_targetILNS1_3genE10ELNS1_11target_archE1201ELNS1_3gpuE5ELNS1_3repE0EEENS1_48merge_mergepath_partition_config_static_selectorELNS0_4arch9wavefront6targetE1EEEvSM_,comdat
	.globl	_ZN7rocprim17ROCPRIM_400000_NS6detail17trampoline_kernelINS0_14default_configENS1_38merge_sort_block_merge_config_selectorIlNS0_10empty_typeEEEZZNS1_27merge_sort_block_merge_implIS3_PlPS5_mZN2at6native12_GLOBAL__N_124unique_dim_cuda_templateIfEESt5tupleIJNSA_6TensorESF_SF_EERKSF_lbbbEUlllE_EE10hipError_tT0_T1_T2_jT3_P12ihipStream_tbPNSt15iterator_traitsISL_E10value_typeEPNSR_ISM_E10value_typeEPSN_NS1_7vsmem_tEENKUlT_SL_SM_SN_E_clIS8_S8_S9_S9_EESK_S10_SL_SM_SN_EUlS10_E_NS1_11comp_targetILNS1_3genE10ELNS1_11target_archE1201ELNS1_3gpuE5ELNS1_3repE0EEENS1_48merge_mergepath_partition_config_static_selectorELNS0_4arch9wavefront6targetE1EEEvSM_ ; -- Begin function _ZN7rocprim17ROCPRIM_400000_NS6detail17trampoline_kernelINS0_14default_configENS1_38merge_sort_block_merge_config_selectorIlNS0_10empty_typeEEEZZNS1_27merge_sort_block_merge_implIS3_PlPS5_mZN2at6native12_GLOBAL__N_124unique_dim_cuda_templateIfEESt5tupleIJNSA_6TensorESF_SF_EERKSF_lbbbEUlllE_EE10hipError_tT0_T1_T2_jT3_P12ihipStream_tbPNSt15iterator_traitsISL_E10value_typeEPNSR_ISM_E10value_typeEPSN_NS1_7vsmem_tEENKUlT_SL_SM_SN_E_clIS8_S8_S9_S9_EESK_S10_SL_SM_SN_EUlS10_E_NS1_11comp_targetILNS1_3genE10ELNS1_11target_archE1201ELNS1_3gpuE5ELNS1_3repE0EEENS1_48merge_mergepath_partition_config_static_selectorELNS0_4arch9wavefront6targetE1EEEvSM_
	.p2align	8
	.type	_ZN7rocprim17ROCPRIM_400000_NS6detail17trampoline_kernelINS0_14default_configENS1_38merge_sort_block_merge_config_selectorIlNS0_10empty_typeEEEZZNS1_27merge_sort_block_merge_implIS3_PlPS5_mZN2at6native12_GLOBAL__N_124unique_dim_cuda_templateIfEESt5tupleIJNSA_6TensorESF_SF_EERKSF_lbbbEUlllE_EE10hipError_tT0_T1_T2_jT3_P12ihipStream_tbPNSt15iterator_traitsISL_E10value_typeEPNSR_ISM_E10value_typeEPSN_NS1_7vsmem_tEENKUlT_SL_SM_SN_E_clIS8_S8_S9_S9_EESK_S10_SL_SM_SN_EUlS10_E_NS1_11comp_targetILNS1_3genE10ELNS1_11target_archE1201ELNS1_3gpuE5ELNS1_3repE0EEENS1_48merge_mergepath_partition_config_static_selectorELNS0_4arch9wavefront6targetE1EEEvSM_,@function
_ZN7rocprim17ROCPRIM_400000_NS6detail17trampoline_kernelINS0_14default_configENS1_38merge_sort_block_merge_config_selectorIlNS0_10empty_typeEEEZZNS1_27merge_sort_block_merge_implIS3_PlPS5_mZN2at6native12_GLOBAL__N_124unique_dim_cuda_templateIfEESt5tupleIJNSA_6TensorESF_SF_EERKSF_lbbbEUlllE_EE10hipError_tT0_T1_T2_jT3_P12ihipStream_tbPNSt15iterator_traitsISL_E10value_typeEPNSR_ISM_E10value_typeEPSN_NS1_7vsmem_tEENKUlT_SL_SM_SN_E_clIS8_S8_S9_S9_EESK_S10_SL_SM_SN_EUlS10_E_NS1_11comp_targetILNS1_3genE10ELNS1_11target_archE1201ELNS1_3gpuE5ELNS1_3repE0EEENS1_48merge_mergepath_partition_config_static_selectorELNS0_4arch9wavefront6targetE1EEEvSM_: ; @_ZN7rocprim17ROCPRIM_400000_NS6detail17trampoline_kernelINS0_14default_configENS1_38merge_sort_block_merge_config_selectorIlNS0_10empty_typeEEEZZNS1_27merge_sort_block_merge_implIS3_PlPS5_mZN2at6native12_GLOBAL__N_124unique_dim_cuda_templateIfEESt5tupleIJNSA_6TensorESF_SF_EERKSF_lbbbEUlllE_EE10hipError_tT0_T1_T2_jT3_P12ihipStream_tbPNSt15iterator_traitsISL_E10value_typeEPNSR_ISM_E10value_typeEPSN_NS1_7vsmem_tEENKUlT_SL_SM_SN_E_clIS8_S8_S9_S9_EESK_S10_SL_SM_SN_EUlS10_E_NS1_11comp_targetILNS1_3genE10ELNS1_11target_archE1201ELNS1_3gpuE5ELNS1_3repE0EEENS1_48merge_mergepath_partition_config_static_selectorELNS0_4arch9wavefront6targetE1EEEvSM_
; %bb.0:
	.section	.rodata,"a",@progbits
	.p2align	6, 0x0
	.amdhsa_kernel _ZN7rocprim17ROCPRIM_400000_NS6detail17trampoline_kernelINS0_14default_configENS1_38merge_sort_block_merge_config_selectorIlNS0_10empty_typeEEEZZNS1_27merge_sort_block_merge_implIS3_PlPS5_mZN2at6native12_GLOBAL__N_124unique_dim_cuda_templateIfEESt5tupleIJNSA_6TensorESF_SF_EERKSF_lbbbEUlllE_EE10hipError_tT0_T1_T2_jT3_P12ihipStream_tbPNSt15iterator_traitsISL_E10value_typeEPNSR_ISM_E10value_typeEPSN_NS1_7vsmem_tEENKUlT_SL_SM_SN_E_clIS8_S8_S9_S9_EESK_S10_SL_SM_SN_EUlS10_E_NS1_11comp_targetILNS1_3genE10ELNS1_11target_archE1201ELNS1_3gpuE5ELNS1_3repE0EEENS1_48merge_mergepath_partition_config_static_selectorELNS0_4arch9wavefront6targetE1EEEvSM_
		.amdhsa_group_segment_fixed_size 0
		.amdhsa_private_segment_fixed_size 0
		.amdhsa_kernarg_size 56
		.amdhsa_user_sgpr_count 6
		.amdhsa_user_sgpr_private_segment_buffer 1
		.amdhsa_user_sgpr_dispatch_ptr 0
		.amdhsa_user_sgpr_queue_ptr 0
		.amdhsa_user_sgpr_kernarg_segment_ptr 1
		.amdhsa_user_sgpr_dispatch_id 0
		.amdhsa_user_sgpr_flat_scratch_init 0
		.amdhsa_user_sgpr_kernarg_preload_length 0
		.amdhsa_user_sgpr_kernarg_preload_offset 0
		.amdhsa_user_sgpr_private_segment_size 0
		.amdhsa_uses_dynamic_stack 0
		.amdhsa_system_sgpr_private_segment_wavefront_offset 0
		.amdhsa_system_sgpr_workgroup_id_x 1
		.amdhsa_system_sgpr_workgroup_id_y 0
		.amdhsa_system_sgpr_workgroup_id_z 0
		.amdhsa_system_sgpr_workgroup_info 0
		.amdhsa_system_vgpr_workitem_id 0
		.amdhsa_next_free_vgpr 1
		.amdhsa_next_free_sgpr 0
		.amdhsa_accum_offset 4
		.amdhsa_reserve_vcc 0
		.amdhsa_reserve_flat_scratch 0
		.amdhsa_float_round_mode_32 0
		.amdhsa_float_round_mode_16_64 0
		.amdhsa_float_denorm_mode_32 3
		.amdhsa_float_denorm_mode_16_64 3
		.amdhsa_dx10_clamp 1
		.amdhsa_ieee_mode 1
		.amdhsa_fp16_overflow 0
		.amdhsa_tg_split 0
		.amdhsa_exception_fp_ieee_invalid_op 0
		.amdhsa_exception_fp_denorm_src 0
		.amdhsa_exception_fp_ieee_div_zero 0
		.amdhsa_exception_fp_ieee_overflow 0
		.amdhsa_exception_fp_ieee_underflow 0
		.amdhsa_exception_fp_ieee_inexact 0
		.amdhsa_exception_int_div_zero 0
	.end_amdhsa_kernel
	.section	.text._ZN7rocprim17ROCPRIM_400000_NS6detail17trampoline_kernelINS0_14default_configENS1_38merge_sort_block_merge_config_selectorIlNS0_10empty_typeEEEZZNS1_27merge_sort_block_merge_implIS3_PlPS5_mZN2at6native12_GLOBAL__N_124unique_dim_cuda_templateIfEESt5tupleIJNSA_6TensorESF_SF_EERKSF_lbbbEUlllE_EE10hipError_tT0_T1_T2_jT3_P12ihipStream_tbPNSt15iterator_traitsISL_E10value_typeEPNSR_ISM_E10value_typeEPSN_NS1_7vsmem_tEENKUlT_SL_SM_SN_E_clIS8_S8_S9_S9_EESK_S10_SL_SM_SN_EUlS10_E_NS1_11comp_targetILNS1_3genE10ELNS1_11target_archE1201ELNS1_3gpuE5ELNS1_3repE0EEENS1_48merge_mergepath_partition_config_static_selectorELNS0_4arch9wavefront6targetE1EEEvSM_,"axG",@progbits,_ZN7rocprim17ROCPRIM_400000_NS6detail17trampoline_kernelINS0_14default_configENS1_38merge_sort_block_merge_config_selectorIlNS0_10empty_typeEEEZZNS1_27merge_sort_block_merge_implIS3_PlPS5_mZN2at6native12_GLOBAL__N_124unique_dim_cuda_templateIfEESt5tupleIJNSA_6TensorESF_SF_EERKSF_lbbbEUlllE_EE10hipError_tT0_T1_T2_jT3_P12ihipStream_tbPNSt15iterator_traitsISL_E10value_typeEPNSR_ISM_E10value_typeEPSN_NS1_7vsmem_tEENKUlT_SL_SM_SN_E_clIS8_S8_S9_S9_EESK_S10_SL_SM_SN_EUlS10_E_NS1_11comp_targetILNS1_3genE10ELNS1_11target_archE1201ELNS1_3gpuE5ELNS1_3repE0EEENS1_48merge_mergepath_partition_config_static_selectorELNS0_4arch9wavefront6targetE1EEEvSM_,comdat
.Lfunc_end881:
	.size	_ZN7rocprim17ROCPRIM_400000_NS6detail17trampoline_kernelINS0_14default_configENS1_38merge_sort_block_merge_config_selectorIlNS0_10empty_typeEEEZZNS1_27merge_sort_block_merge_implIS3_PlPS5_mZN2at6native12_GLOBAL__N_124unique_dim_cuda_templateIfEESt5tupleIJNSA_6TensorESF_SF_EERKSF_lbbbEUlllE_EE10hipError_tT0_T1_T2_jT3_P12ihipStream_tbPNSt15iterator_traitsISL_E10value_typeEPNSR_ISM_E10value_typeEPSN_NS1_7vsmem_tEENKUlT_SL_SM_SN_E_clIS8_S8_S9_S9_EESK_S10_SL_SM_SN_EUlS10_E_NS1_11comp_targetILNS1_3genE10ELNS1_11target_archE1201ELNS1_3gpuE5ELNS1_3repE0EEENS1_48merge_mergepath_partition_config_static_selectorELNS0_4arch9wavefront6targetE1EEEvSM_, .Lfunc_end881-_ZN7rocprim17ROCPRIM_400000_NS6detail17trampoline_kernelINS0_14default_configENS1_38merge_sort_block_merge_config_selectorIlNS0_10empty_typeEEEZZNS1_27merge_sort_block_merge_implIS3_PlPS5_mZN2at6native12_GLOBAL__N_124unique_dim_cuda_templateIfEESt5tupleIJNSA_6TensorESF_SF_EERKSF_lbbbEUlllE_EE10hipError_tT0_T1_T2_jT3_P12ihipStream_tbPNSt15iterator_traitsISL_E10value_typeEPNSR_ISM_E10value_typeEPSN_NS1_7vsmem_tEENKUlT_SL_SM_SN_E_clIS8_S8_S9_S9_EESK_S10_SL_SM_SN_EUlS10_E_NS1_11comp_targetILNS1_3genE10ELNS1_11target_archE1201ELNS1_3gpuE5ELNS1_3repE0EEENS1_48merge_mergepath_partition_config_static_selectorELNS0_4arch9wavefront6targetE1EEEvSM_
                                        ; -- End function
	.section	.AMDGPU.csdata,"",@progbits
; Kernel info:
; codeLenInByte = 0
; NumSgprs: 4
; NumVgprs: 0
; NumAgprs: 0
; TotalNumVgprs: 0
; ScratchSize: 0
; MemoryBound: 0
; FloatMode: 240
; IeeeMode: 1
; LDSByteSize: 0 bytes/workgroup (compile time only)
; SGPRBlocks: 0
; VGPRBlocks: 0
; NumSGPRsForWavesPerEU: 4
; NumVGPRsForWavesPerEU: 1
; AccumOffset: 4
; Occupancy: 8
; WaveLimiterHint : 0
; COMPUTE_PGM_RSRC2:SCRATCH_EN: 0
; COMPUTE_PGM_RSRC2:USER_SGPR: 6
; COMPUTE_PGM_RSRC2:TRAP_HANDLER: 0
; COMPUTE_PGM_RSRC2:TGID_X_EN: 1
; COMPUTE_PGM_RSRC2:TGID_Y_EN: 0
; COMPUTE_PGM_RSRC2:TGID_Z_EN: 0
; COMPUTE_PGM_RSRC2:TIDIG_COMP_CNT: 0
; COMPUTE_PGM_RSRC3_GFX90A:ACCUM_OFFSET: 0
; COMPUTE_PGM_RSRC3_GFX90A:TG_SPLIT: 0
	.section	.text._ZN7rocprim17ROCPRIM_400000_NS6detail17trampoline_kernelINS0_14default_configENS1_38merge_sort_block_merge_config_selectorIlNS0_10empty_typeEEEZZNS1_27merge_sort_block_merge_implIS3_PlPS5_mZN2at6native12_GLOBAL__N_124unique_dim_cuda_templateIfEESt5tupleIJNSA_6TensorESF_SF_EERKSF_lbbbEUlllE_EE10hipError_tT0_T1_T2_jT3_P12ihipStream_tbPNSt15iterator_traitsISL_E10value_typeEPNSR_ISM_E10value_typeEPSN_NS1_7vsmem_tEENKUlT_SL_SM_SN_E_clIS8_S8_S9_S9_EESK_S10_SL_SM_SN_EUlS10_E_NS1_11comp_targetILNS1_3genE5ELNS1_11target_archE942ELNS1_3gpuE9ELNS1_3repE0EEENS1_48merge_mergepath_partition_config_static_selectorELNS0_4arch9wavefront6targetE1EEEvSM_,"axG",@progbits,_ZN7rocprim17ROCPRIM_400000_NS6detail17trampoline_kernelINS0_14default_configENS1_38merge_sort_block_merge_config_selectorIlNS0_10empty_typeEEEZZNS1_27merge_sort_block_merge_implIS3_PlPS5_mZN2at6native12_GLOBAL__N_124unique_dim_cuda_templateIfEESt5tupleIJNSA_6TensorESF_SF_EERKSF_lbbbEUlllE_EE10hipError_tT0_T1_T2_jT3_P12ihipStream_tbPNSt15iterator_traitsISL_E10value_typeEPNSR_ISM_E10value_typeEPSN_NS1_7vsmem_tEENKUlT_SL_SM_SN_E_clIS8_S8_S9_S9_EESK_S10_SL_SM_SN_EUlS10_E_NS1_11comp_targetILNS1_3genE5ELNS1_11target_archE942ELNS1_3gpuE9ELNS1_3repE0EEENS1_48merge_mergepath_partition_config_static_selectorELNS0_4arch9wavefront6targetE1EEEvSM_,comdat
	.globl	_ZN7rocprim17ROCPRIM_400000_NS6detail17trampoline_kernelINS0_14default_configENS1_38merge_sort_block_merge_config_selectorIlNS0_10empty_typeEEEZZNS1_27merge_sort_block_merge_implIS3_PlPS5_mZN2at6native12_GLOBAL__N_124unique_dim_cuda_templateIfEESt5tupleIJNSA_6TensorESF_SF_EERKSF_lbbbEUlllE_EE10hipError_tT0_T1_T2_jT3_P12ihipStream_tbPNSt15iterator_traitsISL_E10value_typeEPNSR_ISM_E10value_typeEPSN_NS1_7vsmem_tEENKUlT_SL_SM_SN_E_clIS8_S8_S9_S9_EESK_S10_SL_SM_SN_EUlS10_E_NS1_11comp_targetILNS1_3genE5ELNS1_11target_archE942ELNS1_3gpuE9ELNS1_3repE0EEENS1_48merge_mergepath_partition_config_static_selectorELNS0_4arch9wavefront6targetE1EEEvSM_ ; -- Begin function _ZN7rocprim17ROCPRIM_400000_NS6detail17trampoline_kernelINS0_14default_configENS1_38merge_sort_block_merge_config_selectorIlNS0_10empty_typeEEEZZNS1_27merge_sort_block_merge_implIS3_PlPS5_mZN2at6native12_GLOBAL__N_124unique_dim_cuda_templateIfEESt5tupleIJNSA_6TensorESF_SF_EERKSF_lbbbEUlllE_EE10hipError_tT0_T1_T2_jT3_P12ihipStream_tbPNSt15iterator_traitsISL_E10value_typeEPNSR_ISM_E10value_typeEPSN_NS1_7vsmem_tEENKUlT_SL_SM_SN_E_clIS8_S8_S9_S9_EESK_S10_SL_SM_SN_EUlS10_E_NS1_11comp_targetILNS1_3genE5ELNS1_11target_archE942ELNS1_3gpuE9ELNS1_3repE0EEENS1_48merge_mergepath_partition_config_static_selectorELNS0_4arch9wavefront6targetE1EEEvSM_
	.p2align	8
	.type	_ZN7rocprim17ROCPRIM_400000_NS6detail17trampoline_kernelINS0_14default_configENS1_38merge_sort_block_merge_config_selectorIlNS0_10empty_typeEEEZZNS1_27merge_sort_block_merge_implIS3_PlPS5_mZN2at6native12_GLOBAL__N_124unique_dim_cuda_templateIfEESt5tupleIJNSA_6TensorESF_SF_EERKSF_lbbbEUlllE_EE10hipError_tT0_T1_T2_jT3_P12ihipStream_tbPNSt15iterator_traitsISL_E10value_typeEPNSR_ISM_E10value_typeEPSN_NS1_7vsmem_tEENKUlT_SL_SM_SN_E_clIS8_S8_S9_S9_EESK_S10_SL_SM_SN_EUlS10_E_NS1_11comp_targetILNS1_3genE5ELNS1_11target_archE942ELNS1_3gpuE9ELNS1_3repE0EEENS1_48merge_mergepath_partition_config_static_selectorELNS0_4arch9wavefront6targetE1EEEvSM_,@function
_ZN7rocprim17ROCPRIM_400000_NS6detail17trampoline_kernelINS0_14default_configENS1_38merge_sort_block_merge_config_selectorIlNS0_10empty_typeEEEZZNS1_27merge_sort_block_merge_implIS3_PlPS5_mZN2at6native12_GLOBAL__N_124unique_dim_cuda_templateIfEESt5tupleIJNSA_6TensorESF_SF_EERKSF_lbbbEUlllE_EE10hipError_tT0_T1_T2_jT3_P12ihipStream_tbPNSt15iterator_traitsISL_E10value_typeEPNSR_ISM_E10value_typeEPSN_NS1_7vsmem_tEENKUlT_SL_SM_SN_E_clIS8_S8_S9_S9_EESK_S10_SL_SM_SN_EUlS10_E_NS1_11comp_targetILNS1_3genE5ELNS1_11target_archE942ELNS1_3gpuE9ELNS1_3repE0EEENS1_48merge_mergepath_partition_config_static_selectorELNS0_4arch9wavefront6targetE1EEEvSM_: ; @_ZN7rocprim17ROCPRIM_400000_NS6detail17trampoline_kernelINS0_14default_configENS1_38merge_sort_block_merge_config_selectorIlNS0_10empty_typeEEEZZNS1_27merge_sort_block_merge_implIS3_PlPS5_mZN2at6native12_GLOBAL__N_124unique_dim_cuda_templateIfEESt5tupleIJNSA_6TensorESF_SF_EERKSF_lbbbEUlllE_EE10hipError_tT0_T1_T2_jT3_P12ihipStream_tbPNSt15iterator_traitsISL_E10value_typeEPNSR_ISM_E10value_typeEPSN_NS1_7vsmem_tEENKUlT_SL_SM_SN_E_clIS8_S8_S9_S9_EESK_S10_SL_SM_SN_EUlS10_E_NS1_11comp_targetILNS1_3genE5ELNS1_11target_archE942ELNS1_3gpuE9ELNS1_3repE0EEENS1_48merge_mergepath_partition_config_static_selectorELNS0_4arch9wavefront6targetE1EEEvSM_
; %bb.0:
	.section	.rodata,"a",@progbits
	.p2align	6, 0x0
	.amdhsa_kernel _ZN7rocprim17ROCPRIM_400000_NS6detail17trampoline_kernelINS0_14default_configENS1_38merge_sort_block_merge_config_selectorIlNS0_10empty_typeEEEZZNS1_27merge_sort_block_merge_implIS3_PlPS5_mZN2at6native12_GLOBAL__N_124unique_dim_cuda_templateIfEESt5tupleIJNSA_6TensorESF_SF_EERKSF_lbbbEUlllE_EE10hipError_tT0_T1_T2_jT3_P12ihipStream_tbPNSt15iterator_traitsISL_E10value_typeEPNSR_ISM_E10value_typeEPSN_NS1_7vsmem_tEENKUlT_SL_SM_SN_E_clIS8_S8_S9_S9_EESK_S10_SL_SM_SN_EUlS10_E_NS1_11comp_targetILNS1_3genE5ELNS1_11target_archE942ELNS1_3gpuE9ELNS1_3repE0EEENS1_48merge_mergepath_partition_config_static_selectorELNS0_4arch9wavefront6targetE1EEEvSM_
		.amdhsa_group_segment_fixed_size 0
		.amdhsa_private_segment_fixed_size 0
		.amdhsa_kernarg_size 56
		.amdhsa_user_sgpr_count 6
		.amdhsa_user_sgpr_private_segment_buffer 1
		.amdhsa_user_sgpr_dispatch_ptr 0
		.amdhsa_user_sgpr_queue_ptr 0
		.amdhsa_user_sgpr_kernarg_segment_ptr 1
		.amdhsa_user_sgpr_dispatch_id 0
		.amdhsa_user_sgpr_flat_scratch_init 0
		.amdhsa_user_sgpr_kernarg_preload_length 0
		.amdhsa_user_sgpr_kernarg_preload_offset 0
		.amdhsa_user_sgpr_private_segment_size 0
		.amdhsa_uses_dynamic_stack 0
		.amdhsa_system_sgpr_private_segment_wavefront_offset 0
		.amdhsa_system_sgpr_workgroup_id_x 1
		.amdhsa_system_sgpr_workgroup_id_y 0
		.amdhsa_system_sgpr_workgroup_id_z 0
		.amdhsa_system_sgpr_workgroup_info 0
		.amdhsa_system_vgpr_workitem_id 0
		.amdhsa_next_free_vgpr 1
		.amdhsa_next_free_sgpr 0
		.amdhsa_accum_offset 4
		.amdhsa_reserve_vcc 0
		.amdhsa_reserve_flat_scratch 0
		.amdhsa_float_round_mode_32 0
		.amdhsa_float_round_mode_16_64 0
		.amdhsa_float_denorm_mode_32 3
		.amdhsa_float_denorm_mode_16_64 3
		.amdhsa_dx10_clamp 1
		.amdhsa_ieee_mode 1
		.amdhsa_fp16_overflow 0
		.amdhsa_tg_split 0
		.amdhsa_exception_fp_ieee_invalid_op 0
		.amdhsa_exception_fp_denorm_src 0
		.amdhsa_exception_fp_ieee_div_zero 0
		.amdhsa_exception_fp_ieee_overflow 0
		.amdhsa_exception_fp_ieee_underflow 0
		.amdhsa_exception_fp_ieee_inexact 0
		.amdhsa_exception_int_div_zero 0
	.end_amdhsa_kernel
	.section	.text._ZN7rocprim17ROCPRIM_400000_NS6detail17trampoline_kernelINS0_14default_configENS1_38merge_sort_block_merge_config_selectorIlNS0_10empty_typeEEEZZNS1_27merge_sort_block_merge_implIS3_PlPS5_mZN2at6native12_GLOBAL__N_124unique_dim_cuda_templateIfEESt5tupleIJNSA_6TensorESF_SF_EERKSF_lbbbEUlllE_EE10hipError_tT0_T1_T2_jT3_P12ihipStream_tbPNSt15iterator_traitsISL_E10value_typeEPNSR_ISM_E10value_typeEPSN_NS1_7vsmem_tEENKUlT_SL_SM_SN_E_clIS8_S8_S9_S9_EESK_S10_SL_SM_SN_EUlS10_E_NS1_11comp_targetILNS1_3genE5ELNS1_11target_archE942ELNS1_3gpuE9ELNS1_3repE0EEENS1_48merge_mergepath_partition_config_static_selectorELNS0_4arch9wavefront6targetE1EEEvSM_,"axG",@progbits,_ZN7rocprim17ROCPRIM_400000_NS6detail17trampoline_kernelINS0_14default_configENS1_38merge_sort_block_merge_config_selectorIlNS0_10empty_typeEEEZZNS1_27merge_sort_block_merge_implIS3_PlPS5_mZN2at6native12_GLOBAL__N_124unique_dim_cuda_templateIfEESt5tupleIJNSA_6TensorESF_SF_EERKSF_lbbbEUlllE_EE10hipError_tT0_T1_T2_jT3_P12ihipStream_tbPNSt15iterator_traitsISL_E10value_typeEPNSR_ISM_E10value_typeEPSN_NS1_7vsmem_tEENKUlT_SL_SM_SN_E_clIS8_S8_S9_S9_EESK_S10_SL_SM_SN_EUlS10_E_NS1_11comp_targetILNS1_3genE5ELNS1_11target_archE942ELNS1_3gpuE9ELNS1_3repE0EEENS1_48merge_mergepath_partition_config_static_selectorELNS0_4arch9wavefront6targetE1EEEvSM_,comdat
.Lfunc_end882:
	.size	_ZN7rocprim17ROCPRIM_400000_NS6detail17trampoline_kernelINS0_14default_configENS1_38merge_sort_block_merge_config_selectorIlNS0_10empty_typeEEEZZNS1_27merge_sort_block_merge_implIS3_PlPS5_mZN2at6native12_GLOBAL__N_124unique_dim_cuda_templateIfEESt5tupleIJNSA_6TensorESF_SF_EERKSF_lbbbEUlllE_EE10hipError_tT0_T1_T2_jT3_P12ihipStream_tbPNSt15iterator_traitsISL_E10value_typeEPNSR_ISM_E10value_typeEPSN_NS1_7vsmem_tEENKUlT_SL_SM_SN_E_clIS8_S8_S9_S9_EESK_S10_SL_SM_SN_EUlS10_E_NS1_11comp_targetILNS1_3genE5ELNS1_11target_archE942ELNS1_3gpuE9ELNS1_3repE0EEENS1_48merge_mergepath_partition_config_static_selectorELNS0_4arch9wavefront6targetE1EEEvSM_, .Lfunc_end882-_ZN7rocprim17ROCPRIM_400000_NS6detail17trampoline_kernelINS0_14default_configENS1_38merge_sort_block_merge_config_selectorIlNS0_10empty_typeEEEZZNS1_27merge_sort_block_merge_implIS3_PlPS5_mZN2at6native12_GLOBAL__N_124unique_dim_cuda_templateIfEESt5tupleIJNSA_6TensorESF_SF_EERKSF_lbbbEUlllE_EE10hipError_tT0_T1_T2_jT3_P12ihipStream_tbPNSt15iterator_traitsISL_E10value_typeEPNSR_ISM_E10value_typeEPSN_NS1_7vsmem_tEENKUlT_SL_SM_SN_E_clIS8_S8_S9_S9_EESK_S10_SL_SM_SN_EUlS10_E_NS1_11comp_targetILNS1_3genE5ELNS1_11target_archE942ELNS1_3gpuE9ELNS1_3repE0EEENS1_48merge_mergepath_partition_config_static_selectorELNS0_4arch9wavefront6targetE1EEEvSM_
                                        ; -- End function
	.section	.AMDGPU.csdata,"",@progbits
; Kernel info:
; codeLenInByte = 0
; NumSgprs: 4
; NumVgprs: 0
; NumAgprs: 0
; TotalNumVgprs: 0
; ScratchSize: 0
; MemoryBound: 0
; FloatMode: 240
; IeeeMode: 1
; LDSByteSize: 0 bytes/workgroup (compile time only)
; SGPRBlocks: 0
; VGPRBlocks: 0
; NumSGPRsForWavesPerEU: 4
; NumVGPRsForWavesPerEU: 1
; AccumOffset: 4
; Occupancy: 8
; WaveLimiterHint : 0
; COMPUTE_PGM_RSRC2:SCRATCH_EN: 0
; COMPUTE_PGM_RSRC2:USER_SGPR: 6
; COMPUTE_PGM_RSRC2:TRAP_HANDLER: 0
; COMPUTE_PGM_RSRC2:TGID_X_EN: 1
; COMPUTE_PGM_RSRC2:TGID_Y_EN: 0
; COMPUTE_PGM_RSRC2:TGID_Z_EN: 0
; COMPUTE_PGM_RSRC2:TIDIG_COMP_CNT: 0
; COMPUTE_PGM_RSRC3_GFX90A:ACCUM_OFFSET: 0
; COMPUTE_PGM_RSRC3_GFX90A:TG_SPLIT: 0
	.section	.text._ZN7rocprim17ROCPRIM_400000_NS6detail17trampoline_kernelINS0_14default_configENS1_38merge_sort_block_merge_config_selectorIlNS0_10empty_typeEEEZZNS1_27merge_sort_block_merge_implIS3_PlPS5_mZN2at6native12_GLOBAL__N_124unique_dim_cuda_templateIfEESt5tupleIJNSA_6TensorESF_SF_EERKSF_lbbbEUlllE_EE10hipError_tT0_T1_T2_jT3_P12ihipStream_tbPNSt15iterator_traitsISL_E10value_typeEPNSR_ISM_E10value_typeEPSN_NS1_7vsmem_tEENKUlT_SL_SM_SN_E_clIS8_S8_S9_S9_EESK_S10_SL_SM_SN_EUlS10_E_NS1_11comp_targetILNS1_3genE4ELNS1_11target_archE910ELNS1_3gpuE8ELNS1_3repE0EEENS1_48merge_mergepath_partition_config_static_selectorELNS0_4arch9wavefront6targetE1EEEvSM_,"axG",@progbits,_ZN7rocprim17ROCPRIM_400000_NS6detail17trampoline_kernelINS0_14default_configENS1_38merge_sort_block_merge_config_selectorIlNS0_10empty_typeEEEZZNS1_27merge_sort_block_merge_implIS3_PlPS5_mZN2at6native12_GLOBAL__N_124unique_dim_cuda_templateIfEESt5tupleIJNSA_6TensorESF_SF_EERKSF_lbbbEUlllE_EE10hipError_tT0_T1_T2_jT3_P12ihipStream_tbPNSt15iterator_traitsISL_E10value_typeEPNSR_ISM_E10value_typeEPSN_NS1_7vsmem_tEENKUlT_SL_SM_SN_E_clIS8_S8_S9_S9_EESK_S10_SL_SM_SN_EUlS10_E_NS1_11comp_targetILNS1_3genE4ELNS1_11target_archE910ELNS1_3gpuE8ELNS1_3repE0EEENS1_48merge_mergepath_partition_config_static_selectorELNS0_4arch9wavefront6targetE1EEEvSM_,comdat
	.globl	_ZN7rocprim17ROCPRIM_400000_NS6detail17trampoline_kernelINS0_14default_configENS1_38merge_sort_block_merge_config_selectorIlNS0_10empty_typeEEEZZNS1_27merge_sort_block_merge_implIS3_PlPS5_mZN2at6native12_GLOBAL__N_124unique_dim_cuda_templateIfEESt5tupleIJNSA_6TensorESF_SF_EERKSF_lbbbEUlllE_EE10hipError_tT0_T1_T2_jT3_P12ihipStream_tbPNSt15iterator_traitsISL_E10value_typeEPNSR_ISM_E10value_typeEPSN_NS1_7vsmem_tEENKUlT_SL_SM_SN_E_clIS8_S8_S9_S9_EESK_S10_SL_SM_SN_EUlS10_E_NS1_11comp_targetILNS1_3genE4ELNS1_11target_archE910ELNS1_3gpuE8ELNS1_3repE0EEENS1_48merge_mergepath_partition_config_static_selectorELNS0_4arch9wavefront6targetE1EEEvSM_ ; -- Begin function _ZN7rocprim17ROCPRIM_400000_NS6detail17trampoline_kernelINS0_14default_configENS1_38merge_sort_block_merge_config_selectorIlNS0_10empty_typeEEEZZNS1_27merge_sort_block_merge_implIS3_PlPS5_mZN2at6native12_GLOBAL__N_124unique_dim_cuda_templateIfEESt5tupleIJNSA_6TensorESF_SF_EERKSF_lbbbEUlllE_EE10hipError_tT0_T1_T2_jT3_P12ihipStream_tbPNSt15iterator_traitsISL_E10value_typeEPNSR_ISM_E10value_typeEPSN_NS1_7vsmem_tEENKUlT_SL_SM_SN_E_clIS8_S8_S9_S9_EESK_S10_SL_SM_SN_EUlS10_E_NS1_11comp_targetILNS1_3genE4ELNS1_11target_archE910ELNS1_3gpuE8ELNS1_3repE0EEENS1_48merge_mergepath_partition_config_static_selectorELNS0_4arch9wavefront6targetE1EEEvSM_
	.p2align	8
	.type	_ZN7rocprim17ROCPRIM_400000_NS6detail17trampoline_kernelINS0_14default_configENS1_38merge_sort_block_merge_config_selectorIlNS0_10empty_typeEEEZZNS1_27merge_sort_block_merge_implIS3_PlPS5_mZN2at6native12_GLOBAL__N_124unique_dim_cuda_templateIfEESt5tupleIJNSA_6TensorESF_SF_EERKSF_lbbbEUlllE_EE10hipError_tT0_T1_T2_jT3_P12ihipStream_tbPNSt15iterator_traitsISL_E10value_typeEPNSR_ISM_E10value_typeEPSN_NS1_7vsmem_tEENKUlT_SL_SM_SN_E_clIS8_S8_S9_S9_EESK_S10_SL_SM_SN_EUlS10_E_NS1_11comp_targetILNS1_3genE4ELNS1_11target_archE910ELNS1_3gpuE8ELNS1_3repE0EEENS1_48merge_mergepath_partition_config_static_selectorELNS0_4arch9wavefront6targetE1EEEvSM_,@function
_ZN7rocprim17ROCPRIM_400000_NS6detail17trampoline_kernelINS0_14default_configENS1_38merge_sort_block_merge_config_selectorIlNS0_10empty_typeEEEZZNS1_27merge_sort_block_merge_implIS3_PlPS5_mZN2at6native12_GLOBAL__N_124unique_dim_cuda_templateIfEESt5tupleIJNSA_6TensorESF_SF_EERKSF_lbbbEUlllE_EE10hipError_tT0_T1_T2_jT3_P12ihipStream_tbPNSt15iterator_traitsISL_E10value_typeEPNSR_ISM_E10value_typeEPSN_NS1_7vsmem_tEENKUlT_SL_SM_SN_E_clIS8_S8_S9_S9_EESK_S10_SL_SM_SN_EUlS10_E_NS1_11comp_targetILNS1_3genE4ELNS1_11target_archE910ELNS1_3gpuE8ELNS1_3repE0EEENS1_48merge_mergepath_partition_config_static_selectorELNS0_4arch9wavefront6targetE1EEEvSM_: ; @_ZN7rocprim17ROCPRIM_400000_NS6detail17trampoline_kernelINS0_14default_configENS1_38merge_sort_block_merge_config_selectorIlNS0_10empty_typeEEEZZNS1_27merge_sort_block_merge_implIS3_PlPS5_mZN2at6native12_GLOBAL__N_124unique_dim_cuda_templateIfEESt5tupleIJNSA_6TensorESF_SF_EERKSF_lbbbEUlllE_EE10hipError_tT0_T1_T2_jT3_P12ihipStream_tbPNSt15iterator_traitsISL_E10value_typeEPNSR_ISM_E10value_typeEPSN_NS1_7vsmem_tEENKUlT_SL_SM_SN_E_clIS8_S8_S9_S9_EESK_S10_SL_SM_SN_EUlS10_E_NS1_11comp_targetILNS1_3genE4ELNS1_11target_archE910ELNS1_3gpuE8ELNS1_3repE0EEENS1_48merge_mergepath_partition_config_static_selectorELNS0_4arch9wavefront6targetE1EEEvSM_
; %bb.0:
	s_load_dword s0, s[4:5], 0x0
	v_lshl_or_b32 v0, s6, 7, v0
	s_waitcnt lgkmcnt(0)
	v_cmp_gt_u32_e32 vcc, s0, v0
	s_and_saveexec_b64 s[0:1], vcc
	s_cbranch_execz .LBB883_12
; %bb.1:
	s_load_dwordx4 s[0:3], s[4:5], 0x8
	s_load_dwordx8 s[8:15], s[4:5], 0x18
	v_mov_b32_e32 v5, 0
	s_waitcnt lgkmcnt(0)
	v_mov_b32_e32 v1, s0
	v_alignbit_b32 v1, s1, v1, 9
	v_and_b32_e32 v1, -2, v1
	v_add_u32_e32 v2, -1, v1
	v_sub_u32_e32 v1, 0, v1
	v_and_b32_e32 v4, v0, v1
	v_lshlrev_b64 v[8:9], 10, v[4:5]
	v_mov_b32_e32 v1, s3
	v_cmp_lt_u64_e32 vcc, s[2:3], v[8:9]
	v_mov_b32_e32 v4, s2
	v_and_b32_e32 v6, v2, v0
	v_cndmask_b32_e32 v3, v9, v1, vcc
	v_cndmask_b32_e32 v2, v8, v4, vcc
	v_mov_b32_e32 v7, s1
	v_add_co_u32_e32 v8, vcc, s0, v8
	v_addc_co_u32_e32 v9, vcc, v9, v7, vcc
	v_cmp_lt_u64_e32 vcc, s[2:3], v[8:9]
	v_cndmask_b32_e32 v8, v8, v4, vcc
	v_cndmask_b32_e32 v9, v9, v1, vcc
	v_add_co_u32_e32 v10, vcc, s0, v8
	v_addc_co_u32_e32 v11, vcc, v9, v7, vcc
	v_cmp_lt_u64_e32 vcc, s[2:3], v[10:11]
	v_cndmask_b32_e32 v12, v10, v4, vcc
	v_cndmask_b32_e32 v1, v11, v1, vcc
	v_sub_co_u32_e32 v10, vcc, v12, v2
	v_mov_b32_e32 v7, v5
	v_subb_co_u32_e32 v11, vcc, v1, v3, vcc
	v_lshlrev_b64 v[4:5], 10, v[6:7]
	v_cmp_lt_u64_e32 vcc, v[10:11], v[4:5]
	v_cndmask_b32_e32 v11, v5, v11, vcc
	v_cndmask_b32_e32 v10, v4, v10, vcc
	v_sub_co_u32_e32 v6, vcc, v8, v2
	v_subb_co_u32_e32 v7, vcc, v9, v3, vcc
	v_sub_co_u32_e32 v4, vcc, v8, v12
	v_subb_co_u32_e32 v1, vcc, v9, v1, vcc
	v_add_co_u32_e32 v4, vcc, v10, v4
	v_addc_co_u32_e32 v5, vcc, v11, v1, vcc
	v_cmp_gt_u64_e32 vcc, v[4:5], v[10:11]
	v_cndmask_b32_e64 v5, v5, 0, vcc
	v_cndmask_b32_e64 v4, v4, 0, vcc
	v_cmp_lt_u64_e32 vcc, v[10:11], v[6:7]
	v_cndmask_b32_e32 v7, v7, v11, vcc
	v_cndmask_b32_e32 v6, v6, v10, vcc
	v_cmp_lt_u64_e32 vcc, v[4:5], v[6:7]
	s_and_saveexec_b64 s[6:7], vcc
	s_cbranch_execz .LBB883_11
; %bb.2:
	v_lshlrev_b64 v[12:13], 3, v[2:3]
	v_mov_b32_e32 v14, s9
	v_add_co_u32_e32 v1, vcc, s8, v12
	v_addc_co_u32_e32 v14, vcc, v14, v13, vcc
	v_lshlrev_b64 v[8:9], 3, v[8:9]
	v_mov_b32_e32 v12, s9
	v_add_co_u32_e32 v13, vcc, s8, v8
	v_addc_co_u32_e32 v12, vcc, v12, v9, vcc
	v_lshlrev_b64 v[8:9], 3, v[10:11]
	v_cmp_gt_i64_e64 s[0:1], s[10:11], 0
	v_add_co_u32_e32 v15, vcc, v13, v8
	v_cndmask_b32_e64 v8, 0, 1, s[0:1]
	s_mov_b64 s[8:9], 0
	v_addc_co_u32_e32 v16, vcc, v12, v9, vcc
	s_lshl_b64 s[16:17], s[10:11], 2
	v_cmp_ne_u32_e64 s[0:1], 1, v8
	s_branch .LBB883_5
.LBB883_3:                              ;   in Loop: Header=BB883_5 Depth=1
	s_or_b64 exec, exec, s[20:21]
.LBB883_4:                              ;   in Loop: Header=BB883_5 Depth=1
	v_add_co_u32_e32 v10, vcc, 1, v8
	v_addc_co_u32_e32 v11, vcc, 0, v9, vcc
	v_cndmask_b32_e64 v7, v7, v9, s[18:19]
	v_cndmask_b32_e64 v6, v6, v8, s[18:19]
	;; [unrolled: 1-line block ×4, first 2 shown]
	v_cmp_ge_u64_e32 vcc, v[4:5], v[6:7]
	s_or_b64 s[8:9], vcc, s[8:9]
	s_andn2_b64 exec, exec, s[8:9]
	s_cbranch_execz .LBB883_10
.LBB883_5:                              ; =>This Loop Header: Depth=1
                                        ;     Child Loop BB883_8 Depth 2
	v_add_co_u32_e32 v8, vcc, v6, v4
	v_addc_co_u32_e32 v9, vcc, v7, v5, vcc
	v_lshrrev_b64 v[8:9], 1, v[8:9]
	s_and_b64 vcc, exec, s[0:1]
	s_mov_b64 s[18:19], 0
	s_cbranch_vccnz .LBB883_4
; %bb.6:                                ;   in Loop: Header=BB883_5 Depth=1
	v_not_b32_e32 v11, v9
	v_not_b32_e32 v10, v8
	v_lshlrev_b64 v[10:11], 3, v[10:11]
	v_add_co_u32_e32 v10, vcc, v15, v10
	v_addc_co_u32_e32 v11, vcc, v16, v11, vcc
	v_lshlrev_b64 v[12:13], 3, v[8:9]
	v_add_co_u32_e32 v12, vcc, v1, v12
	v_addc_co_u32_e32 v13, vcc, v14, v13, vcc
	global_load_dwordx2 v[10:11], v[10:11], off
	v_pk_mov_b32 v[18:19], s[12:13], s[12:13] op_sel:[0,1]
	global_load_dwordx2 v[12:13], v[12:13], off
	s_mov_b64 s[20:21], 0
	s_mov_b64 s[26:27], s[10:11]
                                        ; implicit-def: $sgpr18_sgpr19
                                        ; implicit-def: $sgpr22_sgpr23
                                        ; implicit-def: $sgpr24_sgpr25
                                        ; implicit-def: $sgpr2_sgpr3
                                        ; implicit-def: $sgpr28_sgpr29
	s_waitcnt vmcnt(1)
	v_mul_lo_u32 v17, s16, v11
	v_mul_lo_u32 v20, s17, v10
	v_mad_u64_u32 v[10:11], s[4:5], s16, v10, v[18:19]
	s_waitcnt vmcnt(0)
	v_mul_lo_u32 v21, s16, v13
	v_mul_lo_u32 v22, s17, v12
	v_mad_u64_u32 v[12:13], s[4:5], s16, v12, v[18:19]
	v_add3_u32 v11, v20, v11, v17
	v_add3_u32 v13, v22, v13, v21
	s_branch .LBB883_8
.LBB883_7:                              ;   in Loop: Header=BB883_8 Depth=2
	s_or_b64 exec, exec, s[30:31]
	s_and_b64 s[4:5], exec, s[22:23]
	s_or_b64 s[20:21], s[4:5], s[20:21]
	s_andn2_b64 s[4:5], s[28:29], exec
	s_and_b64 s[28:29], s[24:25], exec
	s_or_b64 s[28:29], s[4:5], s[28:29]
	s_andn2_b64 s[4:5], s[18:19], exec
	s_and_b64 s[18:19], s[2:3], exec
	s_or_b64 s[18:19], s[4:5], s[18:19]
	s_andn2_b64 exec, exec, s[20:21]
	s_cbranch_execz .LBB883_3
.LBB883_8:                              ;   Parent Loop BB883_5 Depth=1
                                        ; =>  This Inner Loop Header: Depth=2
	global_load_dword v17, v[10:11], off
	global_load_dword v18, v[12:13], off
	s_andn2_b64 s[30:31], s[2:3], exec
	s_andn2_b64 s[24:25], s[24:25], exec
	s_or_b64 s[22:23], s[22:23], exec
	s_waitcnt vmcnt(0)
	v_cmp_ngt_f32_e64 s[2:3], v17, v18
	v_cmp_lt_f32_e32 vcc, v17, v18
	s_and_b64 s[2:3], s[2:3], s[28:29]
	s_or_b64 s[34:35], vcc, s[2:3]
	s_and_b64 s[2:3], s[34:35], exec
	v_cmp_nlg_f32_e64 s[4:5], v17, v18
	s_or_b64 s[2:3], s[30:31], s[2:3]
	s_and_saveexec_b64 s[30:31], s[4:5]
	s_cbranch_execz .LBB883_7
; %bb.9:                                ;   in Loop: Header=BB883_8 Depth=2
	s_add_u32 s26, s26, -1
	s_addc_u32 s27, s27, -1
	v_add_co_u32_e32 v10, vcc, 4, v10
	s_cmp_eq_u64 s[26:27], 0
	v_addc_co_u32_e32 v11, vcc, 0, v11, vcc
	s_cselect_b64 s[4:5], -1, 0
	v_add_co_u32_e32 v12, vcc, 4, v12
	s_andn2_b64 s[24:25], s[24:25], exec
	s_and_b64 s[28:29], s[34:35], exec
	s_andn2_b64 s[22:23], s[22:23], exec
	s_and_b64 s[4:5], s[4:5], exec
	v_addc_co_u32_e32 v13, vcc, 0, v13, vcc
	s_andn2_b64 s[2:3], s[2:3], exec
	s_or_b64 s[24:25], s[24:25], s[28:29]
	s_or_b64 s[22:23], s[22:23], s[4:5]
                                        ; implicit-def: $sgpr28_sgpr29
	s_branch .LBB883_7
.LBB883_10:
	s_or_b64 exec, exec, s[8:9]
.LBB883_11:
	s_or_b64 exec, exec, s[6:7]
	v_add_co_u32_e32 v2, vcc, v4, v2
	v_mov_b32_e32 v1, 0
	v_addc_co_u32_e32 v3, vcc, v5, v3, vcc
	v_lshlrev_b64 v[0:1], 3, v[0:1]
	v_mov_b32_e32 v4, s15
	v_add_co_u32_e32 v0, vcc, s14, v0
	v_addc_co_u32_e32 v1, vcc, v4, v1, vcc
	global_store_dwordx2 v[0:1], v[2:3], off
.LBB883_12:
	s_endpgm
	.section	.rodata,"a",@progbits
	.p2align	6, 0x0
	.amdhsa_kernel _ZN7rocprim17ROCPRIM_400000_NS6detail17trampoline_kernelINS0_14default_configENS1_38merge_sort_block_merge_config_selectorIlNS0_10empty_typeEEEZZNS1_27merge_sort_block_merge_implIS3_PlPS5_mZN2at6native12_GLOBAL__N_124unique_dim_cuda_templateIfEESt5tupleIJNSA_6TensorESF_SF_EERKSF_lbbbEUlllE_EE10hipError_tT0_T1_T2_jT3_P12ihipStream_tbPNSt15iterator_traitsISL_E10value_typeEPNSR_ISM_E10value_typeEPSN_NS1_7vsmem_tEENKUlT_SL_SM_SN_E_clIS8_S8_S9_S9_EESK_S10_SL_SM_SN_EUlS10_E_NS1_11comp_targetILNS1_3genE4ELNS1_11target_archE910ELNS1_3gpuE8ELNS1_3repE0EEENS1_48merge_mergepath_partition_config_static_selectorELNS0_4arch9wavefront6targetE1EEEvSM_
		.amdhsa_group_segment_fixed_size 0
		.amdhsa_private_segment_fixed_size 0
		.amdhsa_kernarg_size 56
		.amdhsa_user_sgpr_count 6
		.amdhsa_user_sgpr_private_segment_buffer 1
		.amdhsa_user_sgpr_dispatch_ptr 0
		.amdhsa_user_sgpr_queue_ptr 0
		.amdhsa_user_sgpr_kernarg_segment_ptr 1
		.amdhsa_user_sgpr_dispatch_id 0
		.amdhsa_user_sgpr_flat_scratch_init 0
		.amdhsa_user_sgpr_kernarg_preload_length 0
		.amdhsa_user_sgpr_kernarg_preload_offset 0
		.amdhsa_user_sgpr_private_segment_size 0
		.amdhsa_uses_dynamic_stack 0
		.amdhsa_system_sgpr_private_segment_wavefront_offset 0
		.amdhsa_system_sgpr_workgroup_id_x 1
		.amdhsa_system_sgpr_workgroup_id_y 0
		.amdhsa_system_sgpr_workgroup_id_z 0
		.amdhsa_system_sgpr_workgroup_info 0
		.amdhsa_system_vgpr_workitem_id 0
		.amdhsa_next_free_vgpr 23
		.amdhsa_next_free_sgpr 36
		.amdhsa_accum_offset 24
		.amdhsa_reserve_vcc 1
		.amdhsa_reserve_flat_scratch 0
		.amdhsa_float_round_mode_32 0
		.amdhsa_float_round_mode_16_64 0
		.amdhsa_float_denorm_mode_32 3
		.amdhsa_float_denorm_mode_16_64 3
		.amdhsa_dx10_clamp 1
		.amdhsa_ieee_mode 1
		.amdhsa_fp16_overflow 0
		.amdhsa_tg_split 0
		.amdhsa_exception_fp_ieee_invalid_op 0
		.amdhsa_exception_fp_denorm_src 0
		.amdhsa_exception_fp_ieee_div_zero 0
		.amdhsa_exception_fp_ieee_overflow 0
		.amdhsa_exception_fp_ieee_underflow 0
		.amdhsa_exception_fp_ieee_inexact 0
		.amdhsa_exception_int_div_zero 0
	.end_amdhsa_kernel
	.section	.text._ZN7rocprim17ROCPRIM_400000_NS6detail17trampoline_kernelINS0_14default_configENS1_38merge_sort_block_merge_config_selectorIlNS0_10empty_typeEEEZZNS1_27merge_sort_block_merge_implIS3_PlPS5_mZN2at6native12_GLOBAL__N_124unique_dim_cuda_templateIfEESt5tupleIJNSA_6TensorESF_SF_EERKSF_lbbbEUlllE_EE10hipError_tT0_T1_T2_jT3_P12ihipStream_tbPNSt15iterator_traitsISL_E10value_typeEPNSR_ISM_E10value_typeEPSN_NS1_7vsmem_tEENKUlT_SL_SM_SN_E_clIS8_S8_S9_S9_EESK_S10_SL_SM_SN_EUlS10_E_NS1_11comp_targetILNS1_3genE4ELNS1_11target_archE910ELNS1_3gpuE8ELNS1_3repE0EEENS1_48merge_mergepath_partition_config_static_selectorELNS0_4arch9wavefront6targetE1EEEvSM_,"axG",@progbits,_ZN7rocprim17ROCPRIM_400000_NS6detail17trampoline_kernelINS0_14default_configENS1_38merge_sort_block_merge_config_selectorIlNS0_10empty_typeEEEZZNS1_27merge_sort_block_merge_implIS3_PlPS5_mZN2at6native12_GLOBAL__N_124unique_dim_cuda_templateIfEESt5tupleIJNSA_6TensorESF_SF_EERKSF_lbbbEUlllE_EE10hipError_tT0_T1_T2_jT3_P12ihipStream_tbPNSt15iterator_traitsISL_E10value_typeEPNSR_ISM_E10value_typeEPSN_NS1_7vsmem_tEENKUlT_SL_SM_SN_E_clIS8_S8_S9_S9_EESK_S10_SL_SM_SN_EUlS10_E_NS1_11comp_targetILNS1_3genE4ELNS1_11target_archE910ELNS1_3gpuE8ELNS1_3repE0EEENS1_48merge_mergepath_partition_config_static_selectorELNS0_4arch9wavefront6targetE1EEEvSM_,comdat
.Lfunc_end883:
	.size	_ZN7rocprim17ROCPRIM_400000_NS6detail17trampoline_kernelINS0_14default_configENS1_38merge_sort_block_merge_config_selectorIlNS0_10empty_typeEEEZZNS1_27merge_sort_block_merge_implIS3_PlPS5_mZN2at6native12_GLOBAL__N_124unique_dim_cuda_templateIfEESt5tupleIJNSA_6TensorESF_SF_EERKSF_lbbbEUlllE_EE10hipError_tT0_T1_T2_jT3_P12ihipStream_tbPNSt15iterator_traitsISL_E10value_typeEPNSR_ISM_E10value_typeEPSN_NS1_7vsmem_tEENKUlT_SL_SM_SN_E_clIS8_S8_S9_S9_EESK_S10_SL_SM_SN_EUlS10_E_NS1_11comp_targetILNS1_3genE4ELNS1_11target_archE910ELNS1_3gpuE8ELNS1_3repE0EEENS1_48merge_mergepath_partition_config_static_selectorELNS0_4arch9wavefront6targetE1EEEvSM_, .Lfunc_end883-_ZN7rocprim17ROCPRIM_400000_NS6detail17trampoline_kernelINS0_14default_configENS1_38merge_sort_block_merge_config_selectorIlNS0_10empty_typeEEEZZNS1_27merge_sort_block_merge_implIS3_PlPS5_mZN2at6native12_GLOBAL__N_124unique_dim_cuda_templateIfEESt5tupleIJNSA_6TensorESF_SF_EERKSF_lbbbEUlllE_EE10hipError_tT0_T1_T2_jT3_P12ihipStream_tbPNSt15iterator_traitsISL_E10value_typeEPNSR_ISM_E10value_typeEPSN_NS1_7vsmem_tEENKUlT_SL_SM_SN_E_clIS8_S8_S9_S9_EESK_S10_SL_SM_SN_EUlS10_E_NS1_11comp_targetILNS1_3genE4ELNS1_11target_archE910ELNS1_3gpuE8ELNS1_3repE0EEENS1_48merge_mergepath_partition_config_static_selectorELNS0_4arch9wavefront6targetE1EEEvSM_
                                        ; -- End function
	.section	.AMDGPU.csdata,"",@progbits
; Kernel info:
; codeLenInByte = 824
; NumSgprs: 40
; NumVgprs: 23
; NumAgprs: 0
; TotalNumVgprs: 23
; ScratchSize: 0
; MemoryBound: 0
; FloatMode: 240
; IeeeMode: 1
; LDSByteSize: 0 bytes/workgroup (compile time only)
; SGPRBlocks: 4
; VGPRBlocks: 2
; NumSGPRsForWavesPerEU: 40
; NumVGPRsForWavesPerEU: 23
; AccumOffset: 24
; Occupancy: 8
; WaveLimiterHint : 0
; COMPUTE_PGM_RSRC2:SCRATCH_EN: 0
; COMPUTE_PGM_RSRC2:USER_SGPR: 6
; COMPUTE_PGM_RSRC2:TRAP_HANDLER: 0
; COMPUTE_PGM_RSRC2:TGID_X_EN: 1
; COMPUTE_PGM_RSRC2:TGID_Y_EN: 0
; COMPUTE_PGM_RSRC2:TGID_Z_EN: 0
; COMPUTE_PGM_RSRC2:TIDIG_COMP_CNT: 0
; COMPUTE_PGM_RSRC3_GFX90A:ACCUM_OFFSET: 5
; COMPUTE_PGM_RSRC3_GFX90A:TG_SPLIT: 0
	.section	.text._ZN7rocprim17ROCPRIM_400000_NS6detail17trampoline_kernelINS0_14default_configENS1_38merge_sort_block_merge_config_selectorIlNS0_10empty_typeEEEZZNS1_27merge_sort_block_merge_implIS3_PlPS5_mZN2at6native12_GLOBAL__N_124unique_dim_cuda_templateIfEESt5tupleIJNSA_6TensorESF_SF_EERKSF_lbbbEUlllE_EE10hipError_tT0_T1_T2_jT3_P12ihipStream_tbPNSt15iterator_traitsISL_E10value_typeEPNSR_ISM_E10value_typeEPSN_NS1_7vsmem_tEENKUlT_SL_SM_SN_E_clIS8_S8_S9_S9_EESK_S10_SL_SM_SN_EUlS10_E_NS1_11comp_targetILNS1_3genE3ELNS1_11target_archE908ELNS1_3gpuE7ELNS1_3repE0EEENS1_48merge_mergepath_partition_config_static_selectorELNS0_4arch9wavefront6targetE1EEEvSM_,"axG",@progbits,_ZN7rocprim17ROCPRIM_400000_NS6detail17trampoline_kernelINS0_14default_configENS1_38merge_sort_block_merge_config_selectorIlNS0_10empty_typeEEEZZNS1_27merge_sort_block_merge_implIS3_PlPS5_mZN2at6native12_GLOBAL__N_124unique_dim_cuda_templateIfEESt5tupleIJNSA_6TensorESF_SF_EERKSF_lbbbEUlllE_EE10hipError_tT0_T1_T2_jT3_P12ihipStream_tbPNSt15iterator_traitsISL_E10value_typeEPNSR_ISM_E10value_typeEPSN_NS1_7vsmem_tEENKUlT_SL_SM_SN_E_clIS8_S8_S9_S9_EESK_S10_SL_SM_SN_EUlS10_E_NS1_11comp_targetILNS1_3genE3ELNS1_11target_archE908ELNS1_3gpuE7ELNS1_3repE0EEENS1_48merge_mergepath_partition_config_static_selectorELNS0_4arch9wavefront6targetE1EEEvSM_,comdat
	.globl	_ZN7rocprim17ROCPRIM_400000_NS6detail17trampoline_kernelINS0_14default_configENS1_38merge_sort_block_merge_config_selectorIlNS0_10empty_typeEEEZZNS1_27merge_sort_block_merge_implIS3_PlPS5_mZN2at6native12_GLOBAL__N_124unique_dim_cuda_templateIfEESt5tupleIJNSA_6TensorESF_SF_EERKSF_lbbbEUlllE_EE10hipError_tT0_T1_T2_jT3_P12ihipStream_tbPNSt15iterator_traitsISL_E10value_typeEPNSR_ISM_E10value_typeEPSN_NS1_7vsmem_tEENKUlT_SL_SM_SN_E_clIS8_S8_S9_S9_EESK_S10_SL_SM_SN_EUlS10_E_NS1_11comp_targetILNS1_3genE3ELNS1_11target_archE908ELNS1_3gpuE7ELNS1_3repE0EEENS1_48merge_mergepath_partition_config_static_selectorELNS0_4arch9wavefront6targetE1EEEvSM_ ; -- Begin function _ZN7rocprim17ROCPRIM_400000_NS6detail17trampoline_kernelINS0_14default_configENS1_38merge_sort_block_merge_config_selectorIlNS0_10empty_typeEEEZZNS1_27merge_sort_block_merge_implIS3_PlPS5_mZN2at6native12_GLOBAL__N_124unique_dim_cuda_templateIfEESt5tupleIJNSA_6TensorESF_SF_EERKSF_lbbbEUlllE_EE10hipError_tT0_T1_T2_jT3_P12ihipStream_tbPNSt15iterator_traitsISL_E10value_typeEPNSR_ISM_E10value_typeEPSN_NS1_7vsmem_tEENKUlT_SL_SM_SN_E_clIS8_S8_S9_S9_EESK_S10_SL_SM_SN_EUlS10_E_NS1_11comp_targetILNS1_3genE3ELNS1_11target_archE908ELNS1_3gpuE7ELNS1_3repE0EEENS1_48merge_mergepath_partition_config_static_selectorELNS0_4arch9wavefront6targetE1EEEvSM_
	.p2align	8
	.type	_ZN7rocprim17ROCPRIM_400000_NS6detail17trampoline_kernelINS0_14default_configENS1_38merge_sort_block_merge_config_selectorIlNS0_10empty_typeEEEZZNS1_27merge_sort_block_merge_implIS3_PlPS5_mZN2at6native12_GLOBAL__N_124unique_dim_cuda_templateIfEESt5tupleIJNSA_6TensorESF_SF_EERKSF_lbbbEUlllE_EE10hipError_tT0_T1_T2_jT3_P12ihipStream_tbPNSt15iterator_traitsISL_E10value_typeEPNSR_ISM_E10value_typeEPSN_NS1_7vsmem_tEENKUlT_SL_SM_SN_E_clIS8_S8_S9_S9_EESK_S10_SL_SM_SN_EUlS10_E_NS1_11comp_targetILNS1_3genE3ELNS1_11target_archE908ELNS1_3gpuE7ELNS1_3repE0EEENS1_48merge_mergepath_partition_config_static_selectorELNS0_4arch9wavefront6targetE1EEEvSM_,@function
_ZN7rocprim17ROCPRIM_400000_NS6detail17trampoline_kernelINS0_14default_configENS1_38merge_sort_block_merge_config_selectorIlNS0_10empty_typeEEEZZNS1_27merge_sort_block_merge_implIS3_PlPS5_mZN2at6native12_GLOBAL__N_124unique_dim_cuda_templateIfEESt5tupleIJNSA_6TensorESF_SF_EERKSF_lbbbEUlllE_EE10hipError_tT0_T1_T2_jT3_P12ihipStream_tbPNSt15iterator_traitsISL_E10value_typeEPNSR_ISM_E10value_typeEPSN_NS1_7vsmem_tEENKUlT_SL_SM_SN_E_clIS8_S8_S9_S9_EESK_S10_SL_SM_SN_EUlS10_E_NS1_11comp_targetILNS1_3genE3ELNS1_11target_archE908ELNS1_3gpuE7ELNS1_3repE0EEENS1_48merge_mergepath_partition_config_static_selectorELNS0_4arch9wavefront6targetE1EEEvSM_: ; @_ZN7rocprim17ROCPRIM_400000_NS6detail17trampoline_kernelINS0_14default_configENS1_38merge_sort_block_merge_config_selectorIlNS0_10empty_typeEEEZZNS1_27merge_sort_block_merge_implIS3_PlPS5_mZN2at6native12_GLOBAL__N_124unique_dim_cuda_templateIfEESt5tupleIJNSA_6TensorESF_SF_EERKSF_lbbbEUlllE_EE10hipError_tT0_T1_T2_jT3_P12ihipStream_tbPNSt15iterator_traitsISL_E10value_typeEPNSR_ISM_E10value_typeEPSN_NS1_7vsmem_tEENKUlT_SL_SM_SN_E_clIS8_S8_S9_S9_EESK_S10_SL_SM_SN_EUlS10_E_NS1_11comp_targetILNS1_3genE3ELNS1_11target_archE908ELNS1_3gpuE7ELNS1_3repE0EEENS1_48merge_mergepath_partition_config_static_selectorELNS0_4arch9wavefront6targetE1EEEvSM_
; %bb.0:
	.section	.rodata,"a",@progbits
	.p2align	6, 0x0
	.amdhsa_kernel _ZN7rocprim17ROCPRIM_400000_NS6detail17trampoline_kernelINS0_14default_configENS1_38merge_sort_block_merge_config_selectorIlNS0_10empty_typeEEEZZNS1_27merge_sort_block_merge_implIS3_PlPS5_mZN2at6native12_GLOBAL__N_124unique_dim_cuda_templateIfEESt5tupleIJNSA_6TensorESF_SF_EERKSF_lbbbEUlllE_EE10hipError_tT0_T1_T2_jT3_P12ihipStream_tbPNSt15iterator_traitsISL_E10value_typeEPNSR_ISM_E10value_typeEPSN_NS1_7vsmem_tEENKUlT_SL_SM_SN_E_clIS8_S8_S9_S9_EESK_S10_SL_SM_SN_EUlS10_E_NS1_11comp_targetILNS1_3genE3ELNS1_11target_archE908ELNS1_3gpuE7ELNS1_3repE0EEENS1_48merge_mergepath_partition_config_static_selectorELNS0_4arch9wavefront6targetE1EEEvSM_
		.amdhsa_group_segment_fixed_size 0
		.amdhsa_private_segment_fixed_size 0
		.amdhsa_kernarg_size 56
		.amdhsa_user_sgpr_count 6
		.amdhsa_user_sgpr_private_segment_buffer 1
		.amdhsa_user_sgpr_dispatch_ptr 0
		.amdhsa_user_sgpr_queue_ptr 0
		.amdhsa_user_sgpr_kernarg_segment_ptr 1
		.amdhsa_user_sgpr_dispatch_id 0
		.amdhsa_user_sgpr_flat_scratch_init 0
		.amdhsa_user_sgpr_kernarg_preload_length 0
		.amdhsa_user_sgpr_kernarg_preload_offset 0
		.amdhsa_user_sgpr_private_segment_size 0
		.amdhsa_uses_dynamic_stack 0
		.amdhsa_system_sgpr_private_segment_wavefront_offset 0
		.amdhsa_system_sgpr_workgroup_id_x 1
		.amdhsa_system_sgpr_workgroup_id_y 0
		.amdhsa_system_sgpr_workgroup_id_z 0
		.amdhsa_system_sgpr_workgroup_info 0
		.amdhsa_system_vgpr_workitem_id 0
		.amdhsa_next_free_vgpr 1
		.amdhsa_next_free_sgpr 0
		.amdhsa_accum_offset 4
		.amdhsa_reserve_vcc 0
		.amdhsa_reserve_flat_scratch 0
		.amdhsa_float_round_mode_32 0
		.amdhsa_float_round_mode_16_64 0
		.amdhsa_float_denorm_mode_32 3
		.amdhsa_float_denorm_mode_16_64 3
		.amdhsa_dx10_clamp 1
		.amdhsa_ieee_mode 1
		.amdhsa_fp16_overflow 0
		.amdhsa_tg_split 0
		.amdhsa_exception_fp_ieee_invalid_op 0
		.amdhsa_exception_fp_denorm_src 0
		.amdhsa_exception_fp_ieee_div_zero 0
		.amdhsa_exception_fp_ieee_overflow 0
		.amdhsa_exception_fp_ieee_underflow 0
		.amdhsa_exception_fp_ieee_inexact 0
		.amdhsa_exception_int_div_zero 0
	.end_amdhsa_kernel
	.section	.text._ZN7rocprim17ROCPRIM_400000_NS6detail17trampoline_kernelINS0_14default_configENS1_38merge_sort_block_merge_config_selectorIlNS0_10empty_typeEEEZZNS1_27merge_sort_block_merge_implIS3_PlPS5_mZN2at6native12_GLOBAL__N_124unique_dim_cuda_templateIfEESt5tupleIJNSA_6TensorESF_SF_EERKSF_lbbbEUlllE_EE10hipError_tT0_T1_T2_jT3_P12ihipStream_tbPNSt15iterator_traitsISL_E10value_typeEPNSR_ISM_E10value_typeEPSN_NS1_7vsmem_tEENKUlT_SL_SM_SN_E_clIS8_S8_S9_S9_EESK_S10_SL_SM_SN_EUlS10_E_NS1_11comp_targetILNS1_3genE3ELNS1_11target_archE908ELNS1_3gpuE7ELNS1_3repE0EEENS1_48merge_mergepath_partition_config_static_selectorELNS0_4arch9wavefront6targetE1EEEvSM_,"axG",@progbits,_ZN7rocprim17ROCPRIM_400000_NS6detail17trampoline_kernelINS0_14default_configENS1_38merge_sort_block_merge_config_selectorIlNS0_10empty_typeEEEZZNS1_27merge_sort_block_merge_implIS3_PlPS5_mZN2at6native12_GLOBAL__N_124unique_dim_cuda_templateIfEESt5tupleIJNSA_6TensorESF_SF_EERKSF_lbbbEUlllE_EE10hipError_tT0_T1_T2_jT3_P12ihipStream_tbPNSt15iterator_traitsISL_E10value_typeEPNSR_ISM_E10value_typeEPSN_NS1_7vsmem_tEENKUlT_SL_SM_SN_E_clIS8_S8_S9_S9_EESK_S10_SL_SM_SN_EUlS10_E_NS1_11comp_targetILNS1_3genE3ELNS1_11target_archE908ELNS1_3gpuE7ELNS1_3repE0EEENS1_48merge_mergepath_partition_config_static_selectorELNS0_4arch9wavefront6targetE1EEEvSM_,comdat
.Lfunc_end884:
	.size	_ZN7rocprim17ROCPRIM_400000_NS6detail17trampoline_kernelINS0_14default_configENS1_38merge_sort_block_merge_config_selectorIlNS0_10empty_typeEEEZZNS1_27merge_sort_block_merge_implIS3_PlPS5_mZN2at6native12_GLOBAL__N_124unique_dim_cuda_templateIfEESt5tupleIJNSA_6TensorESF_SF_EERKSF_lbbbEUlllE_EE10hipError_tT0_T1_T2_jT3_P12ihipStream_tbPNSt15iterator_traitsISL_E10value_typeEPNSR_ISM_E10value_typeEPSN_NS1_7vsmem_tEENKUlT_SL_SM_SN_E_clIS8_S8_S9_S9_EESK_S10_SL_SM_SN_EUlS10_E_NS1_11comp_targetILNS1_3genE3ELNS1_11target_archE908ELNS1_3gpuE7ELNS1_3repE0EEENS1_48merge_mergepath_partition_config_static_selectorELNS0_4arch9wavefront6targetE1EEEvSM_, .Lfunc_end884-_ZN7rocprim17ROCPRIM_400000_NS6detail17trampoline_kernelINS0_14default_configENS1_38merge_sort_block_merge_config_selectorIlNS0_10empty_typeEEEZZNS1_27merge_sort_block_merge_implIS3_PlPS5_mZN2at6native12_GLOBAL__N_124unique_dim_cuda_templateIfEESt5tupleIJNSA_6TensorESF_SF_EERKSF_lbbbEUlllE_EE10hipError_tT0_T1_T2_jT3_P12ihipStream_tbPNSt15iterator_traitsISL_E10value_typeEPNSR_ISM_E10value_typeEPSN_NS1_7vsmem_tEENKUlT_SL_SM_SN_E_clIS8_S8_S9_S9_EESK_S10_SL_SM_SN_EUlS10_E_NS1_11comp_targetILNS1_3genE3ELNS1_11target_archE908ELNS1_3gpuE7ELNS1_3repE0EEENS1_48merge_mergepath_partition_config_static_selectorELNS0_4arch9wavefront6targetE1EEEvSM_
                                        ; -- End function
	.section	.AMDGPU.csdata,"",@progbits
; Kernel info:
; codeLenInByte = 0
; NumSgprs: 4
; NumVgprs: 0
; NumAgprs: 0
; TotalNumVgprs: 0
; ScratchSize: 0
; MemoryBound: 0
; FloatMode: 240
; IeeeMode: 1
; LDSByteSize: 0 bytes/workgroup (compile time only)
; SGPRBlocks: 0
; VGPRBlocks: 0
; NumSGPRsForWavesPerEU: 4
; NumVGPRsForWavesPerEU: 1
; AccumOffset: 4
; Occupancy: 8
; WaveLimiterHint : 0
; COMPUTE_PGM_RSRC2:SCRATCH_EN: 0
; COMPUTE_PGM_RSRC2:USER_SGPR: 6
; COMPUTE_PGM_RSRC2:TRAP_HANDLER: 0
; COMPUTE_PGM_RSRC2:TGID_X_EN: 1
; COMPUTE_PGM_RSRC2:TGID_Y_EN: 0
; COMPUTE_PGM_RSRC2:TGID_Z_EN: 0
; COMPUTE_PGM_RSRC2:TIDIG_COMP_CNT: 0
; COMPUTE_PGM_RSRC3_GFX90A:ACCUM_OFFSET: 0
; COMPUTE_PGM_RSRC3_GFX90A:TG_SPLIT: 0
	.section	.text._ZN7rocprim17ROCPRIM_400000_NS6detail17trampoline_kernelINS0_14default_configENS1_38merge_sort_block_merge_config_selectorIlNS0_10empty_typeEEEZZNS1_27merge_sort_block_merge_implIS3_PlPS5_mZN2at6native12_GLOBAL__N_124unique_dim_cuda_templateIfEESt5tupleIJNSA_6TensorESF_SF_EERKSF_lbbbEUlllE_EE10hipError_tT0_T1_T2_jT3_P12ihipStream_tbPNSt15iterator_traitsISL_E10value_typeEPNSR_ISM_E10value_typeEPSN_NS1_7vsmem_tEENKUlT_SL_SM_SN_E_clIS8_S8_S9_S9_EESK_S10_SL_SM_SN_EUlS10_E_NS1_11comp_targetILNS1_3genE2ELNS1_11target_archE906ELNS1_3gpuE6ELNS1_3repE0EEENS1_48merge_mergepath_partition_config_static_selectorELNS0_4arch9wavefront6targetE1EEEvSM_,"axG",@progbits,_ZN7rocprim17ROCPRIM_400000_NS6detail17trampoline_kernelINS0_14default_configENS1_38merge_sort_block_merge_config_selectorIlNS0_10empty_typeEEEZZNS1_27merge_sort_block_merge_implIS3_PlPS5_mZN2at6native12_GLOBAL__N_124unique_dim_cuda_templateIfEESt5tupleIJNSA_6TensorESF_SF_EERKSF_lbbbEUlllE_EE10hipError_tT0_T1_T2_jT3_P12ihipStream_tbPNSt15iterator_traitsISL_E10value_typeEPNSR_ISM_E10value_typeEPSN_NS1_7vsmem_tEENKUlT_SL_SM_SN_E_clIS8_S8_S9_S9_EESK_S10_SL_SM_SN_EUlS10_E_NS1_11comp_targetILNS1_3genE2ELNS1_11target_archE906ELNS1_3gpuE6ELNS1_3repE0EEENS1_48merge_mergepath_partition_config_static_selectorELNS0_4arch9wavefront6targetE1EEEvSM_,comdat
	.globl	_ZN7rocprim17ROCPRIM_400000_NS6detail17trampoline_kernelINS0_14default_configENS1_38merge_sort_block_merge_config_selectorIlNS0_10empty_typeEEEZZNS1_27merge_sort_block_merge_implIS3_PlPS5_mZN2at6native12_GLOBAL__N_124unique_dim_cuda_templateIfEESt5tupleIJNSA_6TensorESF_SF_EERKSF_lbbbEUlllE_EE10hipError_tT0_T1_T2_jT3_P12ihipStream_tbPNSt15iterator_traitsISL_E10value_typeEPNSR_ISM_E10value_typeEPSN_NS1_7vsmem_tEENKUlT_SL_SM_SN_E_clIS8_S8_S9_S9_EESK_S10_SL_SM_SN_EUlS10_E_NS1_11comp_targetILNS1_3genE2ELNS1_11target_archE906ELNS1_3gpuE6ELNS1_3repE0EEENS1_48merge_mergepath_partition_config_static_selectorELNS0_4arch9wavefront6targetE1EEEvSM_ ; -- Begin function _ZN7rocprim17ROCPRIM_400000_NS6detail17trampoline_kernelINS0_14default_configENS1_38merge_sort_block_merge_config_selectorIlNS0_10empty_typeEEEZZNS1_27merge_sort_block_merge_implIS3_PlPS5_mZN2at6native12_GLOBAL__N_124unique_dim_cuda_templateIfEESt5tupleIJNSA_6TensorESF_SF_EERKSF_lbbbEUlllE_EE10hipError_tT0_T1_T2_jT3_P12ihipStream_tbPNSt15iterator_traitsISL_E10value_typeEPNSR_ISM_E10value_typeEPSN_NS1_7vsmem_tEENKUlT_SL_SM_SN_E_clIS8_S8_S9_S9_EESK_S10_SL_SM_SN_EUlS10_E_NS1_11comp_targetILNS1_3genE2ELNS1_11target_archE906ELNS1_3gpuE6ELNS1_3repE0EEENS1_48merge_mergepath_partition_config_static_selectorELNS0_4arch9wavefront6targetE1EEEvSM_
	.p2align	8
	.type	_ZN7rocprim17ROCPRIM_400000_NS6detail17trampoline_kernelINS0_14default_configENS1_38merge_sort_block_merge_config_selectorIlNS0_10empty_typeEEEZZNS1_27merge_sort_block_merge_implIS3_PlPS5_mZN2at6native12_GLOBAL__N_124unique_dim_cuda_templateIfEESt5tupleIJNSA_6TensorESF_SF_EERKSF_lbbbEUlllE_EE10hipError_tT0_T1_T2_jT3_P12ihipStream_tbPNSt15iterator_traitsISL_E10value_typeEPNSR_ISM_E10value_typeEPSN_NS1_7vsmem_tEENKUlT_SL_SM_SN_E_clIS8_S8_S9_S9_EESK_S10_SL_SM_SN_EUlS10_E_NS1_11comp_targetILNS1_3genE2ELNS1_11target_archE906ELNS1_3gpuE6ELNS1_3repE0EEENS1_48merge_mergepath_partition_config_static_selectorELNS0_4arch9wavefront6targetE1EEEvSM_,@function
_ZN7rocprim17ROCPRIM_400000_NS6detail17trampoline_kernelINS0_14default_configENS1_38merge_sort_block_merge_config_selectorIlNS0_10empty_typeEEEZZNS1_27merge_sort_block_merge_implIS3_PlPS5_mZN2at6native12_GLOBAL__N_124unique_dim_cuda_templateIfEESt5tupleIJNSA_6TensorESF_SF_EERKSF_lbbbEUlllE_EE10hipError_tT0_T1_T2_jT3_P12ihipStream_tbPNSt15iterator_traitsISL_E10value_typeEPNSR_ISM_E10value_typeEPSN_NS1_7vsmem_tEENKUlT_SL_SM_SN_E_clIS8_S8_S9_S9_EESK_S10_SL_SM_SN_EUlS10_E_NS1_11comp_targetILNS1_3genE2ELNS1_11target_archE906ELNS1_3gpuE6ELNS1_3repE0EEENS1_48merge_mergepath_partition_config_static_selectorELNS0_4arch9wavefront6targetE1EEEvSM_: ; @_ZN7rocprim17ROCPRIM_400000_NS6detail17trampoline_kernelINS0_14default_configENS1_38merge_sort_block_merge_config_selectorIlNS0_10empty_typeEEEZZNS1_27merge_sort_block_merge_implIS3_PlPS5_mZN2at6native12_GLOBAL__N_124unique_dim_cuda_templateIfEESt5tupleIJNSA_6TensorESF_SF_EERKSF_lbbbEUlllE_EE10hipError_tT0_T1_T2_jT3_P12ihipStream_tbPNSt15iterator_traitsISL_E10value_typeEPNSR_ISM_E10value_typeEPSN_NS1_7vsmem_tEENKUlT_SL_SM_SN_E_clIS8_S8_S9_S9_EESK_S10_SL_SM_SN_EUlS10_E_NS1_11comp_targetILNS1_3genE2ELNS1_11target_archE906ELNS1_3gpuE6ELNS1_3repE0EEENS1_48merge_mergepath_partition_config_static_selectorELNS0_4arch9wavefront6targetE1EEEvSM_
; %bb.0:
	.section	.rodata,"a",@progbits
	.p2align	6, 0x0
	.amdhsa_kernel _ZN7rocprim17ROCPRIM_400000_NS6detail17trampoline_kernelINS0_14default_configENS1_38merge_sort_block_merge_config_selectorIlNS0_10empty_typeEEEZZNS1_27merge_sort_block_merge_implIS3_PlPS5_mZN2at6native12_GLOBAL__N_124unique_dim_cuda_templateIfEESt5tupleIJNSA_6TensorESF_SF_EERKSF_lbbbEUlllE_EE10hipError_tT0_T1_T2_jT3_P12ihipStream_tbPNSt15iterator_traitsISL_E10value_typeEPNSR_ISM_E10value_typeEPSN_NS1_7vsmem_tEENKUlT_SL_SM_SN_E_clIS8_S8_S9_S9_EESK_S10_SL_SM_SN_EUlS10_E_NS1_11comp_targetILNS1_3genE2ELNS1_11target_archE906ELNS1_3gpuE6ELNS1_3repE0EEENS1_48merge_mergepath_partition_config_static_selectorELNS0_4arch9wavefront6targetE1EEEvSM_
		.amdhsa_group_segment_fixed_size 0
		.amdhsa_private_segment_fixed_size 0
		.amdhsa_kernarg_size 56
		.amdhsa_user_sgpr_count 6
		.amdhsa_user_sgpr_private_segment_buffer 1
		.amdhsa_user_sgpr_dispatch_ptr 0
		.amdhsa_user_sgpr_queue_ptr 0
		.amdhsa_user_sgpr_kernarg_segment_ptr 1
		.amdhsa_user_sgpr_dispatch_id 0
		.amdhsa_user_sgpr_flat_scratch_init 0
		.amdhsa_user_sgpr_kernarg_preload_length 0
		.amdhsa_user_sgpr_kernarg_preload_offset 0
		.amdhsa_user_sgpr_private_segment_size 0
		.amdhsa_uses_dynamic_stack 0
		.amdhsa_system_sgpr_private_segment_wavefront_offset 0
		.amdhsa_system_sgpr_workgroup_id_x 1
		.amdhsa_system_sgpr_workgroup_id_y 0
		.amdhsa_system_sgpr_workgroup_id_z 0
		.amdhsa_system_sgpr_workgroup_info 0
		.amdhsa_system_vgpr_workitem_id 0
		.amdhsa_next_free_vgpr 1
		.amdhsa_next_free_sgpr 0
		.amdhsa_accum_offset 4
		.amdhsa_reserve_vcc 0
		.amdhsa_reserve_flat_scratch 0
		.amdhsa_float_round_mode_32 0
		.amdhsa_float_round_mode_16_64 0
		.amdhsa_float_denorm_mode_32 3
		.amdhsa_float_denorm_mode_16_64 3
		.amdhsa_dx10_clamp 1
		.amdhsa_ieee_mode 1
		.amdhsa_fp16_overflow 0
		.amdhsa_tg_split 0
		.amdhsa_exception_fp_ieee_invalid_op 0
		.amdhsa_exception_fp_denorm_src 0
		.amdhsa_exception_fp_ieee_div_zero 0
		.amdhsa_exception_fp_ieee_overflow 0
		.amdhsa_exception_fp_ieee_underflow 0
		.amdhsa_exception_fp_ieee_inexact 0
		.amdhsa_exception_int_div_zero 0
	.end_amdhsa_kernel
	.section	.text._ZN7rocprim17ROCPRIM_400000_NS6detail17trampoline_kernelINS0_14default_configENS1_38merge_sort_block_merge_config_selectorIlNS0_10empty_typeEEEZZNS1_27merge_sort_block_merge_implIS3_PlPS5_mZN2at6native12_GLOBAL__N_124unique_dim_cuda_templateIfEESt5tupleIJNSA_6TensorESF_SF_EERKSF_lbbbEUlllE_EE10hipError_tT0_T1_T2_jT3_P12ihipStream_tbPNSt15iterator_traitsISL_E10value_typeEPNSR_ISM_E10value_typeEPSN_NS1_7vsmem_tEENKUlT_SL_SM_SN_E_clIS8_S8_S9_S9_EESK_S10_SL_SM_SN_EUlS10_E_NS1_11comp_targetILNS1_3genE2ELNS1_11target_archE906ELNS1_3gpuE6ELNS1_3repE0EEENS1_48merge_mergepath_partition_config_static_selectorELNS0_4arch9wavefront6targetE1EEEvSM_,"axG",@progbits,_ZN7rocprim17ROCPRIM_400000_NS6detail17trampoline_kernelINS0_14default_configENS1_38merge_sort_block_merge_config_selectorIlNS0_10empty_typeEEEZZNS1_27merge_sort_block_merge_implIS3_PlPS5_mZN2at6native12_GLOBAL__N_124unique_dim_cuda_templateIfEESt5tupleIJNSA_6TensorESF_SF_EERKSF_lbbbEUlllE_EE10hipError_tT0_T1_T2_jT3_P12ihipStream_tbPNSt15iterator_traitsISL_E10value_typeEPNSR_ISM_E10value_typeEPSN_NS1_7vsmem_tEENKUlT_SL_SM_SN_E_clIS8_S8_S9_S9_EESK_S10_SL_SM_SN_EUlS10_E_NS1_11comp_targetILNS1_3genE2ELNS1_11target_archE906ELNS1_3gpuE6ELNS1_3repE0EEENS1_48merge_mergepath_partition_config_static_selectorELNS0_4arch9wavefront6targetE1EEEvSM_,comdat
.Lfunc_end885:
	.size	_ZN7rocprim17ROCPRIM_400000_NS6detail17trampoline_kernelINS0_14default_configENS1_38merge_sort_block_merge_config_selectorIlNS0_10empty_typeEEEZZNS1_27merge_sort_block_merge_implIS3_PlPS5_mZN2at6native12_GLOBAL__N_124unique_dim_cuda_templateIfEESt5tupleIJNSA_6TensorESF_SF_EERKSF_lbbbEUlllE_EE10hipError_tT0_T1_T2_jT3_P12ihipStream_tbPNSt15iterator_traitsISL_E10value_typeEPNSR_ISM_E10value_typeEPSN_NS1_7vsmem_tEENKUlT_SL_SM_SN_E_clIS8_S8_S9_S9_EESK_S10_SL_SM_SN_EUlS10_E_NS1_11comp_targetILNS1_3genE2ELNS1_11target_archE906ELNS1_3gpuE6ELNS1_3repE0EEENS1_48merge_mergepath_partition_config_static_selectorELNS0_4arch9wavefront6targetE1EEEvSM_, .Lfunc_end885-_ZN7rocprim17ROCPRIM_400000_NS6detail17trampoline_kernelINS0_14default_configENS1_38merge_sort_block_merge_config_selectorIlNS0_10empty_typeEEEZZNS1_27merge_sort_block_merge_implIS3_PlPS5_mZN2at6native12_GLOBAL__N_124unique_dim_cuda_templateIfEESt5tupleIJNSA_6TensorESF_SF_EERKSF_lbbbEUlllE_EE10hipError_tT0_T1_T2_jT3_P12ihipStream_tbPNSt15iterator_traitsISL_E10value_typeEPNSR_ISM_E10value_typeEPSN_NS1_7vsmem_tEENKUlT_SL_SM_SN_E_clIS8_S8_S9_S9_EESK_S10_SL_SM_SN_EUlS10_E_NS1_11comp_targetILNS1_3genE2ELNS1_11target_archE906ELNS1_3gpuE6ELNS1_3repE0EEENS1_48merge_mergepath_partition_config_static_selectorELNS0_4arch9wavefront6targetE1EEEvSM_
                                        ; -- End function
	.section	.AMDGPU.csdata,"",@progbits
; Kernel info:
; codeLenInByte = 0
; NumSgprs: 4
; NumVgprs: 0
; NumAgprs: 0
; TotalNumVgprs: 0
; ScratchSize: 0
; MemoryBound: 0
; FloatMode: 240
; IeeeMode: 1
; LDSByteSize: 0 bytes/workgroup (compile time only)
; SGPRBlocks: 0
; VGPRBlocks: 0
; NumSGPRsForWavesPerEU: 4
; NumVGPRsForWavesPerEU: 1
; AccumOffset: 4
; Occupancy: 8
; WaveLimiterHint : 0
; COMPUTE_PGM_RSRC2:SCRATCH_EN: 0
; COMPUTE_PGM_RSRC2:USER_SGPR: 6
; COMPUTE_PGM_RSRC2:TRAP_HANDLER: 0
; COMPUTE_PGM_RSRC2:TGID_X_EN: 1
; COMPUTE_PGM_RSRC2:TGID_Y_EN: 0
; COMPUTE_PGM_RSRC2:TGID_Z_EN: 0
; COMPUTE_PGM_RSRC2:TIDIG_COMP_CNT: 0
; COMPUTE_PGM_RSRC3_GFX90A:ACCUM_OFFSET: 0
; COMPUTE_PGM_RSRC3_GFX90A:TG_SPLIT: 0
	.section	.text._ZN7rocprim17ROCPRIM_400000_NS6detail17trampoline_kernelINS0_14default_configENS1_38merge_sort_block_merge_config_selectorIlNS0_10empty_typeEEEZZNS1_27merge_sort_block_merge_implIS3_PlPS5_mZN2at6native12_GLOBAL__N_124unique_dim_cuda_templateIfEESt5tupleIJNSA_6TensorESF_SF_EERKSF_lbbbEUlllE_EE10hipError_tT0_T1_T2_jT3_P12ihipStream_tbPNSt15iterator_traitsISL_E10value_typeEPNSR_ISM_E10value_typeEPSN_NS1_7vsmem_tEENKUlT_SL_SM_SN_E_clIS8_S8_S9_S9_EESK_S10_SL_SM_SN_EUlS10_E_NS1_11comp_targetILNS1_3genE9ELNS1_11target_archE1100ELNS1_3gpuE3ELNS1_3repE0EEENS1_48merge_mergepath_partition_config_static_selectorELNS0_4arch9wavefront6targetE1EEEvSM_,"axG",@progbits,_ZN7rocprim17ROCPRIM_400000_NS6detail17trampoline_kernelINS0_14default_configENS1_38merge_sort_block_merge_config_selectorIlNS0_10empty_typeEEEZZNS1_27merge_sort_block_merge_implIS3_PlPS5_mZN2at6native12_GLOBAL__N_124unique_dim_cuda_templateIfEESt5tupleIJNSA_6TensorESF_SF_EERKSF_lbbbEUlllE_EE10hipError_tT0_T1_T2_jT3_P12ihipStream_tbPNSt15iterator_traitsISL_E10value_typeEPNSR_ISM_E10value_typeEPSN_NS1_7vsmem_tEENKUlT_SL_SM_SN_E_clIS8_S8_S9_S9_EESK_S10_SL_SM_SN_EUlS10_E_NS1_11comp_targetILNS1_3genE9ELNS1_11target_archE1100ELNS1_3gpuE3ELNS1_3repE0EEENS1_48merge_mergepath_partition_config_static_selectorELNS0_4arch9wavefront6targetE1EEEvSM_,comdat
	.globl	_ZN7rocprim17ROCPRIM_400000_NS6detail17trampoline_kernelINS0_14default_configENS1_38merge_sort_block_merge_config_selectorIlNS0_10empty_typeEEEZZNS1_27merge_sort_block_merge_implIS3_PlPS5_mZN2at6native12_GLOBAL__N_124unique_dim_cuda_templateIfEESt5tupleIJNSA_6TensorESF_SF_EERKSF_lbbbEUlllE_EE10hipError_tT0_T1_T2_jT3_P12ihipStream_tbPNSt15iterator_traitsISL_E10value_typeEPNSR_ISM_E10value_typeEPSN_NS1_7vsmem_tEENKUlT_SL_SM_SN_E_clIS8_S8_S9_S9_EESK_S10_SL_SM_SN_EUlS10_E_NS1_11comp_targetILNS1_3genE9ELNS1_11target_archE1100ELNS1_3gpuE3ELNS1_3repE0EEENS1_48merge_mergepath_partition_config_static_selectorELNS0_4arch9wavefront6targetE1EEEvSM_ ; -- Begin function _ZN7rocprim17ROCPRIM_400000_NS6detail17trampoline_kernelINS0_14default_configENS1_38merge_sort_block_merge_config_selectorIlNS0_10empty_typeEEEZZNS1_27merge_sort_block_merge_implIS3_PlPS5_mZN2at6native12_GLOBAL__N_124unique_dim_cuda_templateIfEESt5tupleIJNSA_6TensorESF_SF_EERKSF_lbbbEUlllE_EE10hipError_tT0_T1_T2_jT3_P12ihipStream_tbPNSt15iterator_traitsISL_E10value_typeEPNSR_ISM_E10value_typeEPSN_NS1_7vsmem_tEENKUlT_SL_SM_SN_E_clIS8_S8_S9_S9_EESK_S10_SL_SM_SN_EUlS10_E_NS1_11comp_targetILNS1_3genE9ELNS1_11target_archE1100ELNS1_3gpuE3ELNS1_3repE0EEENS1_48merge_mergepath_partition_config_static_selectorELNS0_4arch9wavefront6targetE1EEEvSM_
	.p2align	8
	.type	_ZN7rocprim17ROCPRIM_400000_NS6detail17trampoline_kernelINS0_14default_configENS1_38merge_sort_block_merge_config_selectorIlNS0_10empty_typeEEEZZNS1_27merge_sort_block_merge_implIS3_PlPS5_mZN2at6native12_GLOBAL__N_124unique_dim_cuda_templateIfEESt5tupleIJNSA_6TensorESF_SF_EERKSF_lbbbEUlllE_EE10hipError_tT0_T1_T2_jT3_P12ihipStream_tbPNSt15iterator_traitsISL_E10value_typeEPNSR_ISM_E10value_typeEPSN_NS1_7vsmem_tEENKUlT_SL_SM_SN_E_clIS8_S8_S9_S9_EESK_S10_SL_SM_SN_EUlS10_E_NS1_11comp_targetILNS1_3genE9ELNS1_11target_archE1100ELNS1_3gpuE3ELNS1_3repE0EEENS1_48merge_mergepath_partition_config_static_selectorELNS0_4arch9wavefront6targetE1EEEvSM_,@function
_ZN7rocprim17ROCPRIM_400000_NS6detail17trampoline_kernelINS0_14default_configENS1_38merge_sort_block_merge_config_selectorIlNS0_10empty_typeEEEZZNS1_27merge_sort_block_merge_implIS3_PlPS5_mZN2at6native12_GLOBAL__N_124unique_dim_cuda_templateIfEESt5tupleIJNSA_6TensorESF_SF_EERKSF_lbbbEUlllE_EE10hipError_tT0_T1_T2_jT3_P12ihipStream_tbPNSt15iterator_traitsISL_E10value_typeEPNSR_ISM_E10value_typeEPSN_NS1_7vsmem_tEENKUlT_SL_SM_SN_E_clIS8_S8_S9_S9_EESK_S10_SL_SM_SN_EUlS10_E_NS1_11comp_targetILNS1_3genE9ELNS1_11target_archE1100ELNS1_3gpuE3ELNS1_3repE0EEENS1_48merge_mergepath_partition_config_static_selectorELNS0_4arch9wavefront6targetE1EEEvSM_: ; @_ZN7rocprim17ROCPRIM_400000_NS6detail17trampoline_kernelINS0_14default_configENS1_38merge_sort_block_merge_config_selectorIlNS0_10empty_typeEEEZZNS1_27merge_sort_block_merge_implIS3_PlPS5_mZN2at6native12_GLOBAL__N_124unique_dim_cuda_templateIfEESt5tupleIJNSA_6TensorESF_SF_EERKSF_lbbbEUlllE_EE10hipError_tT0_T1_T2_jT3_P12ihipStream_tbPNSt15iterator_traitsISL_E10value_typeEPNSR_ISM_E10value_typeEPSN_NS1_7vsmem_tEENKUlT_SL_SM_SN_E_clIS8_S8_S9_S9_EESK_S10_SL_SM_SN_EUlS10_E_NS1_11comp_targetILNS1_3genE9ELNS1_11target_archE1100ELNS1_3gpuE3ELNS1_3repE0EEENS1_48merge_mergepath_partition_config_static_selectorELNS0_4arch9wavefront6targetE1EEEvSM_
; %bb.0:
	.section	.rodata,"a",@progbits
	.p2align	6, 0x0
	.amdhsa_kernel _ZN7rocprim17ROCPRIM_400000_NS6detail17trampoline_kernelINS0_14default_configENS1_38merge_sort_block_merge_config_selectorIlNS0_10empty_typeEEEZZNS1_27merge_sort_block_merge_implIS3_PlPS5_mZN2at6native12_GLOBAL__N_124unique_dim_cuda_templateIfEESt5tupleIJNSA_6TensorESF_SF_EERKSF_lbbbEUlllE_EE10hipError_tT0_T1_T2_jT3_P12ihipStream_tbPNSt15iterator_traitsISL_E10value_typeEPNSR_ISM_E10value_typeEPSN_NS1_7vsmem_tEENKUlT_SL_SM_SN_E_clIS8_S8_S9_S9_EESK_S10_SL_SM_SN_EUlS10_E_NS1_11comp_targetILNS1_3genE9ELNS1_11target_archE1100ELNS1_3gpuE3ELNS1_3repE0EEENS1_48merge_mergepath_partition_config_static_selectorELNS0_4arch9wavefront6targetE1EEEvSM_
		.amdhsa_group_segment_fixed_size 0
		.amdhsa_private_segment_fixed_size 0
		.amdhsa_kernarg_size 56
		.amdhsa_user_sgpr_count 6
		.amdhsa_user_sgpr_private_segment_buffer 1
		.amdhsa_user_sgpr_dispatch_ptr 0
		.amdhsa_user_sgpr_queue_ptr 0
		.amdhsa_user_sgpr_kernarg_segment_ptr 1
		.amdhsa_user_sgpr_dispatch_id 0
		.amdhsa_user_sgpr_flat_scratch_init 0
		.amdhsa_user_sgpr_kernarg_preload_length 0
		.amdhsa_user_sgpr_kernarg_preload_offset 0
		.amdhsa_user_sgpr_private_segment_size 0
		.amdhsa_uses_dynamic_stack 0
		.amdhsa_system_sgpr_private_segment_wavefront_offset 0
		.amdhsa_system_sgpr_workgroup_id_x 1
		.amdhsa_system_sgpr_workgroup_id_y 0
		.amdhsa_system_sgpr_workgroup_id_z 0
		.amdhsa_system_sgpr_workgroup_info 0
		.amdhsa_system_vgpr_workitem_id 0
		.amdhsa_next_free_vgpr 1
		.amdhsa_next_free_sgpr 0
		.amdhsa_accum_offset 4
		.amdhsa_reserve_vcc 0
		.amdhsa_reserve_flat_scratch 0
		.amdhsa_float_round_mode_32 0
		.amdhsa_float_round_mode_16_64 0
		.amdhsa_float_denorm_mode_32 3
		.amdhsa_float_denorm_mode_16_64 3
		.amdhsa_dx10_clamp 1
		.amdhsa_ieee_mode 1
		.amdhsa_fp16_overflow 0
		.amdhsa_tg_split 0
		.amdhsa_exception_fp_ieee_invalid_op 0
		.amdhsa_exception_fp_denorm_src 0
		.amdhsa_exception_fp_ieee_div_zero 0
		.amdhsa_exception_fp_ieee_overflow 0
		.amdhsa_exception_fp_ieee_underflow 0
		.amdhsa_exception_fp_ieee_inexact 0
		.amdhsa_exception_int_div_zero 0
	.end_amdhsa_kernel
	.section	.text._ZN7rocprim17ROCPRIM_400000_NS6detail17trampoline_kernelINS0_14default_configENS1_38merge_sort_block_merge_config_selectorIlNS0_10empty_typeEEEZZNS1_27merge_sort_block_merge_implIS3_PlPS5_mZN2at6native12_GLOBAL__N_124unique_dim_cuda_templateIfEESt5tupleIJNSA_6TensorESF_SF_EERKSF_lbbbEUlllE_EE10hipError_tT0_T1_T2_jT3_P12ihipStream_tbPNSt15iterator_traitsISL_E10value_typeEPNSR_ISM_E10value_typeEPSN_NS1_7vsmem_tEENKUlT_SL_SM_SN_E_clIS8_S8_S9_S9_EESK_S10_SL_SM_SN_EUlS10_E_NS1_11comp_targetILNS1_3genE9ELNS1_11target_archE1100ELNS1_3gpuE3ELNS1_3repE0EEENS1_48merge_mergepath_partition_config_static_selectorELNS0_4arch9wavefront6targetE1EEEvSM_,"axG",@progbits,_ZN7rocprim17ROCPRIM_400000_NS6detail17trampoline_kernelINS0_14default_configENS1_38merge_sort_block_merge_config_selectorIlNS0_10empty_typeEEEZZNS1_27merge_sort_block_merge_implIS3_PlPS5_mZN2at6native12_GLOBAL__N_124unique_dim_cuda_templateIfEESt5tupleIJNSA_6TensorESF_SF_EERKSF_lbbbEUlllE_EE10hipError_tT0_T1_T2_jT3_P12ihipStream_tbPNSt15iterator_traitsISL_E10value_typeEPNSR_ISM_E10value_typeEPSN_NS1_7vsmem_tEENKUlT_SL_SM_SN_E_clIS8_S8_S9_S9_EESK_S10_SL_SM_SN_EUlS10_E_NS1_11comp_targetILNS1_3genE9ELNS1_11target_archE1100ELNS1_3gpuE3ELNS1_3repE0EEENS1_48merge_mergepath_partition_config_static_selectorELNS0_4arch9wavefront6targetE1EEEvSM_,comdat
.Lfunc_end886:
	.size	_ZN7rocprim17ROCPRIM_400000_NS6detail17trampoline_kernelINS0_14default_configENS1_38merge_sort_block_merge_config_selectorIlNS0_10empty_typeEEEZZNS1_27merge_sort_block_merge_implIS3_PlPS5_mZN2at6native12_GLOBAL__N_124unique_dim_cuda_templateIfEESt5tupleIJNSA_6TensorESF_SF_EERKSF_lbbbEUlllE_EE10hipError_tT0_T1_T2_jT3_P12ihipStream_tbPNSt15iterator_traitsISL_E10value_typeEPNSR_ISM_E10value_typeEPSN_NS1_7vsmem_tEENKUlT_SL_SM_SN_E_clIS8_S8_S9_S9_EESK_S10_SL_SM_SN_EUlS10_E_NS1_11comp_targetILNS1_3genE9ELNS1_11target_archE1100ELNS1_3gpuE3ELNS1_3repE0EEENS1_48merge_mergepath_partition_config_static_selectorELNS0_4arch9wavefront6targetE1EEEvSM_, .Lfunc_end886-_ZN7rocprim17ROCPRIM_400000_NS6detail17trampoline_kernelINS0_14default_configENS1_38merge_sort_block_merge_config_selectorIlNS0_10empty_typeEEEZZNS1_27merge_sort_block_merge_implIS3_PlPS5_mZN2at6native12_GLOBAL__N_124unique_dim_cuda_templateIfEESt5tupleIJNSA_6TensorESF_SF_EERKSF_lbbbEUlllE_EE10hipError_tT0_T1_T2_jT3_P12ihipStream_tbPNSt15iterator_traitsISL_E10value_typeEPNSR_ISM_E10value_typeEPSN_NS1_7vsmem_tEENKUlT_SL_SM_SN_E_clIS8_S8_S9_S9_EESK_S10_SL_SM_SN_EUlS10_E_NS1_11comp_targetILNS1_3genE9ELNS1_11target_archE1100ELNS1_3gpuE3ELNS1_3repE0EEENS1_48merge_mergepath_partition_config_static_selectorELNS0_4arch9wavefront6targetE1EEEvSM_
                                        ; -- End function
	.section	.AMDGPU.csdata,"",@progbits
; Kernel info:
; codeLenInByte = 0
; NumSgprs: 4
; NumVgprs: 0
; NumAgprs: 0
; TotalNumVgprs: 0
; ScratchSize: 0
; MemoryBound: 0
; FloatMode: 240
; IeeeMode: 1
; LDSByteSize: 0 bytes/workgroup (compile time only)
; SGPRBlocks: 0
; VGPRBlocks: 0
; NumSGPRsForWavesPerEU: 4
; NumVGPRsForWavesPerEU: 1
; AccumOffset: 4
; Occupancy: 8
; WaveLimiterHint : 0
; COMPUTE_PGM_RSRC2:SCRATCH_EN: 0
; COMPUTE_PGM_RSRC2:USER_SGPR: 6
; COMPUTE_PGM_RSRC2:TRAP_HANDLER: 0
; COMPUTE_PGM_RSRC2:TGID_X_EN: 1
; COMPUTE_PGM_RSRC2:TGID_Y_EN: 0
; COMPUTE_PGM_RSRC2:TGID_Z_EN: 0
; COMPUTE_PGM_RSRC2:TIDIG_COMP_CNT: 0
; COMPUTE_PGM_RSRC3_GFX90A:ACCUM_OFFSET: 0
; COMPUTE_PGM_RSRC3_GFX90A:TG_SPLIT: 0
	.section	.text._ZN7rocprim17ROCPRIM_400000_NS6detail17trampoline_kernelINS0_14default_configENS1_38merge_sort_block_merge_config_selectorIlNS0_10empty_typeEEEZZNS1_27merge_sort_block_merge_implIS3_PlPS5_mZN2at6native12_GLOBAL__N_124unique_dim_cuda_templateIfEESt5tupleIJNSA_6TensorESF_SF_EERKSF_lbbbEUlllE_EE10hipError_tT0_T1_T2_jT3_P12ihipStream_tbPNSt15iterator_traitsISL_E10value_typeEPNSR_ISM_E10value_typeEPSN_NS1_7vsmem_tEENKUlT_SL_SM_SN_E_clIS8_S8_S9_S9_EESK_S10_SL_SM_SN_EUlS10_E_NS1_11comp_targetILNS1_3genE8ELNS1_11target_archE1030ELNS1_3gpuE2ELNS1_3repE0EEENS1_48merge_mergepath_partition_config_static_selectorELNS0_4arch9wavefront6targetE1EEEvSM_,"axG",@progbits,_ZN7rocprim17ROCPRIM_400000_NS6detail17trampoline_kernelINS0_14default_configENS1_38merge_sort_block_merge_config_selectorIlNS0_10empty_typeEEEZZNS1_27merge_sort_block_merge_implIS3_PlPS5_mZN2at6native12_GLOBAL__N_124unique_dim_cuda_templateIfEESt5tupleIJNSA_6TensorESF_SF_EERKSF_lbbbEUlllE_EE10hipError_tT0_T1_T2_jT3_P12ihipStream_tbPNSt15iterator_traitsISL_E10value_typeEPNSR_ISM_E10value_typeEPSN_NS1_7vsmem_tEENKUlT_SL_SM_SN_E_clIS8_S8_S9_S9_EESK_S10_SL_SM_SN_EUlS10_E_NS1_11comp_targetILNS1_3genE8ELNS1_11target_archE1030ELNS1_3gpuE2ELNS1_3repE0EEENS1_48merge_mergepath_partition_config_static_selectorELNS0_4arch9wavefront6targetE1EEEvSM_,comdat
	.globl	_ZN7rocprim17ROCPRIM_400000_NS6detail17trampoline_kernelINS0_14default_configENS1_38merge_sort_block_merge_config_selectorIlNS0_10empty_typeEEEZZNS1_27merge_sort_block_merge_implIS3_PlPS5_mZN2at6native12_GLOBAL__N_124unique_dim_cuda_templateIfEESt5tupleIJNSA_6TensorESF_SF_EERKSF_lbbbEUlllE_EE10hipError_tT0_T1_T2_jT3_P12ihipStream_tbPNSt15iterator_traitsISL_E10value_typeEPNSR_ISM_E10value_typeEPSN_NS1_7vsmem_tEENKUlT_SL_SM_SN_E_clIS8_S8_S9_S9_EESK_S10_SL_SM_SN_EUlS10_E_NS1_11comp_targetILNS1_3genE8ELNS1_11target_archE1030ELNS1_3gpuE2ELNS1_3repE0EEENS1_48merge_mergepath_partition_config_static_selectorELNS0_4arch9wavefront6targetE1EEEvSM_ ; -- Begin function _ZN7rocprim17ROCPRIM_400000_NS6detail17trampoline_kernelINS0_14default_configENS1_38merge_sort_block_merge_config_selectorIlNS0_10empty_typeEEEZZNS1_27merge_sort_block_merge_implIS3_PlPS5_mZN2at6native12_GLOBAL__N_124unique_dim_cuda_templateIfEESt5tupleIJNSA_6TensorESF_SF_EERKSF_lbbbEUlllE_EE10hipError_tT0_T1_T2_jT3_P12ihipStream_tbPNSt15iterator_traitsISL_E10value_typeEPNSR_ISM_E10value_typeEPSN_NS1_7vsmem_tEENKUlT_SL_SM_SN_E_clIS8_S8_S9_S9_EESK_S10_SL_SM_SN_EUlS10_E_NS1_11comp_targetILNS1_3genE8ELNS1_11target_archE1030ELNS1_3gpuE2ELNS1_3repE0EEENS1_48merge_mergepath_partition_config_static_selectorELNS0_4arch9wavefront6targetE1EEEvSM_
	.p2align	8
	.type	_ZN7rocprim17ROCPRIM_400000_NS6detail17trampoline_kernelINS0_14default_configENS1_38merge_sort_block_merge_config_selectorIlNS0_10empty_typeEEEZZNS1_27merge_sort_block_merge_implIS3_PlPS5_mZN2at6native12_GLOBAL__N_124unique_dim_cuda_templateIfEESt5tupleIJNSA_6TensorESF_SF_EERKSF_lbbbEUlllE_EE10hipError_tT0_T1_T2_jT3_P12ihipStream_tbPNSt15iterator_traitsISL_E10value_typeEPNSR_ISM_E10value_typeEPSN_NS1_7vsmem_tEENKUlT_SL_SM_SN_E_clIS8_S8_S9_S9_EESK_S10_SL_SM_SN_EUlS10_E_NS1_11comp_targetILNS1_3genE8ELNS1_11target_archE1030ELNS1_3gpuE2ELNS1_3repE0EEENS1_48merge_mergepath_partition_config_static_selectorELNS0_4arch9wavefront6targetE1EEEvSM_,@function
_ZN7rocprim17ROCPRIM_400000_NS6detail17trampoline_kernelINS0_14default_configENS1_38merge_sort_block_merge_config_selectorIlNS0_10empty_typeEEEZZNS1_27merge_sort_block_merge_implIS3_PlPS5_mZN2at6native12_GLOBAL__N_124unique_dim_cuda_templateIfEESt5tupleIJNSA_6TensorESF_SF_EERKSF_lbbbEUlllE_EE10hipError_tT0_T1_T2_jT3_P12ihipStream_tbPNSt15iterator_traitsISL_E10value_typeEPNSR_ISM_E10value_typeEPSN_NS1_7vsmem_tEENKUlT_SL_SM_SN_E_clIS8_S8_S9_S9_EESK_S10_SL_SM_SN_EUlS10_E_NS1_11comp_targetILNS1_3genE8ELNS1_11target_archE1030ELNS1_3gpuE2ELNS1_3repE0EEENS1_48merge_mergepath_partition_config_static_selectorELNS0_4arch9wavefront6targetE1EEEvSM_: ; @_ZN7rocprim17ROCPRIM_400000_NS6detail17trampoline_kernelINS0_14default_configENS1_38merge_sort_block_merge_config_selectorIlNS0_10empty_typeEEEZZNS1_27merge_sort_block_merge_implIS3_PlPS5_mZN2at6native12_GLOBAL__N_124unique_dim_cuda_templateIfEESt5tupleIJNSA_6TensorESF_SF_EERKSF_lbbbEUlllE_EE10hipError_tT0_T1_T2_jT3_P12ihipStream_tbPNSt15iterator_traitsISL_E10value_typeEPNSR_ISM_E10value_typeEPSN_NS1_7vsmem_tEENKUlT_SL_SM_SN_E_clIS8_S8_S9_S9_EESK_S10_SL_SM_SN_EUlS10_E_NS1_11comp_targetILNS1_3genE8ELNS1_11target_archE1030ELNS1_3gpuE2ELNS1_3repE0EEENS1_48merge_mergepath_partition_config_static_selectorELNS0_4arch9wavefront6targetE1EEEvSM_
; %bb.0:
	.section	.rodata,"a",@progbits
	.p2align	6, 0x0
	.amdhsa_kernel _ZN7rocprim17ROCPRIM_400000_NS6detail17trampoline_kernelINS0_14default_configENS1_38merge_sort_block_merge_config_selectorIlNS0_10empty_typeEEEZZNS1_27merge_sort_block_merge_implIS3_PlPS5_mZN2at6native12_GLOBAL__N_124unique_dim_cuda_templateIfEESt5tupleIJNSA_6TensorESF_SF_EERKSF_lbbbEUlllE_EE10hipError_tT0_T1_T2_jT3_P12ihipStream_tbPNSt15iterator_traitsISL_E10value_typeEPNSR_ISM_E10value_typeEPSN_NS1_7vsmem_tEENKUlT_SL_SM_SN_E_clIS8_S8_S9_S9_EESK_S10_SL_SM_SN_EUlS10_E_NS1_11comp_targetILNS1_3genE8ELNS1_11target_archE1030ELNS1_3gpuE2ELNS1_3repE0EEENS1_48merge_mergepath_partition_config_static_selectorELNS0_4arch9wavefront6targetE1EEEvSM_
		.amdhsa_group_segment_fixed_size 0
		.amdhsa_private_segment_fixed_size 0
		.amdhsa_kernarg_size 56
		.amdhsa_user_sgpr_count 6
		.amdhsa_user_sgpr_private_segment_buffer 1
		.amdhsa_user_sgpr_dispatch_ptr 0
		.amdhsa_user_sgpr_queue_ptr 0
		.amdhsa_user_sgpr_kernarg_segment_ptr 1
		.amdhsa_user_sgpr_dispatch_id 0
		.amdhsa_user_sgpr_flat_scratch_init 0
		.amdhsa_user_sgpr_kernarg_preload_length 0
		.amdhsa_user_sgpr_kernarg_preload_offset 0
		.amdhsa_user_sgpr_private_segment_size 0
		.amdhsa_uses_dynamic_stack 0
		.amdhsa_system_sgpr_private_segment_wavefront_offset 0
		.amdhsa_system_sgpr_workgroup_id_x 1
		.amdhsa_system_sgpr_workgroup_id_y 0
		.amdhsa_system_sgpr_workgroup_id_z 0
		.amdhsa_system_sgpr_workgroup_info 0
		.amdhsa_system_vgpr_workitem_id 0
		.amdhsa_next_free_vgpr 1
		.amdhsa_next_free_sgpr 0
		.amdhsa_accum_offset 4
		.amdhsa_reserve_vcc 0
		.amdhsa_reserve_flat_scratch 0
		.amdhsa_float_round_mode_32 0
		.amdhsa_float_round_mode_16_64 0
		.amdhsa_float_denorm_mode_32 3
		.amdhsa_float_denorm_mode_16_64 3
		.amdhsa_dx10_clamp 1
		.amdhsa_ieee_mode 1
		.amdhsa_fp16_overflow 0
		.amdhsa_tg_split 0
		.amdhsa_exception_fp_ieee_invalid_op 0
		.amdhsa_exception_fp_denorm_src 0
		.amdhsa_exception_fp_ieee_div_zero 0
		.amdhsa_exception_fp_ieee_overflow 0
		.amdhsa_exception_fp_ieee_underflow 0
		.amdhsa_exception_fp_ieee_inexact 0
		.amdhsa_exception_int_div_zero 0
	.end_amdhsa_kernel
	.section	.text._ZN7rocprim17ROCPRIM_400000_NS6detail17trampoline_kernelINS0_14default_configENS1_38merge_sort_block_merge_config_selectorIlNS0_10empty_typeEEEZZNS1_27merge_sort_block_merge_implIS3_PlPS5_mZN2at6native12_GLOBAL__N_124unique_dim_cuda_templateIfEESt5tupleIJNSA_6TensorESF_SF_EERKSF_lbbbEUlllE_EE10hipError_tT0_T1_T2_jT3_P12ihipStream_tbPNSt15iterator_traitsISL_E10value_typeEPNSR_ISM_E10value_typeEPSN_NS1_7vsmem_tEENKUlT_SL_SM_SN_E_clIS8_S8_S9_S9_EESK_S10_SL_SM_SN_EUlS10_E_NS1_11comp_targetILNS1_3genE8ELNS1_11target_archE1030ELNS1_3gpuE2ELNS1_3repE0EEENS1_48merge_mergepath_partition_config_static_selectorELNS0_4arch9wavefront6targetE1EEEvSM_,"axG",@progbits,_ZN7rocprim17ROCPRIM_400000_NS6detail17trampoline_kernelINS0_14default_configENS1_38merge_sort_block_merge_config_selectorIlNS0_10empty_typeEEEZZNS1_27merge_sort_block_merge_implIS3_PlPS5_mZN2at6native12_GLOBAL__N_124unique_dim_cuda_templateIfEESt5tupleIJNSA_6TensorESF_SF_EERKSF_lbbbEUlllE_EE10hipError_tT0_T1_T2_jT3_P12ihipStream_tbPNSt15iterator_traitsISL_E10value_typeEPNSR_ISM_E10value_typeEPSN_NS1_7vsmem_tEENKUlT_SL_SM_SN_E_clIS8_S8_S9_S9_EESK_S10_SL_SM_SN_EUlS10_E_NS1_11comp_targetILNS1_3genE8ELNS1_11target_archE1030ELNS1_3gpuE2ELNS1_3repE0EEENS1_48merge_mergepath_partition_config_static_selectorELNS0_4arch9wavefront6targetE1EEEvSM_,comdat
.Lfunc_end887:
	.size	_ZN7rocprim17ROCPRIM_400000_NS6detail17trampoline_kernelINS0_14default_configENS1_38merge_sort_block_merge_config_selectorIlNS0_10empty_typeEEEZZNS1_27merge_sort_block_merge_implIS3_PlPS5_mZN2at6native12_GLOBAL__N_124unique_dim_cuda_templateIfEESt5tupleIJNSA_6TensorESF_SF_EERKSF_lbbbEUlllE_EE10hipError_tT0_T1_T2_jT3_P12ihipStream_tbPNSt15iterator_traitsISL_E10value_typeEPNSR_ISM_E10value_typeEPSN_NS1_7vsmem_tEENKUlT_SL_SM_SN_E_clIS8_S8_S9_S9_EESK_S10_SL_SM_SN_EUlS10_E_NS1_11comp_targetILNS1_3genE8ELNS1_11target_archE1030ELNS1_3gpuE2ELNS1_3repE0EEENS1_48merge_mergepath_partition_config_static_selectorELNS0_4arch9wavefront6targetE1EEEvSM_, .Lfunc_end887-_ZN7rocprim17ROCPRIM_400000_NS6detail17trampoline_kernelINS0_14default_configENS1_38merge_sort_block_merge_config_selectorIlNS0_10empty_typeEEEZZNS1_27merge_sort_block_merge_implIS3_PlPS5_mZN2at6native12_GLOBAL__N_124unique_dim_cuda_templateIfEESt5tupleIJNSA_6TensorESF_SF_EERKSF_lbbbEUlllE_EE10hipError_tT0_T1_T2_jT3_P12ihipStream_tbPNSt15iterator_traitsISL_E10value_typeEPNSR_ISM_E10value_typeEPSN_NS1_7vsmem_tEENKUlT_SL_SM_SN_E_clIS8_S8_S9_S9_EESK_S10_SL_SM_SN_EUlS10_E_NS1_11comp_targetILNS1_3genE8ELNS1_11target_archE1030ELNS1_3gpuE2ELNS1_3repE0EEENS1_48merge_mergepath_partition_config_static_selectorELNS0_4arch9wavefront6targetE1EEEvSM_
                                        ; -- End function
	.section	.AMDGPU.csdata,"",@progbits
; Kernel info:
; codeLenInByte = 0
; NumSgprs: 4
; NumVgprs: 0
; NumAgprs: 0
; TotalNumVgprs: 0
; ScratchSize: 0
; MemoryBound: 0
; FloatMode: 240
; IeeeMode: 1
; LDSByteSize: 0 bytes/workgroup (compile time only)
; SGPRBlocks: 0
; VGPRBlocks: 0
; NumSGPRsForWavesPerEU: 4
; NumVGPRsForWavesPerEU: 1
; AccumOffset: 4
; Occupancy: 8
; WaveLimiterHint : 0
; COMPUTE_PGM_RSRC2:SCRATCH_EN: 0
; COMPUTE_PGM_RSRC2:USER_SGPR: 6
; COMPUTE_PGM_RSRC2:TRAP_HANDLER: 0
; COMPUTE_PGM_RSRC2:TGID_X_EN: 1
; COMPUTE_PGM_RSRC2:TGID_Y_EN: 0
; COMPUTE_PGM_RSRC2:TGID_Z_EN: 0
; COMPUTE_PGM_RSRC2:TIDIG_COMP_CNT: 0
; COMPUTE_PGM_RSRC3_GFX90A:ACCUM_OFFSET: 0
; COMPUTE_PGM_RSRC3_GFX90A:TG_SPLIT: 0
	.section	.text._ZN7rocprim17ROCPRIM_400000_NS6detail17trampoline_kernelINS0_14default_configENS1_38merge_sort_block_merge_config_selectorIlNS0_10empty_typeEEEZZNS1_27merge_sort_block_merge_implIS3_PlPS5_mZN2at6native12_GLOBAL__N_124unique_dim_cuda_templateIfEESt5tupleIJNSA_6TensorESF_SF_EERKSF_lbbbEUlllE_EE10hipError_tT0_T1_T2_jT3_P12ihipStream_tbPNSt15iterator_traitsISL_E10value_typeEPNSR_ISM_E10value_typeEPSN_NS1_7vsmem_tEENKUlT_SL_SM_SN_E_clIS8_S8_S9_S9_EESK_S10_SL_SM_SN_EUlS10_E0_NS1_11comp_targetILNS1_3genE0ELNS1_11target_archE4294967295ELNS1_3gpuE0ELNS1_3repE0EEENS1_38merge_mergepath_config_static_selectorELNS0_4arch9wavefront6targetE1EEEvSM_,"axG",@progbits,_ZN7rocprim17ROCPRIM_400000_NS6detail17trampoline_kernelINS0_14default_configENS1_38merge_sort_block_merge_config_selectorIlNS0_10empty_typeEEEZZNS1_27merge_sort_block_merge_implIS3_PlPS5_mZN2at6native12_GLOBAL__N_124unique_dim_cuda_templateIfEESt5tupleIJNSA_6TensorESF_SF_EERKSF_lbbbEUlllE_EE10hipError_tT0_T1_T2_jT3_P12ihipStream_tbPNSt15iterator_traitsISL_E10value_typeEPNSR_ISM_E10value_typeEPSN_NS1_7vsmem_tEENKUlT_SL_SM_SN_E_clIS8_S8_S9_S9_EESK_S10_SL_SM_SN_EUlS10_E0_NS1_11comp_targetILNS1_3genE0ELNS1_11target_archE4294967295ELNS1_3gpuE0ELNS1_3repE0EEENS1_38merge_mergepath_config_static_selectorELNS0_4arch9wavefront6targetE1EEEvSM_,comdat
	.globl	_ZN7rocprim17ROCPRIM_400000_NS6detail17trampoline_kernelINS0_14default_configENS1_38merge_sort_block_merge_config_selectorIlNS0_10empty_typeEEEZZNS1_27merge_sort_block_merge_implIS3_PlPS5_mZN2at6native12_GLOBAL__N_124unique_dim_cuda_templateIfEESt5tupleIJNSA_6TensorESF_SF_EERKSF_lbbbEUlllE_EE10hipError_tT0_T1_T2_jT3_P12ihipStream_tbPNSt15iterator_traitsISL_E10value_typeEPNSR_ISM_E10value_typeEPSN_NS1_7vsmem_tEENKUlT_SL_SM_SN_E_clIS8_S8_S9_S9_EESK_S10_SL_SM_SN_EUlS10_E0_NS1_11comp_targetILNS1_3genE0ELNS1_11target_archE4294967295ELNS1_3gpuE0ELNS1_3repE0EEENS1_38merge_mergepath_config_static_selectorELNS0_4arch9wavefront6targetE1EEEvSM_ ; -- Begin function _ZN7rocprim17ROCPRIM_400000_NS6detail17trampoline_kernelINS0_14default_configENS1_38merge_sort_block_merge_config_selectorIlNS0_10empty_typeEEEZZNS1_27merge_sort_block_merge_implIS3_PlPS5_mZN2at6native12_GLOBAL__N_124unique_dim_cuda_templateIfEESt5tupleIJNSA_6TensorESF_SF_EERKSF_lbbbEUlllE_EE10hipError_tT0_T1_T2_jT3_P12ihipStream_tbPNSt15iterator_traitsISL_E10value_typeEPNSR_ISM_E10value_typeEPSN_NS1_7vsmem_tEENKUlT_SL_SM_SN_E_clIS8_S8_S9_S9_EESK_S10_SL_SM_SN_EUlS10_E0_NS1_11comp_targetILNS1_3genE0ELNS1_11target_archE4294967295ELNS1_3gpuE0ELNS1_3repE0EEENS1_38merge_mergepath_config_static_selectorELNS0_4arch9wavefront6targetE1EEEvSM_
	.p2align	8
	.type	_ZN7rocprim17ROCPRIM_400000_NS6detail17trampoline_kernelINS0_14default_configENS1_38merge_sort_block_merge_config_selectorIlNS0_10empty_typeEEEZZNS1_27merge_sort_block_merge_implIS3_PlPS5_mZN2at6native12_GLOBAL__N_124unique_dim_cuda_templateIfEESt5tupleIJNSA_6TensorESF_SF_EERKSF_lbbbEUlllE_EE10hipError_tT0_T1_T2_jT3_P12ihipStream_tbPNSt15iterator_traitsISL_E10value_typeEPNSR_ISM_E10value_typeEPSN_NS1_7vsmem_tEENKUlT_SL_SM_SN_E_clIS8_S8_S9_S9_EESK_S10_SL_SM_SN_EUlS10_E0_NS1_11comp_targetILNS1_3genE0ELNS1_11target_archE4294967295ELNS1_3gpuE0ELNS1_3repE0EEENS1_38merge_mergepath_config_static_selectorELNS0_4arch9wavefront6targetE1EEEvSM_,@function
_ZN7rocprim17ROCPRIM_400000_NS6detail17trampoline_kernelINS0_14default_configENS1_38merge_sort_block_merge_config_selectorIlNS0_10empty_typeEEEZZNS1_27merge_sort_block_merge_implIS3_PlPS5_mZN2at6native12_GLOBAL__N_124unique_dim_cuda_templateIfEESt5tupleIJNSA_6TensorESF_SF_EERKSF_lbbbEUlllE_EE10hipError_tT0_T1_T2_jT3_P12ihipStream_tbPNSt15iterator_traitsISL_E10value_typeEPNSR_ISM_E10value_typeEPSN_NS1_7vsmem_tEENKUlT_SL_SM_SN_E_clIS8_S8_S9_S9_EESK_S10_SL_SM_SN_EUlS10_E0_NS1_11comp_targetILNS1_3genE0ELNS1_11target_archE4294967295ELNS1_3gpuE0ELNS1_3repE0EEENS1_38merge_mergepath_config_static_selectorELNS0_4arch9wavefront6targetE1EEEvSM_: ; @_ZN7rocprim17ROCPRIM_400000_NS6detail17trampoline_kernelINS0_14default_configENS1_38merge_sort_block_merge_config_selectorIlNS0_10empty_typeEEEZZNS1_27merge_sort_block_merge_implIS3_PlPS5_mZN2at6native12_GLOBAL__N_124unique_dim_cuda_templateIfEESt5tupleIJNSA_6TensorESF_SF_EERKSF_lbbbEUlllE_EE10hipError_tT0_T1_T2_jT3_P12ihipStream_tbPNSt15iterator_traitsISL_E10value_typeEPNSR_ISM_E10value_typeEPSN_NS1_7vsmem_tEENKUlT_SL_SM_SN_E_clIS8_S8_S9_S9_EESK_S10_SL_SM_SN_EUlS10_E0_NS1_11comp_targetILNS1_3genE0ELNS1_11target_archE4294967295ELNS1_3gpuE0ELNS1_3repE0EEENS1_38merge_mergepath_config_static_selectorELNS0_4arch9wavefront6targetE1EEEvSM_
; %bb.0:
	.section	.rodata,"a",@progbits
	.p2align	6, 0x0
	.amdhsa_kernel _ZN7rocprim17ROCPRIM_400000_NS6detail17trampoline_kernelINS0_14default_configENS1_38merge_sort_block_merge_config_selectorIlNS0_10empty_typeEEEZZNS1_27merge_sort_block_merge_implIS3_PlPS5_mZN2at6native12_GLOBAL__N_124unique_dim_cuda_templateIfEESt5tupleIJNSA_6TensorESF_SF_EERKSF_lbbbEUlllE_EE10hipError_tT0_T1_T2_jT3_P12ihipStream_tbPNSt15iterator_traitsISL_E10value_typeEPNSR_ISM_E10value_typeEPSN_NS1_7vsmem_tEENKUlT_SL_SM_SN_E_clIS8_S8_S9_S9_EESK_S10_SL_SM_SN_EUlS10_E0_NS1_11comp_targetILNS1_3genE0ELNS1_11target_archE4294967295ELNS1_3gpuE0ELNS1_3repE0EEENS1_38merge_mergepath_config_static_selectorELNS0_4arch9wavefront6targetE1EEEvSM_
		.amdhsa_group_segment_fixed_size 0
		.amdhsa_private_segment_fixed_size 0
		.amdhsa_kernarg_size 88
		.amdhsa_user_sgpr_count 6
		.amdhsa_user_sgpr_private_segment_buffer 1
		.amdhsa_user_sgpr_dispatch_ptr 0
		.amdhsa_user_sgpr_queue_ptr 0
		.amdhsa_user_sgpr_kernarg_segment_ptr 1
		.amdhsa_user_sgpr_dispatch_id 0
		.amdhsa_user_sgpr_flat_scratch_init 0
		.amdhsa_user_sgpr_kernarg_preload_length 0
		.amdhsa_user_sgpr_kernarg_preload_offset 0
		.amdhsa_user_sgpr_private_segment_size 0
		.amdhsa_uses_dynamic_stack 0
		.amdhsa_system_sgpr_private_segment_wavefront_offset 0
		.amdhsa_system_sgpr_workgroup_id_x 1
		.amdhsa_system_sgpr_workgroup_id_y 0
		.amdhsa_system_sgpr_workgroup_id_z 0
		.amdhsa_system_sgpr_workgroup_info 0
		.amdhsa_system_vgpr_workitem_id 0
		.amdhsa_next_free_vgpr 1
		.amdhsa_next_free_sgpr 0
		.amdhsa_accum_offset 4
		.amdhsa_reserve_vcc 0
		.amdhsa_reserve_flat_scratch 0
		.amdhsa_float_round_mode_32 0
		.amdhsa_float_round_mode_16_64 0
		.amdhsa_float_denorm_mode_32 3
		.amdhsa_float_denorm_mode_16_64 3
		.amdhsa_dx10_clamp 1
		.amdhsa_ieee_mode 1
		.amdhsa_fp16_overflow 0
		.amdhsa_tg_split 0
		.amdhsa_exception_fp_ieee_invalid_op 0
		.amdhsa_exception_fp_denorm_src 0
		.amdhsa_exception_fp_ieee_div_zero 0
		.amdhsa_exception_fp_ieee_overflow 0
		.amdhsa_exception_fp_ieee_underflow 0
		.amdhsa_exception_fp_ieee_inexact 0
		.amdhsa_exception_int_div_zero 0
	.end_amdhsa_kernel
	.section	.text._ZN7rocprim17ROCPRIM_400000_NS6detail17trampoline_kernelINS0_14default_configENS1_38merge_sort_block_merge_config_selectorIlNS0_10empty_typeEEEZZNS1_27merge_sort_block_merge_implIS3_PlPS5_mZN2at6native12_GLOBAL__N_124unique_dim_cuda_templateIfEESt5tupleIJNSA_6TensorESF_SF_EERKSF_lbbbEUlllE_EE10hipError_tT0_T1_T2_jT3_P12ihipStream_tbPNSt15iterator_traitsISL_E10value_typeEPNSR_ISM_E10value_typeEPSN_NS1_7vsmem_tEENKUlT_SL_SM_SN_E_clIS8_S8_S9_S9_EESK_S10_SL_SM_SN_EUlS10_E0_NS1_11comp_targetILNS1_3genE0ELNS1_11target_archE4294967295ELNS1_3gpuE0ELNS1_3repE0EEENS1_38merge_mergepath_config_static_selectorELNS0_4arch9wavefront6targetE1EEEvSM_,"axG",@progbits,_ZN7rocprim17ROCPRIM_400000_NS6detail17trampoline_kernelINS0_14default_configENS1_38merge_sort_block_merge_config_selectorIlNS0_10empty_typeEEEZZNS1_27merge_sort_block_merge_implIS3_PlPS5_mZN2at6native12_GLOBAL__N_124unique_dim_cuda_templateIfEESt5tupleIJNSA_6TensorESF_SF_EERKSF_lbbbEUlllE_EE10hipError_tT0_T1_T2_jT3_P12ihipStream_tbPNSt15iterator_traitsISL_E10value_typeEPNSR_ISM_E10value_typeEPSN_NS1_7vsmem_tEENKUlT_SL_SM_SN_E_clIS8_S8_S9_S9_EESK_S10_SL_SM_SN_EUlS10_E0_NS1_11comp_targetILNS1_3genE0ELNS1_11target_archE4294967295ELNS1_3gpuE0ELNS1_3repE0EEENS1_38merge_mergepath_config_static_selectorELNS0_4arch9wavefront6targetE1EEEvSM_,comdat
.Lfunc_end888:
	.size	_ZN7rocprim17ROCPRIM_400000_NS6detail17trampoline_kernelINS0_14default_configENS1_38merge_sort_block_merge_config_selectorIlNS0_10empty_typeEEEZZNS1_27merge_sort_block_merge_implIS3_PlPS5_mZN2at6native12_GLOBAL__N_124unique_dim_cuda_templateIfEESt5tupleIJNSA_6TensorESF_SF_EERKSF_lbbbEUlllE_EE10hipError_tT0_T1_T2_jT3_P12ihipStream_tbPNSt15iterator_traitsISL_E10value_typeEPNSR_ISM_E10value_typeEPSN_NS1_7vsmem_tEENKUlT_SL_SM_SN_E_clIS8_S8_S9_S9_EESK_S10_SL_SM_SN_EUlS10_E0_NS1_11comp_targetILNS1_3genE0ELNS1_11target_archE4294967295ELNS1_3gpuE0ELNS1_3repE0EEENS1_38merge_mergepath_config_static_selectorELNS0_4arch9wavefront6targetE1EEEvSM_, .Lfunc_end888-_ZN7rocprim17ROCPRIM_400000_NS6detail17trampoline_kernelINS0_14default_configENS1_38merge_sort_block_merge_config_selectorIlNS0_10empty_typeEEEZZNS1_27merge_sort_block_merge_implIS3_PlPS5_mZN2at6native12_GLOBAL__N_124unique_dim_cuda_templateIfEESt5tupleIJNSA_6TensorESF_SF_EERKSF_lbbbEUlllE_EE10hipError_tT0_T1_T2_jT3_P12ihipStream_tbPNSt15iterator_traitsISL_E10value_typeEPNSR_ISM_E10value_typeEPSN_NS1_7vsmem_tEENKUlT_SL_SM_SN_E_clIS8_S8_S9_S9_EESK_S10_SL_SM_SN_EUlS10_E0_NS1_11comp_targetILNS1_3genE0ELNS1_11target_archE4294967295ELNS1_3gpuE0ELNS1_3repE0EEENS1_38merge_mergepath_config_static_selectorELNS0_4arch9wavefront6targetE1EEEvSM_
                                        ; -- End function
	.section	.AMDGPU.csdata,"",@progbits
; Kernel info:
; codeLenInByte = 0
; NumSgprs: 4
; NumVgprs: 0
; NumAgprs: 0
; TotalNumVgprs: 0
; ScratchSize: 0
; MemoryBound: 0
; FloatMode: 240
; IeeeMode: 1
; LDSByteSize: 0 bytes/workgroup (compile time only)
; SGPRBlocks: 0
; VGPRBlocks: 0
; NumSGPRsForWavesPerEU: 4
; NumVGPRsForWavesPerEU: 1
; AccumOffset: 4
; Occupancy: 8
; WaveLimiterHint : 0
; COMPUTE_PGM_RSRC2:SCRATCH_EN: 0
; COMPUTE_PGM_RSRC2:USER_SGPR: 6
; COMPUTE_PGM_RSRC2:TRAP_HANDLER: 0
; COMPUTE_PGM_RSRC2:TGID_X_EN: 1
; COMPUTE_PGM_RSRC2:TGID_Y_EN: 0
; COMPUTE_PGM_RSRC2:TGID_Z_EN: 0
; COMPUTE_PGM_RSRC2:TIDIG_COMP_CNT: 0
; COMPUTE_PGM_RSRC3_GFX90A:ACCUM_OFFSET: 0
; COMPUTE_PGM_RSRC3_GFX90A:TG_SPLIT: 0
	.section	.text._ZN7rocprim17ROCPRIM_400000_NS6detail17trampoline_kernelINS0_14default_configENS1_38merge_sort_block_merge_config_selectorIlNS0_10empty_typeEEEZZNS1_27merge_sort_block_merge_implIS3_PlPS5_mZN2at6native12_GLOBAL__N_124unique_dim_cuda_templateIfEESt5tupleIJNSA_6TensorESF_SF_EERKSF_lbbbEUlllE_EE10hipError_tT0_T1_T2_jT3_P12ihipStream_tbPNSt15iterator_traitsISL_E10value_typeEPNSR_ISM_E10value_typeEPSN_NS1_7vsmem_tEENKUlT_SL_SM_SN_E_clIS8_S8_S9_S9_EESK_S10_SL_SM_SN_EUlS10_E0_NS1_11comp_targetILNS1_3genE10ELNS1_11target_archE1201ELNS1_3gpuE5ELNS1_3repE0EEENS1_38merge_mergepath_config_static_selectorELNS0_4arch9wavefront6targetE1EEEvSM_,"axG",@progbits,_ZN7rocprim17ROCPRIM_400000_NS6detail17trampoline_kernelINS0_14default_configENS1_38merge_sort_block_merge_config_selectorIlNS0_10empty_typeEEEZZNS1_27merge_sort_block_merge_implIS3_PlPS5_mZN2at6native12_GLOBAL__N_124unique_dim_cuda_templateIfEESt5tupleIJNSA_6TensorESF_SF_EERKSF_lbbbEUlllE_EE10hipError_tT0_T1_T2_jT3_P12ihipStream_tbPNSt15iterator_traitsISL_E10value_typeEPNSR_ISM_E10value_typeEPSN_NS1_7vsmem_tEENKUlT_SL_SM_SN_E_clIS8_S8_S9_S9_EESK_S10_SL_SM_SN_EUlS10_E0_NS1_11comp_targetILNS1_3genE10ELNS1_11target_archE1201ELNS1_3gpuE5ELNS1_3repE0EEENS1_38merge_mergepath_config_static_selectorELNS0_4arch9wavefront6targetE1EEEvSM_,comdat
	.globl	_ZN7rocprim17ROCPRIM_400000_NS6detail17trampoline_kernelINS0_14default_configENS1_38merge_sort_block_merge_config_selectorIlNS0_10empty_typeEEEZZNS1_27merge_sort_block_merge_implIS3_PlPS5_mZN2at6native12_GLOBAL__N_124unique_dim_cuda_templateIfEESt5tupleIJNSA_6TensorESF_SF_EERKSF_lbbbEUlllE_EE10hipError_tT0_T1_T2_jT3_P12ihipStream_tbPNSt15iterator_traitsISL_E10value_typeEPNSR_ISM_E10value_typeEPSN_NS1_7vsmem_tEENKUlT_SL_SM_SN_E_clIS8_S8_S9_S9_EESK_S10_SL_SM_SN_EUlS10_E0_NS1_11comp_targetILNS1_3genE10ELNS1_11target_archE1201ELNS1_3gpuE5ELNS1_3repE0EEENS1_38merge_mergepath_config_static_selectorELNS0_4arch9wavefront6targetE1EEEvSM_ ; -- Begin function _ZN7rocprim17ROCPRIM_400000_NS6detail17trampoline_kernelINS0_14default_configENS1_38merge_sort_block_merge_config_selectorIlNS0_10empty_typeEEEZZNS1_27merge_sort_block_merge_implIS3_PlPS5_mZN2at6native12_GLOBAL__N_124unique_dim_cuda_templateIfEESt5tupleIJNSA_6TensorESF_SF_EERKSF_lbbbEUlllE_EE10hipError_tT0_T1_T2_jT3_P12ihipStream_tbPNSt15iterator_traitsISL_E10value_typeEPNSR_ISM_E10value_typeEPSN_NS1_7vsmem_tEENKUlT_SL_SM_SN_E_clIS8_S8_S9_S9_EESK_S10_SL_SM_SN_EUlS10_E0_NS1_11comp_targetILNS1_3genE10ELNS1_11target_archE1201ELNS1_3gpuE5ELNS1_3repE0EEENS1_38merge_mergepath_config_static_selectorELNS0_4arch9wavefront6targetE1EEEvSM_
	.p2align	8
	.type	_ZN7rocprim17ROCPRIM_400000_NS6detail17trampoline_kernelINS0_14default_configENS1_38merge_sort_block_merge_config_selectorIlNS0_10empty_typeEEEZZNS1_27merge_sort_block_merge_implIS3_PlPS5_mZN2at6native12_GLOBAL__N_124unique_dim_cuda_templateIfEESt5tupleIJNSA_6TensorESF_SF_EERKSF_lbbbEUlllE_EE10hipError_tT0_T1_T2_jT3_P12ihipStream_tbPNSt15iterator_traitsISL_E10value_typeEPNSR_ISM_E10value_typeEPSN_NS1_7vsmem_tEENKUlT_SL_SM_SN_E_clIS8_S8_S9_S9_EESK_S10_SL_SM_SN_EUlS10_E0_NS1_11comp_targetILNS1_3genE10ELNS1_11target_archE1201ELNS1_3gpuE5ELNS1_3repE0EEENS1_38merge_mergepath_config_static_selectorELNS0_4arch9wavefront6targetE1EEEvSM_,@function
_ZN7rocprim17ROCPRIM_400000_NS6detail17trampoline_kernelINS0_14default_configENS1_38merge_sort_block_merge_config_selectorIlNS0_10empty_typeEEEZZNS1_27merge_sort_block_merge_implIS3_PlPS5_mZN2at6native12_GLOBAL__N_124unique_dim_cuda_templateIfEESt5tupleIJNSA_6TensorESF_SF_EERKSF_lbbbEUlllE_EE10hipError_tT0_T1_T2_jT3_P12ihipStream_tbPNSt15iterator_traitsISL_E10value_typeEPNSR_ISM_E10value_typeEPSN_NS1_7vsmem_tEENKUlT_SL_SM_SN_E_clIS8_S8_S9_S9_EESK_S10_SL_SM_SN_EUlS10_E0_NS1_11comp_targetILNS1_3genE10ELNS1_11target_archE1201ELNS1_3gpuE5ELNS1_3repE0EEENS1_38merge_mergepath_config_static_selectorELNS0_4arch9wavefront6targetE1EEEvSM_: ; @_ZN7rocprim17ROCPRIM_400000_NS6detail17trampoline_kernelINS0_14default_configENS1_38merge_sort_block_merge_config_selectorIlNS0_10empty_typeEEEZZNS1_27merge_sort_block_merge_implIS3_PlPS5_mZN2at6native12_GLOBAL__N_124unique_dim_cuda_templateIfEESt5tupleIJNSA_6TensorESF_SF_EERKSF_lbbbEUlllE_EE10hipError_tT0_T1_T2_jT3_P12ihipStream_tbPNSt15iterator_traitsISL_E10value_typeEPNSR_ISM_E10value_typeEPSN_NS1_7vsmem_tEENKUlT_SL_SM_SN_E_clIS8_S8_S9_S9_EESK_S10_SL_SM_SN_EUlS10_E0_NS1_11comp_targetILNS1_3genE10ELNS1_11target_archE1201ELNS1_3gpuE5ELNS1_3repE0EEENS1_38merge_mergepath_config_static_selectorELNS0_4arch9wavefront6targetE1EEEvSM_
; %bb.0:
	.section	.rodata,"a",@progbits
	.p2align	6, 0x0
	.amdhsa_kernel _ZN7rocprim17ROCPRIM_400000_NS6detail17trampoline_kernelINS0_14default_configENS1_38merge_sort_block_merge_config_selectorIlNS0_10empty_typeEEEZZNS1_27merge_sort_block_merge_implIS3_PlPS5_mZN2at6native12_GLOBAL__N_124unique_dim_cuda_templateIfEESt5tupleIJNSA_6TensorESF_SF_EERKSF_lbbbEUlllE_EE10hipError_tT0_T1_T2_jT3_P12ihipStream_tbPNSt15iterator_traitsISL_E10value_typeEPNSR_ISM_E10value_typeEPSN_NS1_7vsmem_tEENKUlT_SL_SM_SN_E_clIS8_S8_S9_S9_EESK_S10_SL_SM_SN_EUlS10_E0_NS1_11comp_targetILNS1_3genE10ELNS1_11target_archE1201ELNS1_3gpuE5ELNS1_3repE0EEENS1_38merge_mergepath_config_static_selectorELNS0_4arch9wavefront6targetE1EEEvSM_
		.amdhsa_group_segment_fixed_size 0
		.amdhsa_private_segment_fixed_size 0
		.amdhsa_kernarg_size 88
		.amdhsa_user_sgpr_count 6
		.amdhsa_user_sgpr_private_segment_buffer 1
		.amdhsa_user_sgpr_dispatch_ptr 0
		.amdhsa_user_sgpr_queue_ptr 0
		.amdhsa_user_sgpr_kernarg_segment_ptr 1
		.amdhsa_user_sgpr_dispatch_id 0
		.amdhsa_user_sgpr_flat_scratch_init 0
		.amdhsa_user_sgpr_kernarg_preload_length 0
		.amdhsa_user_sgpr_kernarg_preload_offset 0
		.amdhsa_user_sgpr_private_segment_size 0
		.amdhsa_uses_dynamic_stack 0
		.amdhsa_system_sgpr_private_segment_wavefront_offset 0
		.amdhsa_system_sgpr_workgroup_id_x 1
		.amdhsa_system_sgpr_workgroup_id_y 0
		.amdhsa_system_sgpr_workgroup_id_z 0
		.amdhsa_system_sgpr_workgroup_info 0
		.amdhsa_system_vgpr_workitem_id 0
		.amdhsa_next_free_vgpr 1
		.amdhsa_next_free_sgpr 0
		.amdhsa_accum_offset 4
		.amdhsa_reserve_vcc 0
		.amdhsa_reserve_flat_scratch 0
		.amdhsa_float_round_mode_32 0
		.amdhsa_float_round_mode_16_64 0
		.amdhsa_float_denorm_mode_32 3
		.amdhsa_float_denorm_mode_16_64 3
		.amdhsa_dx10_clamp 1
		.amdhsa_ieee_mode 1
		.amdhsa_fp16_overflow 0
		.amdhsa_tg_split 0
		.amdhsa_exception_fp_ieee_invalid_op 0
		.amdhsa_exception_fp_denorm_src 0
		.amdhsa_exception_fp_ieee_div_zero 0
		.amdhsa_exception_fp_ieee_overflow 0
		.amdhsa_exception_fp_ieee_underflow 0
		.amdhsa_exception_fp_ieee_inexact 0
		.amdhsa_exception_int_div_zero 0
	.end_amdhsa_kernel
	.section	.text._ZN7rocprim17ROCPRIM_400000_NS6detail17trampoline_kernelINS0_14default_configENS1_38merge_sort_block_merge_config_selectorIlNS0_10empty_typeEEEZZNS1_27merge_sort_block_merge_implIS3_PlPS5_mZN2at6native12_GLOBAL__N_124unique_dim_cuda_templateIfEESt5tupleIJNSA_6TensorESF_SF_EERKSF_lbbbEUlllE_EE10hipError_tT0_T1_T2_jT3_P12ihipStream_tbPNSt15iterator_traitsISL_E10value_typeEPNSR_ISM_E10value_typeEPSN_NS1_7vsmem_tEENKUlT_SL_SM_SN_E_clIS8_S8_S9_S9_EESK_S10_SL_SM_SN_EUlS10_E0_NS1_11comp_targetILNS1_3genE10ELNS1_11target_archE1201ELNS1_3gpuE5ELNS1_3repE0EEENS1_38merge_mergepath_config_static_selectorELNS0_4arch9wavefront6targetE1EEEvSM_,"axG",@progbits,_ZN7rocprim17ROCPRIM_400000_NS6detail17trampoline_kernelINS0_14default_configENS1_38merge_sort_block_merge_config_selectorIlNS0_10empty_typeEEEZZNS1_27merge_sort_block_merge_implIS3_PlPS5_mZN2at6native12_GLOBAL__N_124unique_dim_cuda_templateIfEESt5tupleIJNSA_6TensorESF_SF_EERKSF_lbbbEUlllE_EE10hipError_tT0_T1_T2_jT3_P12ihipStream_tbPNSt15iterator_traitsISL_E10value_typeEPNSR_ISM_E10value_typeEPSN_NS1_7vsmem_tEENKUlT_SL_SM_SN_E_clIS8_S8_S9_S9_EESK_S10_SL_SM_SN_EUlS10_E0_NS1_11comp_targetILNS1_3genE10ELNS1_11target_archE1201ELNS1_3gpuE5ELNS1_3repE0EEENS1_38merge_mergepath_config_static_selectorELNS0_4arch9wavefront6targetE1EEEvSM_,comdat
.Lfunc_end889:
	.size	_ZN7rocprim17ROCPRIM_400000_NS6detail17trampoline_kernelINS0_14default_configENS1_38merge_sort_block_merge_config_selectorIlNS0_10empty_typeEEEZZNS1_27merge_sort_block_merge_implIS3_PlPS5_mZN2at6native12_GLOBAL__N_124unique_dim_cuda_templateIfEESt5tupleIJNSA_6TensorESF_SF_EERKSF_lbbbEUlllE_EE10hipError_tT0_T1_T2_jT3_P12ihipStream_tbPNSt15iterator_traitsISL_E10value_typeEPNSR_ISM_E10value_typeEPSN_NS1_7vsmem_tEENKUlT_SL_SM_SN_E_clIS8_S8_S9_S9_EESK_S10_SL_SM_SN_EUlS10_E0_NS1_11comp_targetILNS1_3genE10ELNS1_11target_archE1201ELNS1_3gpuE5ELNS1_3repE0EEENS1_38merge_mergepath_config_static_selectorELNS0_4arch9wavefront6targetE1EEEvSM_, .Lfunc_end889-_ZN7rocprim17ROCPRIM_400000_NS6detail17trampoline_kernelINS0_14default_configENS1_38merge_sort_block_merge_config_selectorIlNS0_10empty_typeEEEZZNS1_27merge_sort_block_merge_implIS3_PlPS5_mZN2at6native12_GLOBAL__N_124unique_dim_cuda_templateIfEESt5tupleIJNSA_6TensorESF_SF_EERKSF_lbbbEUlllE_EE10hipError_tT0_T1_T2_jT3_P12ihipStream_tbPNSt15iterator_traitsISL_E10value_typeEPNSR_ISM_E10value_typeEPSN_NS1_7vsmem_tEENKUlT_SL_SM_SN_E_clIS8_S8_S9_S9_EESK_S10_SL_SM_SN_EUlS10_E0_NS1_11comp_targetILNS1_3genE10ELNS1_11target_archE1201ELNS1_3gpuE5ELNS1_3repE0EEENS1_38merge_mergepath_config_static_selectorELNS0_4arch9wavefront6targetE1EEEvSM_
                                        ; -- End function
	.section	.AMDGPU.csdata,"",@progbits
; Kernel info:
; codeLenInByte = 0
; NumSgprs: 4
; NumVgprs: 0
; NumAgprs: 0
; TotalNumVgprs: 0
; ScratchSize: 0
; MemoryBound: 0
; FloatMode: 240
; IeeeMode: 1
; LDSByteSize: 0 bytes/workgroup (compile time only)
; SGPRBlocks: 0
; VGPRBlocks: 0
; NumSGPRsForWavesPerEU: 4
; NumVGPRsForWavesPerEU: 1
; AccumOffset: 4
; Occupancy: 8
; WaveLimiterHint : 0
; COMPUTE_PGM_RSRC2:SCRATCH_EN: 0
; COMPUTE_PGM_RSRC2:USER_SGPR: 6
; COMPUTE_PGM_RSRC2:TRAP_HANDLER: 0
; COMPUTE_PGM_RSRC2:TGID_X_EN: 1
; COMPUTE_PGM_RSRC2:TGID_Y_EN: 0
; COMPUTE_PGM_RSRC2:TGID_Z_EN: 0
; COMPUTE_PGM_RSRC2:TIDIG_COMP_CNT: 0
; COMPUTE_PGM_RSRC3_GFX90A:ACCUM_OFFSET: 0
; COMPUTE_PGM_RSRC3_GFX90A:TG_SPLIT: 0
	.section	.text._ZN7rocprim17ROCPRIM_400000_NS6detail17trampoline_kernelINS0_14default_configENS1_38merge_sort_block_merge_config_selectorIlNS0_10empty_typeEEEZZNS1_27merge_sort_block_merge_implIS3_PlPS5_mZN2at6native12_GLOBAL__N_124unique_dim_cuda_templateIfEESt5tupleIJNSA_6TensorESF_SF_EERKSF_lbbbEUlllE_EE10hipError_tT0_T1_T2_jT3_P12ihipStream_tbPNSt15iterator_traitsISL_E10value_typeEPNSR_ISM_E10value_typeEPSN_NS1_7vsmem_tEENKUlT_SL_SM_SN_E_clIS8_S8_S9_S9_EESK_S10_SL_SM_SN_EUlS10_E0_NS1_11comp_targetILNS1_3genE5ELNS1_11target_archE942ELNS1_3gpuE9ELNS1_3repE0EEENS1_38merge_mergepath_config_static_selectorELNS0_4arch9wavefront6targetE1EEEvSM_,"axG",@progbits,_ZN7rocprim17ROCPRIM_400000_NS6detail17trampoline_kernelINS0_14default_configENS1_38merge_sort_block_merge_config_selectorIlNS0_10empty_typeEEEZZNS1_27merge_sort_block_merge_implIS3_PlPS5_mZN2at6native12_GLOBAL__N_124unique_dim_cuda_templateIfEESt5tupleIJNSA_6TensorESF_SF_EERKSF_lbbbEUlllE_EE10hipError_tT0_T1_T2_jT3_P12ihipStream_tbPNSt15iterator_traitsISL_E10value_typeEPNSR_ISM_E10value_typeEPSN_NS1_7vsmem_tEENKUlT_SL_SM_SN_E_clIS8_S8_S9_S9_EESK_S10_SL_SM_SN_EUlS10_E0_NS1_11comp_targetILNS1_3genE5ELNS1_11target_archE942ELNS1_3gpuE9ELNS1_3repE0EEENS1_38merge_mergepath_config_static_selectorELNS0_4arch9wavefront6targetE1EEEvSM_,comdat
	.globl	_ZN7rocprim17ROCPRIM_400000_NS6detail17trampoline_kernelINS0_14default_configENS1_38merge_sort_block_merge_config_selectorIlNS0_10empty_typeEEEZZNS1_27merge_sort_block_merge_implIS3_PlPS5_mZN2at6native12_GLOBAL__N_124unique_dim_cuda_templateIfEESt5tupleIJNSA_6TensorESF_SF_EERKSF_lbbbEUlllE_EE10hipError_tT0_T1_T2_jT3_P12ihipStream_tbPNSt15iterator_traitsISL_E10value_typeEPNSR_ISM_E10value_typeEPSN_NS1_7vsmem_tEENKUlT_SL_SM_SN_E_clIS8_S8_S9_S9_EESK_S10_SL_SM_SN_EUlS10_E0_NS1_11comp_targetILNS1_3genE5ELNS1_11target_archE942ELNS1_3gpuE9ELNS1_3repE0EEENS1_38merge_mergepath_config_static_selectorELNS0_4arch9wavefront6targetE1EEEvSM_ ; -- Begin function _ZN7rocprim17ROCPRIM_400000_NS6detail17trampoline_kernelINS0_14default_configENS1_38merge_sort_block_merge_config_selectorIlNS0_10empty_typeEEEZZNS1_27merge_sort_block_merge_implIS3_PlPS5_mZN2at6native12_GLOBAL__N_124unique_dim_cuda_templateIfEESt5tupleIJNSA_6TensorESF_SF_EERKSF_lbbbEUlllE_EE10hipError_tT0_T1_T2_jT3_P12ihipStream_tbPNSt15iterator_traitsISL_E10value_typeEPNSR_ISM_E10value_typeEPSN_NS1_7vsmem_tEENKUlT_SL_SM_SN_E_clIS8_S8_S9_S9_EESK_S10_SL_SM_SN_EUlS10_E0_NS1_11comp_targetILNS1_3genE5ELNS1_11target_archE942ELNS1_3gpuE9ELNS1_3repE0EEENS1_38merge_mergepath_config_static_selectorELNS0_4arch9wavefront6targetE1EEEvSM_
	.p2align	8
	.type	_ZN7rocprim17ROCPRIM_400000_NS6detail17trampoline_kernelINS0_14default_configENS1_38merge_sort_block_merge_config_selectorIlNS0_10empty_typeEEEZZNS1_27merge_sort_block_merge_implIS3_PlPS5_mZN2at6native12_GLOBAL__N_124unique_dim_cuda_templateIfEESt5tupleIJNSA_6TensorESF_SF_EERKSF_lbbbEUlllE_EE10hipError_tT0_T1_T2_jT3_P12ihipStream_tbPNSt15iterator_traitsISL_E10value_typeEPNSR_ISM_E10value_typeEPSN_NS1_7vsmem_tEENKUlT_SL_SM_SN_E_clIS8_S8_S9_S9_EESK_S10_SL_SM_SN_EUlS10_E0_NS1_11comp_targetILNS1_3genE5ELNS1_11target_archE942ELNS1_3gpuE9ELNS1_3repE0EEENS1_38merge_mergepath_config_static_selectorELNS0_4arch9wavefront6targetE1EEEvSM_,@function
_ZN7rocprim17ROCPRIM_400000_NS6detail17trampoline_kernelINS0_14default_configENS1_38merge_sort_block_merge_config_selectorIlNS0_10empty_typeEEEZZNS1_27merge_sort_block_merge_implIS3_PlPS5_mZN2at6native12_GLOBAL__N_124unique_dim_cuda_templateIfEESt5tupleIJNSA_6TensorESF_SF_EERKSF_lbbbEUlllE_EE10hipError_tT0_T1_T2_jT3_P12ihipStream_tbPNSt15iterator_traitsISL_E10value_typeEPNSR_ISM_E10value_typeEPSN_NS1_7vsmem_tEENKUlT_SL_SM_SN_E_clIS8_S8_S9_S9_EESK_S10_SL_SM_SN_EUlS10_E0_NS1_11comp_targetILNS1_3genE5ELNS1_11target_archE942ELNS1_3gpuE9ELNS1_3repE0EEENS1_38merge_mergepath_config_static_selectorELNS0_4arch9wavefront6targetE1EEEvSM_: ; @_ZN7rocprim17ROCPRIM_400000_NS6detail17trampoline_kernelINS0_14default_configENS1_38merge_sort_block_merge_config_selectorIlNS0_10empty_typeEEEZZNS1_27merge_sort_block_merge_implIS3_PlPS5_mZN2at6native12_GLOBAL__N_124unique_dim_cuda_templateIfEESt5tupleIJNSA_6TensorESF_SF_EERKSF_lbbbEUlllE_EE10hipError_tT0_T1_T2_jT3_P12ihipStream_tbPNSt15iterator_traitsISL_E10value_typeEPNSR_ISM_E10value_typeEPSN_NS1_7vsmem_tEENKUlT_SL_SM_SN_E_clIS8_S8_S9_S9_EESK_S10_SL_SM_SN_EUlS10_E0_NS1_11comp_targetILNS1_3genE5ELNS1_11target_archE942ELNS1_3gpuE9ELNS1_3repE0EEENS1_38merge_mergepath_config_static_selectorELNS0_4arch9wavefront6targetE1EEEvSM_
; %bb.0:
	.section	.rodata,"a",@progbits
	.p2align	6, 0x0
	.amdhsa_kernel _ZN7rocprim17ROCPRIM_400000_NS6detail17trampoline_kernelINS0_14default_configENS1_38merge_sort_block_merge_config_selectorIlNS0_10empty_typeEEEZZNS1_27merge_sort_block_merge_implIS3_PlPS5_mZN2at6native12_GLOBAL__N_124unique_dim_cuda_templateIfEESt5tupleIJNSA_6TensorESF_SF_EERKSF_lbbbEUlllE_EE10hipError_tT0_T1_T2_jT3_P12ihipStream_tbPNSt15iterator_traitsISL_E10value_typeEPNSR_ISM_E10value_typeEPSN_NS1_7vsmem_tEENKUlT_SL_SM_SN_E_clIS8_S8_S9_S9_EESK_S10_SL_SM_SN_EUlS10_E0_NS1_11comp_targetILNS1_3genE5ELNS1_11target_archE942ELNS1_3gpuE9ELNS1_3repE0EEENS1_38merge_mergepath_config_static_selectorELNS0_4arch9wavefront6targetE1EEEvSM_
		.amdhsa_group_segment_fixed_size 0
		.amdhsa_private_segment_fixed_size 0
		.amdhsa_kernarg_size 88
		.amdhsa_user_sgpr_count 6
		.amdhsa_user_sgpr_private_segment_buffer 1
		.amdhsa_user_sgpr_dispatch_ptr 0
		.amdhsa_user_sgpr_queue_ptr 0
		.amdhsa_user_sgpr_kernarg_segment_ptr 1
		.amdhsa_user_sgpr_dispatch_id 0
		.amdhsa_user_sgpr_flat_scratch_init 0
		.amdhsa_user_sgpr_kernarg_preload_length 0
		.amdhsa_user_sgpr_kernarg_preload_offset 0
		.amdhsa_user_sgpr_private_segment_size 0
		.amdhsa_uses_dynamic_stack 0
		.amdhsa_system_sgpr_private_segment_wavefront_offset 0
		.amdhsa_system_sgpr_workgroup_id_x 1
		.amdhsa_system_sgpr_workgroup_id_y 0
		.amdhsa_system_sgpr_workgroup_id_z 0
		.amdhsa_system_sgpr_workgroup_info 0
		.amdhsa_system_vgpr_workitem_id 0
		.amdhsa_next_free_vgpr 1
		.amdhsa_next_free_sgpr 0
		.amdhsa_accum_offset 4
		.amdhsa_reserve_vcc 0
		.amdhsa_reserve_flat_scratch 0
		.amdhsa_float_round_mode_32 0
		.amdhsa_float_round_mode_16_64 0
		.amdhsa_float_denorm_mode_32 3
		.amdhsa_float_denorm_mode_16_64 3
		.amdhsa_dx10_clamp 1
		.amdhsa_ieee_mode 1
		.amdhsa_fp16_overflow 0
		.amdhsa_tg_split 0
		.amdhsa_exception_fp_ieee_invalid_op 0
		.amdhsa_exception_fp_denorm_src 0
		.amdhsa_exception_fp_ieee_div_zero 0
		.amdhsa_exception_fp_ieee_overflow 0
		.amdhsa_exception_fp_ieee_underflow 0
		.amdhsa_exception_fp_ieee_inexact 0
		.amdhsa_exception_int_div_zero 0
	.end_amdhsa_kernel
	.section	.text._ZN7rocprim17ROCPRIM_400000_NS6detail17trampoline_kernelINS0_14default_configENS1_38merge_sort_block_merge_config_selectorIlNS0_10empty_typeEEEZZNS1_27merge_sort_block_merge_implIS3_PlPS5_mZN2at6native12_GLOBAL__N_124unique_dim_cuda_templateIfEESt5tupleIJNSA_6TensorESF_SF_EERKSF_lbbbEUlllE_EE10hipError_tT0_T1_T2_jT3_P12ihipStream_tbPNSt15iterator_traitsISL_E10value_typeEPNSR_ISM_E10value_typeEPSN_NS1_7vsmem_tEENKUlT_SL_SM_SN_E_clIS8_S8_S9_S9_EESK_S10_SL_SM_SN_EUlS10_E0_NS1_11comp_targetILNS1_3genE5ELNS1_11target_archE942ELNS1_3gpuE9ELNS1_3repE0EEENS1_38merge_mergepath_config_static_selectorELNS0_4arch9wavefront6targetE1EEEvSM_,"axG",@progbits,_ZN7rocprim17ROCPRIM_400000_NS6detail17trampoline_kernelINS0_14default_configENS1_38merge_sort_block_merge_config_selectorIlNS0_10empty_typeEEEZZNS1_27merge_sort_block_merge_implIS3_PlPS5_mZN2at6native12_GLOBAL__N_124unique_dim_cuda_templateIfEESt5tupleIJNSA_6TensorESF_SF_EERKSF_lbbbEUlllE_EE10hipError_tT0_T1_T2_jT3_P12ihipStream_tbPNSt15iterator_traitsISL_E10value_typeEPNSR_ISM_E10value_typeEPSN_NS1_7vsmem_tEENKUlT_SL_SM_SN_E_clIS8_S8_S9_S9_EESK_S10_SL_SM_SN_EUlS10_E0_NS1_11comp_targetILNS1_3genE5ELNS1_11target_archE942ELNS1_3gpuE9ELNS1_3repE0EEENS1_38merge_mergepath_config_static_selectorELNS0_4arch9wavefront6targetE1EEEvSM_,comdat
.Lfunc_end890:
	.size	_ZN7rocprim17ROCPRIM_400000_NS6detail17trampoline_kernelINS0_14default_configENS1_38merge_sort_block_merge_config_selectorIlNS0_10empty_typeEEEZZNS1_27merge_sort_block_merge_implIS3_PlPS5_mZN2at6native12_GLOBAL__N_124unique_dim_cuda_templateIfEESt5tupleIJNSA_6TensorESF_SF_EERKSF_lbbbEUlllE_EE10hipError_tT0_T1_T2_jT3_P12ihipStream_tbPNSt15iterator_traitsISL_E10value_typeEPNSR_ISM_E10value_typeEPSN_NS1_7vsmem_tEENKUlT_SL_SM_SN_E_clIS8_S8_S9_S9_EESK_S10_SL_SM_SN_EUlS10_E0_NS1_11comp_targetILNS1_3genE5ELNS1_11target_archE942ELNS1_3gpuE9ELNS1_3repE0EEENS1_38merge_mergepath_config_static_selectorELNS0_4arch9wavefront6targetE1EEEvSM_, .Lfunc_end890-_ZN7rocprim17ROCPRIM_400000_NS6detail17trampoline_kernelINS0_14default_configENS1_38merge_sort_block_merge_config_selectorIlNS0_10empty_typeEEEZZNS1_27merge_sort_block_merge_implIS3_PlPS5_mZN2at6native12_GLOBAL__N_124unique_dim_cuda_templateIfEESt5tupleIJNSA_6TensorESF_SF_EERKSF_lbbbEUlllE_EE10hipError_tT0_T1_T2_jT3_P12ihipStream_tbPNSt15iterator_traitsISL_E10value_typeEPNSR_ISM_E10value_typeEPSN_NS1_7vsmem_tEENKUlT_SL_SM_SN_E_clIS8_S8_S9_S9_EESK_S10_SL_SM_SN_EUlS10_E0_NS1_11comp_targetILNS1_3genE5ELNS1_11target_archE942ELNS1_3gpuE9ELNS1_3repE0EEENS1_38merge_mergepath_config_static_selectorELNS0_4arch9wavefront6targetE1EEEvSM_
                                        ; -- End function
	.section	.AMDGPU.csdata,"",@progbits
; Kernel info:
; codeLenInByte = 0
; NumSgprs: 4
; NumVgprs: 0
; NumAgprs: 0
; TotalNumVgprs: 0
; ScratchSize: 0
; MemoryBound: 0
; FloatMode: 240
; IeeeMode: 1
; LDSByteSize: 0 bytes/workgroup (compile time only)
; SGPRBlocks: 0
; VGPRBlocks: 0
; NumSGPRsForWavesPerEU: 4
; NumVGPRsForWavesPerEU: 1
; AccumOffset: 4
; Occupancy: 8
; WaveLimiterHint : 0
; COMPUTE_PGM_RSRC2:SCRATCH_EN: 0
; COMPUTE_PGM_RSRC2:USER_SGPR: 6
; COMPUTE_PGM_RSRC2:TRAP_HANDLER: 0
; COMPUTE_PGM_RSRC2:TGID_X_EN: 1
; COMPUTE_PGM_RSRC2:TGID_Y_EN: 0
; COMPUTE_PGM_RSRC2:TGID_Z_EN: 0
; COMPUTE_PGM_RSRC2:TIDIG_COMP_CNT: 0
; COMPUTE_PGM_RSRC3_GFX90A:ACCUM_OFFSET: 0
; COMPUTE_PGM_RSRC3_GFX90A:TG_SPLIT: 0
	.section	.text._ZN7rocprim17ROCPRIM_400000_NS6detail17trampoline_kernelINS0_14default_configENS1_38merge_sort_block_merge_config_selectorIlNS0_10empty_typeEEEZZNS1_27merge_sort_block_merge_implIS3_PlPS5_mZN2at6native12_GLOBAL__N_124unique_dim_cuda_templateIfEESt5tupleIJNSA_6TensorESF_SF_EERKSF_lbbbEUlllE_EE10hipError_tT0_T1_T2_jT3_P12ihipStream_tbPNSt15iterator_traitsISL_E10value_typeEPNSR_ISM_E10value_typeEPSN_NS1_7vsmem_tEENKUlT_SL_SM_SN_E_clIS8_S8_S9_S9_EESK_S10_SL_SM_SN_EUlS10_E0_NS1_11comp_targetILNS1_3genE4ELNS1_11target_archE910ELNS1_3gpuE8ELNS1_3repE0EEENS1_38merge_mergepath_config_static_selectorELNS0_4arch9wavefront6targetE1EEEvSM_,"axG",@progbits,_ZN7rocprim17ROCPRIM_400000_NS6detail17trampoline_kernelINS0_14default_configENS1_38merge_sort_block_merge_config_selectorIlNS0_10empty_typeEEEZZNS1_27merge_sort_block_merge_implIS3_PlPS5_mZN2at6native12_GLOBAL__N_124unique_dim_cuda_templateIfEESt5tupleIJNSA_6TensorESF_SF_EERKSF_lbbbEUlllE_EE10hipError_tT0_T1_T2_jT3_P12ihipStream_tbPNSt15iterator_traitsISL_E10value_typeEPNSR_ISM_E10value_typeEPSN_NS1_7vsmem_tEENKUlT_SL_SM_SN_E_clIS8_S8_S9_S9_EESK_S10_SL_SM_SN_EUlS10_E0_NS1_11comp_targetILNS1_3genE4ELNS1_11target_archE910ELNS1_3gpuE8ELNS1_3repE0EEENS1_38merge_mergepath_config_static_selectorELNS0_4arch9wavefront6targetE1EEEvSM_,comdat
	.globl	_ZN7rocprim17ROCPRIM_400000_NS6detail17trampoline_kernelINS0_14default_configENS1_38merge_sort_block_merge_config_selectorIlNS0_10empty_typeEEEZZNS1_27merge_sort_block_merge_implIS3_PlPS5_mZN2at6native12_GLOBAL__N_124unique_dim_cuda_templateIfEESt5tupleIJNSA_6TensorESF_SF_EERKSF_lbbbEUlllE_EE10hipError_tT0_T1_T2_jT3_P12ihipStream_tbPNSt15iterator_traitsISL_E10value_typeEPNSR_ISM_E10value_typeEPSN_NS1_7vsmem_tEENKUlT_SL_SM_SN_E_clIS8_S8_S9_S9_EESK_S10_SL_SM_SN_EUlS10_E0_NS1_11comp_targetILNS1_3genE4ELNS1_11target_archE910ELNS1_3gpuE8ELNS1_3repE0EEENS1_38merge_mergepath_config_static_selectorELNS0_4arch9wavefront6targetE1EEEvSM_ ; -- Begin function _ZN7rocprim17ROCPRIM_400000_NS6detail17trampoline_kernelINS0_14default_configENS1_38merge_sort_block_merge_config_selectorIlNS0_10empty_typeEEEZZNS1_27merge_sort_block_merge_implIS3_PlPS5_mZN2at6native12_GLOBAL__N_124unique_dim_cuda_templateIfEESt5tupleIJNSA_6TensorESF_SF_EERKSF_lbbbEUlllE_EE10hipError_tT0_T1_T2_jT3_P12ihipStream_tbPNSt15iterator_traitsISL_E10value_typeEPNSR_ISM_E10value_typeEPSN_NS1_7vsmem_tEENKUlT_SL_SM_SN_E_clIS8_S8_S9_S9_EESK_S10_SL_SM_SN_EUlS10_E0_NS1_11comp_targetILNS1_3genE4ELNS1_11target_archE910ELNS1_3gpuE8ELNS1_3repE0EEENS1_38merge_mergepath_config_static_selectorELNS0_4arch9wavefront6targetE1EEEvSM_
	.p2align	8
	.type	_ZN7rocprim17ROCPRIM_400000_NS6detail17trampoline_kernelINS0_14default_configENS1_38merge_sort_block_merge_config_selectorIlNS0_10empty_typeEEEZZNS1_27merge_sort_block_merge_implIS3_PlPS5_mZN2at6native12_GLOBAL__N_124unique_dim_cuda_templateIfEESt5tupleIJNSA_6TensorESF_SF_EERKSF_lbbbEUlllE_EE10hipError_tT0_T1_T2_jT3_P12ihipStream_tbPNSt15iterator_traitsISL_E10value_typeEPNSR_ISM_E10value_typeEPSN_NS1_7vsmem_tEENKUlT_SL_SM_SN_E_clIS8_S8_S9_S9_EESK_S10_SL_SM_SN_EUlS10_E0_NS1_11comp_targetILNS1_3genE4ELNS1_11target_archE910ELNS1_3gpuE8ELNS1_3repE0EEENS1_38merge_mergepath_config_static_selectorELNS0_4arch9wavefront6targetE1EEEvSM_,@function
_ZN7rocprim17ROCPRIM_400000_NS6detail17trampoline_kernelINS0_14default_configENS1_38merge_sort_block_merge_config_selectorIlNS0_10empty_typeEEEZZNS1_27merge_sort_block_merge_implIS3_PlPS5_mZN2at6native12_GLOBAL__N_124unique_dim_cuda_templateIfEESt5tupleIJNSA_6TensorESF_SF_EERKSF_lbbbEUlllE_EE10hipError_tT0_T1_T2_jT3_P12ihipStream_tbPNSt15iterator_traitsISL_E10value_typeEPNSR_ISM_E10value_typeEPSN_NS1_7vsmem_tEENKUlT_SL_SM_SN_E_clIS8_S8_S9_S9_EESK_S10_SL_SM_SN_EUlS10_E0_NS1_11comp_targetILNS1_3genE4ELNS1_11target_archE910ELNS1_3gpuE8ELNS1_3repE0EEENS1_38merge_mergepath_config_static_selectorELNS0_4arch9wavefront6targetE1EEEvSM_: ; @_ZN7rocprim17ROCPRIM_400000_NS6detail17trampoline_kernelINS0_14default_configENS1_38merge_sort_block_merge_config_selectorIlNS0_10empty_typeEEEZZNS1_27merge_sort_block_merge_implIS3_PlPS5_mZN2at6native12_GLOBAL__N_124unique_dim_cuda_templateIfEESt5tupleIJNSA_6TensorESF_SF_EERKSF_lbbbEUlllE_EE10hipError_tT0_T1_T2_jT3_P12ihipStream_tbPNSt15iterator_traitsISL_E10value_typeEPNSR_ISM_E10value_typeEPSN_NS1_7vsmem_tEENKUlT_SL_SM_SN_E_clIS8_S8_S9_S9_EESK_S10_SL_SM_SN_EUlS10_E0_NS1_11comp_targetILNS1_3genE4ELNS1_11target_archE910ELNS1_3gpuE8ELNS1_3repE0EEENS1_38merge_mergepath_config_static_selectorELNS0_4arch9wavefront6targetE1EEEvSM_
; %bb.0:
	s_load_dwordx2 s[22:23], s[4:5], 0x58
	s_load_dword s0, s[4:5], 0x38
	s_add_u32 s16, s4, 0x58
	s_addc_u32 s17, s5, 0
	s_waitcnt lgkmcnt(0)
	s_mul_i32 s1, s23, s8
	s_add_i32 s1, s1, s7
	s_mul_i32 s1, s1, s22
	s_add_i32 s18, s1, s6
	s_cmp_ge_u32 s18, s0
	s_cbranch_scc1 .LBB891_71
; %bb.1:
	s_load_dwordx2 s[0:1], s[4:5], 0x50
	s_load_dwordx4 s[12:15], s[4:5], 0x8
	s_load_dwordx4 s[8:11], s[4:5], 0x28
	s_mov_b32 s19, 0
	s_lshl_b64 s[2:3], s[18:19], 3
	s_waitcnt lgkmcnt(0)
	s_add_u32 s0, s0, s2
	s_addc_u32 s1, s1, s3
	v_mov_b32_e32 v1, s10
	v_alignbit_b32 v1, s11, v1, 9
	v_readfirstlane_b32 s7, v1
	s_and_b32 s7, s7, -2
	s_sub_i32 s33, 0, s7
	s_and_b32 s26, s18, s33
	s_mov_b32 s27, s19
	s_lshl_b64 s[24:25], s[26:27], 10
	s_lshl_b64 s[20:21], s[18:19], 10
	s_sub_u32 s7, s20, s24
	s_load_dwordx4 s[0:3], s[0:1], 0x0
	s_subb_u32 s23, s21, s25
	s_lshl_b64 s[26:27], s[26:27], 11
	s_add_u32 s26, s26, s10
	s_addc_u32 s27, s27, s11
	s_add_u32 s7, s26, s7
	s_addc_u32 s23, s27, s23
	s_waitcnt lgkmcnt(0)
	s_sub_u32 s28, s7, s2
	s_subb_u32 s3, s23, s3
	s_add_u32 s28, s28, 0x400
	s_addc_u32 s29, s3, 0
	v_pk_mov_b32 v[2:3], s[28:29], s[28:29] op_sel:[0,1]
	v_cmp_lt_u64_e32 vcc, s[8:9], v[2:3]
	s_and_b64 s[30:31], vcc, exec
	s_cselect_b32 s3, s8, s28
	s_or_b32 s28, s18, s33
	s_cmp_lg_u32 s28, -1
	s_cbranch_scc1 .LBB891_3
; %bb.2:
	s_sub_u32 s24, s26, s24
	s_subb_u32 s25, s27, s25
	v_pk_mov_b32 v[2:3], s[24:25], s[24:25] op_sel:[0,1]
	v_cmp_lt_u64_e32 vcc, s[8:9], v[2:3]
	s_and_b64 s[2:3], vcc, exec
	s_cselect_b32 s2, s8, s24
	s_add_u32 s10, s24, s10
	s_addc_u32 s11, s25, s11
	v_pk_mov_b32 v[2:3], s[10:11], s[10:11] op_sel:[0,1]
	v_cmp_lt_u64_e32 vcc, s[8:9], v[2:3]
	s_and_b64 s[24:25], vcc, exec
	s_cselect_b32 s3, s8, s10
.LBB891_3:
	s_lshr_b64 s[26:27], s[8:9], 10
	s_cmp_lg_u64 s[26:27], s[18:19]
	s_cselect_b64 s[10:11], -1, 0
	s_sub_u32 s24, s7, s0
	s_subb_u32 s25, s23, s1
	v_pk_mov_b32 v[2:3], s[24:25], s[24:25] op_sel:[0,1]
	v_cmp_lt_u64_e32 vcc, s[8:9], v[2:3]
	s_and_b64 s[28:29], vcc, exec
	s_cselect_b32 s28, s8, s24
	s_cselect_b32 s29, s9, s25
	s_sub_i32 s9, s2, s0
	s_sub_i32 s7, s3, s28
	s_lshl_b64 s[0:1], s[0:1], 3
	s_add_u32 s23, s12, s0
	s_addc_u32 s24, s13, s1
	s_lshl_b64 s[0:1], s[28:29], 3
	s_add_u32 s12, s12, s0
	s_addc_u32 s13, s13, s1
	s_cmp_lt_u32 s6, s22
	v_mov_b32_e32 v9, 0
	s_cselect_b32 s0, 12, 18
	global_load_dword v1, v9, s[16:17] offset:14
	s_add_u32 s0, s16, s0
	s_addc_u32 s1, s17, 0
	global_load_ushort v2, v9, s[0:1]
	s_cmp_eq_u64 s[26:27], s[18:19]
	s_waitcnt vmcnt(1)
	v_lshrrev_b32_e32 v3, 16, v1
	v_and_b32_e32 v1, 0xffff, v1
	v_mul_lo_u32 v1, v1, v3
	s_waitcnt vmcnt(0)
	v_mul_lo_u32 v12, v1, v2
	v_lshlrev_b32_e32 v1, 3, v0
	s_cbranch_scc1 .LBB891_5
; %bb.4:
	v_mov_b32_e32 v2, s24
	v_add_co_u32_e32 v4, vcc, s23, v1
	v_subrev_u32_e32 v8, s9, v0
	v_addc_co_u32_e32 v5, vcc, 0, v2, vcc
	v_lshlrev_b64 v[2:3], 3, v[8:9]
	v_mov_b32_e32 v6, s13
	v_add_co_u32_e32 v2, vcc, s12, v2
	v_addc_co_u32_e32 v3, vcc, v6, v3, vcc
	v_cmp_gt_u32_e32 vcc, s9, v0
	v_add_u32_e32 v8, v12, v0
	v_cndmask_b32_e32 v3, v3, v5, vcc
	v_cndmask_b32_e32 v2, v2, v4, vcc
	v_lshlrev_b64 v[4:5], 3, v[8:9]
	v_mov_b32_e32 v6, s24
	v_add_co_u32_e32 v7, vcc, s23, v4
	v_addc_co_u32_e32 v6, vcc, v6, v5, vcc
	v_subrev_u32_e32 v4, s9, v8
	v_mov_b32_e32 v5, v9
	v_lshlrev_b64 v[4:5], 3, v[4:5]
	v_mov_b32_e32 v10, s13
	v_add_co_u32_e32 v4, vcc, s12, v4
	v_addc_co_u32_e32 v5, vcc, v10, v5, vcc
	v_cmp_gt_u32_e32 vcc, s9, v8
	v_add_u32_e32 v8, v8, v12
	v_cndmask_b32_e32 v5, v5, v6, vcc
	v_cndmask_b32_e32 v4, v4, v7, vcc
	v_lshlrev_b64 v[6:7], 3, v[8:9]
	v_mov_b32_e32 v10, s24
	v_add_co_u32_e32 v11, vcc, s23, v6
	v_addc_co_u32_e32 v10, vcc, v10, v7, vcc
	v_subrev_u32_e32 v6, s9, v8
	v_mov_b32_e32 v7, v9
	v_lshlrev_b64 v[6:7], 3, v[6:7]
	v_mov_b32_e32 v13, s13
	v_add_co_u32_e32 v6, vcc, s12, v6
	v_addc_co_u32_e32 v7, vcc, v13, v7, vcc
	v_cmp_gt_u32_e32 vcc, s9, v8
	v_add_u32_e32 v8, v8, v12
	v_cndmask_b32_e32 v7, v7, v10, vcc
	v_cndmask_b32_e32 v6, v6, v11, vcc
	v_lshlrev_b64 v[10:11], 3, v[8:9]
	v_mov_b32_e32 v13, s24
	v_add_co_u32_e32 v10, vcc, s23, v10
	v_addc_co_u32_e32 v11, vcc, v13, v11, vcc
	v_cmp_gt_u32_e32 vcc, s9, v8
	v_subrev_u32_e32 v8, s9, v8
	v_lshlrev_b64 v[8:9], 3, v[8:9]
	v_mov_b32_e32 v13, s13
	v_add_co_u32_e64 v8, s[0:1], s12, v8
	v_addc_co_u32_e64 v9, s[0:1], v13, v9, s[0:1]
	v_cndmask_b32_e32 v9, v9, v11, vcc
	v_cndmask_b32_e32 v8, v8, v10, vcc
	global_load_dwordx2 v[2:3], v[2:3], off
	s_add_i32 s33, s9, s7
	global_load_dwordx2 v[4:5], v[4:5], off
	s_nop 0
	global_load_dwordx2 v[6:7], v[6:7], off
	s_nop 0
	global_load_dwordx2 v[8:9], v[8:9], off
	s_cbranch_execz .LBB891_6
	s_branch .LBB891_15
.LBB891_5:
                                        ; implicit-def: $vgpr2_vgpr3_vgpr4_vgpr5_vgpr6_vgpr7_vgpr8_vgpr9
                                        ; implicit-def: $sgpr33
.LBB891_6:
	s_add_i32 s33, s9, s7
	v_cmp_gt_u32_e32 vcc, s33, v0
                                        ; implicit-def: $vgpr2_vgpr3_vgpr4_vgpr5_vgpr6_vgpr7_vgpr8_vgpr9
	s_and_saveexec_b64 s[0:1], vcc
	s_cbranch_execz .LBB891_8
; %bb.7:
	s_waitcnt vmcnt(3)
	v_mov_b32_e32 v2, s24
	s_waitcnt vmcnt(2)
	v_add_co_u32_e32 v4, vcc, s23, v1
	v_mov_b32_e32 v3, 0
	v_addc_co_u32_e32 v5, vcc, 0, v2, vcc
	v_subrev_u32_e32 v2, s9, v0
	v_lshlrev_b64 v[2:3], 3, v[2:3]
	s_waitcnt vmcnt(1)
	v_mov_b32_e32 v6, s13
	v_add_co_u32_e32 v2, vcc, s12, v2
	v_addc_co_u32_e32 v3, vcc, v6, v3, vcc
	v_cmp_gt_u32_e32 vcc, s9, v0
	v_cndmask_b32_e32 v3, v3, v5, vcc
	v_cndmask_b32_e32 v2, v2, v4, vcc
	global_load_dwordx2 v[2:3], v[2:3], off
.LBB891_8:
	s_or_b64 exec, exec, s[0:1]
	v_add_u32_e32 v10, v12, v0
	v_cmp_gt_u32_e32 vcc, s33, v10
	s_and_saveexec_b64 s[0:1], vcc
	s_cbranch_execz .LBB891_10
; %bb.9:
	v_mov_b32_e32 v11, 0
	s_waitcnt vmcnt(2)
	v_lshlrev_b64 v[4:5], 3, v[10:11]
	v_mov_b32_e32 v13, s24
	v_add_co_u32_e32 v14, vcc, s23, v4
	v_addc_co_u32_e32 v13, vcc, v13, v5, vcc
	v_subrev_u32_e32 v4, s9, v10
	v_mov_b32_e32 v5, v11
	v_lshlrev_b64 v[4:5], 3, v[4:5]
	v_mov_b32_e32 v11, s13
	v_add_co_u32_e32 v4, vcc, s12, v4
	v_addc_co_u32_e32 v5, vcc, v11, v5, vcc
	v_cmp_gt_u32_e32 vcc, s9, v10
	v_cndmask_b32_e32 v5, v5, v13, vcc
	v_cndmask_b32_e32 v4, v4, v14, vcc
	global_load_dwordx2 v[4:5], v[4:5], off
.LBB891_10:
	s_or_b64 exec, exec, s[0:1]
	v_add_u32_e32 v10, v10, v12
	v_cmp_gt_u32_e32 vcc, s33, v10
	s_and_saveexec_b64 s[0:1], vcc
	s_cbranch_execz .LBB891_12
; %bb.11:
	v_mov_b32_e32 v11, 0
	s_waitcnt vmcnt(1)
	v_lshlrev_b64 v[6:7], 3, v[10:11]
	v_mov_b32_e32 v13, s24
	v_add_co_u32_e32 v14, vcc, s23, v6
	v_addc_co_u32_e32 v13, vcc, v13, v7, vcc
	v_subrev_u32_e32 v6, s9, v10
	v_mov_b32_e32 v7, v11
	v_lshlrev_b64 v[6:7], 3, v[6:7]
	v_mov_b32_e32 v11, s13
	v_add_co_u32_e32 v6, vcc, s12, v6
	v_addc_co_u32_e32 v7, vcc, v11, v7, vcc
	v_cmp_gt_u32_e32 vcc, s9, v10
	v_cndmask_b32_e32 v7, v7, v13, vcc
	v_cndmask_b32_e32 v6, v6, v14, vcc
	global_load_dwordx2 v[6:7], v[6:7], off
.LBB891_12:
	s_or_b64 exec, exec, s[0:1]
	v_add_u32_e32 v10, v10, v12
	v_cmp_gt_u32_e32 vcc, s33, v10
	s_and_saveexec_b64 s[2:3], vcc
	s_cbranch_execz .LBB891_14
; %bb.13:
	v_mov_b32_e32 v11, 0
	s_waitcnt vmcnt(0)
	v_lshlrev_b64 v[8:9], 3, v[10:11]
	v_mov_b32_e32 v12, s24
	v_add_co_u32_e32 v13, vcc, s23, v8
	v_addc_co_u32_e32 v12, vcc, v12, v9, vcc
	v_cmp_gt_u32_e32 vcc, s9, v10
	v_subrev_u32_e32 v10, s9, v10
	v_lshlrev_b64 v[8:9], 3, v[10:11]
	v_mov_b32_e32 v10, s13
	v_add_co_u32_e64 v8, s[0:1], s12, v8
	v_addc_co_u32_e64 v9, s[0:1], v10, v9, s[0:1]
	v_cndmask_b32_e32 v9, v9, v12, vcc
	v_cndmask_b32_e32 v8, v8, v13, vcc
	global_load_dwordx2 v[8:9], v[8:9], off
.LBB891_14:
	s_or_b64 exec, exec, s[2:3]
.LBB891_15:
	s_load_dwordx4 s[16:19], s[4:5], 0x40
	v_lshlrev_b32_e32 v14, 2, v0
	v_min_u32_e32 v16, s33, v14
	v_sub_u32_e64 v15, v16, s7 clamp
	v_min_u32_e32 v17, s9, v16
	v_cmp_lt_u32_e32 vcc, v15, v17
	s_waitcnt vmcnt(0)
	ds_write2st64_b64 v1, v[2:3], v[4:5] offset1:4
	ds_write2st64_b64 v1, v[6:7], v[8:9] offset0:8 offset1:12
	s_waitcnt lgkmcnt(0)
	s_barrier
	s_and_saveexec_b64 s[6:7], vcc
	s_cbranch_execz .LBB891_25
; %bb.16:
	v_lshlrev_b32_e32 v10, 3, v16
	v_cmp_gt_i64_e64 s[0:1], s[16:17], 0
	v_lshl_add_u32 v18, s9, 3, v10
	v_cndmask_b32_e64 v10, 0, 1, s[0:1]
	s_mov_b64 s[12:13], 0
	s_lshl_b64 s[22:23], s[16:17], 2
	v_cmp_ne_u32_e64 s[0:1], 1, v10
	s_branch .LBB891_19
.LBB891_17:                             ;   in Loop: Header=BB891_19 Depth=1
	s_or_b64 exec, exec, s[26:27]
.LBB891_18:                             ;   in Loop: Header=BB891_19 Depth=1
	v_add_u32_e32 v10, 1, v19
	v_cndmask_b32_e64 v17, v17, v19, s[24:25]
	v_cndmask_b32_e64 v15, v10, v15, s[24:25]
	v_cmp_ge_u32_e32 vcc, v15, v17
	s_or_b64 s[12:13], vcc, s[12:13]
	s_andn2_b64 exec, exec, s[12:13]
	s_cbranch_execz .LBB891_24
.LBB891_19:                             ; =>This Loop Header: Depth=1
                                        ;     Child Loop BB891_22 Depth 2
	v_add_u32_e32 v10, v17, v15
	v_lshrrev_b32_e32 v19, 1, v10
	s_and_b64 vcc, exec, s[0:1]
	s_mov_b64 s[24:25], 0
	s_cbranch_vccnz .LBB891_18
; %bb.20:                               ;   in Loop: Header=BB891_19 Depth=1
	v_not_b32_e32 v10, v19
	v_lshl_add_u32 v10, v10, 3, v18
	ds_read_b64 v[10:11], v10
	v_lshlrev_b32_e32 v20, 3, v19
	ds_read_b64 v[20:21], v20
	v_pk_mov_b32 v[12:13], s[18:19], s[18:19] op_sel:[0,1]
	s_mov_b64 s[26:27], 0
	s_waitcnt lgkmcnt(1)
	v_mul_lo_u32 v22, s22, v11
	v_mul_lo_u32 v23, s23, v10
	v_mad_u64_u32 v[10:11], s[2:3], s22, v10, v[12:13]
	v_add3_u32 v11, v23, v11, v22
	s_waitcnt lgkmcnt(0)
	v_mul_lo_u32 v21, s22, v21
	v_mul_lo_u32 v22, s23, v20
	v_mad_u64_u32 v[12:13], s[2:3], s22, v20, v[12:13]
	v_add3_u32 v13, v22, v13, v21
	s_mov_b64 s[34:35], s[16:17]
                                        ; implicit-def: $sgpr24_sgpr25
                                        ; implicit-def: $sgpr28_sgpr29
                                        ; implicit-def: $sgpr30_sgpr31
                                        ; implicit-def: $sgpr2_sgpr3
                                        ; implicit-def: $sgpr36_sgpr37
	s_branch .LBB891_22
.LBB891_21:                             ;   in Loop: Header=BB891_22 Depth=2
	s_or_b64 exec, exec, s[38:39]
	s_and_b64 s[4:5], exec, s[28:29]
	s_or_b64 s[26:27], s[4:5], s[26:27]
	s_andn2_b64 s[4:5], s[36:37], exec
	s_and_b64 s[36:37], s[30:31], exec
	s_or_b64 s[36:37], s[4:5], s[36:37]
	s_andn2_b64 s[4:5], s[24:25], exec
	s_and_b64 s[24:25], s[2:3], exec
	s_or_b64 s[24:25], s[4:5], s[24:25]
	s_andn2_b64 exec, exec, s[26:27]
	s_cbranch_execz .LBB891_17
.LBB891_22:                             ;   Parent Loop BB891_19 Depth=1
                                        ; =>  This Inner Loop Header: Depth=2
	global_load_dword v20, v[10:11], off
	global_load_dword v21, v[12:13], off
	s_andn2_b64 s[38:39], s[2:3], exec
	s_andn2_b64 s[30:31], s[30:31], exec
	s_or_b64 s[28:29], s[28:29], exec
	s_waitcnt vmcnt(0)
	v_cmp_ngt_f32_e64 s[2:3], v20, v21
	v_cmp_lt_f32_e32 vcc, v20, v21
	s_and_b64 s[2:3], s[2:3], s[36:37]
	s_or_b64 s[40:41], vcc, s[2:3]
	s_and_b64 s[2:3], s[40:41], exec
	v_cmp_nlg_f32_e64 s[4:5], v20, v21
	s_or_b64 s[2:3], s[38:39], s[2:3]
	s_and_saveexec_b64 s[38:39], s[4:5]
	s_cbranch_execz .LBB891_21
; %bb.23:                               ;   in Loop: Header=BB891_22 Depth=2
	s_add_u32 s34, s34, -1
	s_addc_u32 s35, s35, -1
	v_add_co_u32_e32 v10, vcc, 4, v10
	s_cmp_eq_u64 s[34:35], 0
	v_addc_co_u32_e32 v11, vcc, 0, v11, vcc
	s_cselect_b64 s[4:5], -1, 0
	v_add_co_u32_e32 v12, vcc, 4, v12
	s_andn2_b64 s[30:31], s[30:31], exec
	s_and_b64 s[36:37], s[40:41], exec
	s_andn2_b64 s[28:29], s[28:29], exec
	s_and_b64 s[4:5], s[4:5], exec
	v_addc_co_u32_e32 v13, vcc, 0, v13, vcc
	s_andn2_b64 s[2:3], s[2:3], exec
	s_or_b64 s[30:31], s[30:31], s[36:37]
	s_or_b64 s[28:29], s[28:29], s[4:5]
                                        ; implicit-def: $sgpr36_sgpr37
	s_branch .LBB891_21
.LBB891_24:
	s_or_b64 exec, exec, s[12:13]
.LBB891_25:
	s_or_b64 exec, exec, s[6:7]
	v_sub_u32_e32 v10, v16, v15
	v_add_u32_e32 v16, s9, v10
	v_cmp_ge_u32_e32 vcc, s9, v15
	v_cmp_ge_u32_e64 s[0:1], s33, v16
	s_or_b64 s[0:1], vcc, s[0:1]
	s_and_saveexec_b64 s[4:5], s[0:1]
	s_cbranch_execz .LBB891_61
; %bb.26:
	v_cmp_le_u32_e32 vcc, s9, v15
	v_cmp_gt_u32_e64 s[0:1], s9, v15
                                        ; implicit-def: $vgpr2_vgpr3
	s_and_saveexec_b64 s[2:3], s[0:1]
	s_cbranch_execz .LBB891_28
; %bb.27:
	v_lshlrev_b32_e32 v2, 3, v15
	ds_read_b64 v[2:3], v2
.LBB891_28:
	s_or_b64 exec, exec, s[2:3]
	v_cmp_le_u32_e64 s[0:1], s33, v16
	v_cmp_gt_u32_e64 s[2:3], s33, v16
                                        ; implicit-def: $vgpr8_vgpr9
	s_and_saveexec_b64 s[6:7], s[2:3]
	s_cbranch_execz .LBB891_30
; %bb.29:
	v_lshlrev_b32_e32 v4, 3, v16
	ds_read_b64 v[8:9], v4
.LBB891_30:
	s_or_b64 exec, exec, s[6:7]
	v_cmp_lt_i64_e64 s[12:13], s[16:17], 1
	s_or_b64 s[2:3], vcc, s[0:1]
	s_or_b64 s[2:3], s[2:3], s[12:13]
	s_xor_b64 s[6:7], vcc, -1
	s_xor_b64 s[2:3], s[2:3], -1
	s_or_b64 s[6:7], s[0:1], s[6:7]
	s_and_saveexec_b64 s[22:23], s[2:3]
	s_cbranch_execz .LBB891_36
; %bb.31:
	s_waitcnt lgkmcnt(0)
	v_mul_lo_u32 v6, v9, s16
	v_mul_lo_u32 v7, v8, s17
	v_mad_u64_u32 v[4:5], s[0:1], v8, s16, 0
	v_add3_u32 v5, v5, v7, v6
	v_lshlrev_b64 v[4:5], 2, v[4:5]
	v_mov_b32_e32 v6, s19
	v_add_co_u32_e32 v4, vcc, s18, v4
	v_addc_co_u32_e32 v5, vcc, v6, v5, vcc
	v_mul_lo_u32 v10, v3, s16
	v_mul_lo_u32 v11, v2, s17
	v_mad_u64_u32 v[6:7], s[0:1], v2, s16, 0
	v_add3_u32 v7, v7, v11, v10
	v_lshlrev_b64 v[6:7], 2, v[6:7]
	v_mov_b32_e32 v10, s19
	v_add_co_u32_e32 v6, vcc, s18, v6
	v_addc_co_u32_e32 v7, vcc, v10, v7, vcc
	s_mov_b64 s[24:25], 0
	s_mov_b64 s[34:35], s[16:17]
                                        ; implicit-def: $sgpr26_sgpr27
                                        ; implicit-def: $sgpr28_sgpr29
                                        ; implicit-def: $sgpr0_sgpr1
                                        ; implicit-def: $sgpr30_sgpr31
                                        ; implicit-def: $sgpr36_sgpr37
	s_branch .LBB891_33
.LBB891_32:                             ;   in Loop: Header=BB891_33 Depth=1
	s_or_b64 exec, exec, s[38:39]
	s_and_b64 s[2:3], exec, s[28:29]
	s_or_b64 s[24:25], s[2:3], s[24:25]
	s_andn2_b64 s[2:3], s[36:37], exec
	s_and_b64 s[36:37], s[30:31], exec
	s_or_b64 s[36:37], s[2:3], s[36:37]
	s_andn2_b64 s[2:3], s[26:27], exec
	s_and_b64 s[26:27], s[0:1], exec
	s_or_b64 s[26:27], s[2:3], s[26:27]
	s_andn2_b64 exec, exec, s[24:25]
	s_cbranch_execz .LBB891_35
.LBB891_33:                             ; =>This Inner Loop Header: Depth=1
	global_load_dword v10, v[4:5], off
	global_load_dword v11, v[6:7], off
	s_andn2_b64 s[38:39], s[0:1], exec
	s_andn2_b64 s[30:31], s[30:31], exec
	s_or_b64 s[28:29], s[28:29], exec
	s_waitcnt vmcnt(0)
	v_cmp_ngt_f32_e64 s[0:1], v10, v11
	v_cmp_lt_f32_e32 vcc, v10, v11
	s_and_b64 s[0:1], s[0:1], s[36:37]
	s_or_b64 s[40:41], vcc, s[0:1]
	s_and_b64 s[0:1], s[40:41], exec
	v_cmp_nlg_f32_e64 s[2:3], v10, v11
	s_or_b64 s[0:1], s[38:39], s[0:1]
	s_and_saveexec_b64 s[38:39], s[2:3]
	s_cbranch_execz .LBB891_32
; %bb.34:                               ;   in Loop: Header=BB891_33 Depth=1
	s_add_u32 s34, s34, -1
	s_addc_u32 s35, s35, -1
	v_add_co_u32_e32 v4, vcc, 4, v4
	s_cmp_eq_u64 s[34:35], 0
	v_addc_co_u32_e32 v5, vcc, 0, v5, vcc
	s_cselect_b64 s[2:3], -1, 0
	v_add_co_u32_e32 v6, vcc, 4, v6
	s_andn2_b64 s[30:31], s[30:31], exec
	s_and_b64 s[36:37], s[40:41], exec
	s_andn2_b64 s[28:29], s[28:29], exec
	s_and_b64 s[2:3], s[2:3], exec
	v_addc_co_u32_e32 v7, vcc, 0, v7, vcc
	s_or_b64 s[30:31], s[30:31], s[36:37]
	s_andn2_b64 s[0:1], s[0:1], exec
	s_or_b64 s[28:29], s[28:29], s[2:3]
                                        ; implicit-def: $sgpr36_sgpr37
	s_branch .LBB891_32
.LBB891_35:
	s_or_b64 exec, exec, s[24:25]
	s_xor_b64 s[0:1], s[26:27], -1
	s_andn2_b64 s[2:3], s[6:7], exec
	s_and_b64 s[0:1], s[0:1], exec
	s_or_b64 s[6:7], s[2:3], s[0:1]
.LBB891_36:
	s_or_b64 exec, exec, s[22:23]
	v_mov_b32_e32 v5, s33
	v_mov_b32_e32 v6, s9
	v_cndmask_b32_e64 v4, v16, v15, s[6:7]
	v_cndmask_b32_e64 v5, v5, v6, s[6:7]
	v_add_u32_e32 v6, 1, v4
	v_add_u32_e32 v4, -1, v5
	v_min_u32_e32 v4, v6, v4
	v_lshlrev_b32_e32 v4, 3, v4
	ds_read_b64 v[4:5], v4
	v_cndmask_b32_e64 v19, v6, v16, s[6:7]
	v_cndmask_b32_e64 v20, v15, v6, s[6:7]
	v_cmp_gt_u32_e32 vcc, s33, v19
	s_mov_b64 s[24:25], -1
	s_waitcnt lgkmcnt(0)
	v_cndmask_b32_e64 v10, v5, v9, s[6:7]
	v_cndmask_b32_e64 v11, v4, v8, s[6:7]
	;; [unrolled: 1-line block ×4, first 2 shown]
	s_mov_b64 s[22:23], -1
	s_and_saveexec_b64 s[26:27], vcc
	s_cbranch_execz .LBB891_44
; %bb.37:
	v_cmp_gt_u32_e64 s[22:23], s9, v20
	s_xor_b64 s[0:1], s[12:13], -1
	s_and_b64 s[0:1], s[22:23], s[0:1]
	s_and_saveexec_b64 s[28:29], s[0:1]
	s_cbranch_execz .LBB891_43
; %bb.38:
	v_mul_lo_u32 v6, v10, s16
	v_mul_lo_u32 v7, v11, s17
	v_mad_u64_u32 v[4:5], s[0:1], v11, s16, 0
	v_add3_u32 v5, v5, v7, v6
	v_lshlrev_b64 v[4:5], 2, v[4:5]
	v_mov_b32_e32 v6, s19
	v_add_co_u32_e32 v4, vcc, s18, v4
	v_addc_co_u32_e32 v5, vcc, v6, v5, vcc
	v_mul_lo_u32 v15, v12, s16
	v_mul_lo_u32 v16, v13, s17
	v_mad_u64_u32 v[6:7], s[0:1], v13, s16, 0
	v_add3_u32 v7, v7, v16, v15
	v_lshlrev_b64 v[6:7], 2, v[6:7]
	v_mov_b32_e32 v15, s19
	v_add_co_u32_e32 v6, vcc, s18, v6
	v_addc_co_u32_e32 v7, vcc, v15, v7, vcc
	s_mov_b64 s[30:31], 0
	s_mov_b64 s[40:41], s[16:17]
                                        ; implicit-def: $sgpr34_sgpr35
                                        ; implicit-def: $sgpr36_sgpr37
                                        ; implicit-def: $sgpr0_sgpr1
                                        ; implicit-def: $sgpr38_sgpr39
                                        ; implicit-def: $sgpr42_sgpr43
	s_branch .LBB891_40
.LBB891_39:                             ;   in Loop: Header=BB891_40 Depth=1
	s_or_b64 exec, exec, s[44:45]
	s_and_b64 s[2:3], exec, s[36:37]
	s_or_b64 s[30:31], s[2:3], s[30:31]
	s_andn2_b64 s[2:3], s[42:43], exec
	s_and_b64 s[42:43], s[38:39], exec
	s_or_b64 s[42:43], s[2:3], s[42:43]
	s_andn2_b64 s[2:3], s[34:35], exec
	s_and_b64 s[34:35], s[0:1], exec
	s_or_b64 s[34:35], s[2:3], s[34:35]
	s_andn2_b64 exec, exec, s[30:31]
	s_cbranch_execz .LBB891_42
.LBB891_40:                             ; =>This Inner Loop Header: Depth=1
	global_load_dword v15, v[4:5], off
	global_load_dword v16, v[6:7], off
	s_andn2_b64 s[44:45], s[0:1], exec
	s_andn2_b64 s[38:39], s[38:39], exec
	s_or_b64 s[36:37], s[36:37], exec
	s_waitcnt vmcnt(0)
	v_cmp_ngt_f32_e64 s[0:1], v15, v16
	v_cmp_lt_f32_e32 vcc, v15, v16
	s_and_b64 s[0:1], s[0:1], s[42:43]
	s_or_b64 s[46:47], vcc, s[0:1]
	s_and_b64 s[0:1], s[46:47], exec
	v_cmp_nlg_f32_e64 s[2:3], v15, v16
	s_or_b64 s[0:1], s[44:45], s[0:1]
	s_and_saveexec_b64 s[44:45], s[2:3]
	s_cbranch_execz .LBB891_39
; %bb.41:                               ;   in Loop: Header=BB891_40 Depth=1
	s_add_u32 s40, s40, -1
	s_addc_u32 s41, s41, -1
	v_add_co_u32_e32 v4, vcc, 4, v4
	s_cmp_eq_u64 s[40:41], 0
	v_addc_co_u32_e32 v5, vcc, 0, v5, vcc
	s_cselect_b64 s[2:3], -1, 0
	v_add_co_u32_e32 v6, vcc, 4, v6
	s_andn2_b64 s[38:39], s[38:39], exec
	s_and_b64 s[42:43], s[46:47], exec
	s_andn2_b64 s[36:37], s[36:37], exec
	s_and_b64 s[2:3], s[2:3], exec
	v_addc_co_u32_e32 v7, vcc, 0, v7, vcc
	s_or_b64 s[38:39], s[38:39], s[42:43]
	s_andn2_b64 s[0:1], s[0:1], exec
	s_or_b64 s[36:37], s[36:37], s[2:3]
                                        ; implicit-def: $sgpr42_sgpr43
	s_branch .LBB891_39
.LBB891_42:
	s_or_b64 exec, exec, s[30:31]
	s_xor_b64 s[0:1], s[34:35], -1
	s_andn2_b64 s[2:3], s[22:23], exec
	s_and_b64 s[0:1], s[0:1], exec
	s_or_b64 s[22:23], s[2:3], s[0:1]
.LBB891_43:
	s_or_b64 exec, exec, s[28:29]
	s_orn2_b64 s[22:23], s[22:23], exec
.LBB891_44:
	s_or_b64 exec, exec, s[26:27]
	v_mov_b32_e32 v5, s33
	v_mov_b32_e32 v6, s9
	v_cndmask_b32_e64 v4, v19, v20, s[22:23]
	v_cndmask_b32_e64 v5, v5, v6, s[22:23]
	v_add_u32_e32 v6, 1, v4
	v_add_u32_e32 v4, -1, v5
	v_min_u32_e32 v4, v6, v4
	v_lshlrev_b32_e32 v4, 3, v4
	ds_read_b64 v[4:5], v4
	v_cndmask_b32_e64 v24, v6, v19, s[22:23]
	v_cndmask_b32_e64 v19, v20, v6, s[22:23]
	v_cmp_gt_u32_e32 vcc, s33, v24
	s_waitcnt lgkmcnt(0)
	v_cndmask_b32_e64 v15, v5, v10, s[22:23]
	v_cndmask_b32_e64 v16, v4, v11, s[22:23]
	;; [unrolled: 1-line block ×4, first 2 shown]
	s_and_saveexec_b64 s[26:27], vcc
	s_cbranch_execz .LBB891_52
; %bb.45:
	v_cmp_gt_u32_e64 s[24:25], s9, v19
	s_xor_b64 s[0:1], s[12:13], -1
	s_and_b64 s[0:1], s[24:25], s[0:1]
	s_and_saveexec_b64 s[28:29], s[0:1]
	s_cbranch_execz .LBB891_51
; %bb.46:
	v_mul_lo_u32 v6, v15, s16
	v_mul_lo_u32 v7, v16, s17
	v_mad_u64_u32 v[4:5], s[0:1], v16, s16, 0
	v_add3_u32 v5, v5, v7, v6
	v_lshlrev_b64 v[4:5], 2, v[4:5]
	v_mov_b32_e32 v6, s19
	v_add_co_u32_e32 v4, vcc, s18, v4
	v_addc_co_u32_e32 v5, vcc, v6, v5, vcc
	v_mul_lo_u32 v20, v17, s16
	v_mul_lo_u32 v21, v18, s17
	v_mad_u64_u32 v[6:7], s[0:1], v18, s16, 0
	v_add3_u32 v7, v7, v21, v20
	v_lshlrev_b64 v[6:7], 2, v[6:7]
	v_mov_b32_e32 v20, s19
	v_add_co_u32_e32 v6, vcc, s18, v6
	v_addc_co_u32_e32 v7, vcc, v20, v7, vcc
	s_mov_b64 s[30:31], 0
	s_mov_b64 s[40:41], s[16:17]
                                        ; implicit-def: $sgpr34_sgpr35
                                        ; implicit-def: $sgpr36_sgpr37
                                        ; implicit-def: $sgpr0_sgpr1
                                        ; implicit-def: $sgpr38_sgpr39
                                        ; implicit-def: $sgpr42_sgpr43
	s_branch .LBB891_48
.LBB891_47:                             ;   in Loop: Header=BB891_48 Depth=1
	s_or_b64 exec, exec, s[44:45]
	s_and_b64 s[2:3], exec, s[36:37]
	s_or_b64 s[30:31], s[2:3], s[30:31]
	s_andn2_b64 s[2:3], s[42:43], exec
	s_and_b64 s[42:43], s[38:39], exec
	s_or_b64 s[42:43], s[2:3], s[42:43]
	s_andn2_b64 s[2:3], s[34:35], exec
	s_and_b64 s[34:35], s[0:1], exec
	s_or_b64 s[34:35], s[2:3], s[34:35]
	s_andn2_b64 exec, exec, s[30:31]
	s_cbranch_execz .LBB891_50
.LBB891_48:                             ; =>This Inner Loop Header: Depth=1
	global_load_dword v20, v[4:5], off
	global_load_dword v21, v[6:7], off
	s_andn2_b64 s[44:45], s[0:1], exec
	s_andn2_b64 s[38:39], s[38:39], exec
	s_or_b64 s[36:37], s[36:37], exec
	s_waitcnt vmcnt(0)
	v_cmp_ngt_f32_e64 s[0:1], v20, v21
	v_cmp_lt_f32_e32 vcc, v20, v21
	s_and_b64 s[0:1], s[0:1], s[42:43]
	s_or_b64 s[46:47], vcc, s[0:1]
	s_and_b64 s[0:1], s[46:47], exec
	v_cmp_nlg_f32_e64 s[2:3], v20, v21
	s_or_b64 s[0:1], s[44:45], s[0:1]
	s_and_saveexec_b64 s[44:45], s[2:3]
	s_cbranch_execz .LBB891_47
; %bb.49:                               ;   in Loop: Header=BB891_48 Depth=1
	s_add_u32 s40, s40, -1
	s_addc_u32 s41, s41, -1
	v_add_co_u32_e32 v4, vcc, 4, v4
	s_cmp_eq_u64 s[40:41], 0
	v_addc_co_u32_e32 v5, vcc, 0, v5, vcc
	s_cselect_b64 s[2:3], -1, 0
	v_add_co_u32_e32 v6, vcc, 4, v6
	s_andn2_b64 s[38:39], s[38:39], exec
	s_and_b64 s[42:43], s[46:47], exec
	s_andn2_b64 s[36:37], s[36:37], exec
	s_and_b64 s[2:3], s[2:3], exec
	v_addc_co_u32_e32 v7, vcc, 0, v7, vcc
	s_or_b64 s[38:39], s[38:39], s[42:43]
	s_andn2_b64 s[0:1], s[0:1], exec
	s_or_b64 s[36:37], s[36:37], s[2:3]
                                        ; implicit-def: $sgpr42_sgpr43
	s_branch .LBB891_47
.LBB891_50:
	s_or_b64 exec, exec, s[30:31]
	s_xor_b64 s[0:1], s[34:35], -1
	s_andn2_b64 s[2:3], s[24:25], exec
	s_and_b64 s[0:1], s[0:1], exec
	s_or_b64 s[24:25], s[2:3], s[0:1]
.LBB891_51:
	s_or_b64 exec, exec, s[28:29]
	s_orn2_b64 s[24:25], s[24:25], exec
.LBB891_52:
	s_or_b64 exec, exec, s[26:27]
	v_mov_b32_e32 v5, s33
	v_mov_b32_e32 v6, s9
	v_cndmask_b32_e64 v4, v24, v19, s[24:25]
	v_cndmask_b32_e64 v5, v5, v6, s[24:25]
	v_add_u32_e32 v4, 1, v4
	v_add_u32_e32 v5, -1, v5
	v_min_u32_e32 v5, v4, v5
	v_lshlrev_b32_e32 v5, 3, v5
	ds_read_b64 v[6:7], v5
	v_cndmask_b32_e64 v5, v4, v24, s[24:25]
	v_cmp_gt_u32_e32 vcc, s33, v5
	s_mov_b64 s[0:1], -1
	s_waitcnt lgkmcnt(0)
	v_cndmask_b32_e64 v20, v7, v15, s[24:25]
	v_cndmask_b32_e64 v21, v6, v16, s[24:25]
	;; [unrolled: 1-line block ×4, first 2 shown]
	s_and_saveexec_b64 s[26:27], vcc
	s_cbranch_execz .LBB891_60
; %bb.53:
	v_cndmask_b32_e64 v4, v19, v4, s[24:25]
	v_cmp_gt_u32_e64 s[28:29], s9, v4
	s_xor_b64 s[0:1], s[12:13], -1
	s_and_b64 s[0:1], s[28:29], s[0:1]
	s_and_saveexec_b64 s[12:13], s[0:1]
	s_cbranch_execz .LBB891_59
; %bb.54:
	v_mul_lo_u32 v6, v20, s16
	v_mul_lo_u32 v7, v21, s17
	v_mad_u64_u32 v[4:5], s[0:1], v21, s16, 0
	v_add3_u32 v5, v5, v7, v6
	v_lshlrev_b64 v[4:5], 2, v[4:5]
	v_mov_b32_e32 v6, s19
	v_add_co_u32_e32 v4, vcc, s18, v4
	v_addc_co_u32_e32 v5, vcc, v6, v5, vcc
	v_mul_lo_u32 v19, v22, s16
	v_mul_lo_u32 v24, v23, s17
	v_mad_u64_u32 v[6:7], s[0:1], v23, s16, 0
	v_add3_u32 v7, v7, v24, v19
	v_lshlrev_b64 v[6:7], 2, v[6:7]
	v_mov_b32_e32 v19, s19
	v_add_co_u32_e32 v6, vcc, s18, v6
	v_addc_co_u32_e32 v7, vcc, v19, v7, vcc
	s_mov_b64 s[18:19], 0
                                        ; implicit-def: $sgpr30_sgpr31
                                        ; implicit-def: $sgpr34_sgpr35
                                        ; implicit-def: $sgpr0_sgpr1
                                        ; implicit-def: $sgpr36_sgpr37
                                        ; implicit-def: $sgpr38_sgpr39
	s_branch .LBB891_56
.LBB891_55:                             ;   in Loop: Header=BB891_56 Depth=1
	s_or_b64 exec, exec, s[40:41]
	s_and_b64 s[2:3], exec, s[34:35]
	s_or_b64 s[18:19], s[2:3], s[18:19]
	s_andn2_b64 s[2:3], s[38:39], exec
	s_and_b64 s[38:39], s[36:37], exec
	s_or_b64 s[38:39], s[2:3], s[38:39]
	s_andn2_b64 s[2:3], s[30:31], exec
	s_and_b64 s[30:31], s[0:1], exec
	s_or_b64 s[30:31], s[2:3], s[30:31]
	s_andn2_b64 exec, exec, s[18:19]
	s_cbranch_execz .LBB891_58
.LBB891_56:                             ; =>This Inner Loop Header: Depth=1
	global_load_dword v19, v[4:5], off
	global_load_dword v24, v[6:7], off
	s_andn2_b64 s[40:41], s[0:1], exec
	s_andn2_b64 s[36:37], s[36:37], exec
	s_or_b64 s[34:35], s[34:35], exec
	s_waitcnt vmcnt(0)
	v_cmp_ngt_f32_e64 s[0:1], v19, v24
	v_cmp_lt_f32_e32 vcc, v19, v24
	s_and_b64 s[0:1], s[0:1], s[38:39]
	s_or_b64 s[42:43], vcc, s[0:1]
	s_and_b64 s[0:1], s[42:43], exec
	v_cmp_nlg_f32_e64 s[2:3], v19, v24
	s_or_b64 s[0:1], s[40:41], s[0:1]
	s_and_saveexec_b64 s[40:41], s[2:3]
	s_cbranch_execz .LBB891_55
; %bb.57:                               ;   in Loop: Header=BB891_56 Depth=1
	s_add_u32 s16, s16, -1
	s_addc_u32 s17, s17, -1
	v_add_co_u32_e32 v4, vcc, 4, v4
	s_cmp_eq_u64 s[16:17], 0
	v_addc_co_u32_e32 v5, vcc, 0, v5, vcc
	s_cselect_b64 s[2:3], -1, 0
	v_add_co_u32_e32 v6, vcc, 4, v6
	s_andn2_b64 s[36:37], s[36:37], exec
	s_and_b64 s[38:39], s[42:43], exec
	s_andn2_b64 s[34:35], s[34:35], exec
	s_and_b64 s[2:3], s[2:3], exec
	v_addc_co_u32_e32 v7, vcc, 0, v7, vcc
	s_or_b64 s[36:37], s[36:37], s[38:39]
	s_andn2_b64 s[0:1], s[0:1], exec
	s_or_b64 s[34:35], s[34:35], s[2:3]
                                        ; implicit-def: $sgpr38_sgpr39
	s_branch .LBB891_55
.LBB891_58:
	s_or_b64 exec, exec, s[18:19]
	s_xor_b64 s[0:1], s[30:31], -1
	s_andn2_b64 s[2:3], s[28:29], exec
	s_and_b64 s[0:1], s[0:1], exec
	s_or_b64 s[28:29], s[2:3], s[0:1]
.LBB891_59:
	s_or_b64 exec, exec, s[12:13]
	s_orn2_b64 s[0:1], s[28:29], exec
.LBB891_60:
	s_or_b64 exec, exec, s[26:27]
	v_cndmask_b32_e64 v7, v15, v17, s[24:25]
	v_cndmask_b32_e64 v6, v16, v18, s[24:25]
	;; [unrolled: 1-line block ×8, first 2 shown]
.LBB891_61:
	s_or_b64 exec, exec, s[4:5]
	v_and_b32_e32 v10, 0xf8, v0
	v_lshl_add_u32 v10, v14, 3, v10
	s_barrier
	s_barrier
	ds_write2_b64 v10, v[2:3], v[4:5] offset1:1
	ds_write2_b64 v10, v[6:7], v[8:9] offset0:2 offset1:3
	v_lshrrev_b32_e32 v2, 2, v0
	v_and_b32_e32 v2, 56, v2
	v_or_b32_e32 v12, 0x100, v0
	v_add_u32_e32 v13, v1, v2
	v_lshrrev_b32_e32 v2, 2, v12
	v_and_b32_e32 v2, 0x78, v2
	v_or_b32_e32 v11, 0x200, v0
	v_add_u32_e32 v6, v1, v2
	v_lshrrev_b32_e32 v2, 2, v11
	s_lshl_b64 s[0:1], s[20:21], 3
	v_and_b32_e32 v2, 0xb8, v2
	v_or_b32_e32 v10, 0x300, v0
	s_add_u32 s0, s14, s0
	v_add_u32_e32 v7, v1, v2
	v_lshrrev_b32_e32 v2, 2, v10
	s_addc_u32 s1, s15, s1
	v_and_b32_e32 v2, 0xf8, v2
	v_add_u32_e32 v14, v1, v2
	v_mov_b32_e32 v3, s1
	v_add_co_u32_e32 v2, vcc, s0, v1
	v_addc_co_u32_e32 v3, vcc, 0, v3, vcc
	s_and_b64 vcc, exec, s[10:11]
	s_waitcnt lgkmcnt(0)
	s_cbranch_vccz .LBB891_63
; %bb.62:
	s_barrier
	ds_read_b64 v[8:9], v13
	ds_read_b64 v[16:17], v6 offset:2048
	ds_read_b64 v[18:19], v7 offset:4096
	;; [unrolled: 1-line block ×3, first 2 shown]
	s_waitcnt lgkmcnt(3)
	global_store_dwordx2 v[2:3], v[8:9], off
	s_waitcnt lgkmcnt(2)
	global_store_dwordx2 v[2:3], v[16:17], off offset:2048
	v_add_co_u32_e32 v8, vcc, 0x1000, v2
	v_addc_co_u32_e32 v9, vcc, 0, v3, vcc
	s_waitcnt lgkmcnt(1)
	global_store_dwordx2 v[8:9], v[18:19], off
	s_mov_b64 s[0:1], -1
	s_cbranch_execz .LBB891_64
	s_branch .LBB891_69
.LBB891_63:
	s_mov_b64 s[0:1], 0
                                        ; implicit-def: $vgpr4_vgpr5
.LBB891_64:
	s_barrier
	s_waitcnt lgkmcnt(0)
	ds_read_b64 v[8:9], v6 offset:2048
	ds_read_b64 v[6:7], v7 offset:4096
	ds_read_b64 v[4:5], v14 offset:6144
	s_sub_i32 s2, s8, s20
	v_cmp_gt_u32_e32 vcc, s2, v0
	s_and_saveexec_b64 s[0:1], vcc
	s_cbranch_execnz .LBB891_72
; %bb.65:
	s_or_b64 exec, exec, s[0:1]
	v_cmp_gt_u32_e32 vcc, s2, v12
	s_and_saveexec_b64 s[0:1], vcc
	s_cbranch_execnz .LBB891_73
.LBB891_66:
	s_or_b64 exec, exec, s[0:1]
	v_cmp_gt_u32_e32 vcc, s2, v11
	s_and_saveexec_b64 s[0:1], vcc
	s_cbranch_execz .LBB891_68
.LBB891_67:
	v_add_co_u32_e32 v0, vcc, 0x1000, v2
	v_addc_co_u32_e32 v1, vcc, 0, v3, vcc
	s_waitcnt lgkmcnt(1)
	global_store_dwordx2 v[0:1], v[6:7], off
.LBB891_68:
	s_or_b64 exec, exec, s[0:1]
	v_cmp_gt_u32_e64 s[0:1], s2, v10
.LBB891_69:
	s_and_saveexec_b64 s[2:3], s[0:1]
	s_cbranch_execz .LBB891_71
; %bb.70:
	v_add_co_u32_e32 v0, vcc, 0x1000, v2
	v_addc_co_u32_e32 v1, vcc, 0, v3, vcc
	s_waitcnt lgkmcnt(0)
	global_store_dwordx2 v[0:1], v[4:5], off offset:2048
.LBB891_71:
	s_endpgm
.LBB891_72:
	ds_read_b64 v[0:1], v13
	s_waitcnt lgkmcnt(0)
	global_store_dwordx2 v[2:3], v[0:1], off
	s_or_b64 exec, exec, s[0:1]
	v_cmp_gt_u32_e32 vcc, s2, v12
	s_and_saveexec_b64 s[0:1], vcc
	s_cbranch_execz .LBB891_66
.LBB891_73:
	s_waitcnt lgkmcnt(2)
	global_store_dwordx2 v[2:3], v[8:9], off offset:2048
	s_or_b64 exec, exec, s[0:1]
	v_cmp_gt_u32_e32 vcc, s2, v11
	s_and_saveexec_b64 s[0:1], vcc
	s_cbranch_execnz .LBB891_67
	s_branch .LBB891_68
	.section	.rodata,"a",@progbits
	.p2align	6, 0x0
	.amdhsa_kernel _ZN7rocprim17ROCPRIM_400000_NS6detail17trampoline_kernelINS0_14default_configENS1_38merge_sort_block_merge_config_selectorIlNS0_10empty_typeEEEZZNS1_27merge_sort_block_merge_implIS3_PlPS5_mZN2at6native12_GLOBAL__N_124unique_dim_cuda_templateIfEESt5tupleIJNSA_6TensorESF_SF_EERKSF_lbbbEUlllE_EE10hipError_tT0_T1_T2_jT3_P12ihipStream_tbPNSt15iterator_traitsISL_E10value_typeEPNSR_ISM_E10value_typeEPSN_NS1_7vsmem_tEENKUlT_SL_SM_SN_E_clIS8_S8_S9_S9_EESK_S10_SL_SM_SN_EUlS10_E0_NS1_11comp_targetILNS1_3genE4ELNS1_11target_archE910ELNS1_3gpuE8ELNS1_3repE0EEENS1_38merge_mergepath_config_static_selectorELNS0_4arch9wavefront6targetE1EEEvSM_
		.amdhsa_group_segment_fixed_size 8448
		.amdhsa_private_segment_fixed_size 0
		.amdhsa_kernarg_size 344
		.amdhsa_user_sgpr_count 6
		.amdhsa_user_sgpr_private_segment_buffer 1
		.amdhsa_user_sgpr_dispatch_ptr 0
		.amdhsa_user_sgpr_queue_ptr 0
		.amdhsa_user_sgpr_kernarg_segment_ptr 1
		.amdhsa_user_sgpr_dispatch_id 0
		.amdhsa_user_sgpr_flat_scratch_init 0
		.amdhsa_user_sgpr_kernarg_preload_length 0
		.amdhsa_user_sgpr_kernarg_preload_offset 0
		.amdhsa_user_sgpr_private_segment_size 0
		.amdhsa_uses_dynamic_stack 0
		.amdhsa_system_sgpr_private_segment_wavefront_offset 0
		.amdhsa_system_sgpr_workgroup_id_x 1
		.amdhsa_system_sgpr_workgroup_id_y 1
		.amdhsa_system_sgpr_workgroup_id_z 1
		.amdhsa_system_sgpr_workgroup_info 0
		.amdhsa_system_vgpr_workitem_id 0
		.amdhsa_next_free_vgpr 25
		.amdhsa_next_free_sgpr 48
		.amdhsa_accum_offset 28
		.amdhsa_reserve_vcc 1
		.amdhsa_reserve_flat_scratch 0
		.amdhsa_float_round_mode_32 0
		.amdhsa_float_round_mode_16_64 0
		.amdhsa_float_denorm_mode_32 3
		.amdhsa_float_denorm_mode_16_64 3
		.amdhsa_dx10_clamp 1
		.amdhsa_ieee_mode 1
		.amdhsa_fp16_overflow 0
		.amdhsa_tg_split 0
		.amdhsa_exception_fp_ieee_invalid_op 0
		.amdhsa_exception_fp_denorm_src 0
		.amdhsa_exception_fp_ieee_div_zero 0
		.amdhsa_exception_fp_ieee_overflow 0
		.amdhsa_exception_fp_ieee_underflow 0
		.amdhsa_exception_fp_ieee_inexact 0
		.amdhsa_exception_int_div_zero 0
	.end_amdhsa_kernel
	.section	.text._ZN7rocprim17ROCPRIM_400000_NS6detail17trampoline_kernelINS0_14default_configENS1_38merge_sort_block_merge_config_selectorIlNS0_10empty_typeEEEZZNS1_27merge_sort_block_merge_implIS3_PlPS5_mZN2at6native12_GLOBAL__N_124unique_dim_cuda_templateIfEESt5tupleIJNSA_6TensorESF_SF_EERKSF_lbbbEUlllE_EE10hipError_tT0_T1_T2_jT3_P12ihipStream_tbPNSt15iterator_traitsISL_E10value_typeEPNSR_ISM_E10value_typeEPSN_NS1_7vsmem_tEENKUlT_SL_SM_SN_E_clIS8_S8_S9_S9_EESK_S10_SL_SM_SN_EUlS10_E0_NS1_11comp_targetILNS1_3genE4ELNS1_11target_archE910ELNS1_3gpuE8ELNS1_3repE0EEENS1_38merge_mergepath_config_static_selectorELNS0_4arch9wavefront6targetE1EEEvSM_,"axG",@progbits,_ZN7rocprim17ROCPRIM_400000_NS6detail17trampoline_kernelINS0_14default_configENS1_38merge_sort_block_merge_config_selectorIlNS0_10empty_typeEEEZZNS1_27merge_sort_block_merge_implIS3_PlPS5_mZN2at6native12_GLOBAL__N_124unique_dim_cuda_templateIfEESt5tupleIJNSA_6TensorESF_SF_EERKSF_lbbbEUlllE_EE10hipError_tT0_T1_T2_jT3_P12ihipStream_tbPNSt15iterator_traitsISL_E10value_typeEPNSR_ISM_E10value_typeEPSN_NS1_7vsmem_tEENKUlT_SL_SM_SN_E_clIS8_S8_S9_S9_EESK_S10_SL_SM_SN_EUlS10_E0_NS1_11comp_targetILNS1_3genE4ELNS1_11target_archE910ELNS1_3gpuE8ELNS1_3repE0EEENS1_38merge_mergepath_config_static_selectorELNS0_4arch9wavefront6targetE1EEEvSM_,comdat
.Lfunc_end891:
	.size	_ZN7rocprim17ROCPRIM_400000_NS6detail17trampoline_kernelINS0_14default_configENS1_38merge_sort_block_merge_config_selectorIlNS0_10empty_typeEEEZZNS1_27merge_sort_block_merge_implIS3_PlPS5_mZN2at6native12_GLOBAL__N_124unique_dim_cuda_templateIfEESt5tupleIJNSA_6TensorESF_SF_EERKSF_lbbbEUlllE_EE10hipError_tT0_T1_T2_jT3_P12ihipStream_tbPNSt15iterator_traitsISL_E10value_typeEPNSR_ISM_E10value_typeEPSN_NS1_7vsmem_tEENKUlT_SL_SM_SN_E_clIS8_S8_S9_S9_EESK_S10_SL_SM_SN_EUlS10_E0_NS1_11comp_targetILNS1_3genE4ELNS1_11target_archE910ELNS1_3gpuE8ELNS1_3repE0EEENS1_38merge_mergepath_config_static_selectorELNS0_4arch9wavefront6targetE1EEEvSM_, .Lfunc_end891-_ZN7rocprim17ROCPRIM_400000_NS6detail17trampoline_kernelINS0_14default_configENS1_38merge_sort_block_merge_config_selectorIlNS0_10empty_typeEEEZZNS1_27merge_sort_block_merge_implIS3_PlPS5_mZN2at6native12_GLOBAL__N_124unique_dim_cuda_templateIfEESt5tupleIJNSA_6TensorESF_SF_EERKSF_lbbbEUlllE_EE10hipError_tT0_T1_T2_jT3_P12ihipStream_tbPNSt15iterator_traitsISL_E10value_typeEPNSR_ISM_E10value_typeEPSN_NS1_7vsmem_tEENKUlT_SL_SM_SN_E_clIS8_S8_S9_S9_EESK_S10_SL_SM_SN_EUlS10_E0_NS1_11comp_targetILNS1_3genE4ELNS1_11target_archE910ELNS1_3gpuE8ELNS1_3repE0EEENS1_38merge_mergepath_config_static_selectorELNS0_4arch9wavefront6targetE1EEEvSM_
                                        ; -- End function
	.section	.AMDGPU.csdata,"",@progbits
; Kernel info:
; codeLenInByte = 4052
; NumSgprs: 52
; NumVgprs: 25
; NumAgprs: 0
; TotalNumVgprs: 25
; ScratchSize: 0
; MemoryBound: 0
; FloatMode: 240
; IeeeMode: 1
; LDSByteSize: 8448 bytes/workgroup (compile time only)
; SGPRBlocks: 6
; VGPRBlocks: 3
; NumSGPRsForWavesPerEU: 52
; NumVGPRsForWavesPerEU: 25
; AccumOffset: 28
; Occupancy: 7
; WaveLimiterHint : 1
; COMPUTE_PGM_RSRC2:SCRATCH_EN: 0
; COMPUTE_PGM_RSRC2:USER_SGPR: 6
; COMPUTE_PGM_RSRC2:TRAP_HANDLER: 0
; COMPUTE_PGM_RSRC2:TGID_X_EN: 1
; COMPUTE_PGM_RSRC2:TGID_Y_EN: 1
; COMPUTE_PGM_RSRC2:TGID_Z_EN: 1
; COMPUTE_PGM_RSRC2:TIDIG_COMP_CNT: 0
; COMPUTE_PGM_RSRC3_GFX90A:ACCUM_OFFSET: 6
; COMPUTE_PGM_RSRC3_GFX90A:TG_SPLIT: 0
	.section	.text._ZN7rocprim17ROCPRIM_400000_NS6detail17trampoline_kernelINS0_14default_configENS1_38merge_sort_block_merge_config_selectorIlNS0_10empty_typeEEEZZNS1_27merge_sort_block_merge_implIS3_PlPS5_mZN2at6native12_GLOBAL__N_124unique_dim_cuda_templateIfEESt5tupleIJNSA_6TensorESF_SF_EERKSF_lbbbEUlllE_EE10hipError_tT0_T1_T2_jT3_P12ihipStream_tbPNSt15iterator_traitsISL_E10value_typeEPNSR_ISM_E10value_typeEPSN_NS1_7vsmem_tEENKUlT_SL_SM_SN_E_clIS8_S8_S9_S9_EESK_S10_SL_SM_SN_EUlS10_E0_NS1_11comp_targetILNS1_3genE3ELNS1_11target_archE908ELNS1_3gpuE7ELNS1_3repE0EEENS1_38merge_mergepath_config_static_selectorELNS0_4arch9wavefront6targetE1EEEvSM_,"axG",@progbits,_ZN7rocprim17ROCPRIM_400000_NS6detail17trampoline_kernelINS0_14default_configENS1_38merge_sort_block_merge_config_selectorIlNS0_10empty_typeEEEZZNS1_27merge_sort_block_merge_implIS3_PlPS5_mZN2at6native12_GLOBAL__N_124unique_dim_cuda_templateIfEESt5tupleIJNSA_6TensorESF_SF_EERKSF_lbbbEUlllE_EE10hipError_tT0_T1_T2_jT3_P12ihipStream_tbPNSt15iterator_traitsISL_E10value_typeEPNSR_ISM_E10value_typeEPSN_NS1_7vsmem_tEENKUlT_SL_SM_SN_E_clIS8_S8_S9_S9_EESK_S10_SL_SM_SN_EUlS10_E0_NS1_11comp_targetILNS1_3genE3ELNS1_11target_archE908ELNS1_3gpuE7ELNS1_3repE0EEENS1_38merge_mergepath_config_static_selectorELNS0_4arch9wavefront6targetE1EEEvSM_,comdat
	.globl	_ZN7rocprim17ROCPRIM_400000_NS6detail17trampoline_kernelINS0_14default_configENS1_38merge_sort_block_merge_config_selectorIlNS0_10empty_typeEEEZZNS1_27merge_sort_block_merge_implIS3_PlPS5_mZN2at6native12_GLOBAL__N_124unique_dim_cuda_templateIfEESt5tupleIJNSA_6TensorESF_SF_EERKSF_lbbbEUlllE_EE10hipError_tT0_T1_T2_jT3_P12ihipStream_tbPNSt15iterator_traitsISL_E10value_typeEPNSR_ISM_E10value_typeEPSN_NS1_7vsmem_tEENKUlT_SL_SM_SN_E_clIS8_S8_S9_S9_EESK_S10_SL_SM_SN_EUlS10_E0_NS1_11comp_targetILNS1_3genE3ELNS1_11target_archE908ELNS1_3gpuE7ELNS1_3repE0EEENS1_38merge_mergepath_config_static_selectorELNS0_4arch9wavefront6targetE1EEEvSM_ ; -- Begin function _ZN7rocprim17ROCPRIM_400000_NS6detail17trampoline_kernelINS0_14default_configENS1_38merge_sort_block_merge_config_selectorIlNS0_10empty_typeEEEZZNS1_27merge_sort_block_merge_implIS3_PlPS5_mZN2at6native12_GLOBAL__N_124unique_dim_cuda_templateIfEESt5tupleIJNSA_6TensorESF_SF_EERKSF_lbbbEUlllE_EE10hipError_tT0_T1_T2_jT3_P12ihipStream_tbPNSt15iterator_traitsISL_E10value_typeEPNSR_ISM_E10value_typeEPSN_NS1_7vsmem_tEENKUlT_SL_SM_SN_E_clIS8_S8_S9_S9_EESK_S10_SL_SM_SN_EUlS10_E0_NS1_11comp_targetILNS1_3genE3ELNS1_11target_archE908ELNS1_3gpuE7ELNS1_3repE0EEENS1_38merge_mergepath_config_static_selectorELNS0_4arch9wavefront6targetE1EEEvSM_
	.p2align	8
	.type	_ZN7rocprim17ROCPRIM_400000_NS6detail17trampoline_kernelINS0_14default_configENS1_38merge_sort_block_merge_config_selectorIlNS0_10empty_typeEEEZZNS1_27merge_sort_block_merge_implIS3_PlPS5_mZN2at6native12_GLOBAL__N_124unique_dim_cuda_templateIfEESt5tupleIJNSA_6TensorESF_SF_EERKSF_lbbbEUlllE_EE10hipError_tT0_T1_T2_jT3_P12ihipStream_tbPNSt15iterator_traitsISL_E10value_typeEPNSR_ISM_E10value_typeEPSN_NS1_7vsmem_tEENKUlT_SL_SM_SN_E_clIS8_S8_S9_S9_EESK_S10_SL_SM_SN_EUlS10_E0_NS1_11comp_targetILNS1_3genE3ELNS1_11target_archE908ELNS1_3gpuE7ELNS1_3repE0EEENS1_38merge_mergepath_config_static_selectorELNS0_4arch9wavefront6targetE1EEEvSM_,@function
_ZN7rocprim17ROCPRIM_400000_NS6detail17trampoline_kernelINS0_14default_configENS1_38merge_sort_block_merge_config_selectorIlNS0_10empty_typeEEEZZNS1_27merge_sort_block_merge_implIS3_PlPS5_mZN2at6native12_GLOBAL__N_124unique_dim_cuda_templateIfEESt5tupleIJNSA_6TensorESF_SF_EERKSF_lbbbEUlllE_EE10hipError_tT0_T1_T2_jT3_P12ihipStream_tbPNSt15iterator_traitsISL_E10value_typeEPNSR_ISM_E10value_typeEPSN_NS1_7vsmem_tEENKUlT_SL_SM_SN_E_clIS8_S8_S9_S9_EESK_S10_SL_SM_SN_EUlS10_E0_NS1_11comp_targetILNS1_3genE3ELNS1_11target_archE908ELNS1_3gpuE7ELNS1_3repE0EEENS1_38merge_mergepath_config_static_selectorELNS0_4arch9wavefront6targetE1EEEvSM_: ; @_ZN7rocprim17ROCPRIM_400000_NS6detail17trampoline_kernelINS0_14default_configENS1_38merge_sort_block_merge_config_selectorIlNS0_10empty_typeEEEZZNS1_27merge_sort_block_merge_implIS3_PlPS5_mZN2at6native12_GLOBAL__N_124unique_dim_cuda_templateIfEESt5tupleIJNSA_6TensorESF_SF_EERKSF_lbbbEUlllE_EE10hipError_tT0_T1_T2_jT3_P12ihipStream_tbPNSt15iterator_traitsISL_E10value_typeEPNSR_ISM_E10value_typeEPSN_NS1_7vsmem_tEENKUlT_SL_SM_SN_E_clIS8_S8_S9_S9_EESK_S10_SL_SM_SN_EUlS10_E0_NS1_11comp_targetILNS1_3genE3ELNS1_11target_archE908ELNS1_3gpuE7ELNS1_3repE0EEENS1_38merge_mergepath_config_static_selectorELNS0_4arch9wavefront6targetE1EEEvSM_
; %bb.0:
	.section	.rodata,"a",@progbits
	.p2align	6, 0x0
	.amdhsa_kernel _ZN7rocprim17ROCPRIM_400000_NS6detail17trampoline_kernelINS0_14default_configENS1_38merge_sort_block_merge_config_selectorIlNS0_10empty_typeEEEZZNS1_27merge_sort_block_merge_implIS3_PlPS5_mZN2at6native12_GLOBAL__N_124unique_dim_cuda_templateIfEESt5tupleIJNSA_6TensorESF_SF_EERKSF_lbbbEUlllE_EE10hipError_tT0_T1_T2_jT3_P12ihipStream_tbPNSt15iterator_traitsISL_E10value_typeEPNSR_ISM_E10value_typeEPSN_NS1_7vsmem_tEENKUlT_SL_SM_SN_E_clIS8_S8_S9_S9_EESK_S10_SL_SM_SN_EUlS10_E0_NS1_11comp_targetILNS1_3genE3ELNS1_11target_archE908ELNS1_3gpuE7ELNS1_3repE0EEENS1_38merge_mergepath_config_static_selectorELNS0_4arch9wavefront6targetE1EEEvSM_
		.amdhsa_group_segment_fixed_size 0
		.amdhsa_private_segment_fixed_size 0
		.amdhsa_kernarg_size 88
		.amdhsa_user_sgpr_count 6
		.amdhsa_user_sgpr_private_segment_buffer 1
		.amdhsa_user_sgpr_dispatch_ptr 0
		.amdhsa_user_sgpr_queue_ptr 0
		.amdhsa_user_sgpr_kernarg_segment_ptr 1
		.amdhsa_user_sgpr_dispatch_id 0
		.amdhsa_user_sgpr_flat_scratch_init 0
		.amdhsa_user_sgpr_kernarg_preload_length 0
		.amdhsa_user_sgpr_kernarg_preload_offset 0
		.amdhsa_user_sgpr_private_segment_size 0
		.amdhsa_uses_dynamic_stack 0
		.amdhsa_system_sgpr_private_segment_wavefront_offset 0
		.amdhsa_system_sgpr_workgroup_id_x 1
		.amdhsa_system_sgpr_workgroup_id_y 0
		.amdhsa_system_sgpr_workgroup_id_z 0
		.amdhsa_system_sgpr_workgroup_info 0
		.amdhsa_system_vgpr_workitem_id 0
		.amdhsa_next_free_vgpr 1
		.amdhsa_next_free_sgpr 0
		.amdhsa_accum_offset 4
		.amdhsa_reserve_vcc 0
		.amdhsa_reserve_flat_scratch 0
		.amdhsa_float_round_mode_32 0
		.amdhsa_float_round_mode_16_64 0
		.amdhsa_float_denorm_mode_32 3
		.amdhsa_float_denorm_mode_16_64 3
		.amdhsa_dx10_clamp 1
		.amdhsa_ieee_mode 1
		.amdhsa_fp16_overflow 0
		.amdhsa_tg_split 0
		.amdhsa_exception_fp_ieee_invalid_op 0
		.amdhsa_exception_fp_denorm_src 0
		.amdhsa_exception_fp_ieee_div_zero 0
		.amdhsa_exception_fp_ieee_overflow 0
		.amdhsa_exception_fp_ieee_underflow 0
		.amdhsa_exception_fp_ieee_inexact 0
		.amdhsa_exception_int_div_zero 0
	.end_amdhsa_kernel
	.section	.text._ZN7rocprim17ROCPRIM_400000_NS6detail17trampoline_kernelINS0_14default_configENS1_38merge_sort_block_merge_config_selectorIlNS0_10empty_typeEEEZZNS1_27merge_sort_block_merge_implIS3_PlPS5_mZN2at6native12_GLOBAL__N_124unique_dim_cuda_templateIfEESt5tupleIJNSA_6TensorESF_SF_EERKSF_lbbbEUlllE_EE10hipError_tT0_T1_T2_jT3_P12ihipStream_tbPNSt15iterator_traitsISL_E10value_typeEPNSR_ISM_E10value_typeEPSN_NS1_7vsmem_tEENKUlT_SL_SM_SN_E_clIS8_S8_S9_S9_EESK_S10_SL_SM_SN_EUlS10_E0_NS1_11comp_targetILNS1_3genE3ELNS1_11target_archE908ELNS1_3gpuE7ELNS1_3repE0EEENS1_38merge_mergepath_config_static_selectorELNS0_4arch9wavefront6targetE1EEEvSM_,"axG",@progbits,_ZN7rocprim17ROCPRIM_400000_NS6detail17trampoline_kernelINS0_14default_configENS1_38merge_sort_block_merge_config_selectorIlNS0_10empty_typeEEEZZNS1_27merge_sort_block_merge_implIS3_PlPS5_mZN2at6native12_GLOBAL__N_124unique_dim_cuda_templateIfEESt5tupleIJNSA_6TensorESF_SF_EERKSF_lbbbEUlllE_EE10hipError_tT0_T1_T2_jT3_P12ihipStream_tbPNSt15iterator_traitsISL_E10value_typeEPNSR_ISM_E10value_typeEPSN_NS1_7vsmem_tEENKUlT_SL_SM_SN_E_clIS8_S8_S9_S9_EESK_S10_SL_SM_SN_EUlS10_E0_NS1_11comp_targetILNS1_3genE3ELNS1_11target_archE908ELNS1_3gpuE7ELNS1_3repE0EEENS1_38merge_mergepath_config_static_selectorELNS0_4arch9wavefront6targetE1EEEvSM_,comdat
.Lfunc_end892:
	.size	_ZN7rocprim17ROCPRIM_400000_NS6detail17trampoline_kernelINS0_14default_configENS1_38merge_sort_block_merge_config_selectorIlNS0_10empty_typeEEEZZNS1_27merge_sort_block_merge_implIS3_PlPS5_mZN2at6native12_GLOBAL__N_124unique_dim_cuda_templateIfEESt5tupleIJNSA_6TensorESF_SF_EERKSF_lbbbEUlllE_EE10hipError_tT0_T1_T2_jT3_P12ihipStream_tbPNSt15iterator_traitsISL_E10value_typeEPNSR_ISM_E10value_typeEPSN_NS1_7vsmem_tEENKUlT_SL_SM_SN_E_clIS8_S8_S9_S9_EESK_S10_SL_SM_SN_EUlS10_E0_NS1_11comp_targetILNS1_3genE3ELNS1_11target_archE908ELNS1_3gpuE7ELNS1_3repE0EEENS1_38merge_mergepath_config_static_selectorELNS0_4arch9wavefront6targetE1EEEvSM_, .Lfunc_end892-_ZN7rocprim17ROCPRIM_400000_NS6detail17trampoline_kernelINS0_14default_configENS1_38merge_sort_block_merge_config_selectorIlNS0_10empty_typeEEEZZNS1_27merge_sort_block_merge_implIS3_PlPS5_mZN2at6native12_GLOBAL__N_124unique_dim_cuda_templateIfEESt5tupleIJNSA_6TensorESF_SF_EERKSF_lbbbEUlllE_EE10hipError_tT0_T1_T2_jT3_P12ihipStream_tbPNSt15iterator_traitsISL_E10value_typeEPNSR_ISM_E10value_typeEPSN_NS1_7vsmem_tEENKUlT_SL_SM_SN_E_clIS8_S8_S9_S9_EESK_S10_SL_SM_SN_EUlS10_E0_NS1_11comp_targetILNS1_3genE3ELNS1_11target_archE908ELNS1_3gpuE7ELNS1_3repE0EEENS1_38merge_mergepath_config_static_selectorELNS0_4arch9wavefront6targetE1EEEvSM_
                                        ; -- End function
	.section	.AMDGPU.csdata,"",@progbits
; Kernel info:
; codeLenInByte = 0
; NumSgprs: 4
; NumVgprs: 0
; NumAgprs: 0
; TotalNumVgprs: 0
; ScratchSize: 0
; MemoryBound: 0
; FloatMode: 240
; IeeeMode: 1
; LDSByteSize: 0 bytes/workgroup (compile time only)
; SGPRBlocks: 0
; VGPRBlocks: 0
; NumSGPRsForWavesPerEU: 4
; NumVGPRsForWavesPerEU: 1
; AccumOffset: 4
; Occupancy: 8
; WaveLimiterHint : 0
; COMPUTE_PGM_RSRC2:SCRATCH_EN: 0
; COMPUTE_PGM_RSRC2:USER_SGPR: 6
; COMPUTE_PGM_RSRC2:TRAP_HANDLER: 0
; COMPUTE_PGM_RSRC2:TGID_X_EN: 1
; COMPUTE_PGM_RSRC2:TGID_Y_EN: 0
; COMPUTE_PGM_RSRC2:TGID_Z_EN: 0
; COMPUTE_PGM_RSRC2:TIDIG_COMP_CNT: 0
; COMPUTE_PGM_RSRC3_GFX90A:ACCUM_OFFSET: 0
; COMPUTE_PGM_RSRC3_GFX90A:TG_SPLIT: 0
	.section	.text._ZN7rocprim17ROCPRIM_400000_NS6detail17trampoline_kernelINS0_14default_configENS1_38merge_sort_block_merge_config_selectorIlNS0_10empty_typeEEEZZNS1_27merge_sort_block_merge_implIS3_PlPS5_mZN2at6native12_GLOBAL__N_124unique_dim_cuda_templateIfEESt5tupleIJNSA_6TensorESF_SF_EERKSF_lbbbEUlllE_EE10hipError_tT0_T1_T2_jT3_P12ihipStream_tbPNSt15iterator_traitsISL_E10value_typeEPNSR_ISM_E10value_typeEPSN_NS1_7vsmem_tEENKUlT_SL_SM_SN_E_clIS8_S8_S9_S9_EESK_S10_SL_SM_SN_EUlS10_E0_NS1_11comp_targetILNS1_3genE2ELNS1_11target_archE906ELNS1_3gpuE6ELNS1_3repE0EEENS1_38merge_mergepath_config_static_selectorELNS0_4arch9wavefront6targetE1EEEvSM_,"axG",@progbits,_ZN7rocprim17ROCPRIM_400000_NS6detail17trampoline_kernelINS0_14default_configENS1_38merge_sort_block_merge_config_selectorIlNS0_10empty_typeEEEZZNS1_27merge_sort_block_merge_implIS3_PlPS5_mZN2at6native12_GLOBAL__N_124unique_dim_cuda_templateIfEESt5tupleIJNSA_6TensorESF_SF_EERKSF_lbbbEUlllE_EE10hipError_tT0_T1_T2_jT3_P12ihipStream_tbPNSt15iterator_traitsISL_E10value_typeEPNSR_ISM_E10value_typeEPSN_NS1_7vsmem_tEENKUlT_SL_SM_SN_E_clIS8_S8_S9_S9_EESK_S10_SL_SM_SN_EUlS10_E0_NS1_11comp_targetILNS1_3genE2ELNS1_11target_archE906ELNS1_3gpuE6ELNS1_3repE0EEENS1_38merge_mergepath_config_static_selectorELNS0_4arch9wavefront6targetE1EEEvSM_,comdat
	.globl	_ZN7rocprim17ROCPRIM_400000_NS6detail17trampoline_kernelINS0_14default_configENS1_38merge_sort_block_merge_config_selectorIlNS0_10empty_typeEEEZZNS1_27merge_sort_block_merge_implIS3_PlPS5_mZN2at6native12_GLOBAL__N_124unique_dim_cuda_templateIfEESt5tupleIJNSA_6TensorESF_SF_EERKSF_lbbbEUlllE_EE10hipError_tT0_T1_T2_jT3_P12ihipStream_tbPNSt15iterator_traitsISL_E10value_typeEPNSR_ISM_E10value_typeEPSN_NS1_7vsmem_tEENKUlT_SL_SM_SN_E_clIS8_S8_S9_S9_EESK_S10_SL_SM_SN_EUlS10_E0_NS1_11comp_targetILNS1_3genE2ELNS1_11target_archE906ELNS1_3gpuE6ELNS1_3repE0EEENS1_38merge_mergepath_config_static_selectorELNS0_4arch9wavefront6targetE1EEEvSM_ ; -- Begin function _ZN7rocprim17ROCPRIM_400000_NS6detail17trampoline_kernelINS0_14default_configENS1_38merge_sort_block_merge_config_selectorIlNS0_10empty_typeEEEZZNS1_27merge_sort_block_merge_implIS3_PlPS5_mZN2at6native12_GLOBAL__N_124unique_dim_cuda_templateIfEESt5tupleIJNSA_6TensorESF_SF_EERKSF_lbbbEUlllE_EE10hipError_tT0_T1_T2_jT3_P12ihipStream_tbPNSt15iterator_traitsISL_E10value_typeEPNSR_ISM_E10value_typeEPSN_NS1_7vsmem_tEENKUlT_SL_SM_SN_E_clIS8_S8_S9_S9_EESK_S10_SL_SM_SN_EUlS10_E0_NS1_11comp_targetILNS1_3genE2ELNS1_11target_archE906ELNS1_3gpuE6ELNS1_3repE0EEENS1_38merge_mergepath_config_static_selectorELNS0_4arch9wavefront6targetE1EEEvSM_
	.p2align	8
	.type	_ZN7rocprim17ROCPRIM_400000_NS6detail17trampoline_kernelINS0_14default_configENS1_38merge_sort_block_merge_config_selectorIlNS0_10empty_typeEEEZZNS1_27merge_sort_block_merge_implIS3_PlPS5_mZN2at6native12_GLOBAL__N_124unique_dim_cuda_templateIfEESt5tupleIJNSA_6TensorESF_SF_EERKSF_lbbbEUlllE_EE10hipError_tT0_T1_T2_jT3_P12ihipStream_tbPNSt15iterator_traitsISL_E10value_typeEPNSR_ISM_E10value_typeEPSN_NS1_7vsmem_tEENKUlT_SL_SM_SN_E_clIS8_S8_S9_S9_EESK_S10_SL_SM_SN_EUlS10_E0_NS1_11comp_targetILNS1_3genE2ELNS1_11target_archE906ELNS1_3gpuE6ELNS1_3repE0EEENS1_38merge_mergepath_config_static_selectorELNS0_4arch9wavefront6targetE1EEEvSM_,@function
_ZN7rocprim17ROCPRIM_400000_NS6detail17trampoline_kernelINS0_14default_configENS1_38merge_sort_block_merge_config_selectorIlNS0_10empty_typeEEEZZNS1_27merge_sort_block_merge_implIS3_PlPS5_mZN2at6native12_GLOBAL__N_124unique_dim_cuda_templateIfEESt5tupleIJNSA_6TensorESF_SF_EERKSF_lbbbEUlllE_EE10hipError_tT0_T1_T2_jT3_P12ihipStream_tbPNSt15iterator_traitsISL_E10value_typeEPNSR_ISM_E10value_typeEPSN_NS1_7vsmem_tEENKUlT_SL_SM_SN_E_clIS8_S8_S9_S9_EESK_S10_SL_SM_SN_EUlS10_E0_NS1_11comp_targetILNS1_3genE2ELNS1_11target_archE906ELNS1_3gpuE6ELNS1_3repE0EEENS1_38merge_mergepath_config_static_selectorELNS0_4arch9wavefront6targetE1EEEvSM_: ; @_ZN7rocprim17ROCPRIM_400000_NS6detail17trampoline_kernelINS0_14default_configENS1_38merge_sort_block_merge_config_selectorIlNS0_10empty_typeEEEZZNS1_27merge_sort_block_merge_implIS3_PlPS5_mZN2at6native12_GLOBAL__N_124unique_dim_cuda_templateIfEESt5tupleIJNSA_6TensorESF_SF_EERKSF_lbbbEUlllE_EE10hipError_tT0_T1_T2_jT3_P12ihipStream_tbPNSt15iterator_traitsISL_E10value_typeEPNSR_ISM_E10value_typeEPSN_NS1_7vsmem_tEENKUlT_SL_SM_SN_E_clIS8_S8_S9_S9_EESK_S10_SL_SM_SN_EUlS10_E0_NS1_11comp_targetILNS1_3genE2ELNS1_11target_archE906ELNS1_3gpuE6ELNS1_3repE0EEENS1_38merge_mergepath_config_static_selectorELNS0_4arch9wavefront6targetE1EEEvSM_
; %bb.0:
	.section	.rodata,"a",@progbits
	.p2align	6, 0x0
	.amdhsa_kernel _ZN7rocprim17ROCPRIM_400000_NS6detail17trampoline_kernelINS0_14default_configENS1_38merge_sort_block_merge_config_selectorIlNS0_10empty_typeEEEZZNS1_27merge_sort_block_merge_implIS3_PlPS5_mZN2at6native12_GLOBAL__N_124unique_dim_cuda_templateIfEESt5tupleIJNSA_6TensorESF_SF_EERKSF_lbbbEUlllE_EE10hipError_tT0_T1_T2_jT3_P12ihipStream_tbPNSt15iterator_traitsISL_E10value_typeEPNSR_ISM_E10value_typeEPSN_NS1_7vsmem_tEENKUlT_SL_SM_SN_E_clIS8_S8_S9_S9_EESK_S10_SL_SM_SN_EUlS10_E0_NS1_11comp_targetILNS1_3genE2ELNS1_11target_archE906ELNS1_3gpuE6ELNS1_3repE0EEENS1_38merge_mergepath_config_static_selectorELNS0_4arch9wavefront6targetE1EEEvSM_
		.amdhsa_group_segment_fixed_size 0
		.amdhsa_private_segment_fixed_size 0
		.amdhsa_kernarg_size 88
		.amdhsa_user_sgpr_count 6
		.amdhsa_user_sgpr_private_segment_buffer 1
		.amdhsa_user_sgpr_dispatch_ptr 0
		.amdhsa_user_sgpr_queue_ptr 0
		.amdhsa_user_sgpr_kernarg_segment_ptr 1
		.amdhsa_user_sgpr_dispatch_id 0
		.amdhsa_user_sgpr_flat_scratch_init 0
		.amdhsa_user_sgpr_kernarg_preload_length 0
		.amdhsa_user_sgpr_kernarg_preload_offset 0
		.amdhsa_user_sgpr_private_segment_size 0
		.amdhsa_uses_dynamic_stack 0
		.amdhsa_system_sgpr_private_segment_wavefront_offset 0
		.amdhsa_system_sgpr_workgroup_id_x 1
		.amdhsa_system_sgpr_workgroup_id_y 0
		.amdhsa_system_sgpr_workgroup_id_z 0
		.amdhsa_system_sgpr_workgroup_info 0
		.amdhsa_system_vgpr_workitem_id 0
		.amdhsa_next_free_vgpr 1
		.amdhsa_next_free_sgpr 0
		.amdhsa_accum_offset 4
		.amdhsa_reserve_vcc 0
		.amdhsa_reserve_flat_scratch 0
		.amdhsa_float_round_mode_32 0
		.amdhsa_float_round_mode_16_64 0
		.amdhsa_float_denorm_mode_32 3
		.amdhsa_float_denorm_mode_16_64 3
		.amdhsa_dx10_clamp 1
		.amdhsa_ieee_mode 1
		.amdhsa_fp16_overflow 0
		.amdhsa_tg_split 0
		.amdhsa_exception_fp_ieee_invalid_op 0
		.amdhsa_exception_fp_denorm_src 0
		.amdhsa_exception_fp_ieee_div_zero 0
		.amdhsa_exception_fp_ieee_overflow 0
		.amdhsa_exception_fp_ieee_underflow 0
		.amdhsa_exception_fp_ieee_inexact 0
		.amdhsa_exception_int_div_zero 0
	.end_amdhsa_kernel
	.section	.text._ZN7rocprim17ROCPRIM_400000_NS6detail17trampoline_kernelINS0_14default_configENS1_38merge_sort_block_merge_config_selectorIlNS0_10empty_typeEEEZZNS1_27merge_sort_block_merge_implIS3_PlPS5_mZN2at6native12_GLOBAL__N_124unique_dim_cuda_templateIfEESt5tupleIJNSA_6TensorESF_SF_EERKSF_lbbbEUlllE_EE10hipError_tT0_T1_T2_jT3_P12ihipStream_tbPNSt15iterator_traitsISL_E10value_typeEPNSR_ISM_E10value_typeEPSN_NS1_7vsmem_tEENKUlT_SL_SM_SN_E_clIS8_S8_S9_S9_EESK_S10_SL_SM_SN_EUlS10_E0_NS1_11comp_targetILNS1_3genE2ELNS1_11target_archE906ELNS1_3gpuE6ELNS1_3repE0EEENS1_38merge_mergepath_config_static_selectorELNS0_4arch9wavefront6targetE1EEEvSM_,"axG",@progbits,_ZN7rocprim17ROCPRIM_400000_NS6detail17trampoline_kernelINS0_14default_configENS1_38merge_sort_block_merge_config_selectorIlNS0_10empty_typeEEEZZNS1_27merge_sort_block_merge_implIS3_PlPS5_mZN2at6native12_GLOBAL__N_124unique_dim_cuda_templateIfEESt5tupleIJNSA_6TensorESF_SF_EERKSF_lbbbEUlllE_EE10hipError_tT0_T1_T2_jT3_P12ihipStream_tbPNSt15iterator_traitsISL_E10value_typeEPNSR_ISM_E10value_typeEPSN_NS1_7vsmem_tEENKUlT_SL_SM_SN_E_clIS8_S8_S9_S9_EESK_S10_SL_SM_SN_EUlS10_E0_NS1_11comp_targetILNS1_3genE2ELNS1_11target_archE906ELNS1_3gpuE6ELNS1_3repE0EEENS1_38merge_mergepath_config_static_selectorELNS0_4arch9wavefront6targetE1EEEvSM_,comdat
.Lfunc_end893:
	.size	_ZN7rocprim17ROCPRIM_400000_NS6detail17trampoline_kernelINS0_14default_configENS1_38merge_sort_block_merge_config_selectorIlNS0_10empty_typeEEEZZNS1_27merge_sort_block_merge_implIS3_PlPS5_mZN2at6native12_GLOBAL__N_124unique_dim_cuda_templateIfEESt5tupleIJNSA_6TensorESF_SF_EERKSF_lbbbEUlllE_EE10hipError_tT0_T1_T2_jT3_P12ihipStream_tbPNSt15iterator_traitsISL_E10value_typeEPNSR_ISM_E10value_typeEPSN_NS1_7vsmem_tEENKUlT_SL_SM_SN_E_clIS8_S8_S9_S9_EESK_S10_SL_SM_SN_EUlS10_E0_NS1_11comp_targetILNS1_3genE2ELNS1_11target_archE906ELNS1_3gpuE6ELNS1_3repE0EEENS1_38merge_mergepath_config_static_selectorELNS0_4arch9wavefront6targetE1EEEvSM_, .Lfunc_end893-_ZN7rocprim17ROCPRIM_400000_NS6detail17trampoline_kernelINS0_14default_configENS1_38merge_sort_block_merge_config_selectorIlNS0_10empty_typeEEEZZNS1_27merge_sort_block_merge_implIS3_PlPS5_mZN2at6native12_GLOBAL__N_124unique_dim_cuda_templateIfEESt5tupleIJNSA_6TensorESF_SF_EERKSF_lbbbEUlllE_EE10hipError_tT0_T1_T2_jT3_P12ihipStream_tbPNSt15iterator_traitsISL_E10value_typeEPNSR_ISM_E10value_typeEPSN_NS1_7vsmem_tEENKUlT_SL_SM_SN_E_clIS8_S8_S9_S9_EESK_S10_SL_SM_SN_EUlS10_E0_NS1_11comp_targetILNS1_3genE2ELNS1_11target_archE906ELNS1_3gpuE6ELNS1_3repE0EEENS1_38merge_mergepath_config_static_selectorELNS0_4arch9wavefront6targetE1EEEvSM_
                                        ; -- End function
	.section	.AMDGPU.csdata,"",@progbits
; Kernel info:
; codeLenInByte = 0
; NumSgprs: 4
; NumVgprs: 0
; NumAgprs: 0
; TotalNumVgprs: 0
; ScratchSize: 0
; MemoryBound: 0
; FloatMode: 240
; IeeeMode: 1
; LDSByteSize: 0 bytes/workgroup (compile time only)
; SGPRBlocks: 0
; VGPRBlocks: 0
; NumSGPRsForWavesPerEU: 4
; NumVGPRsForWavesPerEU: 1
; AccumOffset: 4
; Occupancy: 8
; WaveLimiterHint : 0
; COMPUTE_PGM_RSRC2:SCRATCH_EN: 0
; COMPUTE_PGM_RSRC2:USER_SGPR: 6
; COMPUTE_PGM_RSRC2:TRAP_HANDLER: 0
; COMPUTE_PGM_RSRC2:TGID_X_EN: 1
; COMPUTE_PGM_RSRC2:TGID_Y_EN: 0
; COMPUTE_PGM_RSRC2:TGID_Z_EN: 0
; COMPUTE_PGM_RSRC2:TIDIG_COMP_CNT: 0
; COMPUTE_PGM_RSRC3_GFX90A:ACCUM_OFFSET: 0
; COMPUTE_PGM_RSRC3_GFX90A:TG_SPLIT: 0
	.section	.text._ZN7rocprim17ROCPRIM_400000_NS6detail17trampoline_kernelINS0_14default_configENS1_38merge_sort_block_merge_config_selectorIlNS0_10empty_typeEEEZZNS1_27merge_sort_block_merge_implIS3_PlPS5_mZN2at6native12_GLOBAL__N_124unique_dim_cuda_templateIfEESt5tupleIJNSA_6TensorESF_SF_EERKSF_lbbbEUlllE_EE10hipError_tT0_T1_T2_jT3_P12ihipStream_tbPNSt15iterator_traitsISL_E10value_typeEPNSR_ISM_E10value_typeEPSN_NS1_7vsmem_tEENKUlT_SL_SM_SN_E_clIS8_S8_S9_S9_EESK_S10_SL_SM_SN_EUlS10_E0_NS1_11comp_targetILNS1_3genE9ELNS1_11target_archE1100ELNS1_3gpuE3ELNS1_3repE0EEENS1_38merge_mergepath_config_static_selectorELNS0_4arch9wavefront6targetE1EEEvSM_,"axG",@progbits,_ZN7rocprim17ROCPRIM_400000_NS6detail17trampoline_kernelINS0_14default_configENS1_38merge_sort_block_merge_config_selectorIlNS0_10empty_typeEEEZZNS1_27merge_sort_block_merge_implIS3_PlPS5_mZN2at6native12_GLOBAL__N_124unique_dim_cuda_templateIfEESt5tupleIJNSA_6TensorESF_SF_EERKSF_lbbbEUlllE_EE10hipError_tT0_T1_T2_jT3_P12ihipStream_tbPNSt15iterator_traitsISL_E10value_typeEPNSR_ISM_E10value_typeEPSN_NS1_7vsmem_tEENKUlT_SL_SM_SN_E_clIS8_S8_S9_S9_EESK_S10_SL_SM_SN_EUlS10_E0_NS1_11comp_targetILNS1_3genE9ELNS1_11target_archE1100ELNS1_3gpuE3ELNS1_3repE0EEENS1_38merge_mergepath_config_static_selectorELNS0_4arch9wavefront6targetE1EEEvSM_,comdat
	.globl	_ZN7rocprim17ROCPRIM_400000_NS6detail17trampoline_kernelINS0_14default_configENS1_38merge_sort_block_merge_config_selectorIlNS0_10empty_typeEEEZZNS1_27merge_sort_block_merge_implIS3_PlPS5_mZN2at6native12_GLOBAL__N_124unique_dim_cuda_templateIfEESt5tupleIJNSA_6TensorESF_SF_EERKSF_lbbbEUlllE_EE10hipError_tT0_T1_T2_jT3_P12ihipStream_tbPNSt15iterator_traitsISL_E10value_typeEPNSR_ISM_E10value_typeEPSN_NS1_7vsmem_tEENKUlT_SL_SM_SN_E_clIS8_S8_S9_S9_EESK_S10_SL_SM_SN_EUlS10_E0_NS1_11comp_targetILNS1_3genE9ELNS1_11target_archE1100ELNS1_3gpuE3ELNS1_3repE0EEENS1_38merge_mergepath_config_static_selectorELNS0_4arch9wavefront6targetE1EEEvSM_ ; -- Begin function _ZN7rocprim17ROCPRIM_400000_NS6detail17trampoline_kernelINS0_14default_configENS1_38merge_sort_block_merge_config_selectorIlNS0_10empty_typeEEEZZNS1_27merge_sort_block_merge_implIS3_PlPS5_mZN2at6native12_GLOBAL__N_124unique_dim_cuda_templateIfEESt5tupleIJNSA_6TensorESF_SF_EERKSF_lbbbEUlllE_EE10hipError_tT0_T1_T2_jT3_P12ihipStream_tbPNSt15iterator_traitsISL_E10value_typeEPNSR_ISM_E10value_typeEPSN_NS1_7vsmem_tEENKUlT_SL_SM_SN_E_clIS8_S8_S9_S9_EESK_S10_SL_SM_SN_EUlS10_E0_NS1_11comp_targetILNS1_3genE9ELNS1_11target_archE1100ELNS1_3gpuE3ELNS1_3repE0EEENS1_38merge_mergepath_config_static_selectorELNS0_4arch9wavefront6targetE1EEEvSM_
	.p2align	8
	.type	_ZN7rocprim17ROCPRIM_400000_NS6detail17trampoline_kernelINS0_14default_configENS1_38merge_sort_block_merge_config_selectorIlNS0_10empty_typeEEEZZNS1_27merge_sort_block_merge_implIS3_PlPS5_mZN2at6native12_GLOBAL__N_124unique_dim_cuda_templateIfEESt5tupleIJNSA_6TensorESF_SF_EERKSF_lbbbEUlllE_EE10hipError_tT0_T1_T2_jT3_P12ihipStream_tbPNSt15iterator_traitsISL_E10value_typeEPNSR_ISM_E10value_typeEPSN_NS1_7vsmem_tEENKUlT_SL_SM_SN_E_clIS8_S8_S9_S9_EESK_S10_SL_SM_SN_EUlS10_E0_NS1_11comp_targetILNS1_3genE9ELNS1_11target_archE1100ELNS1_3gpuE3ELNS1_3repE0EEENS1_38merge_mergepath_config_static_selectorELNS0_4arch9wavefront6targetE1EEEvSM_,@function
_ZN7rocprim17ROCPRIM_400000_NS6detail17trampoline_kernelINS0_14default_configENS1_38merge_sort_block_merge_config_selectorIlNS0_10empty_typeEEEZZNS1_27merge_sort_block_merge_implIS3_PlPS5_mZN2at6native12_GLOBAL__N_124unique_dim_cuda_templateIfEESt5tupleIJNSA_6TensorESF_SF_EERKSF_lbbbEUlllE_EE10hipError_tT0_T1_T2_jT3_P12ihipStream_tbPNSt15iterator_traitsISL_E10value_typeEPNSR_ISM_E10value_typeEPSN_NS1_7vsmem_tEENKUlT_SL_SM_SN_E_clIS8_S8_S9_S9_EESK_S10_SL_SM_SN_EUlS10_E0_NS1_11comp_targetILNS1_3genE9ELNS1_11target_archE1100ELNS1_3gpuE3ELNS1_3repE0EEENS1_38merge_mergepath_config_static_selectorELNS0_4arch9wavefront6targetE1EEEvSM_: ; @_ZN7rocprim17ROCPRIM_400000_NS6detail17trampoline_kernelINS0_14default_configENS1_38merge_sort_block_merge_config_selectorIlNS0_10empty_typeEEEZZNS1_27merge_sort_block_merge_implIS3_PlPS5_mZN2at6native12_GLOBAL__N_124unique_dim_cuda_templateIfEESt5tupleIJNSA_6TensorESF_SF_EERKSF_lbbbEUlllE_EE10hipError_tT0_T1_T2_jT3_P12ihipStream_tbPNSt15iterator_traitsISL_E10value_typeEPNSR_ISM_E10value_typeEPSN_NS1_7vsmem_tEENKUlT_SL_SM_SN_E_clIS8_S8_S9_S9_EESK_S10_SL_SM_SN_EUlS10_E0_NS1_11comp_targetILNS1_3genE9ELNS1_11target_archE1100ELNS1_3gpuE3ELNS1_3repE0EEENS1_38merge_mergepath_config_static_selectorELNS0_4arch9wavefront6targetE1EEEvSM_
; %bb.0:
	.section	.rodata,"a",@progbits
	.p2align	6, 0x0
	.amdhsa_kernel _ZN7rocprim17ROCPRIM_400000_NS6detail17trampoline_kernelINS0_14default_configENS1_38merge_sort_block_merge_config_selectorIlNS0_10empty_typeEEEZZNS1_27merge_sort_block_merge_implIS3_PlPS5_mZN2at6native12_GLOBAL__N_124unique_dim_cuda_templateIfEESt5tupleIJNSA_6TensorESF_SF_EERKSF_lbbbEUlllE_EE10hipError_tT0_T1_T2_jT3_P12ihipStream_tbPNSt15iterator_traitsISL_E10value_typeEPNSR_ISM_E10value_typeEPSN_NS1_7vsmem_tEENKUlT_SL_SM_SN_E_clIS8_S8_S9_S9_EESK_S10_SL_SM_SN_EUlS10_E0_NS1_11comp_targetILNS1_3genE9ELNS1_11target_archE1100ELNS1_3gpuE3ELNS1_3repE0EEENS1_38merge_mergepath_config_static_selectorELNS0_4arch9wavefront6targetE1EEEvSM_
		.amdhsa_group_segment_fixed_size 0
		.amdhsa_private_segment_fixed_size 0
		.amdhsa_kernarg_size 88
		.amdhsa_user_sgpr_count 6
		.amdhsa_user_sgpr_private_segment_buffer 1
		.amdhsa_user_sgpr_dispatch_ptr 0
		.amdhsa_user_sgpr_queue_ptr 0
		.amdhsa_user_sgpr_kernarg_segment_ptr 1
		.amdhsa_user_sgpr_dispatch_id 0
		.amdhsa_user_sgpr_flat_scratch_init 0
		.amdhsa_user_sgpr_kernarg_preload_length 0
		.amdhsa_user_sgpr_kernarg_preload_offset 0
		.amdhsa_user_sgpr_private_segment_size 0
		.amdhsa_uses_dynamic_stack 0
		.amdhsa_system_sgpr_private_segment_wavefront_offset 0
		.amdhsa_system_sgpr_workgroup_id_x 1
		.amdhsa_system_sgpr_workgroup_id_y 0
		.amdhsa_system_sgpr_workgroup_id_z 0
		.amdhsa_system_sgpr_workgroup_info 0
		.amdhsa_system_vgpr_workitem_id 0
		.amdhsa_next_free_vgpr 1
		.amdhsa_next_free_sgpr 0
		.amdhsa_accum_offset 4
		.amdhsa_reserve_vcc 0
		.amdhsa_reserve_flat_scratch 0
		.amdhsa_float_round_mode_32 0
		.amdhsa_float_round_mode_16_64 0
		.amdhsa_float_denorm_mode_32 3
		.amdhsa_float_denorm_mode_16_64 3
		.amdhsa_dx10_clamp 1
		.amdhsa_ieee_mode 1
		.amdhsa_fp16_overflow 0
		.amdhsa_tg_split 0
		.amdhsa_exception_fp_ieee_invalid_op 0
		.amdhsa_exception_fp_denorm_src 0
		.amdhsa_exception_fp_ieee_div_zero 0
		.amdhsa_exception_fp_ieee_overflow 0
		.amdhsa_exception_fp_ieee_underflow 0
		.amdhsa_exception_fp_ieee_inexact 0
		.amdhsa_exception_int_div_zero 0
	.end_amdhsa_kernel
	.section	.text._ZN7rocprim17ROCPRIM_400000_NS6detail17trampoline_kernelINS0_14default_configENS1_38merge_sort_block_merge_config_selectorIlNS0_10empty_typeEEEZZNS1_27merge_sort_block_merge_implIS3_PlPS5_mZN2at6native12_GLOBAL__N_124unique_dim_cuda_templateIfEESt5tupleIJNSA_6TensorESF_SF_EERKSF_lbbbEUlllE_EE10hipError_tT0_T1_T2_jT3_P12ihipStream_tbPNSt15iterator_traitsISL_E10value_typeEPNSR_ISM_E10value_typeEPSN_NS1_7vsmem_tEENKUlT_SL_SM_SN_E_clIS8_S8_S9_S9_EESK_S10_SL_SM_SN_EUlS10_E0_NS1_11comp_targetILNS1_3genE9ELNS1_11target_archE1100ELNS1_3gpuE3ELNS1_3repE0EEENS1_38merge_mergepath_config_static_selectorELNS0_4arch9wavefront6targetE1EEEvSM_,"axG",@progbits,_ZN7rocprim17ROCPRIM_400000_NS6detail17trampoline_kernelINS0_14default_configENS1_38merge_sort_block_merge_config_selectorIlNS0_10empty_typeEEEZZNS1_27merge_sort_block_merge_implIS3_PlPS5_mZN2at6native12_GLOBAL__N_124unique_dim_cuda_templateIfEESt5tupleIJNSA_6TensorESF_SF_EERKSF_lbbbEUlllE_EE10hipError_tT0_T1_T2_jT3_P12ihipStream_tbPNSt15iterator_traitsISL_E10value_typeEPNSR_ISM_E10value_typeEPSN_NS1_7vsmem_tEENKUlT_SL_SM_SN_E_clIS8_S8_S9_S9_EESK_S10_SL_SM_SN_EUlS10_E0_NS1_11comp_targetILNS1_3genE9ELNS1_11target_archE1100ELNS1_3gpuE3ELNS1_3repE0EEENS1_38merge_mergepath_config_static_selectorELNS0_4arch9wavefront6targetE1EEEvSM_,comdat
.Lfunc_end894:
	.size	_ZN7rocprim17ROCPRIM_400000_NS6detail17trampoline_kernelINS0_14default_configENS1_38merge_sort_block_merge_config_selectorIlNS0_10empty_typeEEEZZNS1_27merge_sort_block_merge_implIS3_PlPS5_mZN2at6native12_GLOBAL__N_124unique_dim_cuda_templateIfEESt5tupleIJNSA_6TensorESF_SF_EERKSF_lbbbEUlllE_EE10hipError_tT0_T1_T2_jT3_P12ihipStream_tbPNSt15iterator_traitsISL_E10value_typeEPNSR_ISM_E10value_typeEPSN_NS1_7vsmem_tEENKUlT_SL_SM_SN_E_clIS8_S8_S9_S9_EESK_S10_SL_SM_SN_EUlS10_E0_NS1_11comp_targetILNS1_3genE9ELNS1_11target_archE1100ELNS1_3gpuE3ELNS1_3repE0EEENS1_38merge_mergepath_config_static_selectorELNS0_4arch9wavefront6targetE1EEEvSM_, .Lfunc_end894-_ZN7rocprim17ROCPRIM_400000_NS6detail17trampoline_kernelINS0_14default_configENS1_38merge_sort_block_merge_config_selectorIlNS0_10empty_typeEEEZZNS1_27merge_sort_block_merge_implIS3_PlPS5_mZN2at6native12_GLOBAL__N_124unique_dim_cuda_templateIfEESt5tupleIJNSA_6TensorESF_SF_EERKSF_lbbbEUlllE_EE10hipError_tT0_T1_T2_jT3_P12ihipStream_tbPNSt15iterator_traitsISL_E10value_typeEPNSR_ISM_E10value_typeEPSN_NS1_7vsmem_tEENKUlT_SL_SM_SN_E_clIS8_S8_S9_S9_EESK_S10_SL_SM_SN_EUlS10_E0_NS1_11comp_targetILNS1_3genE9ELNS1_11target_archE1100ELNS1_3gpuE3ELNS1_3repE0EEENS1_38merge_mergepath_config_static_selectorELNS0_4arch9wavefront6targetE1EEEvSM_
                                        ; -- End function
	.section	.AMDGPU.csdata,"",@progbits
; Kernel info:
; codeLenInByte = 0
; NumSgprs: 4
; NumVgprs: 0
; NumAgprs: 0
; TotalNumVgprs: 0
; ScratchSize: 0
; MemoryBound: 0
; FloatMode: 240
; IeeeMode: 1
; LDSByteSize: 0 bytes/workgroup (compile time only)
; SGPRBlocks: 0
; VGPRBlocks: 0
; NumSGPRsForWavesPerEU: 4
; NumVGPRsForWavesPerEU: 1
; AccumOffset: 4
; Occupancy: 8
; WaveLimiterHint : 0
; COMPUTE_PGM_RSRC2:SCRATCH_EN: 0
; COMPUTE_PGM_RSRC2:USER_SGPR: 6
; COMPUTE_PGM_RSRC2:TRAP_HANDLER: 0
; COMPUTE_PGM_RSRC2:TGID_X_EN: 1
; COMPUTE_PGM_RSRC2:TGID_Y_EN: 0
; COMPUTE_PGM_RSRC2:TGID_Z_EN: 0
; COMPUTE_PGM_RSRC2:TIDIG_COMP_CNT: 0
; COMPUTE_PGM_RSRC3_GFX90A:ACCUM_OFFSET: 0
; COMPUTE_PGM_RSRC3_GFX90A:TG_SPLIT: 0
	.section	.text._ZN7rocprim17ROCPRIM_400000_NS6detail17trampoline_kernelINS0_14default_configENS1_38merge_sort_block_merge_config_selectorIlNS0_10empty_typeEEEZZNS1_27merge_sort_block_merge_implIS3_PlPS5_mZN2at6native12_GLOBAL__N_124unique_dim_cuda_templateIfEESt5tupleIJNSA_6TensorESF_SF_EERKSF_lbbbEUlllE_EE10hipError_tT0_T1_T2_jT3_P12ihipStream_tbPNSt15iterator_traitsISL_E10value_typeEPNSR_ISM_E10value_typeEPSN_NS1_7vsmem_tEENKUlT_SL_SM_SN_E_clIS8_S8_S9_S9_EESK_S10_SL_SM_SN_EUlS10_E0_NS1_11comp_targetILNS1_3genE8ELNS1_11target_archE1030ELNS1_3gpuE2ELNS1_3repE0EEENS1_38merge_mergepath_config_static_selectorELNS0_4arch9wavefront6targetE1EEEvSM_,"axG",@progbits,_ZN7rocprim17ROCPRIM_400000_NS6detail17trampoline_kernelINS0_14default_configENS1_38merge_sort_block_merge_config_selectorIlNS0_10empty_typeEEEZZNS1_27merge_sort_block_merge_implIS3_PlPS5_mZN2at6native12_GLOBAL__N_124unique_dim_cuda_templateIfEESt5tupleIJNSA_6TensorESF_SF_EERKSF_lbbbEUlllE_EE10hipError_tT0_T1_T2_jT3_P12ihipStream_tbPNSt15iterator_traitsISL_E10value_typeEPNSR_ISM_E10value_typeEPSN_NS1_7vsmem_tEENKUlT_SL_SM_SN_E_clIS8_S8_S9_S9_EESK_S10_SL_SM_SN_EUlS10_E0_NS1_11comp_targetILNS1_3genE8ELNS1_11target_archE1030ELNS1_3gpuE2ELNS1_3repE0EEENS1_38merge_mergepath_config_static_selectorELNS0_4arch9wavefront6targetE1EEEvSM_,comdat
	.globl	_ZN7rocprim17ROCPRIM_400000_NS6detail17trampoline_kernelINS0_14default_configENS1_38merge_sort_block_merge_config_selectorIlNS0_10empty_typeEEEZZNS1_27merge_sort_block_merge_implIS3_PlPS5_mZN2at6native12_GLOBAL__N_124unique_dim_cuda_templateIfEESt5tupleIJNSA_6TensorESF_SF_EERKSF_lbbbEUlllE_EE10hipError_tT0_T1_T2_jT3_P12ihipStream_tbPNSt15iterator_traitsISL_E10value_typeEPNSR_ISM_E10value_typeEPSN_NS1_7vsmem_tEENKUlT_SL_SM_SN_E_clIS8_S8_S9_S9_EESK_S10_SL_SM_SN_EUlS10_E0_NS1_11comp_targetILNS1_3genE8ELNS1_11target_archE1030ELNS1_3gpuE2ELNS1_3repE0EEENS1_38merge_mergepath_config_static_selectorELNS0_4arch9wavefront6targetE1EEEvSM_ ; -- Begin function _ZN7rocprim17ROCPRIM_400000_NS6detail17trampoline_kernelINS0_14default_configENS1_38merge_sort_block_merge_config_selectorIlNS0_10empty_typeEEEZZNS1_27merge_sort_block_merge_implIS3_PlPS5_mZN2at6native12_GLOBAL__N_124unique_dim_cuda_templateIfEESt5tupleIJNSA_6TensorESF_SF_EERKSF_lbbbEUlllE_EE10hipError_tT0_T1_T2_jT3_P12ihipStream_tbPNSt15iterator_traitsISL_E10value_typeEPNSR_ISM_E10value_typeEPSN_NS1_7vsmem_tEENKUlT_SL_SM_SN_E_clIS8_S8_S9_S9_EESK_S10_SL_SM_SN_EUlS10_E0_NS1_11comp_targetILNS1_3genE8ELNS1_11target_archE1030ELNS1_3gpuE2ELNS1_3repE0EEENS1_38merge_mergepath_config_static_selectorELNS0_4arch9wavefront6targetE1EEEvSM_
	.p2align	8
	.type	_ZN7rocprim17ROCPRIM_400000_NS6detail17trampoline_kernelINS0_14default_configENS1_38merge_sort_block_merge_config_selectorIlNS0_10empty_typeEEEZZNS1_27merge_sort_block_merge_implIS3_PlPS5_mZN2at6native12_GLOBAL__N_124unique_dim_cuda_templateIfEESt5tupleIJNSA_6TensorESF_SF_EERKSF_lbbbEUlllE_EE10hipError_tT0_T1_T2_jT3_P12ihipStream_tbPNSt15iterator_traitsISL_E10value_typeEPNSR_ISM_E10value_typeEPSN_NS1_7vsmem_tEENKUlT_SL_SM_SN_E_clIS8_S8_S9_S9_EESK_S10_SL_SM_SN_EUlS10_E0_NS1_11comp_targetILNS1_3genE8ELNS1_11target_archE1030ELNS1_3gpuE2ELNS1_3repE0EEENS1_38merge_mergepath_config_static_selectorELNS0_4arch9wavefront6targetE1EEEvSM_,@function
_ZN7rocprim17ROCPRIM_400000_NS6detail17trampoline_kernelINS0_14default_configENS1_38merge_sort_block_merge_config_selectorIlNS0_10empty_typeEEEZZNS1_27merge_sort_block_merge_implIS3_PlPS5_mZN2at6native12_GLOBAL__N_124unique_dim_cuda_templateIfEESt5tupleIJNSA_6TensorESF_SF_EERKSF_lbbbEUlllE_EE10hipError_tT0_T1_T2_jT3_P12ihipStream_tbPNSt15iterator_traitsISL_E10value_typeEPNSR_ISM_E10value_typeEPSN_NS1_7vsmem_tEENKUlT_SL_SM_SN_E_clIS8_S8_S9_S9_EESK_S10_SL_SM_SN_EUlS10_E0_NS1_11comp_targetILNS1_3genE8ELNS1_11target_archE1030ELNS1_3gpuE2ELNS1_3repE0EEENS1_38merge_mergepath_config_static_selectorELNS0_4arch9wavefront6targetE1EEEvSM_: ; @_ZN7rocprim17ROCPRIM_400000_NS6detail17trampoline_kernelINS0_14default_configENS1_38merge_sort_block_merge_config_selectorIlNS0_10empty_typeEEEZZNS1_27merge_sort_block_merge_implIS3_PlPS5_mZN2at6native12_GLOBAL__N_124unique_dim_cuda_templateIfEESt5tupleIJNSA_6TensorESF_SF_EERKSF_lbbbEUlllE_EE10hipError_tT0_T1_T2_jT3_P12ihipStream_tbPNSt15iterator_traitsISL_E10value_typeEPNSR_ISM_E10value_typeEPSN_NS1_7vsmem_tEENKUlT_SL_SM_SN_E_clIS8_S8_S9_S9_EESK_S10_SL_SM_SN_EUlS10_E0_NS1_11comp_targetILNS1_3genE8ELNS1_11target_archE1030ELNS1_3gpuE2ELNS1_3repE0EEENS1_38merge_mergepath_config_static_selectorELNS0_4arch9wavefront6targetE1EEEvSM_
; %bb.0:
	.section	.rodata,"a",@progbits
	.p2align	6, 0x0
	.amdhsa_kernel _ZN7rocprim17ROCPRIM_400000_NS6detail17trampoline_kernelINS0_14default_configENS1_38merge_sort_block_merge_config_selectorIlNS0_10empty_typeEEEZZNS1_27merge_sort_block_merge_implIS3_PlPS5_mZN2at6native12_GLOBAL__N_124unique_dim_cuda_templateIfEESt5tupleIJNSA_6TensorESF_SF_EERKSF_lbbbEUlllE_EE10hipError_tT0_T1_T2_jT3_P12ihipStream_tbPNSt15iterator_traitsISL_E10value_typeEPNSR_ISM_E10value_typeEPSN_NS1_7vsmem_tEENKUlT_SL_SM_SN_E_clIS8_S8_S9_S9_EESK_S10_SL_SM_SN_EUlS10_E0_NS1_11comp_targetILNS1_3genE8ELNS1_11target_archE1030ELNS1_3gpuE2ELNS1_3repE0EEENS1_38merge_mergepath_config_static_selectorELNS0_4arch9wavefront6targetE1EEEvSM_
		.amdhsa_group_segment_fixed_size 0
		.amdhsa_private_segment_fixed_size 0
		.amdhsa_kernarg_size 88
		.amdhsa_user_sgpr_count 6
		.amdhsa_user_sgpr_private_segment_buffer 1
		.amdhsa_user_sgpr_dispatch_ptr 0
		.amdhsa_user_sgpr_queue_ptr 0
		.amdhsa_user_sgpr_kernarg_segment_ptr 1
		.amdhsa_user_sgpr_dispatch_id 0
		.amdhsa_user_sgpr_flat_scratch_init 0
		.amdhsa_user_sgpr_kernarg_preload_length 0
		.amdhsa_user_sgpr_kernarg_preload_offset 0
		.amdhsa_user_sgpr_private_segment_size 0
		.amdhsa_uses_dynamic_stack 0
		.amdhsa_system_sgpr_private_segment_wavefront_offset 0
		.amdhsa_system_sgpr_workgroup_id_x 1
		.amdhsa_system_sgpr_workgroup_id_y 0
		.amdhsa_system_sgpr_workgroup_id_z 0
		.amdhsa_system_sgpr_workgroup_info 0
		.amdhsa_system_vgpr_workitem_id 0
		.amdhsa_next_free_vgpr 1
		.amdhsa_next_free_sgpr 0
		.amdhsa_accum_offset 4
		.amdhsa_reserve_vcc 0
		.amdhsa_reserve_flat_scratch 0
		.amdhsa_float_round_mode_32 0
		.amdhsa_float_round_mode_16_64 0
		.amdhsa_float_denorm_mode_32 3
		.amdhsa_float_denorm_mode_16_64 3
		.amdhsa_dx10_clamp 1
		.amdhsa_ieee_mode 1
		.amdhsa_fp16_overflow 0
		.amdhsa_tg_split 0
		.amdhsa_exception_fp_ieee_invalid_op 0
		.amdhsa_exception_fp_denorm_src 0
		.amdhsa_exception_fp_ieee_div_zero 0
		.amdhsa_exception_fp_ieee_overflow 0
		.amdhsa_exception_fp_ieee_underflow 0
		.amdhsa_exception_fp_ieee_inexact 0
		.amdhsa_exception_int_div_zero 0
	.end_amdhsa_kernel
	.section	.text._ZN7rocprim17ROCPRIM_400000_NS6detail17trampoline_kernelINS0_14default_configENS1_38merge_sort_block_merge_config_selectorIlNS0_10empty_typeEEEZZNS1_27merge_sort_block_merge_implIS3_PlPS5_mZN2at6native12_GLOBAL__N_124unique_dim_cuda_templateIfEESt5tupleIJNSA_6TensorESF_SF_EERKSF_lbbbEUlllE_EE10hipError_tT0_T1_T2_jT3_P12ihipStream_tbPNSt15iterator_traitsISL_E10value_typeEPNSR_ISM_E10value_typeEPSN_NS1_7vsmem_tEENKUlT_SL_SM_SN_E_clIS8_S8_S9_S9_EESK_S10_SL_SM_SN_EUlS10_E0_NS1_11comp_targetILNS1_3genE8ELNS1_11target_archE1030ELNS1_3gpuE2ELNS1_3repE0EEENS1_38merge_mergepath_config_static_selectorELNS0_4arch9wavefront6targetE1EEEvSM_,"axG",@progbits,_ZN7rocprim17ROCPRIM_400000_NS6detail17trampoline_kernelINS0_14default_configENS1_38merge_sort_block_merge_config_selectorIlNS0_10empty_typeEEEZZNS1_27merge_sort_block_merge_implIS3_PlPS5_mZN2at6native12_GLOBAL__N_124unique_dim_cuda_templateIfEESt5tupleIJNSA_6TensorESF_SF_EERKSF_lbbbEUlllE_EE10hipError_tT0_T1_T2_jT3_P12ihipStream_tbPNSt15iterator_traitsISL_E10value_typeEPNSR_ISM_E10value_typeEPSN_NS1_7vsmem_tEENKUlT_SL_SM_SN_E_clIS8_S8_S9_S9_EESK_S10_SL_SM_SN_EUlS10_E0_NS1_11comp_targetILNS1_3genE8ELNS1_11target_archE1030ELNS1_3gpuE2ELNS1_3repE0EEENS1_38merge_mergepath_config_static_selectorELNS0_4arch9wavefront6targetE1EEEvSM_,comdat
.Lfunc_end895:
	.size	_ZN7rocprim17ROCPRIM_400000_NS6detail17trampoline_kernelINS0_14default_configENS1_38merge_sort_block_merge_config_selectorIlNS0_10empty_typeEEEZZNS1_27merge_sort_block_merge_implIS3_PlPS5_mZN2at6native12_GLOBAL__N_124unique_dim_cuda_templateIfEESt5tupleIJNSA_6TensorESF_SF_EERKSF_lbbbEUlllE_EE10hipError_tT0_T1_T2_jT3_P12ihipStream_tbPNSt15iterator_traitsISL_E10value_typeEPNSR_ISM_E10value_typeEPSN_NS1_7vsmem_tEENKUlT_SL_SM_SN_E_clIS8_S8_S9_S9_EESK_S10_SL_SM_SN_EUlS10_E0_NS1_11comp_targetILNS1_3genE8ELNS1_11target_archE1030ELNS1_3gpuE2ELNS1_3repE0EEENS1_38merge_mergepath_config_static_selectorELNS0_4arch9wavefront6targetE1EEEvSM_, .Lfunc_end895-_ZN7rocprim17ROCPRIM_400000_NS6detail17trampoline_kernelINS0_14default_configENS1_38merge_sort_block_merge_config_selectorIlNS0_10empty_typeEEEZZNS1_27merge_sort_block_merge_implIS3_PlPS5_mZN2at6native12_GLOBAL__N_124unique_dim_cuda_templateIfEESt5tupleIJNSA_6TensorESF_SF_EERKSF_lbbbEUlllE_EE10hipError_tT0_T1_T2_jT3_P12ihipStream_tbPNSt15iterator_traitsISL_E10value_typeEPNSR_ISM_E10value_typeEPSN_NS1_7vsmem_tEENKUlT_SL_SM_SN_E_clIS8_S8_S9_S9_EESK_S10_SL_SM_SN_EUlS10_E0_NS1_11comp_targetILNS1_3genE8ELNS1_11target_archE1030ELNS1_3gpuE2ELNS1_3repE0EEENS1_38merge_mergepath_config_static_selectorELNS0_4arch9wavefront6targetE1EEEvSM_
                                        ; -- End function
	.section	.AMDGPU.csdata,"",@progbits
; Kernel info:
; codeLenInByte = 0
; NumSgprs: 4
; NumVgprs: 0
; NumAgprs: 0
; TotalNumVgprs: 0
; ScratchSize: 0
; MemoryBound: 0
; FloatMode: 240
; IeeeMode: 1
; LDSByteSize: 0 bytes/workgroup (compile time only)
; SGPRBlocks: 0
; VGPRBlocks: 0
; NumSGPRsForWavesPerEU: 4
; NumVGPRsForWavesPerEU: 1
; AccumOffset: 4
; Occupancy: 8
; WaveLimiterHint : 0
; COMPUTE_PGM_RSRC2:SCRATCH_EN: 0
; COMPUTE_PGM_RSRC2:USER_SGPR: 6
; COMPUTE_PGM_RSRC2:TRAP_HANDLER: 0
; COMPUTE_PGM_RSRC2:TGID_X_EN: 1
; COMPUTE_PGM_RSRC2:TGID_Y_EN: 0
; COMPUTE_PGM_RSRC2:TGID_Z_EN: 0
; COMPUTE_PGM_RSRC2:TIDIG_COMP_CNT: 0
; COMPUTE_PGM_RSRC3_GFX90A:ACCUM_OFFSET: 0
; COMPUTE_PGM_RSRC3_GFX90A:TG_SPLIT: 0
	.section	.text._ZN7rocprim17ROCPRIM_400000_NS6detail17trampoline_kernelINS0_14default_configENS1_38merge_sort_block_merge_config_selectorIlNS0_10empty_typeEEEZZNS1_27merge_sort_block_merge_implIS3_PlPS5_mZN2at6native12_GLOBAL__N_124unique_dim_cuda_templateIfEESt5tupleIJNSA_6TensorESF_SF_EERKSF_lbbbEUlllE_EE10hipError_tT0_T1_T2_jT3_P12ihipStream_tbPNSt15iterator_traitsISL_E10value_typeEPNSR_ISM_E10value_typeEPSN_NS1_7vsmem_tEENKUlT_SL_SM_SN_E_clIS8_S8_S9_S9_EESK_S10_SL_SM_SN_EUlS10_E1_NS1_11comp_targetILNS1_3genE0ELNS1_11target_archE4294967295ELNS1_3gpuE0ELNS1_3repE0EEENS1_36merge_oddeven_config_static_selectorELNS0_4arch9wavefront6targetE1EEEvSM_,"axG",@progbits,_ZN7rocprim17ROCPRIM_400000_NS6detail17trampoline_kernelINS0_14default_configENS1_38merge_sort_block_merge_config_selectorIlNS0_10empty_typeEEEZZNS1_27merge_sort_block_merge_implIS3_PlPS5_mZN2at6native12_GLOBAL__N_124unique_dim_cuda_templateIfEESt5tupleIJNSA_6TensorESF_SF_EERKSF_lbbbEUlllE_EE10hipError_tT0_T1_T2_jT3_P12ihipStream_tbPNSt15iterator_traitsISL_E10value_typeEPNSR_ISM_E10value_typeEPSN_NS1_7vsmem_tEENKUlT_SL_SM_SN_E_clIS8_S8_S9_S9_EESK_S10_SL_SM_SN_EUlS10_E1_NS1_11comp_targetILNS1_3genE0ELNS1_11target_archE4294967295ELNS1_3gpuE0ELNS1_3repE0EEENS1_36merge_oddeven_config_static_selectorELNS0_4arch9wavefront6targetE1EEEvSM_,comdat
	.globl	_ZN7rocprim17ROCPRIM_400000_NS6detail17trampoline_kernelINS0_14default_configENS1_38merge_sort_block_merge_config_selectorIlNS0_10empty_typeEEEZZNS1_27merge_sort_block_merge_implIS3_PlPS5_mZN2at6native12_GLOBAL__N_124unique_dim_cuda_templateIfEESt5tupleIJNSA_6TensorESF_SF_EERKSF_lbbbEUlllE_EE10hipError_tT0_T1_T2_jT3_P12ihipStream_tbPNSt15iterator_traitsISL_E10value_typeEPNSR_ISM_E10value_typeEPSN_NS1_7vsmem_tEENKUlT_SL_SM_SN_E_clIS8_S8_S9_S9_EESK_S10_SL_SM_SN_EUlS10_E1_NS1_11comp_targetILNS1_3genE0ELNS1_11target_archE4294967295ELNS1_3gpuE0ELNS1_3repE0EEENS1_36merge_oddeven_config_static_selectorELNS0_4arch9wavefront6targetE1EEEvSM_ ; -- Begin function _ZN7rocprim17ROCPRIM_400000_NS6detail17trampoline_kernelINS0_14default_configENS1_38merge_sort_block_merge_config_selectorIlNS0_10empty_typeEEEZZNS1_27merge_sort_block_merge_implIS3_PlPS5_mZN2at6native12_GLOBAL__N_124unique_dim_cuda_templateIfEESt5tupleIJNSA_6TensorESF_SF_EERKSF_lbbbEUlllE_EE10hipError_tT0_T1_T2_jT3_P12ihipStream_tbPNSt15iterator_traitsISL_E10value_typeEPNSR_ISM_E10value_typeEPSN_NS1_7vsmem_tEENKUlT_SL_SM_SN_E_clIS8_S8_S9_S9_EESK_S10_SL_SM_SN_EUlS10_E1_NS1_11comp_targetILNS1_3genE0ELNS1_11target_archE4294967295ELNS1_3gpuE0ELNS1_3repE0EEENS1_36merge_oddeven_config_static_selectorELNS0_4arch9wavefront6targetE1EEEvSM_
	.p2align	8
	.type	_ZN7rocprim17ROCPRIM_400000_NS6detail17trampoline_kernelINS0_14default_configENS1_38merge_sort_block_merge_config_selectorIlNS0_10empty_typeEEEZZNS1_27merge_sort_block_merge_implIS3_PlPS5_mZN2at6native12_GLOBAL__N_124unique_dim_cuda_templateIfEESt5tupleIJNSA_6TensorESF_SF_EERKSF_lbbbEUlllE_EE10hipError_tT0_T1_T2_jT3_P12ihipStream_tbPNSt15iterator_traitsISL_E10value_typeEPNSR_ISM_E10value_typeEPSN_NS1_7vsmem_tEENKUlT_SL_SM_SN_E_clIS8_S8_S9_S9_EESK_S10_SL_SM_SN_EUlS10_E1_NS1_11comp_targetILNS1_3genE0ELNS1_11target_archE4294967295ELNS1_3gpuE0ELNS1_3repE0EEENS1_36merge_oddeven_config_static_selectorELNS0_4arch9wavefront6targetE1EEEvSM_,@function
_ZN7rocprim17ROCPRIM_400000_NS6detail17trampoline_kernelINS0_14default_configENS1_38merge_sort_block_merge_config_selectorIlNS0_10empty_typeEEEZZNS1_27merge_sort_block_merge_implIS3_PlPS5_mZN2at6native12_GLOBAL__N_124unique_dim_cuda_templateIfEESt5tupleIJNSA_6TensorESF_SF_EERKSF_lbbbEUlllE_EE10hipError_tT0_T1_T2_jT3_P12ihipStream_tbPNSt15iterator_traitsISL_E10value_typeEPNSR_ISM_E10value_typeEPSN_NS1_7vsmem_tEENKUlT_SL_SM_SN_E_clIS8_S8_S9_S9_EESK_S10_SL_SM_SN_EUlS10_E1_NS1_11comp_targetILNS1_3genE0ELNS1_11target_archE4294967295ELNS1_3gpuE0ELNS1_3repE0EEENS1_36merge_oddeven_config_static_selectorELNS0_4arch9wavefront6targetE1EEEvSM_: ; @_ZN7rocprim17ROCPRIM_400000_NS6detail17trampoline_kernelINS0_14default_configENS1_38merge_sort_block_merge_config_selectorIlNS0_10empty_typeEEEZZNS1_27merge_sort_block_merge_implIS3_PlPS5_mZN2at6native12_GLOBAL__N_124unique_dim_cuda_templateIfEESt5tupleIJNSA_6TensorESF_SF_EERKSF_lbbbEUlllE_EE10hipError_tT0_T1_T2_jT3_P12ihipStream_tbPNSt15iterator_traitsISL_E10value_typeEPNSR_ISM_E10value_typeEPSN_NS1_7vsmem_tEENKUlT_SL_SM_SN_E_clIS8_S8_S9_S9_EESK_S10_SL_SM_SN_EUlS10_E1_NS1_11comp_targetILNS1_3genE0ELNS1_11target_archE4294967295ELNS1_3gpuE0ELNS1_3repE0EEENS1_36merge_oddeven_config_static_selectorELNS0_4arch9wavefront6targetE1EEEvSM_
; %bb.0:
	.section	.rodata,"a",@progbits
	.p2align	6, 0x0
	.amdhsa_kernel _ZN7rocprim17ROCPRIM_400000_NS6detail17trampoline_kernelINS0_14default_configENS1_38merge_sort_block_merge_config_selectorIlNS0_10empty_typeEEEZZNS1_27merge_sort_block_merge_implIS3_PlPS5_mZN2at6native12_GLOBAL__N_124unique_dim_cuda_templateIfEESt5tupleIJNSA_6TensorESF_SF_EERKSF_lbbbEUlllE_EE10hipError_tT0_T1_T2_jT3_P12ihipStream_tbPNSt15iterator_traitsISL_E10value_typeEPNSR_ISM_E10value_typeEPSN_NS1_7vsmem_tEENKUlT_SL_SM_SN_E_clIS8_S8_S9_S9_EESK_S10_SL_SM_SN_EUlS10_E1_NS1_11comp_targetILNS1_3genE0ELNS1_11target_archE4294967295ELNS1_3gpuE0ELNS1_3repE0EEENS1_36merge_oddeven_config_static_selectorELNS0_4arch9wavefront6targetE1EEEvSM_
		.amdhsa_group_segment_fixed_size 0
		.amdhsa_private_segment_fixed_size 0
		.amdhsa_kernarg_size 64
		.amdhsa_user_sgpr_count 6
		.amdhsa_user_sgpr_private_segment_buffer 1
		.amdhsa_user_sgpr_dispatch_ptr 0
		.amdhsa_user_sgpr_queue_ptr 0
		.amdhsa_user_sgpr_kernarg_segment_ptr 1
		.amdhsa_user_sgpr_dispatch_id 0
		.amdhsa_user_sgpr_flat_scratch_init 0
		.amdhsa_user_sgpr_kernarg_preload_length 0
		.amdhsa_user_sgpr_kernarg_preload_offset 0
		.amdhsa_user_sgpr_private_segment_size 0
		.amdhsa_uses_dynamic_stack 0
		.amdhsa_system_sgpr_private_segment_wavefront_offset 0
		.amdhsa_system_sgpr_workgroup_id_x 1
		.amdhsa_system_sgpr_workgroup_id_y 0
		.amdhsa_system_sgpr_workgroup_id_z 0
		.amdhsa_system_sgpr_workgroup_info 0
		.amdhsa_system_vgpr_workitem_id 0
		.amdhsa_next_free_vgpr 1
		.amdhsa_next_free_sgpr 0
		.amdhsa_accum_offset 4
		.amdhsa_reserve_vcc 0
		.amdhsa_reserve_flat_scratch 0
		.amdhsa_float_round_mode_32 0
		.amdhsa_float_round_mode_16_64 0
		.amdhsa_float_denorm_mode_32 3
		.amdhsa_float_denorm_mode_16_64 3
		.amdhsa_dx10_clamp 1
		.amdhsa_ieee_mode 1
		.amdhsa_fp16_overflow 0
		.amdhsa_tg_split 0
		.amdhsa_exception_fp_ieee_invalid_op 0
		.amdhsa_exception_fp_denorm_src 0
		.amdhsa_exception_fp_ieee_div_zero 0
		.amdhsa_exception_fp_ieee_overflow 0
		.amdhsa_exception_fp_ieee_underflow 0
		.amdhsa_exception_fp_ieee_inexact 0
		.amdhsa_exception_int_div_zero 0
	.end_amdhsa_kernel
	.section	.text._ZN7rocprim17ROCPRIM_400000_NS6detail17trampoline_kernelINS0_14default_configENS1_38merge_sort_block_merge_config_selectorIlNS0_10empty_typeEEEZZNS1_27merge_sort_block_merge_implIS3_PlPS5_mZN2at6native12_GLOBAL__N_124unique_dim_cuda_templateIfEESt5tupleIJNSA_6TensorESF_SF_EERKSF_lbbbEUlllE_EE10hipError_tT0_T1_T2_jT3_P12ihipStream_tbPNSt15iterator_traitsISL_E10value_typeEPNSR_ISM_E10value_typeEPSN_NS1_7vsmem_tEENKUlT_SL_SM_SN_E_clIS8_S8_S9_S9_EESK_S10_SL_SM_SN_EUlS10_E1_NS1_11comp_targetILNS1_3genE0ELNS1_11target_archE4294967295ELNS1_3gpuE0ELNS1_3repE0EEENS1_36merge_oddeven_config_static_selectorELNS0_4arch9wavefront6targetE1EEEvSM_,"axG",@progbits,_ZN7rocprim17ROCPRIM_400000_NS6detail17trampoline_kernelINS0_14default_configENS1_38merge_sort_block_merge_config_selectorIlNS0_10empty_typeEEEZZNS1_27merge_sort_block_merge_implIS3_PlPS5_mZN2at6native12_GLOBAL__N_124unique_dim_cuda_templateIfEESt5tupleIJNSA_6TensorESF_SF_EERKSF_lbbbEUlllE_EE10hipError_tT0_T1_T2_jT3_P12ihipStream_tbPNSt15iterator_traitsISL_E10value_typeEPNSR_ISM_E10value_typeEPSN_NS1_7vsmem_tEENKUlT_SL_SM_SN_E_clIS8_S8_S9_S9_EESK_S10_SL_SM_SN_EUlS10_E1_NS1_11comp_targetILNS1_3genE0ELNS1_11target_archE4294967295ELNS1_3gpuE0ELNS1_3repE0EEENS1_36merge_oddeven_config_static_selectorELNS0_4arch9wavefront6targetE1EEEvSM_,comdat
.Lfunc_end896:
	.size	_ZN7rocprim17ROCPRIM_400000_NS6detail17trampoline_kernelINS0_14default_configENS1_38merge_sort_block_merge_config_selectorIlNS0_10empty_typeEEEZZNS1_27merge_sort_block_merge_implIS3_PlPS5_mZN2at6native12_GLOBAL__N_124unique_dim_cuda_templateIfEESt5tupleIJNSA_6TensorESF_SF_EERKSF_lbbbEUlllE_EE10hipError_tT0_T1_T2_jT3_P12ihipStream_tbPNSt15iterator_traitsISL_E10value_typeEPNSR_ISM_E10value_typeEPSN_NS1_7vsmem_tEENKUlT_SL_SM_SN_E_clIS8_S8_S9_S9_EESK_S10_SL_SM_SN_EUlS10_E1_NS1_11comp_targetILNS1_3genE0ELNS1_11target_archE4294967295ELNS1_3gpuE0ELNS1_3repE0EEENS1_36merge_oddeven_config_static_selectorELNS0_4arch9wavefront6targetE1EEEvSM_, .Lfunc_end896-_ZN7rocprim17ROCPRIM_400000_NS6detail17trampoline_kernelINS0_14default_configENS1_38merge_sort_block_merge_config_selectorIlNS0_10empty_typeEEEZZNS1_27merge_sort_block_merge_implIS3_PlPS5_mZN2at6native12_GLOBAL__N_124unique_dim_cuda_templateIfEESt5tupleIJNSA_6TensorESF_SF_EERKSF_lbbbEUlllE_EE10hipError_tT0_T1_T2_jT3_P12ihipStream_tbPNSt15iterator_traitsISL_E10value_typeEPNSR_ISM_E10value_typeEPSN_NS1_7vsmem_tEENKUlT_SL_SM_SN_E_clIS8_S8_S9_S9_EESK_S10_SL_SM_SN_EUlS10_E1_NS1_11comp_targetILNS1_3genE0ELNS1_11target_archE4294967295ELNS1_3gpuE0ELNS1_3repE0EEENS1_36merge_oddeven_config_static_selectorELNS0_4arch9wavefront6targetE1EEEvSM_
                                        ; -- End function
	.section	.AMDGPU.csdata,"",@progbits
; Kernel info:
; codeLenInByte = 0
; NumSgprs: 4
; NumVgprs: 0
; NumAgprs: 0
; TotalNumVgprs: 0
; ScratchSize: 0
; MemoryBound: 0
; FloatMode: 240
; IeeeMode: 1
; LDSByteSize: 0 bytes/workgroup (compile time only)
; SGPRBlocks: 0
; VGPRBlocks: 0
; NumSGPRsForWavesPerEU: 4
; NumVGPRsForWavesPerEU: 1
; AccumOffset: 4
; Occupancy: 8
; WaveLimiterHint : 0
; COMPUTE_PGM_RSRC2:SCRATCH_EN: 0
; COMPUTE_PGM_RSRC2:USER_SGPR: 6
; COMPUTE_PGM_RSRC2:TRAP_HANDLER: 0
; COMPUTE_PGM_RSRC2:TGID_X_EN: 1
; COMPUTE_PGM_RSRC2:TGID_Y_EN: 0
; COMPUTE_PGM_RSRC2:TGID_Z_EN: 0
; COMPUTE_PGM_RSRC2:TIDIG_COMP_CNT: 0
; COMPUTE_PGM_RSRC3_GFX90A:ACCUM_OFFSET: 0
; COMPUTE_PGM_RSRC3_GFX90A:TG_SPLIT: 0
	.section	.text._ZN7rocprim17ROCPRIM_400000_NS6detail17trampoline_kernelINS0_14default_configENS1_38merge_sort_block_merge_config_selectorIlNS0_10empty_typeEEEZZNS1_27merge_sort_block_merge_implIS3_PlPS5_mZN2at6native12_GLOBAL__N_124unique_dim_cuda_templateIfEESt5tupleIJNSA_6TensorESF_SF_EERKSF_lbbbEUlllE_EE10hipError_tT0_T1_T2_jT3_P12ihipStream_tbPNSt15iterator_traitsISL_E10value_typeEPNSR_ISM_E10value_typeEPSN_NS1_7vsmem_tEENKUlT_SL_SM_SN_E_clIS8_S8_S9_S9_EESK_S10_SL_SM_SN_EUlS10_E1_NS1_11comp_targetILNS1_3genE10ELNS1_11target_archE1201ELNS1_3gpuE5ELNS1_3repE0EEENS1_36merge_oddeven_config_static_selectorELNS0_4arch9wavefront6targetE1EEEvSM_,"axG",@progbits,_ZN7rocprim17ROCPRIM_400000_NS6detail17trampoline_kernelINS0_14default_configENS1_38merge_sort_block_merge_config_selectorIlNS0_10empty_typeEEEZZNS1_27merge_sort_block_merge_implIS3_PlPS5_mZN2at6native12_GLOBAL__N_124unique_dim_cuda_templateIfEESt5tupleIJNSA_6TensorESF_SF_EERKSF_lbbbEUlllE_EE10hipError_tT0_T1_T2_jT3_P12ihipStream_tbPNSt15iterator_traitsISL_E10value_typeEPNSR_ISM_E10value_typeEPSN_NS1_7vsmem_tEENKUlT_SL_SM_SN_E_clIS8_S8_S9_S9_EESK_S10_SL_SM_SN_EUlS10_E1_NS1_11comp_targetILNS1_3genE10ELNS1_11target_archE1201ELNS1_3gpuE5ELNS1_3repE0EEENS1_36merge_oddeven_config_static_selectorELNS0_4arch9wavefront6targetE1EEEvSM_,comdat
	.globl	_ZN7rocprim17ROCPRIM_400000_NS6detail17trampoline_kernelINS0_14default_configENS1_38merge_sort_block_merge_config_selectorIlNS0_10empty_typeEEEZZNS1_27merge_sort_block_merge_implIS3_PlPS5_mZN2at6native12_GLOBAL__N_124unique_dim_cuda_templateIfEESt5tupleIJNSA_6TensorESF_SF_EERKSF_lbbbEUlllE_EE10hipError_tT0_T1_T2_jT3_P12ihipStream_tbPNSt15iterator_traitsISL_E10value_typeEPNSR_ISM_E10value_typeEPSN_NS1_7vsmem_tEENKUlT_SL_SM_SN_E_clIS8_S8_S9_S9_EESK_S10_SL_SM_SN_EUlS10_E1_NS1_11comp_targetILNS1_3genE10ELNS1_11target_archE1201ELNS1_3gpuE5ELNS1_3repE0EEENS1_36merge_oddeven_config_static_selectorELNS0_4arch9wavefront6targetE1EEEvSM_ ; -- Begin function _ZN7rocprim17ROCPRIM_400000_NS6detail17trampoline_kernelINS0_14default_configENS1_38merge_sort_block_merge_config_selectorIlNS0_10empty_typeEEEZZNS1_27merge_sort_block_merge_implIS3_PlPS5_mZN2at6native12_GLOBAL__N_124unique_dim_cuda_templateIfEESt5tupleIJNSA_6TensorESF_SF_EERKSF_lbbbEUlllE_EE10hipError_tT0_T1_T2_jT3_P12ihipStream_tbPNSt15iterator_traitsISL_E10value_typeEPNSR_ISM_E10value_typeEPSN_NS1_7vsmem_tEENKUlT_SL_SM_SN_E_clIS8_S8_S9_S9_EESK_S10_SL_SM_SN_EUlS10_E1_NS1_11comp_targetILNS1_3genE10ELNS1_11target_archE1201ELNS1_3gpuE5ELNS1_3repE0EEENS1_36merge_oddeven_config_static_selectorELNS0_4arch9wavefront6targetE1EEEvSM_
	.p2align	8
	.type	_ZN7rocprim17ROCPRIM_400000_NS6detail17trampoline_kernelINS0_14default_configENS1_38merge_sort_block_merge_config_selectorIlNS0_10empty_typeEEEZZNS1_27merge_sort_block_merge_implIS3_PlPS5_mZN2at6native12_GLOBAL__N_124unique_dim_cuda_templateIfEESt5tupleIJNSA_6TensorESF_SF_EERKSF_lbbbEUlllE_EE10hipError_tT0_T1_T2_jT3_P12ihipStream_tbPNSt15iterator_traitsISL_E10value_typeEPNSR_ISM_E10value_typeEPSN_NS1_7vsmem_tEENKUlT_SL_SM_SN_E_clIS8_S8_S9_S9_EESK_S10_SL_SM_SN_EUlS10_E1_NS1_11comp_targetILNS1_3genE10ELNS1_11target_archE1201ELNS1_3gpuE5ELNS1_3repE0EEENS1_36merge_oddeven_config_static_selectorELNS0_4arch9wavefront6targetE1EEEvSM_,@function
_ZN7rocprim17ROCPRIM_400000_NS6detail17trampoline_kernelINS0_14default_configENS1_38merge_sort_block_merge_config_selectorIlNS0_10empty_typeEEEZZNS1_27merge_sort_block_merge_implIS3_PlPS5_mZN2at6native12_GLOBAL__N_124unique_dim_cuda_templateIfEESt5tupleIJNSA_6TensorESF_SF_EERKSF_lbbbEUlllE_EE10hipError_tT0_T1_T2_jT3_P12ihipStream_tbPNSt15iterator_traitsISL_E10value_typeEPNSR_ISM_E10value_typeEPSN_NS1_7vsmem_tEENKUlT_SL_SM_SN_E_clIS8_S8_S9_S9_EESK_S10_SL_SM_SN_EUlS10_E1_NS1_11comp_targetILNS1_3genE10ELNS1_11target_archE1201ELNS1_3gpuE5ELNS1_3repE0EEENS1_36merge_oddeven_config_static_selectorELNS0_4arch9wavefront6targetE1EEEvSM_: ; @_ZN7rocprim17ROCPRIM_400000_NS6detail17trampoline_kernelINS0_14default_configENS1_38merge_sort_block_merge_config_selectorIlNS0_10empty_typeEEEZZNS1_27merge_sort_block_merge_implIS3_PlPS5_mZN2at6native12_GLOBAL__N_124unique_dim_cuda_templateIfEESt5tupleIJNSA_6TensorESF_SF_EERKSF_lbbbEUlllE_EE10hipError_tT0_T1_T2_jT3_P12ihipStream_tbPNSt15iterator_traitsISL_E10value_typeEPNSR_ISM_E10value_typeEPSN_NS1_7vsmem_tEENKUlT_SL_SM_SN_E_clIS8_S8_S9_S9_EESK_S10_SL_SM_SN_EUlS10_E1_NS1_11comp_targetILNS1_3genE10ELNS1_11target_archE1201ELNS1_3gpuE5ELNS1_3repE0EEENS1_36merge_oddeven_config_static_selectorELNS0_4arch9wavefront6targetE1EEEvSM_
; %bb.0:
	.section	.rodata,"a",@progbits
	.p2align	6, 0x0
	.amdhsa_kernel _ZN7rocprim17ROCPRIM_400000_NS6detail17trampoline_kernelINS0_14default_configENS1_38merge_sort_block_merge_config_selectorIlNS0_10empty_typeEEEZZNS1_27merge_sort_block_merge_implIS3_PlPS5_mZN2at6native12_GLOBAL__N_124unique_dim_cuda_templateIfEESt5tupleIJNSA_6TensorESF_SF_EERKSF_lbbbEUlllE_EE10hipError_tT0_T1_T2_jT3_P12ihipStream_tbPNSt15iterator_traitsISL_E10value_typeEPNSR_ISM_E10value_typeEPSN_NS1_7vsmem_tEENKUlT_SL_SM_SN_E_clIS8_S8_S9_S9_EESK_S10_SL_SM_SN_EUlS10_E1_NS1_11comp_targetILNS1_3genE10ELNS1_11target_archE1201ELNS1_3gpuE5ELNS1_3repE0EEENS1_36merge_oddeven_config_static_selectorELNS0_4arch9wavefront6targetE1EEEvSM_
		.amdhsa_group_segment_fixed_size 0
		.amdhsa_private_segment_fixed_size 0
		.amdhsa_kernarg_size 64
		.amdhsa_user_sgpr_count 6
		.amdhsa_user_sgpr_private_segment_buffer 1
		.amdhsa_user_sgpr_dispatch_ptr 0
		.amdhsa_user_sgpr_queue_ptr 0
		.amdhsa_user_sgpr_kernarg_segment_ptr 1
		.amdhsa_user_sgpr_dispatch_id 0
		.amdhsa_user_sgpr_flat_scratch_init 0
		.amdhsa_user_sgpr_kernarg_preload_length 0
		.amdhsa_user_sgpr_kernarg_preload_offset 0
		.amdhsa_user_sgpr_private_segment_size 0
		.amdhsa_uses_dynamic_stack 0
		.amdhsa_system_sgpr_private_segment_wavefront_offset 0
		.amdhsa_system_sgpr_workgroup_id_x 1
		.amdhsa_system_sgpr_workgroup_id_y 0
		.amdhsa_system_sgpr_workgroup_id_z 0
		.amdhsa_system_sgpr_workgroup_info 0
		.amdhsa_system_vgpr_workitem_id 0
		.amdhsa_next_free_vgpr 1
		.amdhsa_next_free_sgpr 0
		.amdhsa_accum_offset 4
		.amdhsa_reserve_vcc 0
		.amdhsa_reserve_flat_scratch 0
		.amdhsa_float_round_mode_32 0
		.amdhsa_float_round_mode_16_64 0
		.amdhsa_float_denorm_mode_32 3
		.amdhsa_float_denorm_mode_16_64 3
		.amdhsa_dx10_clamp 1
		.amdhsa_ieee_mode 1
		.amdhsa_fp16_overflow 0
		.amdhsa_tg_split 0
		.amdhsa_exception_fp_ieee_invalid_op 0
		.amdhsa_exception_fp_denorm_src 0
		.amdhsa_exception_fp_ieee_div_zero 0
		.amdhsa_exception_fp_ieee_overflow 0
		.amdhsa_exception_fp_ieee_underflow 0
		.amdhsa_exception_fp_ieee_inexact 0
		.amdhsa_exception_int_div_zero 0
	.end_amdhsa_kernel
	.section	.text._ZN7rocprim17ROCPRIM_400000_NS6detail17trampoline_kernelINS0_14default_configENS1_38merge_sort_block_merge_config_selectorIlNS0_10empty_typeEEEZZNS1_27merge_sort_block_merge_implIS3_PlPS5_mZN2at6native12_GLOBAL__N_124unique_dim_cuda_templateIfEESt5tupleIJNSA_6TensorESF_SF_EERKSF_lbbbEUlllE_EE10hipError_tT0_T1_T2_jT3_P12ihipStream_tbPNSt15iterator_traitsISL_E10value_typeEPNSR_ISM_E10value_typeEPSN_NS1_7vsmem_tEENKUlT_SL_SM_SN_E_clIS8_S8_S9_S9_EESK_S10_SL_SM_SN_EUlS10_E1_NS1_11comp_targetILNS1_3genE10ELNS1_11target_archE1201ELNS1_3gpuE5ELNS1_3repE0EEENS1_36merge_oddeven_config_static_selectorELNS0_4arch9wavefront6targetE1EEEvSM_,"axG",@progbits,_ZN7rocprim17ROCPRIM_400000_NS6detail17trampoline_kernelINS0_14default_configENS1_38merge_sort_block_merge_config_selectorIlNS0_10empty_typeEEEZZNS1_27merge_sort_block_merge_implIS3_PlPS5_mZN2at6native12_GLOBAL__N_124unique_dim_cuda_templateIfEESt5tupleIJNSA_6TensorESF_SF_EERKSF_lbbbEUlllE_EE10hipError_tT0_T1_T2_jT3_P12ihipStream_tbPNSt15iterator_traitsISL_E10value_typeEPNSR_ISM_E10value_typeEPSN_NS1_7vsmem_tEENKUlT_SL_SM_SN_E_clIS8_S8_S9_S9_EESK_S10_SL_SM_SN_EUlS10_E1_NS1_11comp_targetILNS1_3genE10ELNS1_11target_archE1201ELNS1_3gpuE5ELNS1_3repE0EEENS1_36merge_oddeven_config_static_selectorELNS0_4arch9wavefront6targetE1EEEvSM_,comdat
.Lfunc_end897:
	.size	_ZN7rocprim17ROCPRIM_400000_NS6detail17trampoline_kernelINS0_14default_configENS1_38merge_sort_block_merge_config_selectorIlNS0_10empty_typeEEEZZNS1_27merge_sort_block_merge_implIS3_PlPS5_mZN2at6native12_GLOBAL__N_124unique_dim_cuda_templateIfEESt5tupleIJNSA_6TensorESF_SF_EERKSF_lbbbEUlllE_EE10hipError_tT0_T1_T2_jT3_P12ihipStream_tbPNSt15iterator_traitsISL_E10value_typeEPNSR_ISM_E10value_typeEPSN_NS1_7vsmem_tEENKUlT_SL_SM_SN_E_clIS8_S8_S9_S9_EESK_S10_SL_SM_SN_EUlS10_E1_NS1_11comp_targetILNS1_3genE10ELNS1_11target_archE1201ELNS1_3gpuE5ELNS1_3repE0EEENS1_36merge_oddeven_config_static_selectorELNS0_4arch9wavefront6targetE1EEEvSM_, .Lfunc_end897-_ZN7rocprim17ROCPRIM_400000_NS6detail17trampoline_kernelINS0_14default_configENS1_38merge_sort_block_merge_config_selectorIlNS0_10empty_typeEEEZZNS1_27merge_sort_block_merge_implIS3_PlPS5_mZN2at6native12_GLOBAL__N_124unique_dim_cuda_templateIfEESt5tupleIJNSA_6TensorESF_SF_EERKSF_lbbbEUlllE_EE10hipError_tT0_T1_T2_jT3_P12ihipStream_tbPNSt15iterator_traitsISL_E10value_typeEPNSR_ISM_E10value_typeEPSN_NS1_7vsmem_tEENKUlT_SL_SM_SN_E_clIS8_S8_S9_S9_EESK_S10_SL_SM_SN_EUlS10_E1_NS1_11comp_targetILNS1_3genE10ELNS1_11target_archE1201ELNS1_3gpuE5ELNS1_3repE0EEENS1_36merge_oddeven_config_static_selectorELNS0_4arch9wavefront6targetE1EEEvSM_
                                        ; -- End function
	.section	.AMDGPU.csdata,"",@progbits
; Kernel info:
; codeLenInByte = 0
; NumSgprs: 4
; NumVgprs: 0
; NumAgprs: 0
; TotalNumVgprs: 0
; ScratchSize: 0
; MemoryBound: 0
; FloatMode: 240
; IeeeMode: 1
; LDSByteSize: 0 bytes/workgroup (compile time only)
; SGPRBlocks: 0
; VGPRBlocks: 0
; NumSGPRsForWavesPerEU: 4
; NumVGPRsForWavesPerEU: 1
; AccumOffset: 4
; Occupancy: 8
; WaveLimiterHint : 0
; COMPUTE_PGM_RSRC2:SCRATCH_EN: 0
; COMPUTE_PGM_RSRC2:USER_SGPR: 6
; COMPUTE_PGM_RSRC2:TRAP_HANDLER: 0
; COMPUTE_PGM_RSRC2:TGID_X_EN: 1
; COMPUTE_PGM_RSRC2:TGID_Y_EN: 0
; COMPUTE_PGM_RSRC2:TGID_Z_EN: 0
; COMPUTE_PGM_RSRC2:TIDIG_COMP_CNT: 0
; COMPUTE_PGM_RSRC3_GFX90A:ACCUM_OFFSET: 0
; COMPUTE_PGM_RSRC3_GFX90A:TG_SPLIT: 0
	.section	.text._ZN7rocprim17ROCPRIM_400000_NS6detail17trampoline_kernelINS0_14default_configENS1_38merge_sort_block_merge_config_selectorIlNS0_10empty_typeEEEZZNS1_27merge_sort_block_merge_implIS3_PlPS5_mZN2at6native12_GLOBAL__N_124unique_dim_cuda_templateIfEESt5tupleIJNSA_6TensorESF_SF_EERKSF_lbbbEUlllE_EE10hipError_tT0_T1_T2_jT3_P12ihipStream_tbPNSt15iterator_traitsISL_E10value_typeEPNSR_ISM_E10value_typeEPSN_NS1_7vsmem_tEENKUlT_SL_SM_SN_E_clIS8_S8_S9_S9_EESK_S10_SL_SM_SN_EUlS10_E1_NS1_11comp_targetILNS1_3genE5ELNS1_11target_archE942ELNS1_3gpuE9ELNS1_3repE0EEENS1_36merge_oddeven_config_static_selectorELNS0_4arch9wavefront6targetE1EEEvSM_,"axG",@progbits,_ZN7rocprim17ROCPRIM_400000_NS6detail17trampoline_kernelINS0_14default_configENS1_38merge_sort_block_merge_config_selectorIlNS0_10empty_typeEEEZZNS1_27merge_sort_block_merge_implIS3_PlPS5_mZN2at6native12_GLOBAL__N_124unique_dim_cuda_templateIfEESt5tupleIJNSA_6TensorESF_SF_EERKSF_lbbbEUlllE_EE10hipError_tT0_T1_T2_jT3_P12ihipStream_tbPNSt15iterator_traitsISL_E10value_typeEPNSR_ISM_E10value_typeEPSN_NS1_7vsmem_tEENKUlT_SL_SM_SN_E_clIS8_S8_S9_S9_EESK_S10_SL_SM_SN_EUlS10_E1_NS1_11comp_targetILNS1_3genE5ELNS1_11target_archE942ELNS1_3gpuE9ELNS1_3repE0EEENS1_36merge_oddeven_config_static_selectorELNS0_4arch9wavefront6targetE1EEEvSM_,comdat
	.globl	_ZN7rocprim17ROCPRIM_400000_NS6detail17trampoline_kernelINS0_14default_configENS1_38merge_sort_block_merge_config_selectorIlNS0_10empty_typeEEEZZNS1_27merge_sort_block_merge_implIS3_PlPS5_mZN2at6native12_GLOBAL__N_124unique_dim_cuda_templateIfEESt5tupleIJNSA_6TensorESF_SF_EERKSF_lbbbEUlllE_EE10hipError_tT0_T1_T2_jT3_P12ihipStream_tbPNSt15iterator_traitsISL_E10value_typeEPNSR_ISM_E10value_typeEPSN_NS1_7vsmem_tEENKUlT_SL_SM_SN_E_clIS8_S8_S9_S9_EESK_S10_SL_SM_SN_EUlS10_E1_NS1_11comp_targetILNS1_3genE5ELNS1_11target_archE942ELNS1_3gpuE9ELNS1_3repE0EEENS1_36merge_oddeven_config_static_selectorELNS0_4arch9wavefront6targetE1EEEvSM_ ; -- Begin function _ZN7rocprim17ROCPRIM_400000_NS6detail17trampoline_kernelINS0_14default_configENS1_38merge_sort_block_merge_config_selectorIlNS0_10empty_typeEEEZZNS1_27merge_sort_block_merge_implIS3_PlPS5_mZN2at6native12_GLOBAL__N_124unique_dim_cuda_templateIfEESt5tupleIJNSA_6TensorESF_SF_EERKSF_lbbbEUlllE_EE10hipError_tT0_T1_T2_jT3_P12ihipStream_tbPNSt15iterator_traitsISL_E10value_typeEPNSR_ISM_E10value_typeEPSN_NS1_7vsmem_tEENKUlT_SL_SM_SN_E_clIS8_S8_S9_S9_EESK_S10_SL_SM_SN_EUlS10_E1_NS1_11comp_targetILNS1_3genE5ELNS1_11target_archE942ELNS1_3gpuE9ELNS1_3repE0EEENS1_36merge_oddeven_config_static_selectorELNS0_4arch9wavefront6targetE1EEEvSM_
	.p2align	8
	.type	_ZN7rocprim17ROCPRIM_400000_NS6detail17trampoline_kernelINS0_14default_configENS1_38merge_sort_block_merge_config_selectorIlNS0_10empty_typeEEEZZNS1_27merge_sort_block_merge_implIS3_PlPS5_mZN2at6native12_GLOBAL__N_124unique_dim_cuda_templateIfEESt5tupleIJNSA_6TensorESF_SF_EERKSF_lbbbEUlllE_EE10hipError_tT0_T1_T2_jT3_P12ihipStream_tbPNSt15iterator_traitsISL_E10value_typeEPNSR_ISM_E10value_typeEPSN_NS1_7vsmem_tEENKUlT_SL_SM_SN_E_clIS8_S8_S9_S9_EESK_S10_SL_SM_SN_EUlS10_E1_NS1_11comp_targetILNS1_3genE5ELNS1_11target_archE942ELNS1_3gpuE9ELNS1_3repE0EEENS1_36merge_oddeven_config_static_selectorELNS0_4arch9wavefront6targetE1EEEvSM_,@function
_ZN7rocprim17ROCPRIM_400000_NS6detail17trampoline_kernelINS0_14default_configENS1_38merge_sort_block_merge_config_selectorIlNS0_10empty_typeEEEZZNS1_27merge_sort_block_merge_implIS3_PlPS5_mZN2at6native12_GLOBAL__N_124unique_dim_cuda_templateIfEESt5tupleIJNSA_6TensorESF_SF_EERKSF_lbbbEUlllE_EE10hipError_tT0_T1_T2_jT3_P12ihipStream_tbPNSt15iterator_traitsISL_E10value_typeEPNSR_ISM_E10value_typeEPSN_NS1_7vsmem_tEENKUlT_SL_SM_SN_E_clIS8_S8_S9_S9_EESK_S10_SL_SM_SN_EUlS10_E1_NS1_11comp_targetILNS1_3genE5ELNS1_11target_archE942ELNS1_3gpuE9ELNS1_3repE0EEENS1_36merge_oddeven_config_static_selectorELNS0_4arch9wavefront6targetE1EEEvSM_: ; @_ZN7rocprim17ROCPRIM_400000_NS6detail17trampoline_kernelINS0_14default_configENS1_38merge_sort_block_merge_config_selectorIlNS0_10empty_typeEEEZZNS1_27merge_sort_block_merge_implIS3_PlPS5_mZN2at6native12_GLOBAL__N_124unique_dim_cuda_templateIfEESt5tupleIJNSA_6TensorESF_SF_EERKSF_lbbbEUlllE_EE10hipError_tT0_T1_T2_jT3_P12ihipStream_tbPNSt15iterator_traitsISL_E10value_typeEPNSR_ISM_E10value_typeEPSN_NS1_7vsmem_tEENKUlT_SL_SM_SN_E_clIS8_S8_S9_S9_EESK_S10_SL_SM_SN_EUlS10_E1_NS1_11comp_targetILNS1_3genE5ELNS1_11target_archE942ELNS1_3gpuE9ELNS1_3repE0EEENS1_36merge_oddeven_config_static_selectorELNS0_4arch9wavefront6targetE1EEEvSM_
; %bb.0:
	.section	.rodata,"a",@progbits
	.p2align	6, 0x0
	.amdhsa_kernel _ZN7rocprim17ROCPRIM_400000_NS6detail17trampoline_kernelINS0_14default_configENS1_38merge_sort_block_merge_config_selectorIlNS0_10empty_typeEEEZZNS1_27merge_sort_block_merge_implIS3_PlPS5_mZN2at6native12_GLOBAL__N_124unique_dim_cuda_templateIfEESt5tupleIJNSA_6TensorESF_SF_EERKSF_lbbbEUlllE_EE10hipError_tT0_T1_T2_jT3_P12ihipStream_tbPNSt15iterator_traitsISL_E10value_typeEPNSR_ISM_E10value_typeEPSN_NS1_7vsmem_tEENKUlT_SL_SM_SN_E_clIS8_S8_S9_S9_EESK_S10_SL_SM_SN_EUlS10_E1_NS1_11comp_targetILNS1_3genE5ELNS1_11target_archE942ELNS1_3gpuE9ELNS1_3repE0EEENS1_36merge_oddeven_config_static_selectorELNS0_4arch9wavefront6targetE1EEEvSM_
		.amdhsa_group_segment_fixed_size 0
		.amdhsa_private_segment_fixed_size 0
		.amdhsa_kernarg_size 64
		.amdhsa_user_sgpr_count 6
		.amdhsa_user_sgpr_private_segment_buffer 1
		.amdhsa_user_sgpr_dispatch_ptr 0
		.amdhsa_user_sgpr_queue_ptr 0
		.amdhsa_user_sgpr_kernarg_segment_ptr 1
		.amdhsa_user_sgpr_dispatch_id 0
		.amdhsa_user_sgpr_flat_scratch_init 0
		.amdhsa_user_sgpr_kernarg_preload_length 0
		.amdhsa_user_sgpr_kernarg_preload_offset 0
		.amdhsa_user_sgpr_private_segment_size 0
		.amdhsa_uses_dynamic_stack 0
		.amdhsa_system_sgpr_private_segment_wavefront_offset 0
		.amdhsa_system_sgpr_workgroup_id_x 1
		.amdhsa_system_sgpr_workgroup_id_y 0
		.amdhsa_system_sgpr_workgroup_id_z 0
		.amdhsa_system_sgpr_workgroup_info 0
		.amdhsa_system_vgpr_workitem_id 0
		.amdhsa_next_free_vgpr 1
		.amdhsa_next_free_sgpr 0
		.amdhsa_accum_offset 4
		.amdhsa_reserve_vcc 0
		.amdhsa_reserve_flat_scratch 0
		.amdhsa_float_round_mode_32 0
		.amdhsa_float_round_mode_16_64 0
		.amdhsa_float_denorm_mode_32 3
		.amdhsa_float_denorm_mode_16_64 3
		.amdhsa_dx10_clamp 1
		.amdhsa_ieee_mode 1
		.amdhsa_fp16_overflow 0
		.amdhsa_tg_split 0
		.amdhsa_exception_fp_ieee_invalid_op 0
		.amdhsa_exception_fp_denorm_src 0
		.amdhsa_exception_fp_ieee_div_zero 0
		.amdhsa_exception_fp_ieee_overflow 0
		.amdhsa_exception_fp_ieee_underflow 0
		.amdhsa_exception_fp_ieee_inexact 0
		.amdhsa_exception_int_div_zero 0
	.end_amdhsa_kernel
	.section	.text._ZN7rocprim17ROCPRIM_400000_NS6detail17trampoline_kernelINS0_14default_configENS1_38merge_sort_block_merge_config_selectorIlNS0_10empty_typeEEEZZNS1_27merge_sort_block_merge_implIS3_PlPS5_mZN2at6native12_GLOBAL__N_124unique_dim_cuda_templateIfEESt5tupleIJNSA_6TensorESF_SF_EERKSF_lbbbEUlllE_EE10hipError_tT0_T1_T2_jT3_P12ihipStream_tbPNSt15iterator_traitsISL_E10value_typeEPNSR_ISM_E10value_typeEPSN_NS1_7vsmem_tEENKUlT_SL_SM_SN_E_clIS8_S8_S9_S9_EESK_S10_SL_SM_SN_EUlS10_E1_NS1_11comp_targetILNS1_3genE5ELNS1_11target_archE942ELNS1_3gpuE9ELNS1_3repE0EEENS1_36merge_oddeven_config_static_selectorELNS0_4arch9wavefront6targetE1EEEvSM_,"axG",@progbits,_ZN7rocprim17ROCPRIM_400000_NS6detail17trampoline_kernelINS0_14default_configENS1_38merge_sort_block_merge_config_selectorIlNS0_10empty_typeEEEZZNS1_27merge_sort_block_merge_implIS3_PlPS5_mZN2at6native12_GLOBAL__N_124unique_dim_cuda_templateIfEESt5tupleIJNSA_6TensorESF_SF_EERKSF_lbbbEUlllE_EE10hipError_tT0_T1_T2_jT3_P12ihipStream_tbPNSt15iterator_traitsISL_E10value_typeEPNSR_ISM_E10value_typeEPSN_NS1_7vsmem_tEENKUlT_SL_SM_SN_E_clIS8_S8_S9_S9_EESK_S10_SL_SM_SN_EUlS10_E1_NS1_11comp_targetILNS1_3genE5ELNS1_11target_archE942ELNS1_3gpuE9ELNS1_3repE0EEENS1_36merge_oddeven_config_static_selectorELNS0_4arch9wavefront6targetE1EEEvSM_,comdat
.Lfunc_end898:
	.size	_ZN7rocprim17ROCPRIM_400000_NS6detail17trampoline_kernelINS0_14default_configENS1_38merge_sort_block_merge_config_selectorIlNS0_10empty_typeEEEZZNS1_27merge_sort_block_merge_implIS3_PlPS5_mZN2at6native12_GLOBAL__N_124unique_dim_cuda_templateIfEESt5tupleIJNSA_6TensorESF_SF_EERKSF_lbbbEUlllE_EE10hipError_tT0_T1_T2_jT3_P12ihipStream_tbPNSt15iterator_traitsISL_E10value_typeEPNSR_ISM_E10value_typeEPSN_NS1_7vsmem_tEENKUlT_SL_SM_SN_E_clIS8_S8_S9_S9_EESK_S10_SL_SM_SN_EUlS10_E1_NS1_11comp_targetILNS1_3genE5ELNS1_11target_archE942ELNS1_3gpuE9ELNS1_3repE0EEENS1_36merge_oddeven_config_static_selectorELNS0_4arch9wavefront6targetE1EEEvSM_, .Lfunc_end898-_ZN7rocprim17ROCPRIM_400000_NS6detail17trampoline_kernelINS0_14default_configENS1_38merge_sort_block_merge_config_selectorIlNS0_10empty_typeEEEZZNS1_27merge_sort_block_merge_implIS3_PlPS5_mZN2at6native12_GLOBAL__N_124unique_dim_cuda_templateIfEESt5tupleIJNSA_6TensorESF_SF_EERKSF_lbbbEUlllE_EE10hipError_tT0_T1_T2_jT3_P12ihipStream_tbPNSt15iterator_traitsISL_E10value_typeEPNSR_ISM_E10value_typeEPSN_NS1_7vsmem_tEENKUlT_SL_SM_SN_E_clIS8_S8_S9_S9_EESK_S10_SL_SM_SN_EUlS10_E1_NS1_11comp_targetILNS1_3genE5ELNS1_11target_archE942ELNS1_3gpuE9ELNS1_3repE0EEENS1_36merge_oddeven_config_static_selectorELNS0_4arch9wavefront6targetE1EEEvSM_
                                        ; -- End function
	.section	.AMDGPU.csdata,"",@progbits
; Kernel info:
; codeLenInByte = 0
; NumSgprs: 4
; NumVgprs: 0
; NumAgprs: 0
; TotalNumVgprs: 0
; ScratchSize: 0
; MemoryBound: 0
; FloatMode: 240
; IeeeMode: 1
; LDSByteSize: 0 bytes/workgroup (compile time only)
; SGPRBlocks: 0
; VGPRBlocks: 0
; NumSGPRsForWavesPerEU: 4
; NumVGPRsForWavesPerEU: 1
; AccumOffset: 4
; Occupancy: 8
; WaveLimiterHint : 0
; COMPUTE_PGM_RSRC2:SCRATCH_EN: 0
; COMPUTE_PGM_RSRC2:USER_SGPR: 6
; COMPUTE_PGM_RSRC2:TRAP_HANDLER: 0
; COMPUTE_PGM_RSRC2:TGID_X_EN: 1
; COMPUTE_PGM_RSRC2:TGID_Y_EN: 0
; COMPUTE_PGM_RSRC2:TGID_Z_EN: 0
; COMPUTE_PGM_RSRC2:TIDIG_COMP_CNT: 0
; COMPUTE_PGM_RSRC3_GFX90A:ACCUM_OFFSET: 0
; COMPUTE_PGM_RSRC3_GFX90A:TG_SPLIT: 0
	.section	.text._ZN7rocprim17ROCPRIM_400000_NS6detail17trampoline_kernelINS0_14default_configENS1_38merge_sort_block_merge_config_selectorIlNS0_10empty_typeEEEZZNS1_27merge_sort_block_merge_implIS3_PlPS5_mZN2at6native12_GLOBAL__N_124unique_dim_cuda_templateIfEESt5tupleIJNSA_6TensorESF_SF_EERKSF_lbbbEUlllE_EE10hipError_tT0_T1_T2_jT3_P12ihipStream_tbPNSt15iterator_traitsISL_E10value_typeEPNSR_ISM_E10value_typeEPSN_NS1_7vsmem_tEENKUlT_SL_SM_SN_E_clIS8_S8_S9_S9_EESK_S10_SL_SM_SN_EUlS10_E1_NS1_11comp_targetILNS1_3genE4ELNS1_11target_archE910ELNS1_3gpuE8ELNS1_3repE0EEENS1_36merge_oddeven_config_static_selectorELNS0_4arch9wavefront6targetE1EEEvSM_,"axG",@progbits,_ZN7rocprim17ROCPRIM_400000_NS6detail17trampoline_kernelINS0_14default_configENS1_38merge_sort_block_merge_config_selectorIlNS0_10empty_typeEEEZZNS1_27merge_sort_block_merge_implIS3_PlPS5_mZN2at6native12_GLOBAL__N_124unique_dim_cuda_templateIfEESt5tupleIJNSA_6TensorESF_SF_EERKSF_lbbbEUlllE_EE10hipError_tT0_T1_T2_jT3_P12ihipStream_tbPNSt15iterator_traitsISL_E10value_typeEPNSR_ISM_E10value_typeEPSN_NS1_7vsmem_tEENKUlT_SL_SM_SN_E_clIS8_S8_S9_S9_EESK_S10_SL_SM_SN_EUlS10_E1_NS1_11comp_targetILNS1_3genE4ELNS1_11target_archE910ELNS1_3gpuE8ELNS1_3repE0EEENS1_36merge_oddeven_config_static_selectorELNS0_4arch9wavefront6targetE1EEEvSM_,comdat
	.globl	_ZN7rocprim17ROCPRIM_400000_NS6detail17trampoline_kernelINS0_14default_configENS1_38merge_sort_block_merge_config_selectorIlNS0_10empty_typeEEEZZNS1_27merge_sort_block_merge_implIS3_PlPS5_mZN2at6native12_GLOBAL__N_124unique_dim_cuda_templateIfEESt5tupleIJNSA_6TensorESF_SF_EERKSF_lbbbEUlllE_EE10hipError_tT0_T1_T2_jT3_P12ihipStream_tbPNSt15iterator_traitsISL_E10value_typeEPNSR_ISM_E10value_typeEPSN_NS1_7vsmem_tEENKUlT_SL_SM_SN_E_clIS8_S8_S9_S9_EESK_S10_SL_SM_SN_EUlS10_E1_NS1_11comp_targetILNS1_3genE4ELNS1_11target_archE910ELNS1_3gpuE8ELNS1_3repE0EEENS1_36merge_oddeven_config_static_selectorELNS0_4arch9wavefront6targetE1EEEvSM_ ; -- Begin function _ZN7rocprim17ROCPRIM_400000_NS6detail17trampoline_kernelINS0_14default_configENS1_38merge_sort_block_merge_config_selectorIlNS0_10empty_typeEEEZZNS1_27merge_sort_block_merge_implIS3_PlPS5_mZN2at6native12_GLOBAL__N_124unique_dim_cuda_templateIfEESt5tupleIJNSA_6TensorESF_SF_EERKSF_lbbbEUlllE_EE10hipError_tT0_T1_T2_jT3_P12ihipStream_tbPNSt15iterator_traitsISL_E10value_typeEPNSR_ISM_E10value_typeEPSN_NS1_7vsmem_tEENKUlT_SL_SM_SN_E_clIS8_S8_S9_S9_EESK_S10_SL_SM_SN_EUlS10_E1_NS1_11comp_targetILNS1_3genE4ELNS1_11target_archE910ELNS1_3gpuE8ELNS1_3repE0EEENS1_36merge_oddeven_config_static_selectorELNS0_4arch9wavefront6targetE1EEEvSM_
	.p2align	8
	.type	_ZN7rocprim17ROCPRIM_400000_NS6detail17trampoline_kernelINS0_14default_configENS1_38merge_sort_block_merge_config_selectorIlNS0_10empty_typeEEEZZNS1_27merge_sort_block_merge_implIS3_PlPS5_mZN2at6native12_GLOBAL__N_124unique_dim_cuda_templateIfEESt5tupleIJNSA_6TensorESF_SF_EERKSF_lbbbEUlllE_EE10hipError_tT0_T1_T2_jT3_P12ihipStream_tbPNSt15iterator_traitsISL_E10value_typeEPNSR_ISM_E10value_typeEPSN_NS1_7vsmem_tEENKUlT_SL_SM_SN_E_clIS8_S8_S9_S9_EESK_S10_SL_SM_SN_EUlS10_E1_NS1_11comp_targetILNS1_3genE4ELNS1_11target_archE910ELNS1_3gpuE8ELNS1_3repE0EEENS1_36merge_oddeven_config_static_selectorELNS0_4arch9wavefront6targetE1EEEvSM_,@function
_ZN7rocprim17ROCPRIM_400000_NS6detail17trampoline_kernelINS0_14default_configENS1_38merge_sort_block_merge_config_selectorIlNS0_10empty_typeEEEZZNS1_27merge_sort_block_merge_implIS3_PlPS5_mZN2at6native12_GLOBAL__N_124unique_dim_cuda_templateIfEESt5tupleIJNSA_6TensorESF_SF_EERKSF_lbbbEUlllE_EE10hipError_tT0_T1_T2_jT3_P12ihipStream_tbPNSt15iterator_traitsISL_E10value_typeEPNSR_ISM_E10value_typeEPSN_NS1_7vsmem_tEENKUlT_SL_SM_SN_E_clIS8_S8_S9_S9_EESK_S10_SL_SM_SN_EUlS10_E1_NS1_11comp_targetILNS1_3genE4ELNS1_11target_archE910ELNS1_3gpuE8ELNS1_3repE0EEENS1_36merge_oddeven_config_static_selectorELNS0_4arch9wavefront6targetE1EEEvSM_: ; @_ZN7rocprim17ROCPRIM_400000_NS6detail17trampoline_kernelINS0_14default_configENS1_38merge_sort_block_merge_config_selectorIlNS0_10empty_typeEEEZZNS1_27merge_sort_block_merge_implIS3_PlPS5_mZN2at6native12_GLOBAL__N_124unique_dim_cuda_templateIfEESt5tupleIJNSA_6TensorESF_SF_EERKSF_lbbbEUlllE_EE10hipError_tT0_T1_T2_jT3_P12ihipStream_tbPNSt15iterator_traitsISL_E10value_typeEPNSR_ISM_E10value_typeEPSN_NS1_7vsmem_tEENKUlT_SL_SM_SN_E_clIS8_S8_S9_S9_EESK_S10_SL_SM_SN_EUlS10_E1_NS1_11comp_targetILNS1_3genE4ELNS1_11target_archE910ELNS1_3gpuE8ELNS1_3repE0EEENS1_36merge_oddeven_config_static_selectorELNS0_4arch9wavefront6targetE1EEEvSM_
; %bb.0:
	s_load_dword s22, s[4:5], 0x20
	s_waitcnt lgkmcnt(0)
	s_lshr_b32 s0, s22, 8
	s_cmp_lg_u32 s6, s0
	s_cselect_b64 s[12:13], -1, 0
	s_cmp_eq_u32 s6, s0
	s_cselect_b64 s[2:3], -1, 0
	s_lshl_b32 s20, s6, 8
	s_sub_i32 s0, s22, s20
	v_cmp_gt_u32_e64 s[0:1], s0, v0
	s_or_b64 s[8:9], s[12:13], s[0:1]
	s_and_saveexec_b64 s[10:11], s[8:9]
	s_cbranch_execz .LBB899_54
; %bb.1:
	s_load_dwordx4 s[8:11], s[4:5], 0x0
	s_load_dword s23, s[4:5], 0x28
	s_mov_b32 s21, 0
	s_lshl_b64 s[14:15], s[20:21], 3
	v_lshlrev_b32_e32 v1, 3, v0
	s_waitcnt lgkmcnt(0)
	s_add_u32 s14, s8, s14
	s_addc_u32 s15, s9, s15
	global_load_dwordx2 v[2:3], v1, s[14:15]
	s_lshr_b32 s7, s23, 8
	s_sub_i32 s14, 0, s7
	s_and_b32 s6, s6, s14
	s_and_b32 s7, s6, s7
	s_cmp_lg_u32 s7, 0
	s_cselect_b64 s[16:17], -1, 0
	s_lshl_b32 s21, s6, 8
	s_sub_i32 s6, 0, s23
	s_cmp_eq_u32 s7, 0
	s_cselect_b32 s33, s23, s6
	s_add_i32 s33, s33, s21
	s_cmp_lt_u32 s33, s22
	s_cbranch_scc1 .LBB899_3
; %bb.2:
	v_add_u32_e32 v4, s20, v0
	v_cmp_gt_u32_e32 vcc, s22, v4
	s_or_b64 s[12:13], vcc, s[12:13]
	s_and_b64 s[18:19], s[12:13], exec
	s_cbranch_execz .LBB899_4
	s_branch .LBB899_52
.LBB899_3:
	s_mov_b64 s[18:19], 0
                                        ; implicit-def: $vgpr4
.LBB899_4:
	s_load_dwordx4 s[12:15], s[4:5], 0x30
	s_min_u32 s44, s33, s22
	s_add_i32 s4, s44, s23
	s_min_u32 s45, s4, s22
	s_min_u32 s4, s21, s44
	v_add_u32_e32 v0, s20, v0
	s_add_i32 s21, s21, s44
	v_subrev_u32_e32 v0, s21, v0
	v_add_u32_e32 v12, s4, v0
	s_and_b64 vcc, exec, s[2:3]
	s_cbranch_vccz .LBB899_26
; %bb.5:
                                        ; implicit-def: $vgpr4
	s_and_saveexec_b64 s[20:21], s[0:1]
	s_cbranch_execz .LBB899_29
; %bb.6:
	s_cmp_ge_u32 s33, s45
	v_mov_b32_e32 v13, s44
	s_cbranch_scc1 .LBB899_28
; %bb.7:
	s_waitcnt vmcnt(0) lgkmcnt(0)
	v_mul_lo_u32 v4, v3, s12
	v_mul_lo_u32 v5, v2, s13
	v_mad_u64_u32 v[0:1], s[0:1], v2, s12, 0
	v_add3_u32 v1, v1, v5, v4
	v_lshlrev_b64 v[0:1], 2, v[0:1]
	v_mov_b32_e32 v4, s15
	v_add_co_u32_e32 v0, vcc, s14, v0
	v_addc_co_u32_e32 v1, vcc, v4, v1, vcc
	v_cndmask_b32_e64 v4, 0, 1, s[16:17]
	v_cmp_gt_i64_e64 s[2:3], s[12:13], 0
	v_cmp_ne_u32_e64 s[0:1], 1, v4
	v_cndmask_b32_e64 v4, 0, 1, s[2:3]
	s_mov_b64 s[22:23], 0
	s_lshl_b64 s[24:25], s[12:13], 2
	v_mov_b32_e32 v14, s45
	v_mov_b32_e32 v13, s44
	;; [unrolled: 1-line block ×4, first 2 shown]
	v_cmp_ne_u32_e64 s[2:3], 1, v4
	s_branch .LBB899_10
.LBB899_8:                              ;   in Loop: Header=BB899_10 Depth=1
	s_or_b64 exec, exec, s[28:29]
.LBB899_9:                              ;   in Loop: Header=BB899_10 Depth=1
	s_waitcnt vmcnt(0)
	v_add_u32_e32 v6, 1, v4
	v_cndmask_b32_e64 v14, v4, v14, s[26:27]
	v_cndmask_b32_e64 v13, v13, v6, s[26:27]
	v_cmp_ge_u32_e32 vcc, v13, v14
	s_or_b64 s[22:23], vcc, s[22:23]
	s_andn2_b64 exec, exec, s[22:23]
	s_cbranch_execz .LBB899_27
.LBB899_10:                             ; =>This Loop Header: Depth=1
                                        ;     Child Loop BB899_14 Depth 2
                                        ;     Child Loop BB899_23 Depth 2
	v_add_u32_e32 v4, v13, v14
	v_lshrrev_b32_e32 v4, 1, v4
	v_lshlrev_b64 v[6:7], 3, v[4:5]
	v_add_co_u32_e32 v6, vcc, s8, v6
	v_addc_co_u32_e32 v7, vcc, v15, v7, vcc
	global_load_dwordx2 v[6:7], v[6:7], off
	s_and_b64 vcc, exec, s[0:1]
	s_mov_b64 s[4:5], -1
                                        ; implicit-def: $sgpr26_sgpr27
	s_cbranch_vccnz .LBB899_19
; %bb.11:                               ;   in Loop: Header=BB899_10 Depth=1
	s_and_b64 vcc, exec, s[2:3]
	s_cbranch_vccnz .LBB899_17
; %bb.12:                               ;   in Loop: Header=BB899_10 Depth=1
	v_pk_mov_b32 v[8:9], s[14:15], s[14:15] op_sel:[0,1]
	s_waitcnt vmcnt(0)
	v_mad_u64_u32 v[8:9], s[4:5], s24, v6, v[8:9]
	v_mul_lo_u32 v10, s24, v7
	v_mul_lo_u32 v11, s25, v6
	v_add3_u32 v9, v11, v9, v10
	s_mov_b64 s[28:29], 0
	s_mov_b64 s[36:37], s[12:13]
	v_pk_mov_b32 v[10:11], v[0:1], v[0:1] op_sel:[0,1]
                                        ; implicit-def: $sgpr26_sgpr27
                                        ; implicit-def: $sgpr30_sgpr31
                                        ; implicit-def: $sgpr34_sgpr35
                                        ; implicit-def: $sgpr4_sgpr5
                                        ; implicit-def: $sgpr38_sgpr39
	s_branch .LBB899_14
.LBB899_13:                             ;   in Loop: Header=BB899_14 Depth=2
	s_or_b64 exec, exec, s[40:41]
	s_and_b64 s[6:7], exec, s[30:31]
	s_or_b64 s[28:29], s[6:7], s[28:29]
	s_andn2_b64 s[6:7], s[38:39], exec
	s_and_b64 s[38:39], s[34:35], exec
	s_or_b64 s[38:39], s[6:7], s[38:39]
	s_andn2_b64 s[6:7], s[26:27], exec
	s_and_b64 s[26:27], s[4:5], exec
	s_or_b64 s[26:27], s[6:7], s[26:27]
	s_andn2_b64 exec, exec, s[28:29]
	s_cbranch_execz .LBB899_16
.LBB899_14:                             ;   Parent Loop BB899_10 Depth=1
                                        ; =>  This Inner Loop Header: Depth=2
	global_load_dword v16, v[10:11], off
	global_load_dword v17, v[8:9], off
	s_andn2_b64 s[40:41], s[4:5], exec
	s_andn2_b64 s[34:35], s[34:35], exec
	s_or_b64 s[30:31], s[30:31], exec
	s_waitcnt vmcnt(0)
	v_cmp_ngt_f32_e64 s[4:5], v16, v17
	v_cmp_lt_f32_e32 vcc, v16, v17
	s_and_b64 s[4:5], s[4:5], s[38:39]
	s_or_b64 s[42:43], vcc, s[4:5]
	s_and_b64 s[4:5], s[42:43], exec
	v_cmp_nlg_f32_e64 s[6:7], v16, v17
	s_or_b64 s[4:5], s[40:41], s[4:5]
	s_and_saveexec_b64 s[40:41], s[6:7]
	s_cbranch_execz .LBB899_13
; %bb.15:                               ;   in Loop: Header=BB899_14 Depth=2
	s_add_u32 s36, s36, -1
	s_addc_u32 s37, s37, -1
	v_add_co_u32_e32 v10, vcc, 4, v10
	s_cmp_eq_u64 s[36:37], 0
	v_addc_co_u32_e32 v11, vcc, 0, v11, vcc
	s_cselect_b64 s[6:7], -1, 0
	v_add_co_u32_e32 v8, vcc, 4, v8
	s_andn2_b64 s[34:35], s[34:35], exec
	s_and_b64 s[38:39], s[42:43], exec
	s_andn2_b64 s[30:31], s[30:31], exec
	s_and_b64 s[6:7], s[6:7], exec
	v_addc_co_u32_e32 v9, vcc, 0, v9, vcc
	s_andn2_b64 s[4:5], s[4:5], exec
	s_or_b64 s[34:35], s[34:35], s[38:39]
	s_or_b64 s[30:31], s[30:31], s[6:7]
                                        ; implicit-def: $sgpr38_sgpr39
	s_branch .LBB899_13
.LBB899_16:                             ;   in Loop: Header=BB899_10 Depth=1
	s_or_b64 exec, exec, s[28:29]
	s_branch .LBB899_18
.LBB899_17:                             ;   in Loop: Header=BB899_10 Depth=1
	s_mov_b64 s[26:27], 0
.LBB899_18:                             ;   in Loop: Header=BB899_10 Depth=1
	s_xor_b64 s[26:27], s[26:27], -1
	s_mov_b64 s[4:5], 0
.LBB899_19:                             ;   in Loop: Header=BB899_10 Depth=1
	s_and_b64 vcc, exec, s[4:5]
	s_cbranch_vccz .LBB899_9
; %bb.20:                               ;   in Loop: Header=BB899_10 Depth=1
	s_and_b64 vcc, exec, s[2:3]
	s_cbranch_vccnz .LBB899_25
; %bb.21:                               ;   in Loop: Header=BB899_10 Depth=1
	v_pk_mov_b32 v[8:9], s[14:15], s[14:15] op_sel:[0,1]
	s_waitcnt vmcnt(0)
	v_mad_u64_u32 v[8:9], s[4:5], s24, v6, v[8:9]
	v_mul_lo_u32 v7, s24, v7
	v_mul_lo_u32 v6, s25, v6
	v_add3_u32 v9, v6, v9, v7
	s_mov_b64 s[28:29], 0
	s_mov_b64 s[36:37], s[12:13]
	v_pk_mov_b32 v[6:7], v[0:1], v[0:1] op_sel:[0,1]
                                        ; implicit-def: $sgpr26_sgpr27
                                        ; implicit-def: $sgpr30_sgpr31
                                        ; implicit-def: $sgpr34_sgpr35
                                        ; implicit-def: $sgpr4_sgpr5
                                        ; implicit-def: $sgpr38_sgpr39
	s_branch .LBB899_23
.LBB899_22:                             ;   in Loop: Header=BB899_23 Depth=2
	s_or_b64 exec, exec, s[40:41]
	s_and_b64 s[6:7], exec, s[30:31]
	s_or_b64 s[28:29], s[6:7], s[28:29]
	s_andn2_b64 s[6:7], s[38:39], exec
	s_and_b64 s[38:39], s[34:35], exec
	s_or_b64 s[38:39], s[6:7], s[38:39]
	s_andn2_b64 s[6:7], s[26:27], exec
	s_and_b64 s[26:27], s[4:5], exec
	s_or_b64 s[26:27], s[6:7], s[26:27]
	s_andn2_b64 exec, exec, s[28:29]
	s_cbranch_execz .LBB899_8
.LBB899_23:                             ;   Parent Loop BB899_10 Depth=1
                                        ; =>  This Inner Loop Header: Depth=2
	global_load_dword v10, v[8:9], off
	global_load_dword v11, v[6:7], off
	s_andn2_b64 s[40:41], s[4:5], exec
	s_andn2_b64 s[34:35], s[34:35], exec
	s_or_b64 s[30:31], s[30:31], exec
	s_waitcnt vmcnt(0)
	v_cmp_ngt_f32_e64 s[4:5], v10, v11
	v_cmp_lt_f32_e32 vcc, v10, v11
	s_and_b64 s[4:5], s[4:5], s[38:39]
	s_or_b64 s[42:43], vcc, s[4:5]
	s_and_b64 s[4:5], s[42:43], exec
	v_cmp_nlg_f32_e64 s[6:7], v10, v11
	s_or_b64 s[4:5], s[40:41], s[4:5]
	s_and_saveexec_b64 s[40:41], s[6:7]
	s_cbranch_execz .LBB899_22
; %bb.24:                               ;   in Loop: Header=BB899_23 Depth=2
	s_add_u32 s36, s36, -1
	s_addc_u32 s37, s37, -1
	v_add_co_u32_e32 v8, vcc, 4, v8
	s_cmp_eq_u64 s[36:37], 0
	v_addc_co_u32_e32 v9, vcc, 0, v9, vcc
	s_cselect_b64 s[6:7], -1, 0
	v_add_co_u32_e32 v6, vcc, 4, v6
	s_andn2_b64 s[34:35], s[34:35], exec
	s_and_b64 s[38:39], s[42:43], exec
	s_andn2_b64 s[30:31], s[30:31], exec
	s_and_b64 s[6:7], s[6:7], exec
	v_addc_co_u32_e32 v7, vcc, 0, v7, vcc
	s_andn2_b64 s[4:5], s[4:5], exec
	s_or_b64 s[34:35], s[34:35], s[38:39]
	s_or_b64 s[30:31], s[30:31], s[6:7]
                                        ; implicit-def: $sgpr38_sgpr39
	s_branch .LBB899_22
.LBB899_25:                             ;   in Loop: Header=BB899_10 Depth=1
	s_mov_b64 s[26:27], 0
	s_branch .LBB899_9
.LBB899_26:
                                        ; implicit-def: $vgpr4
	s_cbranch_execnz .LBB899_30
	s_branch .LBB899_52
.LBB899_27:
	s_or_b64 exec, exec, s[22:23]
.LBB899_28:
	v_add_u32_e32 v4, v13, v12
	s_or_b64 s[18:19], s[18:19], exec
.LBB899_29:
	s_or_b64 exec, exec, s[20:21]
	s_branch .LBB899_52
.LBB899_30:
	s_cmp_ge_u32 s33, s45
	v_mov_b32_e32 v13, s44
	s_cbranch_scc1 .LBB899_51
; %bb.31:
	s_waitcnt vmcnt(0) lgkmcnt(0)
	v_mul_lo_u32 v4, v3, s12
	v_mul_lo_u32 v5, v2, s13
	v_mad_u64_u32 v[0:1], s[0:1], v2, s12, 0
	v_add3_u32 v1, v1, v5, v4
	v_lshlrev_b64 v[0:1], 2, v[0:1]
	v_mov_b32_e32 v4, s15
	v_add_co_u32_e32 v0, vcc, s14, v0
	v_addc_co_u32_e32 v1, vcc, v4, v1, vcc
	v_cndmask_b32_e64 v4, 0, 1, s[16:17]
	v_cmp_gt_i64_e64 s[2:3], s[12:13], 0
	v_cmp_ne_u32_e64 s[0:1], 1, v4
	v_cndmask_b32_e64 v4, 0, 1, s[2:3]
	s_mov_b64 s[18:19], 0
	s_lshl_b64 s[20:21], s[12:13], 2
	v_mov_b32_e32 v14, s45
	v_mov_b32_e32 v13, s44
	v_mov_b32_e32 v5, 0
	v_mov_b32_e32 v15, s9
	v_cmp_ne_u32_e64 s[2:3], 1, v4
	s_branch .LBB899_34
.LBB899_32:                             ;   in Loop: Header=BB899_34 Depth=1
	s_or_b64 exec, exec, s[22:23]
.LBB899_33:                             ;   in Loop: Header=BB899_34 Depth=1
	s_waitcnt vmcnt(0)
	v_add_u32_e32 v6, 1, v4
	v_cndmask_b32_e64 v14, v4, v14, s[16:17]
	v_cndmask_b32_e64 v13, v13, v6, s[16:17]
	v_cmp_ge_u32_e32 vcc, v13, v14
	s_or_b64 s[18:19], vcc, s[18:19]
	s_andn2_b64 exec, exec, s[18:19]
	s_cbranch_execz .LBB899_50
.LBB899_34:                             ; =>This Loop Header: Depth=1
                                        ;     Child Loop BB899_38 Depth 2
                                        ;     Child Loop BB899_47 Depth 2
	v_add_u32_e32 v4, v13, v14
	v_lshrrev_b32_e32 v4, 1, v4
	v_lshlrev_b64 v[6:7], 3, v[4:5]
	v_add_co_u32_e32 v6, vcc, s8, v6
	v_addc_co_u32_e32 v7, vcc, v15, v7, vcc
	global_load_dwordx2 v[6:7], v[6:7], off
	s_and_b64 vcc, exec, s[0:1]
	s_mov_b64 s[4:5], -1
                                        ; implicit-def: $sgpr16_sgpr17
	s_cbranch_vccnz .LBB899_43
; %bb.35:                               ;   in Loop: Header=BB899_34 Depth=1
	s_and_b64 vcc, exec, s[2:3]
	s_cbranch_vccnz .LBB899_41
; %bb.36:                               ;   in Loop: Header=BB899_34 Depth=1
	v_pk_mov_b32 v[8:9], s[14:15], s[14:15] op_sel:[0,1]
	s_waitcnt vmcnt(0)
	v_mad_u64_u32 v[8:9], s[4:5], s20, v6, v[8:9]
	v_mul_lo_u32 v10, s20, v7
	v_mul_lo_u32 v11, s21, v6
	v_add3_u32 v9, v11, v9, v10
	s_mov_b64 s[22:23], 0
	s_mov_b64 s[28:29], s[12:13]
	v_pk_mov_b32 v[10:11], v[0:1], v[0:1] op_sel:[0,1]
                                        ; implicit-def: $sgpr16_sgpr17
                                        ; implicit-def: $sgpr24_sgpr25
                                        ; implicit-def: $sgpr26_sgpr27
                                        ; implicit-def: $sgpr4_sgpr5
                                        ; implicit-def: $sgpr30_sgpr31
	s_branch .LBB899_38
.LBB899_37:                             ;   in Loop: Header=BB899_38 Depth=2
	s_or_b64 exec, exec, s[34:35]
	s_and_b64 s[6:7], exec, s[24:25]
	s_or_b64 s[22:23], s[6:7], s[22:23]
	s_andn2_b64 s[6:7], s[30:31], exec
	s_and_b64 s[30:31], s[26:27], exec
	s_or_b64 s[30:31], s[6:7], s[30:31]
	s_andn2_b64 s[6:7], s[16:17], exec
	s_and_b64 s[16:17], s[4:5], exec
	s_or_b64 s[16:17], s[6:7], s[16:17]
	s_andn2_b64 exec, exec, s[22:23]
	s_cbranch_execz .LBB899_40
.LBB899_38:                             ;   Parent Loop BB899_34 Depth=1
                                        ; =>  This Inner Loop Header: Depth=2
	global_load_dword v16, v[10:11], off
	global_load_dword v17, v[8:9], off
	s_andn2_b64 s[34:35], s[4:5], exec
	s_andn2_b64 s[26:27], s[26:27], exec
	s_or_b64 s[24:25], s[24:25], exec
	s_waitcnt vmcnt(0)
	v_cmp_ngt_f32_e64 s[4:5], v16, v17
	v_cmp_lt_f32_e32 vcc, v16, v17
	s_and_b64 s[4:5], s[4:5], s[30:31]
	s_or_b64 s[36:37], vcc, s[4:5]
	s_and_b64 s[4:5], s[36:37], exec
	v_cmp_nlg_f32_e64 s[6:7], v16, v17
	s_or_b64 s[4:5], s[34:35], s[4:5]
	s_and_saveexec_b64 s[34:35], s[6:7]
	s_cbranch_execz .LBB899_37
; %bb.39:                               ;   in Loop: Header=BB899_38 Depth=2
	s_add_u32 s28, s28, -1
	s_addc_u32 s29, s29, -1
	v_add_co_u32_e32 v10, vcc, 4, v10
	s_cmp_eq_u64 s[28:29], 0
	v_addc_co_u32_e32 v11, vcc, 0, v11, vcc
	s_cselect_b64 s[6:7], -1, 0
	v_add_co_u32_e32 v8, vcc, 4, v8
	s_andn2_b64 s[26:27], s[26:27], exec
	s_and_b64 s[30:31], s[36:37], exec
	s_andn2_b64 s[24:25], s[24:25], exec
	s_and_b64 s[6:7], s[6:7], exec
	v_addc_co_u32_e32 v9, vcc, 0, v9, vcc
	s_andn2_b64 s[4:5], s[4:5], exec
	s_or_b64 s[26:27], s[26:27], s[30:31]
	s_or_b64 s[24:25], s[24:25], s[6:7]
                                        ; implicit-def: $sgpr30_sgpr31
	s_branch .LBB899_37
.LBB899_40:                             ;   in Loop: Header=BB899_34 Depth=1
	s_or_b64 exec, exec, s[22:23]
	s_branch .LBB899_42
.LBB899_41:                             ;   in Loop: Header=BB899_34 Depth=1
	s_mov_b64 s[16:17], 0
.LBB899_42:                             ;   in Loop: Header=BB899_34 Depth=1
	s_xor_b64 s[16:17], s[16:17], -1
	s_mov_b64 s[4:5], 0
.LBB899_43:                             ;   in Loop: Header=BB899_34 Depth=1
	s_and_b64 vcc, exec, s[4:5]
	s_cbranch_vccz .LBB899_33
; %bb.44:                               ;   in Loop: Header=BB899_34 Depth=1
	s_and_b64 vcc, exec, s[2:3]
	s_cbranch_vccnz .LBB899_49
; %bb.45:                               ;   in Loop: Header=BB899_34 Depth=1
	v_pk_mov_b32 v[8:9], s[14:15], s[14:15] op_sel:[0,1]
	s_waitcnt vmcnt(0)
	v_mad_u64_u32 v[8:9], s[4:5], s20, v6, v[8:9]
	v_mul_lo_u32 v7, s20, v7
	v_mul_lo_u32 v6, s21, v6
	v_add3_u32 v9, v6, v9, v7
	s_mov_b64 s[22:23], 0
	s_mov_b64 s[28:29], s[12:13]
	v_pk_mov_b32 v[6:7], v[0:1], v[0:1] op_sel:[0,1]
                                        ; implicit-def: $sgpr16_sgpr17
                                        ; implicit-def: $sgpr24_sgpr25
                                        ; implicit-def: $sgpr26_sgpr27
                                        ; implicit-def: $sgpr4_sgpr5
                                        ; implicit-def: $sgpr30_sgpr31
	s_branch .LBB899_47
.LBB899_46:                             ;   in Loop: Header=BB899_47 Depth=2
	s_or_b64 exec, exec, s[34:35]
	s_and_b64 s[6:7], exec, s[24:25]
	s_or_b64 s[22:23], s[6:7], s[22:23]
	s_andn2_b64 s[6:7], s[30:31], exec
	s_and_b64 s[30:31], s[26:27], exec
	s_or_b64 s[30:31], s[6:7], s[30:31]
	s_andn2_b64 s[6:7], s[16:17], exec
	s_and_b64 s[16:17], s[4:5], exec
	s_or_b64 s[16:17], s[6:7], s[16:17]
	s_andn2_b64 exec, exec, s[22:23]
	s_cbranch_execz .LBB899_32
.LBB899_47:                             ;   Parent Loop BB899_34 Depth=1
                                        ; =>  This Inner Loop Header: Depth=2
	global_load_dword v10, v[8:9], off
	global_load_dword v11, v[6:7], off
	s_andn2_b64 s[34:35], s[4:5], exec
	s_andn2_b64 s[26:27], s[26:27], exec
	s_or_b64 s[24:25], s[24:25], exec
	s_waitcnt vmcnt(0)
	v_cmp_ngt_f32_e64 s[4:5], v10, v11
	v_cmp_lt_f32_e32 vcc, v10, v11
	s_and_b64 s[4:5], s[4:5], s[30:31]
	s_or_b64 s[36:37], vcc, s[4:5]
	s_and_b64 s[4:5], s[36:37], exec
	v_cmp_nlg_f32_e64 s[6:7], v10, v11
	s_or_b64 s[4:5], s[34:35], s[4:5]
	s_and_saveexec_b64 s[34:35], s[6:7]
	s_cbranch_execz .LBB899_46
; %bb.48:                               ;   in Loop: Header=BB899_47 Depth=2
	s_add_u32 s28, s28, -1
	s_addc_u32 s29, s29, -1
	v_add_co_u32_e32 v8, vcc, 4, v8
	s_cmp_eq_u64 s[28:29], 0
	v_addc_co_u32_e32 v9, vcc, 0, v9, vcc
	s_cselect_b64 s[6:7], -1, 0
	v_add_co_u32_e32 v6, vcc, 4, v6
	s_andn2_b64 s[26:27], s[26:27], exec
	s_and_b64 s[30:31], s[36:37], exec
	s_andn2_b64 s[24:25], s[24:25], exec
	s_and_b64 s[6:7], s[6:7], exec
	v_addc_co_u32_e32 v7, vcc, 0, v7, vcc
	s_andn2_b64 s[4:5], s[4:5], exec
	s_or_b64 s[26:27], s[26:27], s[30:31]
	s_or_b64 s[24:25], s[24:25], s[6:7]
                                        ; implicit-def: $sgpr30_sgpr31
	s_branch .LBB899_46
.LBB899_49:                             ;   in Loop: Header=BB899_34 Depth=1
	s_mov_b64 s[16:17], 0
	s_branch .LBB899_33
.LBB899_50:
	s_or_b64 exec, exec, s[18:19]
.LBB899_51:
	v_add_u32_e32 v4, v13, v12
	s_mov_b64 s[18:19], -1
.LBB899_52:
	s_and_b64 exec, exec, s[18:19]
	s_cbranch_execz .LBB899_54
; %bb.53:
	v_mov_b32_e32 v5, 0
	v_lshlrev_b64 v[0:1], 3, v[4:5]
	v_mov_b32_e32 v4, s11
	v_add_co_u32_e32 v0, vcc, s10, v0
	v_addc_co_u32_e32 v1, vcc, v4, v1, vcc
	s_waitcnt vmcnt(0)
	global_store_dwordx2 v[0:1], v[2:3], off
.LBB899_54:
	s_endpgm
	.section	.rodata,"a",@progbits
	.p2align	6, 0x0
	.amdhsa_kernel _ZN7rocprim17ROCPRIM_400000_NS6detail17trampoline_kernelINS0_14default_configENS1_38merge_sort_block_merge_config_selectorIlNS0_10empty_typeEEEZZNS1_27merge_sort_block_merge_implIS3_PlPS5_mZN2at6native12_GLOBAL__N_124unique_dim_cuda_templateIfEESt5tupleIJNSA_6TensorESF_SF_EERKSF_lbbbEUlllE_EE10hipError_tT0_T1_T2_jT3_P12ihipStream_tbPNSt15iterator_traitsISL_E10value_typeEPNSR_ISM_E10value_typeEPSN_NS1_7vsmem_tEENKUlT_SL_SM_SN_E_clIS8_S8_S9_S9_EESK_S10_SL_SM_SN_EUlS10_E1_NS1_11comp_targetILNS1_3genE4ELNS1_11target_archE910ELNS1_3gpuE8ELNS1_3repE0EEENS1_36merge_oddeven_config_static_selectorELNS0_4arch9wavefront6targetE1EEEvSM_
		.amdhsa_group_segment_fixed_size 0
		.amdhsa_private_segment_fixed_size 0
		.amdhsa_kernarg_size 64
		.amdhsa_user_sgpr_count 6
		.amdhsa_user_sgpr_private_segment_buffer 1
		.amdhsa_user_sgpr_dispatch_ptr 0
		.amdhsa_user_sgpr_queue_ptr 0
		.amdhsa_user_sgpr_kernarg_segment_ptr 1
		.amdhsa_user_sgpr_dispatch_id 0
		.amdhsa_user_sgpr_flat_scratch_init 0
		.amdhsa_user_sgpr_kernarg_preload_length 0
		.amdhsa_user_sgpr_kernarg_preload_offset 0
		.amdhsa_user_sgpr_private_segment_size 0
		.amdhsa_uses_dynamic_stack 0
		.amdhsa_system_sgpr_private_segment_wavefront_offset 0
		.amdhsa_system_sgpr_workgroup_id_x 1
		.amdhsa_system_sgpr_workgroup_id_y 0
		.amdhsa_system_sgpr_workgroup_id_z 0
		.amdhsa_system_sgpr_workgroup_info 0
		.amdhsa_system_vgpr_workitem_id 0
		.amdhsa_next_free_vgpr 18
		.amdhsa_next_free_sgpr 46
		.amdhsa_accum_offset 20
		.amdhsa_reserve_vcc 1
		.amdhsa_reserve_flat_scratch 0
		.amdhsa_float_round_mode_32 0
		.amdhsa_float_round_mode_16_64 0
		.amdhsa_float_denorm_mode_32 3
		.amdhsa_float_denorm_mode_16_64 3
		.amdhsa_dx10_clamp 1
		.amdhsa_ieee_mode 1
		.amdhsa_fp16_overflow 0
		.amdhsa_tg_split 0
		.amdhsa_exception_fp_ieee_invalid_op 0
		.amdhsa_exception_fp_denorm_src 0
		.amdhsa_exception_fp_ieee_div_zero 0
		.amdhsa_exception_fp_ieee_overflow 0
		.amdhsa_exception_fp_ieee_underflow 0
		.amdhsa_exception_fp_ieee_inexact 0
		.amdhsa_exception_int_div_zero 0
	.end_amdhsa_kernel
	.section	.text._ZN7rocprim17ROCPRIM_400000_NS6detail17trampoline_kernelINS0_14default_configENS1_38merge_sort_block_merge_config_selectorIlNS0_10empty_typeEEEZZNS1_27merge_sort_block_merge_implIS3_PlPS5_mZN2at6native12_GLOBAL__N_124unique_dim_cuda_templateIfEESt5tupleIJNSA_6TensorESF_SF_EERKSF_lbbbEUlllE_EE10hipError_tT0_T1_T2_jT3_P12ihipStream_tbPNSt15iterator_traitsISL_E10value_typeEPNSR_ISM_E10value_typeEPSN_NS1_7vsmem_tEENKUlT_SL_SM_SN_E_clIS8_S8_S9_S9_EESK_S10_SL_SM_SN_EUlS10_E1_NS1_11comp_targetILNS1_3genE4ELNS1_11target_archE910ELNS1_3gpuE8ELNS1_3repE0EEENS1_36merge_oddeven_config_static_selectorELNS0_4arch9wavefront6targetE1EEEvSM_,"axG",@progbits,_ZN7rocprim17ROCPRIM_400000_NS6detail17trampoline_kernelINS0_14default_configENS1_38merge_sort_block_merge_config_selectorIlNS0_10empty_typeEEEZZNS1_27merge_sort_block_merge_implIS3_PlPS5_mZN2at6native12_GLOBAL__N_124unique_dim_cuda_templateIfEESt5tupleIJNSA_6TensorESF_SF_EERKSF_lbbbEUlllE_EE10hipError_tT0_T1_T2_jT3_P12ihipStream_tbPNSt15iterator_traitsISL_E10value_typeEPNSR_ISM_E10value_typeEPSN_NS1_7vsmem_tEENKUlT_SL_SM_SN_E_clIS8_S8_S9_S9_EESK_S10_SL_SM_SN_EUlS10_E1_NS1_11comp_targetILNS1_3genE4ELNS1_11target_archE910ELNS1_3gpuE8ELNS1_3repE0EEENS1_36merge_oddeven_config_static_selectorELNS0_4arch9wavefront6targetE1EEEvSM_,comdat
.Lfunc_end899:
	.size	_ZN7rocprim17ROCPRIM_400000_NS6detail17trampoline_kernelINS0_14default_configENS1_38merge_sort_block_merge_config_selectorIlNS0_10empty_typeEEEZZNS1_27merge_sort_block_merge_implIS3_PlPS5_mZN2at6native12_GLOBAL__N_124unique_dim_cuda_templateIfEESt5tupleIJNSA_6TensorESF_SF_EERKSF_lbbbEUlllE_EE10hipError_tT0_T1_T2_jT3_P12ihipStream_tbPNSt15iterator_traitsISL_E10value_typeEPNSR_ISM_E10value_typeEPSN_NS1_7vsmem_tEENKUlT_SL_SM_SN_E_clIS8_S8_S9_S9_EESK_S10_SL_SM_SN_EUlS10_E1_NS1_11comp_targetILNS1_3genE4ELNS1_11target_archE910ELNS1_3gpuE8ELNS1_3repE0EEENS1_36merge_oddeven_config_static_selectorELNS0_4arch9wavefront6targetE1EEEvSM_, .Lfunc_end899-_ZN7rocprim17ROCPRIM_400000_NS6detail17trampoline_kernelINS0_14default_configENS1_38merge_sort_block_merge_config_selectorIlNS0_10empty_typeEEEZZNS1_27merge_sort_block_merge_implIS3_PlPS5_mZN2at6native12_GLOBAL__N_124unique_dim_cuda_templateIfEESt5tupleIJNSA_6TensorESF_SF_EERKSF_lbbbEUlllE_EE10hipError_tT0_T1_T2_jT3_P12ihipStream_tbPNSt15iterator_traitsISL_E10value_typeEPNSR_ISM_E10value_typeEPSN_NS1_7vsmem_tEENKUlT_SL_SM_SN_E_clIS8_S8_S9_S9_EESK_S10_SL_SM_SN_EUlS10_E1_NS1_11comp_targetILNS1_3genE4ELNS1_11target_archE910ELNS1_3gpuE8ELNS1_3repE0EEENS1_36merge_oddeven_config_static_selectorELNS0_4arch9wavefront6targetE1EEEvSM_
                                        ; -- End function
	.section	.AMDGPU.csdata,"",@progbits
; Kernel info:
; codeLenInByte = 1876
; NumSgprs: 50
; NumVgprs: 18
; NumAgprs: 0
; TotalNumVgprs: 18
; ScratchSize: 0
; MemoryBound: 0
; FloatMode: 240
; IeeeMode: 1
; LDSByteSize: 0 bytes/workgroup (compile time only)
; SGPRBlocks: 6
; VGPRBlocks: 2
; NumSGPRsForWavesPerEU: 50
; NumVGPRsForWavesPerEU: 18
; AccumOffset: 20
; Occupancy: 8
; WaveLimiterHint : 0
; COMPUTE_PGM_RSRC2:SCRATCH_EN: 0
; COMPUTE_PGM_RSRC2:USER_SGPR: 6
; COMPUTE_PGM_RSRC2:TRAP_HANDLER: 0
; COMPUTE_PGM_RSRC2:TGID_X_EN: 1
; COMPUTE_PGM_RSRC2:TGID_Y_EN: 0
; COMPUTE_PGM_RSRC2:TGID_Z_EN: 0
; COMPUTE_PGM_RSRC2:TIDIG_COMP_CNT: 0
; COMPUTE_PGM_RSRC3_GFX90A:ACCUM_OFFSET: 4
; COMPUTE_PGM_RSRC3_GFX90A:TG_SPLIT: 0
	.section	.text._ZN7rocprim17ROCPRIM_400000_NS6detail17trampoline_kernelINS0_14default_configENS1_38merge_sort_block_merge_config_selectorIlNS0_10empty_typeEEEZZNS1_27merge_sort_block_merge_implIS3_PlPS5_mZN2at6native12_GLOBAL__N_124unique_dim_cuda_templateIfEESt5tupleIJNSA_6TensorESF_SF_EERKSF_lbbbEUlllE_EE10hipError_tT0_T1_T2_jT3_P12ihipStream_tbPNSt15iterator_traitsISL_E10value_typeEPNSR_ISM_E10value_typeEPSN_NS1_7vsmem_tEENKUlT_SL_SM_SN_E_clIS8_S8_S9_S9_EESK_S10_SL_SM_SN_EUlS10_E1_NS1_11comp_targetILNS1_3genE3ELNS1_11target_archE908ELNS1_3gpuE7ELNS1_3repE0EEENS1_36merge_oddeven_config_static_selectorELNS0_4arch9wavefront6targetE1EEEvSM_,"axG",@progbits,_ZN7rocprim17ROCPRIM_400000_NS6detail17trampoline_kernelINS0_14default_configENS1_38merge_sort_block_merge_config_selectorIlNS0_10empty_typeEEEZZNS1_27merge_sort_block_merge_implIS3_PlPS5_mZN2at6native12_GLOBAL__N_124unique_dim_cuda_templateIfEESt5tupleIJNSA_6TensorESF_SF_EERKSF_lbbbEUlllE_EE10hipError_tT0_T1_T2_jT3_P12ihipStream_tbPNSt15iterator_traitsISL_E10value_typeEPNSR_ISM_E10value_typeEPSN_NS1_7vsmem_tEENKUlT_SL_SM_SN_E_clIS8_S8_S9_S9_EESK_S10_SL_SM_SN_EUlS10_E1_NS1_11comp_targetILNS1_3genE3ELNS1_11target_archE908ELNS1_3gpuE7ELNS1_3repE0EEENS1_36merge_oddeven_config_static_selectorELNS0_4arch9wavefront6targetE1EEEvSM_,comdat
	.globl	_ZN7rocprim17ROCPRIM_400000_NS6detail17trampoline_kernelINS0_14default_configENS1_38merge_sort_block_merge_config_selectorIlNS0_10empty_typeEEEZZNS1_27merge_sort_block_merge_implIS3_PlPS5_mZN2at6native12_GLOBAL__N_124unique_dim_cuda_templateIfEESt5tupleIJNSA_6TensorESF_SF_EERKSF_lbbbEUlllE_EE10hipError_tT0_T1_T2_jT3_P12ihipStream_tbPNSt15iterator_traitsISL_E10value_typeEPNSR_ISM_E10value_typeEPSN_NS1_7vsmem_tEENKUlT_SL_SM_SN_E_clIS8_S8_S9_S9_EESK_S10_SL_SM_SN_EUlS10_E1_NS1_11comp_targetILNS1_3genE3ELNS1_11target_archE908ELNS1_3gpuE7ELNS1_3repE0EEENS1_36merge_oddeven_config_static_selectorELNS0_4arch9wavefront6targetE1EEEvSM_ ; -- Begin function _ZN7rocprim17ROCPRIM_400000_NS6detail17trampoline_kernelINS0_14default_configENS1_38merge_sort_block_merge_config_selectorIlNS0_10empty_typeEEEZZNS1_27merge_sort_block_merge_implIS3_PlPS5_mZN2at6native12_GLOBAL__N_124unique_dim_cuda_templateIfEESt5tupleIJNSA_6TensorESF_SF_EERKSF_lbbbEUlllE_EE10hipError_tT0_T1_T2_jT3_P12ihipStream_tbPNSt15iterator_traitsISL_E10value_typeEPNSR_ISM_E10value_typeEPSN_NS1_7vsmem_tEENKUlT_SL_SM_SN_E_clIS8_S8_S9_S9_EESK_S10_SL_SM_SN_EUlS10_E1_NS1_11comp_targetILNS1_3genE3ELNS1_11target_archE908ELNS1_3gpuE7ELNS1_3repE0EEENS1_36merge_oddeven_config_static_selectorELNS0_4arch9wavefront6targetE1EEEvSM_
	.p2align	8
	.type	_ZN7rocprim17ROCPRIM_400000_NS6detail17trampoline_kernelINS0_14default_configENS1_38merge_sort_block_merge_config_selectorIlNS0_10empty_typeEEEZZNS1_27merge_sort_block_merge_implIS3_PlPS5_mZN2at6native12_GLOBAL__N_124unique_dim_cuda_templateIfEESt5tupleIJNSA_6TensorESF_SF_EERKSF_lbbbEUlllE_EE10hipError_tT0_T1_T2_jT3_P12ihipStream_tbPNSt15iterator_traitsISL_E10value_typeEPNSR_ISM_E10value_typeEPSN_NS1_7vsmem_tEENKUlT_SL_SM_SN_E_clIS8_S8_S9_S9_EESK_S10_SL_SM_SN_EUlS10_E1_NS1_11comp_targetILNS1_3genE3ELNS1_11target_archE908ELNS1_3gpuE7ELNS1_3repE0EEENS1_36merge_oddeven_config_static_selectorELNS0_4arch9wavefront6targetE1EEEvSM_,@function
_ZN7rocprim17ROCPRIM_400000_NS6detail17trampoline_kernelINS0_14default_configENS1_38merge_sort_block_merge_config_selectorIlNS0_10empty_typeEEEZZNS1_27merge_sort_block_merge_implIS3_PlPS5_mZN2at6native12_GLOBAL__N_124unique_dim_cuda_templateIfEESt5tupleIJNSA_6TensorESF_SF_EERKSF_lbbbEUlllE_EE10hipError_tT0_T1_T2_jT3_P12ihipStream_tbPNSt15iterator_traitsISL_E10value_typeEPNSR_ISM_E10value_typeEPSN_NS1_7vsmem_tEENKUlT_SL_SM_SN_E_clIS8_S8_S9_S9_EESK_S10_SL_SM_SN_EUlS10_E1_NS1_11comp_targetILNS1_3genE3ELNS1_11target_archE908ELNS1_3gpuE7ELNS1_3repE0EEENS1_36merge_oddeven_config_static_selectorELNS0_4arch9wavefront6targetE1EEEvSM_: ; @_ZN7rocprim17ROCPRIM_400000_NS6detail17trampoline_kernelINS0_14default_configENS1_38merge_sort_block_merge_config_selectorIlNS0_10empty_typeEEEZZNS1_27merge_sort_block_merge_implIS3_PlPS5_mZN2at6native12_GLOBAL__N_124unique_dim_cuda_templateIfEESt5tupleIJNSA_6TensorESF_SF_EERKSF_lbbbEUlllE_EE10hipError_tT0_T1_T2_jT3_P12ihipStream_tbPNSt15iterator_traitsISL_E10value_typeEPNSR_ISM_E10value_typeEPSN_NS1_7vsmem_tEENKUlT_SL_SM_SN_E_clIS8_S8_S9_S9_EESK_S10_SL_SM_SN_EUlS10_E1_NS1_11comp_targetILNS1_3genE3ELNS1_11target_archE908ELNS1_3gpuE7ELNS1_3repE0EEENS1_36merge_oddeven_config_static_selectorELNS0_4arch9wavefront6targetE1EEEvSM_
; %bb.0:
	.section	.rodata,"a",@progbits
	.p2align	6, 0x0
	.amdhsa_kernel _ZN7rocprim17ROCPRIM_400000_NS6detail17trampoline_kernelINS0_14default_configENS1_38merge_sort_block_merge_config_selectorIlNS0_10empty_typeEEEZZNS1_27merge_sort_block_merge_implIS3_PlPS5_mZN2at6native12_GLOBAL__N_124unique_dim_cuda_templateIfEESt5tupleIJNSA_6TensorESF_SF_EERKSF_lbbbEUlllE_EE10hipError_tT0_T1_T2_jT3_P12ihipStream_tbPNSt15iterator_traitsISL_E10value_typeEPNSR_ISM_E10value_typeEPSN_NS1_7vsmem_tEENKUlT_SL_SM_SN_E_clIS8_S8_S9_S9_EESK_S10_SL_SM_SN_EUlS10_E1_NS1_11comp_targetILNS1_3genE3ELNS1_11target_archE908ELNS1_3gpuE7ELNS1_3repE0EEENS1_36merge_oddeven_config_static_selectorELNS0_4arch9wavefront6targetE1EEEvSM_
		.amdhsa_group_segment_fixed_size 0
		.amdhsa_private_segment_fixed_size 0
		.amdhsa_kernarg_size 64
		.amdhsa_user_sgpr_count 6
		.amdhsa_user_sgpr_private_segment_buffer 1
		.amdhsa_user_sgpr_dispatch_ptr 0
		.amdhsa_user_sgpr_queue_ptr 0
		.amdhsa_user_sgpr_kernarg_segment_ptr 1
		.amdhsa_user_sgpr_dispatch_id 0
		.amdhsa_user_sgpr_flat_scratch_init 0
		.amdhsa_user_sgpr_kernarg_preload_length 0
		.amdhsa_user_sgpr_kernarg_preload_offset 0
		.amdhsa_user_sgpr_private_segment_size 0
		.amdhsa_uses_dynamic_stack 0
		.amdhsa_system_sgpr_private_segment_wavefront_offset 0
		.amdhsa_system_sgpr_workgroup_id_x 1
		.amdhsa_system_sgpr_workgroup_id_y 0
		.amdhsa_system_sgpr_workgroup_id_z 0
		.amdhsa_system_sgpr_workgroup_info 0
		.amdhsa_system_vgpr_workitem_id 0
		.amdhsa_next_free_vgpr 1
		.amdhsa_next_free_sgpr 0
		.amdhsa_accum_offset 4
		.amdhsa_reserve_vcc 0
		.amdhsa_reserve_flat_scratch 0
		.amdhsa_float_round_mode_32 0
		.amdhsa_float_round_mode_16_64 0
		.amdhsa_float_denorm_mode_32 3
		.amdhsa_float_denorm_mode_16_64 3
		.amdhsa_dx10_clamp 1
		.amdhsa_ieee_mode 1
		.amdhsa_fp16_overflow 0
		.amdhsa_tg_split 0
		.amdhsa_exception_fp_ieee_invalid_op 0
		.amdhsa_exception_fp_denorm_src 0
		.amdhsa_exception_fp_ieee_div_zero 0
		.amdhsa_exception_fp_ieee_overflow 0
		.amdhsa_exception_fp_ieee_underflow 0
		.amdhsa_exception_fp_ieee_inexact 0
		.amdhsa_exception_int_div_zero 0
	.end_amdhsa_kernel
	.section	.text._ZN7rocprim17ROCPRIM_400000_NS6detail17trampoline_kernelINS0_14default_configENS1_38merge_sort_block_merge_config_selectorIlNS0_10empty_typeEEEZZNS1_27merge_sort_block_merge_implIS3_PlPS5_mZN2at6native12_GLOBAL__N_124unique_dim_cuda_templateIfEESt5tupleIJNSA_6TensorESF_SF_EERKSF_lbbbEUlllE_EE10hipError_tT0_T1_T2_jT3_P12ihipStream_tbPNSt15iterator_traitsISL_E10value_typeEPNSR_ISM_E10value_typeEPSN_NS1_7vsmem_tEENKUlT_SL_SM_SN_E_clIS8_S8_S9_S9_EESK_S10_SL_SM_SN_EUlS10_E1_NS1_11comp_targetILNS1_3genE3ELNS1_11target_archE908ELNS1_3gpuE7ELNS1_3repE0EEENS1_36merge_oddeven_config_static_selectorELNS0_4arch9wavefront6targetE1EEEvSM_,"axG",@progbits,_ZN7rocprim17ROCPRIM_400000_NS6detail17trampoline_kernelINS0_14default_configENS1_38merge_sort_block_merge_config_selectorIlNS0_10empty_typeEEEZZNS1_27merge_sort_block_merge_implIS3_PlPS5_mZN2at6native12_GLOBAL__N_124unique_dim_cuda_templateIfEESt5tupleIJNSA_6TensorESF_SF_EERKSF_lbbbEUlllE_EE10hipError_tT0_T1_T2_jT3_P12ihipStream_tbPNSt15iterator_traitsISL_E10value_typeEPNSR_ISM_E10value_typeEPSN_NS1_7vsmem_tEENKUlT_SL_SM_SN_E_clIS8_S8_S9_S9_EESK_S10_SL_SM_SN_EUlS10_E1_NS1_11comp_targetILNS1_3genE3ELNS1_11target_archE908ELNS1_3gpuE7ELNS1_3repE0EEENS1_36merge_oddeven_config_static_selectorELNS0_4arch9wavefront6targetE1EEEvSM_,comdat
.Lfunc_end900:
	.size	_ZN7rocprim17ROCPRIM_400000_NS6detail17trampoline_kernelINS0_14default_configENS1_38merge_sort_block_merge_config_selectorIlNS0_10empty_typeEEEZZNS1_27merge_sort_block_merge_implIS3_PlPS5_mZN2at6native12_GLOBAL__N_124unique_dim_cuda_templateIfEESt5tupleIJNSA_6TensorESF_SF_EERKSF_lbbbEUlllE_EE10hipError_tT0_T1_T2_jT3_P12ihipStream_tbPNSt15iterator_traitsISL_E10value_typeEPNSR_ISM_E10value_typeEPSN_NS1_7vsmem_tEENKUlT_SL_SM_SN_E_clIS8_S8_S9_S9_EESK_S10_SL_SM_SN_EUlS10_E1_NS1_11comp_targetILNS1_3genE3ELNS1_11target_archE908ELNS1_3gpuE7ELNS1_3repE0EEENS1_36merge_oddeven_config_static_selectorELNS0_4arch9wavefront6targetE1EEEvSM_, .Lfunc_end900-_ZN7rocprim17ROCPRIM_400000_NS6detail17trampoline_kernelINS0_14default_configENS1_38merge_sort_block_merge_config_selectorIlNS0_10empty_typeEEEZZNS1_27merge_sort_block_merge_implIS3_PlPS5_mZN2at6native12_GLOBAL__N_124unique_dim_cuda_templateIfEESt5tupleIJNSA_6TensorESF_SF_EERKSF_lbbbEUlllE_EE10hipError_tT0_T1_T2_jT3_P12ihipStream_tbPNSt15iterator_traitsISL_E10value_typeEPNSR_ISM_E10value_typeEPSN_NS1_7vsmem_tEENKUlT_SL_SM_SN_E_clIS8_S8_S9_S9_EESK_S10_SL_SM_SN_EUlS10_E1_NS1_11comp_targetILNS1_3genE3ELNS1_11target_archE908ELNS1_3gpuE7ELNS1_3repE0EEENS1_36merge_oddeven_config_static_selectorELNS0_4arch9wavefront6targetE1EEEvSM_
                                        ; -- End function
	.section	.AMDGPU.csdata,"",@progbits
; Kernel info:
; codeLenInByte = 0
; NumSgprs: 4
; NumVgprs: 0
; NumAgprs: 0
; TotalNumVgprs: 0
; ScratchSize: 0
; MemoryBound: 0
; FloatMode: 240
; IeeeMode: 1
; LDSByteSize: 0 bytes/workgroup (compile time only)
; SGPRBlocks: 0
; VGPRBlocks: 0
; NumSGPRsForWavesPerEU: 4
; NumVGPRsForWavesPerEU: 1
; AccumOffset: 4
; Occupancy: 8
; WaveLimiterHint : 0
; COMPUTE_PGM_RSRC2:SCRATCH_EN: 0
; COMPUTE_PGM_RSRC2:USER_SGPR: 6
; COMPUTE_PGM_RSRC2:TRAP_HANDLER: 0
; COMPUTE_PGM_RSRC2:TGID_X_EN: 1
; COMPUTE_PGM_RSRC2:TGID_Y_EN: 0
; COMPUTE_PGM_RSRC2:TGID_Z_EN: 0
; COMPUTE_PGM_RSRC2:TIDIG_COMP_CNT: 0
; COMPUTE_PGM_RSRC3_GFX90A:ACCUM_OFFSET: 0
; COMPUTE_PGM_RSRC3_GFX90A:TG_SPLIT: 0
	.section	.text._ZN7rocprim17ROCPRIM_400000_NS6detail17trampoline_kernelINS0_14default_configENS1_38merge_sort_block_merge_config_selectorIlNS0_10empty_typeEEEZZNS1_27merge_sort_block_merge_implIS3_PlPS5_mZN2at6native12_GLOBAL__N_124unique_dim_cuda_templateIfEESt5tupleIJNSA_6TensorESF_SF_EERKSF_lbbbEUlllE_EE10hipError_tT0_T1_T2_jT3_P12ihipStream_tbPNSt15iterator_traitsISL_E10value_typeEPNSR_ISM_E10value_typeEPSN_NS1_7vsmem_tEENKUlT_SL_SM_SN_E_clIS8_S8_S9_S9_EESK_S10_SL_SM_SN_EUlS10_E1_NS1_11comp_targetILNS1_3genE2ELNS1_11target_archE906ELNS1_3gpuE6ELNS1_3repE0EEENS1_36merge_oddeven_config_static_selectorELNS0_4arch9wavefront6targetE1EEEvSM_,"axG",@progbits,_ZN7rocprim17ROCPRIM_400000_NS6detail17trampoline_kernelINS0_14default_configENS1_38merge_sort_block_merge_config_selectorIlNS0_10empty_typeEEEZZNS1_27merge_sort_block_merge_implIS3_PlPS5_mZN2at6native12_GLOBAL__N_124unique_dim_cuda_templateIfEESt5tupleIJNSA_6TensorESF_SF_EERKSF_lbbbEUlllE_EE10hipError_tT0_T1_T2_jT3_P12ihipStream_tbPNSt15iterator_traitsISL_E10value_typeEPNSR_ISM_E10value_typeEPSN_NS1_7vsmem_tEENKUlT_SL_SM_SN_E_clIS8_S8_S9_S9_EESK_S10_SL_SM_SN_EUlS10_E1_NS1_11comp_targetILNS1_3genE2ELNS1_11target_archE906ELNS1_3gpuE6ELNS1_3repE0EEENS1_36merge_oddeven_config_static_selectorELNS0_4arch9wavefront6targetE1EEEvSM_,comdat
	.globl	_ZN7rocprim17ROCPRIM_400000_NS6detail17trampoline_kernelINS0_14default_configENS1_38merge_sort_block_merge_config_selectorIlNS0_10empty_typeEEEZZNS1_27merge_sort_block_merge_implIS3_PlPS5_mZN2at6native12_GLOBAL__N_124unique_dim_cuda_templateIfEESt5tupleIJNSA_6TensorESF_SF_EERKSF_lbbbEUlllE_EE10hipError_tT0_T1_T2_jT3_P12ihipStream_tbPNSt15iterator_traitsISL_E10value_typeEPNSR_ISM_E10value_typeEPSN_NS1_7vsmem_tEENKUlT_SL_SM_SN_E_clIS8_S8_S9_S9_EESK_S10_SL_SM_SN_EUlS10_E1_NS1_11comp_targetILNS1_3genE2ELNS1_11target_archE906ELNS1_3gpuE6ELNS1_3repE0EEENS1_36merge_oddeven_config_static_selectorELNS0_4arch9wavefront6targetE1EEEvSM_ ; -- Begin function _ZN7rocprim17ROCPRIM_400000_NS6detail17trampoline_kernelINS0_14default_configENS1_38merge_sort_block_merge_config_selectorIlNS0_10empty_typeEEEZZNS1_27merge_sort_block_merge_implIS3_PlPS5_mZN2at6native12_GLOBAL__N_124unique_dim_cuda_templateIfEESt5tupleIJNSA_6TensorESF_SF_EERKSF_lbbbEUlllE_EE10hipError_tT0_T1_T2_jT3_P12ihipStream_tbPNSt15iterator_traitsISL_E10value_typeEPNSR_ISM_E10value_typeEPSN_NS1_7vsmem_tEENKUlT_SL_SM_SN_E_clIS8_S8_S9_S9_EESK_S10_SL_SM_SN_EUlS10_E1_NS1_11comp_targetILNS1_3genE2ELNS1_11target_archE906ELNS1_3gpuE6ELNS1_3repE0EEENS1_36merge_oddeven_config_static_selectorELNS0_4arch9wavefront6targetE1EEEvSM_
	.p2align	8
	.type	_ZN7rocprim17ROCPRIM_400000_NS6detail17trampoline_kernelINS0_14default_configENS1_38merge_sort_block_merge_config_selectorIlNS0_10empty_typeEEEZZNS1_27merge_sort_block_merge_implIS3_PlPS5_mZN2at6native12_GLOBAL__N_124unique_dim_cuda_templateIfEESt5tupleIJNSA_6TensorESF_SF_EERKSF_lbbbEUlllE_EE10hipError_tT0_T1_T2_jT3_P12ihipStream_tbPNSt15iterator_traitsISL_E10value_typeEPNSR_ISM_E10value_typeEPSN_NS1_7vsmem_tEENKUlT_SL_SM_SN_E_clIS8_S8_S9_S9_EESK_S10_SL_SM_SN_EUlS10_E1_NS1_11comp_targetILNS1_3genE2ELNS1_11target_archE906ELNS1_3gpuE6ELNS1_3repE0EEENS1_36merge_oddeven_config_static_selectorELNS0_4arch9wavefront6targetE1EEEvSM_,@function
_ZN7rocprim17ROCPRIM_400000_NS6detail17trampoline_kernelINS0_14default_configENS1_38merge_sort_block_merge_config_selectorIlNS0_10empty_typeEEEZZNS1_27merge_sort_block_merge_implIS3_PlPS5_mZN2at6native12_GLOBAL__N_124unique_dim_cuda_templateIfEESt5tupleIJNSA_6TensorESF_SF_EERKSF_lbbbEUlllE_EE10hipError_tT0_T1_T2_jT3_P12ihipStream_tbPNSt15iterator_traitsISL_E10value_typeEPNSR_ISM_E10value_typeEPSN_NS1_7vsmem_tEENKUlT_SL_SM_SN_E_clIS8_S8_S9_S9_EESK_S10_SL_SM_SN_EUlS10_E1_NS1_11comp_targetILNS1_3genE2ELNS1_11target_archE906ELNS1_3gpuE6ELNS1_3repE0EEENS1_36merge_oddeven_config_static_selectorELNS0_4arch9wavefront6targetE1EEEvSM_: ; @_ZN7rocprim17ROCPRIM_400000_NS6detail17trampoline_kernelINS0_14default_configENS1_38merge_sort_block_merge_config_selectorIlNS0_10empty_typeEEEZZNS1_27merge_sort_block_merge_implIS3_PlPS5_mZN2at6native12_GLOBAL__N_124unique_dim_cuda_templateIfEESt5tupleIJNSA_6TensorESF_SF_EERKSF_lbbbEUlllE_EE10hipError_tT0_T1_T2_jT3_P12ihipStream_tbPNSt15iterator_traitsISL_E10value_typeEPNSR_ISM_E10value_typeEPSN_NS1_7vsmem_tEENKUlT_SL_SM_SN_E_clIS8_S8_S9_S9_EESK_S10_SL_SM_SN_EUlS10_E1_NS1_11comp_targetILNS1_3genE2ELNS1_11target_archE906ELNS1_3gpuE6ELNS1_3repE0EEENS1_36merge_oddeven_config_static_selectorELNS0_4arch9wavefront6targetE1EEEvSM_
; %bb.0:
	.section	.rodata,"a",@progbits
	.p2align	6, 0x0
	.amdhsa_kernel _ZN7rocprim17ROCPRIM_400000_NS6detail17trampoline_kernelINS0_14default_configENS1_38merge_sort_block_merge_config_selectorIlNS0_10empty_typeEEEZZNS1_27merge_sort_block_merge_implIS3_PlPS5_mZN2at6native12_GLOBAL__N_124unique_dim_cuda_templateIfEESt5tupleIJNSA_6TensorESF_SF_EERKSF_lbbbEUlllE_EE10hipError_tT0_T1_T2_jT3_P12ihipStream_tbPNSt15iterator_traitsISL_E10value_typeEPNSR_ISM_E10value_typeEPSN_NS1_7vsmem_tEENKUlT_SL_SM_SN_E_clIS8_S8_S9_S9_EESK_S10_SL_SM_SN_EUlS10_E1_NS1_11comp_targetILNS1_3genE2ELNS1_11target_archE906ELNS1_3gpuE6ELNS1_3repE0EEENS1_36merge_oddeven_config_static_selectorELNS0_4arch9wavefront6targetE1EEEvSM_
		.amdhsa_group_segment_fixed_size 0
		.amdhsa_private_segment_fixed_size 0
		.amdhsa_kernarg_size 64
		.amdhsa_user_sgpr_count 6
		.amdhsa_user_sgpr_private_segment_buffer 1
		.amdhsa_user_sgpr_dispatch_ptr 0
		.amdhsa_user_sgpr_queue_ptr 0
		.amdhsa_user_sgpr_kernarg_segment_ptr 1
		.amdhsa_user_sgpr_dispatch_id 0
		.amdhsa_user_sgpr_flat_scratch_init 0
		.amdhsa_user_sgpr_kernarg_preload_length 0
		.amdhsa_user_sgpr_kernarg_preload_offset 0
		.amdhsa_user_sgpr_private_segment_size 0
		.amdhsa_uses_dynamic_stack 0
		.amdhsa_system_sgpr_private_segment_wavefront_offset 0
		.amdhsa_system_sgpr_workgroup_id_x 1
		.amdhsa_system_sgpr_workgroup_id_y 0
		.amdhsa_system_sgpr_workgroup_id_z 0
		.amdhsa_system_sgpr_workgroup_info 0
		.amdhsa_system_vgpr_workitem_id 0
		.amdhsa_next_free_vgpr 1
		.amdhsa_next_free_sgpr 0
		.amdhsa_accum_offset 4
		.amdhsa_reserve_vcc 0
		.amdhsa_reserve_flat_scratch 0
		.amdhsa_float_round_mode_32 0
		.amdhsa_float_round_mode_16_64 0
		.amdhsa_float_denorm_mode_32 3
		.amdhsa_float_denorm_mode_16_64 3
		.amdhsa_dx10_clamp 1
		.amdhsa_ieee_mode 1
		.amdhsa_fp16_overflow 0
		.amdhsa_tg_split 0
		.amdhsa_exception_fp_ieee_invalid_op 0
		.amdhsa_exception_fp_denorm_src 0
		.amdhsa_exception_fp_ieee_div_zero 0
		.amdhsa_exception_fp_ieee_overflow 0
		.amdhsa_exception_fp_ieee_underflow 0
		.amdhsa_exception_fp_ieee_inexact 0
		.amdhsa_exception_int_div_zero 0
	.end_amdhsa_kernel
	.section	.text._ZN7rocprim17ROCPRIM_400000_NS6detail17trampoline_kernelINS0_14default_configENS1_38merge_sort_block_merge_config_selectorIlNS0_10empty_typeEEEZZNS1_27merge_sort_block_merge_implIS3_PlPS5_mZN2at6native12_GLOBAL__N_124unique_dim_cuda_templateIfEESt5tupleIJNSA_6TensorESF_SF_EERKSF_lbbbEUlllE_EE10hipError_tT0_T1_T2_jT3_P12ihipStream_tbPNSt15iterator_traitsISL_E10value_typeEPNSR_ISM_E10value_typeEPSN_NS1_7vsmem_tEENKUlT_SL_SM_SN_E_clIS8_S8_S9_S9_EESK_S10_SL_SM_SN_EUlS10_E1_NS1_11comp_targetILNS1_3genE2ELNS1_11target_archE906ELNS1_3gpuE6ELNS1_3repE0EEENS1_36merge_oddeven_config_static_selectorELNS0_4arch9wavefront6targetE1EEEvSM_,"axG",@progbits,_ZN7rocprim17ROCPRIM_400000_NS6detail17trampoline_kernelINS0_14default_configENS1_38merge_sort_block_merge_config_selectorIlNS0_10empty_typeEEEZZNS1_27merge_sort_block_merge_implIS3_PlPS5_mZN2at6native12_GLOBAL__N_124unique_dim_cuda_templateIfEESt5tupleIJNSA_6TensorESF_SF_EERKSF_lbbbEUlllE_EE10hipError_tT0_T1_T2_jT3_P12ihipStream_tbPNSt15iterator_traitsISL_E10value_typeEPNSR_ISM_E10value_typeEPSN_NS1_7vsmem_tEENKUlT_SL_SM_SN_E_clIS8_S8_S9_S9_EESK_S10_SL_SM_SN_EUlS10_E1_NS1_11comp_targetILNS1_3genE2ELNS1_11target_archE906ELNS1_3gpuE6ELNS1_3repE0EEENS1_36merge_oddeven_config_static_selectorELNS0_4arch9wavefront6targetE1EEEvSM_,comdat
.Lfunc_end901:
	.size	_ZN7rocprim17ROCPRIM_400000_NS6detail17trampoline_kernelINS0_14default_configENS1_38merge_sort_block_merge_config_selectorIlNS0_10empty_typeEEEZZNS1_27merge_sort_block_merge_implIS3_PlPS5_mZN2at6native12_GLOBAL__N_124unique_dim_cuda_templateIfEESt5tupleIJNSA_6TensorESF_SF_EERKSF_lbbbEUlllE_EE10hipError_tT0_T1_T2_jT3_P12ihipStream_tbPNSt15iterator_traitsISL_E10value_typeEPNSR_ISM_E10value_typeEPSN_NS1_7vsmem_tEENKUlT_SL_SM_SN_E_clIS8_S8_S9_S9_EESK_S10_SL_SM_SN_EUlS10_E1_NS1_11comp_targetILNS1_3genE2ELNS1_11target_archE906ELNS1_3gpuE6ELNS1_3repE0EEENS1_36merge_oddeven_config_static_selectorELNS0_4arch9wavefront6targetE1EEEvSM_, .Lfunc_end901-_ZN7rocprim17ROCPRIM_400000_NS6detail17trampoline_kernelINS0_14default_configENS1_38merge_sort_block_merge_config_selectorIlNS0_10empty_typeEEEZZNS1_27merge_sort_block_merge_implIS3_PlPS5_mZN2at6native12_GLOBAL__N_124unique_dim_cuda_templateIfEESt5tupleIJNSA_6TensorESF_SF_EERKSF_lbbbEUlllE_EE10hipError_tT0_T1_T2_jT3_P12ihipStream_tbPNSt15iterator_traitsISL_E10value_typeEPNSR_ISM_E10value_typeEPSN_NS1_7vsmem_tEENKUlT_SL_SM_SN_E_clIS8_S8_S9_S9_EESK_S10_SL_SM_SN_EUlS10_E1_NS1_11comp_targetILNS1_3genE2ELNS1_11target_archE906ELNS1_3gpuE6ELNS1_3repE0EEENS1_36merge_oddeven_config_static_selectorELNS0_4arch9wavefront6targetE1EEEvSM_
                                        ; -- End function
	.section	.AMDGPU.csdata,"",@progbits
; Kernel info:
; codeLenInByte = 0
; NumSgprs: 4
; NumVgprs: 0
; NumAgprs: 0
; TotalNumVgprs: 0
; ScratchSize: 0
; MemoryBound: 0
; FloatMode: 240
; IeeeMode: 1
; LDSByteSize: 0 bytes/workgroup (compile time only)
; SGPRBlocks: 0
; VGPRBlocks: 0
; NumSGPRsForWavesPerEU: 4
; NumVGPRsForWavesPerEU: 1
; AccumOffset: 4
; Occupancy: 8
; WaveLimiterHint : 0
; COMPUTE_PGM_RSRC2:SCRATCH_EN: 0
; COMPUTE_PGM_RSRC2:USER_SGPR: 6
; COMPUTE_PGM_RSRC2:TRAP_HANDLER: 0
; COMPUTE_PGM_RSRC2:TGID_X_EN: 1
; COMPUTE_PGM_RSRC2:TGID_Y_EN: 0
; COMPUTE_PGM_RSRC2:TGID_Z_EN: 0
; COMPUTE_PGM_RSRC2:TIDIG_COMP_CNT: 0
; COMPUTE_PGM_RSRC3_GFX90A:ACCUM_OFFSET: 0
; COMPUTE_PGM_RSRC3_GFX90A:TG_SPLIT: 0
	.section	.text._ZN7rocprim17ROCPRIM_400000_NS6detail17trampoline_kernelINS0_14default_configENS1_38merge_sort_block_merge_config_selectorIlNS0_10empty_typeEEEZZNS1_27merge_sort_block_merge_implIS3_PlPS5_mZN2at6native12_GLOBAL__N_124unique_dim_cuda_templateIfEESt5tupleIJNSA_6TensorESF_SF_EERKSF_lbbbEUlllE_EE10hipError_tT0_T1_T2_jT3_P12ihipStream_tbPNSt15iterator_traitsISL_E10value_typeEPNSR_ISM_E10value_typeEPSN_NS1_7vsmem_tEENKUlT_SL_SM_SN_E_clIS8_S8_S9_S9_EESK_S10_SL_SM_SN_EUlS10_E1_NS1_11comp_targetILNS1_3genE9ELNS1_11target_archE1100ELNS1_3gpuE3ELNS1_3repE0EEENS1_36merge_oddeven_config_static_selectorELNS0_4arch9wavefront6targetE1EEEvSM_,"axG",@progbits,_ZN7rocprim17ROCPRIM_400000_NS6detail17trampoline_kernelINS0_14default_configENS1_38merge_sort_block_merge_config_selectorIlNS0_10empty_typeEEEZZNS1_27merge_sort_block_merge_implIS3_PlPS5_mZN2at6native12_GLOBAL__N_124unique_dim_cuda_templateIfEESt5tupleIJNSA_6TensorESF_SF_EERKSF_lbbbEUlllE_EE10hipError_tT0_T1_T2_jT3_P12ihipStream_tbPNSt15iterator_traitsISL_E10value_typeEPNSR_ISM_E10value_typeEPSN_NS1_7vsmem_tEENKUlT_SL_SM_SN_E_clIS8_S8_S9_S9_EESK_S10_SL_SM_SN_EUlS10_E1_NS1_11comp_targetILNS1_3genE9ELNS1_11target_archE1100ELNS1_3gpuE3ELNS1_3repE0EEENS1_36merge_oddeven_config_static_selectorELNS0_4arch9wavefront6targetE1EEEvSM_,comdat
	.globl	_ZN7rocprim17ROCPRIM_400000_NS6detail17trampoline_kernelINS0_14default_configENS1_38merge_sort_block_merge_config_selectorIlNS0_10empty_typeEEEZZNS1_27merge_sort_block_merge_implIS3_PlPS5_mZN2at6native12_GLOBAL__N_124unique_dim_cuda_templateIfEESt5tupleIJNSA_6TensorESF_SF_EERKSF_lbbbEUlllE_EE10hipError_tT0_T1_T2_jT3_P12ihipStream_tbPNSt15iterator_traitsISL_E10value_typeEPNSR_ISM_E10value_typeEPSN_NS1_7vsmem_tEENKUlT_SL_SM_SN_E_clIS8_S8_S9_S9_EESK_S10_SL_SM_SN_EUlS10_E1_NS1_11comp_targetILNS1_3genE9ELNS1_11target_archE1100ELNS1_3gpuE3ELNS1_3repE0EEENS1_36merge_oddeven_config_static_selectorELNS0_4arch9wavefront6targetE1EEEvSM_ ; -- Begin function _ZN7rocprim17ROCPRIM_400000_NS6detail17trampoline_kernelINS0_14default_configENS1_38merge_sort_block_merge_config_selectorIlNS0_10empty_typeEEEZZNS1_27merge_sort_block_merge_implIS3_PlPS5_mZN2at6native12_GLOBAL__N_124unique_dim_cuda_templateIfEESt5tupleIJNSA_6TensorESF_SF_EERKSF_lbbbEUlllE_EE10hipError_tT0_T1_T2_jT3_P12ihipStream_tbPNSt15iterator_traitsISL_E10value_typeEPNSR_ISM_E10value_typeEPSN_NS1_7vsmem_tEENKUlT_SL_SM_SN_E_clIS8_S8_S9_S9_EESK_S10_SL_SM_SN_EUlS10_E1_NS1_11comp_targetILNS1_3genE9ELNS1_11target_archE1100ELNS1_3gpuE3ELNS1_3repE0EEENS1_36merge_oddeven_config_static_selectorELNS0_4arch9wavefront6targetE1EEEvSM_
	.p2align	8
	.type	_ZN7rocprim17ROCPRIM_400000_NS6detail17trampoline_kernelINS0_14default_configENS1_38merge_sort_block_merge_config_selectorIlNS0_10empty_typeEEEZZNS1_27merge_sort_block_merge_implIS3_PlPS5_mZN2at6native12_GLOBAL__N_124unique_dim_cuda_templateIfEESt5tupleIJNSA_6TensorESF_SF_EERKSF_lbbbEUlllE_EE10hipError_tT0_T1_T2_jT3_P12ihipStream_tbPNSt15iterator_traitsISL_E10value_typeEPNSR_ISM_E10value_typeEPSN_NS1_7vsmem_tEENKUlT_SL_SM_SN_E_clIS8_S8_S9_S9_EESK_S10_SL_SM_SN_EUlS10_E1_NS1_11comp_targetILNS1_3genE9ELNS1_11target_archE1100ELNS1_3gpuE3ELNS1_3repE0EEENS1_36merge_oddeven_config_static_selectorELNS0_4arch9wavefront6targetE1EEEvSM_,@function
_ZN7rocprim17ROCPRIM_400000_NS6detail17trampoline_kernelINS0_14default_configENS1_38merge_sort_block_merge_config_selectorIlNS0_10empty_typeEEEZZNS1_27merge_sort_block_merge_implIS3_PlPS5_mZN2at6native12_GLOBAL__N_124unique_dim_cuda_templateIfEESt5tupleIJNSA_6TensorESF_SF_EERKSF_lbbbEUlllE_EE10hipError_tT0_T1_T2_jT3_P12ihipStream_tbPNSt15iterator_traitsISL_E10value_typeEPNSR_ISM_E10value_typeEPSN_NS1_7vsmem_tEENKUlT_SL_SM_SN_E_clIS8_S8_S9_S9_EESK_S10_SL_SM_SN_EUlS10_E1_NS1_11comp_targetILNS1_3genE9ELNS1_11target_archE1100ELNS1_3gpuE3ELNS1_3repE0EEENS1_36merge_oddeven_config_static_selectorELNS0_4arch9wavefront6targetE1EEEvSM_: ; @_ZN7rocprim17ROCPRIM_400000_NS6detail17trampoline_kernelINS0_14default_configENS1_38merge_sort_block_merge_config_selectorIlNS0_10empty_typeEEEZZNS1_27merge_sort_block_merge_implIS3_PlPS5_mZN2at6native12_GLOBAL__N_124unique_dim_cuda_templateIfEESt5tupleIJNSA_6TensorESF_SF_EERKSF_lbbbEUlllE_EE10hipError_tT0_T1_T2_jT3_P12ihipStream_tbPNSt15iterator_traitsISL_E10value_typeEPNSR_ISM_E10value_typeEPSN_NS1_7vsmem_tEENKUlT_SL_SM_SN_E_clIS8_S8_S9_S9_EESK_S10_SL_SM_SN_EUlS10_E1_NS1_11comp_targetILNS1_3genE9ELNS1_11target_archE1100ELNS1_3gpuE3ELNS1_3repE0EEENS1_36merge_oddeven_config_static_selectorELNS0_4arch9wavefront6targetE1EEEvSM_
; %bb.0:
	.section	.rodata,"a",@progbits
	.p2align	6, 0x0
	.amdhsa_kernel _ZN7rocprim17ROCPRIM_400000_NS6detail17trampoline_kernelINS0_14default_configENS1_38merge_sort_block_merge_config_selectorIlNS0_10empty_typeEEEZZNS1_27merge_sort_block_merge_implIS3_PlPS5_mZN2at6native12_GLOBAL__N_124unique_dim_cuda_templateIfEESt5tupleIJNSA_6TensorESF_SF_EERKSF_lbbbEUlllE_EE10hipError_tT0_T1_T2_jT3_P12ihipStream_tbPNSt15iterator_traitsISL_E10value_typeEPNSR_ISM_E10value_typeEPSN_NS1_7vsmem_tEENKUlT_SL_SM_SN_E_clIS8_S8_S9_S9_EESK_S10_SL_SM_SN_EUlS10_E1_NS1_11comp_targetILNS1_3genE9ELNS1_11target_archE1100ELNS1_3gpuE3ELNS1_3repE0EEENS1_36merge_oddeven_config_static_selectorELNS0_4arch9wavefront6targetE1EEEvSM_
		.amdhsa_group_segment_fixed_size 0
		.amdhsa_private_segment_fixed_size 0
		.amdhsa_kernarg_size 64
		.amdhsa_user_sgpr_count 6
		.amdhsa_user_sgpr_private_segment_buffer 1
		.amdhsa_user_sgpr_dispatch_ptr 0
		.amdhsa_user_sgpr_queue_ptr 0
		.amdhsa_user_sgpr_kernarg_segment_ptr 1
		.amdhsa_user_sgpr_dispatch_id 0
		.amdhsa_user_sgpr_flat_scratch_init 0
		.amdhsa_user_sgpr_kernarg_preload_length 0
		.amdhsa_user_sgpr_kernarg_preload_offset 0
		.amdhsa_user_sgpr_private_segment_size 0
		.amdhsa_uses_dynamic_stack 0
		.amdhsa_system_sgpr_private_segment_wavefront_offset 0
		.amdhsa_system_sgpr_workgroup_id_x 1
		.amdhsa_system_sgpr_workgroup_id_y 0
		.amdhsa_system_sgpr_workgroup_id_z 0
		.amdhsa_system_sgpr_workgroup_info 0
		.amdhsa_system_vgpr_workitem_id 0
		.amdhsa_next_free_vgpr 1
		.amdhsa_next_free_sgpr 0
		.amdhsa_accum_offset 4
		.amdhsa_reserve_vcc 0
		.amdhsa_reserve_flat_scratch 0
		.amdhsa_float_round_mode_32 0
		.amdhsa_float_round_mode_16_64 0
		.amdhsa_float_denorm_mode_32 3
		.amdhsa_float_denorm_mode_16_64 3
		.amdhsa_dx10_clamp 1
		.amdhsa_ieee_mode 1
		.amdhsa_fp16_overflow 0
		.amdhsa_tg_split 0
		.amdhsa_exception_fp_ieee_invalid_op 0
		.amdhsa_exception_fp_denorm_src 0
		.amdhsa_exception_fp_ieee_div_zero 0
		.amdhsa_exception_fp_ieee_overflow 0
		.amdhsa_exception_fp_ieee_underflow 0
		.amdhsa_exception_fp_ieee_inexact 0
		.amdhsa_exception_int_div_zero 0
	.end_amdhsa_kernel
	.section	.text._ZN7rocprim17ROCPRIM_400000_NS6detail17trampoline_kernelINS0_14default_configENS1_38merge_sort_block_merge_config_selectorIlNS0_10empty_typeEEEZZNS1_27merge_sort_block_merge_implIS3_PlPS5_mZN2at6native12_GLOBAL__N_124unique_dim_cuda_templateIfEESt5tupleIJNSA_6TensorESF_SF_EERKSF_lbbbEUlllE_EE10hipError_tT0_T1_T2_jT3_P12ihipStream_tbPNSt15iterator_traitsISL_E10value_typeEPNSR_ISM_E10value_typeEPSN_NS1_7vsmem_tEENKUlT_SL_SM_SN_E_clIS8_S8_S9_S9_EESK_S10_SL_SM_SN_EUlS10_E1_NS1_11comp_targetILNS1_3genE9ELNS1_11target_archE1100ELNS1_3gpuE3ELNS1_3repE0EEENS1_36merge_oddeven_config_static_selectorELNS0_4arch9wavefront6targetE1EEEvSM_,"axG",@progbits,_ZN7rocprim17ROCPRIM_400000_NS6detail17trampoline_kernelINS0_14default_configENS1_38merge_sort_block_merge_config_selectorIlNS0_10empty_typeEEEZZNS1_27merge_sort_block_merge_implIS3_PlPS5_mZN2at6native12_GLOBAL__N_124unique_dim_cuda_templateIfEESt5tupleIJNSA_6TensorESF_SF_EERKSF_lbbbEUlllE_EE10hipError_tT0_T1_T2_jT3_P12ihipStream_tbPNSt15iterator_traitsISL_E10value_typeEPNSR_ISM_E10value_typeEPSN_NS1_7vsmem_tEENKUlT_SL_SM_SN_E_clIS8_S8_S9_S9_EESK_S10_SL_SM_SN_EUlS10_E1_NS1_11comp_targetILNS1_3genE9ELNS1_11target_archE1100ELNS1_3gpuE3ELNS1_3repE0EEENS1_36merge_oddeven_config_static_selectorELNS0_4arch9wavefront6targetE1EEEvSM_,comdat
.Lfunc_end902:
	.size	_ZN7rocprim17ROCPRIM_400000_NS6detail17trampoline_kernelINS0_14default_configENS1_38merge_sort_block_merge_config_selectorIlNS0_10empty_typeEEEZZNS1_27merge_sort_block_merge_implIS3_PlPS5_mZN2at6native12_GLOBAL__N_124unique_dim_cuda_templateIfEESt5tupleIJNSA_6TensorESF_SF_EERKSF_lbbbEUlllE_EE10hipError_tT0_T1_T2_jT3_P12ihipStream_tbPNSt15iterator_traitsISL_E10value_typeEPNSR_ISM_E10value_typeEPSN_NS1_7vsmem_tEENKUlT_SL_SM_SN_E_clIS8_S8_S9_S9_EESK_S10_SL_SM_SN_EUlS10_E1_NS1_11comp_targetILNS1_3genE9ELNS1_11target_archE1100ELNS1_3gpuE3ELNS1_3repE0EEENS1_36merge_oddeven_config_static_selectorELNS0_4arch9wavefront6targetE1EEEvSM_, .Lfunc_end902-_ZN7rocprim17ROCPRIM_400000_NS6detail17trampoline_kernelINS0_14default_configENS1_38merge_sort_block_merge_config_selectorIlNS0_10empty_typeEEEZZNS1_27merge_sort_block_merge_implIS3_PlPS5_mZN2at6native12_GLOBAL__N_124unique_dim_cuda_templateIfEESt5tupleIJNSA_6TensorESF_SF_EERKSF_lbbbEUlllE_EE10hipError_tT0_T1_T2_jT3_P12ihipStream_tbPNSt15iterator_traitsISL_E10value_typeEPNSR_ISM_E10value_typeEPSN_NS1_7vsmem_tEENKUlT_SL_SM_SN_E_clIS8_S8_S9_S9_EESK_S10_SL_SM_SN_EUlS10_E1_NS1_11comp_targetILNS1_3genE9ELNS1_11target_archE1100ELNS1_3gpuE3ELNS1_3repE0EEENS1_36merge_oddeven_config_static_selectorELNS0_4arch9wavefront6targetE1EEEvSM_
                                        ; -- End function
	.section	.AMDGPU.csdata,"",@progbits
; Kernel info:
; codeLenInByte = 0
; NumSgprs: 4
; NumVgprs: 0
; NumAgprs: 0
; TotalNumVgprs: 0
; ScratchSize: 0
; MemoryBound: 0
; FloatMode: 240
; IeeeMode: 1
; LDSByteSize: 0 bytes/workgroup (compile time only)
; SGPRBlocks: 0
; VGPRBlocks: 0
; NumSGPRsForWavesPerEU: 4
; NumVGPRsForWavesPerEU: 1
; AccumOffset: 4
; Occupancy: 8
; WaveLimiterHint : 0
; COMPUTE_PGM_RSRC2:SCRATCH_EN: 0
; COMPUTE_PGM_RSRC2:USER_SGPR: 6
; COMPUTE_PGM_RSRC2:TRAP_HANDLER: 0
; COMPUTE_PGM_RSRC2:TGID_X_EN: 1
; COMPUTE_PGM_RSRC2:TGID_Y_EN: 0
; COMPUTE_PGM_RSRC2:TGID_Z_EN: 0
; COMPUTE_PGM_RSRC2:TIDIG_COMP_CNT: 0
; COMPUTE_PGM_RSRC3_GFX90A:ACCUM_OFFSET: 0
; COMPUTE_PGM_RSRC3_GFX90A:TG_SPLIT: 0
	.section	.text._ZN7rocprim17ROCPRIM_400000_NS6detail17trampoline_kernelINS0_14default_configENS1_38merge_sort_block_merge_config_selectorIlNS0_10empty_typeEEEZZNS1_27merge_sort_block_merge_implIS3_PlPS5_mZN2at6native12_GLOBAL__N_124unique_dim_cuda_templateIfEESt5tupleIJNSA_6TensorESF_SF_EERKSF_lbbbEUlllE_EE10hipError_tT0_T1_T2_jT3_P12ihipStream_tbPNSt15iterator_traitsISL_E10value_typeEPNSR_ISM_E10value_typeEPSN_NS1_7vsmem_tEENKUlT_SL_SM_SN_E_clIS8_S8_S9_S9_EESK_S10_SL_SM_SN_EUlS10_E1_NS1_11comp_targetILNS1_3genE8ELNS1_11target_archE1030ELNS1_3gpuE2ELNS1_3repE0EEENS1_36merge_oddeven_config_static_selectorELNS0_4arch9wavefront6targetE1EEEvSM_,"axG",@progbits,_ZN7rocprim17ROCPRIM_400000_NS6detail17trampoline_kernelINS0_14default_configENS1_38merge_sort_block_merge_config_selectorIlNS0_10empty_typeEEEZZNS1_27merge_sort_block_merge_implIS3_PlPS5_mZN2at6native12_GLOBAL__N_124unique_dim_cuda_templateIfEESt5tupleIJNSA_6TensorESF_SF_EERKSF_lbbbEUlllE_EE10hipError_tT0_T1_T2_jT3_P12ihipStream_tbPNSt15iterator_traitsISL_E10value_typeEPNSR_ISM_E10value_typeEPSN_NS1_7vsmem_tEENKUlT_SL_SM_SN_E_clIS8_S8_S9_S9_EESK_S10_SL_SM_SN_EUlS10_E1_NS1_11comp_targetILNS1_3genE8ELNS1_11target_archE1030ELNS1_3gpuE2ELNS1_3repE0EEENS1_36merge_oddeven_config_static_selectorELNS0_4arch9wavefront6targetE1EEEvSM_,comdat
	.globl	_ZN7rocprim17ROCPRIM_400000_NS6detail17trampoline_kernelINS0_14default_configENS1_38merge_sort_block_merge_config_selectorIlNS0_10empty_typeEEEZZNS1_27merge_sort_block_merge_implIS3_PlPS5_mZN2at6native12_GLOBAL__N_124unique_dim_cuda_templateIfEESt5tupleIJNSA_6TensorESF_SF_EERKSF_lbbbEUlllE_EE10hipError_tT0_T1_T2_jT3_P12ihipStream_tbPNSt15iterator_traitsISL_E10value_typeEPNSR_ISM_E10value_typeEPSN_NS1_7vsmem_tEENKUlT_SL_SM_SN_E_clIS8_S8_S9_S9_EESK_S10_SL_SM_SN_EUlS10_E1_NS1_11comp_targetILNS1_3genE8ELNS1_11target_archE1030ELNS1_3gpuE2ELNS1_3repE0EEENS1_36merge_oddeven_config_static_selectorELNS0_4arch9wavefront6targetE1EEEvSM_ ; -- Begin function _ZN7rocprim17ROCPRIM_400000_NS6detail17trampoline_kernelINS0_14default_configENS1_38merge_sort_block_merge_config_selectorIlNS0_10empty_typeEEEZZNS1_27merge_sort_block_merge_implIS3_PlPS5_mZN2at6native12_GLOBAL__N_124unique_dim_cuda_templateIfEESt5tupleIJNSA_6TensorESF_SF_EERKSF_lbbbEUlllE_EE10hipError_tT0_T1_T2_jT3_P12ihipStream_tbPNSt15iterator_traitsISL_E10value_typeEPNSR_ISM_E10value_typeEPSN_NS1_7vsmem_tEENKUlT_SL_SM_SN_E_clIS8_S8_S9_S9_EESK_S10_SL_SM_SN_EUlS10_E1_NS1_11comp_targetILNS1_3genE8ELNS1_11target_archE1030ELNS1_3gpuE2ELNS1_3repE0EEENS1_36merge_oddeven_config_static_selectorELNS0_4arch9wavefront6targetE1EEEvSM_
	.p2align	8
	.type	_ZN7rocprim17ROCPRIM_400000_NS6detail17trampoline_kernelINS0_14default_configENS1_38merge_sort_block_merge_config_selectorIlNS0_10empty_typeEEEZZNS1_27merge_sort_block_merge_implIS3_PlPS5_mZN2at6native12_GLOBAL__N_124unique_dim_cuda_templateIfEESt5tupleIJNSA_6TensorESF_SF_EERKSF_lbbbEUlllE_EE10hipError_tT0_T1_T2_jT3_P12ihipStream_tbPNSt15iterator_traitsISL_E10value_typeEPNSR_ISM_E10value_typeEPSN_NS1_7vsmem_tEENKUlT_SL_SM_SN_E_clIS8_S8_S9_S9_EESK_S10_SL_SM_SN_EUlS10_E1_NS1_11comp_targetILNS1_3genE8ELNS1_11target_archE1030ELNS1_3gpuE2ELNS1_3repE0EEENS1_36merge_oddeven_config_static_selectorELNS0_4arch9wavefront6targetE1EEEvSM_,@function
_ZN7rocprim17ROCPRIM_400000_NS6detail17trampoline_kernelINS0_14default_configENS1_38merge_sort_block_merge_config_selectorIlNS0_10empty_typeEEEZZNS1_27merge_sort_block_merge_implIS3_PlPS5_mZN2at6native12_GLOBAL__N_124unique_dim_cuda_templateIfEESt5tupleIJNSA_6TensorESF_SF_EERKSF_lbbbEUlllE_EE10hipError_tT0_T1_T2_jT3_P12ihipStream_tbPNSt15iterator_traitsISL_E10value_typeEPNSR_ISM_E10value_typeEPSN_NS1_7vsmem_tEENKUlT_SL_SM_SN_E_clIS8_S8_S9_S9_EESK_S10_SL_SM_SN_EUlS10_E1_NS1_11comp_targetILNS1_3genE8ELNS1_11target_archE1030ELNS1_3gpuE2ELNS1_3repE0EEENS1_36merge_oddeven_config_static_selectorELNS0_4arch9wavefront6targetE1EEEvSM_: ; @_ZN7rocprim17ROCPRIM_400000_NS6detail17trampoline_kernelINS0_14default_configENS1_38merge_sort_block_merge_config_selectorIlNS0_10empty_typeEEEZZNS1_27merge_sort_block_merge_implIS3_PlPS5_mZN2at6native12_GLOBAL__N_124unique_dim_cuda_templateIfEESt5tupleIJNSA_6TensorESF_SF_EERKSF_lbbbEUlllE_EE10hipError_tT0_T1_T2_jT3_P12ihipStream_tbPNSt15iterator_traitsISL_E10value_typeEPNSR_ISM_E10value_typeEPSN_NS1_7vsmem_tEENKUlT_SL_SM_SN_E_clIS8_S8_S9_S9_EESK_S10_SL_SM_SN_EUlS10_E1_NS1_11comp_targetILNS1_3genE8ELNS1_11target_archE1030ELNS1_3gpuE2ELNS1_3repE0EEENS1_36merge_oddeven_config_static_selectorELNS0_4arch9wavefront6targetE1EEEvSM_
; %bb.0:
	.section	.rodata,"a",@progbits
	.p2align	6, 0x0
	.amdhsa_kernel _ZN7rocprim17ROCPRIM_400000_NS6detail17trampoline_kernelINS0_14default_configENS1_38merge_sort_block_merge_config_selectorIlNS0_10empty_typeEEEZZNS1_27merge_sort_block_merge_implIS3_PlPS5_mZN2at6native12_GLOBAL__N_124unique_dim_cuda_templateIfEESt5tupleIJNSA_6TensorESF_SF_EERKSF_lbbbEUlllE_EE10hipError_tT0_T1_T2_jT3_P12ihipStream_tbPNSt15iterator_traitsISL_E10value_typeEPNSR_ISM_E10value_typeEPSN_NS1_7vsmem_tEENKUlT_SL_SM_SN_E_clIS8_S8_S9_S9_EESK_S10_SL_SM_SN_EUlS10_E1_NS1_11comp_targetILNS1_3genE8ELNS1_11target_archE1030ELNS1_3gpuE2ELNS1_3repE0EEENS1_36merge_oddeven_config_static_selectorELNS0_4arch9wavefront6targetE1EEEvSM_
		.amdhsa_group_segment_fixed_size 0
		.amdhsa_private_segment_fixed_size 0
		.amdhsa_kernarg_size 64
		.amdhsa_user_sgpr_count 6
		.amdhsa_user_sgpr_private_segment_buffer 1
		.amdhsa_user_sgpr_dispatch_ptr 0
		.amdhsa_user_sgpr_queue_ptr 0
		.amdhsa_user_sgpr_kernarg_segment_ptr 1
		.amdhsa_user_sgpr_dispatch_id 0
		.amdhsa_user_sgpr_flat_scratch_init 0
		.amdhsa_user_sgpr_kernarg_preload_length 0
		.amdhsa_user_sgpr_kernarg_preload_offset 0
		.amdhsa_user_sgpr_private_segment_size 0
		.amdhsa_uses_dynamic_stack 0
		.amdhsa_system_sgpr_private_segment_wavefront_offset 0
		.amdhsa_system_sgpr_workgroup_id_x 1
		.amdhsa_system_sgpr_workgroup_id_y 0
		.amdhsa_system_sgpr_workgroup_id_z 0
		.amdhsa_system_sgpr_workgroup_info 0
		.amdhsa_system_vgpr_workitem_id 0
		.amdhsa_next_free_vgpr 1
		.amdhsa_next_free_sgpr 0
		.amdhsa_accum_offset 4
		.amdhsa_reserve_vcc 0
		.amdhsa_reserve_flat_scratch 0
		.amdhsa_float_round_mode_32 0
		.amdhsa_float_round_mode_16_64 0
		.amdhsa_float_denorm_mode_32 3
		.amdhsa_float_denorm_mode_16_64 3
		.amdhsa_dx10_clamp 1
		.amdhsa_ieee_mode 1
		.amdhsa_fp16_overflow 0
		.amdhsa_tg_split 0
		.amdhsa_exception_fp_ieee_invalid_op 0
		.amdhsa_exception_fp_denorm_src 0
		.amdhsa_exception_fp_ieee_div_zero 0
		.amdhsa_exception_fp_ieee_overflow 0
		.amdhsa_exception_fp_ieee_underflow 0
		.amdhsa_exception_fp_ieee_inexact 0
		.amdhsa_exception_int_div_zero 0
	.end_amdhsa_kernel
	.section	.text._ZN7rocprim17ROCPRIM_400000_NS6detail17trampoline_kernelINS0_14default_configENS1_38merge_sort_block_merge_config_selectorIlNS0_10empty_typeEEEZZNS1_27merge_sort_block_merge_implIS3_PlPS5_mZN2at6native12_GLOBAL__N_124unique_dim_cuda_templateIfEESt5tupleIJNSA_6TensorESF_SF_EERKSF_lbbbEUlllE_EE10hipError_tT0_T1_T2_jT3_P12ihipStream_tbPNSt15iterator_traitsISL_E10value_typeEPNSR_ISM_E10value_typeEPSN_NS1_7vsmem_tEENKUlT_SL_SM_SN_E_clIS8_S8_S9_S9_EESK_S10_SL_SM_SN_EUlS10_E1_NS1_11comp_targetILNS1_3genE8ELNS1_11target_archE1030ELNS1_3gpuE2ELNS1_3repE0EEENS1_36merge_oddeven_config_static_selectorELNS0_4arch9wavefront6targetE1EEEvSM_,"axG",@progbits,_ZN7rocprim17ROCPRIM_400000_NS6detail17trampoline_kernelINS0_14default_configENS1_38merge_sort_block_merge_config_selectorIlNS0_10empty_typeEEEZZNS1_27merge_sort_block_merge_implIS3_PlPS5_mZN2at6native12_GLOBAL__N_124unique_dim_cuda_templateIfEESt5tupleIJNSA_6TensorESF_SF_EERKSF_lbbbEUlllE_EE10hipError_tT0_T1_T2_jT3_P12ihipStream_tbPNSt15iterator_traitsISL_E10value_typeEPNSR_ISM_E10value_typeEPSN_NS1_7vsmem_tEENKUlT_SL_SM_SN_E_clIS8_S8_S9_S9_EESK_S10_SL_SM_SN_EUlS10_E1_NS1_11comp_targetILNS1_3genE8ELNS1_11target_archE1030ELNS1_3gpuE2ELNS1_3repE0EEENS1_36merge_oddeven_config_static_selectorELNS0_4arch9wavefront6targetE1EEEvSM_,comdat
.Lfunc_end903:
	.size	_ZN7rocprim17ROCPRIM_400000_NS6detail17trampoline_kernelINS0_14default_configENS1_38merge_sort_block_merge_config_selectorIlNS0_10empty_typeEEEZZNS1_27merge_sort_block_merge_implIS3_PlPS5_mZN2at6native12_GLOBAL__N_124unique_dim_cuda_templateIfEESt5tupleIJNSA_6TensorESF_SF_EERKSF_lbbbEUlllE_EE10hipError_tT0_T1_T2_jT3_P12ihipStream_tbPNSt15iterator_traitsISL_E10value_typeEPNSR_ISM_E10value_typeEPSN_NS1_7vsmem_tEENKUlT_SL_SM_SN_E_clIS8_S8_S9_S9_EESK_S10_SL_SM_SN_EUlS10_E1_NS1_11comp_targetILNS1_3genE8ELNS1_11target_archE1030ELNS1_3gpuE2ELNS1_3repE0EEENS1_36merge_oddeven_config_static_selectorELNS0_4arch9wavefront6targetE1EEEvSM_, .Lfunc_end903-_ZN7rocprim17ROCPRIM_400000_NS6detail17trampoline_kernelINS0_14default_configENS1_38merge_sort_block_merge_config_selectorIlNS0_10empty_typeEEEZZNS1_27merge_sort_block_merge_implIS3_PlPS5_mZN2at6native12_GLOBAL__N_124unique_dim_cuda_templateIfEESt5tupleIJNSA_6TensorESF_SF_EERKSF_lbbbEUlllE_EE10hipError_tT0_T1_T2_jT3_P12ihipStream_tbPNSt15iterator_traitsISL_E10value_typeEPNSR_ISM_E10value_typeEPSN_NS1_7vsmem_tEENKUlT_SL_SM_SN_E_clIS8_S8_S9_S9_EESK_S10_SL_SM_SN_EUlS10_E1_NS1_11comp_targetILNS1_3genE8ELNS1_11target_archE1030ELNS1_3gpuE2ELNS1_3repE0EEENS1_36merge_oddeven_config_static_selectorELNS0_4arch9wavefront6targetE1EEEvSM_
                                        ; -- End function
	.section	.AMDGPU.csdata,"",@progbits
; Kernel info:
; codeLenInByte = 0
; NumSgprs: 4
; NumVgprs: 0
; NumAgprs: 0
; TotalNumVgprs: 0
; ScratchSize: 0
; MemoryBound: 0
; FloatMode: 240
; IeeeMode: 1
; LDSByteSize: 0 bytes/workgroup (compile time only)
; SGPRBlocks: 0
; VGPRBlocks: 0
; NumSGPRsForWavesPerEU: 4
; NumVGPRsForWavesPerEU: 1
; AccumOffset: 4
; Occupancy: 8
; WaveLimiterHint : 0
; COMPUTE_PGM_RSRC2:SCRATCH_EN: 0
; COMPUTE_PGM_RSRC2:USER_SGPR: 6
; COMPUTE_PGM_RSRC2:TRAP_HANDLER: 0
; COMPUTE_PGM_RSRC2:TGID_X_EN: 1
; COMPUTE_PGM_RSRC2:TGID_Y_EN: 0
; COMPUTE_PGM_RSRC2:TGID_Z_EN: 0
; COMPUTE_PGM_RSRC2:TIDIG_COMP_CNT: 0
; COMPUTE_PGM_RSRC3_GFX90A:ACCUM_OFFSET: 0
; COMPUTE_PGM_RSRC3_GFX90A:TG_SPLIT: 0
	.section	.text._ZN7rocprim17ROCPRIM_400000_NS6detail17trampoline_kernelINS0_14default_configENS1_35adjacent_difference_config_selectorILb0ElEEZNS1_24adjacent_difference_implIS3_Lb0ELb0EPlS7_ZN2at6native12_GLOBAL__N_124unique_dim_cuda_templateIfEESt5tupleIJNS8_6TensorESD_SD_EERKSD_lbbbEUlllE1_EE10hipError_tPvRmT2_T3_mT4_P12ihipStream_tbEUlT_E_NS1_11comp_targetILNS1_3genE0ELNS1_11target_archE4294967295ELNS1_3gpuE0ELNS1_3repE0EEENS1_30default_config_static_selectorELNS0_4arch9wavefront6targetE1EEEvT1_,"axG",@progbits,_ZN7rocprim17ROCPRIM_400000_NS6detail17trampoline_kernelINS0_14default_configENS1_35adjacent_difference_config_selectorILb0ElEEZNS1_24adjacent_difference_implIS3_Lb0ELb0EPlS7_ZN2at6native12_GLOBAL__N_124unique_dim_cuda_templateIfEESt5tupleIJNS8_6TensorESD_SD_EERKSD_lbbbEUlllE1_EE10hipError_tPvRmT2_T3_mT4_P12ihipStream_tbEUlT_E_NS1_11comp_targetILNS1_3genE0ELNS1_11target_archE4294967295ELNS1_3gpuE0ELNS1_3repE0EEENS1_30default_config_static_selectorELNS0_4arch9wavefront6targetE1EEEvT1_,comdat
	.globl	_ZN7rocprim17ROCPRIM_400000_NS6detail17trampoline_kernelINS0_14default_configENS1_35adjacent_difference_config_selectorILb0ElEEZNS1_24adjacent_difference_implIS3_Lb0ELb0EPlS7_ZN2at6native12_GLOBAL__N_124unique_dim_cuda_templateIfEESt5tupleIJNS8_6TensorESD_SD_EERKSD_lbbbEUlllE1_EE10hipError_tPvRmT2_T3_mT4_P12ihipStream_tbEUlT_E_NS1_11comp_targetILNS1_3genE0ELNS1_11target_archE4294967295ELNS1_3gpuE0ELNS1_3repE0EEENS1_30default_config_static_selectorELNS0_4arch9wavefront6targetE1EEEvT1_ ; -- Begin function _ZN7rocprim17ROCPRIM_400000_NS6detail17trampoline_kernelINS0_14default_configENS1_35adjacent_difference_config_selectorILb0ElEEZNS1_24adjacent_difference_implIS3_Lb0ELb0EPlS7_ZN2at6native12_GLOBAL__N_124unique_dim_cuda_templateIfEESt5tupleIJNS8_6TensorESD_SD_EERKSD_lbbbEUlllE1_EE10hipError_tPvRmT2_T3_mT4_P12ihipStream_tbEUlT_E_NS1_11comp_targetILNS1_3genE0ELNS1_11target_archE4294967295ELNS1_3gpuE0ELNS1_3repE0EEENS1_30default_config_static_selectorELNS0_4arch9wavefront6targetE1EEEvT1_
	.p2align	8
	.type	_ZN7rocprim17ROCPRIM_400000_NS6detail17trampoline_kernelINS0_14default_configENS1_35adjacent_difference_config_selectorILb0ElEEZNS1_24adjacent_difference_implIS3_Lb0ELb0EPlS7_ZN2at6native12_GLOBAL__N_124unique_dim_cuda_templateIfEESt5tupleIJNS8_6TensorESD_SD_EERKSD_lbbbEUlllE1_EE10hipError_tPvRmT2_T3_mT4_P12ihipStream_tbEUlT_E_NS1_11comp_targetILNS1_3genE0ELNS1_11target_archE4294967295ELNS1_3gpuE0ELNS1_3repE0EEENS1_30default_config_static_selectorELNS0_4arch9wavefront6targetE1EEEvT1_,@function
_ZN7rocprim17ROCPRIM_400000_NS6detail17trampoline_kernelINS0_14default_configENS1_35adjacent_difference_config_selectorILb0ElEEZNS1_24adjacent_difference_implIS3_Lb0ELb0EPlS7_ZN2at6native12_GLOBAL__N_124unique_dim_cuda_templateIfEESt5tupleIJNS8_6TensorESD_SD_EERKSD_lbbbEUlllE1_EE10hipError_tPvRmT2_T3_mT4_P12ihipStream_tbEUlT_E_NS1_11comp_targetILNS1_3genE0ELNS1_11target_archE4294967295ELNS1_3gpuE0ELNS1_3repE0EEENS1_30default_config_static_selectorELNS0_4arch9wavefront6targetE1EEEvT1_: ; @_ZN7rocprim17ROCPRIM_400000_NS6detail17trampoline_kernelINS0_14default_configENS1_35adjacent_difference_config_selectorILb0ElEEZNS1_24adjacent_difference_implIS3_Lb0ELb0EPlS7_ZN2at6native12_GLOBAL__N_124unique_dim_cuda_templateIfEESt5tupleIJNS8_6TensorESD_SD_EERKSD_lbbbEUlllE1_EE10hipError_tPvRmT2_T3_mT4_P12ihipStream_tbEUlT_E_NS1_11comp_targetILNS1_3genE0ELNS1_11target_archE4294967295ELNS1_3gpuE0ELNS1_3repE0EEENS1_30default_config_static_selectorELNS0_4arch9wavefront6targetE1EEEvT1_
; %bb.0:
	.section	.rodata,"a",@progbits
	.p2align	6, 0x0
	.amdhsa_kernel _ZN7rocprim17ROCPRIM_400000_NS6detail17trampoline_kernelINS0_14default_configENS1_35adjacent_difference_config_selectorILb0ElEEZNS1_24adjacent_difference_implIS3_Lb0ELb0EPlS7_ZN2at6native12_GLOBAL__N_124unique_dim_cuda_templateIfEESt5tupleIJNS8_6TensorESD_SD_EERKSD_lbbbEUlllE1_EE10hipError_tPvRmT2_T3_mT4_P12ihipStream_tbEUlT_E_NS1_11comp_targetILNS1_3genE0ELNS1_11target_archE4294967295ELNS1_3gpuE0ELNS1_3repE0EEENS1_30default_config_static_selectorELNS0_4arch9wavefront6targetE1EEEvT1_
		.amdhsa_group_segment_fixed_size 0
		.amdhsa_private_segment_fixed_size 0
		.amdhsa_kernarg_size 64
		.amdhsa_user_sgpr_count 6
		.amdhsa_user_sgpr_private_segment_buffer 1
		.amdhsa_user_sgpr_dispatch_ptr 0
		.amdhsa_user_sgpr_queue_ptr 0
		.amdhsa_user_sgpr_kernarg_segment_ptr 1
		.amdhsa_user_sgpr_dispatch_id 0
		.amdhsa_user_sgpr_flat_scratch_init 0
		.amdhsa_user_sgpr_kernarg_preload_length 0
		.amdhsa_user_sgpr_kernarg_preload_offset 0
		.amdhsa_user_sgpr_private_segment_size 0
		.amdhsa_uses_dynamic_stack 0
		.amdhsa_system_sgpr_private_segment_wavefront_offset 0
		.amdhsa_system_sgpr_workgroup_id_x 1
		.amdhsa_system_sgpr_workgroup_id_y 0
		.amdhsa_system_sgpr_workgroup_id_z 0
		.amdhsa_system_sgpr_workgroup_info 0
		.amdhsa_system_vgpr_workitem_id 0
		.amdhsa_next_free_vgpr 1
		.amdhsa_next_free_sgpr 0
		.amdhsa_accum_offset 4
		.amdhsa_reserve_vcc 0
		.amdhsa_reserve_flat_scratch 0
		.amdhsa_float_round_mode_32 0
		.amdhsa_float_round_mode_16_64 0
		.amdhsa_float_denorm_mode_32 3
		.amdhsa_float_denorm_mode_16_64 3
		.amdhsa_dx10_clamp 1
		.amdhsa_ieee_mode 1
		.amdhsa_fp16_overflow 0
		.amdhsa_tg_split 0
		.amdhsa_exception_fp_ieee_invalid_op 0
		.amdhsa_exception_fp_denorm_src 0
		.amdhsa_exception_fp_ieee_div_zero 0
		.amdhsa_exception_fp_ieee_overflow 0
		.amdhsa_exception_fp_ieee_underflow 0
		.amdhsa_exception_fp_ieee_inexact 0
		.amdhsa_exception_int_div_zero 0
	.end_amdhsa_kernel
	.section	.text._ZN7rocprim17ROCPRIM_400000_NS6detail17trampoline_kernelINS0_14default_configENS1_35adjacent_difference_config_selectorILb0ElEEZNS1_24adjacent_difference_implIS3_Lb0ELb0EPlS7_ZN2at6native12_GLOBAL__N_124unique_dim_cuda_templateIfEESt5tupleIJNS8_6TensorESD_SD_EERKSD_lbbbEUlllE1_EE10hipError_tPvRmT2_T3_mT4_P12ihipStream_tbEUlT_E_NS1_11comp_targetILNS1_3genE0ELNS1_11target_archE4294967295ELNS1_3gpuE0ELNS1_3repE0EEENS1_30default_config_static_selectorELNS0_4arch9wavefront6targetE1EEEvT1_,"axG",@progbits,_ZN7rocprim17ROCPRIM_400000_NS6detail17trampoline_kernelINS0_14default_configENS1_35adjacent_difference_config_selectorILb0ElEEZNS1_24adjacent_difference_implIS3_Lb0ELb0EPlS7_ZN2at6native12_GLOBAL__N_124unique_dim_cuda_templateIfEESt5tupleIJNS8_6TensorESD_SD_EERKSD_lbbbEUlllE1_EE10hipError_tPvRmT2_T3_mT4_P12ihipStream_tbEUlT_E_NS1_11comp_targetILNS1_3genE0ELNS1_11target_archE4294967295ELNS1_3gpuE0ELNS1_3repE0EEENS1_30default_config_static_selectorELNS0_4arch9wavefront6targetE1EEEvT1_,comdat
.Lfunc_end904:
	.size	_ZN7rocprim17ROCPRIM_400000_NS6detail17trampoline_kernelINS0_14default_configENS1_35adjacent_difference_config_selectorILb0ElEEZNS1_24adjacent_difference_implIS3_Lb0ELb0EPlS7_ZN2at6native12_GLOBAL__N_124unique_dim_cuda_templateIfEESt5tupleIJNS8_6TensorESD_SD_EERKSD_lbbbEUlllE1_EE10hipError_tPvRmT2_T3_mT4_P12ihipStream_tbEUlT_E_NS1_11comp_targetILNS1_3genE0ELNS1_11target_archE4294967295ELNS1_3gpuE0ELNS1_3repE0EEENS1_30default_config_static_selectorELNS0_4arch9wavefront6targetE1EEEvT1_, .Lfunc_end904-_ZN7rocprim17ROCPRIM_400000_NS6detail17trampoline_kernelINS0_14default_configENS1_35adjacent_difference_config_selectorILb0ElEEZNS1_24adjacent_difference_implIS3_Lb0ELb0EPlS7_ZN2at6native12_GLOBAL__N_124unique_dim_cuda_templateIfEESt5tupleIJNS8_6TensorESD_SD_EERKSD_lbbbEUlllE1_EE10hipError_tPvRmT2_T3_mT4_P12ihipStream_tbEUlT_E_NS1_11comp_targetILNS1_3genE0ELNS1_11target_archE4294967295ELNS1_3gpuE0ELNS1_3repE0EEENS1_30default_config_static_selectorELNS0_4arch9wavefront6targetE1EEEvT1_
                                        ; -- End function
	.section	.AMDGPU.csdata,"",@progbits
; Kernel info:
; codeLenInByte = 0
; NumSgprs: 4
; NumVgprs: 0
; NumAgprs: 0
; TotalNumVgprs: 0
; ScratchSize: 0
; MemoryBound: 0
; FloatMode: 240
; IeeeMode: 1
; LDSByteSize: 0 bytes/workgroup (compile time only)
; SGPRBlocks: 0
; VGPRBlocks: 0
; NumSGPRsForWavesPerEU: 4
; NumVGPRsForWavesPerEU: 1
; AccumOffset: 4
; Occupancy: 8
; WaveLimiterHint : 0
; COMPUTE_PGM_RSRC2:SCRATCH_EN: 0
; COMPUTE_PGM_RSRC2:USER_SGPR: 6
; COMPUTE_PGM_RSRC2:TRAP_HANDLER: 0
; COMPUTE_PGM_RSRC2:TGID_X_EN: 1
; COMPUTE_PGM_RSRC2:TGID_Y_EN: 0
; COMPUTE_PGM_RSRC2:TGID_Z_EN: 0
; COMPUTE_PGM_RSRC2:TIDIG_COMP_CNT: 0
; COMPUTE_PGM_RSRC3_GFX90A:ACCUM_OFFSET: 0
; COMPUTE_PGM_RSRC3_GFX90A:TG_SPLIT: 0
	.section	.text._ZN7rocprim17ROCPRIM_400000_NS6detail17trampoline_kernelINS0_14default_configENS1_35adjacent_difference_config_selectorILb0ElEEZNS1_24adjacent_difference_implIS3_Lb0ELb0EPlS7_ZN2at6native12_GLOBAL__N_124unique_dim_cuda_templateIfEESt5tupleIJNS8_6TensorESD_SD_EERKSD_lbbbEUlllE1_EE10hipError_tPvRmT2_T3_mT4_P12ihipStream_tbEUlT_E_NS1_11comp_targetILNS1_3genE10ELNS1_11target_archE1201ELNS1_3gpuE5ELNS1_3repE0EEENS1_30default_config_static_selectorELNS0_4arch9wavefront6targetE1EEEvT1_,"axG",@progbits,_ZN7rocprim17ROCPRIM_400000_NS6detail17trampoline_kernelINS0_14default_configENS1_35adjacent_difference_config_selectorILb0ElEEZNS1_24adjacent_difference_implIS3_Lb0ELb0EPlS7_ZN2at6native12_GLOBAL__N_124unique_dim_cuda_templateIfEESt5tupleIJNS8_6TensorESD_SD_EERKSD_lbbbEUlllE1_EE10hipError_tPvRmT2_T3_mT4_P12ihipStream_tbEUlT_E_NS1_11comp_targetILNS1_3genE10ELNS1_11target_archE1201ELNS1_3gpuE5ELNS1_3repE0EEENS1_30default_config_static_selectorELNS0_4arch9wavefront6targetE1EEEvT1_,comdat
	.globl	_ZN7rocprim17ROCPRIM_400000_NS6detail17trampoline_kernelINS0_14default_configENS1_35adjacent_difference_config_selectorILb0ElEEZNS1_24adjacent_difference_implIS3_Lb0ELb0EPlS7_ZN2at6native12_GLOBAL__N_124unique_dim_cuda_templateIfEESt5tupleIJNS8_6TensorESD_SD_EERKSD_lbbbEUlllE1_EE10hipError_tPvRmT2_T3_mT4_P12ihipStream_tbEUlT_E_NS1_11comp_targetILNS1_3genE10ELNS1_11target_archE1201ELNS1_3gpuE5ELNS1_3repE0EEENS1_30default_config_static_selectorELNS0_4arch9wavefront6targetE1EEEvT1_ ; -- Begin function _ZN7rocprim17ROCPRIM_400000_NS6detail17trampoline_kernelINS0_14default_configENS1_35adjacent_difference_config_selectorILb0ElEEZNS1_24adjacent_difference_implIS3_Lb0ELb0EPlS7_ZN2at6native12_GLOBAL__N_124unique_dim_cuda_templateIfEESt5tupleIJNS8_6TensorESD_SD_EERKSD_lbbbEUlllE1_EE10hipError_tPvRmT2_T3_mT4_P12ihipStream_tbEUlT_E_NS1_11comp_targetILNS1_3genE10ELNS1_11target_archE1201ELNS1_3gpuE5ELNS1_3repE0EEENS1_30default_config_static_selectorELNS0_4arch9wavefront6targetE1EEEvT1_
	.p2align	8
	.type	_ZN7rocprim17ROCPRIM_400000_NS6detail17trampoline_kernelINS0_14default_configENS1_35adjacent_difference_config_selectorILb0ElEEZNS1_24adjacent_difference_implIS3_Lb0ELb0EPlS7_ZN2at6native12_GLOBAL__N_124unique_dim_cuda_templateIfEESt5tupleIJNS8_6TensorESD_SD_EERKSD_lbbbEUlllE1_EE10hipError_tPvRmT2_T3_mT4_P12ihipStream_tbEUlT_E_NS1_11comp_targetILNS1_3genE10ELNS1_11target_archE1201ELNS1_3gpuE5ELNS1_3repE0EEENS1_30default_config_static_selectorELNS0_4arch9wavefront6targetE1EEEvT1_,@function
_ZN7rocprim17ROCPRIM_400000_NS6detail17trampoline_kernelINS0_14default_configENS1_35adjacent_difference_config_selectorILb0ElEEZNS1_24adjacent_difference_implIS3_Lb0ELb0EPlS7_ZN2at6native12_GLOBAL__N_124unique_dim_cuda_templateIfEESt5tupleIJNS8_6TensorESD_SD_EERKSD_lbbbEUlllE1_EE10hipError_tPvRmT2_T3_mT4_P12ihipStream_tbEUlT_E_NS1_11comp_targetILNS1_3genE10ELNS1_11target_archE1201ELNS1_3gpuE5ELNS1_3repE0EEENS1_30default_config_static_selectorELNS0_4arch9wavefront6targetE1EEEvT1_: ; @_ZN7rocprim17ROCPRIM_400000_NS6detail17trampoline_kernelINS0_14default_configENS1_35adjacent_difference_config_selectorILb0ElEEZNS1_24adjacent_difference_implIS3_Lb0ELb0EPlS7_ZN2at6native12_GLOBAL__N_124unique_dim_cuda_templateIfEESt5tupleIJNS8_6TensorESD_SD_EERKSD_lbbbEUlllE1_EE10hipError_tPvRmT2_T3_mT4_P12ihipStream_tbEUlT_E_NS1_11comp_targetILNS1_3genE10ELNS1_11target_archE1201ELNS1_3gpuE5ELNS1_3repE0EEENS1_30default_config_static_selectorELNS0_4arch9wavefront6targetE1EEEvT1_
; %bb.0:
	.section	.rodata,"a",@progbits
	.p2align	6, 0x0
	.amdhsa_kernel _ZN7rocprim17ROCPRIM_400000_NS6detail17trampoline_kernelINS0_14default_configENS1_35adjacent_difference_config_selectorILb0ElEEZNS1_24adjacent_difference_implIS3_Lb0ELb0EPlS7_ZN2at6native12_GLOBAL__N_124unique_dim_cuda_templateIfEESt5tupleIJNS8_6TensorESD_SD_EERKSD_lbbbEUlllE1_EE10hipError_tPvRmT2_T3_mT4_P12ihipStream_tbEUlT_E_NS1_11comp_targetILNS1_3genE10ELNS1_11target_archE1201ELNS1_3gpuE5ELNS1_3repE0EEENS1_30default_config_static_selectorELNS0_4arch9wavefront6targetE1EEEvT1_
		.amdhsa_group_segment_fixed_size 0
		.amdhsa_private_segment_fixed_size 0
		.amdhsa_kernarg_size 64
		.amdhsa_user_sgpr_count 6
		.amdhsa_user_sgpr_private_segment_buffer 1
		.amdhsa_user_sgpr_dispatch_ptr 0
		.amdhsa_user_sgpr_queue_ptr 0
		.amdhsa_user_sgpr_kernarg_segment_ptr 1
		.amdhsa_user_sgpr_dispatch_id 0
		.amdhsa_user_sgpr_flat_scratch_init 0
		.amdhsa_user_sgpr_kernarg_preload_length 0
		.amdhsa_user_sgpr_kernarg_preload_offset 0
		.amdhsa_user_sgpr_private_segment_size 0
		.amdhsa_uses_dynamic_stack 0
		.amdhsa_system_sgpr_private_segment_wavefront_offset 0
		.amdhsa_system_sgpr_workgroup_id_x 1
		.amdhsa_system_sgpr_workgroup_id_y 0
		.amdhsa_system_sgpr_workgroup_id_z 0
		.amdhsa_system_sgpr_workgroup_info 0
		.amdhsa_system_vgpr_workitem_id 0
		.amdhsa_next_free_vgpr 1
		.amdhsa_next_free_sgpr 0
		.amdhsa_accum_offset 4
		.amdhsa_reserve_vcc 0
		.amdhsa_reserve_flat_scratch 0
		.amdhsa_float_round_mode_32 0
		.amdhsa_float_round_mode_16_64 0
		.amdhsa_float_denorm_mode_32 3
		.amdhsa_float_denorm_mode_16_64 3
		.amdhsa_dx10_clamp 1
		.amdhsa_ieee_mode 1
		.amdhsa_fp16_overflow 0
		.amdhsa_tg_split 0
		.amdhsa_exception_fp_ieee_invalid_op 0
		.amdhsa_exception_fp_denorm_src 0
		.amdhsa_exception_fp_ieee_div_zero 0
		.amdhsa_exception_fp_ieee_overflow 0
		.amdhsa_exception_fp_ieee_underflow 0
		.amdhsa_exception_fp_ieee_inexact 0
		.amdhsa_exception_int_div_zero 0
	.end_amdhsa_kernel
	.section	.text._ZN7rocprim17ROCPRIM_400000_NS6detail17trampoline_kernelINS0_14default_configENS1_35adjacent_difference_config_selectorILb0ElEEZNS1_24adjacent_difference_implIS3_Lb0ELb0EPlS7_ZN2at6native12_GLOBAL__N_124unique_dim_cuda_templateIfEESt5tupleIJNS8_6TensorESD_SD_EERKSD_lbbbEUlllE1_EE10hipError_tPvRmT2_T3_mT4_P12ihipStream_tbEUlT_E_NS1_11comp_targetILNS1_3genE10ELNS1_11target_archE1201ELNS1_3gpuE5ELNS1_3repE0EEENS1_30default_config_static_selectorELNS0_4arch9wavefront6targetE1EEEvT1_,"axG",@progbits,_ZN7rocprim17ROCPRIM_400000_NS6detail17trampoline_kernelINS0_14default_configENS1_35adjacent_difference_config_selectorILb0ElEEZNS1_24adjacent_difference_implIS3_Lb0ELb0EPlS7_ZN2at6native12_GLOBAL__N_124unique_dim_cuda_templateIfEESt5tupleIJNS8_6TensorESD_SD_EERKSD_lbbbEUlllE1_EE10hipError_tPvRmT2_T3_mT4_P12ihipStream_tbEUlT_E_NS1_11comp_targetILNS1_3genE10ELNS1_11target_archE1201ELNS1_3gpuE5ELNS1_3repE0EEENS1_30default_config_static_selectorELNS0_4arch9wavefront6targetE1EEEvT1_,comdat
.Lfunc_end905:
	.size	_ZN7rocprim17ROCPRIM_400000_NS6detail17trampoline_kernelINS0_14default_configENS1_35adjacent_difference_config_selectorILb0ElEEZNS1_24adjacent_difference_implIS3_Lb0ELb0EPlS7_ZN2at6native12_GLOBAL__N_124unique_dim_cuda_templateIfEESt5tupleIJNS8_6TensorESD_SD_EERKSD_lbbbEUlllE1_EE10hipError_tPvRmT2_T3_mT4_P12ihipStream_tbEUlT_E_NS1_11comp_targetILNS1_3genE10ELNS1_11target_archE1201ELNS1_3gpuE5ELNS1_3repE0EEENS1_30default_config_static_selectorELNS0_4arch9wavefront6targetE1EEEvT1_, .Lfunc_end905-_ZN7rocprim17ROCPRIM_400000_NS6detail17trampoline_kernelINS0_14default_configENS1_35adjacent_difference_config_selectorILb0ElEEZNS1_24adjacent_difference_implIS3_Lb0ELb0EPlS7_ZN2at6native12_GLOBAL__N_124unique_dim_cuda_templateIfEESt5tupleIJNS8_6TensorESD_SD_EERKSD_lbbbEUlllE1_EE10hipError_tPvRmT2_T3_mT4_P12ihipStream_tbEUlT_E_NS1_11comp_targetILNS1_3genE10ELNS1_11target_archE1201ELNS1_3gpuE5ELNS1_3repE0EEENS1_30default_config_static_selectorELNS0_4arch9wavefront6targetE1EEEvT1_
                                        ; -- End function
	.section	.AMDGPU.csdata,"",@progbits
; Kernel info:
; codeLenInByte = 0
; NumSgprs: 4
; NumVgprs: 0
; NumAgprs: 0
; TotalNumVgprs: 0
; ScratchSize: 0
; MemoryBound: 0
; FloatMode: 240
; IeeeMode: 1
; LDSByteSize: 0 bytes/workgroup (compile time only)
; SGPRBlocks: 0
; VGPRBlocks: 0
; NumSGPRsForWavesPerEU: 4
; NumVGPRsForWavesPerEU: 1
; AccumOffset: 4
; Occupancy: 8
; WaveLimiterHint : 0
; COMPUTE_PGM_RSRC2:SCRATCH_EN: 0
; COMPUTE_PGM_RSRC2:USER_SGPR: 6
; COMPUTE_PGM_RSRC2:TRAP_HANDLER: 0
; COMPUTE_PGM_RSRC2:TGID_X_EN: 1
; COMPUTE_PGM_RSRC2:TGID_Y_EN: 0
; COMPUTE_PGM_RSRC2:TGID_Z_EN: 0
; COMPUTE_PGM_RSRC2:TIDIG_COMP_CNT: 0
; COMPUTE_PGM_RSRC3_GFX90A:ACCUM_OFFSET: 0
; COMPUTE_PGM_RSRC3_GFX90A:TG_SPLIT: 0
	.section	.text._ZN7rocprim17ROCPRIM_400000_NS6detail17trampoline_kernelINS0_14default_configENS1_35adjacent_difference_config_selectorILb0ElEEZNS1_24adjacent_difference_implIS3_Lb0ELb0EPlS7_ZN2at6native12_GLOBAL__N_124unique_dim_cuda_templateIfEESt5tupleIJNS8_6TensorESD_SD_EERKSD_lbbbEUlllE1_EE10hipError_tPvRmT2_T3_mT4_P12ihipStream_tbEUlT_E_NS1_11comp_targetILNS1_3genE5ELNS1_11target_archE942ELNS1_3gpuE9ELNS1_3repE0EEENS1_30default_config_static_selectorELNS0_4arch9wavefront6targetE1EEEvT1_,"axG",@progbits,_ZN7rocprim17ROCPRIM_400000_NS6detail17trampoline_kernelINS0_14default_configENS1_35adjacent_difference_config_selectorILb0ElEEZNS1_24adjacent_difference_implIS3_Lb0ELb0EPlS7_ZN2at6native12_GLOBAL__N_124unique_dim_cuda_templateIfEESt5tupleIJNS8_6TensorESD_SD_EERKSD_lbbbEUlllE1_EE10hipError_tPvRmT2_T3_mT4_P12ihipStream_tbEUlT_E_NS1_11comp_targetILNS1_3genE5ELNS1_11target_archE942ELNS1_3gpuE9ELNS1_3repE0EEENS1_30default_config_static_selectorELNS0_4arch9wavefront6targetE1EEEvT1_,comdat
	.globl	_ZN7rocprim17ROCPRIM_400000_NS6detail17trampoline_kernelINS0_14default_configENS1_35adjacent_difference_config_selectorILb0ElEEZNS1_24adjacent_difference_implIS3_Lb0ELb0EPlS7_ZN2at6native12_GLOBAL__N_124unique_dim_cuda_templateIfEESt5tupleIJNS8_6TensorESD_SD_EERKSD_lbbbEUlllE1_EE10hipError_tPvRmT2_T3_mT4_P12ihipStream_tbEUlT_E_NS1_11comp_targetILNS1_3genE5ELNS1_11target_archE942ELNS1_3gpuE9ELNS1_3repE0EEENS1_30default_config_static_selectorELNS0_4arch9wavefront6targetE1EEEvT1_ ; -- Begin function _ZN7rocprim17ROCPRIM_400000_NS6detail17trampoline_kernelINS0_14default_configENS1_35adjacent_difference_config_selectorILb0ElEEZNS1_24adjacent_difference_implIS3_Lb0ELb0EPlS7_ZN2at6native12_GLOBAL__N_124unique_dim_cuda_templateIfEESt5tupleIJNS8_6TensorESD_SD_EERKSD_lbbbEUlllE1_EE10hipError_tPvRmT2_T3_mT4_P12ihipStream_tbEUlT_E_NS1_11comp_targetILNS1_3genE5ELNS1_11target_archE942ELNS1_3gpuE9ELNS1_3repE0EEENS1_30default_config_static_selectorELNS0_4arch9wavefront6targetE1EEEvT1_
	.p2align	8
	.type	_ZN7rocprim17ROCPRIM_400000_NS6detail17trampoline_kernelINS0_14default_configENS1_35adjacent_difference_config_selectorILb0ElEEZNS1_24adjacent_difference_implIS3_Lb0ELb0EPlS7_ZN2at6native12_GLOBAL__N_124unique_dim_cuda_templateIfEESt5tupleIJNS8_6TensorESD_SD_EERKSD_lbbbEUlllE1_EE10hipError_tPvRmT2_T3_mT4_P12ihipStream_tbEUlT_E_NS1_11comp_targetILNS1_3genE5ELNS1_11target_archE942ELNS1_3gpuE9ELNS1_3repE0EEENS1_30default_config_static_selectorELNS0_4arch9wavefront6targetE1EEEvT1_,@function
_ZN7rocprim17ROCPRIM_400000_NS6detail17trampoline_kernelINS0_14default_configENS1_35adjacent_difference_config_selectorILb0ElEEZNS1_24adjacent_difference_implIS3_Lb0ELb0EPlS7_ZN2at6native12_GLOBAL__N_124unique_dim_cuda_templateIfEESt5tupleIJNS8_6TensorESD_SD_EERKSD_lbbbEUlllE1_EE10hipError_tPvRmT2_T3_mT4_P12ihipStream_tbEUlT_E_NS1_11comp_targetILNS1_3genE5ELNS1_11target_archE942ELNS1_3gpuE9ELNS1_3repE0EEENS1_30default_config_static_selectorELNS0_4arch9wavefront6targetE1EEEvT1_: ; @_ZN7rocprim17ROCPRIM_400000_NS6detail17trampoline_kernelINS0_14default_configENS1_35adjacent_difference_config_selectorILb0ElEEZNS1_24adjacent_difference_implIS3_Lb0ELb0EPlS7_ZN2at6native12_GLOBAL__N_124unique_dim_cuda_templateIfEESt5tupleIJNS8_6TensorESD_SD_EERKSD_lbbbEUlllE1_EE10hipError_tPvRmT2_T3_mT4_P12ihipStream_tbEUlT_E_NS1_11comp_targetILNS1_3genE5ELNS1_11target_archE942ELNS1_3gpuE9ELNS1_3repE0EEENS1_30default_config_static_selectorELNS0_4arch9wavefront6targetE1EEEvT1_
; %bb.0:
	.section	.rodata,"a",@progbits
	.p2align	6, 0x0
	.amdhsa_kernel _ZN7rocprim17ROCPRIM_400000_NS6detail17trampoline_kernelINS0_14default_configENS1_35adjacent_difference_config_selectorILb0ElEEZNS1_24adjacent_difference_implIS3_Lb0ELb0EPlS7_ZN2at6native12_GLOBAL__N_124unique_dim_cuda_templateIfEESt5tupleIJNS8_6TensorESD_SD_EERKSD_lbbbEUlllE1_EE10hipError_tPvRmT2_T3_mT4_P12ihipStream_tbEUlT_E_NS1_11comp_targetILNS1_3genE5ELNS1_11target_archE942ELNS1_3gpuE9ELNS1_3repE0EEENS1_30default_config_static_selectorELNS0_4arch9wavefront6targetE1EEEvT1_
		.amdhsa_group_segment_fixed_size 0
		.amdhsa_private_segment_fixed_size 0
		.amdhsa_kernarg_size 64
		.amdhsa_user_sgpr_count 6
		.amdhsa_user_sgpr_private_segment_buffer 1
		.amdhsa_user_sgpr_dispatch_ptr 0
		.amdhsa_user_sgpr_queue_ptr 0
		.amdhsa_user_sgpr_kernarg_segment_ptr 1
		.amdhsa_user_sgpr_dispatch_id 0
		.amdhsa_user_sgpr_flat_scratch_init 0
		.amdhsa_user_sgpr_kernarg_preload_length 0
		.amdhsa_user_sgpr_kernarg_preload_offset 0
		.amdhsa_user_sgpr_private_segment_size 0
		.amdhsa_uses_dynamic_stack 0
		.amdhsa_system_sgpr_private_segment_wavefront_offset 0
		.amdhsa_system_sgpr_workgroup_id_x 1
		.amdhsa_system_sgpr_workgroup_id_y 0
		.amdhsa_system_sgpr_workgroup_id_z 0
		.amdhsa_system_sgpr_workgroup_info 0
		.amdhsa_system_vgpr_workitem_id 0
		.amdhsa_next_free_vgpr 1
		.amdhsa_next_free_sgpr 0
		.amdhsa_accum_offset 4
		.amdhsa_reserve_vcc 0
		.amdhsa_reserve_flat_scratch 0
		.amdhsa_float_round_mode_32 0
		.amdhsa_float_round_mode_16_64 0
		.amdhsa_float_denorm_mode_32 3
		.amdhsa_float_denorm_mode_16_64 3
		.amdhsa_dx10_clamp 1
		.amdhsa_ieee_mode 1
		.amdhsa_fp16_overflow 0
		.amdhsa_tg_split 0
		.amdhsa_exception_fp_ieee_invalid_op 0
		.amdhsa_exception_fp_denorm_src 0
		.amdhsa_exception_fp_ieee_div_zero 0
		.amdhsa_exception_fp_ieee_overflow 0
		.amdhsa_exception_fp_ieee_underflow 0
		.amdhsa_exception_fp_ieee_inexact 0
		.amdhsa_exception_int_div_zero 0
	.end_amdhsa_kernel
	.section	.text._ZN7rocprim17ROCPRIM_400000_NS6detail17trampoline_kernelINS0_14default_configENS1_35adjacent_difference_config_selectorILb0ElEEZNS1_24adjacent_difference_implIS3_Lb0ELb0EPlS7_ZN2at6native12_GLOBAL__N_124unique_dim_cuda_templateIfEESt5tupleIJNS8_6TensorESD_SD_EERKSD_lbbbEUlllE1_EE10hipError_tPvRmT2_T3_mT4_P12ihipStream_tbEUlT_E_NS1_11comp_targetILNS1_3genE5ELNS1_11target_archE942ELNS1_3gpuE9ELNS1_3repE0EEENS1_30default_config_static_selectorELNS0_4arch9wavefront6targetE1EEEvT1_,"axG",@progbits,_ZN7rocprim17ROCPRIM_400000_NS6detail17trampoline_kernelINS0_14default_configENS1_35adjacent_difference_config_selectorILb0ElEEZNS1_24adjacent_difference_implIS3_Lb0ELb0EPlS7_ZN2at6native12_GLOBAL__N_124unique_dim_cuda_templateIfEESt5tupleIJNS8_6TensorESD_SD_EERKSD_lbbbEUlllE1_EE10hipError_tPvRmT2_T3_mT4_P12ihipStream_tbEUlT_E_NS1_11comp_targetILNS1_3genE5ELNS1_11target_archE942ELNS1_3gpuE9ELNS1_3repE0EEENS1_30default_config_static_selectorELNS0_4arch9wavefront6targetE1EEEvT1_,comdat
.Lfunc_end906:
	.size	_ZN7rocprim17ROCPRIM_400000_NS6detail17trampoline_kernelINS0_14default_configENS1_35adjacent_difference_config_selectorILb0ElEEZNS1_24adjacent_difference_implIS3_Lb0ELb0EPlS7_ZN2at6native12_GLOBAL__N_124unique_dim_cuda_templateIfEESt5tupleIJNS8_6TensorESD_SD_EERKSD_lbbbEUlllE1_EE10hipError_tPvRmT2_T3_mT4_P12ihipStream_tbEUlT_E_NS1_11comp_targetILNS1_3genE5ELNS1_11target_archE942ELNS1_3gpuE9ELNS1_3repE0EEENS1_30default_config_static_selectorELNS0_4arch9wavefront6targetE1EEEvT1_, .Lfunc_end906-_ZN7rocprim17ROCPRIM_400000_NS6detail17trampoline_kernelINS0_14default_configENS1_35adjacent_difference_config_selectorILb0ElEEZNS1_24adjacent_difference_implIS3_Lb0ELb0EPlS7_ZN2at6native12_GLOBAL__N_124unique_dim_cuda_templateIfEESt5tupleIJNS8_6TensorESD_SD_EERKSD_lbbbEUlllE1_EE10hipError_tPvRmT2_T3_mT4_P12ihipStream_tbEUlT_E_NS1_11comp_targetILNS1_3genE5ELNS1_11target_archE942ELNS1_3gpuE9ELNS1_3repE0EEENS1_30default_config_static_selectorELNS0_4arch9wavefront6targetE1EEEvT1_
                                        ; -- End function
	.section	.AMDGPU.csdata,"",@progbits
; Kernel info:
; codeLenInByte = 0
; NumSgprs: 4
; NumVgprs: 0
; NumAgprs: 0
; TotalNumVgprs: 0
; ScratchSize: 0
; MemoryBound: 0
; FloatMode: 240
; IeeeMode: 1
; LDSByteSize: 0 bytes/workgroup (compile time only)
; SGPRBlocks: 0
; VGPRBlocks: 0
; NumSGPRsForWavesPerEU: 4
; NumVGPRsForWavesPerEU: 1
; AccumOffset: 4
; Occupancy: 8
; WaveLimiterHint : 0
; COMPUTE_PGM_RSRC2:SCRATCH_EN: 0
; COMPUTE_PGM_RSRC2:USER_SGPR: 6
; COMPUTE_PGM_RSRC2:TRAP_HANDLER: 0
; COMPUTE_PGM_RSRC2:TGID_X_EN: 1
; COMPUTE_PGM_RSRC2:TGID_Y_EN: 0
; COMPUTE_PGM_RSRC2:TGID_Z_EN: 0
; COMPUTE_PGM_RSRC2:TIDIG_COMP_CNT: 0
; COMPUTE_PGM_RSRC3_GFX90A:ACCUM_OFFSET: 0
; COMPUTE_PGM_RSRC3_GFX90A:TG_SPLIT: 0
	.section	.text._ZN7rocprim17ROCPRIM_400000_NS6detail17trampoline_kernelINS0_14default_configENS1_35adjacent_difference_config_selectorILb0ElEEZNS1_24adjacent_difference_implIS3_Lb0ELb0EPlS7_ZN2at6native12_GLOBAL__N_124unique_dim_cuda_templateIfEESt5tupleIJNS8_6TensorESD_SD_EERKSD_lbbbEUlllE1_EE10hipError_tPvRmT2_T3_mT4_P12ihipStream_tbEUlT_E_NS1_11comp_targetILNS1_3genE4ELNS1_11target_archE910ELNS1_3gpuE8ELNS1_3repE0EEENS1_30default_config_static_selectorELNS0_4arch9wavefront6targetE1EEEvT1_,"axG",@progbits,_ZN7rocprim17ROCPRIM_400000_NS6detail17trampoline_kernelINS0_14default_configENS1_35adjacent_difference_config_selectorILb0ElEEZNS1_24adjacent_difference_implIS3_Lb0ELb0EPlS7_ZN2at6native12_GLOBAL__N_124unique_dim_cuda_templateIfEESt5tupleIJNS8_6TensorESD_SD_EERKSD_lbbbEUlllE1_EE10hipError_tPvRmT2_T3_mT4_P12ihipStream_tbEUlT_E_NS1_11comp_targetILNS1_3genE4ELNS1_11target_archE910ELNS1_3gpuE8ELNS1_3repE0EEENS1_30default_config_static_selectorELNS0_4arch9wavefront6targetE1EEEvT1_,comdat
	.globl	_ZN7rocprim17ROCPRIM_400000_NS6detail17trampoline_kernelINS0_14default_configENS1_35adjacent_difference_config_selectorILb0ElEEZNS1_24adjacent_difference_implIS3_Lb0ELb0EPlS7_ZN2at6native12_GLOBAL__N_124unique_dim_cuda_templateIfEESt5tupleIJNS8_6TensorESD_SD_EERKSD_lbbbEUlllE1_EE10hipError_tPvRmT2_T3_mT4_P12ihipStream_tbEUlT_E_NS1_11comp_targetILNS1_3genE4ELNS1_11target_archE910ELNS1_3gpuE8ELNS1_3repE0EEENS1_30default_config_static_selectorELNS0_4arch9wavefront6targetE1EEEvT1_ ; -- Begin function _ZN7rocprim17ROCPRIM_400000_NS6detail17trampoline_kernelINS0_14default_configENS1_35adjacent_difference_config_selectorILb0ElEEZNS1_24adjacent_difference_implIS3_Lb0ELb0EPlS7_ZN2at6native12_GLOBAL__N_124unique_dim_cuda_templateIfEESt5tupleIJNS8_6TensorESD_SD_EERKSD_lbbbEUlllE1_EE10hipError_tPvRmT2_T3_mT4_P12ihipStream_tbEUlT_E_NS1_11comp_targetILNS1_3genE4ELNS1_11target_archE910ELNS1_3gpuE8ELNS1_3repE0EEENS1_30default_config_static_selectorELNS0_4arch9wavefront6targetE1EEEvT1_
	.p2align	8
	.type	_ZN7rocprim17ROCPRIM_400000_NS6detail17trampoline_kernelINS0_14default_configENS1_35adjacent_difference_config_selectorILb0ElEEZNS1_24adjacent_difference_implIS3_Lb0ELb0EPlS7_ZN2at6native12_GLOBAL__N_124unique_dim_cuda_templateIfEESt5tupleIJNS8_6TensorESD_SD_EERKSD_lbbbEUlllE1_EE10hipError_tPvRmT2_T3_mT4_P12ihipStream_tbEUlT_E_NS1_11comp_targetILNS1_3genE4ELNS1_11target_archE910ELNS1_3gpuE8ELNS1_3repE0EEENS1_30default_config_static_selectorELNS0_4arch9wavefront6targetE1EEEvT1_,@function
_ZN7rocprim17ROCPRIM_400000_NS6detail17trampoline_kernelINS0_14default_configENS1_35adjacent_difference_config_selectorILb0ElEEZNS1_24adjacent_difference_implIS3_Lb0ELb0EPlS7_ZN2at6native12_GLOBAL__N_124unique_dim_cuda_templateIfEESt5tupleIJNS8_6TensorESD_SD_EERKSD_lbbbEUlllE1_EE10hipError_tPvRmT2_T3_mT4_P12ihipStream_tbEUlT_E_NS1_11comp_targetILNS1_3genE4ELNS1_11target_archE910ELNS1_3gpuE8ELNS1_3repE0EEENS1_30default_config_static_selectorELNS0_4arch9wavefront6targetE1EEEvT1_: ; @_ZN7rocprim17ROCPRIM_400000_NS6detail17trampoline_kernelINS0_14default_configENS1_35adjacent_difference_config_selectorILb0ElEEZNS1_24adjacent_difference_implIS3_Lb0ELb0EPlS7_ZN2at6native12_GLOBAL__N_124unique_dim_cuda_templateIfEESt5tupleIJNS8_6TensorESD_SD_EERKSD_lbbbEUlllE1_EE10hipError_tPvRmT2_T3_mT4_P12ihipStream_tbEUlT_E_NS1_11comp_targetILNS1_3genE4ELNS1_11target_archE910ELNS1_3gpuE8ELNS1_3repE0EEENS1_30default_config_static_selectorELNS0_4arch9wavefront6targetE1EEEvT1_
; %bb.0:
	s_load_dwordx8 s[8:15], s[4:5], 0x0
	s_load_dwordx4 s[16:19], s[4:5], 0x20
	s_load_dwordx2 s[0:1], s[4:5], 0x38
	s_waitcnt lgkmcnt(0)
	s_lshl_b64 s[10:11], s[10:11], 3
	s_add_u32 s24, s8, s10
	s_addc_u32 s25, s9, s11
	s_mov_b32 s9, 0
	s_lshl_b32 s8, s6, 9
	s_lshr_b64 s[2:3], s[14:15], 9
	s_and_b32 s4, s14, 0x1ff
	s_mov_b32 s5, s9
	s_cmp_lg_u64 s[4:5], 0
	s_cselect_b64 s[4:5], -1, 0
	v_cndmask_b32_e64 v1, 0, 1, s[4:5]
	v_readfirstlane_b32 s4, v1
	s_add_u32 s22, s2, s4
	s_addc_u32 s23, s3, 0
	s_add_u32 s26, s0, s6
	s_addc_u32 s27, s1, 0
	s_add_u32 s6, s22, -1
	s_addc_u32 s7, s23, -1
	v_pk_mov_b32 v[2:3], s[6:7], s[6:7] op_sel:[0,1]
	v_cmp_ge_u64_e64 s[0:1], s[26:27], v[2:3]
	s_mov_b64 s[2:3], -1
	s_and_b64 vcc, exec, s[0:1]
	s_cbranch_vccz .LBB907_6
; %bb.1:
	s_lshl_b32 s2, s6, 9
	s_sub_i32 s15, s14, s2
	s_lshl_b64 s[2:3], s[8:9], 3
	s_add_u32 s2, s24, s2
	s_addc_u32 s3, s25, s3
	v_cmp_gt_u32_e32 vcc, s15, v0
                                        ; implicit-def: $vgpr2_vgpr3_vgpr4_vgpr5
	s_and_saveexec_b64 s[4:5], vcc
	s_cbranch_execz .LBB907_3
; %bb.2:
	v_lshlrev_b32_e32 v1, 3, v0
	global_load_dwordx2 v[2:3], v1, s[2:3]
.LBB907_3:
	s_or_b64 exec, exec, s[4:5]
	v_or_b32_e32 v1, 0x100, v0
	v_cmp_gt_u32_e32 vcc, s15, v1
	s_and_saveexec_b64 s[4:5], vcc
	s_cbranch_execz .LBB907_5
; %bb.4:
	v_lshlrev_b32_e32 v4, 3, v0
	global_load_dwordx2 v[4:5], v4, s[2:3] offset:2048
.LBB907_5:
	s_or_b64 exec, exec, s[4:5]
	v_lshrrev_b32_e32 v6, 2, v0
	v_lshrrev_b32_e32 v1, 2, v1
	v_and_b32_e32 v6, 56, v6
	v_lshlrev_b32_e32 v7, 3, v0
	v_and_b32_e32 v1, 0x78, v1
	v_add_u32_e32 v6, v6, v7
	v_add_u32_e32 v1, v1, v7
	s_mov_b64 s[2:3], 0
	s_waitcnt vmcnt(0)
	ds_write_b64 v6, v[2:3]
	ds_write_b64 v1, v[4:5] offset:2048
	s_waitcnt lgkmcnt(0)
	s_barrier
.LBB907_6:
	s_and_b64 vcc, exec, s[2:3]
	v_lshlrev_b32_e32 v1, 3, v0
	s_cbranch_vccz .LBB907_8
; %bb.7:
	s_lshl_b64 s[2:3], s[8:9], 3
	s_add_u32 s2, s24, s2
	s_addc_u32 s3, s25, s3
	global_load_dwordx2 v[2:3], v1, s[2:3]
	global_load_dwordx2 v[4:5], v1, s[2:3] offset:2048
	v_lshrrev_b32_e32 v6, 2, v0
	v_or_b32_e32 v7, 0x100, v0
	v_and_b32_e32 v6, 56, v6
	v_lshrrev_b32_e32 v7, 2, v7
	v_add_u32_e32 v6, v6, v1
	v_and_b32_e32 v7, 0x78, v7
	v_add_u32_e32 v7, v7, v1
	s_waitcnt vmcnt(1)
	ds_write_b64 v6, v[2:3]
	s_waitcnt vmcnt(0)
	ds_write_b64 v7, v[4:5] offset:2048
	s_waitcnt lgkmcnt(0)
	s_barrier
.LBB907_8:
	v_lshlrev_b32_e32 v2, 1, v0
	v_lshrrev_b32_e32 v3, 4, v0
	v_add_lshl_u32 v2, v3, v2, 3
	ds_read2_b64 v[2:5], v2 offset1:1
	s_cmp_eq_u64 s[26:27], 0
	s_mov_b64 s[20:21], 0
	s_waitcnt lgkmcnt(0)
	s_barrier
	s_cbranch_scc1 .LBB907_17
; %bb.9:
	s_lshl_b64 s[2:3], s[8:9], 3
	s_add_u32 s2, s24, s2
	s_addc_u32 s3, s25, s3
	s_add_u32 s2, s2, -8
	s_addc_u32 s3, s3, -1
	s_load_dwordx2 s[24:25], s[2:3], 0x0
	s_cmp_lg_u64 s[26:27], s[6:7]
	s_cbranch_scc0 .LBB907_18
; %bb.10:
	v_cmp_lt_i64_e64 s[2:3], s[16:17], 1
	v_pk_mov_b32 v[8:9], 0, 0
	v_cmp_gt_i64_e64 s[20:21], s[16:17], 0
	s_and_b64 vcc, exec, s[2:3]
	ds_write_b64 v1, v[4:5]
	s_cbranch_vccnz .LBB907_21
; %bb.11:
	v_mul_lo_u32 v8, v5, s16
	v_mul_lo_u32 v9, v4, s17
	v_mad_u64_u32 v[6:7], s[2:3], v4, s16, 0
	v_add3_u32 v7, v7, v9, v8
	v_mul_lo_u32 v10, v3, s16
	v_mul_lo_u32 v11, v2, s17
	v_mad_u64_u32 v[8:9], s[2:3], v2, s16, 0
	v_add3_u32 v9, v9, v11, v10
	v_lshlrev_b64 v[10:11], 2, v[6:7]
	v_mov_b32_e32 v6, s19
	v_add_co_u32_e32 v12, vcc, s18, v10
	v_addc_co_u32_e64 v13, s[2:3], v6, v11, vcc
	v_lshlrev_b64 v[6:7], 2, v[8:9]
	v_mov_b32_e32 v8, s19
	v_add_co_u32_e64 v14, s[2:3], s18, v6
	v_addc_co_u32_e64 v15, s[4:5], v8, v7, s[2:3]
	global_load_dword v6, v[12:13], off
	global_load_dword v8, v[14:15], off
	s_waitcnt vmcnt(0)
	v_cmp_eq_f32_e64 s[4:5], v6, v8
	v_mov_b32_e32 v8, 1
	v_mov_b32_e32 v9, 0
	s_and_saveexec_b64 s[28:29], s[4:5]
	s_cbranch_execz .LBB907_20
; %bb.12:
	v_mov_b32_e32 v6, s19
	v_addc_co_u32_e64 v7, s[2:3], v7, v6, s[2:3]
	v_add_co_u32_e64 v6, s[2:3], 4, v14
	v_mov_b32_e32 v8, s19
	v_addc_co_u32_e64 v7, s[2:3], 0, v7, s[2:3]
	v_addc_co_u32_e32 v9, vcc, v11, v8, vcc
	v_add_co_u32_e32 v8, vcc, 4, v12
	s_add_u32 s2, s16, -1
	v_addc_co_u32_e32 v9, vcc, 0, v9, vcc
	s_addc_u32 s3, s17, -1
	s_mov_b64 s[4:5], 0
	s_mov_b64 s[34:35], 0
                                        ; implicit-def: $sgpr30_sgpr31
	s_branch .LBB907_15
.LBB907_13:                             ;   in Loop: Header=BB907_15 Depth=1
	global_load_dword v10, v[8:9], off
	global_load_dword v11, v[6:7], off
	v_add_co_u32_e32 v6, vcc, 4, v6
	v_addc_co_u32_e32 v7, vcc, 0, v7, vcc
	v_add_co_u32_e32 v8, vcc, 4, v8
	v_addc_co_u32_e32 v9, vcc, 0, v9, vcc
	s_add_u32 s34, s34, 1
	s_addc_u32 s35, s35, 0
	s_andn2_b64 s[30:31], s[30:31], exec
	s_waitcnt vmcnt(0)
	v_cmp_neq_f32_e32 vcc, v10, v11
	s_and_b64 s[36:37], vcc, exec
	s_or_b64 s[30:31], s[30:31], s[36:37]
.LBB907_14:                             ;   in Loop: Header=BB907_15 Depth=1
	s_and_b64 s[36:37], exec, s[30:31]
	s_or_b64 s[4:5], s[36:37], s[4:5]
	v_pk_mov_b32 v[10:11], s[34:35], s[34:35] op_sel:[0,1]
	s_andn2_b64 exec, exec, s[4:5]
	s_cbranch_execz .LBB907_19
.LBB907_15:                             ; =>This Inner Loop Header: Depth=1
	s_or_b64 s[30:31], s[30:31], exec
	s_cmp_eq_u64 s[2:3], s[34:35]
	s_cbranch_scc0 .LBB907_13
; %bb.16:                               ;   in Loop: Header=BB907_15 Depth=1
                                        ; implicit-def: $vgpr6_vgpr7
                                        ; implicit-def: $vgpr8_vgpr9
	s_mov_b64 s[34:35], s[16:17]
	s_branch .LBB907_14
.LBB907_17:
                                        ; implicit-def: $sgpr28_sgpr29
                                        ; implicit-def: $vgpr8_vgpr9
	s_cbranch_execnz .LBB907_60
	s_branch .LBB907_108
.LBB907_18:
                                        ; implicit-def: $sgpr28_sgpr29
                                        ; implicit-def: $vgpr8_vgpr9
	s_cbranch_execnz .LBB907_33
	s_branch .LBB907_59
.LBB907_19:
	s_or_b64 exec, exec, s[4:5]
	v_cmp_gt_i64_e32 vcc, s[16:17], v[10:11]
	s_mov_b32 s2, 0
	v_cndmask_b32_e64 v8, 0, 1, vcc
	v_mov_b32_e32 v9, s2
.LBB907_20:
	s_or_b64 exec, exec, s[28:29]
.LBB907_21:
	v_cmp_ne_u32_e32 vcc, 0, v0
	s_waitcnt lgkmcnt(0)
	v_pk_mov_b32 v[6:7], s[24:25], s[24:25] op_sel:[0,1]
	s_barrier
	s_and_saveexec_b64 s[2:3], vcc
	s_cbranch_execz .LBB907_23
; %bb.22:
	v_add_u32_e32 v6, -8, v1
	ds_read_b64 v[6:7], v6
.LBB907_23:
	s_or_b64 exec, exec, s[2:3]
	s_mov_b64 s[30:31], 0
	s_andn2_b64 vcc, exec, s[20:21]
	s_mov_b64 s[28:29], 0
	s_cbranch_vccnz .LBB907_32
; %bb.24:
	v_mul_lo_u32 v12, v3, s16
	v_mul_lo_u32 v13, v2, s17
	v_mad_u64_u32 v[10:11], s[2:3], v2, s16, 0
	v_add3_u32 v11, v11, v13, v12
	s_waitcnt lgkmcnt(0)
	v_mul_lo_u32 v12, v7, s16
	v_mul_lo_u32 v13, v6, s17
	v_mad_u64_u32 v[6:7], s[2:3], v6, s16, 0
	v_lshlrev_b64 v[10:11], 2, v[10:11]
	v_add3_u32 v7, v7, v13, v12
	v_mov_b32_e32 v13, s19
	v_add_co_u32_e32 v12, vcc, s18, v10
	v_addc_co_u32_e64 v13, s[2:3], v13, v11, vcc
	v_lshlrev_b64 v[6:7], 2, v[6:7]
	v_mov_b32_e32 v10, s19
	v_add_co_u32_e64 v14, s[2:3], s18, v6
	v_addc_co_u32_e64 v15, s[4:5], v10, v7, s[2:3]
	global_load_dword v6, v[12:13], off
	global_load_dword v10, v[14:15], off
	s_mov_b64 s[28:29], -1
	s_waitcnt vmcnt(0)
	v_cmp_eq_f32_e64 s[4:5], v6, v10
	s_and_saveexec_b64 s[20:21], s[4:5]
	s_cbranch_execz .LBB907_31
; %bb.25:
	v_mov_b32_e32 v6, s19
	v_addc_co_u32_e64 v7, s[2:3], v7, v6, s[2:3]
	v_add_co_u32_e64 v6, s[2:3], 4, v14
	v_mov_b32_e32 v10, s19
	v_addc_co_u32_e64 v7, s[2:3], 0, v7, s[2:3]
	v_addc_co_u32_e32 v11, vcc, v11, v10, vcc
	v_add_co_u32_e32 v10, vcc, 4, v12
	s_add_u32 s2, s16, -1
	v_addc_co_u32_e32 v11, vcc, 0, v11, vcc
	s_addc_u32 s3, s17, -1
	s_mov_b64 s[4:5], 0
	s_mov_b64 s[34:35], 0
                                        ; implicit-def: $sgpr28_sgpr29
	s_branch .LBB907_28
.LBB907_26:                             ;   in Loop: Header=BB907_28 Depth=1
	global_load_dword v12, v[10:11], off
	global_load_dword v13, v[6:7], off
	v_add_co_u32_e32 v6, vcc, 4, v6
	v_addc_co_u32_e32 v7, vcc, 0, v7, vcc
	v_add_co_u32_e32 v10, vcc, 4, v10
	v_addc_co_u32_e32 v11, vcc, 0, v11, vcc
	s_add_u32 s34, s34, 1
	s_addc_u32 s35, s35, 0
	s_andn2_b64 s[28:29], s[28:29], exec
	s_waitcnt vmcnt(0)
	v_cmp_neq_f32_e32 vcc, v12, v13
	s_and_b64 s[36:37], vcc, exec
	s_or_b64 s[28:29], s[28:29], s[36:37]
.LBB907_27:                             ;   in Loop: Header=BB907_28 Depth=1
	s_and_b64 s[36:37], exec, s[28:29]
	s_or_b64 s[4:5], s[36:37], s[4:5]
	v_pk_mov_b32 v[12:13], s[34:35], s[34:35] op_sel:[0,1]
	s_andn2_b64 exec, exec, s[4:5]
	s_cbranch_execz .LBB907_30
.LBB907_28:                             ; =>This Inner Loop Header: Depth=1
	s_or_b64 s[28:29], s[28:29], exec
	s_cmp_eq_u64 s[2:3], s[34:35]
	s_cbranch_scc0 .LBB907_26
; %bb.29:                               ;   in Loop: Header=BB907_28 Depth=1
                                        ; implicit-def: $vgpr6_vgpr7
                                        ; implicit-def: $vgpr10_vgpr11
	s_mov_b64 s[34:35], s[16:17]
	s_branch .LBB907_27
.LBB907_30:
	s_or_b64 exec, exec, s[4:5]
	v_cmp_gt_i64_e32 vcc, s[16:17], v[12:13]
	s_orn2_b64 s[28:29], vcc, exec
.LBB907_31:
	s_or_b64 exec, exec, s[20:21]
.LBB907_32:
	s_mov_b64 s[20:21], -1
	s_and_b64 vcc, exec, s[30:31]
	s_cbranch_vccz .LBB907_59
.LBB907_33:
	s_lshl_b32 s2, s26, 9
	v_lshlrev_b32_e32 v16, 1, v0
	s_sub_i32 s7, s14, s2
	s_waitcnt lgkmcnt(0)
	v_or_b32_e32 v6, 1, v16
	v_cmp_gt_u32_e32 vcc, s7, v6
	v_pk_mov_b32 v[8:9], v[4:5], v[4:5] op_sel:[0,1]
	ds_write_b64 v1, v[4:5]
	v_pk_mov_b32 v[6:7], v[2:3], v[2:3] op_sel:[0,1]
	s_and_saveexec_b64 s[26:27], vcc
	s_cbranch_execz .LBB907_44
; %bb.34:
	v_cmp_lt_i64_e64 s[2:3], s[16:17], 1
	s_and_b64 vcc, exec, s[2:3]
	s_cbranch_vccnz .LBB907_41
; %bb.35:
	v_mul_lo_u32 v8, v5, s16
	v_mul_lo_u32 v9, v4, s17
	v_mad_u64_u32 v[6:7], s[2:3], v4, s16, 0
	v_add3_u32 v7, v7, v9, v8
	v_mul_lo_u32 v10, v3, s16
	v_mul_lo_u32 v11, v2, s17
	v_mad_u64_u32 v[8:9], s[2:3], v2, s16, 0
	v_add3_u32 v9, v9, v11, v10
	v_lshlrev_b64 v[10:11], 2, v[6:7]
	v_mov_b32_e32 v6, s19
	v_add_co_u32_e32 v12, vcc, s18, v10
	v_addc_co_u32_e64 v13, s[2:3], v6, v11, vcc
	v_lshlrev_b64 v[6:7], 2, v[8:9]
	v_mov_b32_e32 v8, s19
	v_add_co_u32_e64 v14, s[2:3], s18, v6
	v_addc_co_u32_e64 v15, s[4:5], v8, v7, s[2:3]
	global_load_dword v6, v[12:13], off
	global_load_dword v8, v[14:15], off
	s_waitcnt vmcnt(0)
	v_cmp_eq_f32_e64 s[4:5], v6, v8
	v_mov_b32_e32 v8, 1
	v_mov_b32_e32 v9, 0
	s_and_saveexec_b64 s[28:29], s[4:5]
	s_cbranch_execz .LBB907_43
; %bb.36:
	v_mov_b32_e32 v6, s19
	v_addc_co_u32_e64 v7, s[2:3], v7, v6, s[2:3]
	v_add_co_u32_e64 v6, s[2:3], 4, v14
	v_mov_b32_e32 v8, s19
	v_addc_co_u32_e64 v7, s[2:3], 0, v7, s[2:3]
	v_addc_co_u32_e32 v9, vcc, v11, v8, vcc
	v_add_co_u32_e32 v8, vcc, 4, v12
	s_add_u32 s2, s16, -1
	v_addc_co_u32_e32 v9, vcc, 0, v9, vcc
	s_addc_u32 s3, s17, -1
	s_mov_b64 s[4:5], 0
	s_mov_b64 s[34:35], 0
                                        ; implicit-def: $sgpr30_sgpr31
	s_branch .LBB907_39
.LBB907_37:                             ;   in Loop: Header=BB907_39 Depth=1
	global_load_dword v10, v[8:9], off
	global_load_dword v11, v[6:7], off
	v_add_co_u32_e32 v6, vcc, 4, v6
	v_addc_co_u32_e32 v7, vcc, 0, v7, vcc
	v_add_co_u32_e32 v8, vcc, 4, v8
	v_addc_co_u32_e32 v9, vcc, 0, v9, vcc
	s_add_u32 s34, s34, 1
	s_addc_u32 s35, s35, 0
	s_andn2_b64 s[30:31], s[30:31], exec
	s_waitcnt vmcnt(0)
	v_cmp_neq_f32_e32 vcc, v10, v11
	s_and_b64 s[36:37], vcc, exec
	s_or_b64 s[30:31], s[30:31], s[36:37]
.LBB907_38:                             ;   in Loop: Header=BB907_39 Depth=1
	s_and_b64 s[36:37], exec, s[30:31]
	s_or_b64 s[4:5], s[36:37], s[4:5]
	v_pk_mov_b32 v[10:11], s[34:35], s[34:35] op_sel:[0,1]
	s_andn2_b64 exec, exec, s[4:5]
	s_cbranch_execz .LBB907_42
.LBB907_39:                             ; =>This Inner Loop Header: Depth=1
	s_or_b64 s[30:31], s[30:31], exec
	s_cmp_eq_u64 s[2:3], s[34:35]
	s_cbranch_scc0 .LBB907_37
; %bb.40:                               ;   in Loop: Header=BB907_39 Depth=1
                                        ; implicit-def: $vgpr6_vgpr7
                                        ; implicit-def: $vgpr8_vgpr9
	s_mov_b64 s[34:35], s[16:17]
	s_branch .LBB907_38
.LBB907_41:
	v_pk_mov_b32 v[8:9], 0, 0
	s_branch .LBB907_44
.LBB907_42:
	s_or_b64 exec, exec, s[4:5]
	v_cmp_gt_i64_e32 vcc, s[16:17], v[10:11]
	s_mov_b32 s2, 0
	v_cndmask_b32_e64 v8, 0, 1, vcc
	v_mov_b32_e32 v9, s2
.LBB907_43:
	s_or_b64 exec, exec, s[28:29]
.LBB907_44:
	s_or_b64 exec, exec, s[26:27]
	v_cmp_ne_u32_e32 vcc, 0, v0
	v_pk_mov_b32 v[6:7], s[24:25], s[24:25] op_sel:[0,1]
	s_waitcnt lgkmcnt(0)
	s_barrier
	s_and_saveexec_b64 s[2:3], vcc
	s_cbranch_execz .LBB907_46
; %bb.45:
	v_add_u32_e32 v6, -8, v1
	ds_read_b64 v[6:7], v6
.LBB907_46:
	s_or_b64 exec, exec, s[2:3]
	v_cmp_gt_u32_e32 vcc, s7, v16
                                        ; implicit-def: $sgpr28_sgpr29
	s_and_saveexec_b64 s[24:25], vcc
	s_cbranch_execz .LBB907_58
; %bb.47:
	v_cmp_lt_i64_e64 s[2:3], s[16:17], 1
	s_and_b64 vcc, exec, s[2:3]
	s_cbranch_vccnz .LBB907_54
; %bb.48:
	v_mul_lo_u32 v12, v3, s16
	v_mul_lo_u32 v13, v2, s17
	v_mad_u64_u32 v[10:11], s[2:3], v2, s16, 0
	v_add3_u32 v11, v11, v13, v12
	s_waitcnt lgkmcnt(0)
	v_mul_lo_u32 v12, v7, s16
	v_mul_lo_u32 v13, v6, s17
	v_mad_u64_u32 v[6:7], s[2:3], v6, s16, 0
	v_lshlrev_b64 v[10:11], 2, v[10:11]
	v_add3_u32 v7, v7, v13, v12
	v_mov_b32_e32 v13, s19
	v_add_co_u32_e32 v12, vcc, s18, v10
	v_addc_co_u32_e64 v13, s[2:3], v13, v11, vcc
	v_lshlrev_b64 v[6:7], 2, v[6:7]
	v_mov_b32_e32 v10, s19
	v_add_co_u32_e64 v14, s[2:3], s18, v6
	v_addc_co_u32_e64 v15, s[4:5], v10, v7, s[2:3]
	global_load_dword v6, v[12:13], off
	global_load_dword v10, v[14:15], off
	s_mov_b64 s[28:29], -1
	s_waitcnt vmcnt(0)
	v_cmp_eq_f32_e64 s[4:5], v6, v10
	s_and_saveexec_b64 s[26:27], s[4:5]
	s_cbranch_execz .LBB907_56
; %bb.49:
	v_mov_b32_e32 v6, s19
	v_addc_co_u32_e64 v7, s[2:3], v7, v6, s[2:3]
	v_add_co_u32_e64 v6, s[2:3], 4, v14
	v_mov_b32_e32 v10, s19
	v_addc_co_u32_e64 v7, s[2:3], 0, v7, s[2:3]
	v_addc_co_u32_e32 v11, vcc, v11, v10, vcc
	v_add_co_u32_e32 v10, vcc, 4, v12
	s_add_u32 s2, s16, -1
	v_addc_co_u32_e32 v11, vcc, 0, v11, vcc
	s_addc_u32 s3, s17, -1
	s_mov_b64 s[4:5], 0
	s_mov_b64 s[30:31], 0
                                        ; implicit-def: $sgpr28_sgpr29
	s_branch .LBB907_52
.LBB907_50:                             ;   in Loop: Header=BB907_52 Depth=1
	global_load_dword v12, v[10:11], off
	global_load_dword v13, v[6:7], off
	v_add_co_u32_e32 v6, vcc, 4, v6
	v_addc_co_u32_e32 v7, vcc, 0, v7, vcc
	v_add_co_u32_e32 v10, vcc, 4, v10
	v_addc_co_u32_e32 v11, vcc, 0, v11, vcc
	s_add_u32 s30, s30, 1
	s_addc_u32 s31, s31, 0
	s_andn2_b64 s[28:29], s[28:29], exec
	s_waitcnt vmcnt(0)
	v_cmp_neq_f32_e32 vcc, v12, v13
	s_and_b64 s[34:35], vcc, exec
	s_or_b64 s[28:29], s[28:29], s[34:35]
.LBB907_51:                             ;   in Loop: Header=BB907_52 Depth=1
	s_and_b64 s[34:35], exec, s[28:29]
	s_or_b64 s[4:5], s[34:35], s[4:5]
	v_pk_mov_b32 v[12:13], s[30:31], s[30:31] op_sel:[0,1]
	s_andn2_b64 exec, exec, s[4:5]
	s_cbranch_execz .LBB907_55
.LBB907_52:                             ; =>This Inner Loop Header: Depth=1
	s_or_b64 s[28:29], s[28:29], exec
	s_cmp_eq_u64 s[2:3], s[30:31]
	s_cbranch_scc0 .LBB907_50
; %bb.53:                               ;   in Loop: Header=BB907_52 Depth=1
                                        ; implicit-def: $vgpr6_vgpr7
                                        ; implicit-def: $vgpr10_vgpr11
	s_mov_b64 s[30:31], s[16:17]
	s_branch .LBB907_51
.LBB907_54:
	s_mov_b64 s[28:29], 0
	s_branch .LBB907_57
.LBB907_55:
	s_or_b64 exec, exec, s[4:5]
	v_cmp_gt_i64_e32 vcc, s[16:17], v[12:13]
	s_orn2_b64 s[28:29], vcc, exec
.LBB907_56:
	s_or_b64 exec, exec, s[26:27]
.LBB907_57:
	s_and_b64 s[28:29], s[28:29], exec
	s_or_b64 s[20:21], s[20:21], exec
.LBB907_58:
	s_or_b64 exec, exec, s[24:25]
.LBB907_59:
	s_branch .LBB907_108
.LBB907_60:
	s_cmp_lg_u64 s[22:23], 1
	s_cbranch_scc0 .LBB907_68
; %bb.61:
	v_cmp_lt_i64_e64 s[2:3], s[16:17], 1
	v_pk_mov_b32 v[8:9], 0, 0
	s_waitcnt lgkmcnt(0)
	v_cmp_gt_i64_e64 s[24:25], s[16:17], 0
	s_and_b64 vcc, exec, s[2:3]
	ds_write_b64 v1, v[4:5]
	s_cbranch_vccnz .LBB907_71
; %bb.62:
	v_mul_lo_u32 v8, v5, s16
	v_mul_lo_u32 v9, v4, s17
	v_mad_u64_u32 v[6:7], s[2:3], v4, s16, 0
	v_add3_u32 v7, v7, v9, v8
	v_mul_lo_u32 v10, v3, s16
	v_mul_lo_u32 v11, v2, s17
	v_mad_u64_u32 v[8:9], s[2:3], v2, s16, 0
	v_add3_u32 v9, v9, v11, v10
	v_lshlrev_b64 v[10:11], 2, v[6:7]
	v_mov_b32_e32 v6, s19
	v_add_co_u32_e32 v12, vcc, s18, v10
	v_addc_co_u32_e64 v13, s[2:3], v6, v11, vcc
	v_lshlrev_b64 v[6:7], 2, v[8:9]
	v_mov_b32_e32 v8, s19
	v_add_co_u32_e64 v14, s[2:3], s18, v6
	v_addc_co_u32_e64 v15, s[4:5], v8, v7, s[2:3]
	global_load_dword v6, v[12:13], off
	global_load_dword v8, v[14:15], off
	s_waitcnt vmcnt(0)
	v_cmp_eq_f32_e64 s[4:5], v6, v8
	v_mov_b32_e32 v8, 1
	v_mov_b32_e32 v9, 0
	s_and_saveexec_b64 s[22:23], s[4:5]
	s_cbranch_execz .LBB907_70
; %bb.63:
	v_mov_b32_e32 v6, s19
	v_addc_co_u32_e64 v7, s[2:3], v7, v6, s[2:3]
	v_add_co_u32_e64 v6, s[2:3], 4, v14
	v_mov_b32_e32 v8, s19
	v_addc_co_u32_e64 v7, s[2:3], 0, v7, s[2:3]
	v_addc_co_u32_e32 v9, vcc, v11, v8, vcc
	v_add_co_u32_e32 v8, vcc, 4, v12
	s_add_u32 s2, s16, -1
	v_addc_co_u32_e32 v9, vcc, 0, v9, vcc
	s_addc_u32 s3, s17, -1
	s_mov_b64 s[4:5], 0
	s_mov_b64 s[28:29], 0
                                        ; implicit-def: $sgpr26_sgpr27
	s_branch .LBB907_66
.LBB907_64:                             ;   in Loop: Header=BB907_66 Depth=1
	global_load_dword v10, v[8:9], off
	global_load_dword v11, v[6:7], off
	v_add_co_u32_e32 v6, vcc, 4, v6
	v_addc_co_u32_e32 v7, vcc, 0, v7, vcc
	v_add_co_u32_e32 v8, vcc, 4, v8
	v_addc_co_u32_e32 v9, vcc, 0, v9, vcc
	s_add_u32 s28, s28, 1
	s_addc_u32 s29, s29, 0
	s_andn2_b64 s[26:27], s[26:27], exec
	s_waitcnt vmcnt(0)
	v_cmp_neq_f32_e32 vcc, v10, v11
	s_and_b64 s[30:31], vcc, exec
	s_or_b64 s[26:27], s[26:27], s[30:31]
.LBB907_65:                             ;   in Loop: Header=BB907_66 Depth=1
	s_and_b64 s[30:31], exec, s[26:27]
	s_or_b64 s[4:5], s[30:31], s[4:5]
	v_pk_mov_b32 v[10:11], s[28:29], s[28:29] op_sel:[0,1]
	s_andn2_b64 exec, exec, s[4:5]
	s_cbranch_execz .LBB907_69
.LBB907_66:                             ; =>This Inner Loop Header: Depth=1
	s_or_b64 s[26:27], s[26:27], exec
	s_cmp_eq_u64 s[2:3], s[28:29]
	s_cbranch_scc0 .LBB907_64
; %bb.67:                               ;   in Loop: Header=BB907_66 Depth=1
                                        ; implicit-def: $vgpr6_vgpr7
                                        ; implicit-def: $vgpr8_vgpr9
	s_mov_b64 s[28:29], s[16:17]
	s_branch .LBB907_65
.LBB907_68:
                                        ; implicit-def: $sgpr28_sgpr29
                                        ; implicit-def: $vgpr8_vgpr9
	s_cbranch_execnz .LBB907_84
	s_branch .LBB907_108
.LBB907_69:
	s_or_b64 exec, exec, s[4:5]
	v_cmp_gt_i64_e32 vcc, s[16:17], v[10:11]
	s_mov_b32 s2, 0
	v_cndmask_b32_e64 v8, 0, 1, vcc
	v_mov_b32_e32 v9, s2
.LBB907_70:
	s_or_b64 exec, exec, s[22:23]
.LBB907_71:
	v_cmp_ne_u32_e32 vcc, 0, v0
	s_waitcnt lgkmcnt(0)
	s_barrier
	s_waitcnt lgkmcnt(0)
                                        ; implicit-def: $sgpr28_sgpr29
	s_and_saveexec_b64 s[22:23], vcc
	s_cbranch_execz .LBB907_83
; %bb.72:
	s_andn2_b64 vcc, exec, s[24:25]
	s_cbranch_vccnz .LBB907_79
; %bb.73:
	v_add_u32_e32 v6, -8, v1
	ds_read_b64 v[6:7], v6
	v_mul_lo_u32 v12, v3, s16
	v_mul_lo_u32 v13, v2, s17
	v_mad_u64_u32 v[10:11], s[2:3], v2, s16, 0
	v_add3_u32 v11, v11, v13, v12
	s_waitcnt lgkmcnt(0)
	v_mul_lo_u32 v12, v7, s16
	v_mul_lo_u32 v13, v6, s17
	v_mad_u64_u32 v[6:7], s[2:3], v6, s16, 0
	v_lshlrev_b64 v[10:11], 2, v[10:11]
	v_add3_u32 v7, v7, v13, v12
	v_mov_b32_e32 v13, s19
	v_add_co_u32_e32 v12, vcc, s18, v10
	v_addc_co_u32_e64 v13, s[2:3], v13, v11, vcc
	v_lshlrev_b64 v[6:7], 2, v[6:7]
	v_mov_b32_e32 v10, s19
	v_add_co_u32_e64 v14, s[2:3], s18, v6
	v_addc_co_u32_e64 v15, s[4:5], v10, v7, s[2:3]
	global_load_dword v6, v[12:13], off
	global_load_dword v10, v[14:15], off
	s_mov_b64 s[26:27], -1
	s_waitcnt vmcnt(0)
	v_cmp_eq_f32_e64 s[4:5], v6, v10
	s_and_saveexec_b64 s[24:25], s[4:5]
	s_cbranch_execz .LBB907_81
; %bb.74:
	v_mov_b32_e32 v6, s19
	v_addc_co_u32_e64 v7, s[2:3], v7, v6, s[2:3]
	v_add_co_u32_e64 v6, s[2:3], 4, v14
	v_mov_b32_e32 v10, s19
	v_addc_co_u32_e64 v7, s[2:3], 0, v7, s[2:3]
	v_addc_co_u32_e32 v11, vcc, v11, v10, vcc
	v_add_co_u32_e32 v10, vcc, 4, v12
	s_add_u32 s2, s16, -1
	v_addc_co_u32_e32 v11, vcc, 0, v11, vcc
	s_addc_u32 s3, s17, -1
	s_mov_b64 s[4:5], 0
	s_mov_b64 s[28:29], 0
                                        ; implicit-def: $sgpr26_sgpr27
	s_branch .LBB907_77
.LBB907_75:                             ;   in Loop: Header=BB907_77 Depth=1
	global_load_dword v12, v[10:11], off
	global_load_dword v13, v[6:7], off
	v_add_co_u32_e32 v6, vcc, 4, v6
	v_addc_co_u32_e32 v7, vcc, 0, v7, vcc
	v_add_co_u32_e32 v10, vcc, 4, v10
	v_addc_co_u32_e32 v11, vcc, 0, v11, vcc
	s_add_u32 s28, s28, 1
	s_addc_u32 s29, s29, 0
	s_andn2_b64 s[26:27], s[26:27], exec
	s_waitcnt vmcnt(0)
	v_cmp_neq_f32_e32 vcc, v12, v13
	s_and_b64 s[30:31], vcc, exec
	s_or_b64 s[26:27], s[26:27], s[30:31]
.LBB907_76:                             ;   in Loop: Header=BB907_77 Depth=1
	s_and_b64 s[30:31], exec, s[26:27]
	s_or_b64 s[4:5], s[30:31], s[4:5]
	v_pk_mov_b32 v[12:13], s[28:29], s[28:29] op_sel:[0,1]
	s_andn2_b64 exec, exec, s[4:5]
	s_cbranch_execz .LBB907_80
.LBB907_77:                             ; =>This Inner Loop Header: Depth=1
	s_or_b64 s[26:27], s[26:27], exec
	s_cmp_eq_u64 s[2:3], s[28:29]
	s_cbranch_scc0 .LBB907_75
; %bb.78:                               ;   in Loop: Header=BB907_77 Depth=1
                                        ; implicit-def: $vgpr6_vgpr7
                                        ; implicit-def: $vgpr10_vgpr11
	s_mov_b64 s[28:29], s[16:17]
	s_branch .LBB907_76
.LBB907_79:
	s_mov_b64 s[26:27], 0
	s_branch .LBB907_82
.LBB907_80:
	s_or_b64 exec, exec, s[4:5]
	v_cmp_gt_i64_e32 vcc, s[16:17], v[12:13]
	s_orn2_b64 s[26:27], vcc, exec
.LBB907_81:
	s_or_b64 exec, exec, s[24:25]
.LBB907_82:
	s_and_b64 s[28:29], s[26:27], exec
	s_or_b64 s[20:21], s[20:21], exec
.LBB907_83:
	s_or_b64 exec, exec, s[22:23]
	s_branch .LBB907_108
.LBB907_84:
	v_lshlrev_b32_e32 v14, 1, v0
	s_waitcnt lgkmcnt(0)
	v_or_b32_e32 v6, 1, v14
	v_cmp_gt_u32_e32 vcc, s14, v6
	v_cmp_lt_i64_e64 s[22:23], s[16:17], 1
	v_pk_mov_b32 v[8:9], v[4:5], v[4:5] op_sel:[0,1]
	ds_write_b64 v1, v[4:5]
	v_pk_mov_b32 v[6:7], v[2:3], v[2:3] op_sel:[0,1]
	s_and_saveexec_b64 s[24:25], vcc
	s_cbranch_execz .LBB907_95
; %bb.85:
	s_and_b64 vcc, exec, s[22:23]
	s_cbranch_vccnz .LBB907_92
; %bb.86:
	v_mul_lo_u32 v6, v5, s16
	v_mul_lo_u32 v7, v4, s17
	v_mad_u64_u32 v[4:5], s[2:3], v4, s16, 0
	v_add3_u32 v5, v5, v7, v6
	v_mul_lo_u32 v6, v3, s16
	v_mul_lo_u32 v7, v2, s17
	v_mad_u64_u32 v[8:9], s[2:3], v2, s16, 0
	v_add3_u32 v9, v9, v7, v6
	v_lshlrev_b64 v[6:7], 2, v[4:5]
	v_mov_b32_e32 v4, s19
	v_add_co_u32_e32 v10, vcc, s18, v6
	v_addc_co_u32_e64 v11, s[2:3], v4, v7, vcc
	v_lshlrev_b64 v[4:5], 2, v[8:9]
	v_mov_b32_e32 v6, s19
	v_add_co_u32_e64 v12, s[2:3], s18, v4
	v_addc_co_u32_e64 v13, s[4:5], v6, v5, s[2:3]
	global_load_dword v4, v[10:11], off
	global_load_dword v6, v[12:13], off
	v_mov_b32_e32 v8, 1
	v_mov_b32_e32 v9, 0
	s_waitcnt vmcnt(0)
	v_cmp_eq_f32_e64 s[4:5], v4, v6
	s_and_saveexec_b64 s[26:27], s[4:5]
	s_cbranch_execz .LBB907_94
; %bb.87:
	v_mov_b32_e32 v4, s19
	v_addc_co_u32_e64 v5, s[2:3], v5, v4, s[2:3]
	v_add_co_u32_e64 v4, s[2:3], 4, v12
	v_mov_b32_e32 v6, s19
	v_addc_co_u32_e64 v5, s[2:3], 0, v5, s[2:3]
	v_addc_co_u32_e32 v7, vcc, v7, v6, vcc
	v_add_co_u32_e32 v6, vcc, 4, v10
	s_add_u32 s2, s16, -1
	v_addc_co_u32_e32 v7, vcc, 0, v7, vcc
	s_addc_u32 s3, s17, -1
	s_mov_b64 s[4:5], 0
	s_mov_b64 s[30:31], 0
                                        ; implicit-def: $sgpr28_sgpr29
	s_branch .LBB907_90
.LBB907_88:                             ;   in Loop: Header=BB907_90 Depth=1
	global_load_dword v8, v[6:7], off
	global_load_dword v9, v[4:5], off
	v_add_co_u32_e32 v4, vcc, 4, v4
	v_addc_co_u32_e32 v5, vcc, 0, v5, vcc
	v_add_co_u32_e32 v6, vcc, 4, v6
	v_addc_co_u32_e32 v7, vcc, 0, v7, vcc
	s_add_u32 s30, s30, 1
	s_addc_u32 s31, s31, 0
	s_andn2_b64 s[28:29], s[28:29], exec
	s_waitcnt vmcnt(0)
	v_cmp_neq_f32_e32 vcc, v8, v9
	s_and_b64 s[34:35], vcc, exec
	s_or_b64 s[28:29], s[28:29], s[34:35]
.LBB907_89:                             ;   in Loop: Header=BB907_90 Depth=1
	s_and_b64 s[34:35], exec, s[28:29]
	s_or_b64 s[4:5], s[34:35], s[4:5]
	v_pk_mov_b32 v[8:9], s[30:31], s[30:31] op_sel:[0,1]
	s_andn2_b64 exec, exec, s[4:5]
	s_cbranch_execz .LBB907_93
.LBB907_90:                             ; =>This Inner Loop Header: Depth=1
	s_or_b64 s[28:29], s[28:29], exec
	s_cmp_eq_u64 s[2:3], s[30:31]
	s_cbranch_scc0 .LBB907_88
; %bb.91:                               ;   in Loop: Header=BB907_90 Depth=1
                                        ; implicit-def: $vgpr4_vgpr5
                                        ; implicit-def: $vgpr6_vgpr7
	s_mov_b64 s[30:31], s[16:17]
	s_branch .LBB907_89
.LBB907_92:
	v_pk_mov_b32 v[8:9], 0, 0
	s_branch .LBB907_95
.LBB907_93:
	s_or_b64 exec, exec, s[4:5]
	v_cmp_gt_i64_e32 vcc, s[16:17], v[8:9]
	s_mov_b32 s2, 0
	v_cndmask_b32_e64 v8, 0, 1, vcc
	v_mov_b32_e32 v9, s2
.LBB907_94:
	s_or_b64 exec, exec, s[26:27]
.LBB907_95:
	s_or_b64 exec, exec, s[24:25]
	v_cmp_ne_u32_e32 vcc, 0, v0
	v_cmp_gt_u32_e64 s[2:3], s14, v14
	s_and_b64 s[2:3], vcc, s[2:3]
	s_waitcnt lgkmcnt(0)
	s_barrier
	s_waitcnt lgkmcnt(0)
                                        ; implicit-def: $sgpr28_sgpr29
	s_and_saveexec_b64 s[24:25], s[2:3]
	s_cbranch_execz .LBB907_107
; %bb.96:
	s_and_b64 vcc, exec, s[22:23]
	s_cbranch_vccnz .LBB907_103
; %bb.97:
	v_mul_lo_u32 v6, v3, s16
	v_add_u32_e32 v3, -8, v1
	ds_read_b64 v[4:5], v3
	v_mul_lo_u32 v7, v2, s17
	v_mad_u64_u32 v[2:3], s[2:3], v2, s16, 0
	v_add3_u32 v3, v3, v7, v6
	s_waitcnt lgkmcnt(0)
	v_mul_lo_u32 v5, v5, s16
	v_mul_lo_u32 v6, v4, s17
	v_mad_u64_u32 v[10:11], s[2:3], v4, s16, 0
	v_add3_u32 v11, v11, v6, v5
	v_lshlrev_b64 v[4:5], 2, v[2:3]
	v_mov_b32_e32 v2, s19
	v_add_co_u32_e32 v6, vcc, s18, v4
	v_addc_co_u32_e64 v7, s[2:3], v2, v5, vcc
	v_lshlrev_b64 v[2:3], 2, v[10:11]
	v_mov_b32_e32 v4, s19
	v_add_co_u32_e64 v10, s[2:3], s18, v2
	v_addc_co_u32_e64 v11, s[4:5], v4, v3, s[2:3]
	global_load_dword v2, v[6:7], off
	global_load_dword v4, v[10:11], off
	s_mov_b64 s[26:27], -1
	s_waitcnt vmcnt(0)
	v_cmp_eq_f32_e64 s[4:5], v2, v4
	s_and_saveexec_b64 s[22:23], s[4:5]
	s_cbranch_execz .LBB907_105
; %bb.98:
	v_mov_b32_e32 v2, s19
	v_addc_co_u32_e64 v3, s[2:3], v3, v2, s[2:3]
	v_add_co_u32_e64 v2, s[2:3], 4, v10
	v_mov_b32_e32 v4, s19
	v_addc_co_u32_e64 v3, s[2:3], 0, v3, s[2:3]
	v_addc_co_u32_e32 v5, vcc, v5, v4, vcc
	v_add_co_u32_e32 v4, vcc, 4, v6
	s_add_u32 s2, s16, -1
	v_addc_co_u32_e32 v5, vcc, 0, v5, vcc
	s_addc_u32 s3, s17, -1
	s_mov_b64 s[4:5], 0
	s_mov_b64 s[26:27], 0
                                        ; implicit-def: $sgpr18_sgpr19
	s_branch .LBB907_101
.LBB907_99:                             ;   in Loop: Header=BB907_101 Depth=1
	global_load_dword v6, v[4:5], off
	global_load_dword v7, v[2:3], off
	v_add_co_u32_e32 v2, vcc, 4, v2
	v_addc_co_u32_e32 v3, vcc, 0, v3, vcc
	v_add_co_u32_e32 v4, vcc, 4, v4
	v_addc_co_u32_e32 v5, vcc, 0, v5, vcc
	s_add_u32 s26, s26, 1
	s_addc_u32 s27, s27, 0
	s_andn2_b64 s[18:19], s[18:19], exec
	s_waitcnt vmcnt(0)
	v_cmp_neq_f32_e32 vcc, v6, v7
	s_and_b64 s[28:29], vcc, exec
	s_or_b64 s[18:19], s[18:19], s[28:29]
.LBB907_100:                            ;   in Loop: Header=BB907_101 Depth=1
	s_and_b64 s[28:29], exec, s[18:19]
	s_or_b64 s[4:5], s[28:29], s[4:5]
	v_pk_mov_b32 v[6:7], s[26:27], s[26:27] op_sel:[0,1]
	s_andn2_b64 exec, exec, s[4:5]
	s_cbranch_execz .LBB907_104
.LBB907_101:                            ; =>This Inner Loop Header: Depth=1
	s_or_b64 s[18:19], s[18:19], exec
	s_cmp_eq_u64 s[2:3], s[26:27]
	s_cbranch_scc0 .LBB907_99
; %bb.102:                              ;   in Loop: Header=BB907_101 Depth=1
                                        ; implicit-def: $vgpr2_vgpr3
                                        ; implicit-def: $vgpr4_vgpr5
	s_mov_b64 s[26:27], s[16:17]
	s_branch .LBB907_100
.LBB907_103:
	s_mov_b64 s[26:27], 0
	s_branch .LBB907_106
.LBB907_104:
	s_or_b64 exec, exec, s[4:5]
	v_cmp_gt_i64_e32 vcc, s[16:17], v[6:7]
	s_orn2_b64 s[26:27], vcc, exec
.LBB907_105:
	s_or_b64 exec, exec, s[22:23]
.LBB907_106:
	s_and_b64 s[28:29], s[26:27], exec
	s_or_b64 s[20:21], s[20:21], exec
                                        ; implicit-def: $vgpr2_vgpr3
.LBB907_107:
	s_or_b64 exec, exec, s[24:25]
.LBB907_108:
	s_and_saveexec_b64 s[2:3], s[20:21]
; %bb.109:
	s_mov_b32 s4, 0
	v_cndmask_b32_e64 v2, 0, 1, s[28:29]
	v_mov_b32_e32 v3, s4
; %bb.110:
	s_or_b64 exec, exec, s[2:3]
	s_add_u32 s4, s12, s10
	s_addc_u32 s5, s13, s11
	s_and_b64 vcc, exec, s[0:1]
	v_lshrrev_b32_e32 v10, 1, v0
	s_waitcnt lgkmcnt(0)
	s_barrier
	s_cbranch_vccz .LBB907_114
; %bb.111:
	v_and_b32_e32 v4, 0x78, v10
	v_lshl_add_u32 v6, v0, 4, v4
	v_mov_b32_e32 v4, v8
	v_mov_b32_e32 v5, v9
	v_or_b32_e32 v11, 0x100, v0
	s_lshl_b32 s0, s6, 9
	s_mov_b32 s9, 0
	ds_write2_b64 v6, v[2:3], v[4:5] offset1:1
	v_lshrrev_b32_e32 v4, 5, v11
	s_sub_i32 s2, s14, s0
	s_lshl_b64 s[0:1], s[8:9], 3
	v_add_lshl_u32 v4, v4, v0, 3
	s_add_u32 s0, s4, s0
	s_waitcnt lgkmcnt(0)
	s_barrier
	ds_read_b64 v[4:5], v4 offset:2048
	s_addc_u32 s1, s5, s1
	v_mov_b32_e32 v7, s1
	v_add_co_u32_e32 v6, vcc, s0, v1
	v_addc_co_u32_e32 v7, vcc, 0, v7, vcc
	v_cmp_gt_u32_e32 vcc, s2, v0
	s_and_saveexec_b64 s[0:1], vcc
	s_cbranch_execz .LBB907_113
; %bb.112:
	v_lshrrev_b32_e32 v12, 5, v0
	v_add_lshl_u32 v12, v12, v0, 3
	ds_read_b64 v[12:13], v12
	s_waitcnt lgkmcnt(0)
	global_store_dwordx2 v[6:7], v[12:13], off
.LBB907_113:
	s_or_b64 exec, exec, s[0:1]
	v_cmp_gt_u32_e64 s[0:1], s2, v11
	s_branch .LBB907_116
.LBB907_114:
	s_mov_b64 s[0:1], 0
                                        ; implicit-def: $vgpr4_vgpr5
                                        ; implicit-def: $vgpr6_vgpr7
	s_cbranch_execz .LBB907_116
; %bb.115:
	s_waitcnt lgkmcnt(0)
	v_and_b32_e32 v4, 0x78, v10
	v_lshl_add_u32 v6, v0, 4, v4
	v_mov_b32_e32 v4, v8
	v_mov_b32_e32 v5, v9
	s_mov_b32 s9, 0
	ds_write2_b64 v6, v[2:3], v[4:5] offset1:1
	v_lshrrev_b32_e32 v2, 5, v0
	v_or_b32_e32 v3, 0x100, v0
	s_lshl_b64 s[2:3], s[8:9], 3
	v_add_lshl_u32 v2, v2, v0, 3
	v_lshrrev_b32_e32 v3, 5, v3
	s_add_u32 s2, s4, s2
	s_waitcnt lgkmcnt(0)
	s_barrier
	v_add_lshl_u32 v0, v3, v0, 3
	ds_read_b64 v[2:3], v2
	ds_read_b64 v[4:5], v0 offset:2048
	s_addc_u32 s3, s5, s3
	v_mov_b32_e32 v0, s3
	v_add_co_u32_e32 v6, vcc, s2, v1
	v_addc_co_u32_e32 v7, vcc, 0, v0, vcc
	s_or_b64 s[0:1], s[0:1], exec
	s_waitcnt lgkmcnt(1)
	global_store_dwordx2 v1, v[2:3], s[2:3]
.LBB907_116:
	s_and_saveexec_b64 s[2:3], s[0:1]
	s_cbranch_execnz .LBB907_118
; %bb.117:
	s_endpgm
.LBB907_118:
	s_waitcnt lgkmcnt(0)
	global_store_dwordx2 v[6:7], v[4:5], off offset:2048
	s_endpgm
	.section	.rodata,"a",@progbits
	.p2align	6, 0x0
	.amdhsa_kernel _ZN7rocprim17ROCPRIM_400000_NS6detail17trampoline_kernelINS0_14default_configENS1_35adjacent_difference_config_selectorILb0ElEEZNS1_24adjacent_difference_implIS3_Lb0ELb0EPlS7_ZN2at6native12_GLOBAL__N_124unique_dim_cuda_templateIfEESt5tupleIJNS8_6TensorESD_SD_EERKSD_lbbbEUlllE1_EE10hipError_tPvRmT2_T3_mT4_P12ihipStream_tbEUlT_E_NS1_11comp_targetILNS1_3genE4ELNS1_11target_archE910ELNS1_3gpuE8ELNS1_3repE0EEENS1_30default_config_static_selectorELNS0_4arch9wavefront6targetE1EEEvT1_
		.amdhsa_group_segment_fixed_size 4224
		.amdhsa_private_segment_fixed_size 0
		.amdhsa_kernarg_size 64
		.amdhsa_user_sgpr_count 6
		.amdhsa_user_sgpr_private_segment_buffer 1
		.amdhsa_user_sgpr_dispatch_ptr 0
		.amdhsa_user_sgpr_queue_ptr 0
		.amdhsa_user_sgpr_kernarg_segment_ptr 1
		.amdhsa_user_sgpr_dispatch_id 0
		.amdhsa_user_sgpr_flat_scratch_init 0
		.amdhsa_user_sgpr_kernarg_preload_length 0
		.amdhsa_user_sgpr_kernarg_preload_offset 0
		.amdhsa_user_sgpr_private_segment_size 0
		.amdhsa_uses_dynamic_stack 0
		.amdhsa_system_sgpr_private_segment_wavefront_offset 0
		.amdhsa_system_sgpr_workgroup_id_x 1
		.amdhsa_system_sgpr_workgroup_id_y 0
		.amdhsa_system_sgpr_workgroup_id_z 0
		.amdhsa_system_sgpr_workgroup_info 0
		.amdhsa_system_vgpr_workitem_id 0
		.amdhsa_next_free_vgpr 17
		.amdhsa_next_free_sgpr 38
		.amdhsa_accum_offset 20
		.amdhsa_reserve_vcc 1
		.amdhsa_reserve_flat_scratch 0
		.amdhsa_float_round_mode_32 0
		.amdhsa_float_round_mode_16_64 0
		.amdhsa_float_denorm_mode_32 3
		.amdhsa_float_denorm_mode_16_64 3
		.amdhsa_dx10_clamp 1
		.amdhsa_ieee_mode 1
		.amdhsa_fp16_overflow 0
		.amdhsa_tg_split 0
		.amdhsa_exception_fp_ieee_invalid_op 0
		.amdhsa_exception_fp_denorm_src 0
		.amdhsa_exception_fp_ieee_div_zero 0
		.amdhsa_exception_fp_ieee_overflow 0
		.amdhsa_exception_fp_ieee_underflow 0
		.amdhsa_exception_fp_ieee_inexact 0
		.amdhsa_exception_int_div_zero 0
	.end_amdhsa_kernel
	.section	.text._ZN7rocprim17ROCPRIM_400000_NS6detail17trampoline_kernelINS0_14default_configENS1_35adjacent_difference_config_selectorILb0ElEEZNS1_24adjacent_difference_implIS3_Lb0ELb0EPlS7_ZN2at6native12_GLOBAL__N_124unique_dim_cuda_templateIfEESt5tupleIJNS8_6TensorESD_SD_EERKSD_lbbbEUlllE1_EE10hipError_tPvRmT2_T3_mT4_P12ihipStream_tbEUlT_E_NS1_11comp_targetILNS1_3genE4ELNS1_11target_archE910ELNS1_3gpuE8ELNS1_3repE0EEENS1_30default_config_static_selectorELNS0_4arch9wavefront6targetE1EEEvT1_,"axG",@progbits,_ZN7rocprim17ROCPRIM_400000_NS6detail17trampoline_kernelINS0_14default_configENS1_35adjacent_difference_config_selectorILb0ElEEZNS1_24adjacent_difference_implIS3_Lb0ELb0EPlS7_ZN2at6native12_GLOBAL__N_124unique_dim_cuda_templateIfEESt5tupleIJNS8_6TensorESD_SD_EERKSD_lbbbEUlllE1_EE10hipError_tPvRmT2_T3_mT4_P12ihipStream_tbEUlT_E_NS1_11comp_targetILNS1_3genE4ELNS1_11target_archE910ELNS1_3gpuE8ELNS1_3repE0EEENS1_30default_config_static_selectorELNS0_4arch9wavefront6targetE1EEEvT1_,comdat
.Lfunc_end907:
	.size	_ZN7rocprim17ROCPRIM_400000_NS6detail17trampoline_kernelINS0_14default_configENS1_35adjacent_difference_config_selectorILb0ElEEZNS1_24adjacent_difference_implIS3_Lb0ELb0EPlS7_ZN2at6native12_GLOBAL__N_124unique_dim_cuda_templateIfEESt5tupleIJNS8_6TensorESD_SD_EERKSD_lbbbEUlllE1_EE10hipError_tPvRmT2_T3_mT4_P12ihipStream_tbEUlT_E_NS1_11comp_targetILNS1_3genE4ELNS1_11target_archE910ELNS1_3gpuE8ELNS1_3repE0EEENS1_30default_config_static_selectorELNS0_4arch9wavefront6targetE1EEEvT1_, .Lfunc_end907-_ZN7rocprim17ROCPRIM_400000_NS6detail17trampoline_kernelINS0_14default_configENS1_35adjacent_difference_config_selectorILb0ElEEZNS1_24adjacent_difference_implIS3_Lb0ELb0EPlS7_ZN2at6native12_GLOBAL__N_124unique_dim_cuda_templateIfEESt5tupleIJNS8_6TensorESD_SD_EERKSD_lbbbEUlllE1_EE10hipError_tPvRmT2_T3_mT4_P12ihipStream_tbEUlT_E_NS1_11comp_targetILNS1_3genE4ELNS1_11target_archE910ELNS1_3gpuE8ELNS1_3repE0EEENS1_30default_config_static_selectorELNS0_4arch9wavefront6targetE1EEEvT1_
                                        ; -- End function
	.section	.AMDGPU.csdata,"",@progbits
; Kernel info:
; codeLenInByte = 4256
; NumSgprs: 42
; NumVgprs: 17
; NumAgprs: 0
; TotalNumVgprs: 17
; ScratchSize: 0
; MemoryBound: 0
; FloatMode: 240
; IeeeMode: 1
; LDSByteSize: 4224 bytes/workgroup (compile time only)
; SGPRBlocks: 5
; VGPRBlocks: 2
; NumSGPRsForWavesPerEU: 42
; NumVGPRsForWavesPerEU: 17
; AccumOffset: 20
; Occupancy: 8
; WaveLimiterHint : 1
; COMPUTE_PGM_RSRC2:SCRATCH_EN: 0
; COMPUTE_PGM_RSRC2:USER_SGPR: 6
; COMPUTE_PGM_RSRC2:TRAP_HANDLER: 0
; COMPUTE_PGM_RSRC2:TGID_X_EN: 1
; COMPUTE_PGM_RSRC2:TGID_Y_EN: 0
; COMPUTE_PGM_RSRC2:TGID_Z_EN: 0
; COMPUTE_PGM_RSRC2:TIDIG_COMP_CNT: 0
; COMPUTE_PGM_RSRC3_GFX90A:ACCUM_OFFSET: 4
; COMPUTE_PGM_RSRC3_GFX90A:TG_SPLIT: 0
	.section	.text._ZN7rocprim17ROCPRIM_400000_NS6detail17trampoline_kernelINS0_14default_configENS1_35adjacent_difference_config_selectorILb0ElEEZNS1_24adjacent_difference_implIS3_Lb0ELb0EPlS7_ZN2at6native12_GLOBAL__N_124unique_dim_cuda_templateIfEESt5tupleIJNS8_6TensorESD_SD_EERKSD_lbbbEUlllE1_EE10hipError_tPvRmT2_T3_mT4_P12ihipStream_tbEUlT_E_NS1_11comp_targetILNS1_3genE3ELNS1_11target_archE908ELNS1_3gpuE7ELNS1_3repE0EEENS1_30default_config_static_selectorELNS0_4arch9wavefront6targetE1EEEvT1_,"axG",@progbits,_ZN7rocprim17ROCPRIM_400000_NS6detail17trampoline_kernelINS0_14default_configENS1_35adjacent_difference_config_selectorILb0ElEEZNS1_24adjacent_difference_implIS3_Lb0ELb0EPlS7_ZN2at6native12_GLOBAL__N_124unique_dim_cuda_templateIfEESt5tupleIJNS8_6TensorESD_SD_EERKSD_lbbbEUlllE1_EE10hipError_tPvRmT2_T3_mT4_P12ihipStream_tbEUlT_E_NS1_11comp_targetILNS1_3genE3ELNS1_11target_archE908ELNS1_3gpuE7ELNS1_3repE0EEENS1_30default_config_static_selectorELNS0_4arch9wavefront6targetE1EEEvT1_,comdat
	.globl	_ZN7rocprim17ROCPRIM_400000_NS6detail17trampoline_kernelINS0_14default_configENS1_35adjacent_difference_config_selectorILb0ElEEZNS1_24adjacent_difference_implIS3_Lb0ELb0EPlS7_ZN2at6native12_GLOBAL__N_124unique_dim_cuda_templateIfEESt5tupleIJNS8_6TensorESD_SD_EERKSD_lbbbEUlllE1_EE10hipError_tPvRmT2_T3_mT4_P12ihipStream_tbEUlT_E_NS1_11comp_targetILNS1_3genE3ELNS1_11target_archE908ELNS1_3gpuE7ELNS1_3repE0EEENS1_30default_config_static_selectorELNS0_4arch9wavefront6targetE1EEEvT1_ ; -- Begin function _ZN7rocprim17ROCPRIM_400000_NS6detail17trampoline_kernelINS0_14default_configENS1_35adjacent_difference_config_selectorILb0ElEEZNS1_24adjacent_difference_implIS3_Lb0ELb0EPlS7_ZN2at6native12_GLOBAL__N_124unique_dim_cuda_templateIfEESt5tupleIJNS8_6TensorESD_SD_EERKSD_lbbbEUlllE1_EE10hipError_tPvRmT2_T3_mT4_P12ihipStream_tbEUlT_E_NS1_11comp_targetILNS1_3genE3ELNS1_11target_archE908ELNS1_3gpuE7ELNS1_3repE0EEENS1_30default_config_static_selectorELNS0_4arch9wavefront6targetE1EEEvT1_
	.p2align	8
	.type	_ZN7rocprim17ROCPRIM_400000_NS6detail17trampoline_kernelINS0_14default_configENS1_35adjacent_difference_config_selectorILb0ElEEZNS1_24adjacent_difference_implIS3_Lb0ELb0EPlS7_ZN2at6native12_GLOBAL__N_124unique_dim_cuda_templateIfEESt5tupleIJNS8_6TensorESD_SD_EERKSD_lbbbEUlllE1_EE10hipError_tPvRmT2_T3_mT4_P12ihipStream_tbEUlT_E_NS1_11comp_targetILNS1_3genE3ELNS1_11target_archE908ELNS1_3gpuE7ELNS1_3repE0EEENS1_30default_config_static_selectorELNS0_4arch9wavefront6targetE1EEEvT1_,@function
_ZN7rocprim17ROCPRIM_400000_NS6detail17trampoline_kernelINS0_14default_configENS1_35adjacent_difference_config_selectorILb0ElEEZNS1_24adjacent_difference_implIS3_Lb0ELb0EPlS7_ZN2at6native12_GLOBAL__N_124unique_dim_cuda_templateIfEESt5tupleIJNS8_6TensorESD_SD_EERKSD_lbbbEUlllE1_EE10hipError_tPvRmT2_T3_mT4_P12ihipStream_tbEUlT_E_NS1_11comp_targetILNS1_3genE3ELNS1_11target_archE908ELNS1_3gpuE7ELNS1_3repE0EEENS1_30default_config_static_selectorELNS0_4arch9wavefront6targetE1EEEvT1_: ; @_ZN7rocprim17ROCPRIM_400000_NS6detail17trampoline_kernelINS0_14default_configENS1_35adjacent_difference_config_selectorILb0ElEEZNS1_24adjacent_difference_implIS3_Lb0ELb0EPlS7_ZN2at6native12_GLOBAL__N_124unique_dim_cuda_templateIfEESt5tupleIJNS8_6TensorESD_SD_EERKSD_lbbbEUlllE1_EE10hipError_tPvRmT2_T3_mT4_P12ihipStream_tbEUlT_E_NS1_11comp_targetILNS1_3genE3ELNS1_11target_archE908ELNS1_3gpuE7ELNS1_3repE0EEENS1_30default_config_static_selectorELNS0_4arch9wavefront6targetE1EEEvT1_
; %bb.0:
	.section	.rodata,"a",@progbits
	.p2align	6, 0x0
	.amdhsa_kernel _ZN7rocprim17ROCPRIM_400000_NS6detail17trampoline_kernelINS0_14default_configENS1_35adjacent_difference_config_selectorILb0ElEEZNS1_24adjacent_difference_implIS3_Lb0ELb0EPlS7_ZN2at6native12_GLOBAL__N_124unique_dim_cuda_templateIfEESt5tupleIJNS8_6TensorESD_SD_EERKSD_lbbbEUlllE1_EE10hipError_tPvRmT2_T3_mT4_P12ihipStream_tbEUlT_E_NS1_11comp_targetILNS1_3genE3ELNS1_11target_archE908ELNS1_3gpuE7ELNS1_3repE0EEENS1_30default_config_static_selectorELNS0_4arch9wavefront6targetE1EEEvT1_
		.amdhsa_group_segment_fixed_size 0
		.amdhsa_private_segment_fixed_size 0
		.amdhsa_kernarg_size 64
		.amdhsa_user_sgpr_count 6
		.amdhsa_user_sgpr_private_segment_buffer 1
		.amdhsa_user_sgpr_dispatch_ptr 0
		.amdhsa_user_sgpr_queue_ptr 0
		.amdhsa_user_sgpr_kernarg_segment_ptr 1
		.amdhsa_user_sgpr_dispatch_id 0
		.amdhsa_user_sgpr_flat_scratch_init 0
		.amdhsa_user_sgpr_kernarg_preload_length 0
		.amdhsa_user_sgpr_kernarg_preload_offset 0
		.amdhsa_user_sgpr_private_segment_size 0
		.amdhsa_uses_dynamic_stack 0
		.amdhsa_system_sgpr_private_segment_wavefront_offset 0
		.amdhsa_system_sgpr_workgroup_id_x 1
		.amdhsa_system_sgpr_workgroup_id_y 0
		.amdhsa_system_sgpr_workgroup_id_z 0
		.amdhsa_system_sgpr_workgroup_info 0
		.amdhsa_system_vgpr_workitem_id 0
		.amdhsa_next_free_vgpr 1
		.amdhsa_next_free_sgpr 0
		.amdhsa_accum_offset 4
		.amdhsa_reserve_vcc 0
		.amdhsa_reserve_flat_scratch 0
		.amdhsa_float_round_mode_32 0
		.amdhsa_float_round_mode_16_64 0
		.amdhsa_float_denorm_mode_32 3
		.amdhsa_float_denorm_mode_16_64 3
		.amdhsa_dx10_clamp 1
		.amdhsa_ieee_mode 1
		.amdhsa_fp16_overflow 0
		.amdhsa_tg_split 0
		.amdhsa_exception_fp_ieee_invalid_op 0
		.amdhsa_exception_fp_denorm_src 0
		.amdhsa_exception_fp_ieee_div_zero 0
		.amdhsa_exception_fp_ieee_overflow 0
		.amdhsa_exception_fp_ieee_underflow 0
		.amdhsa_exception_fp_ieee_inexact 0
		.amdhsa_exception_int_div_zero 0
	.end_amdhsa_kernel
	.section	.text._ZN7rocprim17ROCPRIM_400000_NS6detail17trampoline_kernelINS0_14default_configENS1_35adjacent_difference_config_selectorILb0ElEEZNS1_24adjacent_difference_implIS3_Lb0ELb0EPlS7_ZN2at6native12_GLOBAL__N_124unique_dim_cuda_templateIfEESt5tupleIJNS8_6TensorESD_SD_EERKSD_lbbbEUlllE1_EE10hipError_tPvRmT2_T3_mT4_P12ihipStream_tbEUlT_E_NS1_11comp_targetILNS1_3genE3ELNS1_11target_archE908ELNS1_3gpuE7ELNS1_3repE0EEENS1_30default_config_static_selectorELNS0_4arch9wavefront6targetE1EEEvT1_,"axG",@progbits,_ZN7rocprim17ROCPRIM_400000_NS6detail17trampoline_kernelINS0_14default_configENS1_35adjacent_difference_config_selectorILb0ElEEZNS1_24adjacent_difference_implIS3_Lb0ELb0EPlS7_ZN2at6native12_GLOBAL__N_124unique_dim_cuda_templateIfEESt5tupleIJNS8_6TensorESD_SD_EERKSD_lbbbEUlllE1_EE10hipError_tPvRmT2_T3_mT4_P12ihipStream_tbEUlT_E_NS1_11comp_targetILNS1_3genE3ELNS1_11target_archE908ELNS1_3gpuE7ELNS1_3repE0EEENS1_30default_config_static_selectorELNS0_4arch9wavefront6targetE1EEEvT1_,comdat
.Lfunc_end908:
	.size	_ZN7rocprim17ROCPRIM_400000_NS6detail17trampoline_kernelINS0_14default_configENS1_35adjacent_difference_config_selectorILb0ElEEZNS1_24adjacent_difference_implIS3_Lb0ELb0EPlS7_ZN2at6native12_GLOBAL__N_124unique_dim_cuda_templateIfEESt5tupleIJNS8_6TensorESD_SD_EERKSD_lbbbEUlllE1_EE10hipError_tPvRmT2_T3_mT4_P12ihipStream_tbEUlT_E_NS1_11comp_targetILNS1_3genE3ELNS1_11target_archE908ELNS1_3gpuE7ELNS1_3repE0EEENS1_30default_config_static_selectorELNS0_4arch9wavefront6targetE1EEEvT1_, .Lfunc_end908-_ZN7rocprim17ROCPRIM_400000_NS6detail17trampoline_kernelINS0_14default_configENS1_35adjacent_difference_config_selectorILb0ElEEZNS1_24adjacent_difference_implIS3_Lb0ELb0EPlS7_ZN2at6native12_GLOBAL__N_124unique_dim_cuda_templateIfEESt5tupleIJNS8_6TensorESD_SD_EERKSD_lbbbEUlllE1_EE10hipError_tPvRmT2_T3_mT4_P12ihipStream_tbEUlT_E_NS1_11comp_targetILNS1_3genE3ELNS1_11target_archE908ELNS1_3gpuE7ELNS1_3repE0EEENS1_30default_config_static_selectorELNS0_4arch9wavefront6targetE1EEEvT1_
                                        ; -- End function
	.section	.AMDGPU.csdata,"",@progbits
; Kernel info:
; codeLenInByte = 0
; NumSgprs: 4
; NumVgprs: 0
; NumAgprs: 0
; TotalNumVgprs: 0
; ScratchSize: 0
; MemoryBound: 0
; FloatMode: 240
; IeeeMode: 1
; LDSByteSize: 0 bytes/workgroup (compile time only)
; SGPRBlocks: 0
; VGPRBlocks: 0
; NumSGPRsForWavesPerEU: 4
; NumVGPRsForWavesPerEU: 1
; AccumOffset: 4
; Occupancy: 8
; WaveLimiterHint : 0
; COMPUTE_PGM_RSRC2:SCRATCH_EN: 0
; COMPUTE_PGM_RSRC2:USER_SGPR: 6
; COMPUTE_PGM_RSRC2:TRAP_HANDLER: 0
; COMPUTE_PGM_RSRC2:TGID_X_EN: 1
; COMPUTE_PGM_RSRC2:TGID_Y_EN: 0
; COMPUTE_PGM_RSRC2:TGID_Z_EN: 0
; COMPUTE_PGM_RSRC2:TIDIG_COMP_CNT: 0
; COMPUTE_PGM_RSRC3_GFX90A:ACCUM_OFFSET: 0
; COMPUTE_PGM_RSRC3_GFX90A:TG_SPLIT: 0
	.section	.text._ZN7rocprim17ROCPRIM_400000_NS6detail17trampoline_kernelINS0_14default_configENS1_35adjacent_difference_config_selectorILb0ElEEZNS1_24adjacent_difference_implIS3_Lb0ELb0EPlS7_ZN2at6native12_GLOBAL__N_124unique_dim_cuda_templateIfEESt5tupleIJNS8_6TensorESD_SD_EERKSD_lbbbEUlllE1_EE10hipError_tPvRmT2_T3_mT4_P12ihipStream_tbEUlT_E_NS1_11comp_targetILNS1_3genE2ELNS1_11target_archE906ELNS1_3gpuE6ELNS1_3repE0EEENS1_30default_config_static_selectorELNS0_4arch9wavefront6targetE1EEEvT1_,"axG",@progbits,_ZN7rocprim17ROCPRIM_400000_NS6detail17trampoline_kernelINS0_14default_configENS1_35adjacent_difference_config_selectorILb0ElEEZNS1_24adjacent_difference_implIS3_Lb0ELb0EPlS7_ZN2at6native12_GLOBAL__N_124unique_dim_cuda_templateIfEESt5tupleIJNS8_6TensorESD_SD_EERKSD_lbbbEUlllE1_EE10hipError_tPvRmT2_T3_mT4_P12ihipStream_tbEUlT_E_NS1_11comp_targetILNS1_3genE2ELNS1_11target_archE906ELNS1_3gpuE6ELNS1_3repE0EEENS1_30default_config_static_selectorELNS0_4arch9wavefront6targetE1EEEvT1_,comdat
	.globl	_ZN7rocprim17ROCPRIM_400000_NS6detail17trampoline_kernelINS0_14default_configENS1_35adjacent_difference_config_selectorILb0ElEEZNS1_24adjacent_difference_implIS3_Lb0ELb0EPlS7_ZN2at6native12_GLOBAL__N_124unique_dim_cuda_templateIfEESt5tupleIJNS8_6TensorESD_SD_EERKSD_lbbbEUlllE1_EE10hipError_tPvRmT2_T3_mT4_P12ihipStream_tbEUlT_E_NS1_11comp_targetILNS1_3genE2ELNS1_11target_archE906ELNS1_3gpuE6ELNS1_3repE0EEENS1_30default_config_static_selectorELNS0_4arch9wavefront6targetE1EEEvT1_ ; -- Begin function _ZN7rocprim17ROCPRIM_400000_NS6detail17trampoline_kernelINS0_14default_configENS1_35adjacent_difference_config_selectorILb0ElEEZNS1_24adjacent_difference_implIS3_Lb0ELb0EPlS7_ZN2at6native12_GLOBAL__N_124unique_dim_cuda_templateIfEESt5tupleIJNS8_6TensorESD_SD_EERKSD_lbbbEUlllE1_EE10hipError_tPvRmT2_T3_mT4_P12ihipStream_tbEUlT_E_NS1_11comp_targetILNS1_3genE2ELNS1_11target_archE906ELNS1_3gpuE6ELNS1_3repE0EEENS1_30default_config_static_selectorELNS0_4arch9wavefront6targetE1EEEvT1_
	.p2align	8
	.type	_ZN7rocprim17ROCPRIM_400000_NS6detail17trampoline_kernelINS0_14default_configENS1_35adjacent_difference_config_selectorILb0ElEEZNS1_24adjacent_difference_implIS3_Lb0ELb0EPlS7_ZN2at6native12_GLOBAL__N_124unique_dim_cuda_templateIfEESt5tupleIJNS8_6TensorESD_SD_EERKSD_lbbbEUlllE1_EE10hipError_tPvRmT2_T3_mT4_P12ihipStream_tbEUlT_E_NS1_11comp_targetILNS1_3genE2ELNS1_11target_archE906ELNS1_3gpuE6ELNS1_3repE0EEENS1_30default_config_static_selectorELNS0_4arch9wavefront6targetE1EEEvT1_,@function
_ZN7rocprim17ROCPRIM_400000_NS6detail17trampoline_kernelINS0_14default_configENS1_35adjacent_difference_config_selectorILb0ElEEZNS1_24adjacent_difference_implIS3_Lb0ELb0EPlS7_ZN2at6native12_GLOBAL__N_124unique_dim_cuda_templateIfEESt5tupleIJNS8_6TensorESD_SD_EERKSD_lbbbEUlllE1_EE10hipError_tPvRmT2_T3_mT4_P12ihipStream_tbEUlT_E_NS1_11comp_targetILNS1_3genE2ELNS1_11target_archE906ELNS1_3gpuE6ELNS1_3repE0EEENS1_30default_config_static_selectorELNS0_4arch9wavefront6targetE1EEEvT1_: ; @_ZN7rocprim17ROCPRIM_400000_NS6detail17trampoline_kernelINS0_14default_configENS1_35adjacent_difference_config_selectorILb0ElEEZNS1_24adjacent_difference_implIS3_Lb0ELb0EPlS7_ZN2at6native12_GLOBAL__N_124unique_dim_cuda_templateIfEESt5tupleIJNS8_6TensorESD_SD_EERKSD_lbbbEUlllE1_EE10hipError_tPvRmT2_T3_mT4_P12ihipStream_tbEUlT_E_NS1_11comp_targetILNS1_3genE2ELNS1_11target_archE906ELNS1_3gpuE6ELNS1_3repE0EEENS1_30default_config_static_selectorELNS0_4arch9wavefront6targetE1EEEvT1_
; %bb.0:
	.section	.rodata,"a",@progbits
	.p2align	6, 0x0
	.amdhsa_kernel _ZN7rocprim17ROCPRIM_400000_NS6detail17trampoline_kernelINS0_14default_configENS1_35adjacent_difference_config_selectorILb0ElEEZNS1_24adjacent_difference_implIS3_Lb0ELb0EPlS7_ZN2at6native12_GLOBAL__N_124unique_dim_cuda_templateIfEESt5tupleIJNS8_6TensorESD_SD_EERKSD_lbbbEUlllE1_EE10hipError_tPvRmT2_T3_mT4_P12ihipStream_tbEUlT_E_NS1_11comp_targetILNS1_3genE2ELNS1_11target_archE906ELNS1_3gpuE6ELNS1_3repE0EEENS1_30default_config_static_selectorELNS0_4arch9wavefront6targetE1EEEvT1_
		.amdhsa_group_segment_fixed_size 0
		.amdhsa_private_segment_fixed_size 0
		.amdhsa_kernarg_size 64
		.amdhsa_user_sgpr_count 6
		.amdhsa_user_sgpr_private_segment_buffer 1
		.amdhsa_user_sgpr_dispatch_ptr 0
		.amdhsa_user_sgpr_queue_ptr 0
		.amdhsa_user_sgpr_kernarg_segment_ptr 1
		.amdhsa_user_sgpr_dispatch_id 0
		.amdhsa_user_sgpr_flat_scratch_init 0
		.amdhsa_user_sgpr_kernarg_preload_length 0
		.amdhsa_user_sgpr_kernarg_preload_offset 0
		.amdhsa_user_sgpr_private_segment_size 0
		.amdhsa_uses_dynamic_stack 0
		.amdhsa_system_sgpr_private_segment_wavefront_offset 0
		.amdhsa_system_sgpr_workgroup_id_x 1
		.amdhsa_system_sgpr_workgroup_id_y 0
		.amdhsa_system_sgpr_workgroup_id_z 0
		.amdhsa_system_sgpr_workgroup_info 0
		.amdhsa_system_vgpr_workitem_id 0
		.amdhsa_next_free_vgpr 1
		.amdhsa_next_free_sgpr 0
		.amdhsa_accum_offset 4
		.amdhsa_reserve_vcc 0
		.amdhsa_reserve_flat_scratch 0
		.amdhsa_float_round_mode_32 0
		.amdhsa_float_round_mode_16_64 0
		.amdhsa_float_denorm_mode_32 3
		.amdhsa_float_denorm_mode_16_64 3
		.amdhsa_dx10_clamp 1
		.amdhsa_ieee_mode 1
		.amdhsa_fp16_overflow 0
		.amdhsa_tg_split 0
		.amdhsa_exception_fp_ieee_invalid_op 0
		.amdhsa_exception_fp_denorm_src 0
		.amdhsa_exception_fp_ieee_div_zero 0
		.amdhsa_exception_fp_ieee_overflow 0
		.amdhsa_exception_fp_ieee_underflow 0
		.amdhsa_exception_fp_ieee_inexact 0
		.amdhsa_exception_int_div_zero 0
	.end_amdhsa_kernel
	.section	.text._ZN7rocprim17ROCPRIM_400000_NS6detail17trampoline_kernelINS0_14default_configENS1_35adjacent_difference_config_selectorILb0ElEEZNS1_24adjacent_difference_implIS3_Lb0ELb0EPlS7_ZN2at6native12_GLOBAL__N_124unique_dim_cuda_templateIfEESt5tupleIJNS8_6TensorESD_SD_EERKSD_lbbbEUlllE1_EE10hipError_tPvRmT2_T3_mT4_P12ihipStream_tbEUlT_E_NS1_11comp_targetILNS1_3genE2ELNS1_11target_archE906ELNS1_3gpuE6ELNS1_3repE0EEENS1_30default_config_static_selectorELNS0_4arch9wavefront6targetE1EEEvT1_,"axG",@progbits,_ZN7rocprim17ROCPRIM_400000_NS6detail17trampoline_kernelINS0_14default_configENS1_35adjacent_difference_config_selectorILb0ElEEZNS1_24adjacent_difference_implIS3_Lb0ELb0EPlS7_ZN2at6native12_GLOBAL__N_124unique_dim_cuda_templateIfEESt5tupleIJNS8_6TensorESD_SD_EERKSD_lbbbEUlllE1_EE10hipError_tPvRmT2_T3_mT4_P12ihipStream_tbEUlT_E_NS1_11comp_targetILNS1_3genE2ELNS1_11target_archE906ELNS1_3gpuE6ELNS1_3repE0EEENS1_30default_config_static_selectorELNS0_4arch9wavefront6targetE1EEEvT1_,comdat
.Lfunc_end909:
	.size	_ZN7rocprim17ROCPRIM_400000_NS6detail17trampoline_kernelINS0_14default_configENS1_35adjacent_difference_config_selectorILb0ElEEZNS1_24adjacent_difference_implIS3_Lb0ELb0EPlS7_ZN2at6native12_GLOBAL__N_124unique_dim_cuda_templateIfEESt5tupleIJNS8_6TensorESD_SD_EERKSD_lbbbEUlllE1_EE10hipError_tPvRmT2_T3_mT4_P12ihipStream_tbEUlT_E_NS1_11comp_targetILNS1_3genE2ELNS1_11target_archE906ELNS1_3gpuE6ELNS1_3repE0EEENS1_30default_config_static_selectorELNS0_4arch9wavefront6targetE1EEEvT1_, .Lfunc_end909-_ZN7rocprim17ROCPRIM_400000_NS6detail17trampoline_kernelINS0_14default_configENS1_35adjacent_difference_config_selectorILb0ElEEZNS1_24adjacent_difference_implIS3_Lb0ELb0EPlS7_ZN2at6native12_GLOBAL__N_124unique_dim_cuda_templateIfEESt5tupleIJNS8_6TensorESD_SD_EERKSD_lbbbEUlllE1_EE10hipError_tPvRmT2_T3_mT4_P12ihipStream_tbEUlT_E_NS1_11comp_targetILNS1_3genE2ELNS1_11target_archE906ELNS1_3gpuE6ELNS1_3repE0EEENS1_30default_config_static_selectorELNS0_4arch9wavefront6targetE1EEEvT1_
                                        ; -- End function
	.section	.AMDGPU.csdata,"",@progbits
; Kernel info:
; codeLenInByte = 0
; NumSgprs: 4
; NumVgprs: 0
; NumAgprs: 0
; TotalNumVgprs: 0
; ScratchSize: 0
; MemoryBound: 0
; FloatMode: 240
; IeeeMode: 1
; LDSByteSize: 0 bytes/workgroup (compile time only)
; SGPRBlocks: 0
; VGPRBlocks: 0
; NumSGPRsForWavesPerEU: 4
; NumVGPRsForWavesPerEU: 1
; AccumOffset: 4
; Occupancy: 8
; WaveLimiterHint : 0
; COMPUTE_PGM_RSRC2:SCRATCH_EN: 0
; COMPUTE_PGM_RSRC2:USER_SGPR: 6
; COMPUTE_PGM_RSRC2:TRAP_HANDLER: 0
; COMPUTE_PGM_RSRC2:TGID_X_EN: 1
; COMPUTE_PGM_RSRC2:TGID_Y_EN: 0
; COMPUTE_PGM_RSRC2:TGID_Z_EN: 0
; COMPUTE_PGM_RSRC2:TIDIG_COMP_CNT: 0
; COMPUTE_PGM_RSRC3_GFX90A:ACCUM_OFFSET: 0
; COMPUTE_PGM_RSRC3_GFX90A:TG_SPLIT: 0
	.section	.text._ZN7rocprim17ROCPRIM_400000_NS6detail17trampoline_kernelINS0_14default_configENS1_35adjacent_difference_config_selectorILb0ElEEZNS1_24adjacent_difference_implIS3_Lb0ELb0EPlS7_ZN2at6native12_GLOBAL__N_124unique_dim_cuda_templateIfEESt5tupleIJNS8_6TensorESD_SD_EERKSD_lbbbEUlllE1_EE10hipError_tPvRmT2_T3_mT4_P12ihipStream_tbEUlT_E_NS1_11comp_targetILNS1_3genE9ELNS1_11target_archE1100ELNS1_3gpuE3ELNS1_3repE0EEENS1_30default_config_static_selectorELNS0_4arch9wavefront6targetE1EEEvT1_,"axG",@progbits,_ZN7rocprim17ROCPRIM_400000_NS6detail17trampoline_kernelINS0_14default_configENS1_35adjacent_difference_config_selectorILb0ElEEZNS1_24adjacent_difference_implIS3_Lb0ELb0EPlS7_ZN2at6native12_GLOBAL__N_124unique_dim_cuda_templateIfEESt5tupleIJNS8_6TensorESD_SD_EERKSD_lbbbEUlllE1_EE10hipError_tPvRmT2_T3_mT4_P12ihipStream_tbEUlT_E_NS1_11comp_targetILNS1_3genE9ELNS1_11target_archE1100ELNS1_3gpuE3ELNS1_3repE0EEENS1_30default_config_static_selectorELNS0_4arch9wavefront6targetE1EEEvT1_,comdat
	.globl	_ZN7rocprim17ROCPRIM_400000_NS6detail17trampoline_kernelINS0_14default_configENS1_35adjacent_difference_config_selectorILb0ElEEZNS1_24adjacent_difference_implIS3_Lb0ELb0EPlS7_ZN2at6native12_GLOBAL__N_124unique_dim_cuda_templateIfEESt5tupleIJNS8_6TensorESD_SD_EERKSD_lbbbEUlllE1_EE10hipError_tPvRmT2_T3_mT4_P12ihipStream_tbEUlT_E_NS1_11comp_targetILNS1_3genE9ELNS1_11target_archE1100ELNS1_3gpuE3ELNS1_3repE0EEENS1_30default_config_static_selectorELNS0_4arch9wavefront6targetE1EEEvT1_ ; -- Begin function _ZN7rocprim17ROCPRIM_400000_NS6detail17trampoline_kernelINS0_14default_configENS1_35adjacent_difference_config_selectorILb0ElEEZNS1_24adjacent_difference_implIS3_Lb0ELb0EPlS7_ZN2at6native12_GLOBAL__N_124unique_dim_cuda_templateIfEESt5tupleIJNS8_6TensorESD_SD_EERKSD_lbbbEUlllE1_EE10hipError_tPvRmT2_T3_mT4_P12ihipStream_tbEUlT_E_NS1_11comp_targetILNS1_3genE9ELNS1_11target_archE1100ELNS1_3gpuE3ELNS1_3repE0EEENS1_30default_config_static_selectorELNS0_4arch9wavefront6targetE1EEEvT1_
	.p2align	8
	.type	_ZN7rocprim17ROCPRIM_400000_NS6detail17trampoline_kernelINS0_14default_configENS1_35adjacent_difference_config_selectorILb0ElEEZNS1_24adjacent_difference_implIS3_Lb0ELb0EPlS7_ZN2at6native12_GLOBAL__N_124unique_dim_cuda_templateIfEESt5tupleIJNS8_6TensorESD_SD_EERKSD_lbbbEUlllE1_EE10hipError_tPvRmT2_T3_mT4_P12ihipStream_tbEUlT_E_NS1_11comp_targetILNS1_3genE9ELNS1_11target_archE1100ELNS1_3gpuE3ELNS1_3repE0EEENS1_30default_config_static_selectorELNS0_4arch9wavefront6targetE1EEEvT1_,@function
_ZN7rocprim17ROCPRIM_400000_NS6detail17trampoline_kernelINS0_14default_configENS1_35adjacent_difference_config_selectorILb0ElEEZNS1_24adjacent_difference_implIS3_Lb0ELb0EPlS7_ZN2at6native12_GLOBAL__N_124unique_dim_cuda_templateIfEESt5tupleIJNS8_6TensorESD_SD_EERKSD_lbbbEUlllE1_EE10hipError_tPvRmT2_T3_mT4_P12ihipStream_tbEUlT_E_NS1_11comp_targetILNS1_3genE9ELNS1_11target_archE1100ELNS1_3gpuE3ELNS1_3repE0EEENS1_30default_config_static_selectorELNS0_4arch9wavefront6targetE1EEEvT1_: ; @_ZN7rocprim17ROCPRIM_400000_NS6detail17trampoline_kernelINS0_14default_configENS1_35adjacent_difference_config_selectorILb0ElEEZNS1_24adjacent_difference_implIS3_Lb0ELb0EPlS7_ZN2at6native12_GLOBAL__N_124unique_dim_cuda_templateIfEESt5tupleIJNS8_6TensorESD_SD_EERKSD_lbbbEUlllE1_EE10hipError_tPvRmT2_T3_mT4_P12ihipStream_tbEUlT_E_NS1_11comp_targetILNS1_3genE9ELNS1_11target_archE1100ELNS1_3gpuE3ELNS1_3repE0EEENS1_30default_config_static_selectorELNS0_4arch9wavefront6targetE1EEEvT1_
; %bb.0:
	.section	.rodata,"a",@progbits
	.p2align	6, 0x0
	.amdhsa_kernel _ZN7rocprim17ROCPRIM_400000_NS6detail17trampoline_kernelINS0_14default_configENS1_35adjacent_difference_config_selectorILb0ElEEZNS1_24adjacent_difference_implIS3_Lb0ELb0EPlS7_ZN2at6native12_GLOBAL__N_124unique_dim_cuda_templateIfEESt5tupleIJNS8_6TensorESD_SD_EERKSD_lbbbEUlllE1_EE10hipError_tPvRmT2_T3_mT4_P12ihipStream_tbEUlT_E_NS1_11comp_targetILNS1_3genE9ELNS1_11target_archE1100ELNS1_3gpuE3ELNS1_3repE0EEENS1_30default_config_static_selectorELNS0_4arch9wavefront6targetE1EEEvT1_
		.amdhsa_group_segment_fixed_size 0
		.amdhsa_private_segment_fixed_size 0
		.amdhsa_kernarg_size 64
		.amdhsa_user_sgpr_count 6
		.amdhsa_user_sgpr_private_segment_buffer 1
		.amdhsa_user_sgpr_dispatch_ptr 0
		.amdhsa_user_sgpr_queue_ptr 0
		.amdhsa_user_sgpr_kernarg_segment_ptr 1
		.amdhsa_user_sgpr_dispatch_id 0
		.amdhsa_user_sgpr_flat_scratch_init 0
		.amdhsa_user_sgpr_kernarg_preload_length 0
		.amdhsa_user_sgpr_kernarg_preload_offset 0
		.amdhsa_user_sgpr_private_segment_size 0
		.amdhsa_uses_dynamic_stack 0
		.amdhsa_system_sgpr_private_segment_wavefront_offset 0
		.amdhsa_system_sgpr_workgroup_id_x 1
		.amdhsa_system_sgpr_workgroup_id_y 0
		.amdhsa_system_sgpr_workgroup_id_z 0
		.amdhsa_system_sgpr_workgroup_info 0
		.amdhsa_system_vgpr_workitem_id 0
		.amdhsa_next_free_vgpr 1
		.amdhsa_next_free_sgpr 0
		.amdhsa_accum_offset 4
		.amdhsa_reserve_vcc 0
		.amdhsa_reserve_flat_scratch 0
		.amdhsa_float_round_mode_32 0
		.amdhsa_float_round_mode_16_64 0
		.amdhsa_float_denorm_mode_32 3
		.amdhsa_float_denorm_mode_16_64 3
		.amdhsa_dx10_clamp 1
		.amdhsa_ieee_mode 1
		.amdhsa_fp16_overflow 0
		.amdhsa_tg_split 0
		.amdhsa_exception_fp_ieee_invalid_op 0
		.amdhsa_exception_fp_denorm_src 0
		.amdhsa_exception_fp_ieee_div_zero 0
		.amdhsa_exception_fp_ieee_overflow 0
		.amdhsa_exception_fp_ieee_underflow 0
		.amdhsa_exception_fp_ieee_inexact 0
		.amdhsa_exception_int_div_zero 0
	.end_amdhsa_kernel
	.section	.text._ZN7rocprim17ROCPRIM_400000_NS6detail17trampoline_kernelINS0_14default_configENS1_35adjacent_difference_config_selectorILb0ElEEZNS1_24adjacent_difference_implIS3_Lb0ELb0EPlS7_ZN2at6native12_GLOBAL__N_124unique_dim_cuda_templateIfEESt5tupleIJNS8_6TensorESD_SD_EERKSD_lbbbEUlllE1_EE10hipError_tPvRmT2_T3_mT4_P12ihipStream_tbEUlT_E_NS1_11comp_targetILNS1_3genE9ELNS1_11target_archE1100ELNS1_3gpuE3ELNS1_3repE0EEENS1_30default_config_static_selectorELNS0_4arch9wavefront6targetE1EEEvT1_,"axG",@progbits,_ZN7rocprim17ROCPRIM_400000_NS6detail17trampoline_kernelINS0_14default_configENS1_35adjacent_difference_config_selectorILb0ElEEZNS1_24adjacent_difference_implIS3_Lb0ELb0EPlS7_ZN2at6native12_GLOBAL__N_124unique_dim_cuda_templateIfEESt5tupleIJNS8_6TensorESD_SD_EERKSD_lbbbEUlllE1_EE10hipError_tPvRmT2_T3_mT4_P12ihipStream_tbEUlT_E_NS1_11comp_targetILNS1_3genE9ELNS1_11target_archE1100ELNS1_3gpuE3ELNS1_3repE0EEENS1_30default_config_static_selectorELNS0_4arch9wavefront6targetE1EEEvT1_,comdat
.Lfunc_end910:
	.size	_ZN7rocprim17ROCPRIM_400000_NS6detail17trampoline_kernelINS0_14default_configENS1_35adjacent_difference_config_selectorILb0ElEEZNS1_24adjacent_difference_implIS3_Lb0ELb0EPlS7_ZN2at6native12_GLOBAL__N_124unique_dim_cuda_templateIfEESt5tupleIJNS8_6TensorESD_SD_EERKSD_lbbbEUlllE1_EE10hipError_tPvRmT2_T3_mT4_P12ihipStream_tbEUlT_E_NS1_11comp_targetILNS1_3genE9ELNS1_11target_archE1100ELNS1_3gpuE3ELNS1_3repE0EEENS1_30default_config_static_selectorELNS0_4arch9wavefront6targetE1EEEvT1_, .Lfunc_end910-_ZN7rocprim17ROCPRIM_400000_NS6detail17trampoline_kernelINS0_14default_configENS1_35adjacent_difference_config_selectorILb0ElEEZNS1_24adjacent_difference_implIS3_Lb0ELb0EPlS7_ZN2at6native12_GLOBAL__N_124unique_dim_cuda_templateIfEESt5tupleIJNS8_6TensorESD_SD_EERKSD_lbbbEUlllE1_EE10hipError_tPvRmT2_T3_mT4_P12ihipStream_tbEUlT_E_NS1_11comp_targetILNS1_3genE9ELNS1_11target_archE1100ELNS1_3gpuE3ELNS1_3repE0EEENS1_30default_config_static_selectorELNS0_4arch9wavefront6targetE1EEEvT1_
                                        ; -- End function
	.section	.AMDGPU.csdata,"",@progbits
; Kernel info:
; codeLenInByte = 0
; NumSgprs: 4
; NumVgprs: 0
; NumAgprs: 0
; TotalNumVgprs: 0
; ScratchSize: 0
; MemoryBound: 0
; FloatMode: 240
; IeeeMode: 1
; LDSByteSize: 0 bytes/workgroup (compile time only)
; SGPRBlocks: 0
; VGPRBlocks: 0
; NumSGPRsForWavesPerEU: 4
; NumVGPRsForWavesPerEU: 1
; AccumOffset: 4
; Occupancy: 8
; WaveLimiterHint : 0
; COMPUTE_PGM_RSRC2:SCRATCH_EN: 0
; COMPUTE_PGM_RSRC2:USER_SGPR: 6
; COMPUTE_PGM_RSRC2:TRAP_HANDLER: 0
; COMPUTE_PGM_RSRC2:TGID_X_EN: 1
; COMPUTE_PGM_RSRC2:TGID_Y_EN: 0
; COMPUTE_PGM_RSRC2:TGID_Z_EN: 0
; COMPUTE_PGM_RSRC2:TIDIG_COMP_CNT: 0
; COMPUTE_PGM_RSRC3_GFX90A:ACCUM_OFFSET: 0
; COMPUTE_PGM_RSRC3_GFX90A:TG_SPLIT: 0
	.section	.text._ZN7rocprim17ROCPRIM_400000_NS6detail17trampoline_kernelINS0_14default_configENS1_35adjacent_difference_config_selectorILb0ElEEZNS1_24adjacent_difference_implIS3_Lb0ELb0EPlS7_ZN2at6native12_GLOBAL__N_124unique_dim_cuda_templateIfEESt5tupleIJNS8_6TensorESD_SD_EERKSD_lbbbEUlllE1_EE10hipError_tPvRmT2_T3_mT4_P12ihipStream_tbEUlT_E_NS1_11comp_targetILNS1_3genE8ELNS1_11target_archE1030ELNS1_3gpuE2ELNS1_3repE0EEENS1_30default_config_static_selectorELNS0_4arch9wavefront6targetE1EEEvT1_,"axG",@progbits,_ZN7rocprim17ROCPRIM_400000_NS6detail17trampoline_kernelINS0_14default_configENS1_35adjacent_difference_config_selectorILb0ElEEZNS1_24adjacent_difference_implIS3_Lb0ELb0EPlS7_ZN2at6native12_GLOBAL__N_124unique_dim_cuda_templateIfEESt5tupleIJNS8_6TensorESD_SD_EERKSD_lbbbEUlllE1_EE10hipError_tPvRmT2_T3_mT4_P12ihipStream_tbEUlT_E_NS1_11comp_targetILNS1_3genE8ELNS1_11target_archE1030ELNS1_3gpuE2ELNS1_3repE0EEENS1_30default_config_static_selectorELNS0_4arch9wavefront6targetE1EEEvT1_,comdat
	.globl	_ZN7rocprim17ROCPRIM_400000_NS6detail17trampoline_kernelINS0_14default_configENS1_35adjacent_difference_config_selectorILb0ElEEZNS1_24adjacent_difference_implIS3_Lb0ELb0EPlS7_ZN2at6native12_GLOBAL__N_124unique_dim_cuda_templateIfEESt5tupleIJNS8_6TensorESD_SD_EERKSD_lbbbEUlllE1_EE10hipError_tPvRmT2_T3_mT4_P12ihipStream_tbEUlT_E_NS1_11comp_targetILNS1_3genE8ELNS1_11target_archE1030ELNS1_3gpuE2ELNS1_3repE0EEENS1_30default_config_static_selectorELNS0_4arch9wavefront6targetE1EEEvT1_ ; -- Begin function _ZN7rocprim17ROCPRIM_400000_NS6detail17trampoline_kernelINS0_14default_configENS1_35adjacent_difference_config_selectorILb0ElEEZNS1_24adjacent_difference_implIS3_Lb0ELb0EPlS7_ZN2at6native12_GLOBAL__N_124unique_dim_cuda_templateIfEESt5tupleIJNS8_6TensorESD_SD_EERKSD_lbbbEUlllE1_EE10hipError_tPvRmT2_T3_mT4_P12ihipStream_tbEUlT_E_NS1_11comp_targetILNS1_3genE8ELNS1_11target_archE1030ELNS1_3gpuE2ELNS1_3repE0EEENS1_30default_config_static_selectorELNS0_4arch9wavefront6targetE1EEEvT1_
	.p2align	8
	.type	_ZN7rocprim17ROCPRIM_400000_NS6detail17trampoline_kernelINS0_14default_configENS1_35adjacent_difference_config_selectorILb0ElEEZNS1_24adjacent_difference_implIS3_Lb0ELb0EPlS7_ZN2at6native12_GLOBAL__N_124unique_dim_cuda_templateIfEESt5tupleIJNS8_6TensorESD_SD_EERKSD_lbbbEUlllE1_EE10hipError_tPvRmT2_T3_mT4_P12ihipStream_tbEUlT_E_NS1_11comp_targetILNS1_3genE8ELNS1_11target_archE1030ELNS1_3gpuE2ELNS1_3repE0EEENS1_30default_config_static_selectorELNS0_4arch9wavefront6targetE1EEEvT1_,@function
_ZN7rocprim17ROCPRIM_400000_NS6detail17trampoline_kernelINS0_14default_configENS1_35adjacent_difference_config_selectorILb0ElEEZNS1_24adjacent_difference_implIS3_Lb0ELb0EPlS7_ZN2at6native12_GLOBAL__N_124unique_dim_cuda_templateIfEESt5tupleIJNS8_6TensorESD_SD_EERKSD_lbbbEUlllE1_EE10hipError_tPvRmT2_T3_mT4_P12ihipStream_tbEUlT_E_NS1_11comp_targetILNS1_3genE8ELNS1_11target_archE1030ELNS1_3gpuE2ELNS1_3repE0EEENS1_30default_config_static_selectorELNS0_4arch9wavefront6targetE1EEEvT1_: ; @_ZN7rocprim17ROCPRIM_400000_NS6detail17trampoline_kernelINS0_14default_configENS1_35adjacent_difference_config_selectorILb0ElEEZNS1_24adjacent_difference_implIS3_Lb0ELb0EPlS7_ZN2at6native12_GLOBAL__N_124unique_dim_cuda_templateIfEESt5tupleIJNS8_6TensorESD_SD_EERKSD_lbbbEUlllE1_EE10hipError_tPvRmT2_T3_mT4_P12ihipStream_tbEUlT_E_NS1_11comp_targetILNS1_3genE8ELNS1_11target_archE1030ELNS1_3gpuE2ELNS1_3repE0EEENS1_30default_config_static_selectorELNS0_4arch9wavefront6targetE1EEEvT1_
; %bb.0:
	.section	.rodata,"a",@progbits
	.p2align	6, 0x0
	.amdhsa_kernel _ZN7rocprim17ROCPRIM_400000_NS6detail17trampoline_kernelINS0_14default_configENS1_35adjacent_difference_config_selectorILb0ElEEZNS1_24adjacent_difference_implIS3_Lb0ELb0EPlS7_ZN2at6native12_GLOBAL__N_124unique_dim_cuda_templateIfEESt5tupleIJNS8_6TensorESD_SD_EERKSD_lbbbEUlllE1_EE10hipError_tPvRmT2_T3_mT4_P12ihipStream_tbEUlT_E_NS1_11comp_targetILNS1_3genE8ELNS1_11target_archE1030ELNS1_3gpuE2ELNS1_3repE0EEENS1_30default_config_static_selectorELNS0_4arch9wavefront6targetE1EEEvT1_
		.amdhsa_group_segment_fixed_size 0
		.amdhsa_private_segment_fixed_size 0
		.amdhsa_kernarg_size 64
		.amdhsa_user_sgpr_count 6
		.amdhsa_user_sgpr_private_segment_buffer 1
		.amdhsa_user_sgpr_dispatch_ptr 0
		.amdhsa_user_sgpr_queue_ptr 0
		.amdhsa_user_sgpr_kernarg_segment_ptr 1
		.amdhsa_user_sgpr_dispatch_id 0
		.amdhsa_user_sgpr_flat_scratch_init 0
		.amdhsa_user_sgpr_kernarg_preload_length 0
		.amdhsa_user_sgpr_kernarg_preload_offset 0
		.amdhsa_user_sgpr_private_segment_size 0
		.amdhsa_uses_dynamic_stack 0
		.amdhsa_system_sgpr_private_segment_wavefront_offset 0
		.amdhsa_system_sgpr_workgroup_id_x 1
		.amdhsa_system_sgpr_workgroup_id_y 0
		.amdhsa_system_sgpr_workgroup_id_z 0
		.amdhsa_system_sgpr_workgroup_info 0
		.amdhsa_system_vgpr_workitem_id 0
		.amdhsa_next_free_vgpr 1
		.amdhsa_next_free_sgpr 0
		.amdhsa_accum_offset 4
		.amdhsa_reserve_vcc 0
		.amdhsa_reserve_flat_scratch 0
		.amdhsa_float_round_mode_32 0
		.amdhsa_float_round_mode_16_64 0
		.amdhsa_float_denorm_mode_32 3
		.amdhsa_float_denorm_mode_16_64 3
		.amdhsa_dx10_clamp 1
		.amdhsa_ieee_mode 1
		.amdhsa_fp16_overflow 0
		.amdhsa_tg_split 0
		.amdhsa_exception_fp_ieee_invalid_op 0
		.amdhsa_exception_fp_denorm_src 0
		.amdhsa_exception_fp_ieee_div_zero 0
		.amdhsa_exception_fp_ieee_overflow 0
		.amdhsa_exception_fp_ieee_underflow 0
		.amdhsa_exception_fp_ieee_inexact 0
		.amdhsa_exception_int_div_zero 0
	.end_amdhsa_kernel
	.section	.text._ZN7rocprim17ROCPRIM_400000_NS6detail17trampoline_kernelINS0_14default_configENS1_35adjacent_difference_config_selectorILb0ElEEZNS1_24adjacent_difference_implIS3_Lb0ELb0EPlS7_ZN2at6native12_GLOBAL__N_124unique_dim_cuda_templateIfEESt5tupleIJNS8_6TensorESD_SD_EERKSD_lbbbEUlllE1_EE10hipError_tPvRmT2_T3_mT4_P12ihipStream_tbEUlT_E_NS1_11comp_targetILNS1_3genE8ELNS1_11target_archE1030ELNS1_3gpuE2ELNS1_3repE0EEENS1_30default_config_static_selectorELNS0_4arch9wavefront6targetE1EEEvT1_,"axG",@progbits,_ZN7rocprim17ROCPRIM_400000_NS6detail17trampoline_kernelINS0_14default_configENS1_35adjacent_difference_config_selectorILb0ElEEZNS1_24adjacent_difference_implIS3_Lb0ELb0EPlS7_ZN2at6native12_GLOBAL__N_124unique_dim_cuda_templateIfEESt5tupleIJNS8_6TensorESD_SD_EERKSD_lbbbEUlllE1_EE10hipError_tPvRmT2_T3_mT4_P12ihipStream_tbEUlT_E_NS1_11comp_targetILNS1_3genE8ELNS1_11target_archE1030ELNS1_3gpuE2ELNS1_3repE0EEENS1_30default_config_static_selectorELNS0_4arch9wavefront6targetE1EEEvT1_,comdat
.Lfunc_end911:
	.size	_ZN7rocprim17ROCPRIM_400000_NS6detail17trampoline_kernelINS0_14default_configENS1_35adjacent_difference_config_selectorILb0ElEEZNS1_24adjacent_difference_implIS3_Lb0ELb0EPlS7_ZN2at6native12_GLOBAL__N_124unique_dim_cuda_templateIfEESt5tupleIJNS8_6TensorESD_SD_EERKSD_lbbbEUlllE1_EE10hipError_tPvRmT2_T3_mT4_P12ihipStream_tbEUlT_E_NS1_11comp_targetILNS1_3genE8ELNS1_11target_archE1030ELNS1_3gpuE2ELNS1_3repE0EEENS1_30default_config_static_selectorELNS0_4arch9wavefront6targetE1EEEvT1_, .Lfunc_end911-_ZN7rocprim17ROCPRIM_400000_NS6detail17trampoline_kernelINS0_14default_configENS1_35adjacent_difference_config_selectorILb0ElEEZNS1_24adjacent_difference_implIS3_Lb0ELb0EPlS7_ZN2at6native12_GLOBAL__N_124unique_dim_cuda_templateIfEESt5tupleIJNS8_6TensorESD_SD_EERKSD_lbbbEUlllE1_EE10hipError_tPvRmT2_T3_mT4_P12ihipStream_tbEUlT_E_NS1_11comp_targetILNS1_3genE8ELNS1_11target_archE1030ELNS1_3gpuE2ELNS1_3repE0EEENS1_30default_config_static_selectorELNS0_4arch9wavefront6targetE1EEEvT1_
                                        ; -- End function
	.section	.AMDGPU.csdata,"",@progbits
; Kernel info:
; codeLenInByte = 0
; NumSgprs: 4
; NumVgprs: 0
; NumAgprs: 0
; TotalNumVgprs: 0
; ScratchSize: 0
; MemoryBound: 0
; FloatMode: 240
; IeeeMode: 1
; LDSByteSize: 0 bytes/workgroup (compile time only)
; SGPRBlocks: 0
; VGPRBlocks: 0
; NumSGPRsForWavesPerEU: 4
; NumVGPRsForWavesPerEU: 1
; AccumOffset: 4
; Occupancy: 8
; WaveLimiterHint : 0
; COMPUTE_PGM_RSRC2:SCRATCH_EN: 0
; COMPUTE_PGM_RSRC2:USER_SGPR: 6
; COMPUTE_PGM_RSRC2:TRAP_HANDLER: 0
; COMPUTE_PGM_RSRC2:TGID_X_EN: 1
; COMPUTE_PGM_RSRC2:TGID_Y_EN: 0
; COMPUTE_PGM_RSRC2:TGID_Z_EN: 0
; COMPUTE_PGM_RSRC2:TIDIG_COMP_CNT: 0
; COMPUTE_PGM_RSRC3_GFX90A:ACCUM_OFFSET: 0
; COMPUTE_PGM_RSRC3_GFX90A:TG_SPLIT: 0
	.section	.text._ZN7rocprim17ROCPRIM_400000_NS6detail17trampoline_kernelINS0_14default_configENS1_25transform_config_selectorIlLb0EEEZNS1_14transform_implILb0ES3_S5_NS0_18transform_iteratorINS0_17counting_iteratorImlEEZNS1_24adjacent_difference_implIS3_Lb1ELb0EPlSB_ZN2at6native12_GLOBAL__N_124unique_dim_cuda_templateIfEESt5tupleIJNSC_6TensorESH_SH_EERKSH_lbbbEUlllE1_EE10hipError_tPvRmT2_T3_mT4_P12ihipStream_tbEUlmE_lEESB_NS0_8identityIvEEEESM_SP_SQ_mSR_ST_bEUlT_E_NS1_11comp_targetILNS1_3genE0ELNS1_11target_archE4294967295ELNS1_3gpuE0ELNS1_3repE0EEENS1_30default_config_static_selectorELNS0_4arch9wavefront6targetE1EEEvT1_,"axG",@progbits,_ZN7rocprim17ROCPRIM_400000_NS6detail17trampoline_kernelINS0_14default_configENS1_25transform_config_selectorIlLb0EEEZNS1_14transform_implILb0ES3_S5_NS0_18transform_iteratorINS0_17counting_iteratorImlEEZNS1_24adjacent_difference_implIS3_Lb1ELb0EPlSB_ZN2at6native12_GLOBAL__N_124unique_dim_cuda_templateIfEESt5tupleIJNSC_6TensorESH_SH_EERKSH_lbbbEUlllE1_EE10hipError_tPvRmT2_T3_mT4_P12ihipStream_tbEUlmE_lEESB_NS0_8identityIvEEEESM_SP_SQ_mSR_ST_bEUlT_E_NS1_11comp_targetILNS1_3genE0ELNS1_11target_archE4294967295ELNS1_3gpuE0ELNS1_3repE0EEENS1_30default_config_static_selectorELNS0_4arch9wavefront6targetE1EEEvT1_,comdat
	.globl	_ZN7rocprim17ROCPRIM_400000_NS6detail17trampoline_kernelINS0_14default_configENS1_25transform_config_selectorIlLb0EEEZNS1_14transform_implILb0ES3_S5_NS0_18transform_iteratorINS0_17counting_iteratorImlEEZNS1_24adjacent_difference_implIS3_Lb1ELb0EPlSB_ZN2at6native12_GLOBAL__N_124unique_dim_cuda_templateIfEESt5tupleIJNSC_6TensorESH_SH_EERKSH_lbbbEUlllE1_EE10hipError_tPvRmT2_T3_mT4_P12ihipStream_tbEUlmE_lEESB_NS0_8identityIvEEEESM_SP_SQ_mSR_ST_bEUlT_E_NS1_11comp_targetILNS1_3genE0ELNS1_11target_archE4294967295ELNS1_3gpuE0ELNS1_3repE0EEENS1_30default_config_static_selectorELNS0_4arch9wavefront6targetE1EEEvT1_ ; -- Begin function _ZN7rocprim17ROCPRIM_400000_NS6detail17trampoline_kernelINS0_14default_configENS1_25transform_config_selectorIlLb0EEEZNS1_14transform_implILb0ES3_S5_NS0_18transform_iteratorINS0_17counting_iteratorImlEEZNS1_24adjacent_difference_implIS3_Lb1ELb0EPlSB_ZN2at6native12_GLOBAL__N_124unique_dim_cuda_templateIfEESt5tupleIJNSC_6TensorESH_SH_EERKSH_lbbbEUlllE1_EE10hipError_tPvRmT2_T3_mT4_P12ihipStream_tbEUlmE_lEESB_NS0_8identityIvEEEESM_SP_SQ_mSR_ST_bEUlT_E_NS1_11comp_targetILNS1_3genE0ELNS1_11target_archE4294967295ELNS1_3gpuE0ELNS1_3repE0EEENS1_30default_config_static_selectorELNS0_4arch9wavefront6targetE1EEEvT1_
	.p2align	8
	.type	_ZN7rocprim17ROCPRIM_400000_NS6detail17trampoline_kernelINS0_14default_configENS1_25transform_config_selectorIlLb0EEEZNS1_14transform_implILb0ES3_S5_NS0_18transform_iteratorINS0_17counting_iteratorImlEEZNS1_24adjacent_difference_implIS3_Lb1ELb0EPlSB_ZN2at6native12_GLOBAL__N_124unique_dim_cuda_templateIfEESt5tupleIJNSC_6TensorESH_SH_EERKSH_lbbbEUlllE1_EE10hipError_tPvRmT2_T3_mT4_P12ihipStream_tbEUlmE_lEESB_NS0_8identityIvEEEESM_SP_SQ_mSR_ST_bEUlT_E_NS1_11comp_targetILNS1_3genE0ELNS1_11target_archE4294967295ELNS1_3gpuE0ELNS1_3repE0EEENS1_30default_config_static_selectorELNS0_4arch9wavefront6targetE1EEEvT1_,@function
_ZN7rocprim17ROCPRIM_400000_NS6detail17trampoline_kernelINS0_14default_configENS1_25transform_config_selectorIlLb0EEEZNS1_14transform_implILb0ES3_S5_NS0_18transform_iteratorINS0_17counting_iteratorImlEEZNS1_24adjacent_difference_implIS3_Lb1ELb0EPlSB_ZN2at6native12_GLOBAL__N_124unique_dim_cuda_templateIfEESt5tupleIJNSC_6TensorESH_SH_EERKSH_lbbbEUlllE1_EE10hipError_tPvRmT2_T3_mT4_P12ihipStream_tbEUlmE_lEESB_NS0_8identityIvEEEESM_SP_SQ_mSR_ST_bEUlT_E_NS1_11comp_targetILNS1_3genE0ELNS1_11target_archE4294967295ELNS1_3gpuE0ELNS1_3repE0EEENS1_30default_config_static_selectorELNS0_4arch9wavefront6targetE1EEEvT1_: ; @_ZN7rocprim17ROCPRIM_400000_NS6detail17trampoline_kernelINS0_14default_configENS1_25transform_config_selectorIlLb0EEEZNS1_14transform_implILb0ES3_S5_NS0_18transform_iteratorINS0_17counting_iteratorImlEEZNS1_24adjacent_difference_implIS3_Lb1ELb0EPlSB_ZN2at6native12_GLOBAL__N_124unique_dim_cuda_templateIfEESt5tupleIJNSC_6TensorESH_SH_EERKSH_lbbbEUlllE1_EE10hipError_tPvRmT2_T3_mT4_P12ihipStream_tbEUlmE_lEESB_NS0_8identityIvEEEESM_SP_SQ_mSR_ST_bEUlT_E_NS1_11comp_targetILNS1_3genE0ELNS1_11target_archE4294967295ELNS1_3gpuE0ELNS1_3repE0EEENS1_30default_config_static_selectorELNS0_4arch9wavefront6targetE1EEEvT1_
; %bb.0:
	.section	.rodata,"a",@progbits
	.p2align	6, 0x0
	.amdhsa_kernel _ZN7rocprim17ROCPRIM_400000_NS6detail17trampoline_kernelINS0_14default_configENS1_25transform_config_selectorIlLb0EEEZNS1_14transform_implILb0ES3_S5_NS0_18transform_iteratorINS0_17counting_iteratorImlEEZNS1_24adjacent_difference_implIS3_Lb1ELb0EPlSB_ZN2at6native12_GLOBAL__N_124unique_dim_cuda_templateIfEESt5tupleIJNSC_6TensorESH_SH_EERKSH_lbbbEUlllE1_EE10hipError_tPvRmT2_T3_mT4_P12ihipStream_tbEUlmE_lEESB_NS0_8identityIvEEEESM_SP_SQ_mSR_ST_bEUlT_E_NS1_11comp_targetILNS1_3genE0ELNS1_11target_archE4294967295ELNS1_3gpuE0ELNS1_3repE0EEENS1_30default_config_static_selectorELNS0_4arch9wavefront6targetE1EEEvT1_
		.amdhsa_group_segment_fixed_size 0
		.amdhsa_private_segment_fixed_size 0
		.amdhsa_kernarg_size 56
		.amdhsa_user_sgpr_count 6
		.amdhsa_user_sgpr_private_segment_buffer 1
		.amdhsa_user_sgpr_dispatch_ptr 0
		.amdhsa_user_sgpr_queue_ptr 0
		.amdhsa_user_sgpr_kernarg_segment_ptr 1
		.amdhsa_user_sgpr_dispatch_id 0
		.amdhsa_user_sgpr_flat_scratch_init 0
		.amdhsa_user_sgpr_kernarg_preload_length 0
		.amdhsa_user_sgpr_kernarg_preload_offset 0
		.amdhsa_user_sgpr_private_segment_size 0
		.amdhsa_uses_dynamic_stack 0
		.amdhsa_system_sgpr_private_segment_wavefront_offset 0
		.amdhsa_system_sgpr_workgroup_id_x 1
		.amdhsa_system_sgpr_workgroup_id_y 0
		.amdhsa_system_sgpr_workgroup_id_z 0
		.amdhsa_system_sgpr_workgroup_info 0
		.amdhsa_system_vgpr_workitem_id 0
		.amdhsa_next_free_vgpr 1
		.amdhsa_next_free_sgpr 0
		.amdhsa_accum_offset 4
		.amdhsa_reserve_vcc 0
		.amdhsa_reserve_flat_scratch 0
		.amdhsa_float_round_mode_32 0
		.amdhsa_float_round_mode_16_64 0
		.amdhsa_float_denorm_mode_32 3
		.amdhsa_float_denorm_mode_16_64 3
		.amdhsa_dx10_clamp 1
		.amdhsa_ieee_mode 1
		.amdhsa_fp16_overflow 0
		.amdhsa_tg_split 0
		.amdhsa_exception_fp_ieee_invalid_op 0
		.amdhsa_exception_fp_denorm_src 0
		.amdhsa_exception_fp_ieee_div_zero 0
		.amdhsa_exception_fp_ieee_overflow 0
		.amdhsa_exception_fp_ieee_underflow 0
		.amdhsa_exception_fp_ieee_inexact 0
		.amdhsa_exception_int_div_zero 0
	.end_amdhsa_kernel
	.section	.text._ZN7rocprim17ROCPRIM_400000_NS6detail17trampoline_kernelINS0_14default_configENS1_25transform_config_selectorIlLb0EEEZNS1_14transform_implILb0ES3_S5_NS0_18transform_iteratorINS0_17counting_iteratorImlEEZNS1_24adjacent_difference_implIS3_Lb1ELb0EPlSB_ZN2at6native12_GLOBAL__N_124unique_dim_cuda_templateIfEESt5tupleIJNSC_6TensorESH_SH_EERKSH_lbbbEUlllE1_EE10hipError_tPvRmT2_T3_mT4_P12ihipStream_tbEUlmE_lEESB_NS0_8identityIvEEEESM_SP_SQ_mSR_ST_bEUlT_E_NS1_11comp_targetILNS1_3genE0ELNS1_11target_archE4294967295ELNS1_3gpuE0ELNS1_3repE0EEENS1_30default_config_static_selectorELNS0_4arch9wavefront6targetE1EEEvT1_,"axG",@progbits,_ZN7rocprim17ROCPRIM_400000_NS6detail17trampoline_kernelINS0_14default_configENS1_25transform_config_selectorIlLb0EEEZNS1_14transform_implILb0ES3_S5_NS0_18transform_iteratorINS0_17counting_iteratorImlEEZNS1_24adjacent_difference_implIS3_Lb1ELb0EPlSB_ZN2at6native12_GLOBAL__N_124unique_dim_cuda_templateIfEESt5tupleIJNSC_6TensorESH_SH_EERKSH_lbbbEUlllE1_EE10hipError_tPvRmT2_T3_mT4_P12ihipStream_tbEUlmE_lEESB_NS0_8identityIvEEEESM_SP_SQ_mSR_ST_bEUlT_E_NS1_11comp_targetILNS1_3genE0ELNS1_11target_archE4294967295ELNS1_3gpuE0ELNS1_3repE0EEENS1_30default_config_static_selectorELNS0_4arch9wavefront6targetE1EEEvT1_,comdat
.Lfunc_end912:
	.size	_ZN7rocprim17ROCPRIM_400000_NS6detail17trampoline_kernelINS0_14default_configENS1_25transform_config_selectorIlLb0EEEZNS1_14transform_implILb0ES3_S5_NS0_18transform_iteratorINS0_17counting_iteratorImlEEZNS1_24adjacent_difference_implIS3_Lb1ELb0EPlSB_ZN2at6native12_GLOBAL__N_124unique_dim_cuda_templateIfEESt5tupleIJNSC_6TensorESH_SH_EERKSH_lbbbEUlllE1_EE10hipError_tPvRmT2_T3_mT4_P12ihipStream_tbEUlmE_lEESB_NS0_8identityIvEEEESM_SP_SQ_mSR_ST_bEUlT_E_NS1_11comp_targetILNS1_3genE0ELNS1_11target_archE4294967295ELNS1_3gpuE0ELNS1_3repE0EEENS1_30default_config_static_selectorELNS0_4arch9wavefront6targetE1EEEvT1_, .Lfunc_end912-_ZN7rocprim17ROCPRIM_400000_NS6detail17trampoline_kernelINS0_14default_configENS1_25transform_config_selectorIlLb0EEEZNS1_14transform_implILb0ES3_S5_NS0_18transform_iteratorINS0_17counting_iteratorImlEEZNS1_24adjacent_difference_implIS3_Lb1ELb0EPlSB_ZN2at6native12_GLOBAL__N_124unique_dim_cuda_templateIfEESt5tupleIJNSC_6TensorESH_SH_EERKSH_lbbbEUlllE1_EE10hipError_tPvRmT2_T3_mT4_P12ihipStream_tbEUlmE_lEESB_NS0_8identityIvEEEESM_SP_SQ_mSR_ST_bEUlT_E_NS1_11comp_targetILNS1_3genE0ELNS1_11target_archE4294967295ELNS1_3gpuE0ELNS1_3repE0EEENS1_30default_config_static_selectorELNS0_4arch9wavefront6targetE1EEEvT1_
                                        ; -- End function
	.section	.AMDGPU.csdata,"",@progbits
; Kernel info:
; codeLenInByte = 0
; NumSgprs: 4
; NumVgprs: 0
; NumAgprs: 0
; TotalNumVgprs: 0
; ScratchSize: 0
; MemoryBound: 0
; FloatMode: 240
; IeeeMode: 1
; LDSByteSize: 0 bytes/workgroup (compile time only)
; SGPRBlocks: 0
; VGPRBlocks: 0
; NumSGPRsForWavesPerEU: 4
; NumVGPRsForWavesPerEU: 1
; AccumOffset: 4
; Occupancy: 8
; WaveLimiterHint : 0
; COMPUTE_PGM_RSRC2:SCRATCH_EN: 0
; COMPUTE_PGM_RSRC2:USER_SGPR: 6
; COMPUTE_PGM_RSRC2:TRAP_HANDLER: 0
; COMPUTE_PGM_RSRC2:TGID_X_EN: 1
; COMPUTE_PGM_RSRC2:TGID_Y_EN: 0
; COMPUTE_PGM_RSRC2:TGID_Z_EN: 0
; COMPUTE_PGM_RSRC2:TIDIG_COMP_CNT: 0
; COMPUTE_PGM_RSRC3_GFX90A:ACCUM_OFFSET: 0
; COMPUTE_PGM_RSRC3_GFX90A:TG_SPLIT: 0
	.section	.text._ZN7rocprim17ROCPRIM_400000_NS6detail17trampoline_kernelINS0_14default_configENS1_25transform_config_selectorIlLb0EEEZNS1_14transform_implILb0ES3_S5_NS0_18transform_iteratorINS0_17counting_iteratorImlEEZNS1_24adjacent_difference_implIS3_Lb1ELb0EPlSB_ZN2at6native12_GLOBAL__N_124unique_dim_cuda_templateIfEESt5tupleIJNSC_6TensorESH_SH_EERKSH_lbbbEUlllE1_EE10hipError_tPvRmT2_T3_mT4_P12ihipStream_tbEUlmE_lEESB_NS0_8identityIvEEEESM_SP_SQ_mSR_ST_bEUlT_E_NS1_11comp_targetILNS1_3genE5ELNS1_11target_archE942ELNS1_3gpuE9ELNS1_3repE0EEENS1_30default_config_static_selectorELNS0_4arch9wavefront6targetE1EEEvT1_,"axG",@progbits,_ZN7rocprim17ROCPRIM_400000_NS6detail17trampoline_kernelINS0_14default_configENS1_25transform_config_selectorIlLb0EEEZNS1_14transform_implILb0ES3_S5_NS0_18transform_iteratorINS0_17counting_iteratorImlEEZNS1_24adjacent_difference_implIS3_Lb1ELb0EPlSB_ZN2at6native12_GLOBAL__N_124unique_dim_cuda_templateIfEESt5tupleIJNSC_6TensorESH_SH_EERKSH_lbbbEUlllE1_EE10hipError_tPvRmT2_T3_mT4_P12ihipStream_tbEUlmE_lEESB_NS0_8identityIvEEEESM_SP_SQ_mSR_ST_bEUlT_E_NS1_11comp_targetILNS1_3genE5ELNS1_11target_archE942ELNS1_3gpuE9ELNS1_3repE0EEENS1_30default_config_static_selectorELNS0_4arch9wavefront6targetE1EEEvT1_,comdat
	.globl	_ZN7rocprim17ROCPRIM_400000_NS6detail17trampoline_kernelINS0_14default_configENS1_25transform_config_selectorIlLb0EEEZNS1_14transform_implILb0ES3_S5_NS0_18transform_iteratorINS0_17counting_iteratorImlEEZNS1_24adjacent_difference_implIS3_Lb1ELb0EPlSB_ZN2at6native12_GLOBAL__N_124unique_dim_cuda_templateIfEESt5tupleIJNSC_6TensorESH_SH_EERKSH_lbbbEUlllE1_EE10hipError_tPvRmT2_T3_mT4_P12ihipStream_tbEUlmE_lEESB_NS0_8identityIvEEEESM_SP_SQ_mSR_ST_bEUlT_E_NS1_11comp_targetILNS1_3genE5ELNS1_11target_archE942ELNS1_3gpuE9ELNS1_3repE0EEENS1_30default_config_static_selectorELNS0_4arch9wavefront6targetE1EEEvT1_ ; -- Begin function _ZN7rocprim17ROCPRIM_400000_NS6detail17trampoline_kernelINS0_14default_configENS1_25transform_config_selectorIlLb0EEEZNS1_14transform_implILb0ES3_S5_NS0_18transform_iteratorINS0_17counting_iteratorImlEEZNS1_24adjacent_difference_implIS3_Lb1ELb0EPlSB_ZN2at6native12_GLOBAL__N_124unique_dim_cuda_templateIfEESt5tupleIJNSC_6TensorESH_SH_EERKSH_lbbbEUlllE1_EE10hipError_tPvRmT2_T3_mT4_P12ihipStream_tbEUlmE_lEESB_NS0_8identityIvEEEESM_SP_SQ_mSR_ST_bEUlT_E_NS1_11comp_targetILNS1_3genE5ELNS1_11target_archE942ELNS1_3gpuE9ELNS1_3repE0EEENS1_30default_config_static_selectorELNS0_4arch9wavefront6targetE1EEEvT1_
	.p2align	8
	.type	_ZN7rocprim17ROCPRIM_400000_NS6detail17trampoline_kernelINS0_14default_configENS1_25transform_config_selectorIlLb0EEEZNS1_14transform_implILb0ES3_S5_NS0_18transform_iteratorINS0_17counting_iteratorImlEEZNS1_24adjacent_difference_implIS3_Lb1ELb0EPlSB_ZN2at6native12_GLOBAL__N_124unique_dim_cuda_templateIfEESt5tupleIJNSC_6TensorESH_SH_EERKSH_lbbbEUlllE1_EE10hipError_tPvRmT2_T3_mT4_P12ihipStream_tbEUlmE_lEESB_NS0_8identityIvEEEESM_SP_SQ_mSR_ST_bEUlT_E_NS1_11comp_targetILNS1_3genE5ELNS1_11target_archE942ELNS1_3gpuE9ELNS1_3repE0EEENS1_30default_config_static_selectorELNS0_4arch9wavefront6targetE1EEEvT1_,@function
_ZN7rocprim17ROCPRIM_400000_NS6detail17trampoline_kernelINS0_14default_configENS1_25transform_config_selectorIlLb0EEEZNS1_14transform_implILb0ES3_S5_NS0_18transform_iteratorINS0_17counting_iteratorImlEEZNS1_24adjacent_difference_implIS3_Lb1ELb0EPlSB_ZN2at6native12_GLOBAL__N_124unique_dim_cuda_templateIfEESt5tupleIJNSC_6TensorESH_SH_EERKSH_lbbbEUlllE1_EE10hipError_tPvRmT2_T3_mT4_P12ihipStream_tbEUlmE_lEESB_NS0_8identityIvEEEESM_SP_SQ_mSR_ST_bEUlT_E_NS1_11comp_targetILNS1_3genE5ELNS1_11target_archE942ELNS1_3gpuE9ELNS1_3repE0EEENS1_30default_config_static_selectorELNS0_4arch9wavefront6targetE1EEEvT1_: ; @_ZN7rocprim17ROCPRIM_400000_NS6detail17trampoline_kernelINS0_14default_configENS1_25transform_config_selectorIlLb0EEEZNS1_14transform_implILb0ES3_S5_NS0_18transform_iteratorINS0_17counting_iteratorImlEEZNS1_24adjacent_difference_implIS3_Lb1ELb0EPlSB_ZN2at6native12_GLOBAL__N_124unique_dim_cuda_templateIfEESt5tupleIJNSC_6TensorESH_SH_EERKSH_lbbbEUlllE1_EE10hipError_tPvRmT2_T3_mT4_P12ihipStream_tbEUlmE_lEESB_NS0_8identityIvEEEESM_SP_SQ_mSR_ST_bEUlT_E_NS1_11comp_targetILNS1_3genE5ELNS1_11target_archE942ELNS1_3gpuE9ELNS1_3repE0EEENS1_30default_config_static_selectorELNS0_4arch9wavefront6targetE1EEEvT1_
; %bb.0:
	.section	.rodata,"a",@progbits
	.p2align	6, 0x0
	.amdhsa_kernel _ZN7rocprim17ROCPRIM_400000_NS6detail17trampoline_kernelINS0_14default_configENS1_25transform_config_selectorIlLb0EEEZNS1_14transform_implILb0ES3_S5_NS0_18transform_iteratorINS0_17counting_iteratorImlEEZNS1_24adjacent_difference_implIS3_Lb1ELb0EPlSB_ZN2at6native12_GLOBAL__N_124unique_dim_cuda_templateIfEESt5tupleIJNSC_6TensorESH_SH_EERKSH_lbbbEUlllE1_EE10hipError_tPvRmT2_T3_mT4_P12ihipStream_tbEUlmE_lEESB_NS0_8identityIvEEEESM_SP_SQ_mSR_ST_bEUlT_E_NS1_11comp_targetILNS1_3genE5ELNS1_11target_archE942ELNS1_3gpuE9ELNS1_3repE0EEENS1_30default_config_static_selectorELNS0_4arch9wavefront6targetE1EEEvT1_
		.amdhsa_group_segment_fixed_size 0
		.amdhsa_private_segment_fixed_size 0
		.amdhsa_kernarg_size 56
		.amdhsa_user_sgpr_count 6
		.amdhsa_user_sgpr_private_segment_buffer 1
		.amdhsa_user_sgpr_dispatch_ptr 0
		.amdhsa_user_sgpr_queue_ptr 0
		.amdhsa_user_sgpr_kernarg_segment_ptr 1
		.amdhsa_user_sgpr_dispatch_id 0
		.amdhsa_user_sgpr_flat_scratch_init 0
		.amdhsa_user_sgpr_kernarg_preload_length 0
		.amdhsa_user_sgpr_kernarg_preload_offset 0
		.amdhsa_user_sgpr_private_segment_size 0
		.amdhsa_uses_dynamic_stack 0
		.amdhsa_system_sgpr_private_segment_wavefront_offset 0
		.amdhsa_system_sgpr_workgroup_id_x 1
		.amdhsa_system_sgpr_workgroup_id_y 0
		.amdhsa_system_sgpr_workgroup_id_z 0
		.amdhsa_system_sgpr_workgroup_info 0
		.amdhsa_system_vgpr_workitem_id 0
		.amdhsa_next_free_vgpr 1
		.amdhsa_next_free_sgpr 0
		.amdhsa_accum_offset 4
		.amdhsa_reserve_vcc 0
		.amdhsa_reserve_flat_scratch 0
		.amdhsa_float_round_mode_32 0
		.amdhsa_float_round_mode_16_64 0
		.amdhsa_float_denorm_mode_32 3
		.amdhsa_float_denorm_mode_16_64 3
		.amdhsa_dx10_clamp 1
		.amdhsa_ieee_mode 1
		.amdhsa_fp16_overflow 0
		.amdhsa_tg_split 0
		.amdhsa_exception_fp_ieee_invalid_op 0
		.amdhsa_exception_fp_denorm_src 0
		.amdhsa_exception_fp_ieee_div_zero 0
		.amdhsa_exception_fp_ieee_overflow 0
		.amdhsa_exception_fp_ieee_underflow 0
		.amdhsa_exception_fp_ieee_inexact 0
		.amdhsa_exception_int_div_zero 0
	.end_amdhsa_kernel
	.section	.text._ZN7rocprim17ROCPRIM_400000_NS6detail17trampoline_kernelINS0_14default_configENS1_25transform_config_selectorIlLb0EEEZNS1_14transform_implILb0ES3_S5_NS0_18transform_iteratorINS0_17counting_iteratorImlEEZNS1_24adjacent_difference_implIS3_Lb1ELb0EPlSB_ZN2at6native12_GLOBAL__N_124unique_dim_cuda_templateIfEESt5tupleIJNSC_6TensorESH_SH_EERKSH_lbbbEUlllE1_EE10hipError_tPvRmT2_T3_mT4_P12ihipStream_tbEUlmE_lEESB_NS0_8identityIvEEEESM_SP_SQ_mSR_ST_bEUlT_E_NS1_11comp_targetILNS1_3genE5ELNS1_11target_archE942ELNS1_3gpuE9ELNS1_3repE0EEENS1_30default_config_static_selectorELNS0_4arch9wavefront6targetE1EEEvT1_,"axG",@progbits,_ZN7rocprim17ROCPRIM_400000_NS6detail17trampoline_kernelINS0_14default_configENS1_25transform_config_selectorIlLb0EEEZNS1_14transform_implILb0ES3_S5_NS0_18transform_iteratorINS0_17counting_iteratorImlEEZNS1_24adjacent_difference_implIS3_Lb1ELb0EPlSB_ZN2at6native12_GLOBAL__N_124unique_dim_cuda_templateIfEESt5tupleIJNSC_6TensorESH_SH_EERKSH_lbbbEUlllE1_EE10hipError_tPvRmT2_T3_mT4_P12ihipStream_tbEUlmE_lEESB_NS0_8identityIvEEEESM_SP_SQ_mSR_ST_bEUlT_E_NS1_11comp_targetILNS1_3genE5ELNS1_11target_archE942ELNS1_3gpuE9ELNS1_3repE0EEENS1_30default_config_static_selectorELNS0_4arch9wavefront6targetE1EEEvT1_,comdat
.Lfunc_end913:
	.size	_ZN7rocprim17ROCPRIM_400000_NS6detail17trampoline_kernelINS0_14default_configENS1_25transform_config_selectorIlLb0EEEZNS1_14transform_implILb0ES3_S5_NS0_18transform_iteratorINS0_17counting_iteratorImlEEZNS1_24adjacent_difference_implIS3_Lb1ELb0EPlSB_ZN2at6native12_GLOBAL__N_124unique_dim_cuda_templateIfEESt5tupleIJNSC_6TensorESH_SH_EERKSH_lbbbEUlllE1_EE10hipError_tPvRmT2_T3_mT4_P12ihipStream_tbEUlmE_lEESB_NS0_8identityIvEEEESM_SP_SQ_mSR_ST_bEUlT_E_NS1_11comp_targetILNS1_3genE5ELNS1_11target_archE942ELNS1_3gpuE9ELNS1_3repE0EEENS1_30default_config_static_selectorELNS0_4arch9wavefront6targetE1EEEvT1_, .Lfunc_end913-_ZN7rocprim17ROCPRIM_400000_NS6detail17trampoline_kernelINS0_14default_configENS1_25transform_config_selectorIlLb0EEEZNS1_14transform_implILb0ES3_S5_NS0_18transform_iteratorINS0_17counting_iteratorImlEEZNS1_24adjacent_difference_implIS3_Lb1ELb0EPlSB_ZN2at6native12_GLOBAL__N_124unique_dim_cuda_templateIfEESt5tupleIJNSC_6TensorESH_SH_EERKSH_lbbbEUlllE1_EE10hipError_tPvRmT2_T3_mT4_P12ihipStream_tbEUlmE_lEESB_NS0_8identityIvEEEESM_SP_SQ_mSR_ST_bEUlT_E_NS1_11comp_targetILNS1_3genE5ELNS1_11target_archE942ELNS1_3gpuE9ELNS1_3repE0EEENS1_30default_config_static_selectorELNS0_4arch9wavefront6targetE1EEEvT1_
                                        ; -- End function
	.section	.AMDGPU.csdata,"",@progbits
; Kernel info:
; codeLenInByte = 0
; NumSgprs: 4
; NumVgprs: 0
; NumAgprs: 0
; TotalNumVgprs: 0
; ScratchSize: 0
; MemoryBound: 0
; FloatMode: 240
; IeeeMode: 1
; LDSByteSize: 0 bytes/workgroup (compile time only)
; SGPRBlocks: 0
; VGPRBlocks: 0
; NumSGPRsForWavesPerEU: 4
; NumVGPRsForWavesPerEU: 1
; AccumOffset: 4
; Occupancy: 8
; WaveLimiterHint : 0
; COMPUTE_PGM_RSRC2:SCRATCH_EN: 0
; COMPUTE_PGM_RSRC2:USER_SGPR: 6
; COMPUTE_PGM_RSRC2:TRAP_HANDLER: 0
; COMPUTE_PGM_RSRC2:TGID_X_EN: 1
; COMPUTE_PGM_RSRC2:TGID_Y_EN: 0
; COMPUTE_PGM_RSRC2:TGID_Z_EN: 0
; COMPUTE_PGM_RSRC2:TIDIG_COMP_CNT: 0
; COMPUTE_PGM_RSRC3_GFX90A:ACCUM_OFFSET: 0
; COMPUTE_PGM_RSRC3_GFX90A:TG_SPLIT: 0
	.section	.text._ZN7rocprim17ROCPRIM_400000_NS6detail17trampoline_kernelINS0_14default_configENS1_25transform_config_selectorIlLb0EEEZNS1_14transform_implILb0ES3_S5_NS0_18transform_iteratorINS0_17counting_iteratorImlEEZNS1_24adjacent_difference_implIS3_Lb1ELb0EPlSB_ZN2at6native12_GLOBAL__N_124unique_dim_cuda_templateIfEESt5tupleIJNSC_6TensorESH_SH_EERKSH_lbbbEUlllE1_EE10hipError_tPvRmT2_T3_mT4_P12ihipStream_tbEUlmE_lEESB_NS0_8identityIvEEEESM_SP_SQ_mSR_ST_bEUlT_E_NS1_11comp_targetILNS1_3genE4ELNS1_11target_archE910ELNS1_3gpuE8ELNS1_3repE0EEENS1_30default_config_static_selectorELNS0_4arch9wavefront6targetE1EEEvT1_,"axG",@progbits,_ZN7rocprim17ROCPRIM_400000_NS6detail17trampoline_kernelINS0_14default_configENS1_25transform_config_selectorIlLb0EEEZNS1_14transform_implILb0ES3_S5_NS0_18transform_iteratorINS0_17counting_iteratorImlEEZNS1_24adjacent_difference_implIS3_Lb1ELb0EPlSB_ZN2at6native12_GLOBAL__N_124unique_dim_cuda_templateIfEESt5tupleIJNSC_6TensorESH_SH_EERKSH_lbbbEUlllE1_EE10hipError_tPvRmT2_T3_mT4_P12ihipStream_tbEUlmE_lEESB_NS0_8identityIvEEEESM_SP_SQ_mSR_ST_bEUlT_E_NS1_11comp_targetILNS1_3genE4ELNS1_11target_archE910ELNS1_3gpuE8ELNS1_3repE0EEENS1_30default_config_static_selectorELNS0_4arch9wavefront6targetE1EEEvT1_,comdat
	.globl	_ZN7rocprim17ROCPRIM_400000_NS6detail17trampoline_kernelINS0_14default_configENS1_25transform_config_selectorIlLb0EEEZNS1_14transform_implILb0ES3_S5_NS0_18transform_iteratorINS0_17counting_iteratorImlEEZNS1_24adjacent_difference_implIS3_Lb1ELb0EPlSB_ZN2at6native12_GLOBAL__N_124unique_dim_cuda_templateIfEESt5tupleIJNSC_6TensorESH_SH_EERKSH_lbbbEUlllE1_EE10hipError_tPvRmT2_T3_mT4_P12ihipStream_tbEUlmE_lEESB_NS0_8identityIvEEEESM_SP_SQ_mSR_ST_bEUlT_E_NS1_11comp_targetILNS1_3genE4ELNS1_11target_archE910ELNS1_3gpuE8ELNS1_3repE0EEENS1_30default_config_static_selectorELNS0_4arch9wavefront6targetE1EEEvT1_ ; -- Begin function _ZN7rocprim17ROCPRIM_400000_NS6detail17trampoline_kernelINS0_14default_configENS1_25transform_config_selectorIlLb0EEEZNS1_14transform_implILb0ES3_S5_NS0_18transform_iteratorINS0_17counting_iteratorImlEEZNS1_24adjacent_difference_implIS3_Lb1ELb0EPlSB_ZN2at6native12_GLOBAL__N_124unique_dim_cuda_templateIfEESt5tupleIJNSC_6TensorESH_SH_EERKSH_lbbbEUlllE1_EE10hipError_tPvRmT2_T3_mT4_P12ihipStream_tbEUlmE_lEESB_NS0_8identityIvEEEESM_SP_SQ_mSR_ST_bEUlT_E_NS1_11comp_targetILNS1_3genE4ELNS1_11target_archE910ELNS1_3gpuE8ELNS1_3repE0EEENS1_30default_config_static_selectorELNS0_4arch9wavefront6targetE1EEEvT1_
	.p2align	8
	.type	_ZN7rocprim17ROCPRIM_400000_NS6detail17trampoline_kernelINS0_14default_configENS1_25transform_config_selectorIlLb0EEEZNS1_14transform_implILb0ES3_S5_NS0_18transform_iteratorINS0_17counting_iteratorImlEEZNS1_24adjacent_difference_implIS3_Lb1ELb0EPlSB_ZN2at6native12_GLOBAL__N_124unique_dim_cuda_templateIfEESt5tupleIJNSC_6TensorESH_SH_EERKSH_lbbbEUlllE1_EE10hipError_tPvRmT2_T3_mT4_P12ihipStream_tbEUlmE_lEESB_NS0_8identityIvEEEESM_SP_SQ_mSR_ST_bEUlT_E_NS1_11comp_targetILNS1_3genE4ELNS1_11target_archE910ELNS1_3gpuE8ELNS1_3repE0EEENS1_30default_config_static_selectorELNS0_4arch9wavefront6targetE1EEEvT1_,@function
_ZN7rocprim17ROCPRIM_400000_NS6detail17trampoline_kernelINS0_14default_configENS1_25transform_config_selectorIlLb0EEEZNS1_14transform_implILb0ES3_S5_NS0_18transform_iteratorINS0_17counting_iteratorImlEEZNS1_24adjacent_difference_implIS3_Lb1ELb0EPlSB_ZN2at6native12_GLOBAL__N_124unique_dim_cuda_templateIfEESt5tupleIJNSC_6TensorESH_SH_EERKSH_lbbbEUlllE1_EE10hipError_tPvRmT2_T3_mT4_P12ihipStream_tbEUlmE_lEESB_NS0_8identityIvEEEESM_SP_SQ_mSR_ST_bEUlT_E_NS1_11comp_targetILNS1_3genE4ELNS1_11target_archE910ELNS1_3gpuE8ELNS1_3repE0EEENS1_30default_config_static_selectorELNS0_4arch9wavefront6targetE1EEEvT1_: ; @_ZN7rocprim17ROCPRIM_400000_NS6detail17trampoline_kernelINS0_14default_configENS1_25transform_config_selectorIlLb0EEEZNS1_14transform_implILb0ES3_S5_NS0_18transform_iteratorINS0_17counting_iteratorImlEEZNS1_24adjacent_difference_implIS3_Lb1ELb0EPlSB_ZN2at6native12_GLOBAL__N_124unique_dim_cuda_templateIfEESt5tupleIJNSC_6TensorESH_SH_EERKSH_lbbbEUlllE1_EE10hipError_tPvRmT2_T3_mT4_P12ihipStream_tbEUlmE_lEESB_NS0_8identityIvEEEESM_SP_SQ_mSR_ST_bEUlT_E_NS1_11comp_targetILNS1_3genE4ELNS1_11target_archE910ELNS1_3gpuE8ELNS1_3repE0EEENS1_30default_config_static_selectorELNS0_4arch9wavefront6targetE1EEEvT1_
; %bb.0:
	s_load_dwordx4 s[0:3], s[4:5], 0x18
	s_load_dwordx2 s[14:15], s[4:5], 0x28
	s_load_dwordx4 s[8:11], s[4:5], 0x0
	s_load_dword s12, s[4:5], 0x10
	s_waitcnt lgkmcnt(0)
	s_load_dword s3, s[4:5], 0x38
                                        ; kill: killed $sgpr4_sgpr5
	s_lshl_b64 s[4:5], s[0:1], 3
	s_add_u32 s14, s14, s4
	s_addc_u32 s15, s15, s5
	s_lshl_b32 s4, s6, 9
	s_waitcnt lgkmcnt(0)
	s_add_i32 s3, s3, -1
	s_add_u32 s7, s8, s4
	s_addc_u32 s8, s9, 0
	s_add_u32 s16, s7, s0
	s_addc_u32 s17, s8, s1
	s_mov_b32 s5, 0
	s_cmp_lg_u32 s6, s3
	v_lshlrev_b32_e32 v1, 3, v0
	s_cbranch_scc0 .LBB914_2
; %bb.1:
	v_mov_b32_e32 v2, s17
	v_add_co_u32_e32 v3, vcc, s16, v0
	v_addc_co_u32_e32 v5, vcc, 0, v2, vcc
	v_mad_u64_u32 v[2:3], s[0:1], v3, s12, 0
	v_mov_b32_e32 v4, v3
	v_mad_u64_u32 v[4:5], s[0:1], v5, s12, v[4:5]
	v_mov_b32_e32 v3, v4
	v_lshlrev_b64 v[2:3], 3, v[2:3]
	s_mov_b32 s13, s5
	v_mov_b32_e32 v4, s11
	v_add_co_u32_e32 v2, vcc, s10, v2
	v_addc_co_u32_e32 v3, vcc, v4, v3, vcc
	s_lshl_b64 s[0:1], s[12:13], 11
	global_load_dwordx2 v[8:9], v[2:3], off
	v_mov_b32_e32 v4, s1
	v_add_co_u32_e32 v2, vcc, s0, v2
	v_addc_co_u32_e32 v3, vcc, v3, v4, vcc
	global_load_dwordx2 v[4:5], v[2:3], off
	s_lshl_b64 s[6:7], s[4:5], 3
	s_add_u32 s6, s14, s6
	s_addc_u32 s7, s15, s7
	v_mov_b32_e32 v2, s7
	v_add_co_u32_e32 v6, vcc, s6, v1
	v_addc_co_u32_e32 v7, vcc, 0, v2, vcc
	s_waitcnt vmcnt(1)
	global_store_dwordx2 v1, v[8:9], s[6:7]
	s_mov_b64 s[6:7], -1
	s_cbranch_execz .LBB914_3
	s_branch .LBB914_12
.LBB914_2:
	s_mov_b64 s[6:7], 0
                                        ; implicit-def: $vgpr4_vgpr5
                                        ; implicit-def: $vgpr6_vgpr7
.LBB914_3:
	s_sub_i32 s8, s2, s4
	v_cmp_gt_u32_e32 vcc, s8, v0
                                        ; implicit-def: $vgpr2_vgpr3_vgpr4_vgpr5
	s_and_saveexec_b64 s[2:3], vcc
	s_cbranch_execz .LBB914_5
; %bb.4:
	v_mov_b32_e32 v2, s17
	v_add_co_u32_e64 v3, s[0:1], s16, v0
	s_waitcnt vmcnt(1)
	v_addc_co_u32_e64 v5, s[0:1], 0, v2, s[0:1]
	v_mad_u64_u32 v[2:3], s[0:1], v3, s12, 0
	v_mov_b32_e32 v4, v3
	v_mad_u64_u32 v[4:5], s[0:1], v5, s12, v[4:5]
	v_mov_b32_e32 v3, v4
	v_lshlrev_b64 v[2:3], 3, v[2:3]
	v_mov_b32_e32 v4, s11
	v_add_co_u32_e64 v2, s[0:1], s10, v2
	v_addc_co_u32_e64 v3, s[0:1], v4, v3, s[0:1]
	global_load_dwordx2 v[2:3], v[2:3], off
.LBB914_5:
	s_or_b64 exec, exec, s[2:3]
	v_or_b32_e32 v0, 0x100, v0
	v_cmp_gt_u32_e64 s[0:1], s8, v0
	s_and_saveexec_b64 s[8:9], s[0:1]
	s_cbranch_execz .LBB914_7
; %bb.6:
	s_waitcnt vmcnt(1)
	v_mov_b32_e32 v4, s17
	v_add_co_u32_e64 v0, s[2:3], s16, v0
	v_addc_co_u32_e64 v6, s[2:3], 0, v4, s[2:3]
	v_mad_u64_u32 v[4:5], s[2:3], v0, s12, 0
	v_mov_b32_e32 v0, v5
	v_mad_u64_u32 v[6:7], s[2:3], v6, s12, v[0:1]
	v_mov_b32_e32 v5, v6
	v_lshlrev_b64 v[4:5], 3, v[4:5]
	v_mov_b32_e32 v0, s11
	v_add_co_u32_e64 v4, s[2:3], s10, v4
	v_addc_co_u32_e64 v5, s[2:3], v0, v5, s[2:3]
	global_load_dwordx2 v[4:5], v[4:5], off
.LBB914_7:
	s_or_b64 exec, exec, s[8:9]
	s_lshl_b64 s[2:3], s[4:5], 3
	s_add_u32 s2, s14, s2
	s_addc_u32 s3, s15, s3
	v_mov_b32_e32 v0, s3
	v_add_co_u32_e64 v6, s[2:3], s2, v1
	v_addc_co_u32_e64 v7, s[2:3], 0, v0, s[2:3]
	s_and_saveexec_b64 s[2:3], vcc
	s_cbranch_execz .LBB914_9
; %bb.8:
	s_waitcnt vmcnt(0)
	global_store_dwordx2 v[6:7], v[2:3], off
.LBB914_9:
	s_or_b64 exec, exec, s[2:3]
	s_and_saveexec_b64 s[2:3], s[0:1]
; %bb.10:
	s_or_b64 s[6:7], s[6:7], exec
; %bb.11:
	s_or_b64 exec, exec, s[2:3]
.LBB914_12:
	s_and_saveexec_b64 s[0:1], s[6:7]
	s_cbranch_execnz .LBB914_14
; %bb.13:
	s_endpgm
.LBB914_14:
	s_waitcnt vmcnt(0)
	global_store_dwordx2 v[6:7], v[4:5], off offset:2048
	s_endpgm
	.section	.rodata,"a",@progbits
	.p2align	6, 0x0
	.amdhsa_kernel _ZN7rocprim17ROCPRIM_400000_NS6detail17trampoline_kernelINS0_14default_configENS1_25transform_config_selectorIlLb0EEEZNS1_14transform_implILb0ES3_S5_NS0_18transform_iteratorINS0_17counting_iteratorImlEEZNS1_24adjacent_difference_implIS3_Lb1ELb0EPlSB_ZN2at6native12_GLOBAL__N_124unique_dim_cuda_templateIfEESt5tupleIJNSC_6TensorESH_SH_EERKSH_lbbbEUlllE1_EE10hipError_tPvRmT2_T3_mT4_P12ihipStream_tbEUlmE_lEESB_NS0_8identityIvEEEESM_SP_SQ_mSR_ST_bEUlT_E_NS1_11comp_targetILNS1_3genE4ELNS1_11target_archE910ELNS1_3gpuE8ELNS1_3repE0EEENS1_30default_config_static_selectorELNS0_4arch9wavefront6targetE1EEEvT1_
		.amdhsa_group_segment_fixed_size 0
		.amdhsa_private_segment_fixed_size 0
		.amdhsa_kernarg_size 312
		.amdhsa_user_sgpr_count 6
		.amdhsa_user_sgpr_private_segment_buffer 1
		.amdhsa_user_sgpr_dispatch_ptr 0
		.amdhsa_user_sgpr_queue_ptr 0
		.amdhsa_user_sgpr_kernarg_segment_ptr 1
		.amdhsa_user_sgpr_dispatch_id 0
		.amdhsa_user_sgpr_flat_scratch_init 0
		.amdhsa_user_sgpr_kernarg_preload_length 0
		.amdhsa_user_sgpr_kernarg_preload_offset 0
		.amdhsa_user_sgpr_private_segment_size 0
		.amdhsa_uses_dynamic_stack 0
		.amdhsa_system_sgpr_private_segment_wavefront_offset 0
		.amdhsa_system_sgpr_workgroup_id_x 1
		.amdhsa_system_sgpr_workgroup_id_y 0
		.amdhsa_system_sgpr_workgroup_id_z 0
		.amdhsa_system_sgpr_workgroup_info 0
		.amdhsa_system_vgpr_workitem_id 0
		.amdhsa_next_free_vgpr 10
		.amdhsa_next_free_sgpr 18
		.amdhsa_accum_offset 12
		.amdhsa_reserve_vcc 1
		.amdhsa_reserve_flat_scratch 0
		.amdhsa_float_round_mode_32 0
		.amdhsa_float_round_mode_16_64 0
		.amdhsa_float_denorm_mode_32 3
		.amdhsa_float_denorm_mode_16_64 3
		.amdhsa_dx10_clamp 1
		.amdhsa_ieee_mode 1
		.amdhsa_fp16_overflow 0
		.amdhsa_tg_split 0
		.amdhsa_exception_fp_ieee_invalid_op 0
		.amdhsa_exception_fp_denorm_src 0
		.amdhsa_exception_fp_ieee_div_zero 0
		.amdhsa_exception_fp_ieee_overflow 0
		.amdhsa_exception_fp_ieee_underflow 0
		.amdhsa_exception_fp_ieee_inexact 0
		.amdhsa_exception_int_div_zero 0
	.end_amdhsa_kernel
	.section	.text._ZN7rocprim17ROCPRIM_400000_NS6detail17trampoline_kernelINS0_14default_configENS1_25transform_config_selectorIlLb0EEEZNS1_14transform_implILb0ES3_S5_NS0_18transform_iteratorINS0_17counting_iteratorImlEEZNS1_24adjacent_difference_implIS3_Lb1ELb0EPlSB_ZN2at6native12_GLOBAL__N_124unique_dim_cuda_templateIfEESt5tupleIJNSC_6TensorESH_SH_EERKSH_lbbbEUlllE1_EE10hipError_tPvRmT2_T3_mT4_P12ihipStream_tbEUlmE_lEESB_NS0_8identityIvEEEESM_SP_SQ_mSR_ST_bEUlT_E_NS1_11comp_targetILNS1_3genE4ELNS1_11target_archE910ELNS1_3gpuE8ELNS1_3repE0EEENS1_30default_config_static_selectorELNS0_4arch9wavefront6targetE1EEEvT1_,"axG",@progbits,_ZN7rocprim17ROCPRIM_400000_NS6detail17trampoline_kernelINS0_14default_configENS1_25transform_config_selectorIlLb0EEEZNS1_14transform_implILb0ES3_S5_NS0_18transform_iteratorINS0_17counting_iteratorImlEEZNS1_24adjacent_difference_implIS3_Lb1ELb0EPlSB_ZN2at6native12_GLOBAL__N_124unique_dim_cuda_templateIfEESt5tupleIJNSC_6TensorESH_SH_EERKSH_lbbbEUlllE1_EE10hipError_tPvRmT2_T3_mT4_P12ihipStream_tbEUlmE_lEESB_NS0_8identityIvEEEESM_SP_SQ_mSR_ST_bEUlT_E_NS1_11comp_targetILNS1_3genE4ELNS1_11target_archE910ELNS1_3gpuE8ELNS1_3repE0EEENS1_30default_config_static_selectorELNS0_4arch9wavefront6targetE1EEEvT1_,comdat
.Lfunc_end914:
	.size	_ZN7rocprim17ROCPRIM_400000_NS6detail17trampoline_kernelINS0_14default_configENS1_25transform_config_selectorIlLb0EEEZNS1_14transform_implILb0ES3_S5_NS0_18transform_iteratorINS0_17counting_iteratorImlEEZNS1_24adjacent_difference_implIS3_Lb1ELb0EPlSB_ZN2at6native12_GLOBAL__N_124unique_dim_cuda_templateIfEESt5tupleIJNSC_6TensorESH_SH_EERKSH_lbbbEUlllE1_EE10hipError_tPvRmT2_T3_mT4_P12ihipStream_tbEUlmE_lEESB_NS0_8identityIvEEEESM_SP_SQ_mSR_ST_bEUlT_E_NS1_11comp_targetILNS1_3genE4ELNS1_11target_archE910ELNS1_3gpuE8ELNS1_3repE0EEENS1_30default_config_static_selectorELNS0_4arch9wavefront6targetE1EEEvT1_, .Lfunc_end914-_ZN7rocprim17ROCPRIM_400000_NS6detail17trampoline_kernelINS0_14default_configENS1_25transform_config_selectorIlLb0EEEZNS1_14transform_implILb0ES3_S5_NS0_18transform_iteratorINS0_17counting_iteratorImlEEZNS1_24adjacent_difference_implIS3_Lb1ELb0EPlSB_ZN2at6native12_GLOBAL__N_124unique_dim_cuda_templateIfEESt5tupleIJNSC_6TensorESH_SH_EERKSH_lbbbEUlllE1_EE10hipError_tPvRmT2_T3_mT4_P12ihipStream_tbEUlmE_lEESB_NS0_8identityIvEEEESM_SP_SQ_mSR_ST_bEUlT_E_NS1_11comp_targetILNS1_3genE4ELNS1_11target_archE910ELNS1_3gpuE8ELNS1_3repE0EEENS1_30default_config_static_selectorELNS0_4arch9wavefront6targetE1EEEvT1_
                                        ; -- End function
	.section	.AMDGPU.csdata,"",@progbits
; Kernel info:
; codeLenInByte = 556
; NumSgprs: 22
; NumVgprs: 10
; NumAgprs: 0
; TotalNumVgprs: 10
; ScratchSize: 0
; MemoryBound: 0
; FloatMode: 240
; IeeeMode: 1
; LDSByteSize: 0 bytes/workgroup (compile time only)
; SGPRBlocks: 2
; VGPRBlocks: 1
; NumSGPRsForWavesPerEU: 22
; NumVGPRsForWavesPerEU: 10
; AccumOffset: 12
; Occupancy: 8
; WaveLimiterHint : 0
; COMPUTE_PGM_RSRC2:SCRATCH_EN: 0
; COMPUTE_PGM_RSRC2:USER_SGPR: 6
; COMPUTE_PGM_RSRC2:TRAP_HANDLER: 0
; COMPUTE_PGM_RSRC2:TGID_X_EN: 1
; COMPUTE_PGM_RSRC2:TGID_Y_EN: 0
; COMPUTE_PGM_RSRC2:TGID_Z_EN: 0
; COMPUTE_PGM_RSRC2:TIDIG_COMP_CNT: 0
; COMPUTE_PGM_RSRC3_GFX90A:ACCUM_OFFSET: 2
; COMPUTE_PGM_RSRC3_GFX90A:TG_SPLIT: 0
	.section	.text._ZN7rocprim17ROCPRIM_400000_NS6detail17trampoline_kernelINS0_14default_configENS1_25transform_config_selectorIlLb0EEEZNS1_14transform_implILb0ES3_S5_NS0_18transform_iteratorINS0_17counting_iteratorImlEEZNS1_24adjacent_difference_implIS3_Lb1ELb0EPlSB_ZN2at6native12_GLOBAL__N_124unique_dim_cuda_templateIfEESt5tupleIJNSC_6TensorESH_SH_EERKSH_lbbbEUlllE1_EE10hipError_tPvRmT2_T3_mT4_P12ihipStream_tbEUlmE_lEESB_NS0_8identityIvEEEESM_SP_SQ_mSR_ST_bEUlT_E_NS1_11comp_targetILNS1_3genE3ELNS1_11target_archE908ELNS1_3gpuE7ELNS1_3repE0EEENS1_30default_config_static_selectorELNS0_4arch9wavefront6targetE1EEEvT1_,"axG",@progbits,_ZN7rocprim17ROCPRIM_400000_NS6detail17trampoline_kernelINS0_14default_configENS1_25transform_config_selectorIlLb0EEEZNS1_14transform_implILb0ES3_S5_NS0_18transform_iteratorINS0_17counting_iteratorImlEEZNS1_24adjacent_difference_implIS3_Lb1ELb0EPlSB_ZN2at6native12_GLOBAL__N_124unique_dim_cuda_templateIfEESt5tupleIJNSC_6TensorESH_SH_EERKSH_lbbbEUlllE1_EE10hipError_tPvRmT2_T3_mT4_P12ihipStream_tbEUlmE_lEESB_NS0_8identityIvEEEESM_SP_SQ_mSR_ST_bEUlT_E_NS1_11comp_targetILNS1_3genE3ELNS1_11target_archE908ELNS1_3gpuE7ELNS1_3repE0EEENS1_30default_config_static_selectorELNS0_4arch9wavefront6targetE1EEEvT1_,comdat
	.globl	_ZN7rocprim17ROCPRIM_400000_NS6detail17trampoline_kernelINS0_14default_configENS1_25transform_config_selectorIlLb0EEEZNS1_14transform_implILb0ES3_S5_NS0_18transform_iteratorINS0_17counting_iteratorImlEEZNS1_24adjacent_difference_implIS3_Lb1ELb0EPlSB_ZN2at6native12_GLOBAL__N_124unique_dim_cuda_templateIfEESt5tupleIJNSC_6TensorESH_SH_EERKSH_lbbbEUlllE1_EE10hipError_tPvRmT2_T3_mT4_P12ihipStream_tbEUlmE_lEESB_NS0_8identityIvEEEESM_SP_SQ_mSR_ST_bEUlT_E_NS1_11comp_targetILNS1_3genE3ELNS1_11target_archE908ELNS1_3gpuE7ELNS1_3repE0EEENS1_30default_config_static_selectorELNS0_4arch9wavefront6targetE1EEEvT1_ ; -- Begin function _ZN7rocprim17ROCPRIM_400000_NS6detail17trampoline_kernelINS0_14default_configENS1_25transform_config_selectorIlLb0EEEZNS1_14transform_implILb0ES3_S5_NS0_18transform_iteratorINS0_17counting_iteratorImlEEZNS1_24adjacent_difference_implIS3_Lb1ELb0EPlSB_ZN2at6native12_GLOBAL__N_124unique_dim_cuda_templateIfEESt5tupleIJNSC_6TensorESH_SH_EERKSH_lbbbEUlllE1_EE10hipError_tPvRmT2_T3_mT4_P12ihipStream_tbEUlmE_lEESB_NS0_8identityIvEEEESM_SP_SQ_mSR_ST_bEUlT_E_NS1_11comp_targetILNS1_3genE3ELNS1_11target_archE908ELNS1_3gpuE7ELNS1_3repE0EEENS1_30default_config_static_selectorELNS0_4arch9wavefront6targetE1EEEvT1_
	.p2align	8
	.type	_ZN7rocprim17ROCPRIM_400000_NS6detail17trampoline_kernelINS0_14default_configENS1_25transform_config_selectorIlLb0EEEZNS1_14transform_implILb0ES3_S5_NS0_18transform_iteratorINS0_17counting_iteratorImlEEZNS1_24adjacent_difference_implIS3_Lb1ELb0EPlSB_ZN2at6native12_GLOBAL__N_124unique_dim_cuda_templateIfEESt5tupleIJNSC_6TensorESH_SH_EERKSH_lbbbEUlllE1_EE10hipError_tPvRmT2_T3_mT4_P12ihipStream_tbEUlmE_lEESB_NS0_8identityIvEEEESM_SP_SQ_mSR_ST_bEUlT_E_NS1_11comp_targetILNS1_3genE3ELNS1_11target_archE908ELNS1_3gpuE7ELNS1_3repE0EEENS1_30default_config_static_selectorELNS0_4arch9wavefront6targetE1EEEvT1_,@function
_ZN7rocprim17ROCPRIM_400000_NS6detail17trampoline_kernelINS0_14default_configENS1_25transform_config_selectorIlLb0EEEZNS1_14transform_implILb0ES3_S5_NS0_18transform_iteratorINS0_17counting_iteratorImlEEZNS1_24adjacent_difference_implIS3_Lb1ELb0EPlSB_ZN2at6native12_GLOBAL__N_124unique_dim_cuda_templateIfEESt5tupleIJNSC_6TensorESH_SH_EERKSH_lbbbEUlllE1_EE10hipError_tPvRmT2_T3_mT4_P12ihipStream_tbEUlmE_lEESB_NS0_8identityIvEEEESM_SP_SQ_mSR_ST_bEUlT_E_NS1_11comp_targetILNS1_3genE3ELNS1_11target_archE908ELNS1_3gpuE7ELNS1_3repE0EEENS1_30default_config_static_selectorELNS0_4arch9wavefront6targetE1EEEvT1_: ; @_ZN7rocprim17ROCPRIM_400000_NS6detail17trampoline_kernelINS0_14default_configENS1_25transform_config_selectorIlLb0EEEZNS1_14transform_implILb0ES3_S5_NS0_18transform_iteratorINS0_17counting_iteratorImlEEZNS1_24adjacent_difference_implIS3_Lb1ELb0EPlSB_ZN2at6native12_GLOBAL__N_124unique_dim_cuda_templateIfEESt5tupleIJNSC_6TensorESH_SH_EERKSH_lbbbEUlllE1_EE10hipError_tPvRmT2_T3_mT4_P12ihipStream_tbEUlmE_lEESB_NS0_8identityIvEEEESM_SP_SQ_mSR_ST_bEUlT_E_NS1_11comp_targetILNS1_3genE3ELNS1_11target_archE908ELNS1_3gpuE7ELNS1_3repE0EEENS1_30default_config_static_selectorELNS0_4arch9wavefront6targetE1EEEvT1_
; %bb.0:
	.section	.rodata,"a",@progbits
	.p2align	6, 0x0
	.amdhsa_kernel _ZN7rocprim17ROCPRIM_400000_NS6detail17trampoline_kernelINS0_14default_configENS1_25transform_config_selectorIlLb0EEEZNS1_14transform_implILb0ES3_S5_NS0_18transform_iteratorINS0_17counting_iteratorImlEEZNS1_24adjacent_difference_implIS3_Lb1ELb0EPlSB_ZN2at6native12_GLOBAL__N_124unique_dim_cuda_templateIfEESt5tupleIJNSC_6TensorESH_SH_EERKSH_lbbbEUlllE1_EE10hipError_tPvRmT2_T3_mT4_P12ihipStream_tbEUlmE_lEESB_NS0_8identityIvEEEESM_SP_SQ_mSR_ST_bEUlT_E_NS1_11comp_targetILNS1_3genE3ELNS1_11target_archE908ELNS1_3gpuE7ELNS1_3repE0EEENS1_30default_config_static_selectorELNS0_4arch9wavefront6targetE1EEEvT1_
		.amdhsa_group_segment_fixed_size 0
		.amdhsa_private_segment_fixed_size 0
		.amdhsa_kernarg_size 56
		.amdhsa_user_sgpr_count 6
		.amdhsa_user_sgpr_private_segment_buffer 1
		.amdhsa_user_sgpr_dispatch_ptr 0
		.amdhsa_user_sgpr_queue_ptr 0
		.amdhsa_user_sgpr_kernarg_segment_ptr 1
		.amdhsa_user_sgpr_dispatch_id 0
		.amdhsa_user_sgpr_flat_scratch_init 0
		.amdhsa_user_sgpr_kernarg_preload_length 0
		.amdhsa_user_sgpr_kernarg_preload_offset 0
		.amdhsa_user_sgpr_private_segment_size 0
		.amdhsa_uses_dynamic_stack 0
		.amdhsa_system_sgpr_private_segment_wavefront_offset 0
		.amdhsa_system_sgpr_workgroup_id_x 1
		.amdhsa_system_sgpr_workgroup_id_y 0
		.amdhsa_system_sgpr_workgroup_id_z 0
		.amdhsa_system_sgpr_workgroup_info 0
		.amdhsa_system_vgpr_workitem_id 0
		.amdhsa_next_free_vgpr 1
		.amdhsa_next_free_sgpr 0
		.amdhsa_accum_offset 4
		.amdhsa_reserve_vcc 0
		.amdhsa_reserve_flat_scratch 0
		.amdhsa_float_round_mode_32 0
		.amdhsa_float_round_mode_16_64 0
		.amdhsa_float_denorm_mode_32 3
		.amdhsa_float_denorm_mode_16_64 3
		.amdhsa_dx10_clamp 1
		.amdhsa_ieee_mode 1
		.amdhsa_fp16_overflow 0
		.amdhsa_tg_split 0
		.amdhsa_exception_fp_ieee_invalid_op 0
		.amdhsa_exception_fp_denorm_src 0
		.amdhsa_exception_fp_ieee_div_zero 0
		.amdhsa_exception_fp_ieee_overflow 0
		.amdhsa_exception_fp_ieee_underflow 0
		.amdhsa_exception_fp_ieee_inexact 0
		.amdhsa_exception_int_div_zero 0
	.end_amdhsa_kernel
	.section	.text._ZN7rocprim17ROCPRIM_400000_NS6detail17trampoline_kernelINS0_14default_configENS1_25transform_config_selectorIlLb0EEEZNS1_14transform_implILb0ES3_S5_NS0_18transform_iteratorINS0_17counting_iteratorImlEEZNS1_24adjacent_difference_implIS3_Lb1ELb0EPlSB_ZN2at6native12_GLOBAL__N_124unique_dim_cuda_templateIfEESt5tupleIJNSC_6TensorESH_SH_EERKSH_lbbbEUlllE1_EE10hipError_tPvRmT2_T3_mT4_P12ihipStream_tbEUlmE_lEESB_NS0_8identityIvEEEESM_SP_SQ_mSR_ST_bEUlT_E_NS1_11comp_targetILNS1_3genE3ELNS1_11target_archE908ELNS1_3gpuE7ELNS1_3repE0EEENS1_30default_config_static_selectorELNS0_4arch9wavefront6targetE1EEEvT1_,"axG",@progbits,_ZN7rocprim17ROCPRIM_400000_NS6detail17trampoline_kernelINS0_14default_configENS1_25transform_config_selectorIlLb0EEEZNS1_14transform_implILb0ES3_S5_NS0_18transform_iteratorINS0_17counting_iteratorImlEEZNS1_24adjacent_difference_implIS3_Lb1ELb0EPlSB_ZN2at6native12_GLOBAL__N_124unique_dim_cuda_templateIfEESt5tupleIJNSC_6TensorESH_SH_EERKSH_lbbbEUlllE1_EE10hipError_tPvRmT2_T3_mT4_P12ihipStream_tbEUlmE_lEESB_NS0_8identityIvEEEESM_SP_SQ_mSR_ST_bEUlT_E_NS1_11comp_targetILNS1_3genE3ELNS1_11target_archE908ELNS1_3gpuE7ELNS1_3repE0EEENS1_30default_config_static_selectorELNS0_4arch9wavefront6targetE1EEEvT1_,comdat
.Lfunc_end915:
	.size	_ZN7rocprim17ROCPRIM_400000_NS6detail17trampoline_kernelINS0_14default_configENS1_25transform_config_selectorIlLb0EEEZNS1_14transform_implILb0ES3_S5_NS0_18transform_iteratorINS0_17counting_iteratorImlEEZNS1_24adjacent_difference_implIS3_Lb1ELb0EPlSB_ZN2at6native12_GLOBAL__N_124unique_dim_cuda_templateIfEESt5tupleIJNSC_6TensorESH_SH_EERKSH_lbbbEUlllE1_EE10hipError_tPvRmT2_T3_mT4_P12ihipStream_tbEUlmE_lEESB_NS0_8identityIvEEEESM_SP_SQ_mSR_ST_bEUlT_E_NS1_11comp_targetILNS1_3genE3ELNS1_11target_archE908ELNS1_3gpuE7ELNS1_3repE0EEENS1_30default_config_static_selectorELNS0_4arch9wavefront6targetE1EEEvT1_, .Lfunc_end915-_ZN7rocprim17ROCPRIM_400000_NS6detail17trampoline_kernelINS0_14default_configENS1_25transform_config_selectorIlLb0EEEZNS1_14transform_implILb0ES3_S5_NS0_18transform_iteratorINS0_17counting_iteratorImlEEZNS1_24adjacent_difference_implIS3_Lb1ELb0EPlSB_ZN2at6native12_GLOBAL__N_124unique_dim_cuda_templateIfEESt5tupleIJNSC_6TensorESH_SH_EERKSH_lbbbEUlllE1_EE10hipError_tPvRmT2_T3_mT4_P12ihipStream_tbEUlmE_lEESB_NS0_8identityIvEEEESM_SP_SQ_mSR_ST_bEUlT_E_NS1_11comp_targetILNS1_3genE3ELNS1_11target_archE908ELNS1_3gpuE7ELNS1_3repE0EEENS1_30default_config_static_selectorELNS0_4arch9wavefront6targetE1EEEvT1_
                                        ; -- End function
	.section	.AMDGPU.csdata,"",@progbits
; Kernel info:
; codeLenInByte = 0
; NumSgprs: 4
; NumVgprs: 0
; NumAgprs: 0
; TotalNumVgprs: 0
; ScratchSize: 0
; MemoryBound: 0
; FloatMode: 240
; IeeeMode: 1
; LDSByteSize: 0 bytes/workgroup (compile time only)
; SGPRBlocks: 0
; VGPRBlocks: 0
; NumSGPRsForWavesPerEU: 4
; NumVGPRsForWavesPerEU: 1
; AccumOffset: 4
; Occupancy: 8
; WaveLimiterHint : 0
; COMPUTE_PGM_RSRC2:SCRATCH_EN: 0
; COMPUTE_PGM_RSRC2:USER_SGPR: 6
; COMPUTE_PGM_RSRC2:TRAP_HANDLER: 0
; COMPUTE_PGM_RSRC2:TGID_X_EN: 1
; COMPUTE_PGM_RSRC2:TGID_Y_EN: 0
; COMPUTE_PGM_RSRC2:TGID_Z_EN: 0
; COMPUTE_PGM_RSRC2:TIDIG_COMP_CNT: 0
; COMPUTE_PGM_RSRC3_GFX90A:ACCUM_OFFSET: 0
; COMPUTE_PGM_RSRC3_GFX90A:TG_SPLIT: 0
	.section	.text._ZN7rocprim17ROCPRIM_400000_NS6detail17trampoline_kernelINS0_14default_configENS1_25transform_config_selectorIlLb0EEEZNS1_14transform_implILb0ES3_S5_NS0_18transform_iteratorINS0_17counting_iteratorImlEEZNS1_24adjacent_difference_implIS3_Lb1ELb0EPlSB_ZN2at6native12_GLOBAL__N_124unique_dim_cuda_templateIfEESt5tupleIJNSC_6TensorESH_SH_EERKSH_lbbbEUlllE1_EE10hipError_tPvRmT2_T3_mT4_P12ihipStream_tbEUlmE_lEESB_NS0_8identityIvEEEESM_SP_SQ_mSR_ST_bEUlT_E_NS1_11comp_targetILNS1_3genE2ELNS1_11target_archE906ELNS1_3gpuE6ELNS1_3repE0EEENS1_30default_config_static_selectorELNS0_4arch9wavefront6targetE1EEEvT1_,"axG",@progbits,_ZN7rocprim17ROCPRIM_400000_NS6detail17trampoline_kernelINS0_14default_configENS1_25transform_config_selectorIlLb0EEEZNS1_14transform_implILb0ES3_S5_NS0_18transform_iteratorINS0_17counting_iteratorImlEEZNS1_24adjacent_difference_implIS3_Lb1ELb0EPlSB_ZN2at6native12_GLOBAL__N_124unique_dim_cuda_templateIfEESt5tupleIJNSC_6TensorESH_SH_EERKSH_lbbbEUlllE1_EE10hipError_tPvRmT2_T3_mT4_P12ihipStream_tbEUlmE_lEESB_NS0_8identityIvEEEESM_SP_SQ_mSR_ST_bEUlT_E_NS1_11comp_targetILNS1_3genE2ELNS1_11target_archE906ELNS1_3gpuE6ELNS1_3repE0EEENS1_30default_config_static_selectorELNS0_4arch9wavefront6targetE1EEEvT1_,comdat
	.globl	_ZN7rocprim17ROCPRIM_400000_NS6detail17trampoline_kernelINS0_14default_configENS1_25transform_config_selectorIlLb0EEEZNS1_14transform_implILb0ES3_S5_NS0_18transform_iteratorINS0_17counting_iteratorImlEEZNS1_24adjacent_difference_implIS3_Lb1ELb0EPlSB_ZN2at6native12_GLOBAL__N_124unique_dim_cuda_templateIfEESt5tupleIJNSC_6TensorESH_SH_EERKSH_lbbbEUlllE1_EE10hipError_tPvRmT2_T3_mT4_P12ihipStream_tbEUlmE_lEESB_NS0_8identityIvEEEESM_SP_SQ_mSR_ST_bEUlT_E_NS1_11comp_targetILNS1_3genE2ELNS1_11target_archE906ELNS1_3gpuE6ELNS1_3repE0EEENS1_30default_config_static_selectorELNS0_4arch9wavefront6targetE1EEEvT1_ ; -- Begin function _ZN7rocprim17ROCPRIM_400000_NS6detail17trampoline_kernelINS0_14default_configENS1_25transform_config_selectorIlLb0EEEZNS1_14transform_implILb0ES3_S5_NS0_18transform_iteratorINS0_17counting_iteratorImlEEZNS1_24adjacent_difference_implIS3_Lb1ELb0EPlSB_ZN2at6native12_GLOBAL__N_124unique_dim_cuda_templateIfEESt5tupleIJNSC_6TensorESH_SH_EERKSH_lbbbEUlllE1_EE10hipError_tPvRmT2_T3_mT4_P12ihipStream_tbEUlmE_lEESB_NS0_8identityIvEEEESM_SP_SQ_mSR_ST_bEUlT_E_NS1_11comp_targetILNS1_3genE2ELNS1_11target_archE906ELNS1_3gpuE6ELNS1_3repE0EEENS1_30default_config_static_selectorELNS0_4arch9wavefront6targetE1EEEvT1_
	.p2align	8
	.type	_ZN7rocprim17ROCPRIM_400000_NS6detail17trampoline_kernelINS0_14default_configENS1_25transform_config_selectorIlLb0EEEZNS1_14transform_implILb0ES3_S5_NS0_18transform_iteratorINS0_17counting_iteratorImlEEZNS1_24adjacent_difference_implIS3_Lb1ELb0EPlSB_ZN2at6native12_GLOBAL__N_124unique_dim_cuda_templateIfEESt5tupleIJNSC_6TensorESH_SH_EERKSH_lbbbEUlllE1_EE10hipError_tPvRmT2_T3_mT4_P12ihipStream_tbEUlmE_lEESB_NS0_8identityIvEEEESM_SP_SQ_mSR_ST_bEUlT_E_NS1_11comp_targetILNS1_3genE2ELNS1_11target_archE906ELNS1_3gpuE6ELNS1_3repE0EEENS1_30default_config_static_selectorELNS0_4arch9wavefront6targetE1EEEvT1_,@function
_ZN7rocprim17ROCPRIM_400000_NS6detail17trampoline_kernelINS0_14default_configENS1_25transform_config_selectorIlLb0EEEZNS1_14transform_implILb0ES3_S5_NS0_18transform_iteratorINS0_17counting_iteratorImlEEZNS1_24adjacent_difference_implIS3_Lb1ELb0EPlSB_ZN2at6native12_GLOBAL__N_124unique_dim_cuda_templateIfEESt5tupleIJNSC_6TensorESH_SH_EERKSH_lbbbEUlllE1_EE10hipError_tPvRmT2_T3_mT4_P12ihipStream_tbEUlmE_lEESB_NS0_8identityIvEEEESM_SP_SQ_mSR_ST_bEUlT_E_NS1_11comp_targetILNS1_3genE2ELNS1_11target_archE906ELNS1_3gpuE6ELNS1_3repE0EEENS1_30default_config_static_selectorELNS0_4arch9wavefront6targetE1EEEvT1_: ; @_ZN7rocprim17ROCPRIM_400000_NS6detail17trampoline_kernelINS0_14default_configENS1_25transform_config_selectorIlLb0EEEZNS1_14transform_implILb0ES3_S5_NS0_18transform_iteratorINS0_17counting_iteratorImlEEZNS1_24adjacent_difference_implIS3_Lb1ELb0EPlSB_ZN2at6native12_GLOBAL__N_124unique_dim_cuda_templateIfEESt5tupleIJNSC_6TensorESH_SH_EERKSH_lbbbEUlllE1_EE10hipError_tPvRmT2_T3_mT4_P12ihipStream_tbEUlmE_lEESB_NS0_8identityIvEEEESM_SP_SQ_mSR_ST_bEUlT_E_NS1_11comp_targetILNS1_3genE2ELNS1_11target_archE906ELNS1_3gpuE6ELNS1_3repE0EEENS1_30default_config_static_selectorELNS0_4arch9wavefront6targetE1EEEvT1_
; %bb.0:
	.section	.rodata,"a",@progbits
	.p2align	6, 0x0
	.amdhsa_kernel _ZN7rocprim17ROCPRIM_400000_NS6detail17trampoline_kernelINS0_14default_configENS1_25transform_config_selectorIlLb0EEEZNS1_14transform_implILb0ES3_S5_NS0_18transform_iteratorINS0_17counting_iteratorImlEEZNS1_24adjacent_difference_implIS3_Lb1ELb0EPlSB_ZN2at6native12_GLOBAL__N_124unique_dim_cuda_templateIfEESt5tupleIJNSC_6TensorESH_SH_EERKSH_lbbbEUlllE1_EE10hipError_tPvRmT2_T3_mT4_P12ihipStream_tbEUlmE_lEESB_NS0_8identityIvEEEESM_SP_SQ_mSR_ST_bEUlT_E_NS1_11comp_targetILNS1_3genE2ELNS1_11target_archE906ELNS1_3gpuE6ELNS1_3repE0EEENS1_30default_config_static_selectorELNS0_4arch9wavefront6targetE1EEEvT1_
		.amdhsa_group_segment_fixed_size 0
		.amdhsa_private_segment_fixed_size 0
		.amdhsa_kernarg_size 56
		.amdhsa_user_sgpr_count 6
		.amdhsa_user_sgpr_private_segment_buffer 1
		.amdhsa_user_sgpr_dispatch_ptr 0
		.amdhsa_user_sgpr_queue_ptr 0
		.amdhsa_user_sgpr_kernarg_segment_ptr 1
		.amdhsa_user_sgpr_dispatch_id 0
		.amdhsa_user_sgpr_flat_scratch_init 0
		.amdhsa_user_sgpr_kernarg_preload_length 0
		.amdhsa_user_sgpr_kernarg_preload_offset 0
		.amdhsa_user_sgpr_private_segment_size 0
		.amdhsa_uses_dynamic_stack 0
		.amdhsa_system_sgpr_private_segment_wavefront_offset 0
		.amdhsa_system_sgpr_workgroup_id_x 1
		.amdhsa_system_sgpr_workgroup_id_y 0
		.amdhsa_system_sgpr_workgroup_id_z 0
		.amdhsa_system_sgpr_workgroup_info 0
		.amdhsa_system_vgpr_workitem_id 0
		.amdhsa_next_free_vgpr 1
		.amdhsa_next_free_sgpr 0
		.amdhsa_accum_offset 4
		.amdhsa_reserve_vcc 0
		.amdhsa_reserve_flat_scratch 0
		.amdhsa_float_round_mode_32 0
		.amdhsa_float_round_mode_16_64 0
		.amdhsa_float_denorm_mode_32 3
		.amdhsa_float_denorm_mode_16_64 3
		.amdhsa_dx10_clamp 1
		.amdhsa_ieee_mode 1
		.amdhsa_fp16_overflow 0
		.amdhsa_tg_split 0
		.amdhsa_exception_fp_ieee_invalid_op 0
		.amdhsa_exception_fp_denorm_src 0
		.amdhsa_exception_fp_ieee_div_zero 0
		.amdhsa_exception_fp_ieee_overflow 0
		.amdhsa_exception_fp_ieee_underflow 0
		.amdhsa_exception_fp_ieee_inexact 0
		.amdhsa_exception_int_div_zero 0
	.end_amdhsa_kernel
	.section	.text._ZN7rocprim17ROCPRIM_400000_NS6detail17trampoline_kernelINS0_14default_configENS1_25transform_config_selectorIlLb0EEEZNS1_14transform_implILb0ES3_S5_NS0_18transform_iteratorINS0_17counting_iteratorImlEEZNS1_24adjacent_difference_implIS3_Lb1ELb0EPlSB_ZN2at6native12_GLOBAL__N_124unique_dim_cuda_templateIfEESt5tupleIJNSC_6TensorESH_SH_EERKSH_lbbbEUlllE1_EE10hipError_tPvRmT2_T3_mT4_P12ihipStream_tbEUlmE_lEESB_NS0_8identityIvEEEESM_SP_SQ_mSR_ST_bEUlT_E_NS1_11comp_targetILNS1_3genE2ELNS1_11target_archE906ELNS1_3gpuE6ELNS1_3repE0EEENS1_30default_config_static_selectorELNS0_4arch9wavefront6targetE1EEEvT1_,"axG",@progbits,_ZN7rocprim17ROCPRIM_400000_NS6detail17trampoline_kernelINS0_14default_configENS1_25transform_config_selectorIlLb0EEEZNS1_14transform_implILb0ES3_S5_NS0_18transform_iteratorINS0_17counting_iteratorImlEEZNS1_24adjacent_difference_implIS3_Lb1ELb0EPlSB_ZN2at6native12_GLOBAL__N_124unique_dim_cuda_templateIfEESt5tupleIJNSC_6TensorESH_SH_EERKSH_lbbbEUlllE1_EE10hipError_tPvRmT2_T3_mT4_P12ihipStream_tbEUlmE_lEESB_NS0_8identityIvEEEESM_SP_SQ_mSR_ST_bEUlT_E_NS1_11comp_targetILNS1_3genE2ELNS1_11target_archE906ELNS1_3gpuE6ELNS1_3repE0EEENS1_30default_config_static_selectorELNS0_4arch9wavefront6targetE1EEEvT1_,comdat
.Lfunc_end916:
	.size	_ZN7rocprim17ROCPRIM_400000_NS6detail17trampoline_kernelINS0_14default_configENS1_25transform_config_selectorIlLb0EEEZNS1_14transform_implILb0ES3_S5_NS0_18transform_iteratorINS0_17counting_iteratorImlEEZNS1_24adjacent_difference_implIS3_Lb1ELb0EPlSB_ZN2at6native12_GLOBAL__N_124unique_dim_cuda_templateIfEESt5tupleIJNSC_6TensorESH_SH_EERKSH_lbbbEUlllE1_EE10hipError_tPvRmT2_T3_mT4_P12ihipStream_tbEUlmE_lEESB_NS0_8identityIvEEEESM_SP_SQ_mSR_ST_bEUlT_E_NS1_11comp_targetILNS1_3genE2ELNS1_11target_archE906ELNS1_3gpuE6ELNS1_3repE0EEENS1_30default_config_static_selectorELNS0_4arch9wavefront6targetE1EEEvT1_, .Lfunc_end916-_ZN7rocprim17ROCPRIM_400000_NS6detail17trampoline_kernelINS0_14default_configENS1_25transform_config_selectorIlLb0EEEZNS1_14transform_implILb0ES3_S5_NS0_18transform_iteratorINS0_17counting_iteratorImlEEZNS1_24adjacent_difference_implIS3_Lb1ELb0EPlSB_ZN2at6native12_GLOBAL__N_124unique_dim_cuda_templateIfEESt5tupleIJNSC_6TensorESH_SH_EERKSH_lbbbEUlllE1_EE10hipError_tPvRmT2_T3_mT4_P12ihipStream_tbEUlmE_lEESB_NS0_8identityIvEEEESM_SP_SQ_mSR_ST_bEUlT_E_NS1_11comp_targetILNS1_3genE2ELNS1_11target_archE906ELNS1_3gpuE6ELNS1_3repE0EEENS1_30default_config_static_selectorELNS0_4arch9wavefront6targetE1EEEvT1_
                                        ; -- End function
	.section	.AMDGPU.csdata,"",@progbits
; Kernel info:
; codeLenInByte = 0
; NumSgprs: 4
; NumVgprs: 0
; NumAgprs: 0
; TotalNumVgprs: 0
; ScratchSize: 0
; MemoryBound: 0
; FloatMode: 240
; IeeeMode: 1
; LDSByteSize: 0 bytes/workgroup (compile time only)
; SGPRBlocks: 0
; VGPRBlocks: 0
; NumSGPRsForWavesPerEU: 4
; NumVGPRsForWavesPerEU: 1
; AccumOffset: 4
; Occupancy: 8
; WaveLimiterHint : 0
; COMPUTE_PGM_RSRC2:SCRATCH_EN: 0
; COMPUTE_PGM_RSRC2:USER_SGPR: 6
; COMPUTE_PGM_RSRC2:TRAP_HANDLER: 0
; COMPUTE_PGM_RSRC2:TGID_X_EN: 1
; COMPUTE_PGM_RSRC2:TGID_Y_EN: 0
; COMPUTE_PGM_RSRC2:TGID_Z_EN: 0
; COMPUTE_PGM_RSRC2:TIDIG_COMP_CNT: 0
; COMPUTE_PGM_RSRC3_GFX90A:ACCUM_OFFSET: 0
; COMPUTE_PGM_RSRC3_GFX90A:TG_SPLIT: 0
	.section	.text._ZN7rocprim17ROCPRIM_400000_NS6detail17trampoline_kernelINS0_14default_configENS1_25transform_config_selectorIlLb0EEEZNS1_14transform_implILb0ES3_S5_NS0_18transform_iteratorINS0_17counting_iteratorImlEEZNS1_24adjacent_difference_implIS3_Lb1ELb0EPlSB_ZN2at6native12_GLOBAL__N_124unique_dim_cuda_templateIfEESt5tupleIJNSC_6TensorESH_SH_EERKSH_lbbbEUlllE1_EE10hipError_tPvRmT2_T3_mT4_P12ihipStream_tbEUlmE_lEESB_NS0_8identityIvEEEESM_SP_SQ_mSR_ST_bEUlT_E_NS1_11comp_targetILNS1_3genE10ELNS1_11target_archE1201ELNS1_3gpuE5ELNS1_3repE0EEENS1_30default_config_static_selectorELNS0_4arch9wavefront6targetE1EEEvT1_,"axG",@progbits,_ZN7rocprim17ROCPRIM_400000_NS6detail17trampoline_kernelINS0_14default_configENS1_25transform_config_selectorIlLb0EEEZNS1_14transform_implILb0ES3_S5_NS0_18transform_iteratorINS0_17counting_iteratorImlEEZNS1_24adjacent_difference_implIS3_Lb1ELb0EPlSB_ZN2at6native12_GLOBAL__N_124unique_dim_cuda_templateIfEESt5tupleIJNSC_6TensorESH_SH_EERKSH_lbbbEUlllE1_EE10hipError_tPvRmT2_T3_mT4_P12ihipStream_tbEUlmE_lEESB_NS0_8identityIvEEEESM_SP_SQ_mSR_ST_bEUlT_E_NS1_11comp_targetILNS1_3genE10ELNS1_11target_archE1201ELNS1_3gpuE5ELNS1_3repE0EEENS1_30default_config_static_selectorELNS0_4arch9wavefront6targetE1EEEvT1_,comdat
	.globl	_ZN7rocprim17ROCPRIM_400000_NS6detail17trampoline_kernelINS0_14default_configENS1_25transform_config_selectorIlLb0EEEZNS1_14transform_implILb0ES3_S5_NS0_18transform_iteratorINS0_17counting_iteratorImlEEZNS1_24adjacent_difference_implIS3_Lb1ELb0EPlSB_ZN2at6native12_GLOBAL__N_124unique_dim_cuda_templateIfEESt5tupleIJNSC_6TensorESH_SH_EERKSH_lbbbEUlllE1_EE10hipError_tPvRmT2_T3_mT4_P12ihipStream_tbEUlmE_lEESB_NS0_8identityIvEEEESM_SP_SQ_mSR_ST_bEUlT_E_NS1_11comp_targetILNS1_3genE10ELNS1_11target_archE1201ELNS1_3gpuE5ELNS1_3repE0EEENS1_30default_config_static_selectorELNS0_4arch9wavefront6targetE1EEEvT1_ ; -- Begin function _ZN7rocprim17ROCPRIM_400000_NS6detail17trampoline_kernelINS0_14default_configENS1_25transform_config_selectorIlLb0EEEZNS1_14transform_implILb0ES3_S5_NS0_18transform_iteratorINS0_17counting_iteratorImlEEZNS1_24adjacent_difference_implIS3_Lb1ELb0EPlSB_ZN2at6native12_GLOBAL__N_124unique_dim_cuda_templateIfEESt5tupleIJNSC_6TensorESH_SH_EERKSH_lbbbEUlllE1_EE10hipError_tPvRmT2_T3_mT4_P12ihipStream_tbEUlmE_lEESB_NS0_8identityIvEEEESM_SP_SQ_mSR_ST_bEUlT_E_NS1_11comp_targetILNS1_3genE10ELNS1_11target_archE1201ELNS1_3gpuE5ELNS1_3repE0EEENS1_30default_config_static_selectorELNS0_4arch9wavefront6targetE1EEEvT1_
	.p2align	8
	.type	_ZN7rocprim17ROCPRIM_400000_NS6detail17trampoline_kernelINS0_14default_configENS1_25transform_config_selectorIlLb0EEEZNS1_14transform_implILb0ES3_S5_NS0_18transform_iteratorINS0_17counting_iteratorImlEEZNS1_24adjacent_difference_implIS3_Lb1ELb0EPlSB_ZN2at6native12_GLOBAL__N_124unique_dim_cuda_templateIfEESt5tupleIJNSC_6TensorESH_SH_EERKSH_lbbbEUlllE1_EE10hipError_tPvRmT2_T3_mT4_P12ihipStream_tbEUlmE_lEESB_NS0_8identityIvEEEESM_SP_SQ_mSR_ST_bEUlT_E_NS1_11comp_targetILNS1_3genE10ELNS1_11target_archE1201ELNS1_3gpuE5ELNS1_3repE0EEENS1_30default_config_static_selectorELNS0_4arch9wavefront6targetE1EEEvT1_,@function
_ZN7rocprim17ROCPRIM_400000_NS6detail17trampoline_kernelINS0_14default_configENS1_25transform_config_selectorIlLb0EEEZNS1_14transform_implILb0ES3_S5_NS0_18transform_iteratorINS0_17counting_iteratorImlEEZNS1_24adjacent_difference_implIS3_Lb1ELb0EPlSB_ZN2at6native12_GLOBAL__N_124unique_dim_cuda_templateIfEESt5tupleIJNSC_6TensorESH_SH_EERKSH_lbbbEUlllE1_EE10hipError_tPvRmT2_T3_mT4_P12ihipStream_tbEUlmE_lEESB_NS0_8identityIvEEEESM_SP_SQ_mSR_ST_bEUlT_E_NS1_11comp_targetILNS1_3genE10ELNS1_11target_archE1201ELNS1_3gpuE5ELNS1_3repE0EEENS1_30default_config_static_selectorELNS0_4arch9wavefront6targetE1EEEvT1_: ; @_ZN7rocprim17ROCPRIM_400000_NS6detail17trampoline_kernelINS0_14default_configENS1_25transform_config_selectorIlLb0EEEZNS1_14transform_implILb0ES3_S5_NS0_18transform_iteratorINS0_17counting_iteratorImlEEZNS1_24adjacent_difference_implIS3_Lb1ELb0EPlSB_ZN2at6native12_GLOBAL__N_124unique_dim_cuda_templateIfEESt5tupleIJNSC_6TensorESH_SH_EERKSH_lbbbEUlllE1_EE10hipError_tPvRmT2_T3_mT4_P12ihipStream_tbEUlmE_lEESB_NS0_8identityIvEEEESM_SP_SQ_mSR_ST_bEUlT_E_NS1_11comp_targetILNS1_3genE10ELNS1_11target_archE1201ELNS1_3gpuE5ELNS1_3repE0EEENS1_30default_config_static_selectorELNS0_4arch9wavefront6targetE1EEEvT1_
; %bb.0:
	.section	.rodata,"a",@progbits
	.p2align	6, 0x0
	.amdhsa_kernel _ZN7rocprim17ROCPRIM_400000_NS6detail17trampoline_kernelINS0_14default_configENS1_25transform_config_selectorIlLb0EEEZNS1_14transform_implILb0ES3_S5_NS0_18transform_iteratorINS0_17counting_iteratorImlEEZNS1_24adjacent_difference_implIS3_Lb1ELb0EPlSB_ZN2at6native12_GLOBAL__N_124unique_dim_cuda_templateIfEESt5tupleIJNSC_6TensorESH_SH_EERKSH_lbbbEUlllE1_EE10hipError_tPvRmT2_T3_mT4_P12ihipStream_tbEUlmE_lEESB_NS0_8identityIvEEEESM_SP_SQ_mSR_ST_bEUlT_E_NS1_11comp_targetILNS1_3genE10ELNS1_11target_archE1201ELNS1_3gpuE5ELNS1_3repE0EEENS1_30default_config_static_selectorELNS0_4arch9wavefront6targetE1EEEvT1_
		.amdhsa_group_segment_fixed_size 0
		.amdhsa_private_segment_fixed_size 0
		.amdhsa_kernarg_size 56
		.amdhsa_user_sgpr_count 6
		.amdhsa_user_sgpr_private_segment_buffer 1
		.amdhsa_user_sgpr_dispatch_ptr 0
		.amdhsa_user_sgpr_queue_ptr 0
		.amdhsa_user_sgpr_kernarg_segment_ptr 1
		.amdhsa_user_sgpr_dispatch_id 0
		.amdhsa_user_sgpr_flat_scratch_init 0
		.amdhsa_user_sgpr_kernarg_preload_length 0
		.amdhsa_user_sgpr_kernarg_preload_offset 0
		.amdhsa_user_sgpr_private_segment_size 0
		.amdhsa_uses_dynamic_stack 0
		.amdhsa_system_sgpr_private_segment_wavefront_offset 0
		.amdhsa_system_sgpr_workgroup_id_x 1
		.amdhsa_system_sgpr_workgroup_id_y 0
		.amdhsa_system_sgpr_workgroup_id_z 0
		.amdhsa_system_sgpr_workgroup_info 0
		.amdhsa_system_vgpr_workitem_id 0
		.amdhsa_next_free_vgpr 1
		.amdhsa_next_free_sgpr 0
		.amdhsa_accum_offset 4
		.amdhsa_reserve_vcc 0
		.amdhsa_reserve_flat_scratch 0
		.amdhsa_float_round_mode_32 0
		.amdhsa_float_round_mode_16_64 0
		.amdhsa_float_denorm_mode_32 3
		.amdhsa_float_denorm_mode_16_64 3
		.amdhsa_dx10_clamp 1
		.amdhsa_ieee_mode 1
		.amdhsa_fp16_overflow 0
		.amdhsa_tg_split 0
		.amdhsa_exception_fp_ieee_invalid_op 0
		.amdhsa_exception_fp_denorm_src 0
		.amdhsa_exception_fp_ieee_div_zero 0
		.amdhsa_exception_fp_ieee_overflow 0
		.amdhsa_exception_fp_ieee_underflow 0
		.amdhsa_exception_fp_ieee_inexact 0
		.amdhsa_exception_int_div_zero 0
	.end_amdhsa_kernel
	.section	.text._ZN7rocprim17ROCPRIM_400000_NS6detail17trampoline_kernelINS0_14default_configENS1_25transform_config_selectorIlLb0EEEZNS1_14transform_implILb0ES3_S5_NS0_18transform_iteratorINS0_17counting_iteratorImlEEZNS1_24adjacent_difference_implIS3_Lb1ELb0EPlSB_ZN2at6native12_GLOBAL__N_124unique_dim_cuda_templateIfEESt5tupleIJNSC_6TensorESH_SH_EERKSH_lbbbEUlllE1_EE10hipError_tPvRmT2_T3_mT4_P12ihipStream_tbEUlmE_lEESB_NS0_8identityIvEEEESM_SP_SQ_mSR_ST_bEUlT_E_NS1_11comp_targetILNS1_3genE10ELNS1_11target_archE1201ELNS1_3gpuE5ELNS1_3repE0EEENS1_30default_config_static_selectorELNS0_4arch9wavefront6targetE1EEEvT1_,"axG",@progbits,_ZN7rocprim17ROCPRIM_400000_NS6detail17trampoline_kernelINS0_14default_configENS1_25transform_config_selectorIlLb0EEEZNS1_14transform_implILb0ES3_S5_NS0_18transform_iteratorINS0_17counting_iteratorImlEEZNS1_24adjacent_difference_implIS3_Lb1ELb0EPlSB_ZN2at6native12_GLOBAL__N_124unique_dim_cuda_templateIfEESt5tupleIJNSC_6TensorESH_SH_EERKSH_lbbbEUlllE1_EE10hipError_tPvRmT2_T3_mT4_P12ihipStream_tbEUlmE_lEESB_NS0_8identityIvEEEESM_SP_SQ_mSR_ST_bEUlT_E_NS1_11comp_targetILNS1_3genE10ELNS1_11target_archE1201ELNS1_3gpuE5ELNS1_3repE0EEENS1_30default_config_static_selectorELNS0_4arch9wavefront6targetE1EEEvT1_,comdat
.Lfunc_end917:
	.size	_ZN7rocprim17ROCPRIM_400000_NS6detail17trampoline_kernelINS0_14default_configENS1_25transform_config_selectorIlLb0EEEZNS1_14transform_implILb0ES3_S5_NS0_18transform_iteratorINS0_17counting_iteratorImlEEZNS1_24adjacent_difference_implIS3_Lb1ELb0EPlSB_ZN2at6native12_GLOBAL__N_124unique_dim_cuda_templateIfEESt5tupleIJNSC_6TensorESH_SH_EERKSH_lbbbEUlllE1_EE10hipError_tPvRmT2_T3_mT4_P12ihipStream_tbEUlmE_lEESB_NS0_8identityIvEEEESM_SP_SQ_mSR_ST_bEUlT_E_NS1_11comp_targetILNS1_3genE10ELNS1_11target_archE1201ELNS1_3gpuE5ELNS1_3repE0EEENS1_30default_config_static_selectorELNS0_4arch9wavefront6targetE1EEEvT1_, .Lfunc_end917-_ZN7rocprim17ROCPRIM_400000_NS6detail17trampoline_kernelINS0_14default_configENS1_25transform_config_selectorIlLb0EEEZNS1_14transform_implILb0ES3_S5_NS0_18transform_iteratorINS0_17counting_iteratorImlEEZNS1_24adjacent_difference_implIS3_Lb1ELb0EPlSB_ZN2at6native12_GLOBAL__N_124unique_dim_cuda_templateIfEESt5tupleIJNSC_6TensorESH_SH_EERKSH_lbbbEUlllE1_EE10hipError_tPvRmT2_T3_mT4_P12ihipStream_tbEUlmE_lEESB_NS0_8identityIvEEEESM_SP_SQ_mSR_ST_bEUlT_E_NS1_11comp_targetILNS1_3genE10ELNS1_11target_archE1201ELNS1_3gpuE5ELNS1_3repE0EEENS1_30default_config_static_selectorELNS0_4arch9wavefront6targetE1EEEvT1_
                                        ; -- End function
	.section	.AMDGPU.csdata,"",@progbits
; Kernel info:
; codeLenInByte = 0
; NumSgprs: 4
; NumVgprs: 0
; NumAgprs: 0
; TotalNumVgprs: 0
; ScratchSize: 0
; MemoryBound: 0
; FloatMode: 240
; IeeeMode: 1
; LDSByteSize: 0 bytes/workgroup (compile time only)
; SGPRBlocks: 0
; VGPRBlocks: 0
; NumSGPRsForWavesPerEU: 4
; NumVGPRsForWavesPerEU: 1
; AccumOffset: 4
; Occupancy: 8
; WaveLimiterHint : 0
; COMPUTE_PGM_RSRC2:SCRATCH_EN: 0
; COMPUTE_PGM_RSRC2:USER_SGPR: 6
; COMPUTE_PGM_RSRC2:TRAP_HANDLER: 0
; COMPUTE_PGM_RSRC2:TGID_X_EN: 1
; COMPUTE_PGM_RSRC2:TGID_Y_EN: 0
; COMPUTE_PGM_RSRC2:TGID_Z_EN: 0
; COMPUTE_PGM_RSRC2:TIDIG_COMP_CNT: 0
; COMPUTE_PGM_RSRC3_GFX90A:ACCUM_OFFSET: 0
; COMPUTE_PGM_RSRC3_GFX90A:TG_SPLIT: 0
	.section	.text._ZN7rocprim17ROCPRIM_400000_NS6detail17trampoline_kernelINS0_14default_configENS1_25transform_config_selectorIlLb0EEEZNS1_14transform_implILb0ES3_S5_NS0_18transform_iteratorINS0_17counting_iteratorImlEEZNS1_24adjacent_difference_implIS3_Lb1ELb0EPlSB_ZN2at6native12_GLOBAL__N_124unique_dim_cuda_templateIfEESt5tupleIJNSC_6TensorESH_SH_EERKSH_lbbbEUlllE1_EE10hipError_tPvRmT2_T3_mT4_P12ihipStream_tbEUlmE_lEESB_NS0_8identityIvEEEESM_SP_SQ_mSR_ST_bEUlT_E_NS1_11comp_targetILNS1_3genE10ELNS1_11target_archE1200ELNS1_3gpuE4ELNS1_3repE0EEENS1_30default_config_static_selectorELNS0_4arch9wavefront6targetE1EEEvT1_,"axG",@progbits,_ZN7rocprim17ROCPRIM_400000_NS6detail17trampoline_kernelINS0_14default_configENS1_25transform_config_selectorIlLb0EEEZNS1_14transform_implILb0ES3_S5_NS0_18transform_iteratorINS0_17counting_iteratorImlEEZNS1_24adjacent_difference_implIS3_Lb1ELb0EPlSB_ZN2at6native12_GLOBAL__N_124unique_dim_cuda_templateIfEESt5tupleIJNSC_6TensorESH_SH_EERKSH_lbbbEUlllE1_EE10hipError_tPvRmT2_T3_mT4_P12ihipStream_tbEUlmE_lEESB_NS0_8identityIvEEEESM_SP_SQ_mSR_ST_bEUlT_E_NS1_11comp_targetILNS1_3genE10ELNS1_11target_archE1200ELNS1_3gpuE4ELNS1_3repE0EEENS1_30default_config_static_selectorELNS0_4arch9wavefront6targetE1EEEvT1_,comdat
	.globl	_ZN7rocprim17ROCPRIM_400000_NS6detail17trampoline_kernelINS0_14default_configENS1_25transform_config_selectorIlLb0EEEZNS1_14transform_implILb0ES3_S5_NS0_18transform_iteratorINS0_17counting_iteratorImlEEZNS1_24adjacent_difference_implIS3_Lb1ELb0EPlSB_ZN2at6native12_GLOBAL__N_124unique_dim_cuda_templateIfEESt5tupleIJNSC_6TensorESH_SH_EERKSH_lbbbEUlllE1_EE10hipError_tPvRmT2_T3_mT4_P12ihipStream_tbEUlmE_lEESB_NS0_8identityIvEEEESM_SP_SQ_mSR_ST_bEUlT_E_NS1_11comp_targetILNS1_3genE10ELNS1_11target_archE1200ELNS1_3gpuE4ELNS1_3repE0EEENS1_30default_config_static_selectorELNS0_4arch9wavefront6targetE1EEEvT1_ ; -- Begin function _ZN7rocprim17ROCPRIM_400000_NS6detail17trampoline_kernelINS0_14default_configENS1_25transform_config_selectorIlLb0EEEZNS1_14transform_implILb0ES3_S5_NS0_18transform_iteratorINS0_17counting_iteratorImlEEZNS1_24adjacent_difference_implIS3_Lb1ELb0EPlSB_ZN2at6native12_GLOBAL__N_124unique_dim_cuda_templateIfEESt5tupleIJNSC_6TensorESH_SH_EERKSH_lbbbEUlllE1_EE10hipError_tPvRmT2_T3_mT4_P12ihipStream_tbEUlmE_lEESB_NS0_8identityIvEEEESM_SP_SQ_mSR_ST_bEUlT_E_NS1_11comp_targetILNS1_3genE10ELNS1_11target_archE1200ELNS1_3gpuE4ELNS1_3repE0EEENS1_30default_config_static_selectorELNS0_4arch9wavefront6targetE1EEEvT1_
	.p2align	8
	.type	_ZN7rocprim17ROCPRIM_400000_NS6detail17trampoline_kernelINS0_14default_configENS1_25transform_config_selectorIlLb0EEEZNS1_14transform_implILb0ES3_S5_NS0_18transform_iteratorINS0_17counting_iteratorImlEEZNS1_24adjacent_difference_implIS3_Lb1ELb0EPlSB_ZN2at6native12_GLOBAL__N_124unique_dim_cuda_templateIfEESt5tupleIJNSC_6TensorESH_SH_EERKSH_lbbbEUlllE1_EE10hipError_tPvRmT2_T3_mT4_P12ihipStream_tbEUlmE_lEESB_NS0_8identityIvEEEESM_SP_SQ_mSR_ST_bEUlT_E_NS1_11comp_targetILNS1_3genE10ELNS1_11target_archE1200ELNS1_3gpuE4ELNS1_3repE0EEENS1_30default_config_static_selectorELNS0_4arch9wavefront6targetE1EEEvT1_,@function
_ZN7rocprim17ROCPRIM_400000_NS6detail17trampoline_kernelINS0_14default_configENS1_25transform_config_selectorIlLb0EEEZNS1_14transform_implILb0ES3_S5_NS0_18transform_iteratorINS0_17counting_iteratorImlEEZNS1_24adjacent_difference_implIS3_Lb1ELb0EPlSB_ZN2at6native12_GLOBAL__N_124unique_dim_cuda_templateIfEESt5tupleIJNSC_6TensorESH_SH_EERKSH_lbbbEUlllE1_EE10hipError_tPvRmT2_T3_mT4_P12ihipStream_tbEUlmE_lEESB_NS0_8identityIvEEEESM_SP_SQ_mSR_ST_bEUlT_E_NS1_11comp_targetILNS1_3genE10ELNS1_11target_archE1200ELNS1_3gpuE4ELNS1_3repE0EEENS1_30default_config_static_selectorELNS0_4arch9wavefront6targetE1EEEvT1_: ; @_ZN7rocprim17ROCPRIM_400000_NS6detail17trampoline_kernelINS0_14default_configENS1_25transform_config_selectorIlLb0EEEZNS1_14transform_implILb0ES3_S5_NS0_18transform_iteratorINS0_17counting_iteratorImlEEZNS1_24adjacent_difference_implIS3_Lb1ELb0EPlSB_ZN2at6native12_GLOBAL__N_124unique_dim_cuda_templateIfEESt5tupleIJNSC_6TensorESH_SH_EERKSH_lbbbEUlllE1_EE10hipError_tPvRmT2_T3_mT4_P12ihipStream_tbEUlmE_lEESB_NS0_8identityIvEEEESM_SP_SQ_mSR_ST_bEUlT_E_NS1_11comp_targetILNS1_3genE10ELNS1_11target_archE1200ELNS1_3gpuE4ELNS1_3repE0EEENS1_30default_config_static_selectorELNS0_4arch9wavefront6targetE1EEEvT1_
; %bb.0:
	.section	.rodata,"a",@progbits
	.p2align	6, 0x0
	.amdhsa_kernel _ZN7rocprim17ROCPRIM_400000_NS6detail17trampoline_kernelINS0_14default_configENS1_25transform_config_selectorIlLb0EEEZNS1_14transform_implILb0ES3_S5_NS0_18transform_iteratorINS0_17counting_iteratorImlEEZNS1_24adjacent_difference_implIS3_Lb1ELb0EPlSB_ZN2at6native12_GLOBAL__N_124unique_dim_cuda_templateIfEESt5tupleIJNSC_6TensorESH_SH_EERKSH_lbbbEUlllE1_EE10hipError_tPvRmT2_T3_mT4_P12ihipStream_tbEUlmE_lEESB_NS0_8identityIvEEEESM_SP_SQ_mSR_ST_bEUlT_E_NS1_11comp_targetILNS1_3genE10ELNS1_11target_archE1200ELNS1_3gpuE4ELNS1_3repE0EEENS1_30default_config_static_selectorELNS0_4arch9wavefront6targetE1EEEvT1_
		.amdhsa_group_segment_fixed_size 0
		.amdhsa_private_segment_fixed_size 0
		.amdhsa_kernarg_size 56
		.amdhsa_user_sgpr_count 6
		.amdhsa_user_sgpr_private_segment_buffer 1
		.amdhsa_user_sgpr_dispatch_ptr 0
		.amdhsa_user_sgpr_queue_ptr 0
		.amdhsa_user_sgpr_kernarg_segment_ptr 1
		.amdhsa_user_sgpr_dispatch_id 0
		.amdhsa_user_sgpr_flat_scratch_init 0
		.amdhsa_user_sgpr_kernarg_preload_length 0
		.amdhsa_user_sgpr_kernarg_preload_offset 0
		.amdhsa_user_sgpr_private_segment_size 0
		.amdhsa_uses_dynamic_stack 0
		.amdhsa_system_sgpr_private_segment_wavefront_offset 0
		.amdhsa_system_sgpr_workgroup_id_x 1
		.amdhsa_system_sgpr_workgroup_id_y 0
		.amdhsa_system_sgpr_workgroup_id_z 0
		.amdhsa_system_sgpr_workgroup_info 0
		.amdhsa_system_vgpr_workitem_id 0
		.amdhsa_next_free_vgpr 1
		.amdhsa_next_free_sgpr 0
		.amdhsa_accum_offset 4
		.amdhsa_reserve_vcc 0
		.amdhsa_reserve_flat_scratch 0
		.amdhsa_float_round_mode_32 0
		.amdhsa_float_round_mode_16_64 0
		.amdhsa_float_denorm_mode_32 3
		.amdhsa_float_denorm_mode_16_64 3
		.amdhsa_dx10_clamp 1
		.amdhsa_ieee_mode 1
		.amdhsa_fp16_overflow 0
		.amdhsa_tg_split 0
		.amdhsa_exception_fp_ieee_invalid_op 0
		.amdhsa_exception_fp_denorm_src 0
		.amdhsa_exception_fp_ieee_div_zero 0
		.amdhsa_exception_fp_ieee_overflow 0
		.amdhsa_exception_fp_ieee_underflow 0
		.amdhsa_exception_fp_ieee_inexact 0
		.amdhsa_exception_int_div_zero 0
	.end_amdhsa_kernel
	.section	.text._ZN7rocprim17ROCPRIM_400000_NS6detail17trampoline_kernelINS0_14default_configENS1_25transform_config_selectorIlLb0EEEZNS1_14transform_implILb0ES3_S5_NS0_18transform_iteratorINS0_17counting_iteratorImlEEZNS1_24adjacent_difference_implIS3_Lb1ELb0EPlSB_ZN2at6native12_GLOBAL__N_124unique_dim_cuda_templateIfEESt5tupleIJNSC_6TensorESH_SH_EERKSH_lbbbEUlllE1_EE10hipError_tPvRmT2_T3_mT4_P12ihipStream_tbEUlmE_lEESB_NS0_8identityIvEEEESM_SP_SQ_mSR_ST_bEUlT_E_NS1_11comp_targetILNS1_3genE10ELNS1_11target_archE1200ELNS1_3gpuE4ELNS1_3repE0EEENS1_30default_config_static_selectorELNS0_4arch9wavefront6targetE1EEEvT1_,"axG",@progbits,_ZN7rocprim17ROCPRIM_400000_NS6detail17trampoline_kernelINS0_14default_configENS1_25transform_config_selectorIlLb0EEEZNS1_14transform_implILb0ES3_S5_NS0_18transform_iteratorINS0_17counting_iteratorImlEEZNS1_24adjacent_difference_implIS3_Lb1ELb0EPlSB_ZN2at6native12_GLOBAL__N_124unique_dim_cuda_templateIfEESt5tupleIJNSC_6TensorESH_SH_EERKSH_lbbbEUlllE1_EE10hipError_tPvRmT2_T3_mT4_P12ihipStream_tbEUlmE_lEESB_NS0_8identityIvEEEESM_SP_SQ_mSR_ST_bEUlT_E_NS1_11comp_targetILNS1_3genE10ELNS1_11target_archE1200ELNS1_3gpuE4ELNS1_3repE0EEENS1_30default_config_static_selectorELNS0_4arch9wavefront6targetE1EEEvT1_,comdat
.Lfunc_end918:
	.size	_ZN7rocprim17ROCPRIM_400000_NS6detail17trampoline_kernelINS0_14default_configENS1_25transform_config_selectorIlLb0EEEZNS1_14transform_implILb0ES3_S5_NS0_18transform_iteratorINS0_17counting_iteratorImlEEZNS1_24adjacent_difference_implIS3_Lb1ELb0EPlSB_ZN2at6native12_GLOBAL__N_124unique_dim_cuda_templateIfEESt5tupleIJNSC_6TensorESH_SH_EERKSH_lbbbEUlllE1_EE10hipError_tPvRmT2_T3_mT4_P12ihipStream_tbEUlmE_lEESB_NS0_8identityIvEEEESM_SP_SQ_mSR_ST_bEUlT_E_NS1_11comp_targetILNS1_3genE10ELNS1_11target_archE1200ELNS1_3gpuE4ELNS1_3repE0EEENS1_30default_config_static_selectorELNS0_4arch9wavefront6targetE1EEEvT1_, .Lfunc_end918-_ZN7rocprim17ROCPRIM_400000_NS6detail17trampoline_kernelINS0_14default_configENS1_25transform_config_selectorIlLb0EEEZNS1_14transform_implILb0ES3_S5_NS0_18transform_iteratorINS0_17counting_iteratorImlEEZNS1_24adjacent_difference_implIS3_Lb1ELb0EPlSB_ZN2at6native12_GLOBAL__N_124unique_dim_cuda_templateIfEESt5tupleIJNSC_6TensorESH_SH_EERKSH_lbbbEUlllE1_EE10hipError_tPvRmT2_T3_mT4_P12ihipStream_tbEUlmE_lEESB_NS0_8identityIvEEEESM_SP_SQ_mSR_ST_bEUlT_E_NS1_11comp_targetILNS1_3genE10ELNS1_11target_archE1200ELNS1_3gpuE4ELNS1_3repE0EEENS1_30default_config_static_selectorELNS0_4arch9wavefront6targetE1EEEvT1_
                                        ; -- End function
	.section	.AMDGPU.csdata,"",@progbits
; Kernel info:
; codeLenInByte = 0
; NumSgprs: 4
; NumVgprs: 0
; NumAgprs: 0
; TotalNumVgprs: 0
; ScratchSize: 0
; MemoryBound: 0
; FloatMode: 240
; IeeeMode: 1
; LDSByteSize: 0 bytes/workgroup (compile time only)
; SGPRBlocks: 0
; VGPRBlocks: 0
; NumSGPRsForWavesPerEU: 4
; NumVGPRsForWavesPerEU: 1
; AccumOffset: 4
; Occupancy: 8
; WaveLimiterHint : 0
; COMPUTE_PGM_RSRC2:SCRATCH_EN: 0
; COMPUTE_PGM_RSRC2:USER_SGPR: 6
; COMPUTE_PGM_RSRC2:TRAP_HANDLER: 0
; COMPUTE_PGM_RSRC2:TGID_X_EN: 1
; COMPUTE_PGM_RSRC2:TGID_Y_EN: 0
; COMPUTE_PGM_RSRC2:TGID_Z_EN: 0
; COMPUTE_PGM_RSRC2:TIDIG_COMP_CNT: 0
; COMPUTE_PGM_RSRC3_GFX90A:ACCUM_OFFSET: 0
; COMPUTE_PGM_RSRC3_GFX90A:TG_SPLIT: 0
	.section	.text._ZN7rocprim17ROCPRIM_400000_NS6detail17trampoline_kernelINS0_14default_configENS1_25transform_config_selectorIlLb0EEEZNS1_14transform_implILb0ES3_S5_NS0_18transform_iteratorINS0_17counting_iteratorImlEEZNS1_24adjacent_difference_implIS3_Lb1ELb0EPlSB_ZN2at6native12_GLOBAL__N_124unique_dim_cuda_templateIfEESt5tupleIJNSC_6TensorESH_SH_EERKSH_lbbbEUlllE1_EE10hipError_tPvRmT2_T3_mT4_P12ihipStream_tbEUlmE_lEESB_NS0_8identityIvEEEESM_SP_SQ_mSR_ST_bEUlT_E_NS1_11comp_targetILNS1_3genE9ELNS1_11target_archE1100ELNS1_3gpuE3ELNS1_3repE0EEENS1_30default_config_static_selectorELNS0_4arch9wavefront6targetE1EEEvT1_,"axG",@progbits,_ZN7rocprim17ROCPRIM_400000_NS6detail17trampoline_kernelINS0_14default_configENS1_25transform_config_selectorIlLb0EEEZNS1_14transform_implILb0ES3_S5_NS0_18transform_iteratorINS0_17counting_iteratorImlEEZNS1_24adjacent_difference_implIS3_Lb1ELb0EPlSB_ZN2at6native12_GLOBAL__N_124unique_dim_cuda_templateIfEESt5tupleIJNSC_6TensorESH_SH_EERKSH_lbbbEUlllE1_EE10hipError_tPvRmT2_T3_mT4_P12ihipStream_tbEUlmE_lEESB_NS0_8identityIvEEEESM_SP_SQ_mSR_ST_bEUlT_E_NS1_11comp_targetILNS1_3genE9ELNS1_11target_archE1100ELNS1_3gpuE3ELNS1_3repE0EEENS1_30default_config_static_selectorELNS0_4arch9wavefront6targetE1EEEvT1_,comdat
	.globl	_ZN7rocprim17ROCPRIM_400000_NS6detail17trampoline_kernelINS0_14default_configENS1_25transform_config_selectorIlLb0EEEZNS1_14transform_implILb0ES3_S5_NS0_18transform_iteratorINS0_17counting_iteratorImlEEZNS1_24adjacent_difference_implIS3_Lb1ELb0EPlSB_ZN2at6native12_GLOBAL__N_124unique_dim_cuda_templateIfEESt5tupleIJNSC_6TensorESH_SH_EERKSH_lbbbEUlllE1_EE10hipError_tPvRmT2_T3_mT4_P12ihipStream_tbEUlmE_lEESB_NS0_8identityIvEEEESM_SP_SQ_mSR_ST_bEUlT_E_NS1_11comp_targetILNS1_3genE9ELNS1_11target_archE1100ELNS1_3gpuE3ELNS1_3repE0EEENS1_30default_config_static_selectorELNS0_4arch9wavefront6targetE1EEEvT1_ ; -- Begin function _ZN7rocprim17ROCPRIM_400000_NS6detail17trampoline_kernelINS0_14default_configENS1_25transform_config_selectorIlLb0EEEZNS1_14transform_implILb0ES3_S5_NS0_18transform_iteratorINS0_17counting_iteratorImlEEZNS1_24adjacent_difference_implIS3_Lb1ELb0EPlSB_ZN2at6native12_GLOBAL__N_124unique_dim_cuda_templateIfEESt5tupleIJNSC_6TensorESH_SH_EERKSH_lbbbEUlllE1_EE10hipError_tPvRmT2_T3_mT4_P12ihipStream_tbEUlmE_lEESB_NS0_8identityIvEEEESM_SP_SQ_mSR_ST_bEUlT_E_NS1_11comp_targetILNS1_3genE9ELNS1_11target_archE1100ELNS1_3gpuE3ELNS1_3repE0EEENS1_30default_config_static_selectorELNS0_4arch9wavefront6targetE1EEEvT1_
	.p2align	8
	.type	_ZN7rocprim17ROCPRIM_400000_NS6detail17trampoline_kernelINS0_14default_configENS1_25transform_config_selectorIlLb0EEEZNS1_14transform_implILb0ES3_S5_NS0_18transform_iteratorINS0_17counting_iteratorImlEEZNS1_24adjacent_difference_implIS3_Lb1ELb0EPlSB_ZN2at6native12_GLOBAL__N_124unique_dim_cuda_templateIfEESt5tupleIJNSC_6TensorESH_SH_EERKSH_lbbbEUlllE1_EE10hipError_tPvRmT2_T3_mT4_P12ihipStream_tbEUlmE_lEESB_NS0_8identityIvEEEESM_SP_SQ_mSR_ST_bEUlT_E_NS1_11comp_targetILNS1_3genE9ELNS1_11target_archE1100ELNS1_3gpuE3ELNS1_3repE0EEENS1_30default_config_static_selectorELNS0_4arch9wavefront6targetE1EEEvT1_,@function
_ZN7rocprim17ROCPRIM_400000_NS6detail17trampoline_kernelINS0_14default_configENS1_25transform_config_selectorIlLb0EEEZNS1_14transform_implILb0ES3_S5_NS0_18transform_iteratorINS0_17counting_iteratorImlEEZNS1_24adjacent_difference_implIS3_Lb1ELb0EPlSB_ZN2at6native12_GLOBAL__N_124unique_dim_cuda_templateIfEESt5tupleIJNSC_6TensorESH_SH_EERKSH_lbbbEUlllE1_EE10hipError_tPvRmT2_T3_mT4_P12ihipStream_tbEUlmE_lEESB_NS0_8identityIvEEEESM_SP_SQ_mSR_ST_bEUlT_E_NS1_11comp_targetILNS1_3genE9ELNS1_11target_archE1100ELNS1_3gpuE3ELNS1_3repE0EEENS1_30default_config_static_selectorELNS0_4arch9wavefront6targetE1EEEvT1_: ; @_ZN7rocprim17ROCPRIM_400000_NS6detail17trampoline_kernelINS0_14default_configENS1_25transform_config_selectorIlLb0EEEZNS1_14transform_implILb0ES3_S5_NS0_18transform_iteratorINS0_17counting_iteratorImlEEZNS1_24adjacent_difference_implIS3_Lb1ELb0EPlSB_ZN2at6native12_GLOBAL__N_124unique_dim_cuda_templateIfEESt5tupleIJNSC_6TensorESH_SH_EERKSH_lbbbEUlllE1_EE10hipError_tPvRmT2_T3_mT4_P12ihipStream_tbEUlmE_lEESB_NS0_8identityIvEEEESM_SP_SQ_mSR_ST_bEUlT_E_NS1_11comp_targetILNS1_3genE9ELNS1_11target_archE1100ELNS1_3gpuE3ELNS1_3repE0EEENS1_30default_config_static_selectorELNS0_4arch9wavefront6targetE1EEEvT1_
; %bb.0:
	.section	.rodata,"a",@progbits
	.p2align	6, 0x0
	.amdhsa_kernel _ZN7rocprim17ROCPRIM_400000_NS6detail17trampoline_kernelINS0_14default_configENS1_25transform_config_selectorIlLb0EEEZNS1_14transform_implILb0ES3_S5_NS0_18transform_iteratorINS0_17counting_iteratorImlEEZNS1_24adjacent_difference_implIS3_Lb1ELb0EPlSB_ZN2at6native12_GLOBAL__N_124unique_dim_cuda_templateIfEESt5tupleIJNSC_6TensorESH_SH_EERKSH_lbbbEUlllE1_EE10hipError_tPvRmT2_T3_mT4_P12ihipStream_tbEUlmE_lEESB_NS0_8identityIvEEEESM_SP_SQ_mSR_ST_bEUlT_E_NS1_11comp_targetILNS1_3genE9ELNS1_11target_archE1100ELNS1_3gpuE3ELNS1_3repE0EEENS1_30default_config_static_selectorELNS0_4arch9wavefront6targetE1EEEvT1_
		.amdhsa_group_segment_fixed_size 0
		.amdhsa_private_segment_fixed_size 0
		.amdhsa_kernarg_size 56
		.amdhsa_user_sgpr_count 6
		.amdhsa_user_sgpr_private_segment_buffer 1
		.amdhsa_user_sgpr_dispatch_ptr 0
		.amdhsa_user_sgpr_queue_ptr 0
		.amdhsa_user_sgpr_kernarg_segment_ptr 1
		.amdhsa_user_sgpr_dispatch_id 0
		.amdhsa_user_sgpr_flat_scratch_init 0
		.amdhsa_user_sgpr_kernarg_preload_length 0
		.amdhsa_user_sgpr_kernarg_preload_offset 0
		.amdhsa_user_sgpr_private_segment_size 0
		.amdhsa_uses_dynamic_stack 0
		.amdhsa_system_sgpr_private_segment_wavefront_offset 0
		.amdhsa_system_sgpr_workgroup_id_x 1
		.amdhsa_system_sgpr_workgroup_id_y 0
		.amdhsa_system_sgpr_workgroup_id_z 0
		.amdhsa_system_sgpr_workgroup_info 0
		.amdhsa_system_vgpr_workitem_id 0
		.amdhsa_next_free_vgpr 1
		.amdhsa_next_free_sgpr 0
		.amdhsa_accum_offset 4
		.amdhsa_reserve_vcc 0
		.amdhsa_reserve_flat_scratch 0
		.amdhsa_float_round_mode_32 0
		.amdhsa_float_round_mode_16_64 0
		.amdhsa_float_denorm_mode_32 3
		.amdhsa_float_denorm_mode_16_64 3
		.amdhsa_dx10_clamp 1
		.amdhsa_ieee_mode 1
		.amdhsa_fp16_overflow 0
		.amdhsa_tg_split 0
		.amdhsa_exception_fp_ieee_invalid_op 0
		.amdhsa_exception_fp_denorm_src 0
		.amdhsa_exception_fp_ieee_div_zero 0
		.amdhsa_exception_fp_ieee_overflow 0
		.amdhsa_exception_fp_ieee_underflow 0
		.amdhsa_exception_fp_ieee_inexact 0
		.amdhsa_exception_int_div_zero 0
	.end_amdhsa_kernel
	.section	.text._ZN7rocprim17ROCPRIM_400000_NS6detail17trampoline_kernelINS0_14default_configENS1_25transform_config_selectorIlLb0EEEZNS1_14transform_implILb0ES3_S5_NS0_18transform_iteratorINS0_17counting_iteratorImlEEZNS1_24adjacent_difference_implIS3_Lb1ELb0EPlSB_ZN2at6native12_GLOBAL__N_124unique_dim_cuda_templateIfEESt5tupleIJNSC_6TensorESH_SH_EERKSH_lbbbEUlllE1_EE10hipError_tPvRmT2_T3_mT4_P12ihipStream_tbEUlmE_lEESB_NS0_8identityIvEEEESM_SP_SQ_mSR_ST_bEUlT_E_NS1_11comp_targetILNS1_3genE9ELNS1_11target_archE1100ELNS1_3gpuE3ELNS1_3repE0EEENS1_30default_config_static_selectorELNS0_4arch9wavefront6targetE1EEEvT1_,"axG",@progbits,_ZN7rocprim17ROCPRIM_400000_NS6detail17trampoline_kernelINS0_14default_configENS1_25transform_config_selectorIlLb0EEEZNS1_14transform_implILb0ES3_S5_NS0_18transform_iteratorINS0_17counting_iteratorImlEEZNS1_24adjacent_difference_implIS3_Lb1ELb0EPlSB_ZN2at6native12_GLOBAL__N_124unique_dim_cuda_templateIfEESt5tupleIJNSC_6TensorESH_SH_EERKSH_lbbbEUlllE1_EE10hipError_tPvRmT2_T3_mT4_P12ihipStream_tbEUlmE_lEESB_NS0_8identityIvEEEESM_SP_SQ_mSR_ST_bEUlT_E_NS1_11comp_targetILNS1_3genE9ELNS1_11target_archE1100ELNS1_3gpuE3ELNS1_3repE0EEENS1_30default_config_static_selectorELNS0_4arch9wavefront6targetE1EEEvT1_,comdat
.Lfunc_end919:
	.size	_ZN7rocprim17ROCPRIM_400000_NS6detail17trampoline_kernelINS0_14default_configENS1_25transform_config_selectorIlLb0EEEZNS1_14transform_implILb0ES3_S5_NS0_18transform_iteratorINS0_17counting_iteratorImlEEZNS1_24adjacent_difference_implIS3_Lb1ELb0EPlSB_ZN2at6native12_GLOBAL__N_124unique_dim_cuda_templateIfEESt5tupleIJNSC_6TensorESH_SH_EERKSH_lbbbEUlllE1_EE10hipError_tPvRmT2_T3_mT4_P12ihipStream_tbEUlmE_lEESB_NS0_8identityIvEEEESM_SP_SQ_mSR_ST_bEUlT_E_NS1_11comp_targetILNS1_3genE9ELNS1_11target_archE1100ELNS1_3gpuE3ELNS1_3repE0EEENS1_30default_config_static_selectorELNS0_4arch9wavefront6targetE1EEEvT1_, .Lfunc_end919-_ZN7rocprim17ROCPRIM_400000_NS6detail17trampoline_kernelINS0_14default_configENS1_25transform_config_selectorIlLb0EEEZNS1_14transform_implILb0ES3_S5_NS0_18transform_iteratorINS0_17counting_iteratorImlEEZNS1_24adjacent_difference_implIS3_Lb1ELb0EPlSB_ZN2at6native12_GLOBAL__N_124unique_dim_cuda_templateIfEESt5tupleIJNSC_6TensorESH_SH_EERKSH_lbbbEUlllE1_EE10hipError_tPvRmT2_T3_mT4_P12ihipStream_tbEUlmE_lEESB_NS0_8identityIvEEEESM_SP_SQ_mSR_ST_bEUlT_E_NS1_11comp_targetILNS1_3genE9ELNS1_11target_archE1100ELNS1_3gpuE3ELNS1_3repE0EEENS1_30default_config_static_selectorELNS0_4arch9wavefront6targetE1EEEvT1_
                                        ; -- End function
	.section	.AMDGPU.csdata,"",@progbits
; Kernel info:
; codeLenInByte = 0
; NumSgprs: 4
; NumVgprs: 0
; NumAgprs: 0
; TotalNumVgprs: 0
; ScratchSize: 0
; MemoryBound: 0
; FloatMode: 240
; IeeeMode: 1
; LDSByteSize: 0 bytes/workgroup (compile time only)
; SGPRBlocks: 0
; VGPRBlocks: 0
; NumSGPRsForWavesPerEU: 4
; NumVGPRsForWavesPerEU: 1
; AccumOffset: 4
; Occupancy: 8
; WaveLimiterHint : 0
; COMPUTE_PGM_RSRC2:SCRATCH_EN: 0
; COMPUTE_PGM_RSRC2:USER_SGPR: 6
; COMPUTE_PGM_RSRC2:TRAP_HANDLER: 0
; COMPUTE_PGM_RSRC2:TGID_X_EN: 1
; COMPUTE_PGM_RSRC2:TGID_Y_EN: 0
; COMPUTE_PGM_RSRC2:TGID_Z_EN: 0
; COMPUTE_PGM_RSRC2:TIDIG_COMP_CNT: 0
; COMPUTE_PGM_RSRC3_GFX90A:ACCUM_OFFSET: 0
; COMPUTE_PGM_RSRC3_GFX90A:TG_SPLIT: 0
	.section	.text._ZN7rocprim17ROCPRIM_400000_NS6detail17trampoline_kernelINS0_14default_configENS1_25transform_config_selectorIlLb0EEEZNS1_14transform_implILb0ES3_S5_NS0_18transform_iteratorINS0_17counting_iteratorImlEEZNS1_24adjacent_difference_implIS3_Lb1ELb0EPlSB_ZN2at6native12_GLOBAL__N_124unique_dim_cuda_templateIfEESt5tupleIJNSC_6TensorESH_SH_EERKSH_lbbbEUlllE1_EE10hipError_tPvRmT2_T3_mT4_P12ihipStream_tbEUlmE_lEESB_NS0_8identityIvEEEESM_SP_SQ_mSR_ST_bEUlT_E_NS1_11comp_targetILNS1_3genE8ELNS1_11target_archE1030ELNS1_3gpuE2ELNS1_3repE0EEENS1_30default_config_static_selectorELNS0_4arch9wavefront6targetE1EEEvT1_,"axG",@progbits,_ZN7rocprim17ROCPRIM_400000_NS6detail17trampoline_kernelINS0_14default_configENS1_25transform_config_selectorIlLb0EEEZNS1_14transform_implILb0ES3_S5_NS0_18transform_iteratorINS0_17counting_iteratorImlEEZNS1_24adjacent_difference_implIS3_Lb1ELb0EPlSB_ZN2at6native12_GLOBAL__N_124unique_dim_cuda_templateIfEESt5tupleIJNSC_6TensorESH_SH_EERKSH_lbbbEUlllE1_EE10hipError_tPvRmT2_T3_mT4_P12ihipStream_tbEUlmE_lEESB_NS0_8identityIvEEEESM_SP_SQ_mSR_ST_bEUlT_E_NS1_11comp_targetILNS1_3genE8ELNS1_11target_archE1030ELNS1_3gpuE2ELNS1_3repE0EEENS1_30default_config_static_selectorELNS0_4arch9wavefront6targetE1EEEvT1_,comdat
	.globl	_ZN7rocprim17ROCPRIM_400000_NS6detail17trampoline_kernelINS0_14default_configENS1_25transform_config_selectorIlLb0EEEZNS1_14transform_implILb0ES3_S5_NS0_18transform_iteratorINS0_17counting_iteratorImlEEZNS1_24adjacent_difference_implIS3_Lb1ELb0EPlSB_ZN2at6native12_GLOBAL__N_124unique_dim_cuda_templateIfEESt5tupleIJNSC_6TensorESH_SH_EERKSH_lbbbEUlllE1_EE10hipError_tPvRmT2_T3_mT4_P12ihipStream_tbEUlmE_lEESB_NS0_8identityIvEEEESM_SP_SQ_mSR_ST_bEUlT_E_NS1_11comp_targetILNS1_3genE8ELNS1_11target_archE1030ELNS1_3gpuE2ELNS1_3repE0EEENS1_30default_config_static_selectorELNS0_4arch9wavefront6targetE1EEEvT1_ ; -- Begin function _ZN7rocprim17ROCPRIM_400000_NS6detail17trampoline_kernelINS0_14default_configENS1_25transform_config_selectorIlLb0EEEZNS1_14transform_implILb0ES3_S5_NS0_18transform_iteratorINS0_17counting_iteratorImlEEZNS1_24adjacent_difference_implIS3_Lb1ELb0EPlSB_ZN2at6native12_GLOBAL__N_124unique_dim_cuda_templateIfEESt5tupleIJNSC_6TensorESH_SH_EERKSH_lbbbEUlllE1_EE10hipError_tPvRmT2_T3_mT4_P12ihipStream_tbEUlmE_lEESB_NS0_8identityIvEEEESM_SP_SQ_mSR_ST_bEUlT_E_NS1_11comp_targetILNS1_3genE8ELNS1_11target_archE1030ELNS1_3gpuE2ELNS1_3repE0EEENS1_30default_config_static_selectorELNS0_4arch9wavefront6targetE1EEEvT1_
	.p2align	8
	.type	_ZN7rocprim17ROCPRIM_400000_NS6detail17trampoline_kernelINS0_14default_configENS1_25transform_config_selectorIlLb0EEEZNS1_14transform_implILb0ES3_S5_NS0_18transform_iteratorINS0_17counting_iteratorImlEEZNS1_24adjacent_difference_implIS3_Lb1ELb0EPlSB_ZN2at6native12_GLOBAL__N_124unique_dim_cuda_templateIfEESt5tupleIJNSC_6TensorESH_SH_EERKSH_lbbbEUlllE1_EE10hipError_tPvRmT2_T3_mT4_P12ihipStream_tbEUlmE_lEESB_NS0_8identityIvEEEESM_SP_SQ_mSR_ST_bEUlT_E_NS1_11comp_targetILNS1_3genE8ELNS1_11target_archE1030ELNS1_3gpuE2ELNS1_3repE0EEENS1_30default_config_static_selectorELNS0_4arch9wavefront6targetE1EEEvT1_,@function
_ZN7rocprim17ROCPRIM_400000_NS6detail17trampoline_kernelINS0_14default_configENS1_25transform_config_selectorIlLb0EEEZNS1_14transform_implILb0ES3_S5_NS0_18transform_iteratorINS0_17counting_iteratorImlEEZNS1_24adjacent_difference_implIS3_Lb1ELb0EPlSB_ZN2at6native12_GLOBAL__N_124unique_dim_cuda_templateIfEESt5tupleIJNSC_6TensorESH_SH_EERKSH_lbbbEUlllE1_EE10hipError_tPvRmT2_T3_mT4_P12ihipStream_tbEUlmE_lEESB_NS0_8identityIvEEEESM_SP_SQ_mSR_ST_bEUlT_E_NS1_11comp_targetILNS1_3genE8ELNS1_11target_archE1030ELNS1_3gpuE2ELNS1_3repE0EEENS1_30default_config_static_selectorELNS0_4arch9wavefront6targetE1EEEvT1_: ; @_ZN7rocprim17ROCPRIM_400000_NS6detail17trampoline_kernelINS0_14default_configENS1_25transform_config_selectorIlLb0EEEZNS1_14transform_implILb0ES3_S5_NS0_18transform_iteratorINS0_17counting_iteratorImlEEZNS1_24adjacent_difference_implIS3_Lb1ELb0EPlSB_ZN2at6native12_GLOBAL__N_124unique_dim_cuda_templateIfEESt5tupleIJNSC_6TensorESH_SH_EERKSH_lbbbEUlllE1_EE10hipError_tPvRmT2_T3_mT4_P12ihipStream_tbEUlmE_lEESB_NS0_8identityIvEEEESM_SP_SQ_mSR_ST_bEUlT_E_NS1_11comp_targetILNS1_3genE8ELNS1_11target_archE1030ELNS1_3gpuE2ELNS1_3repE0EEENS1_30default_config_static_selectorELNS0_4arch9wavefront6targetE1EEEvT1_
; %bb.0:
	.section	.rodata,"a",@progbits
	.p2align	6, 0x0
	.amdhsa_kernel _ZN7rocprim17ROCPRIM_400000_NS6detail17trampoline_kernelINS0_14default_configENS1_25transform_config_selectorIlLb0EEEZNS1_14transform_implILb0ES3_S5_NS0_18transform_iteratorINS0_17counting_iteratorImlEEZNS1_24adjacent_difference_implIS3_Lb1ELb0EPlSB_ZN2at6native12_GLOBAL__N_124unique_dim_cuda_templateIfEESt5tupleIJNSC_6TensorESH_SH_EERKSH_lbbbEUlllE1_EE10hipError_tPvRmT2_T3_mT4_P12ihipStream_tbEUlmE_lEESB_NS0_8identityIvEEEESM_SP_SQ_mSR_ST_bEUlT_E_NS1_11comp_targetILNS1_3genE8ELNS1_11target_archE1030ELNS1_3gpuE2ELNS1_3repE0EEENS1_30default_config_static_selectorELNS0_4arch9wavefront6targetE1EEEvT1_
		.amdhsa_group_segment_fixed_size 0
		.amdhsa_private_segment_fixed_size 0
		.amdhsa_kernarg_size 56
		.amdhsa_user_sgpr_count 6
		.amdhsa_user_sgpr_private_segment_buffer 1
		.amdhsa_user_sgpr_dispatch_ptr 0
		.amdhsa_user_sgpr_queue_ptr 0
		.amdhsa_user_sgpr_kernarg_segment_ptr 1
		.amdhsa_user_sgpr_dispatch_id 0
		.amdhsa_user_sgpr_flat_scratch_init 0
		.amdhsa_user_sgpr_kernarg_preload_length 0
		.amdhsa_user_sgpr_kernarg_preload_offset 0
		.amdhsa_user_sgpr_private_segment_size 0
		.amdhsa_uses_dynamic_stack 0
		.amdhsa_system_sgpr_private_segment_wavefront_offset 0
		.amdhsa_system_sgpr_workgroup_id_x 1
		.amdhsa_system_sgpr_workgroup_id_y 0
		.amdhsa_system_sgpr_workgroup_id_z 0
		.amdhsa_system_sgpr_workgroup_info 0
		.amdhsa_system_vgpr_workitem_id 0
		.amdhsa_next_free_vgpr 1
		.amdhsa_next_free_sgpr 0
		.amdhsa_accum_offset 4
		.amdhsa_reserve_vcc 0
		.amdhsa_reserve_flat_scratch 0
		.amdhsa_float_round_mode_32 0
		.amdhsa_float_round_mode_16_64 0
		.amdhsa_float_denorm_mode_32 3
		.amdhsa_float_denorm_mode_16_64 3
		.amdhsa_dx10_clamp 1
		.amdhsa_ieee_mode 1
		.amdhsa_fp16_overflow 0
		.amdhsa_tg_split 0
		.amdhsa_exception_fp_ieee_invalid_op 0
		.amdhsa_exception_fp_denorm_src 0
		.amdhsa_exception_fp_ieee_div_zero 0
		.amdhsa_exception_fp_ieee_overflow 0
		.amdhsa_exception_fp_ieee_underflow 0
		.amdhsa_exception_fp_ieee_inexact 0
		.amdhsa_exception_int_div_zero 0
	.end_amdhsa_kernel
	.section	.text._ZN7rocprim17ROCPRIM_400000_NS6detail17trampoline_kernelINS0_14default_configENS1_25transform_config_selectorIlLb0EEEZNS1_14transform_implILb0ES3_S5_NS0_18transform_iteratorINS0_17counting_iteratorImlEEZNS1_24adjacent_difference_implIS3_Lb1ELb0EPlSB_ZN2at6native12_GLOBAL__N_124unique_dim_cuda_templateIfEESt5tupleIJNSC_6TensorESH_SH_EERKSH_lbbbEUlllE1_EE10hipError_tPvRmT2_T3_mT4_P12ihipStream_tbEUlmE_lEESB_NS0_8identityIvEEEESM_SP_SQ_mSR_ST_bEUlT_E_NS1_11comp_targetILNS1_3genE8ELNS1_11target_archE1030ELNS1_3gpuE2ELNS1_3repE0EEENS1_30default_config_static_selectorELNS0_4arch9wavefront6targetE1EEEvT1_,"axG",@progbits,_ZN7rocprim17ROCPRIM_400000_NS6detail17trampoline_kernelINS0_14default_configENS1_25transform_config_selectorIlLb0EEEZNS1_14transform_implILb0ES3_S5_NS0_18transform_iteratorINS0_17counting_iteratorImlEEZNS1_24adjacent_difference_implIS3_Lb1ELb0EPlSB_ZN2at6native12_GLOBAL__N_124unique_dim_cuda_templateIfEESt5tupleIJNSC_6TensorESH_SH_EERKSH_lbbbEUlllE1_EE10hipError_tPvRmT2_T3_mT4_P12ihipStream_tbEUlmE_lEESB_NS0_8identityIvEEEESM_SP_SQ_mSR_ST_bEUlT_E_NS1_11comp_targetILNS1_3genE8ELNS1_11target_archE1030ELNS1_3gpuE2ELNS1_3repE0EEENS1_30default_config_static_selectorELNS0_4arch9wavefront6targetE1EEEvT1_,comdat
.Lfunc_end920:
	.size	_ZN7rocprim17ROCPRIM_400000_NS6detail17trampoline_kernelINS0_14default_configENS1_25transform_config_selectorIlLb0EEEZNS1_14transform_implILb0ES3_S5_NS0_18transform_iteratorINS0_17counting_iteratorImlEEZNS1_24adjacent_difference_implIS3_Lb1ELb0EPlSB_ZN2at6native12_GLOBAL__N_124unique_dim_cuda_templateIfEESt5tupleIJNSC_6TensorESH_SH_EERKSH_lbbbEUlllE1_EE10hipError_tPvRmT2_T3_mT4_P12ihipStream_tbEUlmE_lEESB_NS0_8identityIvEEEESM_SP_SQ_mSR_ST_bEUlT_E_NS1_11comp_targetILNS1_3genE8ELNS1_11target_archE1030ELNS1_3gpuE2ELNS1_3repE0EEENS1_30default_config_static_selectorELNS0_4arch9wavefront6targetE1EEEvT1_, .Lfunc_end920-_ZN7rocprim17ROCPRIM_400000_NS6detail17trampoline_kernelINS0_14default_configENS1_25transform_config_selectorIlLb0EEEZNS1_14transform_implILb0ES3_S5_NS0_18transform_iteratorINS0_17counting_iteratorImlEEZNS1_24adjacent_difference_implIS3_Lb1ELb0EPlSB_ZN2at6native12_GLOBAL__N_124unique_dim_cuda_templateIfEESt5tupleIJNSC_6TensorESH_SH_EERKSH_lbbbEUlllE1_EE10hipError_tPvRmT2_T3_mT4_P12ihipStream_tbEUlmE_lEESB_NS0_8identityIvEEEESM_SP_SQ_mSR_ST_bEUlT_E_NS1_11comp_targetILNS1_3genE8ELNS1_11target_archE1030ELNS1_3gpuE2ELNS1_3repE0EEENS1_30default_config_static_selectorELNS0_4arch9wavefront6targetE1EEEvT1_
                                        ; -- End function
	.section	.AMDGPU.csdata,"",@progbits
; Kernel info:
; codeLenInByte = 0
; NumSgprs: 4
; NumVgprs: 0
; NumAgprs: 0
; TotalNumVgprs: 0
; ScratchSize: 0
; MemoryBound: 0
; FloatMode: 240
; IeeeMode: 1
; LDSByteSize: 0 bytes/workgroup (compile time only)
; SGPRBlocks: 0
; VGPRBlocks: 0
; NumSGPRsForWavesPerEU: 4
; NumVGPRsForWavesPerEU: 1
; AccumOffset: 4
; Occupancy: 8
; WaveLimiterHint : 0
; COMPUTE_PGM_RSRC2:SCRATCH_EN: 0
; COMPUTE_PGM_RSRC2:USER_SGPR: 6
; COMPUTE_PGM_RSRC2:TRAP_HANDLER: 0
; COMPUTE_PGM_RSRC2:TGID_X_EN: 1
; COMPUTE_PGM_RSRC2:TGID_Y_EN: 0
; COMPUTE_PGM_RSRC2:TGID_Z_EN: 0
; COMPUTE_PGM_RSRC2:TIDIG_COMP_CNT: 0
; COMPUTE_PGM_RSRC3_GFX90A:ACCUM_OFFSET: 0
; COMPUTE_PGM_RSRC3_GFX90A:TG_SPLIT: 0
	.section	.text._ZN7rocprim17ROCPRIM_400000_NS6detail17trampoline_kernelINS0_14default_configENS1_35adjacent_difference_config_selectorILb1ElEEZNS1_24adjacent_difference_implIS3_Lb1ELb0EPlS7_ZN2at6native12_GLOBAL__N_124unique_dim_cuda_templateIfEESt5tupleIJNS8_6TensorESD_SD_EERKSD_lbbbEUlllE1_EE10hipError_tPvRmT2_T3_mT4_P12ihipStream_tbEUlT_E_NS1_11comp_targetILNS1_3genE0ELNS1_11target_archE4294967295ELNS1_3gpuE0ELNS1_3repE0EEENS1_30default_config_static_selectorELNS0_4arch9wavefront6targetE1EEEvT1_,"axG",@progbits,_ZN7rocprim17ROCPRIM_400000_NS6detail17trampoline_kernelINS0_14default_configENS1_35adjacent_difference_config_selectorILb1ElEEZNS1_24adjacent_difference_implIS3_Lb1ELb0EPlS7_ZN2at6native12_GLOBAL__N_124unique_dim_cuda_templateIfEESt5tupleIJNS8_6TensorESD_SD_EERKSD_lbbbEUlllE1_EE10hipError_tPvRmT2_T3_mT4_P12ihipStream_tbEUlT_E_NS1_11comp_targetILNS1_3genE0ELNS1_11target_archE4294967295ELNS1_3gpuE0ELNS1_3repE0EEENS1_30default_config_static_selectorELNS0_4arch9wavefront6targetE1EEEvT1_,comdat
	.globl	_ZN7rocprim17ROCPRIM_400000_NS6detail17trampoline_kernelINS0_14default_configENS1_35adjacent_difference_config_selectorILb1ElEEZNS1_24adjacent_difference_implIS3_Lb1ELb0EPlS7_ZN2at6native12_GLOBAL__N_124unique_dim_cuda_templateIfEESt5tupleIJNS8_6TensorESD_SD_EERKSD_lbbbEUlllE1_EE10hipError_tPvRmT2_T3_mT4_P12ihipStream_tbEUlT_E_NS1_11comp_targetILNS1_3genE0ELNS1_11target_archE4294967295ELNS1_3gpuE0ELNS1_3repE0EEENS1_30default_config_static_selectorELNS0_4arch9wavefront6targetE1EEEvT1_ ; -- Begin function _ZN7rocprim17ROCPRIM_400000_NS6detail17trampoline_kernelINS0_14default_configENS1_35adjacent_difference_config_selectorILb1ElEEZNS1_24adjacent_difference_implIS3_Lb1ELb0EPlS7_ZN2at6native12_GLOBAL__N_124unique_dim_cuda_templateIfEESt5tupleIJNS8_6TensorESD_SD_EERKSD_lbbbEUlllE1_EE10hipError_tPvRmT2_T3_mT4_P12ihipStream_tbEUlT_E_NS1_11comp_targetILNS1_3genE0ELNS1_11target_archE4294967295ELNS1_3gpuE0ELNS1_3repE0EEENS1_30default_config_static_selectorELNS0_4arch9wavefront6targetE1EEEvT1_
	.p2align	8
	.type	_ZN7rocprim17ROCPRIM_400000_NS6detail17trampoline_kernelINS0_14default_configENS1_35adjacent_difference_config_selectorILb1ElEEZNS1_24adjacent_difference_implIS3_Lb1ELb0EPlS7_ZN2at6native12_GLOBAL__N_124unique_dim_cuda_templateIfEESt5tupleIJNS8_6TensorESD_SD_EERKSD_lbbbEUlllE1_EE10hipError_tPvRmT2_T3_mT4_P12ihipStream_tbEUlT_E_NS1_11comp_targetILNS1_3genE0ELNS1_11target_archE4294967295ELNS1_3gpuE0ELNS1_3repE0EEENS1_30default_config_static_selectorELNS0_4arch9wavefront6targetE1EEEvT1_,@function
_ZN7rocprim17ROCPRIM_400000_NS6detail17trampoline_kernelINS0_14default_configENS1_35adjacent_difference_config_selectorILb1ElEEZNS1_24adjacent_difference_implIS3_Lb1ELb0EPlS7_ZN2at6native12_GLOBAL__N_124unique_dim_cuda_templateIfEESt5tupleIJNS8_6TensorESD_SD_EERKSD_lbbbEUlllE1_EE10hipError_tPvRmT2_T3_mT4_P12ihipStream_tbEUlT_E_NS1_11comp_targetILNS1_3genE0ELNS1_11target_archE4294967295ELNS1_3gpuE0ELNS1_3repE0EEENS1_30default_config_static_selectorELNS0_4arch9wavefront6targetE1EEEvT1_: ; @_ZN7rocprim17ROCPRIM_400000_NS6detail17trampoline_kernelINS0_14default_configENS1_35adjacent_difference_config_selectorILb1ElEEZNS1_24adjacent_difference_implIS3_Lb1ELb0EPlS7_ZN2at6native12_GLOBAL__N_124unique_dim_cuda_templateIfEESt5tupleIJNS8_6TensorESD_SD_EERKSD_lbbbEUlllE1_EE10hipError_tPvRmT2_T3_mT4_P12ihipStream_tbEUlT_E_NS1_11comp_targetILNS1_3genE0ELNS1_11target_archE4294967295ELNS1_3gpuE0ELNS1_3repE0EEENS1_30default_config_static_selectorELNS0_4arch9wavefront6targetE1EEEvT1_
; %bb.0:
	.section	.rodata,"a",@progbits
	.p2align	6, 0x0
	.amdhsa_kernel _ZN7rocprim17ROCPRIM_400000_NS6detail17trampoline_kernelINS0_14default_configENS1_35adjacent_difference_config_selectorILb1ElEEZNS1_24adjacent_difference_implIS3_Lb1ELb0EPlS7_ZN2at6native12_GLOBAL__N_124unique_dim_cuda_templateIfEESt5tupleIJNS8_6TensorESD_SD_EERKSD_lbbbEUlllE1_EE10hipError_tPvRmT2_T3_mT4_P12ihipStream_tbEUlT_E_NS1_11comp_targetILNS1_3genE0ELNS1_11target_archE4294967295ELNS1_3gpuE0ELNS1_3repE0EEENS1_30default_config_static_selectorELNS0_4arch9wavefront6targetE1EEEvT1_
		.amdhsa_group_segment_fixed_size 0
		.amdhsa_private_segment_fixed_size 0
		.amdhsa_kernarg_size 64
		.amdhsa_user_sgpr_count 6
		.amdhsa_user_sgpr_private_segment_buffer 1
		.amdhsa_user_sgpr_dispatch_ptr 0
		.amdhsa_user_sgpr_queue_ptr 0
		.amdhsa_user_sgpr_kernarg_segment_ptr 1
		.amdhsa_user_sgpr_dispatch_id 0
		.amdhsa_user_sgpr_flat_scratch_init 0
		.amdhsa_user_sgpr_kernarg_preload_length 0
		.amdhsa_user_sgpr_kernarg_preload_offset 0
		.amdhsa_user_sgpr_private_segment_size 0
		.amdhsa_uses_dynamic_stack 0
		.amdhsa_system_sgpr_private_segment_wavefront_offset 0
		.amdhsa_system_sgpr_workgroup_id_x 1
		.amdhsa_system_sgpr_workgroup_id_y 0
		.amdhsa_system_sgpr_workgroup_id_z 0
		.amdhsa_system_sgpr_workgroup_info 0
		.amdhsa_system_vgpr_workitem_id 0
		.amdhsa_next_free_vgpr 1
		.amdhsa_next_free_sgpr 0
		.amdhsa_accum_offset 4
		.amdhsa_reserve_vcc 0
		.amdhsa_reserve_flat_scratch 0
		.amdhsa_float_round_mode_32 0
		.amdhsa_float_round_mode_16_64 0
		.amdhsa_float_denorm_mode_32 3
		.amdhsa_float_denorm_mode_16_64 3
		.amdhsa_dx10_clamp 1
		.amdhsa_ieee_mode 1
		.amdhsa_fp16_overflow 0
		.amdhsa_tg_split 0
		.amdhsa_exception_fp_ieee_invalid_op 0
		.amdhsa_exception_fp_denorm_src 0
		.amdhsa_exception_fp_ieee_div_zero 0
		.amdhsa_exception_fp_ieee_overflow 0
		.amdhsa_exception_fp_ieee_underflow 0
		.amdhsa_exception_fp_ieee_inexact 0
		.amdhsa_exception_int_div_zero 0
	.end_amdhsa_kernel
	.section	.text._ZN7rocprim17ROCPRIM_400000_NS6detail17trampoline_kernelINS0_14default_configENS1_35adjacent_difference_config_selectorILb1ElEEZNS1_24adjacent_difference_implIS3_Lb1ELb0EPlS7_ZN2at6native12_GLOBAL__N_124unique_dim_cuda_templateIfEESt5tupleIJNS8_6TensorESD_SD_EERKSD_lbbbEUlllE1_EE10hipError_tPvRmT2_T3_mT4_P12ihipStream_tbEUlT_E_NS1_11comp_targetILNS1_3genE0ELNS1_11target_archE4294967295ELNS1_3gpuE0ELNS1_3repE0EEENS1_30default_config_static_selectorELNS0_4arch9wavefront6targetE1EEEvT1_,"axG",@progbits,_ZN7rocprim17ROCPRIM_400000_NS6detail17trampoline_kernelINS0_14default_configENS1_35adjacent_difference_config_selectorILb1ElEEZNS1_24adjacent_difference_implIS3_Lb1ELb0EPlS7_ZN2at6native12_GLOBAL__N_124unique_dim_cuda_templateIfEESt5tupleIJNS8_6TensorESD_SD_EERKSD_lbbbEUlllE1_EE10hipError_tPvRmT2_T3_mT4_P12ihipStream_tbEUlT_E_NS1_11comp_targetILNS1_3genE0ELNS1_11target_archE4294967295ELNS1_3gpuE0ELNS1_3repE0EEENS1_30default_config_static_selectorELNS0_4arch9wavefront6targetE1EEEvT1_,comdat
.Lfunc_end921:
	.size	_ZN7rocprim17ROCPRIM_400000_NS6detail17trampoline_kernelINS0_14default_configENS1_35adjacent_difference_config_selectorILb1ElEEZNS1_24adjacent_difference_implIS3_Lb1ELb0EPlS7_ZN2at6native12_GLOBAL__N_124unique_dim_cuda_templateIfEESt5tupleIJNS8_6TensorESD_SD_EERKSD_lbbbEUlllE1_EE10hipError_tPvRmT2_T3_mT4_P12ihipStream_tbEUlT_E_NS1_11comp_targetILNS1_3genE0ELNS1_11target_archE4294967295ELNS1_3gpuE0ELNS1_3repE0EEENS1_30default_config_static_selectorELNS0_4arch9wavefront6targetE1EEEvT1_, .Lfunc_end921-_ZN7rocprim17ROCPRIM_400000_NS6detail17trampoline_kernelINS0_14default_configENS1_35adjacent_difference_config_selectorILb1ElEEZNS1_24adjacent_difference_implIS3_Lb1ELb0EPlS7_ZN2at6native12_GLOBAL__N_124unique_dim_cuda_templateIfEESt5tupleIJNS8_6TensorESD_SD_EERKSD_lbbbEUlllE1_EE10hipError_tPvRmT2_T3_mT4_P12ihipStream_tbEUlT_E_NS1_11comp_targetILNS1_3genE0ELNS1_11target_archE4294967295ELNS1_3gpuE0ELNS1_3repE0EEENS1_30default_config_static_selectorELNS0_4arch9wavefront6targetE1EEEvT1_
                                        ; -- End function
	.section	.AMDGPU.csdata,"",@progbits
; Kernel info:
; codeLenInByte = 0
; NumSgprs: 4
; NumVgprs: 0
; NumAgprs: 0
; TotalNumVgprs: 0
; ScratchSize: 0
; MemoryBound: 0
; FloatMode: 240
; IeeeMode: 1
; LDSByteSize: 0 bytes/workgroup (compile time only)
; SGPRBlocks: 0
; VGPRBlocks: 0
; NumSGPRsForWavesPerEU: 4
; NumVGPRsForWavesPerEU: 1
; AccumOffset: 4
; Occupancy: 8
; WaveLimiterHint : 0
; COMPUTE_PGM_RSRC2:SCRATCH_EN: 0
; COMPUTE_PGM_RSRC2:USER_SGPR: 6
; COMPUTE_PGM_RSRC2:TRAP_HANDLER: 0
; COMPUTE_PGM_RSRC2:TGID_X_EN: 1
; COMPUTE_PGM_RSRC2:TGID_Y_EN: 0
; COMPUTE_PGM_RSRC2:TGID_Z_EN: 0
; COMPUTE_PGM_RSRC2:TIDIG_COMP_CNT: 0
; COMPUTE_PGM_RSRC3_GFX90A:ACCUM_OFFSET: 0
; COMPUTE_PGM_RSRC3_GFX90A:TG_SPLIT: 0
	.section	.text._ZN7rocprim17ROCPRIM_400000_NS6detail17trampoline_kernelINS0_14default_configENS1_35adjacent_difference_config_selectorILb1ElEEZNS1_24adjacent_difference_implIS3_Lb1ELb0EPlS7_ZN2at6native12_GLOBAL__N_124unique_dim_cuda_templateIfEESt5tupleIJNS8_6TensorESD_SD_EERKSD_lbbbEUlllE1_EE10hipError_tPvRmT2_T3_mT4_P12ihipStream_tbEUlT_E_NS1_11comp_targetILNS1_3genE10ELNS1_11target_archE1201ELNS1_3gpuE5ELNS1_3repE0EEENS1_30default_config_static_selectorELNS0_4arch9wavefront6targetE1EEEvT1_,"axG",@progbits,_ZN7rocprim17ROCPRIM_400000_NS6detail17trampoline_kernelINS0_14default_configENS1_35adjacent_difference_config_selectorILb1ElEEZNS1_24adjacent_difference_implIS3_Lb1ELb0EPlS7_ZN2at6native12_GLOBAL__N_124unique_dim_cuda_templateIfEESt5tupleIJNS8_6TensorESD_SD_EERKSD_lbbbEUlllE1_EE10hipError_tPvRmT2_T3_mT4_P12ihipStream_tbEUlT_E_NS1_11comp_targetILNS1_3genE10ELNS1_11target_archE1201ELNS1_3gpuE5ELNS1_3repE0EEENS1_30default_config_static_selectorELNS0_4arch9wavefront6targetE1EEEvT1_,comdat
	.globl	_ZN7rocprim17ROCPRIM_400000_NS6detail17trampoline_kernelINS0_14default_configENS1_35adjacent_difference_config_selectorILb1ElEEZNS1_24adjacent_difference_implIS3_Lb1ELb0EPlS7_ZN2at6native12_GLOBAL__N_124unique_dim_cuda_templateIfEESt5tupleIJNS8_6TensorESD_SD_EERKSD_lbbbEUlllE1_EE10hipError_tPvRmT2_T3_mT4_P12ihipStream_tbEUlT_E_NS1_11comp_targetILNS1_3genE10ELNS1_11target_archE1201ELNS1_3gpuE5ELNS1_3repE0EEENS1_30default_config_static_selectorELNS0_4arch9wavefront6targetE1EEEvT1_ ; -- Begin function _ZN7rocprim17ROCPRIM_400000_NS6detail17trampoline_kernelINS0_14default_configENS1_35adjacent_difference_config_selectorILb1ElEEZNS1_24adjacent_difference_implIS3_Lb1ELb0EPlS7_ZN2at6native12_GLOBAL__N_124unique_dim_cuda_templateIfEESt5tupleIJNS8_6TensorESD_SD_EERKSD_lbbbEUlllE1_EE10hipError_tPvRmT2_T3_mT4_P12ihipStream_tbEUlT_E_NS1_11comp_targetILNS1_3genE10ELNS1_11target_archE1201ELNS1_3gpuE5ELNS1_3repE0EEENS1_30default_config_static_selectorELNS0_4arch9wavefront6targetE1EEEvT1_
	.p2align	8
	.type	_ZN7rocprim17ROCPRIM_400000_NS6detail17trampoline_kernelINS0_14default_configENS1_35adjacent_difference_config_selectorILb1ElEEZNS1_24adjacent_difference_implIS3_Lb1ELb0EPlS7_ZN2at6native12_GLOBAL__N_124unique_dim_cuda_templateIfEESt5tupleIJNS8_6TensorESD_SD_EERKSD_lbbbEUlllE1_EE10hipError_tPvRmT2_T3_mT4_P12ihipStream_tbEUlT_E_NS1_11comp_targetILNS1_3genE10ELNS1_11target_archE1201ELNS1_3gpuE5ELNS1_3repE0EEENS1_30default_config_static_selectorELNS0_4arch9wavefront6targetE1EEEvT1_,@function
_ZN7rocprim17ROCPRIM_400000_NS6detail17trampoline_kernelINS0_14default_configENS1_35adjacent_difference_config_selectorILb1ElEEZNS1_24adjacent_difference_implIS3_Lb1ELb0EPlS7_ZN2at6native12_GLOBAL__N_124unique_dim_cuda_templateIfEESt5tupleIJNS8_6TensorESD_SD_EERKSD_lbbbEUlllE1_EE10hipError_tPvRmT2_T3_mT4_P12ihipStream_tbEUlT_E_NS1_11comp_targetILNS1_3genE10ELNS1_11target_archE1201ELNS1_3gpuE5ELNS1_3repE0EEENS1_30default_config_static_selectorELNS0_4arch9wavefront6targetE1EEEvT1_: ; @_ZN7rocprim17ROCPRIM_400000_NS6detail17trampoline_kernelINS0_14default_configENS1_35adjacent_difference_config_selectorILb1ElEEZNS1_24adjacent_difference_implIS3_Lb1ELb0EPlS7_ZN2at6native12_GLOBAL__N_124unique_dim_cuda_templateIfEESt5tupleIJNS8_6TensorESD_SD_EERKSD_lbbbEUlllE1_EE10hipError_tPvRmT2_T3_mT4_P12ihipStream_tbEUlT_E_NS1_11comp_targetILNS1_3genE10ELNS1_11target_archE1201ELNS1_3gpuE5ELNS1_3repE0EEENS1_30default_config_static_selectorELNS0_4arch9wavefront6targetE1EEEvT1_
; %bb.0:
	.section	.rodata,"a",@progbits
	.p2align	6, 0x0
	.amdhsa_kernel _ZN7rocprim17ROCPRIM_400000_NS6detail17trampoline_kernelINS0_14default_configENS1_35adjacent_difference_config_selectorILb1ElEEZNS1_24adjacent_difference_implIS3_Lb1ELb0EPlS7_ZN2at6native12_GLOBAL__N_124unique_dim_cuda_templateIfEESt5tupleIJNS8_6TensorESD_SD_EERKSD_lbbbEUlllE1_EE10hipError_tPvRmT2_T3_mT4_P12ihipStream_tbEUlT_E_NS1_11comp_targetILNS1_3genE10ELNS1_11target_archE1201ELNS1_3gpuE5ELNS1_3repE0EEENS1_30default_config_static_selectorELNS0_4arch9wavefront6targetE1EEEvT1_
		.amdhsa_group_segment_fixed_size 0
		.amdhsa_private_segment_fixed_size 0
		.amdhsa_kernarg_size 64
		.amdhsa_user_sgpr_count 6
		.amdhsa_user_sgpr_private_segment_buffer 1
		.amdhsa_user_sgpr_dispatch_ptr 0
		.amdhsa_user_sgpr_queue_ptr 0
		.amdhsa_user_sgpr_kernarg_segment_ptr 1
		.amdhsa_user_sgpr_dispatch_id 0
		.amdhsa_user_sgpr_flat_scratch_init 0
		.amdhsa_user_sgpr_kernarg_preload_length 0
		.amdhsa_user_sgpr_kernarg_preload_offset 0
		.amdhsa_user_sgpr_private_segment_size 0
		.amdhsa_uses_dynamic_stack 0
		.amdhsa_system_sgpr_private_segment_wavefront_offset 0
		.amdhsa_system_sgpr_workgroup_id_x 1
		.amdhsa_system_sgpr_workgroup_id_y 0
		.amdhsa_system_sgpr_workgroup_id_z 0
		.amdhsa_system_sgpr_workgroup_info 0
		.amdhsa_system_vgpr_workitem_id 0
		.amdhsa_next_free_vgpr 1
		.amdhsa_next_free_sgpr 0
		.amdhsa_accum_offset 4
		.amdhsa_reserve_vcc 0
		.amdhsa_reserve_flat_scratch 0
		.amdhsa_float_round_mode_32 0
		.amdhsa_float_round_mode_16_64 0
		.amdhsa_float_denorm_mode_32 3
		.amdhsa_float_denorm_mode_16_64 3
		.amdhsa_dx10_clamp 1
		.amdhsa_ieee_mode 1
		.amdhsa_fp16_overflow 0
		.amdhsa_tg_split 0
		.amdhsa_exception_fp_ieee_invalid_op 0
		.amdhsa_exception_fp_denorm_src 0
		.amdhsa_exception_fp_ieee_div_zero 0
		.amdhsa_exception_fp_ieee_overflow 0
		.amdhsa_exception_fp_ieee_underflow 0
		.amdhsa_exception_fp_ieee_inexact 0
		.amdhsa_exception_int_div_zero 0
	.end_amdhsa_kernel
	.section	.text._ZN7rocprim17ROCPRIM_400000_NS6detail17trampoline_kernelINS0_14default_configENS1_35adjacent_difference_config_selectorILb1ElEEZNS1_24adjacent_difference_implIS3_Lb1ELb0EPlS7_ZN2at6native12_GLOBAL__N_124unique_dim_cuda_templateIfEESt5tupleIJNS8_6TensorESD_SD_EERKSD_lbbbEUlllE1_EE10hipError_tPvRmT2_T3_mT4_P12ihipStream_tbEUlT_E_NS1_11comp_targetILNS1_3genE10ELNS1_11target_archE1201ELNS1_3gpuE5ELNS1_3repE0EEENS1_30default_config_static_selectorELNS0_4arch9wavefront6targetE1EEEvT1_,"axG",@progbits,_ZN7rocprim17ROCPRIM_400000_NS6detail17trampoline_kernelINS0_14default_configENS1_35adjacent_difference_config_selectorILb1ElEEZNS1_24adjacent_difference_implIS3_Lb1ELb0EPlS7_ZN2at6native12_GLOBAL__N_124unique_dim_cuda_templateIfEESt5tupleIJNS8_6TensorESD_SD_EERKSD_lbbbEUlllE1_EE10hipError_tPvRmT2_T3_mT4_P12ihipStream_tbEUlT_E_NS1_11comp_targetILNS1_3genE10ELNS1_11target_archE1201ELNS1_3gpuE5ELNS1_3repE0EEENS1_30default_config_static_selectorELNS0_4arch9wavefront6targetE1EEEvT1_,comdat
.Lfunc_end922:
	.size	_ZN7rocprim17ROCPRIM_400000_NS6detail17trampoline_kernelINS0_14default_configENS1_35adjacent_difference_config_selectorILb1ElEEZNS1_24adjacent_difference_implIS3_Lb1ELb0EPlS7_ZN2at6native12_GLOBAL__N_124unique_dim_cuda_templateIfEESt5tupleIJNS8_6TensorESD_SD_EERKSD_lbbbEUlllE1_EE10hipError_tPvRmT2_T3_mT4_P12ihipStream_tbEUlT_E_NS1_11comp_targetILNS1_3genE10ELNS1_11target_archE1201ELNS1_3gpuE5ELNS1_3repE0EEENS1_30default_config_static_selectorELNS0_4arch9wavefront6targetE1EEEvT1_, .Lfunc_end922-_ZN7rocprim17ROCPRIM_400000_NS6detail17trampoline_kernelINS0_14default_configENS1_35adjacent_difference_config_selectorILb1ElEEZNS1_24adjacent_difference_implIS3_Lb1ELb0EPlS7_ZN2at6native12_GLOBAL__N_124unique_dim_cuda_templateIfEESt5tupleIJNS8_6TensorESD_SD_EERKSD_lbbbEUlllE1_EE10hipError_tPvRmT2_T3_mT4_P12ihipStream_tbEUlT_E_NS1_11comp_targetILNS1_3genE10ELNS1_11target_archE1201ELNS1_3gpuE5ELNS1_3repE0EEENS1_30default_config_static_selectorELNS0_4arch9wavefront6targetE1EEEvT1_
                                        ; -- End function
	.section	.AMDGPU.csdata,"",@progbits
; Kernel info:
; codeLenInByte = 0
; NumSgprs: 4
; NumVgprs: 0
; NumAgprs: 0
; TotalNumVgprs: 0
; ScratchSize: 0
; MemoryBound: 0
; FloatMode: 240
; IeeeMode: 1
; LDSByteSize: 0 bytes/workgroup (compile time only)
; SGPRBlocks: 0
; VGPRBlocks: 0
; NumSGPRsForWavesPerEU: 4
; NumVGPRsForWavesPerEU: 1
; AccumOffset: 4
; Occupancy: 8
; WaveLimiterHint : 0
; COMPUTE_PGM_RSRC2:SCRATCH_EN: 0
; COMPUTE_PGM_RSRC2:USER_SGPR: 6
; COMPUTE_PGM_RSRC2:TRAP_HANDLER: 0
; COMPUTE_PGM_RSRC2:TGID_X_EN: 1
; COMPUTE_PGM_RSRC2:TGID_Y_EN: 0
; COMPUTE_PGM_RSRC2:TGID_Z_EN: 0
; COMPUTE_PGM_RSRC2:TIDIG_COMP_CNT: 0
; COMPUTE_PGM_RSRC3_GFX90A:ACCUM_OFFSET: 0
; COMPUTE_PGM_RSRC3_GFX90A:TG_SPLIT: 0
	.section	.text._ZN7rocprim17ROCPRIM_400000_NS6detail17trampoline_kernelINS0_14default_configENS1_35adjacent_difference_config_selectorILb1ElEEZNS1_24adjacent_difference_implIS3_Lb1ELb0EPlS7_ZN2at6native12_GLOBAL__N_124unique_dim_cuda_templateIfEESt5tupleIJNS8_6TensorESD_SD_EERKSD_lbbbEUlllE1_EE10hipError_tPvRmT2_T3_mT4_P12ihipStream_tbEUlT_E_NS1_11comp_targetILNS1_3genE5ELNS1_11target_archE942ELNS1_3gpuE9ELNS1_3repE0EEENS1_30default_config_static_selectorELNS0_4arch9wavefront6targetE1EEEvT1_,"axG",@progbits,_ZN7rocprim17ROCPRIM_400000_NS6detail17trampoline_kernelINS0_14default_configENS1_35adjacent_difference_config_selectorILb1ElEEZNS1_24adjacent_difference_implIS3_Lb1ELb0EPlS7_ZN2at6native12_GLOBAL__N_124unique_dim_cuda_templateIfEESt5tupleIJNS8_6TensorESD_SD_EERKSD_lbbbEUlllE1_EE10hipError_tPvRmT2_T3_mT4_P12ihipStream_tbEUlT_E_NS1_11comp_targetILNS1_3genE5ELNS1_11target_archE942ELNS1_3gpuE9ELNS1_3repE0EEENS1_30default_config_static_selectorELNS0_4arch9wavefront6targetE1EEEvT1_,comdat
	.globl	_ZN7rocprim17ROCPRIM_400000_NS6detail17trampoline_kernelINS0_14default_configENS1_35adjacent_difference_config_selectorILb1ElEEZNS1_24adjacent_difference_implIS3_Lb1ELb0EPlS7_ZN2at6native12_GLOBAL__N_124unique_dim_cuda_templateIfEESt5tupleIJNS8_6TensorESD_SD_EERKSD_lbbbEUlllE1_EE10hipError_tPvRmT2_T3_mT4_P12ihipStream_tbEUlT_E_NS1_11comp_targetILNS1_3genE5ELNS1_11target_archE942ELNS1_3gpuE9ELNS1_3repE0EEENS1_30default_config_static_selectorELNS0_4arch9wavefront6targetE1EEEvT1_ ; -- Begin function _ZN7rocprim17ROCPRIM_400000_NS6detail17trampoline_kernelINS0_14default_configENS1_35adjacent_difference_config_selectorILb1ElEEZNS1_24adjacent_difference_implIS3_Lb1ELb0EPlS7_ZN2at6native12_GLOBAL__N_124unique_dim_cuda_templateIfEESt5tupleIJNS8_6TensorESD_SD_EERKSD_lbbbEUlllE1_EE10hipError_tPvRmT2_T3_mT4_P12ihipStream_tbEUlT_E_NS1_11comp_targetILNS1_3genE5ELNS1_11target_archE942ELNS1_3gpuE9ELNS1_3repE0EEENS1_30default_config_static_selectorELNS0_4arch9wavefront6targetE1EEEvT1_
	.p2align	8
	.type	_ZN7rocprim17ROCPRIM_400000_NS6detail17trampoline_kernelINS0_14default_configENS1_35adjacent_difference_config_selectorILb1ElEEZNS1_24adjacent_difference_implIS3_Lb1ELb0EPlS7_ZN2at6native12_GLOBAL__N_124unique_dim_cuda_templateIfEESt5tupleIJNS8_6TensorESD_SD_EERKSD_lbbbEUlllE1_EE10hipError_tPvRmT2_T3_mT4_P12ihipStream_tbEUlT_E_NS1_11comp_targetILNS1_3genE5ELNS1_11target_archE942ELNS1_3gpuE9ELNS1_3repE0EEENS1_30default_config_static_selectorELNS0_4arch9wavefront6targetE1EEEvT1_,@function
_ZN7rocprim17ROCPRIM_400000_NS6detail17trampoline_kernelINS0_14default_configENS1_35adjacent_difference_config_selectorILb1ElEEZNS1_24adjacent_difference_implIS3_Lb1ELb0EPlS7_ZN2at6native12_GLOBAL__N_124unique_dim_cuda_templateIfEESt5tupleIJNS8_6TensorESD_SD_EERKSD_lbbbEUlllE1_EE10hipError_tPvRmT2_T3_mT4_P12ihipStream_tbEUlT_E_NS1_11comp_targetILNS1_3genE5ELNS1_11target_archE942ELNS1_3gpuE9ELNS1_3repE0EEENS1_30default_config_static_selectorELNS0_4arch9wavefront6targetE1EEEvT1_: ; @_ZN7rocprim17ROCPRIM_400000_NS6detail17trampoline_kernelINS0_14default_configENS1_35adjacent_difference_config_selectorILb1ElEEZNS1_24adjacent_difference_implIS3_Lb1ELb0EPlS7_ZN2at6native12_GLOBAL__N_124unique_dim_cuda_templateIfEESt5tupleIJNS8_6TensorESD_SD_EERKSD_lbbbEUlllE1_EE10hipError_tPvRmT2_T3_mT4_P12ihipStream_tbEUlT_E_NS1_11comp_targetILNS1_3genE5ELNS1_11target_archE942ELNS1_3gpuE9ELNS1_3repE0EEENS1_30default_config_static_selectorELNS0_4arch9wavefront6targetE1EEEvT1_
; %bb.0:
	.section	.rodata,"a",@progbits
	.p2align	6, 0x0
	.amdhsa_kernel _ZN7rocprim17ROCPRIM_400000_NS6detail17trampoline_kernelINS0_14default_configENS1_35adjacent_difference_config_selectorILb1ElEEZNS1_24adjacent_difference_implIS3_Lb1ELb0EPlS7_ZN2at6native12_GLOBAL__N_124unique_dim_cuda_templateIfEESt5tupleIJNS8_6TensorESD_SD_EERKSD_lbbbEUlllE1_EE10hipError_tPvRmT2_T3_mT4_P12ihipStream_tbEUlT_E_NS1_11comp_targetILNS1_3genE5ELNS1_11target_archE942ELNS1_3gpuE9ELNS1_3repE0EEENS1_30default_config_static_selectorELNS0_4arch9wavefront6targetE1EEEvT1_
		.amdhsa_group_segment_fixed_size 0
		.amdhsa_private_segment_fixed_size 0
		.amdhsa_kernarg_size 64
		.amdhsa_user_sgpr_count 6
		.amdhsa_user_sgpr_private_segment_buffer 1
		.amdhsa_user_sgpr_dispatch_ptr 0
		.amdhsa_user_sgpr_queue_ptr 0
		.amdhsa_user_sgpr_kernarg_segment_ptr 1
		.amdhsa_user_sgpr_dispatch_id 0
		.amdhsa_user_sgpr_flat_scratch_init 0
		.amdhsa_user_sgpr_kernarg_preload_length 0
		.amdhsa_user_sgpr_kernarg_preload_offset 0
		.amdhsa_user_sgpr_private_segment_size 0
		.amdhsa_uses_dynamic_stack 0
		.amdhsa_system_sgpr_private_segment_wavefront_offset 0
		.amdhsa_system_sgpr_workgroup_id_x 1
		.amdhsa_system_sgpr_workgroup_id_y 0
		.amdhsa_system_sgpr_workgroup_id_z 0
		.amdhsa_system_sgpr_workgroup_info 0
		.amdhsa_system_vgpr_workitem_id 0
		.amdhsa_next_free_vgpr 1
		.amdhsa_next_free_sgpr 0
		.amdhsa_accum_offset 4
		.amdhsa_reserve_vcc 0
		.amdhsa_reserve_flat_scratch 0
		.amdhsa_float_round_mode_32 0
		.amdhsa_float_round_mode_16_64 0
		.amdhsa_float_denorm_mode_32 3
		.amdhsa_float_denorm_mode_16_64 3
		.amdhsa_dx10_clamp 1
		.amdhsa_ieee_mode 1
		.amdhsa_fp16_overflow 0
		.amdhsa_tg_split 0
		.amdhsa_exception_fp_ieee_invalid_op 0
		.amdhsa_exception_fp_denorm_src 0
		.amdhsa_exception_fp_ieee_div_zero 0
		.amdhsa_exception_fp_ieee_overflow 0
		.amdhsa_exception_fp_ieee_underflow 0
		.amdhsa_exception_fp_ieee_inexact 0
		.amdhsa_exception_int_div_zero 0
	.end_amdhsa_kernel
	.section	.text._ZN7rocprim17ROCPRIM_400000_NS6detail17trampoline_kernelINS0_14default_configENS1_35adjacent_difference_config_selectorILb1ElEEZNS1_24adjacent_difference_implIS3_Lb1ELb0EPlS7_ZN2at6native12_GLOBAL__N_124unique_dim_cuda_templateIfEESt5tupleIJNS8_6TensorESD_SD_EERKSD_lbbbEUlllE1_EE10hipError_tPvRmT2_T3_mT4_P12ihipStream_tbEUlT_E_NS1_11comp_targetILNS1_3genE5ELNS1_11target_archE942ELNS1_3gpuE9ELNS1_3repE0EEENS1_30default_config_static_selectorELNS0_4arch9wavefront6targetE1EEEvT1_,"axG",@progbits,_ZN7rocprim17ROCPRIM_400000_NS6detail17trampoline_kernelINS0_14default_configENS1_35adjacent_difference_config_selectorILb1ElEEZNS1_24adjacent_difference_implIS3_Lb1ELb0EPlS7_ZN2at6native12_GLOBAL__N_124unique_dim_cuda_templateIfEESt5tupleIJNS8_6TensorESD_SD_EERKSD_lbbbEUlllE1_EE10hipError_tPvRmT2_T3_mT4_P12ihipStream_tbEUlT_E_NS1_11comp_targetILNS1_3genE5ELNS1_11target_archE942ELNS1_3gpuE9ELNS1_3repE0EEENS1_30default_config_static_selectorELNS0_4arch9wavefront6targetE1EEEvT1_,comdat
.Lfunc_end923:
	.size	_ZN7rocprim17ROCPRIM_400000_NS6detail17trampoline_kernelINS0_14default_configENS1_35adjacent_difference_config_selectorILb1ElEEZNS1_24adjacent_difference_implIS3_Lb1ELb0EPlS7_ZN2at6native12_GLOBAL__N_124unique_dim_cuda_templateIfEESt5tupleIJNS8_6TensorESD_SD_EERKSD_lbbbEUlllE1_EE10hipError_tPvRmT2_T3_mT4_P12ihipStream_tbEUlT_E_NS1_11comp_targetILNS1_3genE5ELNS1_11target_archE942ELNS1_3gpuE9ELNS1_3repE0EEENS1_30default_config_static_selectorELNS0_4arch9wavefront6targetE1EEEvT1_, .Lfunc_end923-_ZN7rocprim17ROCPRIM_400000_NS6detail17trampoline_kernelINS0_14default_configENS1_35adjacent_difference_config_selectorILb1ElEEZNS1_24adjacent_difference_implIS3_Lb1ELb0EPlS7_ZN2at6native12_GLOBAL__N_124unique_dim_cuda_templateIfEESt5tupleIJNS8_6TensorESD_SD_EERKSD_lbbbEUlllE1_EE10hipError_tPvRmT2_T3_mT4_P12ihipStream_tbEUlT_E_NS1_11comp_targetILNS1_3genE5ELNS1_11target_archE942ELNS1_3gpuE9ELNS1_3repE0EEENS1_30default_config_static_selectorELNS0_4arch9wavefront6targetE1EEEvT1_
                                        ; -- End function
	.section	.AMDGPU.csdata,"",@progbits
; Kernel info:
; codeLenInByte = 0
; NumSgprs: 4
; NumVgprs: 0
; NumAgprs: 0
; TotalNumVgprs: 0
; ScratchSize: 0
; MemoryBound: 0
; FloatMode: 240
; IeeeMode: 1
; LDSByteSize: 0 bytes/workgroup (compile time only)
; SGPRBlocks: 0
; VGPRBlocks: 0
; NumSGPRsForWavesPerEU: 4
; NumVGPRsForWavesPerEU: 1
; AccumOffset: 4
; Occupancy: 8
; WaveLimiterHint : 0
; COMPUTE_PGM_RSRC2:SCRATCH_EN: 0
; COMPUTE_PGM_RSRC2:USER_SGPR: 6
; COMPUTE_PGM_RSRC2:TRAP_HANDLER: 0
; COMPUTE_PGM_RSRC2:TGID_X_EN: 1
; COMPUTE_PGM_RSRC2:TGID_Y_EN: 0
; COMPUTE_PGM_RSRC2:TGID_Z_EN: 0
; COMPUTE_PGM_RSRC2:TIDIG_COMP_CNT: 0
; COMPUTE_PGM_RSRC3_GFX90A:ACCUM_OFFSET: 0
; COMPUTE_PGM_RSRC3_GFX90A:TG_SPLIT: 0
	.section	.text._ZN7rocprim17ROCPRIM_400000_NS6detail17trampoline_kernelINS0_14default_configENS1_35adjacent_difference_config_selectorILb1ElEEZNS1_24adjacent_difference_implIS3_Lb1ELb0EPlS7_ZN2at6native12_GLOBAL__N_124unique_dim_cuda_templateIfEESt5tupleIJNS8_6TensorESD_SD_EERKSD_lbbbEUlllE1_EE10hipError_tPvRmT2_T3_mT4_P12ihipStream_tbEUlT_E_NS1_11comp_targetILNS1_3genE4ELNS1_11target_archE910ELNS1_3gpuE8ELNS1_3repE0EEENS1_30default_config_static_selectorELNS0_4arch9wavefront6targetE1EEEvT1_,"axG",@progbits,_ZN7rocprim17ROCPRIM_400000_NS6detail17trampoline_kernelINS0_14default_configENS1_35adjacent_difference_config_selectorILb1ElEEZNS1_24adjacent_difference_implIS3_Lb1ELb0EPlS7_ZN2at6native12_GLOBAL__N_124unique_dim_cuda_templateIfEESt5tupleIJNS8_6TensorESD_SD_EERKSD_lbbbEUlllE1_EE10hipError_tPvRmT2_T3_mT4_P12ihipStream_tbEUlT_E_NS1_11comp_targetILNS1_3genE4ELNS1_11target_archE910ELNS1_3gpuE8ELNS1_3repE0EEENS1_30default_config_static_selectorELNS0_4arch9wavefront6targetE1EEEvT1_,comdat
	.globl	_ZN7rocprim17ROCPRIM_400000_NS6detail17trampoline_kernelINS0_14default_configENS1_35adjacent_difference_config_selectorILb1ElEEZNS1_24adjacent_difference_implIS3_Lb1ELb0EPlS7_ZN2at6native12_GLOBAL__N_124unique_dim_cuda_templateIfEESt5tupleIJNS8_6TensorESD_SD_EERKSD_lbbbEUlllE1_EE10hipError_tPvRmT2_T3_mT4_P12ihipStream_tbEUlT_E_NS1_11comp_targetILNS1_3genE4ELNS1_11target_archE910ELNS1_3gpuE8ELNS1_3repE0EEENS1_30default_config_static_selectorELNS0_4arch9wavefront6targetE1EEEvT1_ ; -- Begin function _ZN7rocprim17ROCPRIM_400000_NS6detail17trampoline_kernelINS0_14default_configENS1_35adjacent_difference_config_selectorILb1ElEEZNS1_24adjacent_difference_implIS3_Lb1ELb0EPlS7_ZN2at6native12_GLOBAL__N_124unique_dim_cuda_templateIfEESt5tupleIJNS8_6TensorESD_SD_EERKSD_lbbbEUlllE1_EE10hipError_tPvRmT2_T3_mT4_P12ihipStream_tbEUlT_E_NS1_11comp_targetILNS1_3genE4ELNS1_11target_archE910ELNS1_3gpuE8ELNS1_3repE0EEENS1_30default_config_static_selectorELNS0_4arch9wavefront6targetE1EEEvT1_
	.p2align	8
	.type	_ZN7rocprim17ROCPRIM_400000_NS6detail17trampoline_kernelINS0_14default_configENS1_35adjacent_difference_config_selectorILb1ElEEZNS1_24adjacent_difference_implIS3_Lb1ELb0EPlS7_ZN2at6native12_GLOBAL__N_124unique_dim_cuda_templateIfEESt5tupleIJNS8_6TensorESD_SD_EERKSD_lbbbEUlllE1_EE10hipError_tPvRmT2_T3_mT4_P12ihipStream_tbEUlT_E_NS1_11comp_targetILNS1_3genE4ELNS1_11target_archE910ELNS1_3gpuE8ELNS1_3repE0EEENS1_30default_config_static_selectorELNS0_4arch9wavefront6targetE1EEEvT1_,@function
_ZN7rocprim17ROCPRIM_400000_NS6detail17trampoline_kernelINS0_14default_configENS1_35adjacent_difference_config_selectorILb1ElEEZNS1_24adjacent_difference_implIS3_Lb1ELb0EPlS7_ZN2at6native12_GLOBAL__N_124unique_dim_cuda_templateIfEESt5tupleIJNS8_6TensorESD_SD_EERKSD_lbbbEUlllE1_EE10hipError_tPvRmT2_T3_mT4_P12ihipStream_tbEUlT_E_NS1_11comp_targetILNS1_3genE4ELNS1_11target_archE910ELNS1_3gpuE8ELNS1_3repE0EEENS1_30default_config_static_selectorELNS0_4arch9wavefront6targetE1EEEvT1_: ; @_ZN7rocprim17ROCPRIM_400000_NS6detail17trampoline_kernelINS0_14default_configENS1_35adjacent_difference_config_selectorILb1ElEEZNS1_24adjacent_difference_implIS3_Lb1ELb0EPlS7_ZN2at6native12_GLOBAL__N_124unique_dim_cuda_templateIfEESt5tupleIJNS8_6TensorESD_SD_EERKSD_lbbbEUlllE1_EE10hipError_tPvRmT2_T3_mT4_P12ihipStream_tbEUlT_E_NS1_11comp_targetILNS1_3genE4ELNS1_11target_archE910ELNS1_3gpuE8ELNS1_3repE0EEENS1_30default_config_static_selectorELNS0_4arch9wavefront6targetE1EEEvT1_
; %bb.0:
	s_load_dwordx16 s[8:23], s[4:5], 0x0
	s_mov_b32 s3, 0
	s_waitcnt lgkmcnt(0)
	s_lshl_b64 s[10:11], s[10:11], 3
	s_add_u32 s30, s8, s10
	s_addc_u32 s31, s9, s11
	s_lshl_b32 s8, s6, 10
	s_lshr_b64 s[0:1], s[14:15], 10
	s_and_b32 s2, s14, 0x3ff
	s_cmp_lg_u64 s[2:3], 0
	s_cselect_b64 s[4:5], -1, 0
	v_cndmask_b32_e64 v1, 0, 1, s[4:5]
	v_readfirstlane_b32 s2, v1
	s_add_u32 s26, s0, s2
	s_addc_u32 s27, s1, 0
	s_add_u32 s28, s22, s6
	s_addc_u32 s29, s23, 0
	s_mov_b32 s2, s6
	s_add_u32 s6, s26, -1
	s_addc_u32 s7, s27, -1
	v_pk_mov_b32 v[2:3], s[6:7], s[6:7] op_sel:[0,1]
	v_cmp_ge_u64_e64 s[0:1], s[28:29], v[2:3]
	s_mov_b64 s[4:5], -1
	s_and_b64 vcc, exec, s[0:1]
	s_cbranch_vccz .LBB924_6
; %bb.1:
	s_lshl_b32 s4, s6, 10
	s_mov_b32 s9, s3
	s_sub_i32 s15, s14, s4
	s_lshl_b64 s[4:5], s[8:9], 3
	s_add_u32 s4, s30, s4
	s_addc_u32 s5, s31, s5
	v_cmp_gt_u32_e32 vcc, s15, v0
                                        ; implicit-def: $vgpr2_vgpr3_vgpr4_vgpr5
	s_and_saveexec_b64 s[24:25], vcc
	s_cbranch_execz .LBB924_3
; %bb.2:
	v_lshlrev_b32_e32 v1, 3, v0
	global_load_dwordx2 v[2:3], v1, s[4:5]
.LBB924_3:
	s_or_b64 exec, exec, s[24:25]
	v_or_b32_e32 v1, 0x200, v0
	v_cmp_gt_u32_e32 vcc, s15, v1
	s_and_saveexec_b64 s[24:25], vcc
	s_cbranch_execz .LBB924_5
; %bb.4:
	v_lshlrev_b32_e32 v4, 3, v1
	global_load_dwordx2 v[4:5], v4, s[4:5]
.LBB924_5:
	s_or_b64 exec, exec, s[24:25]
	v_lshrrev_b32_e32 v6, 2, v0
	v_lshrrev_b32_e32 v1, 2, v1
	v_and_b32_e32 v6, 0x78, v6
	v_lshlrev_b32_e32 v7, 3, v0
	v_and_b32_e32 v1, 0xf8, v1
	v_add_u32_e32 v6, v6, v7
	v_add_u32_e32 v1, v1, v7
	s_mov_b64 s[4:5], 0
	s_waitcnt vmcnt(0)
	ds_write_b64 v6, v[2:3]
	ds_write_b64 v1, v[4:5] offset:4096
	s_waitcnt lgkmcnt(0)
	s_barrier
.LBB924_6:
	s_and_b64 vcc, exec, s[4:5]
	v_lshlrev_b32_e32 v1, 3, v0
	s_cbranch_vccz .LBB924_8
; %bb.7:
	s_mov_b32 s9, 0
	s_lshl_b64 s[4:5], s[8:9], 3
	s_add_u32 s4, s30, s4
	s_addc_u32 s5, s31, s5
	v_mov_b32_e32 v2, s5
	v_add_co_u32_e32 v3, vcc, s4, v1
	v_addc_co_u32_e32 v4, vcc, 0, v2, vcc
	v_add_co_u32_e32 v2, vcc, 0x1000, v3
	v_addc_co_u32_e32 v3, vcc, 0, v4, vcc
	global_load_dwordx2 v[4:5], v1, s[4:5]
	global_load_dwordx2 v[6:7], v[2:3], off
	v_lshrrev_b32_e32 v2, 2, v0
	v_or_b32_e32 v3, 0x200, v0
	v_and_b32_e32 v2, 0x78, v2
	v_lshrrev_b32_e32 v3, 2, v3
	v_add_u32_e32 v2, v2, v1
	v_and_b32_e32 v3, 0xf8, v3
	v_add_u32_e32 v3, v3, v1
	s_waitcnt vmcnt(1)
	ds_write_b64 v2, v[4:5]
	s_waitcnt vmcnt(0)
	ds_write_b64 v3, v[6:7] offset:4096
	s_waitcnt lgkmcnt(0)
	s_barrier
.LBB924_8:
	v_lshlrev_b32_e32 v2, 1, v0
	v_lshrrev_b32_e32 v3, 4, v0
	v_add_lshl_u32 v2, v3, v2, 3
	ds_read2_b64 v[2:5], v2 offset1:1
	s_cmp_eq_u64 s[28:29], 0
	s_mov_b64 s[24:25], 0
	s_waitcnt lgkmcnt(0)
	s_barrier
	s_cbranch_scc1 .LBB924_17
; %bb.9:
	s_lshl_b64 s[4:5], s[22:23], 3
	s_add_u32 s4, s20, s4
	s_addc_u32 s5, s21, s5
	s_lshl_b64 s[2:3], s[2:3], 3
	s_add_u32 s2, s4, s2
	s_addc_u32 s3, s5, s3
	s_add_u32 s2, s2, -8
	s_addc_u32 s3, s3, -1
	s_load_dwordx2 s[20:21], s[2:3], 0x0
	s_cmp_lg_u64 s[28:29], s[6:7]
	s_cbranch_scc0 .LBB924_18
; %bb.10:
	v_cmp_lt_i64_e64 s[2:3], s[16:17], 1
	v_pk_mov_b32 v[8:9], 0, 0
	v_cmp_gt_i64_e64 s[22:23], s[16:17], 0
	s_and_b64 vcc, exec, s[2:3]
	ds_write_b64 v1, v[4:5]
	s_cbranch_vccnz .LBB924_21
; %bb.11:
	v_mul_lo_u32 v8, v5, s16
	v_mul_lo_u32 v9, v4, s17
	v_mad_u64_u32 v[6:7], s[2:3], v4, s16, 0
	v_add3_u32 v7, v7, v9, v8
	v_mul_lo_u32 v10, v3, s16
	v_mul_lo_u32 v11, v2, s17
	v_mad_u64_u32 v[8:9], s[2:3], v2, s16, 0
	v_add3_u32 v9, v9, v11, v10
	v_lshlrev_b64 v[10:11], 2, v[6:7]
	v_mov_b32_e32 v6, s19
	v_add_co_u32_e32 v12, vcc, s18, v10
	v_addc_co_u32_e64 v13, s[2:3], v6, v11, vcc
	v_lshlrev_b64 v[6:7], 2, v[8:9]
	v_mov_b32_e32 v8, s19
	v_add_co_u32_e64 v14, s[2:3], s18, v6
	v_addc_co_u32_e64 v15, s[4:5], v8, v7, s[2:3]
	global_load_dword v6, v[12:13], off
	global_load_dword v8, v[14:15], off
	s_waitcnt vmcnt(0)
	v_cmp_eq_f32_e64 s[4:5], v6, v8
	v_mov_b32_e32 v8, 1
	v_mov_b32_e32 v9, 0
	s_and_saveexec_b64 s[24:25], s[4:5]
	s_cbranch_execz .LBB924_20
; %bb.12:
	v_mov_b32_e32 v6, s19
	v_addc_co_u32_e64 v7, s[2:3], v7, v6, s[2:3]
	v_add_co_u32_e64 v6, s[2:3], 4, v14
	v_mov_b32_e32 v8, s19
	v_addc_co_u32_e64 v7, s[2:3], 0, v7, s[2:3]
	v_addc_co_u32_e32 v9, vcc, v11, v8, vcc
	v_add_co_u32_e32 v8, vcc, 4, v12
	s_add_u32 s2, s16, -1
	v_addc_co_u32_e32 v9, vcc, 0, v9, vcc
	s_addc_u32 s3, s17, -1
	s_mov_b64 s[4:5], 0
	s_mov_b64 s[34:35], 0
                                        ; implicit-def: $sgpr30_sgpr31
	s_branch .LBB924_15
.LBB924_13:                             ;   in Loop: Header=BB924_15 Depth=1
	global_load_dword v10, v[8:9], off
	global_load_dword v11, v[6:7], off
	v_add_co_u32_e32 v6, vcc, 4, v6
	v_addc_co_u32_e32 v7, vcc, 0, v7, vcc
	v_add_co_u32_e32 v8, vcc, 4, v8
	v_addc_co_u32_e32 v9, vcc, 0, v9, vcc
	s_add_u32 s34, s34, 1
	s_addc_u32 s35, s35, 0
	s_andn2_b64 s[30:31], s[30:31], exec
	s_waitcnt vmcnt(0)
	v_cmp_neq_f32_e32 vcc, v10, v11
	s_and_b64 s[36:37], vcc, exec
	s_or_b64 s[30:31], s[30:31], s[36:37]
.LBB924_14:                             ;   in Loop: Header=BB924_15 Depth=1
	s_and_b64 s[36:37], exec, s[30:31]
	s_or_b64 s[4:5], s[36:37], s[4:5]
	v_pk_mov_b32 v[10:11], s[34:35], s[34:35] op_sel:[0,1]
	s_andn2_b64 exec, exec, s[4:5]
	s_cbranch_execz .LBB924_19
.LBB924_15:                             ; =>This Inner Loop Header: Depth=1
	s_or_b64 s[30:31], s[30:31], exec
	s_cmp_eq_u64 s[2:3], s[34:35]
	s_cbranch_scc0 .LBB924_13
; %bb.16:                               ;   in Loop: Header=BB924_15 Depth=1
                                        ; implicit-def: $vgpr6_vgpr7
                                        ; implicit-def: $vgpr8_vgpr9
	s_mov_b64 s[34:35], s[16:17]
	s_branch .LBB924_14
.LBB924_17:
                                        ; implicit-def: $sgpr22_sgpr23
                                        ; implicit-def: $vgpr8_vgpr9
	s_cbranch_execnz .LBB924_60
	s_branch .LBB924_108
.LBB924_18:
                                        ; implicit-def: $sgpr22_sgpr23
                                        ; implicit-def: $vgpr8_vgpr9
	s_cbranch_execnz .LBB924_33
	s_branch .LBB924_59
.LBB924_19:
	s_or_b64 exec, exec, s[4:5]
	v_cmp_gt_i64_e32 vcc, s[16:17], v[10:11]
	s_mov_b32 s2, 0
	v_cndmask_b32_e64 v8, 0, 1, vcc
	v_mov_b32_e32 v9, s2
.LBB924_20:
	s_or_b64 exec, exec, s[24:25]
.LBB924_21:
	v_cmp_ne_u32_e32 vcc, 0, v0
	s_waitcnt lgkmcnt(0)
	v_pk_mov_b32 v[6:7], s[20:21], s[20:21] op_sel:[0,1]
	s_barrier
	s_and_saveexec_b64 s[2:3], vcc
	s_cbranch_execz .LBB924_23
; %bb.22:
	v_add_u32_e32 v6, -8, v1
	ds_read_b64 v[6:7], v6
.LBB924_23:
	s_or_b64 exec, exec, s[2:3]
	s_mov_b64 s[30:31], 0
	s_andn2_b64 vcc, exec, s[22:23]
	s_mov_b64 s[22:23], 0
	s_cbranch_vccnz .LBB924_32
; %bb.24:
	v_mul_lo_u32 v12, v3, s16
	v_mul_lo_u32 v13, v2, s17
	v_mad_u64_u32 v[10:11], s[2:3], v2, s16, 0
	v_add3_u32 v11, v11, v13, v12
	s_waitcnt lgkmcnt(0)
	v_mul_lo_u32 v12, v7, s16
	v_mul_lo_u32 v13, v6, s17
	v_mad_u64_u32 v[6:7], s[2:3], v6, s16, 0
	v_lshlrev_b64 v[10:11], 2, v[10:11]
	v_add3_u32 v7, v7, v13, v12
	v_mov_b32_e32 v13, s19
	v_add_co_u32_e32 v12, vcc, s18, v10
	v_addc_co_u32_e64 v13, s[2:3], v13, v11, vcc
	v_lshlrev_b64 v[6:7], 2, v[6:7]
	v_mov_b32_e32 v10, s19
	v_add_co_u32_e64 v14, s[2:3], s18, v6
	v_addc_co_u32_e64 v15, s[4:5], v10, v7, s[2:3]
	global_load_dword v6, v[12:13], off
	global_load_dword v10, v[14:15], off
	s_mov_b64 s[22:23], -1
	s_waitcnt vmcnt(0)
	v_cmp_eq_f32_e64 s[4:5], v6, v10
	s_and_saveexec_b64 s[24:25], s[4:5]
	s_cbranch_execz .LBB924_31
; %bb.25:
	v_mov_b32_e32 v6, s19
	v_addc_co_u32_e64 v7, s[2:3], v7, v6, s[2:3]
	v_add_co_u32_e64 v6, s[2:3], 4, v14
	v_mov_b32_e32 v10, s19
	v_addc_co_u32_e64 v7, s[2:3], 0, v7, s[2:3]
	v_addc_co_u32_e32 v11, vcc, v11, v10, vcc
	v_add_co_u32_e32 v10, vcc, 4, v12
	s_add_u32 s2, s16, -1
	v_addc_co_u32_e32 v11, vcc, 0, v11, vcc
	s_addc_u32 s3, s17, -1
	s_mov_b64 s[4:5], 0
	s_mov_b64 s[34:35], 0
                                        ; implicit-def: $sgpr22_sgpr23
	s_branch .LBB924_28
.LBB924_26:                             ;   in Loop: Header=BB924_28 Depth=1
	global_load_dword v12, v[10:11], off
	global_load_dword v13, v[6:7], off
	v_add_co_u32_e32 v6, vcc, 4, v6
	v_addc_co_u32_e32 v7, vcc, 0, v7, vcc
	v_add_co_u32_e32 v10, vcc, 4, v10
	v_addc_co_u32_e32 v11, vcc, 0, v11, vcc
	s_add_u32 s34, s34, 1
	s_addc_u32 s35, s35, 0
	s_andn2_b64 s[22:23], s[22:23], exec
	s_waitcnt vmcnt(0)
	v_cmp_neq_f32_e32 vcc, v12, v13
	s_and_b64 s[36:37], vcc, exec
	s_or_b64 s[22:23], s[22:23], s[36:37]
.LBB924_27:                             ;   in Loop: Header=BB924_28 Depth=1
	s_and_b64 s[36:37], exec, s[22:23]
	s_or_b64 s[4:5], s[36:37], s[4:5]
	v_pk_mov_b32 v[12:13], s[34:35], s[34:35] op_sel:[0,1]
	s_andn2_b64 exec, exec, s[4:5]
	s_cbranch_execz .LBB924_30
.LBB924_28:                             ; =>This Inner Loop Header: Depth=1
	s_or_b64 s[22:23], s[22:23], exec
	s_cmp_eq_u64 s[2:3], s[34:35]
	s_cbranch_scc0 .LBB924_26
; %bb.29:                               ;   in Loop: Header=BB924_28 Depth=1
                                        ; implicit-def: $vgpr6_vgpr7
                                        ; implicit-def: $vgpr10_vgpr11
	s_mov_b64 s[34:35], s[16:17]
	s_branch .LBB924_27
.LBB924_30:
	s_or_b64 exec, exec, s[4:5]
	v_cmp_gt_i64_e32 vcc, s[16:17], v[12:13]
	s_orn2_b64 s[22:23], vcc, exec
.LBB924_31:
	s_or_b64 exec, exec, s[24:25]
.LBB924_32:
	s_mov_b64 s[24:25], -1
	s_and_b64 vcc, exec, s[30:31]
	s_cbranch_vccz .LBB924_59
.LBB924_33:
	s_lshl_b32 s2, s28, 10
	v_lshlrev_b32_e32 v16, 1, v0
	s_sub_i32 s7, s14, s2
	s_waitcnt lgkmcnt(0)
	v_or_b32_e32 v6, 1, v16
	v_cmp_gt_u32_e32 vcc, s7, v6
	v_pk_mov_b32 v[8:9], v[4:5], v[4:5] op_sel:[0,1]
	ds_write_b64 v1, v[4:5]
	v_pk_mov_b32 v[6:7], v[2:3], v[2:3] op_sel:[0,1]
	s_and_saveexec_b64 s[22:23], vcc
	s_cbranch_execz .LBB924_44
; %bb.34:
	v_cmp_lt_i64_e64 s[2:3], s[16:17], 1
	s_and_b64 vcc, exec, s[2:3]
	s_cbranch_vccnz .LBB924_41
; %bb.35:
	v_mul_lo_u32 v8, v5, s16
	v_mul_lo_u32 v9, v4, s17
	v_mad_u64_u32 v[6:7], s[2:3], v4, s16, 0
	v_add3_u32 v7, v7, v9, v8
	v_mul_lo_u32 v10, v3, s16
	v_mul_lo_u32 v11, v2, s17
	v_mad_u64_u32 v[8:9], s[2:3], v2, s16, 0
	v_add3_u32 v9, v9, v11, v10
	v_lshlrev_b64 v[10:11], 2, v[6:7]
	v_mov_b32_e32 v6, s19
	v_add_co_u32_e32 v12, vcc, s18, v10
	v_addc_co_u32_e64 v13, s[2:3], v6, v11, vcc
	v_lshlrev_b64 v[6:7], 2, v[8:9]
	v_mov_b32_e32 v8, s19
	v_add_co_u32_e64 v14, s[2:3], s18, v6
	v_addc_co_u32_e64 v15, s[4:5], v8, v7, s[2:3]
	global_load_dword v6, v[12:13], off
	global_load_dword v8, v[14:15], off
	s_waitcnt vmcnt(0)
	v_cmp_eq_f32_e64 s[4:5], v6, v8
	v_mov_b32_e32 v8, 1
	v_mov_b32_e32 v9, 0
	s_and_saveexec_b64 s[28:29], s[4:5]
	s_cbranch_execz .LBB924_43
; %bb.36:
	v_mov_b32_e32 v6, s19
	v_addc_co_u32_e64 v7, s[2:3], v7, v6, s[2:3]
	v_add_co_u32_e64 v6, s[2:3], 4, v14
	v_mov_b32_e32 v8, s19
	v_addc_co_u32_e64 v7, s[2:3], 0, v7, s[2:3]
	v_addc_co_u32_e32 v9, vcc, v11, v8, vcc
	v_add_co_u32_e32 v8, vcc, 4, v12
	s_add_u32 s2, s16, -1
	v_addc_co_u32_e32 v9, vcc, 0, v9, vcc
	s_addc_u32 s3, s17, -1
	s_mov_b64 s[4:5], 0
	s_mov_b64 s[34:35], 0
                                        ; implicit-def: $sgpr30_sgpr31
	s_branch .LBB924_39
.LBB924_37:                             ;   in Loop: Header=BB924_39 Depth=1
	global_load_dword v10, v[8:9], off
	global_load_dword v11, v[6:7], off
	v_add_co_u32_e32 v6, vcc, 4, v6
	v_addc_co_u32_e32 v7, vcc, 0, v7, vcc
	v_add_co_u32_e32 v8, vcc, 4, v8
	v_addc_co_u32_e32 v9, vcc, 0, v9, vcc
	s_add_u32 s34, s34, 1
	s_addc_u32 s35, s35, 0
	s_andn2_b64 s[30:31], s[30:31], exec
	s_waitcnt vmcnt(0)
	v_cmp_neq_f32_e32 vcc, v10, v11
	s_and_b64 s[36:37], vcc, exec
	s_or_b64 s[30:31], s[30:31], s[36:37]
.LBB924_38:                             ;   in Loop: Header=BB924_39 Depth=1
	s_and_b64 s[36:37], exec, s[30:31]
	s_or_b64 s[4:5], s[36:37], s[4:5]
	v_pk_mov_b32 v[10:11], s[34:35], s[34:35] op_sel:[0,1]
	s_andn2_b64 exec, exec, s[4:5]
	s_cbranch_execz .LBB924_42
.LBB924_39:                             ; =>This Inner Loop Header: Depth=1
	s_or_b64 s[30:31], s[30:31], exec
	s_cmp_eq_u64 s[2:3], s[34:35]
	s_cbranch_scc0 .LBB924_37
; %bb.40:                               ;   in Loop: Header=BB924_39 Depth=1
                                        ; implicit-def: $vgpr6_vgpr7
                                        ; implicit-def: $vgpr8_vgpr9
	s_mov_b64 s[34:35], s[16:17]
	s_branch .LBB924_38
.LBB924_41:
	v_pk_mov_b32 v[8:9], 0, 0
	s_branch .LBB924_44
.LBB924_42:
	s_or_b64 exec, exec, s[4:5]
	v_cmp_gt_i64_e32 vcc, s[16:17], v[10:11]
	s_mov_b32 s2, 0
	v_cndmask_b32_e64 v8, 0, 1, vcc
	v_mov_b32_e32 v9, s2
.LBB924_43:
	s_or_b64 exec, exec, s[28:29]
.LBB924_44:
	s_or_b64 exec, exec, s[22:23]
	v_cmp_ne_u32_e32 vcc, 0, v0
	v_pk_mov_b32 v[6:7], s[20:21], s[20:21] op_sel:[0,1]
	s_waitcnt lgkmcnt(0)
	s_barrier
	s_and_saveexec_b64 s[2:3], vcc
	s_cbranch_execz .LBB924_46
; %bb.45:
	v_add_u32_e32 v6, -8, v1
	ds_read_b64 v[6:7], v6
.LBB924_46:
	s_or_b64 exec, exec, s[2:3]
	v_cmp_gt_u32_e32 vcc, s7, v16
                                        ; implicit-def: $sgpr22_sgpr23
	s_and_saveexec_b64 s[20:21], vcc
	s_cbranch_execz .LBB924_58
; %bb.47:
	v_cmp_lt_i64_e64 s[2:3], s[16:17], 1
	s_and_b64 vcc, exec, s[2:3]
	s_cbranch_vccnz .LBB924_54
; %bb.48:
	v_mul_lo_u32 v12, v3, s16
	v_mul_lo_u32 v13, v2, s17
	v_mad_u64_u32 v[10:11], s[2:3], v2, s16, 0
	v_add3_u32 v11, v11, v13, v12
	s_waitcnt lgkmcnt(0)
	v_mul_lo_u32 v12, v7, s16
	v_mul_lo_u32 v13, v6, s17
	v_mad_u64_u32 v[6:7], s[2:3], v6, s16, 0
	v_lshlrev_b64 v[10:11], 2, v[10:11]
	v_add3_u32 v7, v7, v13, v12
	v_mov_b32_e32 v13, s19
	v_add_co_u32_e32 v12, vcc, s18, v10
	v_addc_co_u32_e64 v13, s[2:3], v13, v11, vcc
	v_lshlrev_b64 v[6:7], 2, v[6:7]
	v_mov_b32_e32 v10, s19
	v_add_co_u32_e64 v14, s[2:3], s18, v6
	v_addc_co_u32_e64 v15, s[4:5], v10, v7, s[2:3]
	global_load_dword v6, v[12:13], off
	global_load_dword v10, v[14:15], off
	s_mov_b64 s[28:29], -1
	s_waitcnt vmcnt(0)
	v_cmp_eq_f32_e64 s[4:5], v6, v10
	s_and_saveexec_b64 s[22:23], s[4:5]
	s_cbranch_execz .LBB924_56
; %bb.49:
	v_mov_b32_e32 v6, s19
	v_addc_co_u32_e64 v7, s[2:3], v7, v6, s[2:3]
	v_add_co_u32_e64 v6, s[2:3], 4, v14
	v_mov_b32_e32 v10, s19
	v_addc_co_u32_e64 v7, s[2:3], 0, v7, s[2:3]
	v_addc_co_u32_e32 v11, vcc, v11, v10, vcc
	v_add_co_u32_e32 v10, vcc, 4, v12
	s_add_u32 s2, s16, -1
	v_addc_co_u32_e32 v11, vcc, 0, v11, vcc
	s_addc_u32 s3, s17, -1
	s_mov_b64 s[4:5], 0
	s_mov_b64 s[30:31], 0
                                        ; implicit-def: $sgpr28_sgpr29
	s_branch .LBB924_52
.LBB924_50:                             ;   in Loop: Header=BB924_52 Depth=1
	global_load_dword v12, v[10:11], off
	global_load_dword v13, v[6:7], off
	v_add_co_u32_e32 v6, vcc, 4, v6
	v_addc_co_u32_e32 v7, vcc, 0, v7, vcc
	v_add_co_u32_e32 v10, vcc, 4, v10
	v_addc_co_u32_e32 v11, vcc, 0, v11, vcc
	s_add_u32 s30, s30, 1
	s_addc_u32 s31, s31, 0
	s_andn2_b64 s[28:29], s[28:29], exec
	s_waitcnt vmcnt(0)
	v_cmp_neq_f32_e32 vcc, v12, v13
	s_and_b64 s[34:35], vcc, exec
	s_or_b64 s[28:29], s[28:29], s[34:35]
.LBB924_51:                             ;   in Loop: Header=BB924_52 Depth=1
	s_and_b64 s[34:35], exec, s[28:29]
	s_or_b64 s[4:5], s[34:35], s[4:5]
	v_pk_mov_b32 v[12:13], s[30:31], s[30:31] op_sel:[0,1]
	s_andn2_b64 exec, exec, s[4:5]
	s_cbranch_execz .LBB924_55
.LBB924_52:                             ; =>This Inner Loop Header: Depth=1
	s_or_b64 s[28:29], s[28:29], exec
	s_cmp_eq_u64 s[2:3], s[30:31]
	s_cbranch_scc0 .LBB924_50
; %bb.53:                               ;   in Loop: Header=BB924_52 Depth=1
                                        ; implicit-def: $vgpr6_vgpr7
                                        ; implicit-def: $vgpr10_vgpr11
	s_mov_b64 s[30:31], s[16:17]
	s_branch .LBB924_51
.LBB924_54:
	s_mov_b64 s[28:29], 0
	s_branch .LBB924_57
.LBB924_55:
	s_or_b64 exec, exec, s[4:5]
	v_cmp_gt_i64_e32 vcc, s[16:17], v[12:13]
	s_orn2_b64 s[28:29], vcc, exec
.LBB924_56:
	s_or_b64 exec, exec, s[22:23]
.LBB924_57:
	s_and_b64 s[22:23], s[28:29], exec
	s_or_b64 s[24:25], s[24:25], exec
.LBB924_58:
	s_or_b64 exec, exec, s[20:21]
.LBB924_59:
	s_branch .LBB924_108
.LBB924_60:
	s_cmp_lg_u64 s[26:27], 1
	s_cbranch_scc0 .LBB924_68
; %bb.61:
	v_cmp_lt_i64_e64 s[2:3], s[16:17], 1
	v_pk_mov_b32 v[8:9], 0, 0
	v_cmp_gt_i64_e64 s[26:27], s[16:17], 0
	s_and_b64 vcc, exec, s[2:3]
	ds_write_b64 v1, v[4:5]
	s_cbranch_vccnz .LBB924_71
; %bb.62:
	v_mul_lo_u32 v8, v5, s16
	v_mul_lo_u32 v9, v4, s17
	s_waitcnt lgkmcnt(0)
	v_mad_u64_u32 v[6:7], s[2:3], v4, s16, 0
	v_add3_u32 v7, v7, v9, v8
	v_mul_lo_u32 v10, v3, s16
	v_mul_lo_u32 v11, v2, s17
	v_mad_u64_u32 v[8:9], s[2:3], v2, s16, 0
	v_add3_u32 v9, v9, v11, v10
	v_lshlrev_b64 v[10:11], 2, v[6:7]
	v_mov_b32_e32 v6, s19
	v_add_co_u32_e32 v12, vcc, s18, v10
	v_addc_co_u32_e64 v13, s[2:3], v6, v11, vcc
	v_lshlrev_b64 v[6:7], 2, v[8:9]
	v_mov_b32_e32 v8, s19
	v_add_co_u32_e64 v14, s[2:3], s18, v6
	v_addc_co_u32_e64 v15, s[4:5], v8, v7, s[2:3]
	global_load_dword v6, v[12:13], off
	global_load_dword v8, v[14:15], off
	s_waitcnt vmcnt(0)
	v_cmp_eq_f32_e64 s[4:5], v6, v8
	v_mov_b32_e32 v8, 1
	v_mov_b32_e32 v9, 0
	s_and_saveexec_b64 s[20:21], s[4:5]
	s_cbranch_execz .LBB924_70
; %bb.63:
	v_mov_b32_e32 v6, s19
	v_addc_co_u32_e64 v7, s[2:3], v7, v6, s[2:3]
	v_add_co_u32_e64 v6, s[2:3], 4, v14
	v_mov_b32_e32 v8, s19
	v_addc_co_u32_e64 v7, s[2:3], 0, v7, s[2:3]
	v_addc_co_u32_e32 v9, vcc, v11, v8, vcc
	v_add_co_u32_e32 v8, vcc, 4, v12
	s_add_u32 s2, s16, -1
	v_addc_co_u32_e32 v9, vcc, 0, v9, vcc
	s_addc_u32 s3, s17, -1
	s_mov_b64 s[4:5], 0
	s_mov_b64 s[28:29], 0
                                        ; implicit-def: $sgpr22_sgpr23
	s_branch .LBB924_66
.LBB924_64:                             ;   in Loop: Header=BB924_66 Depth=1
	global_load_dword v10, v[8:9], off
	global_load_dword v11, v[6:7], off
	v_add_co_u32_e32 v6, vcc, 4, v6
	v_addc_co_u32_e32 v7, vcc, 0, v7, vcc
	v_add_co_u32_e32 v8, vcc, 4, v8
	v_addc_co_u32_e32 v9, vcc, 0, v9, vcc
	s_add_u32 s28, s28, 1
	s_addc_u32 s29, s29, 0
	s_andn2_b64 s[22:23], s[22:23], exec
	s_waitcnt vmcnt(0)
	v_cmp_neq_f32_e32 vcc, v10, v11
	s_and_b64 s[30:31], vcc, exec
	s_or_b64 s[22:23], s[22:23], s[30:31]
.LBB924_65:                             ;   in Loop: Header=BB924_66 Depth=1
	s_and_b64 s[30:31], exec, s[22:23]
	s_or_b64 s[4:5], s[30:31], s[4:5]
	v_pk_mov_b32 v[10:11], s[28:29], s[28:29] op_sel:[0,1]
	s_andn2_b64 exec, exec, s[4:5]
	s_cbranch_execz .LBB924_69
.LBB924_66:                             ; =>This Inner Loop Header: Depth=1
	s_or_b64 s[22:23], s[22:23], exec
	s_cmp_eq_u64 s[2:3], s[28:29]
	s_cbranch_scc0 .LBB924_64
; %bb.67:                               ;   in Loop: Header=BB924_66 Depth=1
                                        ; implicit-def: $vgpr6_vgpr7
                                        ; implicit-def: $vgpr8_vgpr9
	s_mov_b64 s[28:29], s[16:17]
	s_branch .LBB924_65
.LBB924_68:
                                        ; implicit-def: $sgpr22_sgpr23
                                        ; implicit-def: $vgpr8_vgpr9
	s_cbranch_execnz .LBB924_84
	s_branch .LBB924_108
.LBB924_69:
	s_or_b64 exec, exec, s[4:5]
	v_cmp_gt_i64_e32 vcc, s[16:17], v[10:11]
	s_mov_b32 s2, 0
	v_cndmask_b32_e64 v8, 0, 1, vcc
	v_mov_b32_e32 v9, s2
.LBB924_70:
	s_or_b64 exec, exec, s[20:21]
.LBB924_71:
	v_cmp_ne_u32_e32 vcc, 0, v0
	s_waitcnt lgkmcnt(0)
	s_barrier
	s_waitcnt lgkmcnt(0)
                                        ; implicit-def: $sgpr22_sgpr23
	s_and_saveexec_b64 s[20:21], vcc
	s_cbranch_execz .LBB924_83
; %bb.72:
	s_andn2_b64 vcc, exec, s[26:27]
	s_cbranch_vccnz .LBB924_79
; %bb.73:
	v_add_u32_e32 v6, -8, v1
	ds_read_b64 v[6:7], v6
	v_mul_lo_u32 v12, v3, s16
	v_mul_lo_u32 v13, v2, s17
	v_mad_u64_u32 v[10:11], s[2:3], v2, s16, 0
	v_add3_u32 v11, v11, v13, v12
	s_waitcnt lgkmcnt(0)
	v_mul_lo_u32 v12, v7, s16
	v_mul_lo_u32 v13, v6, s17
	v_mad_u64_u32 v[6:7], s[2:3], v6, s16, 0
	v_lshlrev_b64 v[10:11], 2, v[10:11]
	v_add3_u32 v7, v7, v13, v12
	v_mov_b32_e32 v13, s19
	v_add_co_u32_e32 v12, vcc, s18, v10
	v_addc_co_u32_e64 v13, s[2:3], v13, v11, vcc
	v_lshlrev_b64 v[6:7], 2, v[6:7]
	v_mov_b32_e32 v10, s19
	v_add_co_u32_e64 v14, s[2:3], s18, v6
	v_addc_co_u32_e64 v15, s[4:5], v10, v7, s[2:3]
	global_load_dword v6, v[12:13], off
	global_load_dword v10, v[14:15], off
	s_mov_b64 s[26:27], -1
	s_waitcnt vmcnt(0)
	v_cmp_eq_f32_e64 s[4:5], v6, v10
	s_and_saveexec_b64 s[22:23], s[4:5]
	s_cbranch_execz .LBB924_81
; %bb.74:
	v_mov_b32_e32 v6, s19
	v_addc_co_u32_e64 v7, s[2:3], v7, v6, s[2:3]
	v_add_co_u32_e64 v6, s[2:3], 4, v14
	v_mov_b32_e32 v10, s19
	v_addc_co_u32_e64 v7, s[2:3], 0, v7, s[2:3]
	v_addc_co_u32_e32 v11, vcc, v11, v10, vcc
	v_add_co_u32_e32 v10, vcc, 4, v12
	s_add_u32 s2, s16, -1
	v_addc_co_u32_e32 v11, vcc, 0, v11, vcc
	s_addc_u32 s3, s17, -1
	s_mov_b64 s[4:5], 0
	s_mov_b64 s[28:29], 0
                                        ; implicit-def: $sgpr26_sgpr27
	s_branch .LBB924_77
.LBB924_75:                             ;   in Loop: Header=BB924_77 Depth=1
	global_load_dword v12, v[10:11], off
	global_load_dword v13, v[6:7], off
	v_add_co_u32_e32 v6, vcc, 4, v6
	v_addc_co_u32_e32 v7, vcc, 0, v7, vcc
	v_add_co_u32_e32 v10, vcc, 4, v10
	v_addc_co_u32_e32 v11, vcc, 0, v11, vcc
	s_add_u32 s28, s28, 1
	s_addc_u32 s29, s29, 0
	s_andn2_b64 s[26:27], s[26:27], exec
	s_waitcnt vmcnt(0)
	v_cmp_neq_f32_e32 vcc, v12, v13
	s_and_b64 s[30:31], vcc, exec
	s_or_b64 s[26:27], s[26:27], s[30:31]
.LBB924_76:                             ;   in Loop: Header=BB924_77 Depth=1
	s_and_b64 s[30:31], exec, s[26:27]
	s_or_b64 s[4:5], s[30:31], s[4:5]
	v_pk_mov_b32 v[12:13], s[28:29], s[28:29] op_sel:[0,1]
	s_andn2_b64 exec, exec, s[4:5]
	s_cbranch_execz .LBB924_80
.LBB924_77:                             ; =>This Inner Loop Header: Depth=1
	s_or_b64 s[26:27], s[26:27], exec
	s_cmp_eq_u64 s[2:3], s[28:29]
	s_cbranch_scc0 .LBB924_75
; %bb.78:                               ;   in Loop: Header=BB924_77 Depth=1
                                        ; implicit-def: $vgpr6_vgpr7
                                        ; implicit-def: $vgpr10_vgpr11
	s_mov_b64 s[28:29], s[16:17]
	s_branch .LBB924_76
.LBB924_79:
	s_mov_b64 s[26:27], 0
	s_branch .LBB924_82
.LBB924_80:
	s_or_b64 exec, exec, s[4:5]
	v_cmp_gt_i64_e32 vcc, s[16:17], v[12:13]
	s_orn2_b64 s[26:27], vcc, exec
.LBB924_81:
	s_or_b64 exec, exec, s[22:23]
.LBB924_82:
	s_and_b64 s[22:23], s[26:27], exec
	s_or_b64 s[24:25], s[24:25], exec
.LBB924_83:
	s_or_b64 exec, exec, s[20:21]
	s_branch .LBB924_108
.LBB924_84:
	v_lshlrev_b32_e32 v14, 1, v0
	s_waitcnt lgkmcnt(0)
	v_or_b32_e32 v6, 1, v14
	v_cmp_gt_u32_e32 vcc, s14, v6
	v_cmp_lt_i64_e64 s[20:21], s[16:17], 1
	v_pk_mov_b32 v[8:9], v[4:5], v[4:5] op_sel:[0,1]
	ds_write_b64 v1, v[4:5]
	v_pk_mov_b32 v[6:7], v[2:3], v[2:3] op_sel:[0,1]
	s_and_saveexec_b64 s[22:23], vcc
	s_cbranch_execz .LBB924_95
; %bb.85:
	s_and_b64 vcc, exec, s[20:21]
	s_cbranch_vccnz .LBB924_92
; %bb.86:
	v_mul_lo_u32 v6, v5, s16
	v_mul_lo_u32 v7, v4, s17
	v_mad_u64_u32 v[4:5], s[2:3], v4, s16, 0
	v_add3_u32 v5, v5, v7, v6
	v_mul_lo_u32 v6, v3, s16
	v_mul_lo_u32 v7, v2, s17
	v_mad_u64_u32 v[8:9], s[2:3], v2, s16, 0
	v_add3_u32 v9, v9, v7, v6
	v_lshlrev_b64 v[6:7], 2, v[4:5]
	v_mov_b32_e32 v4, s19
	v_add_co_u32_e32 v10, vcc, s18, v6
	v_addc_co_u32_e64 v11, s[2:3], v4, v7, vcc
	v_lshlrev_b64 v[4:5], 2, v[8:9]
	v_mov_b32_e32 v6, s19
	v_add_co_u32_e64 v12, s[2:3], s18, v4
	v_addc_co_u32_e64 v13, s[4:5], v6, v5, s[2:3]
	global_load_dword v4, v[10:11], off
	global_load_dword v6, v[12:13], off
	v_mov_b32_e32 v8, 1
	v_mov_b32_e32 v9, 0
	s_waitcnt vmcnt(0)
	v_cmp_eq_f32_e64 s[4:5], v4, v6
	s_and_saveexec_b64 s[26:27], s[4:5]
	s_cbranch_execz .LBB924_94
; %bb.87:
	v_mov_b32_e32 v4, s19
	v_addc_co_u32_e64 v5, s[2:3], v5, v4, s[2:3]
	v_add_co_u32_e64 v4, s[2:3], 4, v12
	v_mov_b32_e32 v6, s19
	v_addc_co_u32_e64 v5, s[2:3], 0, v5, s[2:3]
	v_addc_co_u32_e32 v7, vcc, v7, v6, vcc
	v_add_co_u32_e32 v6, vcc, 4, v10
	s_add_u32 s2, s16, -1
	v_addc_co_u32_e32 v7, vcc, 0, v7, vcc
	s_addc_u32 s3, s17, -1
	s_mov_b64 s[4:5], 0
	s_mov_b64 s[30:31], 0
                                        ; implicit-def: $sgpr28_sgpr29
	s_branch .LBB924_90
.LBB924_88:                             ;   in Loop: Header=BB924_90 Depth=1
	global_load_dword v8, v[6:7], off
	global_load_dword v9, v[4:5], off
	v_add_co_u32_e32 v4, vcc, 4, v4
	v_addc_co_u32_e32 v5, vcc, 0, v5, vcc
	v_add_co_u32_e32 v6, vcc, 4, v6
	v_addc_co_u32_e32 v7, vcc, 0, v7, vcc
	s_add_u32 s30, s30, 1
	s_addc_u32 s31, s31, 0
	s_andn2_b64 s[28:29], s[28:29], exec
	s_waitcnt vmcnt(0)
	v_cmp_neq_f32_e32 vcc, v8, v9
	s_and_b64 s[34:35], vcc, exec
	s_or_b64 s[28:29], s[28:29], s[34:35]
.LBB924_89:                             ;   in Loop: Header=BB924_90 Depth=1
	s_and_b64 s[34:35], exec, s[28:29]
	s_or_b64 s[4:5], s[34:35], s[4:5]
	v_pk_mov_b32 v[8:9], s[30:31], s[30:31] op_sel:[0,1]
	s_andn2_b64 exec, exec, s[4:5]
	s_cbranch_execz .LBB924_93
.LBB924_90:                             ; =>This Inner Loop Header: Depth=1
	s_or_b64 s[28:29], s[28:29], exec
	s_cmp_eq_u64 s[2:3], s[30:31]
	s_cbranch_scc0 .LBB924_88
; %bb.91:                               ;   in Loop: Header=BB924_90 Depth=1
                                        ; implicit-def: $vgpr4_vgpr5
                                        ; implicit-def: $vgpr6_vgpr7
	s_mov_b64 s[30:31], s[16:17]
	s_branch .LBB924_89
.LBB924_92:
	v_pk_mov_b32 v[8:9], 0, 0
	s_branch .LBB924_95
.LBB924_93:
	s_or_b64 exec, exec, s[4:5]
	v_cmp_gt_i64_e32 vcc, s[16:17], v[8:9]
	s_mov_b32 s2, 0
	v_cndmask_b32_e64 v8, 0, 1, vcc
	v_mov_b32_e32 v9, s2
.LBB924_94:
	s_or_b64 exec, exec, s[26:27]
.LBB924_95:
	s_or_b64 exec, exec, s[22:23]
	v_cmp_ne_u32_e32 vcc, 0, v0
	v_cmp_gt_u32_e64 s[2:3], s14, v14
	s_and_b64 s[2:3], vcc, s[2:3]
	s_waitcnt lgkmcnt(0)
	s_barrier
	s_waitcnt lgkmcnt(0)
                                        ; implicit-def: $sgpr22_sgpr23
	s_and_saveexec_b64 s[26:27], s[2:3]
	s_cbranch_execz .LBB924_107
; %bb.96:
	s_and_b64 vcc, exec, s[20:21]
	s_cbranch_vccnz .LBB924_103
; %bb.97:
	v_mul_lo_u32 v6, v3, s16
	v_add_u32_e32 v3, -8, v1
	ds_read_b64 v[4:5], v3
	v_mul_lo_u32 v7, v2, s17
	v_mad_u64_u32 v[2:3], s[2:3], v2, s16, 0
	v_add3_u32 v3, v3, v7, v6
	s_waitcnt lgkmcnt(0)
	v_mul_lo_u32 v5, v5, s16
	v_mul_lo_u32 v6, v4, s17
	v_mad_u64_u32 v[10:11], s[2:3], v4, s16, 0
	v_add3_u32 v11, v11, v6, v5
	v_lshlrev_b64 v[4:5], 2, v[2:3]
	v_mov_b32_e32 v2, s19
	v_add_co_u32_e32 v6, vcc, s18, v4
	v_addc_co_u32_e64 v7, s[2:3], v2, v5, vcc
	v_lshlrev_b64 v[2:3], 2, v[10:11]
	v_mov_b32_e32 v4, s19
	v_add_co_u32_e64 v10, s[2:3], s18, v2
	v_addc_co_u32_e64 v11, s[4:5], v4, v3, s[2:3]
	global_load_dword v2, v[6:7], off
	global_load_dword v4, v[10:11], off
	s_mov_b64 s[22:23], -1
	s_waitcnt vmcnt(0)
	v_cmp_eq_f32_e64 s[4:5], v2, v4
	s_and_saveexec_b64 s[20:21], s[4:5]
	s_cbranch_execz .LBB924_105
; %bb.98:
	v_mov_b32_e32 v2, s19
	v_addc_co_u32_e64 v3, s[2:3], v3, v2, s[2:3]
	v_add_co_u32_e64 v2, s[2:3], 4, v10
	v_mov_b32_e32 v4, s19
	v_addc_co_u32_e64 v3, s[2:3], 0, v3, s[2:3]
	v_addc_co_u32_e32 v5, vcc, v5, v4, vcc
	v_add_co_u32_e32 v4, vcc, 4, v6
	s_add_u32 s2, s16, -1
	v_addc_co_u32_e32 v5, vcc, 0, v5, vcc
	s_addc_u32 s3, s17, -1
	s_mov_b64 s[4:5], 0
	s_mov_b64 s[22:23], 0
                                        ; implicit-def: $sgpr18_sgpr19
	s_branch .LBB924_101
.LBB924_99:                             ;   in Loop: Header=BB924_101 Depth=1
	global_load_dword v6, v[4:5], off
	global_load_dword v7, v[2:3], off
	v_add_co_u32_e32 v2, vcc, 4, v2
	v_addc_co_u32_e32 v3, vcc, 0, v3, vcc
	v_add_co_u32_e32 v4, vcc, 4, v4
	v_addc_co_u32_e32 v5, vcc, 0, v5, vcc
	s_add_u32 s22, s22, 1
	s_addc_u32 s23, s23, 0
	s_andn2_b64 s[18:19], s[18:19], exec
	s_waitcnt vmcnt(0)
	v_cmp_neq_f32_e32 vcc, v6, v7
	s_and_b64 s[28:29], vcc, exec
	s_or_b64 s[18:19], s[18:19], s[28:29]
.LBB924_100:                            ;   in Loop: Header=BB924_101 Depth=1
	s_and_b64 s[28:29], exec, s[18:19]
	s_or_b64 s[4:5], s[28:29], s[4:5]
	v_pk_mov_b32 v[6:7], s[22:23], s[22:23] op_sel:[0,1]
	s_andn2_b64 exec, exec, s[4:5]
	s_cbranch_execz .LBB924_104
.LBB924_101:                            ; =>This Inner Loop Header: Depth=1
	s_or_b64 s[18:19], s[18:19], exec
	s_cmp_eq_u64 s[2:3], s[22:23]
	s_cbranch_scc0 .LBB924_99
; %bb.102:                              ;   in Loop: Header=BB924_101 Depth=1
                                        ; implicit-def: $vgpr2_vgpr3
                                        ; implicit-def: $vgpr4_vgpr5
	s_mov_b64 s[22:23], s[16:17]
	s_branch .LBB924_100
.LBB924_103:
	s_mov_b64 s[22:23], 0
	s_branch .LBB924_106
.LBB924_104:
	s_or_b64 exec, exec, s[4:5]
	v_cmp_gt_i64_e32 vcc, s[16:17], v[6:7]
	s_orn2_b64 s[22:23], vcc, exec
.LBB924_105:
	s_or_b64 exec, exec, s[20:21]
.LBB924_106:
	s_and_b64 s[22:23], s[22:23], exec
	s_or_b64 s[24:25], s[24:25], exec
                                        ; implicit-def: $vgpr2_vgpr3
.LBB924_107:
	s_or_b64 exec, exec, s[26:27]
.LBB924_108:
	s_and_saveexec_b64 s[2:3], s[24:25]
; %bb.109:
	s_mov_b32 s4, 0
	v_cndmask_b32_e64 v2, 0, 1, s[22:23]
	v_mov_b32_e32 v3, s4
; %bb.110:
	s_or_b64 exec, exec, s[2:3]
	s_add_u32 s4, s12, s10
	s_addc_u32 s5, s13, s11
	s_and_b64 vcc, exec, s[0:1]
	v_lshrrev_b32_e32 v10, 1, v0
	s_waitcnt lgkmcnt(0)
	s_barrier
	s_cbranch_vccz .LBB924_114
; %bb.111:
	v_and_b32_e32 v4, 0xf8, v10
	v_lshl_add_u32 v6, v0, 4, v4
	v_mov_b32_e32 v4, v8
	v_mov_b32_e32 v5, v9
	v_or_b32_e32 v11, 0x200, v0
	s_lshl_b32 s0, s6, 10
	s_mov_b32 s9, 0
	ds_write2_b64 v6, v[2:3], v[4:5] offset1:1
	v_lshrrev_b32_e32 v4, 5, v11
	s_sub_i32 s2, s14, s0
	s_lshl_b64 s[0:1], s[8:9], 3
	v_add_lshl_u32 v4, v4, v0, 3
	s_add_u32 s0, s4, s0
	s_waitcnt lgkmcnt(0)
	s_barrier
	ds_read_b64 v[4:5], v4 offset:4096
	s_addc_u32 s1, s5, s1
	v_mov_b32_e32 v7, s1
	v_add_co_u32_e32 v6, vcc, s0, v1
	v_addc_co_u32_e32 v7, vcc, 0, v7, vcc
	v_cmp_gt_u32_e32 vcc, s2, v0
	s_and_saveexec_b64 s[0:1], vcc
	s_cbranch_execz .LBB924_113
; %bb.112:
	v_lshrrev_b32_e32 v12, 5, v0
	v_add_lshl_u32 v12, v12, v0, 3
	ds_read_b64 v[12:13], v12
	s_waitcnt lgkmcnt(0)
	global_store_dwordx2 v[6:7], v[12:13], off
.LBB924_113:
	s_or_b64 exec, exec, s[0:1]
	v_cmp_gt_u32_e64 s[0:1], s2, v11
	s_branch .LBB924_116
.LBB924_114:
	s_mov_b64 s[0:1], 0
                                        ; implicit-def: $vgpr4_vgpr5
                                        ; implicit-def: $vgpr6_vgpr7
	s_cbranch_execz .LBB924_116
; %bb.115:
	s_waitcnt lgkmcnt(0)
	v_and_b32_e32 v4, 0xf8, v10
	v_lshl_add_u32 v6, v0, 4, v4
	v_mov_b32_e32 v4, v8
	v_mov_b32_e32 v5, v9
	s_mov_b32 s9, 0
	ds_write2_b64 v6, v[2:3], v[4:5] offset1:1
	v_lshrrev_b32_e32 v2, 5, v0
	v_or_b32_e32 v3, 0x200, v0
	s_lshl_b64 s[2:3], s[8:9], 3
	v_add_lshl_u32 v2, v2, v0, 3
	v_lshrrev_b32_e32 v3, 5, v3
	s_add_u32 s2, s4, s2
	s_waitcnt lgkmcnt(0)
	s_barrier
	v_add_lshl_u32 v0, v3, v0, 3
	ds_read_b64 v[2:3], v2
	ds_read_b64 v[4:5], v0 offset:4096
	s_addc_u32 s3, s5, s3
	v_mov_b32_e32 v0, s3
	v_add_co_u32_e32 v6, vcc, s2, v1
	v_addc_co_u32_e32 v7, vcc, 0, v0, vcc
	s_or_b64 s[0:1], s[0:1], exec
	s_waitcnt lgkmcnt(1)
	global_store_dwordx2 v1, v[2:3], s[2:3]
.LBB924_116:
	s_and_saveexec_b64 s[2:3], s[0:1]
	s_cbranch_execnz .LBB924_118
; %bb.117:
	s_endpgm
.LBB924_118:
	v_add_co_u32_e32 v0, vcc, 0x1000, v6
	v_addc_co_u32_e32 v1, vcc, 0, v7, vcc
	s_waitcnt lgkmcnt(0)
	global_store_dwordx2 v[0:1], v[4:5], off
	s_endpgm
	.section	.rodata,"a",@progbits
	.p2align	6, 0x0
	.amdhsa_kernel _ZN7rocprim17ROCPRIM_400000_NS6detail17trampoline_kernelINS0_14default_configENS1_35adjacent_difference_config_selectorILb1ElEEZNS1_24adjacent_difference_implIS3_Lb1ELb0EPlS7_ZN2at6native12_GLOBAL__N_124unique_dim_cuda_templateIfEESt5tupleIJNS8_6TensorESD_SD_EERKSD_lbbbEUlllE1_EE10hipError_tPvRmT2_T3_mT4_P12ihipStream_tbEUlT_E_NS1_11comp_targetILNS1_3genE4ELNS1_11target_archE910ELNS1_3gpuE8ELNS1_3repE0EEENS1_30default_config_static_selectorELNS0_4arch9wavefront6targetE1EEEvT1_
		.amdhsa_group_segment_fixed_size 8448
		.amdhsa_private_segment_fixed_size 0
		.amdhsa_kernarg_size 64
		.amdhsa_user_sgpr_count 6
		.amdhsa_user_sgpr_private_segment_buffer 1
		.amdhsa_user_sgpr_dispatch_ptr 0
		.amdhsa_user_sgpr_queue_ptr 0
		.amdhsa_user_sgpr_kernarg_segment_ptr 1
		.amdhsa_user_sgpr_dispatch_id 0
		.amdhsa_user_sgpr_flat_scratch_init 0
		.amdhsa_user_sgpr_kernarg_preload_length 0
		.amdhsa_user_sgpr_kernarg_preload_offset 0
		.amdhsa_user_sgpr_private_segment_size 0
		.amdhsa_uses_dynamic_stack 0
		.amdhsa_system_sgpr_private_segment_wavefront_offset 0
		.amdhsa_system_sgpr_workgroup_id_x 1
		.amdhsa_system_sgpr_workgroup_id_y 0
		.amdhsa_system_sgpr_workgroup_id_z 0
		.amdhsa_system_sgpr_workgroup_info 0
		.amdhsa_system_vgpr_workitem_id 0
		.amdhsa_next_free_vgpr 17
		.amdhsa_next_free_sgpr 38
		.amdhsa_accum_offset 20
		.amdhsa_reserve_vcc 1
		.amdhsa_reserve_flat_scratch 0
		.amdhsa_float_round_mode_32 0
		.amdhsa_float_round_mode_16_64 0
		.amdhsa_float_denorm_mode_32 3
		.amdhsa_float_denorm_mode_16_64 3
		.amdhsa_dx10_clamp 1
		.amdhsa_ieee_mode 1
		.amdhsa_fp16_overflow 0
		.amdhsa_tg_split 0
		.amdhsa_exception_fp_ieee_invalid_op 0
		.amdhsa_exception_fp_denorm_src 0
		.amdhsa_exception_fp_ieee_div_zero 0
		.amdhsa_exception_fp_ieee_overflow 0
		.amdhsa_exception_fp_ieee_underflow 0
		.amdhsa_exception_fp_ieee_inexact 0
		.amdhsa_exception_int_div_zero 0
	.end_amdhsa_kernel
	.section	.text._ZN7rocprim17ROCPRIM_400000_NS6detail17trampoline_kernelINS0_14default_configENS1_35adjacent_difference_config_selectorILb1ElEEZNS1_24adjacent_difference_implIS3_Lb1ELb0EPlS7_ZN2at6native12_GLOBAL__N_124unique_dim_cuda_templateIfEESt5tupleIJNS8_6TensorESD_SD_EERKSD_lbbbEUlllE1_EE10hipError_tPvRmT2_T3_mT4_P12ihipStream_tbEUlT_E_NS1_11comp_targetILNS1_3genE4ELNS1_11target_archE910ELNS1_3gpuE8ELNS1_3repE0EEENS1_30default_config_static_selectorELNS0_4arch9wavefront6targetE1EEEvT1_,"axG",@progbits,_ZN7rocprim17ROCPRIM_400000_NS6detail17trampoline_kernelINS0_14default_configENS1_35adjacent_difference_config_selectorILb1ElEEZNS1_24adjacent_difference_implIS3_Lb1ELb0EPlS7_ZN2at6native12_GLOBAL__N_124unique_dim_cuda_templateIfEESt5tupleIJNS8_6TensorESD_SD_EERKSD_lbbbEUlllE1_EE10hipError_tPvRmT2_T3_mT4_P12ihipStream_tbEUlT_E_NS1_11comp_targetILNS1_3genE4ELNS1_11target_archE910ELNS1_3gpuE8ELNS1_3repE0EEENS1_30default_config_static_selectorELNS0_4arch9wavefront6targetE1EEEvT1_,comdat
.Lfunc_end924:
	.size	_ZN7rocprim17ROCPRIM_400000_NS6detail17trampoline_kernelINS0_14default_configENS1_35adjacent_difference_config_selectorILb1ElEEZNS1_24adjacent_difference_implIS3_Lb1ELb0EPlS7_ZN2at6native12_GLOBAL__N_124unique_dim_cuda_templateIfEESt5tupleIJNS8_6TensorESD_SD_EERKSD_lbbbEUlllE1_EE10hipError_tPvRmT2_T3_mT4_P12ihipStream_tbEUlT_E_NS1_11comp_targetILNS1_3genE4ELNS1_11target_archE910ELNS1_3gpuE8ELNS1_3repE0EEENS1_30default_config_static_selectorELNS0_4arch9wavefront6targetE1EEEvT1_, .Lfunc_end924-_ZN7rocprim17ROCPRIM_400000_NS6detail17trampoline_kernelINS0_14default_configENS1_35adjacent_difference_config_selectorILb1ElEEZNS1_24adjacent_difference_implIS3_Lb1ELb0EPlS7_ZN2at6native12_GLOBAL__N_124unique_dim_cuda_templateIfEESt5tupleIJNS8_6TensorESD_SD_EERKSD_lbbbEUlllE1_EE10hipError_tPvRmT2_T3_mT4_P12ihipStream_tbEUlT_E_NS1_11comp_targetILNS1_3genE4ELNS1_11target_archE910ELNS1_3gpuE8ELNS1_3repE0EEENS1_30default_config_static_selectorELNS0_4arch9wavefront6targetE1EEEvT1_
                                        ; -- End function
	.section	.AMDGPU.csdata,"",@progbits
; Kernel info:
; codeLenInByte = 4304
; NumSgprs: 42
; NumVgprs: 17
; NumAgprs: 0
; TotalNumVgprs: 17
; ScratchSize: 0
; MemoryBound: 0
; FloatMode: 240
; IeeeMode: 1
; LDSByteSize: 8448 bytes/workgroup (compile time only)
; SGPRBlocks: 5
; VGPRBlocks: 2
; NumSGPRsForWavesPerEU: 42
; NumVGPRsForWavesPerEU: 17
; AccumOffset: 20
; Occupancy: 8
; WaveLimiterHint : 1
; COMPUTE_PGM_RSRC2:SCRATCH_EN: 0
; COMPUTE_PGM_RSRC2:USER_SGPR: 6
; COMPUTE_PGM_RSRC2:TRAP_HANDLER: 0
; COMPUTE_PGM_RSRC2:TGID_X_EN: 1
; COMPUTE_PGM_RSRC2:TGID_Y_EN: 0
; COMPUTE_PGM_RSRC2:TGID_Z_EN: 0
; COMPUTE_PGM_RSRC2:TIDIG_COMP_CNT: 0
; COMPUTE_PGM_RSRC3_GFX90A:ACCUM_OFFSET: 4
; COMPUTE_PGM_RSRC3_GFX90A:TG_SPLIT: 0
	.section	.text._ZN7rocprim17ROCPRIM_400000_NS6detail17trampoline_kernelINS0_14default_configENS1_35adjacent_difference_config_selectorILb1ElEEZNS1_24adjacent_difference_implIS3_Lb1ELb0EPlS7_ZN2at6native12_GLOBAL__N_124unique_dim_cuda_templateIfEESt5tupleIJNS8_6TensorESD_SD_EERKSD_lbbbEUlllE1_EE10hipError_tPvRmT2_T3_mT4_P12ihipStream_tbEUlT_E_NS1_11comp_targetILNS1_3genE3ELNS1_11target_archE908ELNS1_3gpuE7ELNS1_3repE0EEENS1_30default_config_static_selectorELNS0_4arch9wavefront6targetE1EEEvT1_,"axG",@progbits,_ZN7rocprim17ROCPRIM_400000_NS6detail17trampoline_kernelINS0_14default_configENS1_35adjacent_difference_config_selectorILb1ElEEZNS1_24adjacent_difference_implIS3_Lb1ELb0EPlS7_ZN2at6native12_GLOBAL__N_124unique_dim_cuda_templateIfEESt5tupleIJNS8_6TensorESD_SD_EERKSD_lbbbEUlllE1_EE10hipError_tPvRmT2_T3_mT4_P12ihipStream_tbEUlT_E_NS1_11comp_targetILNS1_3genE3ELNS1_11target_archE908ELNS1_3gpuE7ELNS1_3repE0EEENS1_30default_config_static_selectorELNS0_4arch9wavefront6targetE1EEEvT1_,comdat
	.globl	_ZN7rocprim17ROCPRIM_400000_NS6detail17trampoline_kernelINS0_14default_configENS1_35adjacent_difference_config_selectorILb1ElEEZNS1_24adjacent_difference_implIS3_Lb1ELb0EPlS7_ZN2at6native12_GLOBAL__N_124unique_dim_cuda_templateIfEESt5tupleIJNS8_6TensorESD_SD_EERKSD_lbbbEUlllE1_EE10hipError_tPvRmT2_T3_mT4_P12ihipStream_tbEUlT_E_NS1_11comp_targetILNS1_3genE3ELNS1_11target_archE908ELNS1_3gpuE7ELNS1_3repE0EEENS1_30default_config_static_selectorELNS0_4arch9wavefront6targetE1EEEvT1_ ; -- Begin function _ZN7rocprim17ROCPRIM_400000_NS6detail17trampoline_kernelINS0_14default_configENS1_35adjacent_difference_config_selectorILb1ElEEZNS1_24adjacent_difference_implIS3_Lb1ELb0EPlS7_ZN2at6native12_GLOBAL__N_124unique_dim_cuda_templateIfEESt5tupleIJNS8_6TensorESD_SD_EERKSD_lbbbEUlllE1_EE10hipError_tPvRmT2_T3_mT4_P12ihipStream_tbEUlT_E_NS1_11comp_targetILNS1_3genE3ELNS1_11target_archE908ELNS1_3gpuE7ELNS1_3repE0EEENS1_30default_config_static_selectorELNS0_4arch9wavefront6targetE1EEEvT1_
	.p2align	8
	.type	_ZN7rocprim17ROCPRIM_400000_NS6detail17trampoline_kernelINS0_14default_configENS1_35adjacent_difference_config_selectorILb1ElEEZNS1_24adjacent_difference_implIS3_Lb1ELb0EPlS7_ZN2at6native12_GLOBAL__N_124unique_dim_cuda_templateIfEESt5tupleIJNS8_6TensorESD_SD_EERKSD_lbbbEUlllE1_EE10hipError_tPvRmT2_T3_mT4_P12ihipStream_tbEUlT_E_NS1_11comp_targetILNS1_3genE3ELNS1_11target_archE908ELNS1_3gpuE7ELNS1_3repE0EEENS1_30default_config_static_selectorELNS0_4arch9wavefront6targetE1EEEvT1_,@function
_ZN7rocprim17ROCPRIM_400000_NS6detail17trampoline_kernelINS0_14default_configENS1_35adjacent_difference_config_selectorILb1ElEEZNS1_24adjacent_difference_implIS3_Lb1ELb0EPlS7_ZN2at6native12_GLOBAL__N_124unique_dim_cuda_templateIfEESt5tupleIJNS8_6TensorESD_SD_EERKSD_lbbbEUlllE1_EE10hipError_tPvRmT2_T3_mT4_P12ihipStream_tbEUlT_E_NS1_11comp_targetILNS1_3genE3ELNS1_11target_archE908ELNS1_3gpuE7ELNS1_3repE0EEENS1_30default_config_static_selectorELNS0_4arch9wavefront6targetE1EEEvT1_: ; @_ZN7rocprim17ROCPRIM_400000_NS6detail17trampoline_kernelINS0_14default_configENS1_35adjacent_difference_config_selectorILb1ElEEZNS1_24adjacent_difference_implIS3_Lb1ELb0EPlS7_ZN2at6native12_GLOBAL__N_124unique_dim_cuda_templateIfEESt5tupleIJNS8_6TensorESD_SD_EERKSD_lbbbEUlllE1_EE10hipError_tPvRmT2_T3_mT4_P12ihipStream_tbEUlT_E_NS1_11comp_targetILNS1_3genE3ELNS1_11target_archE908ELNS1_3gpuE7ELNS1_3repE0EEENS1_30default_config_static_selectorELNS0_4arch9wavefront6targetE1EEEvT1_
; %bb.0:
	.section	.rodata,"a",@progbits
	.p2align	6, 0x0
	.amdhsa_kernel _ZN7rocprim17ROCPRIM_400000_NS6detail17trampoline_kernelINS0_14default_configENS1_35adjacent_difference_config_selectorILb1ElEEZNS1_24adjacent_difference_implIS3_Lb1ELb0EPlS7_ZN2at6native12_GLOBAL__N_124unique_dim_cuda_templateIfEESt5tupleIJNS8_6TensorESD_SD_EERKSD_lbbbEUlllE1_EE10hipError_tPvRmT2_T3_mT4_P12ihipStream_tbEUlT_E_NS1_11comp_targetILNS1_3genE3ELNS1_11target_archE908ELNS1_3gpuE7ELNS1_3repE0EEENS1_30default_config_static_selectorELNS0_4arch9wavefront6targetE1EEEvT1_
		.amdhsa_group_segment_fixed_size 0
		.amdhsa_private_segment_fixed_size 0
		.amdhsa_kernarg_size 64
		.amdhsa_user_sgpr_count 6
		.amdhsa_user_sgpr_private_segment_buffer 1
		.amdhsa_user_sgpr_dispatch_ptr 0
		.amdhsa_user_sgpr_queue_ptr 0
		.amdhsa_user_sgpr_kernarg_segment_ptr 1
		.amdhsa_user_sgpr_dispatch_id 0
		.amdhsa_user_sgpr_flat_scratch_init 0
		.amdhsa_user_sgpr_kernarg_preload_length 0
		.amdhsa_user_sgpr_kernarg_preload_offset 0
		.amdhsa_user_sgpr_private_segment_size 0
		.amdhsa_uses_dynamic_stack 0
		.amdhsa_system_sgpr_private_segment_wavefront_offset 0
		.amdhsa_system_sgpr_workgroup_id_x 1
		.amdhsa_system_sgpr_workgroup_id_y 0
		.amdhsa_system_sgpr_workgroup_id_z 0
		.amdhsa_system_sgpr_workgroup_info 0
		.amdhsa_system_vgpr_workitem_id 0
		.amdhsa_next_free_vgpr 1
		.amdhsa_next_free_sgpr 0
		.amdhsa_accum_offset 4
		.amdhsa_reserve_vcc 0
		.amdhsa_reserve_flat_scratch 0
		.amdhsa_float_round_mode_32 0
		.amdhsa_float_round_mode_16_64 0
		.amdhsa_float_denorm_mode_32 3
		.amdhsa_float_denorm_mode_16_64 3
		.amdhsa_dx10_clamp 1
		.amdhsa_ieee_mode 1
		.amdhsa_fp16_overflow 0
		.amdhsa_tg_split 0
		.amdhsa_exception_fp_ieee_invalid_op 0
		.amdhsa_exception_fp_denorm_src 0
		.amdhsa_exception_fp_ieee_div_zero 0
		.amdhsa_exception_fp_ieee_overflow 0
		.amdhsa_exception_fp_ieee_underflow 0
		.amdhsa_exception_fp_ieee_inexact 0
		.amdhsa_exception_int_div_zero 0
	.end_amdhsa_kernel
	.section	.text._ZN7rocprim17ROCPRIM_400000_NS6detail17trampoline_kernelINS0_14default_configENS1_35adjacent_difference_config_selectorILb1ElEEZNS1_24adjacent_difference_implIS3_Lb1ELb0EPlS7_ZN2at6native12_GLOBAL__N_124unique_dim_cuda_templateIfEESt5tupleIJNS8_6TensorESD_SD_EERKSD_lbbbEUlllE1_EE10hipError_tPvRmT2_T3_mT4_P12ihipStream_tbEUlT_E_NS1_11comp_targetILNS1_3genE3ELNS1_11target_archE908ELNS1_3gpuE7ELNS1_3repE0EEENS1_30default_config_static_selectorELNS0_4arch9wavefront6targetE1EEEvT1_,"axG",@progbits,_ZN7rocprim17ROCPRIM_400000_NS6detail17trampoline_kernelINS0_14default_configENS1_35adjacent_difference_config_selectorILb1ElEEZNS1_24adjacent_difference_implIS3_Lb1ELb0EPlS7_ZN2at6native12_GLOBAL__N_124unique_dim_cuda_templateIfEESt5tupleIJNS8_6TensorESD_SD_EERKSD_lbbbEUlllE1_EE10hipError_tPvRmT2_T3_mT4_P12ihipStream_tbEUlT_E_NS1_11comp_targetILNS1_3genE3ELNS1_11target_archE908ELNS1_3gpuE7ELNS1_3repE0EEENS1_30default_config_static_selectorELNS0_4arch9wavefront6targetE1EEEvT1_,comdat
.Lfunc_end925:
	.size	_ZN7rocprim17ROCPRIM_400000_NS6detail17trampoline_kernelINS0_14default_configENS1_35adjacent_difference_config_selectorILb1ElEEZNS1_24adjacent_difference_implIS3_Lb1ELb0EPlS7_ZN2at6native12_GLOBAL__N_124unique_dim_cuda_templateIfEESt5tupleIJNS8_6TensorESD_SD_EERKSD_lbbbEUlllE1_EE10hipError_tPvRmT2_T3_mT4_P12ihipStream_tbEUlT_E_NS1_11comp_targetILNS1_3genE3ELNS1_11target_archE908ELNS1_3gpuE7ELNS1_3repE0EEENS1_30default_config_static_selectorELNS0_4arch9wavefront6targetE1EEEvT1_, .Lfunc_end925-_ZN7rocprim17ROCPRIM_400000_NS6detail17trampoline_kernelINS0_14default_configENS1_35adjacent_difference_config_selectorILb1ElEEZNS1_24adjacent_difference_implIS3_Lb1ELb0EPlS7_ZN2at6native12_GLOBAL__N_124unique_dim_cuda_templateIfEESt5tupleIJNS8_6TensorESD_SD_EERKSD_lbbbEUlllE1_EE10hipError_tPvRmT2_T3_mT4_P12ihipStream_tbEUlT_E_NS1_11comp_targetILNS1_3genE3ELNS1_11target_archE908ELNS1_3gpuE7ELNS1_3repE0EEENS1_30default_config_static_selectorELNS0_4arch9wavefront6targetE1EEEvT1_
                                        ; -- End function
	.section	.AMDGPU.csdata,"",@progbits
; Kernel info:
; codeLenInByte = 0
; NumSgprs: 4
; NumVgprs: 0
; NumAgprs: 0
; TotalNumVgprs: 0
; ScratchSize: 0
; MemoryBound: 0
; FloatMode: 240
; IeeeMode: 1
; LDSByteSize: 0 bytes/workgroup (compile time only)
; SGPRBlocks: 0
; VGPRBlocks: 0
; NumSGPRsForWavesPerEU: 4
; NumVGPRsForWavesPerEU: 1
; AccumOffset: 4
; Occupancy: 8
; WaveLimiterHint : 0
; COMPUTE_PGM_RSRC2:SCRATCH_EN: 0
; COMPUTE_PGM_RSRC2:USER_SGPR: 6
; COMPUTE_PGM_RSRC2:TRAP_HANDLER: 0
; COMPUTE_PGM_RSRC2:TGID_X_EN: 1
; COMPUTE_PGM_RSRC2:TGID_Y_EN: 0
; COMPUTE_PGM_RSRC2:TGID_Z_EN: 0
; COMPUTE_PGM_RSRC2:TIDIG_COMP_CNT: 0
; COMPUTE_PGM_RSRC3_GFX90A:ACCUM_OFFSET: 0
; COMPUTE_PGM_RSRC3_GFX90A:TG_SPLIT: 0
	.section	.text._ZN7rocprim17ROCPRIM_400000_NS6detail17trampoline_kernelINS0_14default_configENS1_35adjacent_difference_config_selectorILb1ElEEZNS1_24adjacent_difference_implIS3_Lb1ELb0EPlS7_ZN2at6native12_GLOBAL__N_124unique_dim_cuda_templateIfEESt5tupleIJNS8_6TensorESD_SD_EERKSD_lbbbEUlllE1_EE10hipError_tPvRmT2_T3_mT4_P12ihipStream_tbEUlT_E_NS1_11comp_targetILNS1_3genE2ELNS1_11target_archE906ELNS1_3gpuE6ELNS1_3repE0EEENS1_30default_config_static_selectorELNS0_4arch9wavefront6targetE1EEEvT1_,"axG",@progbits,_ZN7rocprim17ROCPRIM_400000_NS6detail17trampoline_kernelINS0_14default_configENS1_35adjacent_difference_config_selectorILb1ElEEZNS1_24adjacent_difference_implIS3_Lb1ELb0EPlS7_ZN2at6native12_GLOBAL__N_124unique_dim_cuda_templateIfEESt5tupleIJNS8_6TensorESD_SD_EERKSD_lbbbEUlllE1_EE10hipError_tPvRmT2_T3_mT4_P12ihipStream_tbEUlT_E_NS1_11comp_targetILNS1_3genE2ELNS1_11target_archE906ELNS1_3gpuE6ELNS1_3repE0EEENS1_30default_config_static_selectorELNS0_4arch9wavefront6targetE1EEEvT1_,comdat
	.globl	_ZN7rocprim17ROCPRIM_400000_NS6detail17trampoline_kernelINS0_14default_configENS1_35adjacent_difference_config_selectorILb1ElEEZNS1_24adjacent_difference_implIS3_Lb1ELb0EPlS7_ZN2at6native12_GLOBAL__N_124unique_dim_cuda_templateIfEESt5tupleIJNS8_6TensorESD_SD_EERKSD_lbbbEUlllE1_EE10hipError_tPvRmT2_T3_mT4_P12ihipStream_tbEUlT_E_NS1_11comp_targetILNS1_3genE2ELNS1_11target_archE906ELNS1_3gpuE6ELNS1_3repE0EEENS1_30default_config_static_selectorELNS0_4arch9wavefront6targetE1EEEvT1_ ; -- Begin function _ZN7rocprim17ROCPRIM_400000_NS6detail17trampoline_kernelINS0_14default_configENS1_35adjacent_difference_config_selectorILb1ElEEZNS1_24adjacent_difference_implIS3_Lb1ELb0EPlS7_ZN2at6native12_GLOBAL__N_124unique_dim_cuda_templateIfEESt5tupleIJNS8_6TensorESD_SD_EERKSD_lbbbEUlllE1_EE10hipError_tPvRmT2_T3_mT4_P12ihipStream_tbEUlT_E_NS1_11comp_targetILNS1_3genE2ELNS1_11target_archE906ELNS1_3gpuE6ELNS1_3repE0EEENS1_30default_config_static_selectorELNS0_4arch9wavefront6targetE1EEEvT1_
	.p2align	8
	.type	_ZN7rocprim17ROCPRIM_400000_NS6detail17trampoline_kernelINS0_14default_configENS1_35adjacent_difference_config_selectorILb1ElEEZNS1_24adjacent_difference_implIS3_Lb1ELb0EPlS7_ZN2at6native12_GLOBAL__N_124unique_dim_cuda_templateIfEESt5tupleIJNS8_6TensorESD_SD_EERKSD_lbbbEUlllE1_EE10hipError_tPvRmT2_T3_mT4_P12ihipStream_tbEUlT_E_NS1_11comp_targetILNS1_3genE2ELNS1_11target_archE906ELNS1_3gpuE6ELNS1_3repE0EEENS1_30default_config_static_selectorELNS0_4arch9wavefront6targetE1EEEvT1_,@function
_ZN7rocprim17ROCPRIM_400000_NS6detail17trampoline_kernelINS0_14default_configENS1_35adjacent_difference_config_selectorILb1ElEEZNS1_24adjacent_difference_implIS3_Lb1ELb0EPlS7_ZN2at6native12_GLOBAL__N_124unique_dim_cuda_templateIfEESt5tupleIJNS8_6TensorESD_SD_EERKSD_lbbbEUlllE1_EE10hipError_tPvRmT2_T3_mT4_P12ihipStream_tbEUlT_E_NS1_11comp_targetILNS1_3genE2ELNS1_11target_archE906ELNS1_3gpuE6ELNS1_3repE0EEENS1_30default_config_static_selectorELNS0_4arch9wavefront6targetE1EEEvT1_: ; @_ZN7rocprim17ROCPRIM_400000_NS6detail17trampoline_kernelINS0_14default_configENS1_35adjacent_difference_config_selectorILb1ElEEZNS1_24adjacent_difference_implIS3_Lb1ELb0EPlS7_ZN2at6native12_GLOBAL__N_124unique_dim_cuda_templateIfEESt5tupleIJNS8_6TensorESD_SD_EERKSD_lbbbEUlllE1_EE10hipError_tPvRmT2_T3_mT4_P12ihipStream_tbEUlT_E_NS1_11comp_targetILNS1_3genE2ELNS1_11target_archE906ELNS1_3gpuE6ELNS1_3repE0EEENS1_30default_config_static_selectorELNS0_4arch9wavefront6targetE1EEEvT1_
; %bb.0:
	.section	.rodata,"a",@progbits
	.p2align	6, 0x0
	.amdhsa_kernel _ZN7rocprim17ROCPRIM_400000_NS6detail17trampoline_kernelINS0_14default_configENS1_35adjacent_difference_config_selectorILb1ElEEZNS1_24adjacent_difference_implIS3_Lb1ELb0EPlS7_ZN2at6native12_GLOBAL__N_124unique_dim_cuda_templateIfEESt5tupleIJNS8_6TensorESD_SD_EERKSD_lbbbEUlllE1_EE10hipError_tPvRmT2_T3_mT4_P12ihipStream_tbEUlT_E_NS1_11comp_targetILNS1_3genE2ELNS1_11target_archE906ELNS1_3gpuE6ELNS1_3repE0EEENS1_30default_config_static_selectorELNS0_4arch9wavefront6targetE1EEEvT1_
		.amdhsa_group_segment_fixed_size 0
		.amdhsa_private_segment_fixed_size 0
		.amdhsa_kernarg_size 64
		.amdhsa_user_sgpr_count 6
		.amdhsa_user_sgpr_private_segment_buffer 1
		.amdhsa_user_sgpr_dispatch_ptr 0
		.amdhsa_user_sgpr_queue_ptr 0
		.amdhsa_user_sgpr_kernarg_segment_ptr 1
		.amdhsa_user_sgpr_dispatch_id 0
		.amdhsa_user_sgpr_flat_scratch_init 0
		.amdhsa_user_sgpr_kernarg_preload_length 0
		.amdhsa_user_sgpr_kernarg_preload_offset 0
		.amdhsa_user_sgpr_private_segment_size 0
		.amdhsa_uses_dynamic_stack 0
		.amdhsa_system_sgpr_private_segment_wavefront_offset 0
		.amdhsa_system_sgpr_workgroup_id_x 1
		.amdhsa_system_sgpr_workgroup_id_y 0
		.amdhsa_system_sgpr_workgroup_id_z 0
		.amdhsa_system_sgpr_workgroup_info 0
		.amdhsa_system_vgpr_workitem_id 0
		.amdhsa_next_free_vgpr 1
		.amdhsa_next_free_sgpr 0
		.amdhsa_accum_offset 4
		.amdhsa_reserve_vcc 0
		.amdhsa_reserve_flat_scratch 0
		.amdhsa_float_round_mode_32 0
		.amdhsa_float_round_mode_16_64 0
		.amdhsa_float_denorm_mode_32 3
		.amdhsa_float_denorm_mode_16_64 3
		.amdhsa_dx10_clamp 1
		.amdhsa_ieee_mode 1
		.amdhsa_fp16_overflow 0
		.amdhsa_tg_split 0
		.amdhsa_exception_fp_ieee_invalid_op 0
		.amdhsa_exception_fp_denorm_src 0
		.amdhsa_exception_fp_ieee_div_zero 0
		.amdhsa_exception_fp_ieee_overflow 0
		.amdhsa_exception_fp_ieee_underflow 0
		.amdhsa_exception_fp_ieee_inexact 0
		.amdhsa_exception_int_div_zero 0
	.end_amdhsa_kernel
	.section	.text._ZN7rocprim17ROCPRIM_400000_NS6detail17trampoline_kernelINS0_14default_configENS1_35adjacent_difference_config_selectorILb1ElEEZNS1_24adjacent_difference_implIS3_Lb1ELb0EPlS7_ZN2at6native12_GLOBAL__N_124unique_dim_cuda_templateIfEESt5tupleIJNS8_6TensorESD_SD_EERKSD_lbbbEUlllE1_EE10hipError_tPvRmT2_T3_mT4_P12ihipStream_tbEUlT_E_NS1_11comp_targetILNS1_3genE2ELNS1_11target_archE906ELNS1_3gpuE6ELNS1_3repE0EEENS1_30default_config_static_selectorELNS0_4arch9wavefront6targetE1EEEvT1_,"axG",@progbits,_ZN7rocprim17ROCPRIM_400000_NS6detail17trampoline_kernelINS0_14default_configENS1_35adjacent_difference_config_selectorILb1ElEEZNS1_24adjacent_difference_implIS3_Lb1ELb0EPlS7_ZN2at6native12_GLOBAL__N_124unique_dim_cuda_templateIfEESt5tupleIJNS8_6TensorESD_SD_EERKSD_lbbbEUlllE1_EE10hipError_tPvRmT2_T3_mT4_P12ihipStream_tbEUlT_E_NS1_11comp_targetILNS1_3genE2ELNS1_11target_archE906ELNS1_3gpuE6ELNS1_3repE0EEENS1_30default_config_static_selectorELNS0_4arch9wavefront6targetE1EEEvT1_,comdat
.Lfunc_end926:
	.size	_ZN7rocprim17ROCPRIM_400000_NS6detail17trampoline_kernelINS0_14default_configENS1_35adjacent_difference_config_selectorILb1ElEEZNS1_24adjacent_difference_implIS3_Lb1ELb0EPlS7_ZN2at6native12_GLOBAL__N_124unique_dim_cuda_templateIfEESt5tupleIJNS8_6TensorESD_SD_EERKSD_lbbbEUlllE1_EE10hipError_tPvRmT2_T3_mT4_P12ihipStream_tbEUlT_E_NS1_11comp_targetILNS1_3genE2ELNS1_11target_archE906ELNS1_3gpuE6ELNS1_3repE0EEENS1_30default_config_static_selectorELNS0_4arch9wavefront6targetE1EEEvT1_, .Lfunc_end926-_ZN7rocprim17ROCPRIM_400000_NS6detail17trampoline_kernelINS0_14default_configENS1_35adjacent_difference_config_selectorILb1ElEEZNS1_24adjacent_difference_implIS3_Lb1ELb0EPlS7_ZN2at6native12_GLOBAL__N_124unique_dim_cuda_templateIfEESt5tupleIJNS8_6TensorESD_SD_EERKSD_lbbbEUlllE1_EE10hipError_tPvRmT2_T3_mT4_P12ihipStream_tbEUlT_E_NS1_11comp_targetILNS1_3genE2ELNS1_11target_archE906ELNS1_3gpuE6ELNS1_3repE0EEENS1_30default_config_static_selectorELNS0_4arch9wavefront6targetE1EEEvT1_
                                        ; -- End function
	.section	.AMDGPU.csdata,"",@progbits
; Kernel info:
; codeLenInByte = 0
; NumSgprs: 4
; NumVgprs: 0
; NumAgprs: 0
; TotalNumVgprs: 0
; ScratchSize: 0
; MemoryBound: 0
; FloatMode: 240
; IeeeMode: 1
; LDSByteSize: 0 bytes/workgroup (compile time only)
; SGPRBlocks: 0
; VGPRBlocks: 0
; NumSGPRsForWavesPerEU: 4
; NumVGPRsForWavesPerEU: 1
; AccumOffset: 4
; Occupancy: 8
; WaveLimiterHint : 0
; COMPUTE_PGM_RSRC2:SCRATCH_EN: 0
; COMPUTE_PGM_RSRC2:USER_SGPR: 6
; COMPUTE_PGM_RSRC2:TRAP_HANDLER: 0
; COMPUTE_PGM_RSRC2:TGID_X_EN: 1
; COMPUTE_PGM_RSRC2:TGID_Y_EN: 0
; COMPUTE_PGM_RSRC2:TGID_Z_EN: 0
; COMPUTE_PGM_RSRC2:TIDIG_COMP_CNT: 0
; COMPUTE_PGM_RSRC3_GFX90A:ACCUM_OFFSET: 0
; COMPUTE_PGM_RSRC3_GFX90A:TG_SPLIT: 0
	.section	.text._ZN7rocprim17ROCPRIM_400000_NS6detail17trampoline_kernelINS0_14default_configENS1_35adjacent_difference_config_selectorILb1ElEEZNS1_24adjacent_difference_implIS3_Lb1ELb0EPlS7_ZN2at6native12_GLOBAL__N_124unique_dim_cuda_templateIfEESt5tupleIJNS8_6TensorESD_SD_EERKSD_lbbbEUlllE1_EE10hipError_tPvRmT2_T3_mT4_P12ihipStream_tbEUlT_E_NS1_11comp_targetILNS1_3genE9ELNS1_11target_archE1100ELNS1_3gpuE3ELNS1_3repE0EEENS1_30default_config_static_selectorELNS0_4arch9wavefront6targetE1EEEvT1_,"axG",@progbits,_ZN7rocprim17ROCPRIM_400000_NS6detail17trampoline_kernelINS0_14default_configENS1_35adjacent_difference_config_selectorILb1ElEEZNS1_24adjacent_difference_implIS3_Lb1ELb0EPlS7_ZN2at6native12_GLOBAL__N_124unique_dim_cuda_templateIfEESt5tupleIJNS8_6TensorESD_SD_EERKSD_lbbbEUlllE1_EE10hipError_tPvRmT2_T3_mT4_P12ihipStream_tbEUlT_E_NS1_11comp_targetILNS1_3genE9ELNS1_11target_archE1100ELNS1_3gpuE3ELNS1_3repE0EEENS1_30default_config_static_selectorELNS0_4arch9wavefront6targetE1EEEvT1_,comdat
	.globl	_ZN7rocprim17ROCPRIM_400000_NS6detail17trampoline_kernelINS0_14default_configENS1_35adjacent_difference_config_selectorILb1ElEEZNS1_24adjacent_difference_implIS3_Lb1ELb0EPlS7_ZN2at6native12_GLOBAL__N_124unique_dim_cuda_templateIfEESt5tupleIJNS8_6TensorESD_SD_EERKSD_lbbbEUlllE1_EE10hipError_tPvRmT2_T3_mT4_P12ihipStream_tbEUlT_E_NS1_11comp_targetILNS1_3genE9ELNS1_11target_archE1100ELNS1_3gpuE3ELNS1_3repE0EEENS1_30default_config_static_selectorELNS0_4arch9wavefront6targetE1EEEvT1_ ; -- Begin function _ZN7rocprim17ROCPRIM_400000_NS6detail17trampoline_kernelINS0_14default_configENS1_35adjacent_difference_config_selectorILb1ElEEZNS1_24adjacent_difference_implIS3_Lb1ELb0EPlS7_ZN2at6native12_GLOBAL__N_124unique_dim_cuda_templateIfEESt5tupleIJNS8_6TensorESD_SD_EERKSD_lbbbEUlllE1_EE10hipError_tPvRmT2_T3_mT4_P12ihipStream_tbEUlT_E_NS1_11comp_targetILNS1_3genE9ELNS1_11target_archE1100ELNS1_3gpuE3ELNS1_3repE0EEENS1_30default_config_static_selectorELNS0_4arch9wavefront6targetE1EEEvT1_
	.p2align	8
	.type	_ZN7rocprim17ROCPRIM_400000_NS6detail17trampoline_kernelINS0_14default_configENS1_35adjacent_difference_config_selectorILb1ElEEZNS1_24adjacent_difference_implIS3_Lb1ELb0EPlS7_ZN2at6native12_GLOBAL__N_124unique_dim_cuda_templateIfEESt5tupleIJNS8_6TensorESD_SD_EERKSD_lbbbEUlllE1_EE10hipError_tPvRmT2_T3_mT4_P12ihipStream_tbEUlT_E_NS1_11comp_targetILNS1_3genE9ELNS1_11target_archE1100ELNS1_3gpuE3ELNS1_3repE0EEENS1_30default_config_static_selectorELNS0_4arch9wavefront6targetE1EEEvT1_,@function
_ZN7rocprim17ROCPRIM_400000_NS6detail17trampoline_kernelINS0_14default_configENS1_35adjacent_difference_config_selectorILb1ElEEZNS1_24adjacent_difference_implIS3_Lb1ELb0EPlS7_ZN2at6native12_GLOBAL__N_124unique_dim_cuda_templateIfEESt5tupleIJNS8_6TensorESD_SD_EERKSD_lbbbEUlllE1_EE10hipError_tPvRmT2_T3_mT4_P12ihipStream_tbEUlT_E_NS1_11comp_targetILNS1_3genE9ELNS1_11target_archE1100ELNS1_3gpuE3ELNS1_3repE0EEENS1_30default_config_static_selectorELNS0_4arch9wavefront6targetE1EEEvT1_: ; @_ZN7rocprim17ROCPRIM_400000_NS6detail17trampoline_kernelINS0_14default_configENS1_35adjacent_difference_config_selectorILb1ElEEZNS1_24adjacent_difference_implIS3_Lb1ELb0EPlS7_ZN2at6native12_GLOBAL__N_124unique_dim_cuda_templateIfEESt5tupleIJNS8_6TensorESD_SD_EERKSD_lbbbEUlllE1_EE10hipError_tPvRmT2_T3_mT4_P12ihipStream_tbEUlT_E_NS1_11comp_targetILNS1_3genE9ELNS1_11target_archE1100ELNS1_3gpuE3ELNS1_3repE0EEENS1_30default_config_static_selectorELNS0_4arch9wavefront6targetE1EEEvT1_
; %bb.0:
	.section	.rodata,"a",@progbits
	.p2align	6, 0x0
	.amdhsa_kernel _ZN7rocprim17ROCPRIM_400000_NS6detail17trampoline_kernelINS0_14default_configENS1_35adjacent_difference_config_selectorILb1ElEEZNS1_24adjacent_difference_implIS3_Lb1ELb0EPlS7_ZN2at6native12_GLOBAL__N_124unique_dim_cuda_templateIfEESt5tupleIJNS8_6TensorESD_SD_EERKSD_lbbbEUlllE1_EE10hipError_tPvRmT2_T3_mT4_P12ihipStream_tbEUlT_E_NS1_11comp_targetILNS1_3genE9ELNS1_11target_archE1100ELNS1_3gpuE3ELNS1_3repE0EEENS1_30default_config_static_selectorELNS0_4arch9wavefront6targetE1EEEvT1_
		.amdhsa_group_segment_fixed_size 0
		.amdhsa_private_segment_fixed_size 0
		.amdhsa_kernarg_size 64
		.amdhsa_user_sgpr_count 6
		.amdhsa_user_sgpr_private_segment_buffer 1
		.amdhsa_user_sgpr_dispatch_ptr 0
		.amdhsa_user_sgpr_queue_ptr 0
		.amdhsa_user_sgpr_kernarg_segment_ptr 1
		.amdhsa_user_sgpr_dispatch_id 0
		.amdhsa_user_sgpr_flat_scratch_init 0
		.amdhsa_user_sgpr_kernarg_preload_length 0
		.amdhsa_user_sgpr_kernarg_preload_offset 0
		.amdhsa_user_sgpr_private_segment_size 0
		.amdhsa_uses_dynamic_stack 0
		.amdhsa_system_sgpr_private_segment_wavefront_offset 0
		.amdhsa_system_sgpr_workgroup_id_x 1
		.amdhsa_system_sgpr_workgroup_id_y 0
		.amdhsa_system_sgpr_workgroup_id_z 0
		.amdhsa_system_sgpr_workgroup_info 0
		.amdhsa_system_vgpr_workitem_id 0
		.amdhsa_next_free_vgpr 1
		.amdhsa_next_free_sgpr 0
		.amdhsa_accum_offset 4
		.amdhsa_reserve_vcc 0
		.amdhsa_reserve_flat_scratch 0
		.amdhsa_float_round_mode_32 0
		.amdhsa_float_round_mode_16_64 0
		.amdhsa_float_denorm_mode_32 3
		.amdhsa_float_denorm_mode_16_64 3
		.amdhsa_dx10_clamp 1
		.amdhsa_ieee_mode 1
		.amdhsa_fp16_overflow 0
		.amdhsa_tg_split 0
		.amdhsa_exception_fp_ieee_invalid_op 0
		.amdhsa_exception_fp_denorm_src 0
		.amdhsa_exception_fp_ieee_div_zero 0
		.amdhsa_exception_fp_ieee_overflow 0
		.amdhsa_exception_fp_ieee_underflow 0
		.amdhsa_exception_fp_ieee_inexact 0
		.amdhsa_exception_int_div_zero 0
	.end_amdhsa_kernel
	.section	.text._ZN7rocprim17ROCPRIM_400000_NS6detail17trampoline_kernelINS0_14default_configENS1_35adjacent_difference_config_selectorILb1ElEEZNS1_24adjacent_difference_implIS3_Lb1ELb0EPlS7_ZN2at6native12_GLOBAL__N_124unique_dim_cuda_templateIfEESt5tupleIJNS8_6TensorESD_SD_EERKSD_lbbbEUlllE1_EE10hipError_tPvRmT2_T3_mT4_P12ihipStream_tbEUlT_E_NS1_11comp_targetILNS1_3genE9ELNS1_11target_archE1100ELNS1_3gpuE3ELNS1_3repE0EEENS1_30default_config_static_selectorELNS0_4arch9wavefront6targetE1EEEvT1_,"axG",@progbits,_ZN7rocprim17ROCPRIM_400000_NS6detail17trampoline_kernelINS0_14default_configENS1_35adjacent_difference_config_selectorILb1ElEEZNS1_24adjacent_difference_implIS3_Lb1ELb0EPlS7_ZN2at6native12_GLOBAL__N_124unique_dim_cuda_templateIfEESt5tupleIJNS8_6TensorESD_SD_EERKSD_lbbbEUlllE1_EE10hipError_tPvRmT2_T3_mT4_P12ihipStream_tbEUlT_E_NS1_11comp_targetILNS1_3genE9ELNS1_11target_archE1100ELNS1_3gpuE3ELNS1_3repE0EEENS1_30default_config_static_selectorELNS0_4arch9wavefront6targetE1EEEvT1_,comdat
.Lfunc_end927:
	.size	_ZN7rocprim17ROCPRIM_400000_NS6detail17trampoline_kernelINS0_14default_configENS1_35adjacent_difference_config_selectorILb1ElEEZNS1_24adjacent_difference_implIS3_Lb1ELb0EPlS7_ZN2at6native12_GLOBAL__N_124unique_dim_cuda_templateIfEESt5tupleIJNS8_6TensorESD_SD_EERKSD_lbbbEUlllE1_EE10hipError_tPvRmT2_T3_mT4_P12ihipStream_tbEUlT_E_NS1_11comp_targetILNS1_3genE9ELNS1_11target_archE1100ELNS1_3gpuE3ELNS1_3repE0EEENS1_30default_config_static_selectorELNS0_4arch9wavefront6targetE1EEEvT1_, .Lfunc_end927-_ZN7rocprim17ROCPRIM_400000_NS6detail17trampoline_kernelINS0_14default_configENS1_35adjacent_difference_config_selectorILb1ElEEZNS1_24adjacent_difference_implIS3_Lb1ELb0EPlS7_ZN2at6native12_GLOBAL__N_124unique_dim_cuda_templateIfEESt5tupleIJNS8_6TensorESD_SD_EERKSD_lbbbEUlllE1_EE10hipError_tPvRmT2_T3_mT4_P12ihipStream_tbEUlT_E_NS1_11comp_targetILNS1_3genE9ELNS1_11target_archE1100ELNS1_3gpuE3ELNS1_3repE0EEENS1_30default_config_static_selectorELNS0_4arch9wavefront6targetE1EEEvT1_
                                        ; -- End function
	.section	.AMDGPU.csdata,"",@progbits
; Kernel info:
; codeLenInByte = 0
; NumSgprs: 4
; NumVgprs: 0
; NumAgprs: 0
; TotalNumVgprs: 0
; ScratchSize: 0
; MemoryBound: 0
; FloatMode: 240
; IeeeMode: 1
; LDSByteSize: 0 bytes/workgroup (compile time only)
; SGPRBlocks: 0
; VGPRBlocks: 0
; NumSGPRsForWavesPerEU: 4
; NumVGPRsForWavesPerEU: 1
; AccumOffset: 4
; Occupancy: 8
; WaveLimiterHint : 0
; COMPUTE_PGM_RSRC2:SCRATCH_EN: 0
; COMPUTE_PGM_RSRC2:USER_SGPR: 6
; COMPUTE_PGM_RSRC2:TRAP_HANDLER: 0
; COMPUTE_PGM_RSRC2:TGID_X_EN: 1
; COMPUTE_PGM_RSRC2:TGID_Y_EN: 0
; COMPUTE_PGM_RSRC2:TGID_Z_EN: 0
; COMPUTE_PGM_RSRC2:TIDIG_COMP_CNT: 0
; COMPUTE_PGM_RSRC3_GFX90A:ACCUM_OFFSET: 0
; COMPUTE_PGM_RSRC3_GFX90A:TG_SPLIT: 0
	.section	.text._ZN7rocprim17ROCPRIM_400000_NS6detail17trampoline_kernelINS0_14default_configENS1_35adjacent_difference_config_selectorILb1ElEEZNS1_24adjacent_difference_implIS3_Lb1ELb0EPlS7_ZN2at6native12_GLOBAL__N_124unique_dim_cuda_templateIfEESt5tupleIJNS8_6TensorESD_SD_EERKSD_lbbbEUlllE1_EE10hipError_tPvRmT2_T3_mT4_P12ihipStream_tbEUlT_E_NS1_11comp_targetILNS1_3genE8ELNS1_11target_archE1030ELNS1_3gpuE2ELNS1_3repE0EEENS1_30default_config_static_selectorELNS0_4arch9wavefront6targetE1EEEvT1_,"axG",@progbits,_ZN7rocprim17ROCPRIM_400000_NS6detail17trampoline_kernelINS0_14default_configENS1_35adjacent_difference_config_selectorILb1ElEEZNS1_24adjacent_difference_implIS3_Lb1ELb0EPlS7_ZN2at6native12_GLOBAL__N_124unique_dim_cuda_templateIfEESt5tupleIJNS8_6TensorESD_SD_EERKSD_lbbbEUlllE1_EE10hipError_tPvRmT2_T3_mT4_P12ihipStream_tbEUlT_E_NS1_11comp_targetILNS1_3genE8ELNS1_11target_archE1030ELNS1_3gpuE2ELNS1_3repE0EEENS1_30default_config_static_selectorELNS0_4arch9wavefront6targetE1EEEvT1_,comdat
	.globl	_ZN7rocprim17ROCPRIM_400000_NS6detail17trampoline_kernelINS0_14default_configENS1_35adjacent_difference_config_selectorILb1ElEEZNS1_24adjacent_difference_implIS3_Lb1ELb0EPlS7_ZN2at6native12_GLOBAL__N_124unique_dim_cuda_templateIfEESt5tupleIJNS8_6TensorESD_SD_EERKSD_lbbbEUlllE1_EE10hipError_tPvRmT2_T3_mT4_P12ihipStream_tbEUlT_E_NS1_11comp_targetILNS1_3genE8ELNS1_11target_archE1030ELNS1_3gpuE2ELNS1_3repE0EEENS1_30default_config_static_selectorELNS0_4arch9wavefront6targetE1EEEvT1_ ; -- Begin function _ZN7rocprim17ROCPRIM_400000_NS6detail17trampoline_kernelINS0_14default_configENS1_35adjacent_difference_config_selectorILb1ElEEZNS1_24adjacent_difference_implIS3_Lb1ELb0EPlS7_ZN2at6native12_GLOBAL__N_124unique_dim_cuda_templateIfEESt5tupleIJNS8_6TensorESD_SD_EERKSD_lbbbEUlllE1_EE10hipError_tPvRmT2_T3_mT4_P12ihipStream_tbEUlT_E_NS1_11comp_targetILNS1_3genE8ELNS1_11target_archE1030ELNS1_3gpuE2ELNS1_3repE0EEENS1_30default_config_static_selectorELNS0_4arch9wavefront6targetE1EEEvT1_
	.p2align	8
	.type	_ZN7rocprim17ROCPRIM_400000_NS6detail17trampoline_kernelINS0_14default_configENS1_35adjacent_difference_config_selectorILb1ElEEZNS1_24adjacent_difference_implIS3_Lb1ELb0EPlS7_ZN2at6native12_GLOBAL__N_124unique_dim_cuda_templateIfEESt5tupleIJNS8_6TensorESD_SD_EERKSD_lbbbEUlllE1_EE10hipError_tPvRmT2_T3_mT4_P12ihipStream_tbEUlT_E_NS1_11comp_targetILNS1_3genE8ELNS1_11target_archE1030ELNS1_3gpuE2ELNS1_3repE0EEENS1_30default_config_static_selectorELNS0_4arch9wavefront6targetE1EEEvT1_,@function
_ZN7rocprim17ROCPRIM_400000_NS6detail17trampoline_kernelINS0_14default_configENS1_35adjacent_difference_config_selectorILb1ElEEZNS1_24adjacent_difference_implIS3_Lb1ELb0EPlS7_ZN2at6native12_GLOBAL__N_124unique_dim_cuda_templateIfEESt5tupleIJNS8_6TensorESD_SD_EERKSD_lbbbEUlllE1_EE10hipError_tPvRmT2_T3_mT4_P12ihipStream_tbEUlT_E_NS1_11comp_targetILNS1_3genE8ELNS1_11target_archE1030ELNS1_3gpuE2ELNS1_3repE0EEENS1_30default_config_static_selectorELNS0_4arch9wavefront6targetE1EEEvT1_: ; @_ZN7rocprim17ROCPRIM_400000_NS6detail17trampoline_kernelINS0_14default_configENS1_35adjacent_difference_config_selectorILb1ElEEZNS1_24adjacent_difference_implIS3_Lb1ELb0EPlS7_ZN2at6native12_GLOBAL__N_124unique_dim_cuda_templateIfEESt5tupleIJNS8_6TensorESD_SD_EERKSD_lbbbEUlllE1_EE10hipError_tPvRmT2_T3_mT4_P12ihipStream_tbEUlT_E_NS1_11comp_targetILNS1_3genE8ELNS1_11target_archE1030ELNS1_3gpuE2ELNS1_3repE0EEENS1_30default_config_static_selectorELNS0_4arch9wavefront6targetE1EEEvT1_
; %bb.0:
	.section	.rodata,"a",@progbits
	.p2align	6, 0x0
	.amdhsa_kernel _ZN7rocprim17ROCPRIM_400000_NS6detail17trampoline_kernelINS0_14default_configENS1_35adjacent_difference_config_selectorILb1ElEEZNS1_24adjacent_difference_implIS3_Lb1ELb0EPlS7_ZN2at6native12_GLOBAL__N_124unique_dim_cuda_templateIfEESt5tupleIJNS8_6TensorESD_SD_EERKSD_lbbbEUlllE1_EE10hipError_tPvRmT2_T3_mT4_P12ihipStream_tbEUlT_E_NS1_11comp_targetILNS1_3genE8ELNS1_11target_archE1030ELNS1_3gpuE2ELNS1_3repE0EEENS1_30default_config_static_selectorELNS0_4arch9wavefront6targetE1EEEvT1_
		.amdhsa_group_segment_fixed_size 0
		.amdhsa_private_segment_fixed_size 0
		.amdhsa_kernarg_size 64
		.amdhsa_user_sgpr_count 6
		.amdhsa_user_sgpr_private_segment_buffer 1
		.amdhsa_user_sgpr_dispatch_ptr 0
		.amdhsa_user_sgpr_queue_ptr 0
		.amdhsa_user_sgpr_kernarg_segment_ptr 1
		.amdhsa_user_sgpr_dispatch_id 0
		.amdhsa_user_sgpr_flat_scratch_init 0
		.amdhsa_user_sgpr_kernarg_preload_length 0
		.amdhsa_user_sgpr_kernarg_preload_offset 0
		.amdhsa_user_sgpr_private_segment_size 0
		.amdhsa_uses_dynamic_stack 0
		.amdhsa_system_sgpr_private_segment_wavefront_offset 0
		.amdhsa_system_sgpr_workgroup_id_x 1
		.amdhsa_system_sgpr_workgroup_id_y 0
		.amdhsa_system_sgpr_workgroup_id_z 0
		.amdhsa_system_sgpr_workgroup_info 0
		.amdhsa_system_vgpr_workitem_id 0
		.amdhsa_next_free_vgpr 1
		.amdhsa_next_free_sgpr 0
		.amdhsa_accum_offset 4
		.amdhsa_reserve_vcc 0
		.amdhsa_reserve_flat_scratch 0
		.amdhsa_float_round_mode_32 0
		.amdhsa_float_round_mode_16_64 0
		.amdhsa_float_denorm_mode_32 3
		.amdhsa_float_denorm_mode_16_64 3
		.amdhsa_dx10_clamp 1
		.amdhsa_ieee_mode 1
		.amdhsa_fp16_overflow 0
		.amdhsa_tg_split 0
		.amdhsa_exception_fp_ieee_invalid_op 0
		.amdhsa_exception_fp_denorm_src 0
		.amdhsa_exception_fp_ieee_div_zero 0
		.amdhsa_exception_fp_ieee_overflow 0
		.amdhsa_exception_fp_ieee_underflow 0
		.amdhsa_exception_fp_ieee_inexact 0
		.amdhsa_exception_int_div_zero 0
	.end_amdhsa_kernel
	.section	.text._ZN7rocprim17ROCPRIM_400000_NS6detail17trampoline_kernelINS0_14default_configENS1_35adjacent_difference_config_selectorILb1ElEEZNS1_24adjacent_difference_implIS3_Lb1ELb0EPlS7_ZN2at6native12_GLOBAL__N_124unique_dim_cuda_templateIfEESt5tupleIJNS8_6TensorESD_SD_EERKSD_lbbbEUlllE1_EE10hipError_tPvRmT2_T3_mT4_P12ihipStream_tbEUlT_E_NS1_11comp_targetILNS1_3genE8ELNS1_11target_archE1030ELNS1_3gpuE2ELNS1_3repE0EEENS1_30default_config_static_selectorELNS0_4arch9wavefront6targetE1EEEvT1_,"axG",@progbits,_ZN7rocprim17ROCPRIM_400000_NS6detail17trampoline_kernelINS0_14default_configENS1_35adjacent_difference_config_selectorILb1ElEEZNS1_24adjacent_difference_implIS3_Lb1ELb0EPlS7_ZN2at6native12_GLOBAL__N_124unique_dim_cuda_templateIfEESt5tupleIJNS8_6TensorESD_SD_EERKSD_lbbbEUlllE1_EE10hipError_tPvRmT2_T3_mT4_P12ihipStream_tbEUlT_E_NS1_11comp_targetILNS1_3genE8ELNS1_11target_archE1030ELNS1_3gpuE2ELNS1_3repE0EEENS1_30default_config_static_selectorELNS0_4arch9wavefront6targetE1EEEvT1_,comdat
.Lfunc_end928:
	.size	_ZN7rocprim17ROCPRIM_400000_NS6detail17trampoline_kernelINS0_14default_configENS1_35adjacent_difference_config_selectorILb1ElEEZNS1_24adjacent_difference_implIS3_Lb1ELb0EPlS7_ZN2at6native12_GLOBAL__N_124unique_dim_cuda_templateIfEESt5tupleIJNS8_6TensorESD_SD_EERKSD_lbbbEUlllE1_EE10hipError_tPvRmT2_T3_mT4_P12ihipStream_tbEUlT_E_NS1_11comp_targetILNS1_3genE8ELNS1_11target_archE1030ELNS1_3gpuE2ELNS1_3repE0EEENS1_30default_config_static_selectorELNS0_4arch9wavefront6targetE1EEEvT1_, .Lfunc_end928-_ZN7rocprim17ROCPRIM_400000_NS6detail17trampoline_kernelINS0_14default_configENS1_35adjacent_difference_config_selectorILb1ElEEZNS1_24adjacent_difference_implIS3_Lb1ELb0EPlS7_ZN2at6native12_GLOBAL__N_124unique_dim_cuda_templateIfEESt5tupleIJNS8_6TensorESD_SD_EERKSD_lbbbEUlllE1_EE10hipError_tPvRmT2_T3_mT4_P12ihipStream_tbEUlT_E_NS1_11comp_targetILNS1_3genE8ELNS1_11target_archE1030ELNS1_3gpuE2ELNS1_3repE0EEENS1_30default_config_static_selectorELNS0_4arch9wavefront6targetE1EEEvT1_
                                        ; -- End function
	.section	.AMDGPU.csdata,"",@progbits
; Kernel info:
; codeLenInByte = 0
; NumSgprs: 4
; NumVgprs: 0
; NumAgprs: 0
; TotalNumVgprs: 0
; ScratchSize: 0
; MemoryBound: 0
; FloatMode: 240
; IeeeMode: 1
; LDSByteSize: 0 bytes/workgroup (compile time only)
; SGPRBlocks: 0
; VGPRBlocks: 0
; NumSGPRsForWavesPerEU: 4
; NumVGPRsForWavesPerEU: 1
; AccumOffset: 4
; Occupancy: 8
; WaveLimiterHint : 0
; COMPUTE_PGM_RSRC2:SCRATCH_EN: 0
; COMPUTE_PGM_RSRC2:USER_SGPR: 6
; COMPUTE_PGM_RSRC2:TRAP_HANDLER: 0
; COMPUTE_PGM_RSRC2:TGID_X_EN: 1
; COMPUTE_PGM_RSRC2:TGID_Y_EN: 0
; COMPUTE_PGM_RSRC2:TGID_Z_EN: 0
; COMPUTE_PGM_RSRC2:TIDIG_COMP_CNT: 0
; COMPUTE_PGM_RSRC3_GFX90A:ACCUM_OFFSET: 0
; COMPUTE_PGM_RSRC3_GFX90A:TG_SPLIT: 0
	.section	.text._ZN7rocprim17ROCPRIM_400000_NS6detail17trampoline_kernelINS0_14default_configENS1_25partition_config_selectorILNS1_17partition_subalgoE8ElNS0_10empty_typeEbEEZZNS1_14partition_implILS5_8ELb0ES3_jPlPS6_PKS6_NS0_5tupleIJS9_S6_EEENSD_IJSA_SA_EEENS0_18inequality_wrapperIZN2at6native12_GLOBAL__N_124unique_dim_cuda_templateIfEESt5tupleIJNSH_6TensorESM_SM_EERKSM_lbbbEUlllE0_EEPmJS6_EEE10hipError_tPvRmT3_T4_T5_T6_T7_T9_mT8_P12ihipStream_tbDpT10_ENKUlT_T0_E_clISt17integral_constantIbLb0EES1C_EEDaS17_S18_EUlS17_E_NS1_11comp_targetILNS1_3genE0ELNS1_11target_archE4294967295ELNS1_3gpuE0ELNS1_3repE0EEENS1_30default_config_static_selectorELNS0_4arch9wavefront6targetE1EEEvT1_,"axG",@progbits,_ZN7rocprim17ROCPRIM_400000_NS6detail17trampoline_kernelINS0_14default_configENS1_25partition_config_selectorILNS1_17partition_subalgoE8ElNS0_10empty_typeEbEEZZNS1_14partition_implILS5_8ELb0ES3_jPlPS6_PKS6_NS0_5tupleIJS9_S6_EEENSD_IJSA_SA_EEENS0_18inequality_wrapperIZN2at6native12_GLOBAL__N_124unique_dim_cuda_templateIfEESt5tupleIJNSH_6TensorESM_SM_EERKSM_lbbbEUlllE0_EEPmJS6_EEE10hipError_tPvRmT3_T4_T5_T6_T7_T9_mT8_P12ihipStream_tbDpT10_ENKUlT_T0_E_clISt17integral_constantIbLb0EES1C_EEDaS17_S18_EUlS17_E_NS1_11comp_targetILNS1_3genE0ELNS1_11target_archE4294967295ELNS1_3gpuE0ELNS1_3repE0EEENS1_30default_config_static_selectorELNS0_4arch9wavefront6targetE1EEEvT1_,comdat
	.globl	_ZN7rocprim17ROCPRIM_400000_NS6detail17trampoline_kernelINS0_14default_configENS1_25partition_config_selectorILNS1_17partition_subalgoE8ElNS0_10empty_typeEbEEZZNS1_14partition_implILS5_8ELb0ES3_jPlPS6_PKS6_NS0_5tupleIJS9_S6_EEENSD_IJSA_SA_EEENS0_18inequality_wrapperIZN2at6native12_GLOBAL__N_124unique_dim_cuda_templateIfEESt5tupleIJNSH_6TensorESM_SM_EERKSM_lbbbEUlllE0_EEPmJS6_EEE10hipError_tPvRmT3_T4_T5_T6_T7_T9_mT8_P12ihipStream_tbDpT10_ENKUlT_T0_E_clISt17integral_constantIbLb0EES1C_EEDaS17_S18_EUlS17_E_NS1_11comp_targetILNS1_3genE0ELNS1_11target_archE4294967295ELNS1_3gpuE0ELNS1_3repE0EEENS1_30default_config_static_selectorELNS0_4arch9wavefront6targetE1EEEvT1_ ; -- Begin function _ZN7rocprim17ROCPRIM_400000_NS6detail17trampoline_kernelINS0_14default_configENS1_25partition_config_selectorILNS1_17partition_subalgoE8ElNS0_10empty_typeEbEEZZNS1_14partition_implILS5_8ELb0ES3_jPlPS6_PKS6_NS0_5tupleIJS9_S6_EEENSD_IJSA_SA_EEENS0_18inequality_wrapperIZN2at6native12_GLOBAL__N_124unique_dim_cuda_templateIfEESt5tupleIJNSH_6TensorESM_SM_EERKSM_lbbbEUlllE0_EEPmJS6_EEE10hipError_tPvRmT3_T4_T5_T6_T7_T9_mT8_P12ihipStream_tbDpT10_ENKUlT_T0_E_clISt17integral_constantIbLb0EES1C_EEDaS17_S18_EUlS17_E_NS1_11comp_targetILNS1_3genE0ELNS1_11target_archE4294967295ELNS1_3gpuE0ELNS1_3repE0EEENS1_30default_config_static_selectorELNS0_4arch9wavefront6targetE1EEEvT1_
	.p2align	8
	.type	_ZN7rocprim17ROCPRIM_400000_NS6detail17trampoline_kernelINS0_14default_configENS1_25partition_config_selectorILNS1_17partition_subalgoE8ElNS0_10empty_typeEbEEZZNS1_14partition_implILS5_8ELb0ES3_jPlPS6_PKS6_NS0_5tupleIJS9_S6_EEENSD_IJSA_SA_EEENS0_18inequality_wrapperIZN2at6native12_GLOBAL__N_124unique_dim_cuda_templateIfEESt5tupleIJNSH_6TensorESM_SM_EERKSM_lbbbEUlllE0_EEPmJS6_EEE10hipError_tPvRmT3_T4_T5_T6_T7_T9_mT8_P12ihipStream_tbDpT10_ENKUlT_T0_E_clISt17integral_constantIbLb0EES1C_EEDaS17_S18_EUlS17_E_NS1_11comp_targetILNS1_3genE0ELNS1_11target_archE4294967295ELNS1_3gpuE0ELNS1_3repE0EEENS1_30default_config_static_selectorELNS0_4arch9wavefront6targetE1EEEvT1_,@function
_ZN7rocprim17ROCPRIM_400000_NS6detail17trampoline_kernelINS0_14default_configENS1_25partition_config_selectorILNS1_17partition_subalgoE8ElNS0_10empty_typeEbEEZZNS1_14partition_implILS5_8ELb0ES3_jPlPS6_PKS6_NS0_5tupleIJS9_S6_EEENSD_IJSA_SA_EEENS0_18inequality_wrapperIZN2at6native12_GLOBAL__N_124unique_dim_cuda_templateIfEESt5tupleIJNSH_6TensorESM_SM_EERKSM_lbbbEUlllE0_EEPmJS6_EEE10hipError_tPvRmT3_T4_T5_T6_T7_T9_mT8_P12ihipStream_tbDpT10_ENKUlT_T0_E_clISt17integral_constantIbLb0EES1C_EEDaS17_S18_EUlS17_E_NS1_11comp_targetILNS1_3genE0ELNS1_11target_archE4294967295ELNS1_3gpuE0ELNS1_3repE0EEENS1_30default_config_static_selectorELNS0_4arch9wavefront6targetE1EEEvT1_: ; @_ZN7rocprim17ROCPRIM_400000_NS6detail17trampoline_kernelINS0_14default_configENS1_25partition_config_selectorILNS1_17partition_subalgoE8ElNS0_10empty_typeEbEEZZNS1_14partition_implILS5_8ELb0ES3_jPlPS6_PKS6_NS0_5tupleIJS9_S6_EEENSD_IJSA_SA_EEENS0_18inequality_wrapperIZN2at6native12_GLOBAL__N_124unique_dim_cuda_templateIfEESt5tupleIJNSH_6TensorESM_SM_EERKSM_lbbbEUlllE0_EEPmJS6_EEE10hipError_tPvRmT3_T4_T5_T6_T7_T9_mT8_P12ihipStream_tbDpT10_ENKUlT_T0_E_clISt17integral_constantIbLb0EES1C_EEDaS17_S18_EUlS17_E_NS1_11comp_targetILNS1_3genE0ELNS1_11target_archE4294967295ELNS1_3gpuE0ELNS1_3repE0EEENS1_30default_config_static_selectorELNS0_4arch9wavefront6targetE1EEEvT1_
; %bb.0:
	.section	.rodata,"a",@progbits
	.p2align	6, 0x0
	.amdhsa_kernel _ZN7rocprim17ROCPRIM_400000_NS6detail17trampoline_kernelINS0_14default_configENS1_25partition_config_selectorILNS1_17partition_subalgoE8ElNS0_10empty_typeEbEEZZNS1_14partition_implILS5_8ELb0ES3_jPlPS6_PKS6_NS0_5tupleIJS9_S6_EEENSD_IJSA_SA_EEENS0_18inequality_wrapperIZN2at6native12_GLOBAL__N_124unique_dim_cuda_templateIfEESt5tupleIJNSH_6TensorESM_SM_EERKSM_lbbbEUlllE0_EEPmJS6_EEE10hipError_tPvRmT3_T4_T5_T6_T7_T9_mT8_P12ihipStream_tbDpT10_ENKUlT_T0_E_clISt17integral_constantIbLb0EES1C_EEDaS17_S18_EUlS17_E_NS1_11comp_targetILNS1_3genE0ELNS1_11target_archE4294967295ELNS1_3gpuE0ELNS1_3repE0EEENS1_30default_config_static_selectorELNS0_4arch9wavefront6targetE1EEEvT1_
		.amdhsa_group_segment_fixed_size 0
		.amdhsa_private_segment_fixed_size 0
		.amdhsa_kernarg_size 120
		.amdhsa_user_sgpr_count 6
		.amdhsa_user_sgpr_private_segment_buffer 1
		.amdhsa_user_sgpr_dispatch_ptr 0
		.amdhsa_user_sgpr_queue_ptr 0
		.amdhsa_user_sgpr_kernarg_segment_ptr 1
		.amdhsa_user_sgpr_dispatch_id 0
		.amdhsa_user_sgpr_flat_scratch_init 0
		.amdhsa_user_sgpr_kernarg_preload_length 0
		.amdhsa_user_sgpr_kernarg_preload_offset 0
		.amdhsa_user_sgpr_private_segment_size 0
		.amdhsa_uses_dynamic_stack 0
		.amdhsa_system_sgpr_private_segment_wavefront_offset 0
		.amdhsa_system_sgpr_workgroup_id_x 1
		.amdhsa_system_sgpr_workgroup_id_y 0
		.amdhsa_system_sgpr_workgroup_id_z 0
		.amdhsa_system_sgpr_workgroup_info 0
		.amdhsa_system_vgpr_workitem_id 0
		.amdhsa_next_free_vgpr 1
		.amdhsa_next_free_sgpr 0
		.amdhsa_accum_offset 4
		.amdhsa_reserve_vcc 0
		.amdhsa_reserve_flat_scratch 0
		.amdhsa_float_round_mode_32 0
		.amdhsa_float_round_mode_16_64 0
		.amdhsa_float_denorm_mode_32 3
		.amdhsa_float_denorm_mode_16_64 3
		.amdhsa_dx10_clamp 1
		.amdhsa_ieee_mode 1
		.amdhsa_fp16_overflow 0
		.amdhsa_tg_split 0
		.amdhsa_exception_fp_ieee_invalid_op 0
		.amdhsa_exception_fp_denorm_src 0
		.amdhsa_exception_fp_ieee_div_zero 0
		.amdhsa_exception_fp_ieee_overflow 0
		.amdhsa_exception_fp_ieee_underflow 0
		.amdhsa_exception_fp_ieee_inexact 0
		.amdhsa_exception_int_div_zero 0
	.end_amdhsa_kernel
	.section	.text._ZN7rocprim17ROCPRIM_400000_NS6detail17trampoline_kernelINS0_14default_configENS1_25partition_config_selectorILNS1_17partition_subalgoE8ElNS0_10empty_typeEbEEZZNS1_14partition_implILS5_8ELb0ES3_jPlPS6_PKS6_NS0_5tupleIJS9_S6_EEENSD_IJSA_SA_EEENS0_18inequality_wrapperIZN2at6native12_GLOBAL__N_124unique_dim_cuda_templateIfEESt5tupleIJNSH_6TensorESM_SM_EERKSM_lbbbEUlllE0_EEPmJS6_EEE10hipError_tPvRmT3_T4_T5_T6_T7_T9_mT8_P12ihipStream_tbDpT10_ENKUlT_T0_E_clISt17integral_constantIbLb0EES1C_EEDaS17_S18_EUlS17_E_NS1_11comp_targetILNS1_3genE0ELNS1_11target_archE4294967295ELNS1_3gpuE0ELNS1_3repE0EEENS1_30default_config_static_selectorELNS0_4arch9wavefront6targetE1EEEvT1_,"axG",@progbits,_ZN7rocprim17ROCPRIM_400000_NS6detail17trampoline_kernelINS0_14default_configENS1_25partition_config_selectorILNS1_17partition_subalgoE8ElNS0_10empty_typeEbEEZZNS1_14partition_implILS5_8ELb0ES3_jPlPS6_PKS6_NS0_5tupleIJS9_S6_EEENSD_IJSA_SA_EEENS0_18inequality_wrapperIZN2at6native12_GLOBAL__N_124unique_dim_cuda_templateIfEESt5tupleIJNSH_6TensorESM_SM_EERKSM_lbbbEUlllE0_EEPmJS6_EEE10hipError_tPvRmT3_T4_T5_T6_T7_T9_mT8_P12ihipStream_tbDpT10_ENKUlT_T0_E_clISt17integral_constantIbLb0EES1C_EEDaS17_S18_EUlS17_E_NS1_11comp_targetILNS1_3genE0ELNS1_11target_archE4294967295ELNS1_3gpuE0ELNS1_3repE0EEENS1_30default_config_static_selectorELNS0_4arch9wavefront6targetE1EEEvT1_,comdat
.Lfunc_end929:
	.size	_ZN7rocprim17ROCPRIM_400000_NS6detail17trampoline_kernelINS0_14default_configENS1_25partition_config_selectorILNS1_17partition_subalgoE8ElNS0_10empty_typeEbEEZZNS1_14partition_implILS5_8ELb0ES3_jPlPS6_PKS6_NS0_5tupleIJS9_S6_EEENSD_IJSA_SA_EEENS0_18inequality_wrapperIZN2at6native12_GLOBAL__N_124unique_dim_cuda_templateIfEESt5tupleIJNSH_6TensorESM_SM_EERKSM_lbbbEUlllE0_EEPmJS6_EEE10hipError_tPvRmT3_T4_T5_T6_T7_T9_mT8_P12ihipStream_tbDpT10_ENKUlT_T0_E_clISt17integral_constantIbLb0EES1C_EEDaS17_S18_EUlS17_E_NS1_11comp_targetILNS1_3genE0ELNS1_11target_archE4294967295ELNS1_3gpuE0ELNS1_3repE0EEENS1_30default_config_static_selectorELNS0_4arch9wavefront6targetE1EEEvT1_, .Lfunc_end929-_ZN7rocprim17ROCPRIM_400000_NS6detail17trampoline_kernelINS0_14default_configENS1_25partition_config_selectorILNS1_17partition_subalgoE8ElNS0_10empty_typeEbEEZZNS1_14partition_implILS5_8ELb0ES3_jPlPS6_PKS6_NS0_5tupleIJS9_S6_EEENSD_IJSA_SA_EEENS0_18inequality_wrapperIZN2at6native12_GLOBAL__N_124unique_dim_cuda_templateIfEESt5tupleIJNSH_6TensorESM_SM_EERKSM_lbbbEUlllE0_EEPmJS6_EEE10hipError_tPvRmT3_T4_T5_T6_T7_T9_mT8_P12ihipStream_tbDpT10_ENKUlT_T0_E_clISt17integral_constantIbLb0EES1C_EEDaS17_S18_EUlS17_E_NS1_11comp_targetILNS1_3genE0ELNS1_11target_archE4294967295ELNS1_3gpuE0ELNS1_3repE0EEENS1_30default_config_static_selectorELNS0_4arch9wavefront6targetE1EEEvT1_
                                        ; -- End function
	.section	.AMDGPU.csdata,"",@progbits
; Kernel info:
; codeLenInByte = 0
; NumSgprs: 4
; NumVgprs: 0
; NumAgprs: 0
; TotalNumVgprs: 0
; ScratchSize: 0
; MemoryBound: 0
; FloatMode: 240
; IeeeMode: 1
; LDSByteSize: 0 bytes/workgroup (compile time only)
; SGPRBlocks: 0
; VGPRBlocks: 0
; NumSGPRsForWavesPerEU: 4
; NumVGPRsForWavesPerEU: 1
; AccumOffset: 4
; Occupancy: 8
; WaveLimiterHint : 0
; COMPUTE_PGM_RSRC2:SCRATCH_EN: 0
; COMPUTE_PGM_RSRC2:USER_SGPR: 6
; COMPUTE_PGM_RSRC2:TRAP_HANDLER: 0
; COMPUTE_PGM_RSRC2:TGID_X_EN: 1
; COMPUTE_PGM_RSRC2:TGID_Y_EN: 0
; COMPUTE_PGM_RSRC2:TGID_Z_EN: 0
; COMPUTE_PGM_RSRC2:TIDIG_COMP_CNT: 0
; COMPUTE_PGM_RSRC3_GFX90A:ACCUM_OFFSET: 0
; COMPUTE_PGM_RSRC3_GFX90A:TG_SPLIT: 0
	.section	.text._ZN7rocprim17ROCPRIM_400000_NS6detail17trampoline_kernelINS0_14default_configENS1_25partition_config_selectorILNS1_17partition_subalgoE8ElNS0_10empty_typeEbEEZZNS1_14partition_implILS5_8ELb0ES3_jPlPS6_PKS6_NS0_5tupleIJS9_S6_EEENSD_IJSA_SA_EEENS0_18inequality_wrapperIZN2at6native12_GLOBAL__N_124unique_dim_cuda_templateIfEESt5tupleIJNSH_6TensorESM_SM_EERKSM_lbbbEUlllE0_EEPmJS6_EEE10hipError_tPvRmT3_T4_T5_T6_T7_T9_mT8_P12ihipStream_tbDpT10_ENKUlT_T0_E_clISt17integral_constantIbLb0EES1C_EEDaS17_S18_EUlS17_E_NS1_11comp_targetILNS1_3genE5ELNS1_11target_archE942ELNS1_3gpuE9ELNS1_3repE0EEENS1_30default_config_static_selectorELNS0_4arch9wavefront6targetE1EEEvT1_,"axG",@progbits,_ZN7rocprim17ROCPRIM_400000_NS6detail17trampoline_kernelINS0_14default_configENS1_25partition_config_selectorILNS1_17partition_subalgoE8ElNS0_10empty_typeEbEEZZNS1_14partition_implILS5_8ELb0ES3_jPlPS6_PKS6_NS0_5tupleIJS9_S6_EEENSD_IJSA_SA_EEENS0_18inequality_wrapperIZN2at6native12_GLOBAL__N_124unique_dim_cuda_templateIfEESt5tupleIJNSH_6TensorESM_SM_EERKSM_lbbbEUlllE0_EEPmJS6_EEE10hipError_tPvRmT3_T4_T5_T6_T7_T9_mT8_P12ihipStream_tbDpT10_ENKUlT_T0_E_clISt17integral_constantIbLb0EES1C_EEDaS17_S18_EUlS17_E_NS1_11comp_targetILNS1_3genE5ELNS1_11target_archE942ELNS1_3gpuE9ELNS1_3repE0EEENS1_30default_config_static_selectorELNS0_4arch9wavefront6targetE1EEEvT1_,comdat
	.globl	_ZN7rocprim17ROCPRIM_400000_NS6detail17trampoline_kernelINS0_14default_configENS1_25partition_config_selectorILNS1_17partition_subalgoE8ElNS0_10empty_typeEbEEZZNS1_14partition_implILS5_8ELb0ES3_jPlPS6_PKS6_NS0_5tupleIJS9_S6_EEENSD_IJSA_SA_EEENS0_18inequality_wrapperIZN2at6native12_GLOBAL__N_124unique_dim_cuda_templateIfEESt5tupleIJNSH_6TensorESM_SM_EERKSM_lbbbEUlllE0_EEPmJS6_EEE10hipError_tPvRmT3_T4_T5_T6_T7_T9_mT8_P12ihipStream_tbDpT10_ENKUlT_T0_E_clISt17integral_constantIbLb0EES1C_EEDaS17_S18_EUlS17_E_NS1_11comp_targetILNS1_3genE5ELNS1_11target_archE942ELNS1_3gpuE9ELNS1_3repE0EEENS1_30default_config_static_selectorELNS0_4arch9wavefront6targetE1EEEvT1_ ; -- Begin function _ZN7rocprim17ROCPRIM_400000_NS6detail17trampoline_kernelINS0_14default_configENS1_25partition_config_selectorILNS1_17partition_subalgoE8ElNS0_10empty_typeEbEEZZNS1_14partition_implILS5_8ELb0ES3_jPlPS6_PKS6_NS0_5tupleIJS9_S6_EEENSD_IJSA_SA_EEENS0_18inequality_wrapperIZN2at6native12_GLOBAL__N_124unique_dim_cuda_templateIfEESt5tupleIJNSH_6TensorESM_SM_EERKSM_lbbbEUlllE0_EEPmJS6_EEE10hipError_tPvRmT3_T4_T5_T6_T7_T9_mT8_P12ihipStream_tbDpT10_ENKUlT_T0_E_clISt17integral_constantIbLb0EES1C_EEDaS17_S18_EUlS17_E_NS1_11comp_targetILNS1_3genE5ELNS1_11target_archE942ELNS1_3gpuE9ELNS1_3repE0EEENS1_30default_config_static_selectorELNS0_4arch9wavefront6targetE1EEEvT1_
	.p2align	8
	.type	_ZN7rocprim17ROCPRIM_400000_NS6detail17trampoline_kernelINS0_14default_configENS1_25partition_config_selectorILNS1_17partition_subalgoE8ElNS0_10empty_typeEbEEZZNS1_14partition_implILS5_8ELb0ES3_jPlPS6_PKS6_NS0_5tupleIJS9_S6_EEENSD_IJSA_SA_EEENS0_18inequality_wrapperIZN2at6native12_GLOBAL__N_124unique_dim_cuda_templateIfEESt5tupleIJNSH_6TensorESM_SM_EERKSM_lbbbEUlllE0_EEPmJS6_EEE10hipError_tPvRmT3_T4_T5_T6_T7_T9_mT8_P12ihipStream_tbDpT10_ENKUlT_T0_E_clISt17integral_constantIbLb0EES1C_EEDaS17_S18_EUlS17_E_NS1_11comp_targetILNS1_3genE5ELNS1_11target_archE942ELNS1_3gpuE9ELNS1_3repE0EEENS1_30default_config_static_selectorELNS0_4arch9wavefront6targetE1EEEvT1_,@function
_ZN7rocprim17ROCPRIM_400000_NS6detail17trampoline_kernelINS0_14default_configENS1_25partition_config_selectorILNS1_17partition_subalgoE8ElNS0_10empty_typeEbEEZZNS1_14partition_implILS5_8ELb0ES3_jPlPS6_PKS6_NS0_5tupleIJS9_S6_EEENSD_IJSA_SA_EEENS0_18inequality_wrapperIZN2at6native12_GLOBAL__N_124unique_dim_cuda_templateIfEESt5tupleIJNSH_6TensorESM_SM_EERKSM_lbbbEUlllE0_EEPmJS6_EEE10hipError_tPvRmT3_T4_T5_T6_T7_T9_mT8_P12ihipStream_tbDpT10_ENKUlT_T0_E_clISt17integral_constantIbLb0EES1C_EEDaS17_S18_EUlS17_E_NS1_11comp_targetILNS1_3genE5ELNS1_11target_archE942ELNS1_3gpuE9ELNS1_3repE0EEENS1_30default_config_static_selectorELNS0_4arch9wavefront6targetE1EEEvT1_: ; @_ZN7rocprim17ROCPRIM_400000_NS6detail17trampoline_kernelINS0_14default_configENS1_25partition_config_selectorILNS1_17partition_subalgoE8ElNS0_10empty_typeEbEEZZNS1_14partition_implILS5_8ELb0ES3_jPlPS6_PKS6_NS0_5tupleIJS9_S6_EEENSD_IJSA_SA_EEENS0_18inequality_wrapperIZN2at6native12_GLOBAL__N_124unique_dim_cuda_templateIfEESt5tupleIJNSH_6TensorESM_SM_EERKSM_lbbbEUlllE0_EEPmJS6_EEE10hipError_tPvRmT3_T4_T5_T6_T7_T9_mT8_P12ihipStream_tbDpT10_ENKUlT_T0_E_clISt17integral_constantIbLb0EES1C_EEDaS17_S18_EUlS17_E_NS1_11comp_targetILNS1_3genE5ELNS1_11target_archE942ELNS1_3gpuE9ELNS1_3repE0EEENS1_30default_config_static_selectorELNS0_4arch9wavefront6targetE1EEEvT1_
; %bb.0:
	.section	.rodata,"a",@progbits
	.p2align	6, 0x0
	.amdhsa_kernel _ZN7rocprim17ROCPRIM_400000_NS6detail17trampoline_kernelINS0_14default_configENS1_25partition_config_selectorILNS1_17partition_subalgoE8ElNS0_10empty_typeEbEEZZNS1_14partition_implILS5_8ELb0ES3_jPlPS6_PKS6_NS0_5tupleIJS9_S6_EEENSD_IJSA_SA_EEENS0_18inequality_wrapperIZN2at6native12_GLOBAL__N_124unique_dim_cuda_templateIfEESt5tupleIJNSH_6TensorESM_SM_EERKSM_lbbbEUlllE0_EEPmJS6_EEE10hipError_tPvRmT3_T4_T5_T6_T7_T9_mT8_P12ihipStream_tbDpT10_ENKUlT_T0_E_clISt17integral_constantIbLb0EES1C_EEDaS17_S18_EUlS17_E_NS1_11comp_targetILNS1_3genE5ELNS1_11target_archE942ELNS1_3gpuE9ELNS1_3repE0EEENS1_30default_config_static_selectorELNS0_4arch9wavefront6targetE1EEEvT1_
		.amdhsa_group_segment_fixed_size 0
		.amdhsa_private_segment_fixed_size 0
		.amdhsa_kernarg_size 120
		.amdhsa_user_sgpr_count 6
		.amdhsa_user_sgpr_private_segment_buffer 1
		.amdhsa_user_sgpr_dispatch_ptr 0
		.amdhsa_user_sgpr_queue_ptr 0
		.amdhsa_user_sgpr_kernarg_segment_ptr 1
		.amdhsa_user_sgpr_dispatch_id 0
		.amdhsa_user_sgpr_flat_scratch_init 0
		.amdhsa_user_sgpr_kernarg_preload_length 0
		.amdhsa_user_sgpr_kernarg_preload_offset 0
		.amdhsa_user_sgpr_private_segment_size 0
		.amdhsa_uses_dynamic_stack 0
		.amdhsa_system_sgpr_private_segment_wavefront_offset 0
		.amdhsa_system_sgpr_workgroup_id_x 1
		.amdhsa_system_sgpr_workgroup_id_y 0
		.amdhsa_system_sgpr_workgroup_id_z 0
		.amdhsa_system_sgpr_workgroup_info 0
		.amdhsa_system_vgpr_workitem_id 0
		.amdhsa_next_free_vgpr 1
		.amdhsa_next_free_sgpr 0
		.amdhsa_accum_offset 4
		.amdhsa_reserve_vcc 0
		.amdhsa_reserve_flat_scratch 0
		.amdhsa_float_round_mode_32 0
		.amdhsa_float_round_mode_16_64 0
		.amdhsa_float_denorm_mode_32 3
		.amdhsa_float_denorm_mode_16_64 3
		.amdhsa_dx10_clamp 1
		.amdhsa_ieee_mode 1
		.amdhsa_fp16_overflow 0
		.amdhsa_tg_split 0
		.amdhsa_exception_fp_ieee_invalid_op 0
		.amdhsa_exception_fp_denorm_src 0
		.amdhsa_exception_fp_ieee_div_zero 0
		.amdhsa_exception_fp_ieee_overflow 0
		.amdhsa_exception_fp_ieee_underflow 0
		.amdhsa_exception_fp_ieee_inexact 0
		.amdhsa_exception_int_div_zero 0
	.end_amdhsa_kernel
	.section	.text._ZN7rocprim17ROCPRIM_400000_NS6detail17trampoline_kernelINS0_14default_configENS1_25partition_config_selectorILNS1_17partition_subalgoE8ElNS0_10empty_typeEbEEZZNS1_14partition_implILS5_8ELb0ES3_jPlPS6_PKS6_NS0_5tupleIJS9_S6_EEENSD_IJSA_SA_EEENS0_18inequality_wrapperIZN2at6native12_GLOBAL__N_124unique_dim_cuda_templateIfEESt5tupleIJNSH_6TensorESM_SM_EERKSM_lbbbEUlllE0_EEPmJS6_EEE10hipError_tPvRmT3_T4_T5_T6_T7_T9_mT8_P12ihipStream_tbDpT10_ENKUlT_T0_E_clISt17integral_constantIbLb0EES1C_EEDaS17_S18_EUlS17_E_NS1_11comp_targetILNS1_3genE5ELNS1_11target_archE942ELNS1_3gpuE9ELNS1_3repE0EEENS1_30default_config_static_selectorELNS0_4arch9wavefront6targetE1EEEvT1_,"axG",@progbits,_ZN7rocprim17ROCPRIM_400000_NS6detail17trampoline_kernelINS0_14default_configENS1_25partition_config_selectorILNS1_17partition_subalgoE8ElNS0_10empty_typeEbEEZZNS1_14partition_implILS5_8ELb0ES3_jPlPS6_PKS6_NS0_5tupleIJS9_S6_EEENSD_IJSA_SA_EEENS0_18inequality_wrapperIZN2at6native12_GLOBAL__N_124unique_dim_cuda_templateIfEESt5tupleIJNSH_6TensorESM_SM_EERKSM_lbbbEUlllE0_EEPmJS6_EEE10hipError_tPvRmT3_T4_T5_T6_T7_T9_mT8_P12ihipStream_tbDpT10_ENKUlT_T0_E_clISt17integral_constantIbLb0EES1C_EEDaS17_S18_EUlS17_E_NS1_11comp_targetILNS1_3genE5ELNS1_11target_archE942ELNS1_3gpuE9ELNS1_3repE0EEENS1_30default_config_static_selectorELNS0_4arch9wavefront6targetE1EEEvT1_,comdat
.Lfunc_end930:
	.size	_ZN7rocprim17ROCPRIM_400000_NS6detail17trampoline_kernelINS0_14default_configENS1_25partition_config_selectorILNS1_17partition_subalgoE8ElNS0_10empty_typeEbEEZZNS1_14partition_implILS5_8ELb0ES3_jPlPS6_PKS6_NS0_5tupleIJS9_S6_EEENSD_IJSA_SA_EEENS0_18inequality_wrapperIZN2at6native12_GLOBAL__N_124unique_dim_cuda_templateIfEESt5tupleIJNSH_6TensorESM_SM_EERKSM_lbbbEUlllE0_EEPmJS6_EEE10hipError_tPvRmT3_T4_T5_T6_T7_T9_mT8_P12ihipStream_tbDpT10_ENKUlT_T0_E_clISt17integral_constantIbLb0EES1C_EEDaS17_S18_EUlS17_E_NS1_11comp_targetILNS1_3genE5ELNS1_11target_archE942ELNS1_3gpuE9ELNS1_3repE0EEENS1_30default_config_static_selectorELNS0_4arch9wavefront6targetE1EEEvT1_, .Lfunc_end930-_ZN7rocprim17ROCPRIM_400000_NS6detail17trampoline_kernelINS0_14default_configENS1_25partition_config_selectorILNS1_17partition_subalgoE8ElNS0_10empty_typeEbEEZZNS1_14partition_implILS5_8ELb0ES3_jPlPS6_PKS6_NS0_5tupleIJS9_S6_EEENSD_IJSA_SA_EEENS0_18inequality_wrapperIZN2at6native12_GLOBAL__N_124unique_dim_cuda_templateIfEESt5tupleIJNSH_6TensorESM_SM_EERKSM_lbbbEUlllE0_EEPmJS6_EEE10hipError_tPvRmT3_T4_T5_T6_T7_T9_mT8_P12ihipStream_tbDpT10_ENKUlT_T0_E_clISt17integral_constantIbLb0EES1C_EEDaS17_S18_EUlS17_E_NS1_11comp_targetILNS1_3genE5ELNS1_11target_archE942ELNS1_3gpuE9ELNS1_3repE0EEENS1_30default_config_static_selectorELNS0_4arch9wavefront6targetE1EEEvT1_
                                        ; -- End function
	.section	.AMDGPU.csdata,"",@progbits
; Kernel info:
; codeLenInByte = 0
; NumSgprs: 4
; NumVgprs: 0
; NumAgprs: 0
; TotalNumVgprs: 0
; ScratchSize: 0
; MemoryBound: 0
; FloatMode: 240
; IeeeMode: 1
; LDSByteSize: 0 bytes/workgroup (compile time only)
; SGPRBlocks: 0
; VGPRBlocks: 0
; NumSGPRsForWavesPerEU: 4
; NumVGPRsForWavesPerEU: 1
; AccumOffset: 4
; Occupancy: 8
; WaveLimiterHint : 0
; COMPUTE_PGM_RSRC2:SCRATCH_EN: 0
; COMPUTE_PGM_RSRC2:USER_SGPR: 6
; COMPUTE_PGM_RSRC2:TRAP_HANDLER: 0
; COMPUTE_PGM_RSRC2:TGID_X_EN: 1
; COMPUTE_PGM_RSRC2:TGID_Y_EN: 0
; COMPUTE_PGM_RSRC2:TGID_Z_EN: 0
; COMPUTE_PGM_RSRC2:TIDIG_COMP_CNT: 0
; COMPUTE_PGM_RSRC3_GFX90A:ACCUM_OFFSET: 0
; COMPUTE_PGM_RSRC3_GFX90A:TG_SPLIT: 0
	.section	.text._ZN7rocprim17ROCPRIM_400000_NS6detail17trampoline_kernelINS0_14default_configENS1_25partition_config_selectorILNS1_17partition_subalgoE8ElNS0_10empty_typeEbEEZZNS1_14partition_implILS5_8ELb0ES3_jPlPS6_PKS6_NS0_5tupleIJS9_S6_EEENSD_IJSA_SA_EEENS0_18inequality_wrapperIZN2at6native12_GLOBAL__N_124unique_dim_cuda_templateIfEESt5tupleIJNSH_6TensorESM_SM_EERKSM_lbbbEUlllE0_EEPmJS6_EEE10hipError_tPvRmT3_T4_T5_T6_T7_T9_mT8_P12ihipStream_tbDpT10_ENKUlT_T0_E_clISt17integral_constantIbLb0EES1C_EEDaS17_S18_EUlS17_E_NS1_11comp_targetILNS1_3genE4ELNS1_11target_archE910ELNS1_3gpuE8ELNS1_3repE0EEENS1_30default_config_static_selectorELNS0_4arch9wavefront6targetE1EEEvT1_,"axG",@progbits,_ZN7rocprim17ROCPRIM_400000_NS6detail17trampoline_kernelINS0_14default_configENS1_25partition_config_selectorILNS1_17partition_subalgoE8ElNS0_10empty_typeEbEEZZNS1_14partition_implILS5_8ELb0ES3_jPlPS6_PKS6_NS0_5tupleIJS9_S6_EEENSD_IJSA_SA_EEENS0_18inequality_wrapperIZN2at6native12_GLOBAL__N_124unique_dim_cuda_templateIfEESt5tupleIJNSH_6TensorESM_SM_EERKSM_lbbbEUlllE0_EEPmJS6_EEE10hipError_tPvRmT3_T4_T5_T6_T7_T9_mT8_P12ihipStream_tbDpT10_ENKUlT_T0_E_clISt17integral_constantIbLb0EES1C_EEDaS17_S18_EUlS17_E_NS1_11comp_targetILNS1_3genE4ELNS1_11target_archE910ELNS1_3gpuE8ELNS1_3repE0EEENS1_30default_config_static_selectorELNS0_4arch9wavefront6targetE1EEEvT1_,comdat
	.globl	_ZN7rocprim17ROCPRIM_400000_NS6detail17trampoline_kernelINS0_14default_configENS1_25partition_config_selectorILNS1_17partition_subalgoE8ElNS0_10empty_typeEbEEZZNS1_14partition_implILS5_8ELb0ES3_jPlPS6_PKS6_NS0_5tupleIJS9_S6_EEENSD_IJSA_SA_EEENS0_18inequality_wrapperIZN2at6native12_GLOBAL__N_124unique_dim_cuda_templateIfEESt5tupleIJNSH_6TensorESM_SM_EERKSM_lbbbEUlllE0_EEPmJS6_EEE10hipError_tPvRmT3_T4_T5_T6_T7_T9_mT8_P12ihipStream_tbDpT10_ENKUlT_T0_E_clISt17integral_constantIbLb0EES1C_EEDaS17_S18_EUlS17_E_NS1_11comp_targetILNS1_3genE4ELNS1_11target_archE910ELNS1_3gpuE8ELNS1_3repE0EEENS1_30default_config_static_selectorELNS0_4arch9wavefront6targetE1EEEvT1_ ; -- Begin function _ZN7rocprim17ROCPRIM_400000_NS6detail17trampoline_kernelINS0_14default_configENS1_25partition_config_selectorILNS1_17partition_subalgoE8ElNS0_10empty_typeEbEEZZNS1_14partition_implILS5_8ELb0ES3_jPlPS6_PKS6_NS0_5tupleIJS9_S6_EEENSD_IJSA_SA_EEENS0_18inequality_wrapperIZN2at6native12_GLOBAL__N_124unique_dim_cuda_templateIfEESt5tupleIJNSH_6TensorESM_SM_EERKSM_lbbbEUlllE0_EEPmJS6_EEE10hipError_tPvRmT3_T4_T5_T6_T7_T9_mT8_P12ihipStream_tbDpT10_ENKUlT_T0_E_clISt17integral_constantIbLb0EES1C_EEDaS17_S18_EUlS17_E_NS1_11comp_targetILNS1_3genE4ELNS1_11target_archE910ELNS1_3gpuE8ELNS1_3repE0EEENS1_30default_config_static_selectorELNS0_4arch9wavefront6targetE1EEEvT1_
	.p2align	8
	.type	_ZN7rocprim17ROCPRIM_400000_NS6detail17trampoline_kernelINS0_14default_configENS1_25partition_config_selectorILNS1_17partition_subalgoE8ElNS0_10empty_typeEbEEZZNS1_14partition_implILS5_8ELb0ES3_jPlPS6_PKS6_NS0_5tupleIJS9_S6_EEENSD_IJSA_SA_EEENS0_18inequality_wrapperIZN2at6native12_GLOBAL__N_124unique_dim_cuda_templateIfEESt5tupleIJNSH_6TensorESM_SM_EERKSM_lbbbEUlllE0_EEPmJS6_EEE10hipError_tPvRmT3_T4_T5_T6_T7_T9_mT8_P12ihipStream_tbDpT10_ENKUlT_T0_E_clISt17integral_constantIbLb0EES1C_EEDaS17_S18_EUlS17_E_NS1_11comp_targetILNS1_3genE4ELNS1_11target_archE910ELNS1_3gpuE8ELNS1_3repE0EEENS1_30default_config_static_selectorELNS0_4arch9wavefront6targetE1EEEvT1_,@function
_ZN7rocprim17ROCPRIM_400000_NS6detail17trampoline_kernelINS0_14default_configENS1_25partition_config_selectorILNS1_17partition_subalgoE8ElNS0_10empty_typeEbEEZZNS1_14partition_implILS5_8ELb0ES3_jPlPS6_PKS6_NS0_5tupleIJS9_S6_EEENSD_IJSA_SA_EEENS0_18inequality_wrapperIZN2at6native12_GLOBAL__N_124unique_dim_cuda_templateIfEESt5tupleIJNSH_6TensorESM_SM_EERKSM_lbbbEUlllE0_EEPmJS6_EEE10hipError_tPvRmT3_T4_T5_T6_T7_T9_mT8_P12ihipStream_tbDpT10_ENKUlT_T0_E_clISt17integral_constantIbLb0EES1C_EEDaS17_S18_EUlS17_E_NS1_11comp_targetILNS1_3genE4ELNS1_11target_archE910ELNS1_3gpuE8ELNS1_3repE0EEENS1_30default_config_static_selectorELNS0_4arch9wavefront6targetE1EEEvT1_: ; @_ZN7rocprim17ROCPRIM_400000_NS6detail17trampoline_kernelINS0_14default_configENS1_25partition_config_selectorILNS1_17partition_subalgoE8ElNS0_10empty_typeEbEEZZNS1_14partition_implILS5_8ELb0ES3_jPlPS6_PKS6_NS0_5tupleIJS9_S6_EEENSD_IJSA_SA_EEENS0_18inequality_wrapperIZN2at6native12_GLOBAL__N_124unique_dim_cuda_templateIfEESt5tupleIJNSH_6TensorESM_SM_EERKSM_lbbbEUlllE0_EEPmJS6_EEE10hipError_tPvRmT3_T4_T5_T6_T7_T9_mT8_P12ihipStream_tbDpT10_ENKUlT_T0_E_clISt17integral_constantIbLb0EES1C_EEDaS17_S18_EUlS17_E_NS1_11comp_targetILNS1_3genE4ELNS1_11target_archE910ELNS1_3gpuE8ELNS1_3repE0EEENS1_30default_config_static_selectorELNS0_4arch9wavefront6targetE1EEEvT1_
; %bb.0:
	s_load_dwordx8 s[20:27], s[4:5], 0x40
	s_load_dwordx4 s[0:3], s[4:5], 0x8
	s_load_dwordx4 s[28:31], s[4:5], 0x60
	s_load_dword s7, s[4:5], 0x70
	s_waitcnt lgkmcnt(0)
	v_mov_b32_e32 v2, s24
	s_lshl_b64 s[8:9], s[2:3], 3
	s_add_u32 s12, s0, s8
	s_mul_i32 s8, s7, 0x500
	s_addc_u32 s13, s1, s9
	s_add_i32 s1, s8, s2
	s_add_i32 s10, s7, -1
	s_sub_i32 s7, s24, s1
	s_add_u32 s8, s2, s8
	s_addc_u32 s9, s3, 0
	v_mov_b32_e32 v3, s25
	s_cmp_eq_u32 s6, s10
	s_load_dwordx2 s[22:23], s[22:23], 0x0
	v_cmp_ge_u64_e32 vcc, s[8:9], v[2:3]
	s_cselect_b64 s[24:25], -1, 0
	s_mul_i32 s0, s6, 0x500
	s_mov_b32 s1, 0
	s_and_b64 s[10:11], s[24:25], vcc
	s_xor_b64 s[34:35], s[10:11], -1
	s_lshl_b64 s[0:1], s[0:1], 3
	s_add_u32 s0, s12, s0
	s_mov_b64 s[8:9], -1
	s_addc_u32 s1, s13, s1
	s_and_b64 vcc, exec, s[34:35]
	s_cbranch_vccz .LBB931_2
; %bb.1:
	v_lshlrev_b32_e32 v1, 3, v0
	v_mov_b32_e32 v2, s1
	v_add_co_u32_e32 v12, vcc, s0, v1
	v_addc_co_u32_e32 v13, vcc, 0, v2, vcc
	v_add_co_u32_e32 v2, vcc, 0x1000, v12
	v_addc_co_u32_e32 v3, vcc, 0, v13, vcc
	global_load_dwordx2 v[4:5], v1, s[0:1]
	global_load_dwordx2 v[6:7], v1, s[0:1] offset:2048
	global_load_dwordx2 v[8:9], v[2:3], off
	global_load_dwordx2 v[10:11], v[2:3], off offset:2048
	v_add_co_u32_e32 v2, vcc, 0x2000, v12
	v_addc_co_u32_e32 v3, vcc, 0, v13, vcc
	global_load_dwordx2 v[2:3], v[2:3], off
	s_mov_b64 s[8:9], 0
	s_waitcnt vmcnt(3)
	ds_write2st64_b64 v1, v[4:5], v[6:7] offset1:4
	s_waitcnt vmcnt(1)
	ds_write2st64_b64 v1, v[8:9], v[10:11] offset0:8 offset1:12
	s_waitcnt vmcnt(0)
	ds_write_b64 v1, v[2:3] offset:8192
	s_waitcnt lgkmcnt(0)
	s_barrier
.LBB931_2:
	s_andn2_b64 vcc, exec, s[8:9]
	s_addk_i32 s7, 0x500
	s_cbranch_vccnz .LBB931_14
; %bb.3:
	v_cmp_gt_u32_e32 vcc, s7, v0
                                        ; implicit-def: $vgpr2_vgpr3_vgpr4_vgpr5_vgpr6_vgpr7_vgpr8_vgpr9_vgpr10_vgpr11_vgpr12_vgpr13_vgpr14_vgpr15_vgpr16_vgpr17
	s_and_saveexec_b64 s[8:9], vcc
	s_cbranch_execz .LBB931_5
; %bb.4:
	v_lshlrev_b32_e32 v1, 3, v0
	global_load_dwordx2 v[2:3], v1, s[0:1]
.LBB931_5:
	s_or_b64 exec, exec, s[8:9]
	v_or_b32_e32 v1, 0x100, v0
	v_cmp_gt_u32_e32 vcc, s7, v1
	s_and_saveexec_b64 s[8:9], vcc
	s_cbranch_execz .LBB931_7
; %bb.6:
	v_lshlrev_b32_e32 v1, 3, v0
	global_load_dwordx2 v[4:5], v1, s[0:1] offset:2048
.LBB931_7:
	s_or_b64 exec, exec, s[8:9]
	v_or_b32_e32 v1, 0x200, v0
	v_cmp_gt_u32_e32 vcc, s7, v1
	s_and_saveexec_b64 s[8:9], vcc
	s_cbranch_execz .LBB931_9
; %bb.8:
	v_lshlrev_b32_e32 v1, 3, v1
	global_load_dwordx2 v[6:7], v1, s[0:1]
.LBB931_9:
	s_or_b64 exec, exec, s[8:9]
	v_or_b32_e32 v1, 0x300, v0
	v_cmp_gt_u32_e32 vcc, s7, v1
	s_and_saveexec_b64 s[8:9], vcc
	s_cbranch_execz .LBB931_11
; %bb.10:
	v_lshlrev_b32_e32 v1, 3, v1
	global_load_dwordx2 v[8:9], v1, s[0:1]
.LBB931_11:
	s_or_b64 exec, exec, s[8:9]
	v_or_b32_e32 v1, 0x400, v0
	v_cmp_gt_u32_e32 vcc, s7, v1
	s_and_saveexec_b64 s[8:9], vcc
	s_cbranch_execz .LBB931_13
; %bb.12:
	v_lshlrev_b32_e32 v1, 3, v1
	global_load_dwordx2 v[10:11], v1, s[0:1]
.LBB931_13:
	s_or_b64 exec, exec, s[8:9]
	v_lshlrev_b32_e32 v1, 3, v0
	s_waitcnt vmcnt(0)
	ds_write2st64_b64 v1, v[2:3], v[4:5] offset1:4
	ds_write2st64_b64 v1, v[6:7], v[8:9] offset0:8 offset1:12
	ds_write_b64 v1, v[10:11] offset:8192
	s_waitcnt lgkmcnt(0)
	s_barrier
.LBB931_14:
	v_mul_u32_u24_e32 v1, 5, v0
	v_lshlrev_b32_e32 v20, 3, v1
	s_waitcnt lgkmcnt(0)
	ds_read2_b64 v[6:9], v20 offset1:1
	ds_read2_b64 v[2:5], v20 offset0:2 offset1:3
	ds_read_b64 v[10:11], v20 offset:32
	s_cmp_lg_u32 s6, 0
	s_cselect_b64 s[16:17], -1, 0
	s_cmp_lg_u64 s[2:3], 0
	s_cselect_b64 s[2:3], -1, 0
	s_or_b64 s[2:3], s[16:17], s[2:3]
	v_mad_u32_u24 v24, v0, 5, 1
	v_mad_u32_u24 v22, v0, 5, 2
	;; [unrolled: 1-line block ×4, first 2 shown]
	s_mov_b64 s[12:13], 0
	s_and_b64 vcc, exec, s[2:3]
	v_cmp_gt_i64_e64 s[2:3], s[26:27], 0
	s_waitcnt lgkmcnt(0)
	s_barrier
	s_cbranch_vccz .LBB931_23
; %bb.15:
	s_add_u32 s0, s0, -8
	s_addc_u32 s1, s1, -1
	s_load_dwordx2 s[12:13], s[0:1], 0x0
	v_cndmask_b32_e64 v12, 0, 1, s[2:3]
	v_lshlrev_b32_e32 v21, 3, v0
	s_mov_b64 s[14:15], 0
	s_and_b64 vcc, exec, s[34:35]
	v_cmp_ne_u32_e64 s[0:1], 1, v12
	ds_write_b64 v21, v[10:11]
	s_cbranch_vccz .LBB931_24
; %bb.16:
	v_mul_lo_u32 v14, v5, s26
	v_mul_lo_u32 v15, v4, s27
	v_mad_u64_u32 v[12:13], s[2:3], v4, s26, 0
	v_add3_u32 v13, v13, v15, v14
	s_and_b64 vcc, exec, s[0:1]
	v_lshlrev_b64 v[12:13], 2, v[12:13]
	s_cbranch_vccnz .LBB931_27
; %bb.17:
	v_mul_lo_u32 v16, v11, s26
	v_mul_lo_u32 v17, v10, s27
	v_mad_u64_u32 v[14:15], s[2:3], v10, s26, 0
	v_add3_u32 v15, v15, v17, v16
	v_mov_b32_e32 v17, s29
	v_add_co_u32_e32 v16, vcc, s28, v12
	v_addc_co_u32_e64 v17, s[2:3], v17, v13, vcc
	v_lshlrev_b64 v[14:15], 2, v[14:15]
	v_mov_b32_e32 v19, s29
	v_add_co_u32_e64 v18, s[2:3], s28, v14
	v_addc_co_u32_e64 v19, s[8:9], v19, v15, s[2:3]
	global_load_dword v14, v[16:17], off
	global_load_dword v26, v[18:19], off
	s_mov_b64 s[14:15], -1
	s_waitcnt vmcnt(0)
	v_cmp_eq_f32_e64 s[8:9], v14, v26
	s_and_saveexec_b64 s[18:19], s[8:9]
	s_cbranch_execz .LBB931_26
; %bb.18:
	v_mov_b32_e32 v14, s29
	v_addc_co_u32_e64 v15, s[2:3], v15, v14, s[2:3]
	v_add_co_u32_e64 v14, s[2:3], 4, v18
	v_mov_b32_e32 v17, s29
	v_addc_co_u32_e64 v15, s[2:3], 0, v15, s[2:3]
	v_addc_co_u32_e32 v17, vcc, v13, v17, vcc
	v_add_co_u32_e32 v16, vcc, 4, v16
	s_add_u32 s2, s26, -1
	v_addc_co_u32_e32 v17, vcc, 0, v17, vcc
	s_addc_u32 s3, s27, -1
	s_mov_b64 s[8:9], 0
	s_mov_b64 s[36:37], 0
                                        ; implicit-def: $sgpr14_sgpr15
	s_branch .LBB931_21
.LBB931_19:                             ;   in Loop: Header=BB931_21 Depth=1
	global_load_dword v18, v[16:17], off
	global_load_dword v19, v[14:15], off
	v_add_co_u32_e32 v14, vcc, 4, v14
	v_addc_co_u32_e32 v15, vcc, 0, v15, vcc
	v_add_co_u32_e32 v16, vcc, 4, v16
	v_addc_co_u32_e32 v17, vcc, 0, v17, vcc
	s_add_u32 s36, s36, 1
	s_addc_u32 s37, s37, 0
	s_andn2_b64 s[14:15], s[14:15], exec
	s_waitcnt vmcnt(0)
	v_cmp_neq_f32_e32 vcc, v18, v19
	s_and_b64 s[38:39], vcc, exec
	s_or_b64 s[14:15], s[14:15], s[38:39]
.LBB931_20:                             ;   in Loop: Header=BB931_21 Depth=1
	s_and_b64 s[38:39], exec, s[14:15]
	s_or_b64 s[8:9], s[38:39], s[8:9]
	v_pk_mov_b32 v[18:19], s[36:37], s[36:37] op_sel:[0,1]
	s_andn2_b64 exec, exec, s[8:9]
	s_cbranch_execz .LBB931_25
.LBB931_21:                             ; =>This Inner Loop Header: Depth=1
	s_or_b64 s[14:15], s[14:15], exec
	s_cmp_eq_u64 s[2:3], s[36:37]
	s_cbranch_scc0 .LBB931_19
; %bb.22:                               ;   in Loop: Header=BB931_21 Depth=1
                                        ; implicit-def: $vgpr14_vgpr15
                                        ; implicit-def: $vgpr16_vgpr17
	s_mov_b64 s[36:37], s[26:27]
	s_branch .LBB931_20
.LBB931_23:
                                        ; implicit-def: $sgpr18_sgpr19
                                        ; implicit-def: $vgpr13
                                        ; implicit-def: $vgpr16
	s_branch .LBB931_125
.LBB931_24:
                                        ; implicit-def: $sgpr18_sgpr19
                                        ; implicit-def: $vgpr13
                                        ; implicit-def: $vgpr16
	s_cbranch_execnz .LBB931_66
	s_branch .LBB931_124
.LBB931_25:
	s_or_b64 exec, exec, s[8:9]
	v_cmp_gt_i64_e32 vcc, s[26:27], v[18:19]
	s_orn2_b64 s[14:15], vcc, exec
.LBB931_26:
	s_or_b64 exec, exec, s[18:19]
.LBB931_27:
	v_mul_lo_u32 v16, v3, s26
	v_mul_lo_u32 v17, v2, s27
	v_mad_u64_u32 v[14:15], s[2:3], v2, s26, 0
	v_add3_u32 v15, v15, v17, v16
	s_mov_b64 s[18:19], 0
	s_and_b64 vcc, exec, s[0:1]
	v_lshlrev_b64 v[16:17], 2, v[14:15]
	s_mov_b64 s[36:37], 0
	s_cbranch_vccnz .LBB931_36
; %bb.28:
	v_mov_b32_e32 v15, s29
	v_add_co_u32_e32 v14, vcc, s28, v16
	v_addc_co_u32_e64 v15, s[2:3], v15, v17, vcc
	v_mov_b32_e32 v19, s29
	v_add_co_u32_e64 v18, s[2:3], s28, v12
	v_addc_co_u32_e64 v19, s[8:9], v19, v13, s[2:3]
	global_load_dword v12, v[14:15], off
	global_load_dword v26, v[18:19], off
	s_mov_b64 s[36:37], -1
	s_waitcnt vmcnt(0)
	v_cmp_eq_f32_e64 s[8:9], v12, v26
	s_and_saveexec_b64 s[38:39], s[8:9]
	s_cbranch_execz .LBB931_35
; %bb.29:
	v_mov_b32_e32 v12, s29
	v_addc_co_u32_e64 v13, s[2:3], v13, v12, s[2:3]
	v_add_co_u32_e64 v12, s[2:3], 4, v18
	v_mov_b32_e32 v15, s29
	v_addc_co_u32_e64 v13, s[2:3], 0, v13, s[2:3]
	v_addc_co_u32_e32 v15, vcc, v17, v15, vcc
	v_add_co_u32_e32 v14, vcc, 4, v14
	s_add_u32 s2, s26, -1
	v_addc_co_u32_e32 v15, vcc, 0, v15, vcc
	s_addc_u32 s3, s27, -1
	s_mov_b64 s[8:9], 0
	s_mov_b64 s[40:41], 0
                                        ; implicit-def: $sgpr36_sgpr37
	s_branch .LBB931_32
.LBB931_30:                             ;   in Loop: Header=BB931_32 Depth=1
	global_load_dword v18, v[14:15], off
	global_load_dword v19, v[12:13], off
	v_add_co_u32_e32 v12, vcc, 4, v12
	v_addc_co_u32_e32 v13, vcc, 0, v13, vcc
	v_add_co_u32_e32 v14, vcc, 4, v14
	v_addc_co_u32_e32 v15, vcc, 0, v15, vcc
	s_add_u32 s40, s40, 1
	s_addc_u32 s41, s41, 0
	s_andn2_b64 s[36:37], s[36:37], exec
	s_waitcnt vmcnt(0)
	v_cmp_neq_f32_e32 vcc, v18, v19
	s_and_b64 s[42:43], vcc, exec
	s_or_b64 s[36:37], s[36:37], s[42:43]
.LBB931_31:                             ;   in Loop: Header=BB931_32 Depth=1
	s_and_b64 s[42:43], exec, s[36:37]
	s_or_b64 s[8:9], s[42:43], s[8:9]
	v_pk_mov_b32 v[18:19], s[40:41], s[40:41] op_sel:[0,1]
	s_andn2_b64 exec, exec, s[8:9]
	s_cbranch_execz .LBB931_34
.LBB931_32:                             ; =>This Inner Loop Header: Depth=1
	s_or_b64 s[36:37], s[36:37], exec
	s_cmp_eq_u64 s[2:3], s[40:41]
	s_cbranch_scc0 .LBB931_30
; %bb.33:                               ;   in Loop: Header=BB931_32 Depth=1
                                        ; implicit-def: $vgpr12_vgpr13
                                        ; implicit-def: $vgpr14_vgpr15
	s_mov_b64 s[40:41], s[26:27]
	s_branch .LBB931_31
.LBB931_34:
	s_or_b64 exec, exec, s[8:9]
	v_cmp_gt_i64_e32 vcc, s[26:27], v[18:19]
	s_orn2_b64 s[36:37], vcc, exec
.LBB931_35:
	s_or_b64 exec, exec, s[38:39]
.LBB931_36:
	v_mul_lo_u32 v14, v9, s26
	v_mul_lo_u32 v15, v8, s27
	v_mad_u64_u32 v[12:13], s[2:3], v8, s26, 0
	v_add3_u32 v13, v13, v15, v14
	s_and_b64 vcc, exec, s[0:1]
	v_lshlrev_b64 v[14:15], 2, v[12:13]
	s_cbranch_vccnz .LBB931_45
; %bb.37:
	v_mov_b32_e32 v12, s29
	v_add_co_u32_e32 v18, vcc, s28, v14
	v_addc_co_u32_e64 v19, s[2:3], v12, v15, vcc
	v_mov_b32_e32 v13, s29
	v_add_co_u32_e64 v12, s[2:3], s28, v16
	v_addc_co_u32_e64 v13, s[8:9], v13, v17, s[2:3]
	global_load_dword v16, v[18:19], off
	global_load_dword v26, v[12:13], off
	s_mov_b64 s[18:19], -1
	s_waitcnt vmcnt(0)
	v_cmp_eq_f32_e64 s[8:9], v16, v26
	s_and_saveexec_b64 s[38:39], s[8:9]
	s_cbranch_execz .LBB931_44
; %bb.38:
	v_mov_b32_e32 v13, s29
	v_addc_co_u32_e64 v13, s[2:3], v17, v13, s[2:3]
	v_add_co_u32_e64 v12, s[2:3], 4, v12
	v_mov_b32_e32 v16, s29
	v_addc_co_u32_e64 v13, s[2:3], 0, v13, s[2:3]
	v_addc_co_u32_e32 v17, vcc, v15, v16, vcc
	v_add_co_u32_e32 v16, vcc, 4, v18
	s_add_u32 s2, s26, -1
	v_addc_co_u32_e32 v17, vcc, 0, v17, vcc
	s_addc_u32 s3, s27, -1
	s_mov_b64 s[8:9], 0
	s_mov_b64 s[40:41], 0
                                        ; implicit-def: $sgpr18_sgpr19
	s_branch .LBB931_41
.LBB931_39:                             ;   in Loop: Header=BB931_41 Depth=1
	global_load_dword v18, v[16:17], off
	global_load_dword v19, v[12:13], off
	v_add_co_u32_e32 v12, vcc, 4, v12
	v_addc_co_u32_e32 v13, vcc, 0, v13, vcc
	v_add_co_u32_e32 v16, vcc, 4, v16
	v_addc_co_u32_e32 v17, vcc, 0, v17, vcc
	s_add_u32 s40, s40, 1
	s_addc_u32 s41, s41, 0
	s_andn2_b64 s[18:19], s[18:19], exec
	s_waitcnt vmcnt(0)
	v_cmp_neq_f32_e32 vcc, v18, v19
	s_and_b64 s[42:43], vcc, exec
	s_or_b64 s[18:19], s[18:19], s[42:43]
.LBB931_40:                             ;   in Loop: Header=BB931_41 Depth=1
	s_and_b64 s[42:43], exec, s[18:19]
	s_or_b64 s[8:9], s[42:43], s[8:9]
	v_pk_mov_b32 v[18:19], s[40:41], s[40:41] op_sel:[0,1]
	s_andn2_b64 exec, exec, s[8:9]
	s_cbranch_execz .LBB931_43
.LBB931_41:                             ; =>This Inner Loop Header: Depth=1
	s_or_b64 s[18:19], s[18:19], exec
	s_cmp_eq_u64 s[2:3], s[40:41]
	s_cbranch_scc0 .LBB931_39
; %bb.42:                               ;   in Loop: Header=BB931_41 Depth=1
                                        ; implicit-def: $vgpr12_vgpr13
                                        ; implicit-def: $vgpr16_vgpr17
	s_mov_b64 s[40:41], s[26:27]
	s_branch .LBB931_40
.LBB931_43:
	s_or_b64 exec, exec, s[8:9]
	v_cmp_gt_i64_e32 vcc, s[26:27], v[18:19]
	s_orn2_b64 s[18:19], vcc, exec
.LBB931_44:
	s_or_b64 exec, exec, s[38:39]
.LBB931_45:
	v_mul_lo_u32 v16, v7, s26
	v_mul_lo_u32 v17, v6, s27
	v_mad_u64_u32 v[12:13], s[2:3], v6, s26, 0
	v_add3_u32 v13, v13, v17, v16
	s_mov_b64 s[40:41], 0
	s_and_b64 vcc, exec, s[0:1]
	v_lshlrev_b64 v[12:13], 2, v[12:13]
	s_cbranch_vccnz .LBB931_54
; %bb.46:
	v_mov_b32_e32 v17, s29
	v_add_co_u32_e32 v16, vcc, s28, v12
	v_addc_co_u32_e64 v17, s[2:3], v17, v13, vcc
	v_mov_b32_e32 v19, s29
	v_add_co_u32_e64 v18, s[2:3], s28, v14
	v_addc_co_u32_e64 v19, s[8:9], v19, v15, s[2:3]
	global_load_dword v14, v[16:17], off
	global_load_dword v26, v[18:19], off
	s_mov_b64 s[40:41], -1
	s_waitcnt vmcnt(0)
	v_cmp_eq_f32_e64 s[8:9], v14, v26
	s_and_saveexec_b64 s[38:39], s[8:9]
	s_cbranch_execz .LBB931_53
; %bb.47:
	v_mov_b32_e32 v14, s29
	v_addc_co_u32_e64 v15, s[2:3], v15, v14, s[2:3]
	v_add_co_u32_e64 v14, s[2:3], 4, v18
	v_mov_b32_e32 v17, s29
	v_addc_co_u32_e64 v15, s[2:3], 0, v15, s[2:3]
	v_addc_co_u32_e32 v17, vcc, v13, v17, vcc
	v_add_co_u32_e32 v16, vcc, 4, v16
	s_add_u32 s2, s26, -1
	v_addc_co_u32_e32 v17, vcc, 0, v17, vcc
	s_addc_u32 s3, s27, -1
	s_mov_b64 s[8:9], 0
	s_mov_b64 s[42:43], 0
                                        ; implicit-def: $sgpr40_sgpr41
	s_branch .LBB931_50
.LBB931_48:                             ;   in Loop: Header=BB931_50 Depth=1
	global_load_dword v18, v[16:17], off
	global_load_dword v19, v[14:15], off
	v_add_co_u32_e32 v14, vcc, 4, v14
	v_addc_co_u32_e32 v15, vcc, 0, v15, vcc
	v_add_co_u32_e32 v16, vcc, 4, v16
	v_addc_co_u32_e32 v17, vcc, 0, v17, vcc
	s_add_u32 s42, s42, 1
	s_addc_u32 s43, s43, 0
	s_andn2_b64 s[40:41], s[40:41], exec
	s_waitcnt vmcnt(0)
	v_cmp_neq_f32_e32 vcc, v18, v19
	s_and_b64 s[44:45], vcc, exec
	s_or_b64 s[40:41], s[40:41], s[44:45]
.LBB931_49:                             ;   in Loop: Header=BB931_50 Depth=1
	s_and_b64 s[44:45], exec, s[40:41]
	s_or_b64 s[8:9], s[44:45], s[8:9]
	v_pk_mov_b32 v[18:19], s[42:43], s[42:43] op_sel:[0,1]
	s_andn2_b64 exec, exec, s[8:9]
	s_cbranch_execz .LBB931_52
.LBB931_50:                             ; =>This Inner Loop Header: Depth=1
	s_or_b64 s[40:41], s[40:41], exec
	s_cmp_eq_u64 s[2:3], s[42:43]
	s_cbranch_scc0 .LBB931_48
; %bb.51:                               ;   in Loop: Header=BB931_50 Depth=1
                                        ; implicit-def: $vgpr14_vgpr15
                                        ; implicit-def: $vgpr16_vgpr17
	s_mov_b64 s[42:43], s[26:27]
	s_branch .LBB931_49
.LBB931_52:
	s_or_b64 exec, exec, s[8:9]
	v_cmp_gt_i64_e32 vcc, s[26:27], v[18:19]
	s_orn2_b64 s[40:41], vcc, exec
.LBB931_53:
	s_or_b64 exec, exec, s[38:39]
.LBB931_54:
	v_cmp_ne_u32_e32 vcc, 0, v0
	s_waitcnt lgkmcnt(0)
	v_pk_mov_b32 v[14:15], s[12:13], s[12:13] op_sel:[0,1]
	s_barrier
	s_and_saveexec_b64 s[2:3], vcc
	s_cbranch_execz .LBB931_56
; %bb.55:
	v_add_u32_e32 v14, -8, v21
	ds_read_b64 v[14:15], v14
.LBB931_56:
	s_or_b64 exec, exec, s[2:3]
	v_cndmask_b32_e64 v17, 0, 1, s[36:37]
	v_cndmask_b32_e64 v16, 0, 1, s[18:19]
	;; [unrolled: 1-line block ×3, first 2 shown]
	v_lshlrev_b16_e32 v17, 8, v17
	v_lshlrev_b16_e32 v26, 8, v18
	v_or_b32_sdwa v27, v16, v17 dst_sel:WORD_1 dst_unused:UNUSED_PAD src0_sel:DWORD src1_sel:DWORD
	s_mov_b64 s[36:37], 0
	s_and_b64 vcc, exec, s[0:1]
	s_mov_b64 s[18:19], 0
	s_cbranch_vccnz .LBB931_65
; %bb.57:
	s_waitcnt lgkmcnt(0)
	v_mul_lo_u32 v16, v15, s26
	v_mul_lo_u32 v17, v14, s27
	v_mad_u64_u32 v[14:15], s[2:3], v14, s26, 0
	v_add3_u32 v15, v15, v17, v16
	v_lshlrev_b64 v[14:15], 2, v[14:15]
	v_mov_b32_e32 v17, s29
	v_add_co_u32_e32 v16, vcc, s28, v14
	v_addc_co_u32_e64 v17, s[2:3], v17, v15, vcc
	v_mov_b32_e32 v14, s29
	v_add_co_u32_e64 v18, s[2:3], s28, v12
	v_addc_co_u32_e64 v19, s[8:9], v14, v13, s[2:3]
	global_load_dword v12, v[16:17], off
	global_load_dword v14, v[18:19], off
	s_mov_b64 s[18:19], -1
	s_waitcnt vmcnt(0)
	v_cmp_eq_f32_e64 s[8:9], v12, v14
	s_and_saveexec_b64 s[38:39], s[8:9]
	s_cbranch_execz .LBB931_64
; %bb.58:
	v_mov_b32_e32 v12, s29
	v_addc_co_u32_e64 v13, s[2:3], v13, v12, s[2:3]
	v_add_co_u32_e64 v12, s[2:3], 4, v18
	v_mov_b32_e32 v14, s29
	v_addc_co_u32_e64 v13, s[2:3], 0, v13, s[2:3]
	v_addc_co_u32_e32 v15, vcc, v15, v14, vcc
	v_add_co_u32_e32 v14, vcc, 4, v16
	s_add_u32 s2, s26, -1
	v_addc_co_u32_e32 v15, vcc, 0, v15, vcc
	s_addc_u32 s3, s27, -1
	s_mov_b64 s[8:9], 0
	s_mov_b64 s[40:41], 0
                                        ; implicit-def: $sgpr18_sgpr19
	s_branch .LBB931_61
.LBB931_59:                             ;   in Loop: Header=BB931_61 Depth=1
	global_load_dword v16, v[14:15], off
	global_load_dword v17, v[12:13], off
	v_add_co_u32_e32 v12, vcc, 4, v12
	v_addc_co_u32_e32 v13, vcc, 0, v13, vcc
	v_add_co_u32_e32 v14, vcc, 4, v14
	v_addc_co_u32_e32 v15, vcc, 0, v15, vcc
	s_add_u32 s40, s40, 1
	s_addc_u32 s41, s41, 0
	s_andn2_b64 s[18:19], s[18:19], exec
	s_waitcnt vmcnt(0)
	v_cmp_neq_f32_e32 vcc, v16, v17
	s_and_b64 s[42:43], vcc, exec
	s_or_b64 s[18:19], s[18:19], s[42:43]
.LBB931_60:                             ;   in Loop: Header=BB931_61 Depth=1
	s_and_b64 s[42:43], exec, s[18:19]
	s_or_b64 s[8:9], s[42:43], s[8:9]
	v_pk_mov_b32 v[16:17], s[40:41], s[40:41] op_sel:[0,1]
	s_andn2_b64 exec, exec, s[8:9]
	s_cbranch_execz .LBB931_63
.LBB931_61:                             ; =>This Inner Loop Header: Depth=1
	s_or_b64 s[18:19], s[18:19], exec
	s_cmp_eq_u64 s[2:3], s[40:41]
	s_cbranch_scc0 .LBB931_59
; %bb.62:                               ;   in Loop: Header=BB931_61 Depth=1
                                        ; implicit-def: $vgpr12_vgpr13
                                        ; implicit-def: $vgpr14_vgpr15
	s_mov_b64 s[40:41], s[26:27]
	s_branch .LBB931_60
.LBB931_63:
	s_or_b64 exec, exec, s[8:9]
	v_cmp_gt_i64_e32 vcc, s[26:27], v[16:17]
	s_orn2_b64 s[18:19], vcc, exec
.LBB931_64:
	s_or_b64 exec, exec, s[38:39]
.LBB931_65:
	v_cndmask_b32_e64 v13, 0, 1, s[14:15]
	v_or_b32_e32 v16, v26, v27
	s_and_b64 vcc, exec, s[36:37]
	s_cbranch_vccz .LBB931_124
.LBB931_66:
	v_cmp_gt_u32_e32 vcc, s7, v23
	s_mov_b64 s[18:19], 0
	s_mov_b64 s[14:15], 0
	s_and_saveexec_b64 s[36:37], vcc
	s_cbranch_execz .LBB931_77
; %bb.67:
	s_and_b64 vcc, exec, s[0:1]
	s_mov_b64 s[38:39], 0
	s_cbranch_vccnz .LBB931_76
; %bb.68:
	s_waitcnt lgkmcnt(0)
	v_mul_lo_u32 v14, v5, s26
	v_mul_lo_u32 v15, v4, s27
	v_mad_u64_u32 v[12:13], s[2:3], v4, s26, 0
	v_add3_u32 v13, v13, v15, v14
	v_mul_lo_u32 v14, v11, s26
	v_mul_lo_u32 v15, v10, s27
	v_mad_u64_u32 v[18:19], s[2:3], v10, s26, 0
	v_add3_u32 v19, v19, v15, v14
	v_lshlrev_b64 v[14:15], 2, v[12:13]
	v_mov_b32_e32 v12, s29
	v_add_co_u32_e32 v16, vcc, s28, v14
	v_addc_co_u32_e64 v17, s[2:3], v12, v15, vcc
	v_lshlrev_b64 v[12:13], 2, v[18:19]
	v_mov_b32_e32 v14, s29
	v_add_co_u32_e64 v18, s[2:3], s28, v12
	v_addc_co_u32_e64 v19, s[8:9], v14, v13, s[2:3]
	global_load_dword v12, v[16:17], off
	global_load_dword v14, v[18:19], off
	s_mov_b64 s[38:39], -1
	s_waitcnt vmcnt(0)
	v_cmp_eq_f32_e64 s[8:9], v12, v14
	s_and_saveexec_b64 s[14:15], s[8:9]
	s_cbranch_execz .LBB931_75
; %bb.69:
	v_mov_b32_e32 v12, s29
	v_addc_co_u32_e64 v13, s[2:3], v13, v12, s[2:3]
	v_add_co_u32_e64 v12, s[2:3], 4, v18
	v_mov_b32_e32 v14, s29
	v_addc_co_u32_e64 v13, s[2:3], 0, v13, s[2:3]
	v_addc_co_u32_e32 v15, vcc, v15, v14, vcc
	v_add_co_u32_e32 v14, vcc, 4, v16
	s_add_u32 s2, s26, -1
	v_addc_co_u32_e32 v15, vcc, 0, v15, vcc
	s_addc_u32 s3, s27, -1
	s_mov_b64 s[8:9], 0
	s_mov_b64 s[40:41], 0
                                        ; implicit-def: $sgpr38_sgpr39
	s_branch .LBB931_72
.LBB931_70:                             ;   in Loop: Header=BB931_72 Depth=1
	global_load_dword v16, v[14:15], off
	global_load_dword v17, v[12:13], off
	v_add_co_u32_e32 v12, vcc, 4, v12
	v_addc_co_u32_e32 v13, vcc, 0, v13, vcc
	v_add_co_u32_e32 v14, vcc, 4, v14
	v_addc_co_u32_e32 v15, vcc, 0, v15, vcc
	s_add_u32 s40, s40, 1
	s_addc_u32 s41, s41, 0
	s_andn2_b64 s[38:39], s[38:39], exec
	s_waitcnt vmcnt(0)
	v_cmp_neq_f32_e32 vcc, v16, v17
	s_and_b64 s[42:43], vcc, exec
	s_or_b64 s[38:39], s[38:39], s[42:43]
.LBB931_71:                             ;   in Loop: Header=BB931_72 Depth=1
	s_and_b64 s[42:43], exec, s[38:39]
	s_or_b64 s[8:9], s[42:43], s[8:9]
	v_pk_mov_b32 v[16:17], s[40:41], s[40:41] op_sel:[0,1]
	s_andn2_b64 exec, exec, s[8:9]
	s_cbranch_execz .LBB931_74
.LBB931_72:                             ; =>This Inner Loop Header: Depth=1
	s_or_b64 s[38:39], s[38:39], exec
	s_cmp_eq_u64 s[2:3], s[40:41]
	s_cbranch_scc0 .LBB931_70
; %bb.73:                               ;   in Loop: Header=BB931_72 Depth=1
                                        ; implicit-def: $vgpr12_vgpr13
                                        ; implicit-def: $vgpr14_vgpr15
	s_mov_b64 s[40:41], s[26:27]
	s_branch .LBB931_71
.LBB931_74:
	s_or_b64 exec, exec, s[8:9]
	v_cmp_gt_i64_e32 vcc, s[26:27], v[16:17]
	s_orn2_b64 s[38:39], vcc, exec
.LBB931_75:
	s_or_b64 exec, exec, s[14:15]
.LBB931_76:
	s_and_b64 s[14:15], s[38:39], exec
.LBB931_77:
	s_or_b64 exec, exec, s[36:37]
	v_cmp_gt_u32_e32 vcc, s7, v25
	s_and_saveexec_b64 s[36:37], vcc
	s_cbranch_execz .LBB931_88
; %bb.78:
	s_and_b64 vcc, exec, s[0:1]
	s_mov_b64 s[38:39], 0
	s_cbranch_vccnz .LBB931_87
; %bb.79:
	s_waitcnt lgkmcnt(0)
	v_mul_lo_u32 v14, v3, s26
	v_mul_lo_u32 v15, v2, s27
	v_mad_u64_u32 v[12:13], s[2:3], v2, s26, 0
	v_add3_u32 v13, v13, v15, v14
	v_mul_lo_u32 v14, v5, s26
	v_mul_lo_u32 v15, v4, s27
	v_mad_u64_u32 v[18:19], s[2:3], v4, s26, 0
	v_add3_u32 v19, v19, v15, v14
	v_lshlrev_b64 v[14:15], 2, v[12:13]
	v_mov_b32_e32 v12, s29
	v_add_co_u32_e32 v16, vcc, s28, v14
	v_addc_co_u32_e64 v17, s[2:3], v12, v15, vcc
	v_lshlrev_b64 v[12:13], 2, v[18:19]
	v_mov_b32_e32 v14, s29
	v_add_co_u32_e64 v18, s[2:3], s28, v12
	v_addc_co_u32_e64 v19, s[8:9], v14, v13, s[2:3]
	global_load_dword v12, v[16:17], off
	global_load_dword v14, v[18:19], off
	s_mov_b64 s[38:39], -1
	s_waitcnt vmcnt(0)
	v_cmp_eq_f32_e64 s[8:9], v12, v14
	s_and_saveexec_b64 s[18:19], s[8:9]
	s_cbranch_execz .LBB931_86
; %bb.80:
	v_mov_b32_e32 v12, s29
	v_addc_co_u32_e64 v13, s[2:3], v13, v12, s[2:3]
	v_add_co_u32_e64 v12, s[2:3], 4, v18
	v_mov_b32_e32 v14, s29
	v_addc_co_u32_e64 v13, s[2:3], 0, v13, s[2:3]
	v_addc_co_u32_e32 v15, vcc, v15, v14, vcc
	v_add_co_u32_e32 v14, vcc, 4, v16
	s_add_u32 s2, s26, -1
	v_addc_co_u32_e32 v15, vcc, 0, v15, vcc
	s_addc_u32 s3, s27, -1
	s_mov_b64 s[8:9], 0
	s_mov_b64 s[40:41], 0
                                        ; implicit-def: $sgpr38_sgpr39
	s_branch .LBB931_83
.LBB931_81:                             ;   in Loop: Header=BB931_83 Depth=1
	global_load_dword v16, v[14:15], off
	global_load_dword v17, v[12:13], off
	v_add_co_u32_e32 v12, vcc, 4, v12
	v_addc_co_u32_e32 v13, vcc, 0, v13, vcc
	v_add_co_u32_e32 v14, vcc, 4, v14
	v_addc_co_u32_e32 v15, vcc, 0, v15, vcc
	s_add_u32 s40, s40, 1
	s_addc_u32 s41, s41, 0
	s_andn2_b64 s[38:39], s[38:39], exec
	s_waitcnt vmcnt(0)
	v_cmp_neq_f32_e32 vcc, v16, v17
	s_and_b64 s[42:43], vcc, exec
	s_or_b64 s[38:39], s[38:39], s[42:43]
.LBB931_82:                             ;   in Loop: Header=BB931_83 Depth=1
	s_and_b64 s[42:43], exec, s[38:39]
	s_or_b64 s[8:9], s[42:43], s[8:9]
	v_pk_mov_b32 v[16:17], s[40:41], s[40:41] op_sel:[0,1]
	s_andn2_b64 exec, exec, s[8:9]
	s_cbranch_execz .LBB931_85
.LBB931_83:                             ; =>This Inner Loop Header: Depth=1
	s_or_b64 s[38:39], s[38:39], exec
	s_cmp_eq_u64 s[2:3], s[40:41]
	s_cbranch_scc0 .LBB931_81
; %bb.84:                               ;   in Loop: Header=BB931_83 Depth=1
                                        ; implicit-def: $vgpr12_vgpr13
                                        ; implicit-def: $vgpr14_vgpr15
	s_mov_b64 s[40:41], s[26:27]
	s_branch .LBB931_82
.LBB931_85:
	s_or_b64 exec, exec, s[8:9]
	v_cmp_gt_i64_e32 vcc, s[26:27], v[16:17]
	s_orn2_b64 s[38:39], vcc, exec
.LBB931_86:
	s_or_b64 exec, exec, s[18:19]
.LBB931_87:
	s_and_b64 s[18:19], s[38:39], exec
.LBB931_88:
	s_or_b64 exec, exec, s[36:37]
	v_cmp_gt_u32_e32 vcc, s7, v22
	s_mov_b64 s[36:37], 0
	s_mov_b64 s[38:39], 0
	s_and_saveexec_b64 s[40:41], vcc
	s_cbranch_execz .LBB931_99
; %bb.89:
	s_and_b64 vcc, exec, s[0:1]
	s_mov_b64 s[42:43], 0
	s_cbranch_vccnz .LBB931_98
; %bb.90:
	s_waitcnt lgkmcnt(0)
	v_mul_lo_u32 v14, v9, s26
	v_mul_lo_u32 v15, v8, s27
	v_mad_u64_u32 v[12:13], s[2:3], v8, s26, 0
	v_add3_u32 v13, v13, v15, v14
	v_mul_lo_u32 v14, v3, s26
	v_mul_lo_u32 v15, v2, s27
	v_mad_u64_u32 v[18:19], s[2:3], v2, s26, 0
	v_add3_u32 v19, v19, v15, v14
	v_lshlrev_b64 v[14:15], 2, v[12:13]
	v_mov_b32_e32 v12, s29
	v_add_co_u32_e32 v16, vcc, s28, v14
	v_addc_co_u32_e64 v17, s[2:3], v12, v15, vcc
	v_lshlrev_b64 v[12:13], 2, v[18:19]
	v_mov_b32_e32 v14, s29
	v_add_co_u32_e64 v18, s[2:3], s28, v12
	v_addc_co_u32_e64 v19, s[8:9], v14, v13, s[2:3]
	global_load_dword v12, v[16:17], off
	global_load_dword v14, v[18:19], off
	s_mov_b64 s[42:43], -1
	s_waitcnt vmcnt(0)
	v_cmp_eq_f32_e64 s[8:9], v12, v14
	s_and_saveexec_b64 s[38:39], s[8:9]
	s_cbranch_execz .LBB931_97
; %bb.91:
	v_mov_b32_e32 v12, s29
	v_addc_co_u32_e64 v13, s[2:3], v13, v12, s[2:3]
	v_add_co_u32_e64 v12, s[2:3], 4, v18
	v_mov_b32_e32 v14, s29
	v_addc_co_u32_e64 v13, s[2:3], 0, v13, s[2:3]
	v_addc_co_u32_e32 v15, vcc, v15, v14, vcc
	v_add_co_u32_e32 v14, vcc, 4, v16
	s_add_u32 s2, s26, -1
	v_addc_co_u32_e32 v15, vcc, 0, v15, vcc
	s_addc_u32 s3, s27, -1
	s_mov_b64 s[8:9], 0
	s_mov_b64 s[44:45], 0
                                        ; implicit-def: $sgpr42_sgpr43
	s_branch .LBB931_94
.LBB931_92:                             ;   in Loop: Header=BB931_94 Depth=1
	global_load_dword v16, v[14:15], off
	global_load_dword v17, v[12:13], off
	v_add_co_u32_e32 v12, vcc, 4, v12
	v_addc_co_u32_e32 v13, vcc, 0, v13, vcc
	v_add_co_u32_e32 v14, vcc, 4, v14
	v_addc_co_u32_e32 v15, vcc, 0, v15, vcc
	s_add_u32 s44, s44, 1
	s_addc_u32 s45, s45, 0
	s_andn2_b64 s[42:43], s[42:43], exec
	s_waitcnt vmcnt(0)
	v_cmp_neq_f32_e32 vcc, v16, v17
	s_and_b64 s[46:47], vcc, exec
	s_or_b64 s[42:43], s[42:43], s[46:47]
.LBB931_93:                             ;   in Loop: Header=BB931_94 Depth=1
	s_and_b64 s[46:47], exec, s[42:43]
	s_or_b64 s[8:9], s[46:47], s[8:9]
	v_pk_mov_b32 v[16:17], s[44:45], s[44:45] op_sel:[0,1]
	s_andn2_b64 exec, exec, s[8:9]
	s_cbranch_execz .LBB931_96
.LBB931_94:                             ; =>This Inner Loop Header: Depth=1
	s_or_b64 s[42:43], s[42:43], exec
	s_cmp_eq_u64 s[2:3], s[44:45]
	s_cbranch_scc0 .LBB931_92
; %bb.95:                               ;   in Loop: Header=BB931_94 Depth=1
                                        ; implicit-def: $vgpr12_vgpr13
                                        ; implicit-def: $vgpr14_vgpr15
	s_mov_b64 s[44:45], s[26:27]
	s_branch .LBB931_93
.LBB931_96:
	s_or_b64 exec, exec, s[8:9]
	v_cmp_gt_i64_e32 vcc, s[26:27], v[16:17]
	s_orn2_b64 s[42:43], vcc, exec
.LBB931_97:
	s_or_b64 exec, exec, s[38:39]
.LBB931_98:
	s_and_b64 s[38:39], s[42:43], exec
.LBB931_99:
	s_or_b64 exec, exec, s[40:41]
	v_cmp_gt_u32_e32 vcc, s7, v24
	s_and_saveexec_b64 s[40:41], vcc
	s_cbranch_execz .LBB931_110
; %bb.100:
	s_and_b64 vcc, exec, s[0:1]
	s_mov_b64 s[42:43], 0
	s_cbranch_vccnz .LBB931_109
; %bb.101:
	s_waitcnt lgkmcnt(0)
	v_mul_lo_u32 v14, v7, s26
	v_mul_lo_u32 v15, v6, s27
	v_mad_u64_u32 v[12:13], s[2:3], v6, s26, 0
	v_add3_u32 v13, v13, v15, v14
	v_mul_lo_u32 v14, v9, s26
	v_mul_lo_u32 v15, v8, s27
	v_mad_u64_u32 v[18:19], s[2:3], v8, s26, 0
	v_add3_u32 v19, v19, v15, v14
	v_lshlrev_b64 v[14:15], 2, v[12:13]
	v_mov_b32_e32 v12, s29
	v_add_co_u32_e32 v16, vcc, s28, v14
	v_addc_co_u32_e64 v17, s[2:3], v12, v15, vcc
	v_lshlrev_b64 v[12:13], 2, v[18:19]
	v_mov_b32_e32 v14, s29
	v_add_co_u32_e64 v18, s[2:3], s28, v12
	v_addc_co_u32_e64 v19, s[8:9], v14, v13, s[2:3]
	global_load_dword v12, v[16:17], off
	global_load_dword v14, v[18:19], off
	s_mov_b64 s[42:43], -1
	s_waitcnt vmcnt(0)
	v_cmp_eq_f32_e64 s[8:9], v12, v14
	s_and_saveexec_b64 s[36:37], s[8:9]
	s_cbranch_execz .LBB931_108
; %bb.102:
	v_mov_b32_e32 v12, s29
	v_addc_co_u32_e64 v13, s[2:3], v13, v12, s[2:3]
	v_add_co_u32_e64 v12, s[2:3], 4, v18
	v_mov_b32_e32 v14, s29
	v_addc_co_u32_e64 v13, s[2:3], 0, v13, s[2:3]
	v_addc_co_u32_e32 v15, vcc, v15, v14, vcc
	v_add_co_u32_e32 v14, vcc, 4, v16
	s_add_u32 s2, s26, -1
	v_addc_co_u32_e32 v15, vcc, 0, v15, vcc
	s_addc_u32 s3, s27, -1
	s_mov_b64 s[8:9], 0
	s_mov_b64 s[44:45], 0
                                        ; implicit-def: $sgpr42_sgpr43
	s_branch .LBB931_105
.LBB931_103:                            ;   in Loop: Header=BB931_105 Depth=1
	global_load_dword v16, v[14:15], off
	global_load_dword v17, v[12:13], off
	v_add_co_u32_e32 v12, vcc, 4, v12
	v_addc_co_u32_e32 v13, vcc, 0, v13, vcc
	v_add_co_u32_e32 v14, vcc, 4, v14
	v_addc_co_u32_e32 v15, vcc, 0, v15, vcc
	s_add_u32 s44, s44, 1
	s_addc_u32 s45, s45, 0
	s_andn2_b64 s[42:43], s[42:43], exec
	s_waitcnt vmcnt(0)
	v_cmp_neq_f32_e32 vcc, v16, v17
	s_and_b64 s[46:47], vcc, exec
	s_or_b64 s[42:43], s[42:43], s[46:47]
.LBB931_104:                            ;   in Loop: Header=BB931_105 Depth=1
	s_and_b64 s[46:47], exec, s[42:43]
	s_or_b64 s[8:9], s[46:47], s[8:9]
	v_pk_mov_b32 v[16:17], s[44:45], s[44:45] op_sel:[0,1]
	s_andn2_b64 exec, exec, s[8:9]
	s_cbranch_execz .LBB931_107
.LBB931_105:                            ; =>This Inner Loop Header: Depth=1
	s_or_b64 s[42:43], s[42:43], exec
	s_cmp_eq_u64 s[2:3], s[44:45]
	s_cbranch_scc0 .LBB931_103
; %bb.106:                              ;   in Loop: Header=BB931_105 Depth=1
                                        ; implicit-def: $vgpr12_vgpr13
                                        ; implicit-def: $vgpr14_vgpr15
	s_mov_b64 s[44:45], s[26:27]
	s_branch .LBB931_104
.LBB931_107:
	s_or_b64 exec, exec, s[8:9]
	v_cmp_gt_i64_e32 vcc, s[26:27], v[16:17]
	s_orn2_b64 s[42:43], vcc, exec
.LBB931_108:
	s_or_b64 exec, exec, s[36:37]
.LBB931_109:
	s_and_b64 s[36:37], s[42:43], exec
.LBB931_110:
	s_or_b64 exec, exec, s[40:41]
	v_cmp_ne_u32_e32 vcc, 0, v0
	s_waitcnt lgkmcnt(0)
	v_pk_mov_b32 v[12:13], s[12:13], s[12:13] op_sel:[0,1]
	s_barrier
	s_and_saveexec_b64 s[2:3], vcc
	s_cbranch_execz .LBB931_112
; %bb.111:
	v_add_u32_e32 v12, -8, v21
	ds_read_b64 v[12:13], v12
.LBB931_112:
	s_or_b64 exec, exec, s[2:3]
	v_cndmask_b32_e64 v15, 0, 1, s[18:19]
	v_cndmask_b32_e64 v14, 0, 1, s[38:39]
	;; [unrolled: 1-line block ×3, first 2 shown]
	v_lshlrev_b16_e32 v15, 8, v15
	v_cmp_gt_u32_e32 vcc, s7, v1
	v_lshlrev_b16_e32 v21, 8, v16
	v_or_b32_sdwa v26, v14, v15 dst_sel:WORD_1 dst_unused:UNUSED_PAD src0_sel:DWORD src1_sel:DWORD
	s_mov_b64 s[18:19], 0
	s_and_saveexec_b64 s[8:9], vcc
	s_cbranch_execz .LBB931_123
; %bb.113:
	s_and_b64 vcc, exec, s[0:1]
	s_cbranch_vccnz .LBB931_122
; %bb.114:
	s_waitcnt lgkmcnt(0)
	v_mul_lo_u32 v14, v13, s26
	v_mul_lo_u32 v15, v12, s27
	v_mad_u64_u32 v[12:13], s[0:1], v12, s26, 0
	v_add3_u32 v13, v13, v15, v14
	v_mul_lo_u32 v14, v7, s26
	v_mul_lo_u32 v15, v6, s27
	v_mad_u64_u32 v[18:19], s[0:1], v6, s26, 0
	v_add3_u32 v19, v19, v15, v14
	v_lshlrev_b64 v[14:15], 2, v[12:13]
	v_mov_b32_e32 v12, s29
	v_add_co_u32_e32 v16, vcc, s28, v14
	v_addc_co_u32_e64 v17, s[0:1], v12, v15, vcc
	v_lshlrev_b64 v[12:13], 2, v[18:19]
	v_mov_b32_e32 v14, s29
	v_add_co_u32_e64 v18, s[0:1], s28, v12
	v_addc_co_u32_e64 v19, s[2:3], v14, v13, s[0:1]
	global_load_dword v12, v[16:17], off
	global_load_dword v14, v[18:19], off
	s_mov_b64 s[18:19], -1
	s_waitcnt vmcnt(0)
	v_cmp_eq_f32_e64 s[2:3], v12, v14
	s_and_saveexec_b64 s[12:13], s[2:3]
	s_cbranch_execz .LBB931_121
; %bb.115:
	v_mov_b32_e32 v12, s29
	v_addc_co_u32_e64 v13, s[0:1], v13, v12, s[0:1]
	v_add_co_u32_e64 v12, s[0:1], 4, v18
	v_mov_b32_e32 v14, s29
	v_addc_co_u32_e64 v13, s[0:1], 0, v13, s[0:1]
	v_addc_co_u32_e32 v15, vcc, v15, v14, vcc
	v_add_co_u32_e32 v14, vcc, 4, v16
	s_add_u32 s0, s26, -1
	v_addc_co_u32_e32 v15, vcc, 0, v15, vcc
	s_addc_u32 s1, s27, -1
	s_mov_b64 s[2:3], 0
	s_mov_b64 s[36:37], 0
                                        ; implicit-def: $sgpr18_sgpr19
	s_branch .LBB931_118
.LBB931_116:                            ;   in Loop: Header=BB931_118 Depth=1
	global_load_dword v16, v[14:15], off
	global_load_dword v17, v[12:13], off
	v_add_co_u32_e32 v12, vcc, 4, v12
	v_addc_co_u32_e32 v13, vcc, 0, v13, vcc
	v_add_co_u32_e32 v14, vcc, 4, v14
	v_addc_co_u32_e32 v15, vcc, 0, v15, vcc
	s_add_u32 s36, s36, 1
	s_addc_u32 s37, s37, 0
	s_andn2_b64 s[18:19], s[18:19], exec
	s_waitcnt vmcnt(0)
	v_cmp_neq_f32_e32 vcc, v16, v17
	s_and_b64 s[38:39], vcc, exec
	s_or_b64 s[18:19], s[18:19], s[38:39]
.LBB931_117:                            ;   in Loop: Header=BB931_118 Depth=1
	s_and_b64 s[38:39], exec, s[18:19]
	s_or_b64 s[2:3], s[38:39], s[2:3]
	v_pk_mov_b32 v[16:17], s[36:37], s[36:37] op_sel:[0,1]
	s_andn2_b64 exec, exec, s[2:3]
	s_cbranch_execz .LBB931_120
.LBB931_118:                            ; =>This Inner Loop Header: Depth=1
	s_or_b64 s[18:19], s[18:19], exec
	s_cmp_eq_u64 s[0:1], s[36:37]
	s_cbranch_scc0 .LBB931_116
; %bb.119:                              ;   in Loop: Header=BB931_118 Depth=1
                                        ; implicit-def: $vgpr12_vgpr13
                                        ; implicit-def: $vgpr14_vgpr15
	s_mov_b64 s[36:37], s[26:27]
	s_branch .LBB931_117
.LBB931_120:
	s_or_b64 exec, exec, s[2:3]
	v_cmp_gt_i64_e32 vcc, s[26:27], v[16:17]
	s_orn2_b64 s[18:19], vcc, exec
.LBB931_121:
	s_or_b64 exec, exec, s[12:13]
.LBB931_122:
	s_and_b64 s[18:19], s[18:19], exec
.LBB931_123:
	s_or_b64 exec, exec, s[8:9]
	s_waitcnt lgkmcnt(0)
	v_cndmask_b32_e64 v13, 0, 1, s[14:15]
	v_or_b32_e32 v16, v21, v26
.LBB931_124:
	s_waitcnt lgkmcnt(0)
	s_mov_b64 s[12:13], -1
	s_cbranch_execnz .LBB931_233
.LBB931_125:
	v_lshlrev_b32_e32 v12, 5, v0
	v_sub_u32_e32 v26, v20, v12
	s_mov_b64 s[18:19], 0
	v_cmp_gt_i64_e64 s[14:15], s[26:27], 0
	s_and_b64 vcc, exec, s[34:35]
	ds_write_b64 v26, v[10:11]
	s_cbranch_vccz .LBB931_133
; %bb.126:
	v_mul_lo_u32 v14, v5, s26
	v_mul_lo_u32 v15, v4, s27
	v_mad_u64_u32 v[12:13], s[0:1], v4, s26, 0
	v_add3_u32 v13, v13, v15, v14
	v_cndmask_b32_e64 v14, 0, 1, s[14:15]
	v_cmp_ne_u32_e64 s[0:1], 1, v14
	s_andn2_b64 vcc, exec, s[14:15]
	v_lshlrev_b64 v[12:13], 2, v[12:13]
	s_cbranch_vccnz .LBB931_136
; %bb.127:
	v_mul_lo_u32 v16, v11, s26
	v_mul_lo_u32 v17, v10, s27
	v_mad_u64_u32 v[14:15], s[2:3], v10, s26, 0
	v_add3_u32 v15, v15, v17, v16
	v_mov_b32_e32 v17, s29
	v_add_co_u32_e32 v16, vcc, s28, v12
	v_addc_co_u32_e64 v17, s[2:3], v17, v13, vcc
	v_lshlrev_b64 v[14:15], 2, v[14:15]
	v_mov_b32_e32 v19, s29
	v_add_co_u32_e64 v18, s[2:3], s28, v14
	v_addc_co_u32_e64 v19, s[8:9], v19, v15, s[2:3]
	global_load_dword v14, v[16:17], off
	global_load_dword v20, v[18:19], off
	s_mov_b64 s[18:19], -1
	s_waitcnt vmcnt(0)
	v_cmp_eq_f32_e64 s[8:9], v14, v20
	s_and_saveexec_b64 s[36:37], s[8:9]
	s_cbranch_execz .LBB931_135
; %bb.128:
	v_mov_b32_e32 v14, s29
	v_addc_co_u32_e64 v15, s[2:3], v15, v14, s[2:3]
	v_add_co_u32_e64 v14, s[2:3], 4, v18
	v_mov_b32_e32 v17, s29
	v_addc_co_u32_e64 v15, s[2:3], 0, v15, s[2:3]
	v_addc_co_u32_e32 v17, vcc, v13, v17, vcc
	v_add_co_u32_e32 v16, vcc, 4, v16
	s_add_u32 s2, s26, -1
	v_addc_co_u32_e32 v17, vcc, 0, v17, vcc
	s_addc_u32 s3, s27, -1
	s_mov_b64 s[8:9], 0
	s_mov_b64 s[38:39], 0
                                        ; implicit-def: $sgpr18_sgpr19
	s_branch .LBB931_131
.LBB931_129:                            ;   in Loop: Header=BB931_131 Depth=1
	global_load_dword v18, v[16:17], off
	global_load_dword v19, v[14:15], off
	v_add_co_u32_e32 v14, vcc, 4, v14
	v_addc_co_u32_e32 v15, vcc, 0, v15, vcc
	v_add_co_u32_e32 v16, vcc, 4, v16
	v_addc_co_u32_e32 v17, vcc, 0, v17, vcc
	s_add_u32 s38, s38, 1
	s_addc_u32 s39, s39, 0
	s_andn2_b64 s[18:19], s[18:19], exec
	s_waitcnt vmcnt(0)
	v_cmp_neq_f32_e32 vcc, v18, v19
	s_and_b64 s[40:41], vcc, exec
	s_or_b64 s[18:19], s[18:19], s[40:41]
.LBB931_130:                            ;   in Loop: Header=BB931_131 Depth=1
	s_and_b64 s[40:41], exec, s[18:19]
	s_or_b64 s[8:9], s[40:41], s[8:9]
	v_pk_mov_b32 v[18:19], s[38:39], s[38:39] op_sel:[0,1]
	s_andn2_b64 exec, exec, s[8:9]
	s_cbranch_execz .LBB931_134
.LBB931_131:                            ; =>This Inner Loop Header: Depth=1
	s_or_b64 s[18:19], s[18:19], exec
	s_cmp_eq_u64 s[2:3], s[38:39]
	s_cbranch_scc0 .LBB931_129
; %bb.132:                              ;   in Loop: Header=BB931_131 Depth=1
                                        ; implicit-def: $vgpr14_vgpr15
                                        ; implicit-def: $vgpr16_vgpr17
	s_mov_b64 s[38:39], s[26:27]
	s_branch .LBB931_130
.LBB931_133:
                                        ; implicit-def: $sgpr18_sgpr19
                                        ; implicit-def: $vgpr13
                                        ; implicit-def: $vgpr16
	s_cbranch_execnz .LBB931_175
	s_branch .LBB931_233
.LBB931_134:
	s_or_b64 exec, exec, s[8:9]
	v_cmp_gt_i64_e32 vcc, s[26:27], v[18:19]
	s_orn2_b64 s[18:19], vcc, exec
.LBB931_135:
	s_or_b64 exec, exec, s[36:37]
.LBB931_136:
	v_mul_lo_u32 v16, v3, s26
	v_mul_lo_u32 v17, v2, s27
	v_mad_u64_u32 v[14:15], s[2:3], v2, s26, 0
	v_add3_u32 v15, v15, v17, v16
	s_mov_b64 s[36:37], 0
	s_and_b64 vcc, exec, s[0:1]
	v_lshlrev_b64 v[14:15], 2, v[14:15]
	s_mov_b64 s[38:39], 0
	s_cbranch_vccnz .LBB931_145
; %bb.137:
	v_mov_b32_e32 v17, s29
	v_add_co_u32_e32 v16, vcc, s28, v14
	v_addc_co_u32_e64 v17, s[2:3], v17, v15, vcc
	v_mov_b32_e32 v19, s29
	v_add_co_u32_e64 v18, s[2:3], s28, v12
	v_addc_co_u32_e64 v19, s[8:9], v19, v13, s[2:3]
	global_load_dword v12, v[16:17], off
	global_load_dword v20, v[18:19], off
	s_mov_b64 s[38:39], -1
	s_waitcnt vmcnt(0)
	v_cmp_eq_f32_e64 s[8:9], v12, v20
	s_and_saveexec_b64 s[40:41], s[8:9]
	s_cbranch_execz .LBB931_144
; %bb.138:
	v_mov_b32_e32 v12, s29
	v_addc_co_u32_e64 v13, s[2:3], v13, v12, s[2:3]
	v_add_co_u32_e64 v12, s[2:3], 4, v18
	v_mov_b32_e32 v17, s29
	v_addc_co_u32_e64 v13, s[2:3], 0, v13, s[2:3]
	v_addc_co_u32_e32 v17, vcc, v15, v17, vcc
	v_add_co_u32_e32 v16, vcc, 4, v16
	s_add_u32 s2, s26, -1
	v_addc_co_u32_e32 v17, vcc, 0, v17, vcc
	s_addc_u32 s3, s27, -1
	s_mov_b64 s[8:9], 0
	s_mov_b64 s[42:43], 0
                                        ; implicit-def: $sgpr38_sgpr39
	s_branch .LBB931_141
.LBB931_139:                            ;   in Loop: Header=BB931_141 Depth=1
	global_load_dword v18, v[16:17], off
	global_load_dword v19, v[12:13], off
	v_add_co_u32_e32 v12, vcc, 4, v12
	v_addc_co_u32_e32 v13, vcc, 0, v13, vcc
	v_add_co_u32_e32 v16, vcc, 4, v16
	v_addc_co_u32_e32 v17, vcc, 0, v17, vcc
	s_add_u32 s42, s42, 1
	s_addc_u32 s43, s43, 0
	s_andn2_b64 s[38:39], s[38:39], exec
	s_waitcnt vmcnt(0)
	v_cmp_neq_f32_e32 vcc, v18, v19
	s_and_b64 s[44:45], vcc, exec
	s_or_b64 s[38:39], s[38:39], s[44:45]
.LBB931_140:                            ;   in Loop: Header=BB931_141 Depth=1
	s_and_b64 s[44:45], exec, s[38:39]
	s_or_b64 s[8:9], s[44:45], s[8:9]
	v_pk_mov_b32 v[18:19], s[42:43], s[42:43] op_sel:[0,1]
	s_andn2_b64 exec, exec, s[8:9]
	s_cbranch_execz .LBB931_143
.LBB931_141:                            ; =>This Inner Loop Header: Depth=1
	s_or_b64 s[38:39], s[38:39], exec
	s_cmp_eq_u64 s[2:3], s[42:43]
	s_cbranch_scc0 .LBB931_139
; %bb.142:                              ;   in Loop: Header=BB931_141 Depth=1
                                        ; implicit-def: $vgpr12_vgpr13
                                        ; implicit-def: $vgpr16_vgpr17
	s_mov_b64 s[42:43], s[26:27]
	s_branch .LBB931_140
.LBB931_143:
	s_or_b64 exec, exec, s[8:9]
	v_cmp_gt_i64_e32 vcc, s[26:27], v[18:19]
	s_orn2_b64 s[38:39], vcc, exec
.LBB931_144:
	s_or_b64 exec, exec, s[40:41]
.LBB931_145:
	v_mul_lo_u32 v16, v9, s26
	v_mul_lo_u32 v17, v8, s27
	v_mad_u64_u32 v[12:13], s[2:3], v8, s26, 0
	v_add3_u32 v13, v13, v17, v16
	s_and_b64 vcc, exec, s[0:1]
	v_lshlrev_b64 v[12:13], 2, v[12:13]
	s_cbranch_vccnz .LBB931_154
; %bb.146:
	v_mov_b32_e32 v17, s29
	v_add_co_u32_e32 v16, vcc, s28, v12
	v_addc_co_u32_e64 v17, s[2:3], v17, v13, vcc
	v_mov_b32_e32 v19, s29
	v_add_co_u32_e64 v18, s[2:3], s28, v14
	v_addc_co_u32_e64 v19, s[8:9], v19, v15, s[2:3]
	global_load_dword v14, v[16:17], off
	global_load_dword v20, v[18:19], off
	s_mov_b64 s[36:37], -1
	s_waitcnt vmcnt(0)
	v_cmp_eq_f32_e64 s[8:9], v14, v20
	s_and_saveexec_b64 s[40:41], s[8:9]
	s_cbranch_execz .LBB931_153
; %bb.147:
	v_mov_b32_e32 v14, s29
	v_addc_co_u32_e64 v15, s[2:3], v15, v14, s[2:3]
	v_add_co_u32_e64 v14, s[2:3], 4, v18
	v_mov_b32_e32 v17, s29
	v_addc_co_u32_e64 v15, s[2:3], 0, v15, s[2:3]
	v_addc_co_u32_e32 v17, vcc, v13, v17, vcc
	v_add_co_u32_e32 v16, vcc, 4, v16
	s_add_u32 s2, s26, -1
	v_addc_co_u32_e32 v17, vcc, 0, v17, vcc
	s_addc_u32 s3, s27, -1
	s_mov_b64 s[8:9], 0
	s_mov_b64 s[42:43], 0
                                        ; implicit-def: $sgpr36_sgpr37
	s_branch .LBB931_150
.LBB931_148:                            ;   in Loop: Header=BB931_150 Depth=1
	global_load_dword v18, v[16:17], off
	global_load_dword v19, v[14:15], off
	v_add_co_u32_e32 v14, vcc, 4, v14
	v_addc_co_u32_e32 v15, vcc, 0, v15, vcc
	v_add_co_u32_e32 v16, vcc, 4, v16
	v_addc_co_u32_e32 v17, vcc, 0, v17, vcc
	s_add_u32 s42, s42, 1
	s_addc_u32 s43, s43, 0
	s_andn2_b64 s[36:37], s[36:37], exec
	s_waitcnt vmcnt(0)
	v_cmp_neq_f32_e32 vcc, v18, v19
	s_and_b64 s[44:45], vcc, exec
	s_or_b64 s[36:37], s[36:37], s[44:45]
.LBB931_149:                            ;   in Loop: Header=BB931_150 Depth=1
	s_and_b64 s[44:45], exec, s[36:37]
	s_or_b64 s[8:9], s[44:45], s[8:9]
	v_pk_mov_b32 v[18:19], s[42:43], s[42:43] op_sel:[0,1]
	s_andn2_b64 exec, exec, s[8:9]
	s_cbranch_execz .LBB931_152
.LBB931_150:                            ; =>This Inner Loop Header: Depth=1
	s_or_b64 s[36:37], s[36:37], exec
	s_cmp_eq_u64 s[2:3], s[42:43]
	s_cbranch_scc0 .LBB931_148
; %bb.151:                              ;   in Loop: Header=BB931_150 Depth=1
                                        ; implicit-def: $vgpr14_vgpr15
                                        ; implicit-def: $vgpr16_vgpr17
	s_mov_b64 s[42:43], s[26:27]
	s_branch .LBB931_149
.LBB931_152:
	s_or_b64 exec, exec, s[8:9]
	v_cmp_gt_i64_e32 vcc, s[26:27], v[18:19]
	s_orn2_b64 s[36:37], vcc, exec
.LBB931_153:
	s_or_b64 exec, exec, s[40:41]
.LBB931_154:
	v_mul_lo_u32 v16, v7, s26
	v_mul_lo_u32 v17, v6, s27
	v_mad_u64_u32 v[14:15], s[2:3], v6, s26, 0
	v_add3_u32 v15, v15, v17, v16
	s_and_b64 vcc, exec, s[0:1]
	s_mov_b64 s[42:43], 0
	s_cbranch_vccnz .LBB931_163
; %bb.155:
	v_lshlrev_b64 v[16:17], 2, v[14:15]
	v_mov_b32_e32 v19, s29
	v_add_co_u32_e32 v18, vcc, s28, v16
	v_addc_co_u32_e64 v19, s[2:3], v19, v17, vcc
	v_mov_b32_e32 v16, s29
	v_add_co_u32_e64 v20, s[2:3], s28, v12
	v_addc_co_u32_e64 v21, s[8:9], v16, v13, s[2:3]
	global_load_dword v12, v[18:19], off
	global_load_dword v16, v[20:21], off
	s_mov_b64 s[42:43], -1
	s_waitcnt vmcnt(0)
	v_cmp_eq_f32_e64 s[8:9], v12, v16
	s_and_saveexec_b64 s[40:41], s[8:9]
	s_cbranch_execz .LBB931_162
; %bb.156:
	v_mov_b32_e32 v12, s29
	v_addc_co_u32_e64 v13, s[2:3], v13, v12, s[2:3]
	v_add_co_u32_e64 v12, s[2:3], 4, v20
	v_mov_b32_e32 v16, s29
	v_addc_co_u32_e64 v13, s[2:3], 0, v13, s[2:3]
	v_addc_co_u32_e32 v17, vcc, v17, v16, vcc
	v_add_co_u32_e32 v16, vcc, 4, v18
	s_add_u32 s2, s26, -1
	v_addc_co_u32_e32 v17, vcc, 0, v17, vcc
	s_addc_u32 s3, s27, -1
	s_mov_b64 s[8:9], 0
	s_mov_b64 s[44:45], 0
                                        ; implicit-def: $sgpr42_sgpr43
	s_branch .LBB931_159
.LBB931_157:                            ;   in Loop: Header=BB931_159 Depth=1
	global_load_dword v18, v[16:17], off
	global_load_dword v19, v[12:13], off
	v_add_co_u32_e32 v12, vcc, 4, v12
	v_addc_co_u32_e32 v13, vcc, 0, v13, vcc
	v_add_co_u32_e32 v16, vcc, 4, v16
	v_addc_co_u32_e32 v17, vcc, 0, v17, vcc
	s_add_u32 s44, s44, 1
	s_addc_u32 s45, s45, 0
	s_andn2_b64 s[42:43], s[42:43], exec
	s_waitcnt vmcnt(0)
	v_cmp_neq_f32_e32 vcc, v18, v19
	s_and_b64 s[46:47], vcc, exec
	s_or_b64 s[42:43], s[42:43], s[46:47]
.LBB931_158:                            ;   in Loop: Header=BB931_159 Depth=1
	s_and_b64 s[46:47], exec, s[42:43]
	s_or_b64 s[8:9], s[46:47], s[8:9]
	v_pk_mov_b32 v[18:19], s[44:45], s[44:45] op_sel:[0,1]
	s_andn2_b64 exec, exec, s[8:9]
	s_cbranch_execz .LBB931_161
.LBB931_159:                            ; =>This Inner Loop Header: Depth=1
	s_or_b64 s[42:43], s[42:43], exec
	s_cmp_eq_u64 s[2:3], s[44:45]
	s_cbranch_scc0 .LBB931_157
; %bb.160:                              ;   in Loop: Header=BB931_159 Depth=1
                                        ; implicit-def: $vgpr12_vgpr13
                                        ; implicit-def: $vgpr16_vgpr17
	s_mov_b64 s[44:45], s[26:27]
	s_branch .LBB931_158
.LBB931_161:
	s_or_b64 exec, exec, s[8:9]
	v_cmp_gt_i64_e32 vcc, s[26:27], v[18:19]
	s_orn2_b64 s[42:43], vcc, exec
.LBB931_162:
	s_or_b64 exec, exec, s[40:41]
.LBB931_163:
	v_cndmask_b32_e64 v13, 0, 1, s[38:39]
	v_cndmask_b32_e64 v16, 0, 1, s[42:43]
	;; [unrolled: 1-line block ×3, first 2 shown]
	v_lshlrev_b16_e32 v16, 8, v16
	v_lshlrev_b16_e32 v13, 8, v13
	v_or_b32_e32 v16, 1, v16
	v_or_b32_sdwa v12, v12, v13 dst_sel:WORD_1 dst_unused:UNUSED_PAD src0_sel:DWORD src1_sel:DWORD
	v_or_b32_sdwa v12, v16, v12 dst_sel:DWORD dst_unused:UNUSED_PAD src0_sel:WORD_0 src1_sel:DWORD
	v_cndmask_b32_e64 v13, 0, 1, s[18:19]
	v_cmp_ne_u32_e32 vcc, 0, v0
	s_waitcnt lgkmcnt(0)
	s_barrier
	s_waitcnt lgkmcnt(0)
                                        ; implicit-def: $sgpr18_sgpr19
                                        ; implicit-def: $vgpr16
	s_and_saveexec_b64 s[2:3], vcc
	s_xor_b64 s[8:9], exec, s[2:3]
	s_cbranch_execz .LBB931_174
; %bb.164:
	s_mov_b32 s33, 0x3020104
	s_and_b64 vcc, exec, s[0:1]
	s_mov_b64 s[36:37], 0
	s_cbranch_vccnz .LBB931_173
; %bb.165:
	v_add_u32_e32 v16, -8, v26
	ds_read_b64 v[16:17], v16
	v_mov_b32_e32 v19, s29
	v_lshlrev_b64 v[14:15], 2, v[14:15]
	s_mov_b64 s[36:37], -1
	s_waitcnt lgkmcnt(0)
	v_mul_lo_u32 v18, v17, s26
	v_mul_lo_u32 v20, v16, s27
	v_mad_u64_u32 v[16:17], s[0:1], v16, s26, 0
	v_add3_u32 v17, v17, v20, v18
	v_lshlrev_b64 v[16:17], 2, v[16:17]
	v_add_co_u32_e32 v18, vcc, s28, v16
	v_addc_co_u32_e64 v19, s[0:1], v19, v17, vcc
	v_mov_b32_e32 v16, s29
	v_add_co_u32_e64 v20, s[0:1], s28, v14
	v_addc_co_u32_e64 v21, s[2:3], v16, v15, s[0:1]
	global_load_dword v14, v[18:19], off
	global_load_dword v16, v[20:21], off
	s_waitcnt vmcnt(0)
	v_cmp_eq_f32_e64 s[2:3], v14, v16
	s_and_saveexec_b64 s[18:19], s[2:3]
	s_cbranch_execz .LBB931_172
; %bb.166:
	v_mov_b32_e32 v14, s29
	v_addc_co_u32_e64 v15, s[0:1], v15, v14, s[0:1]
	v_add_co_u32_e64 v14, s[0:1], 4, v20
	v_mov_b32_e32 v16, s29
	v_addc_co_u32_e64 v15, s[0:1], 0, v15, s[0:1]
	v_addc_co_u32_e32 v17, vcc, v17, v16, vcc
	v_add_co_u32_e32 v16, vcc, 4, v18
	s_add_u32 s0, s26, -1
	v_addc_co_u32_e32 v17, vcc, 0, v17, vcc
	s_addc_u32 s1, s27, -1
	s_mov_b64 s[2:3], 0
	s_mov_b64 s[38:39], 0
                                        ; implicit-def: $sgpr36_sgpr37
	s_branch .LBB931_169
.LBB931_167:                            ;   in Loop: Header=BB931_169 Depth=1
	global_load_dword v18, v[16:17], off
	global_load_dword v19, v[14:15], off
	v_add_co_u32_e32 v14, vcc, 4, v14
	v_addc_co_u32_e32 v15, vcc, 0, v15, vcc
	v_add_co_u32_e32 v16, vcc, 4, v16
	v_addc_co_u32_e32 v17, vcc, 0, v17, vcc
	s_add_u32 s38, s38, 1
	s_addc_u32 s39, s39, 0
	s_andn2_b64 s[36:37], s[36:37], exec
	s_waitcnt vmcnt(0)
	v_cmp_neq_f32_e32 vcc, v18, v19
	s_and_b64 s[40:41], vcc, exec
	s_or_b64 s[36:37], s[36:37], s[40:41]
.LBB931_168:                            ;   in Loop: Header=BB931_169 Depth=1
	s_and_b64 s[40:41], exec, s[36:37]
	s_or_b64 s[2:3], s[40:41], s[2:3]
	v_pk_mov_b32 v[18:19], s[38:39], s[38:39] op_sel:[0,1]
	s_andn2_b64 exec, exec, s[2:3]
	s_cbranch_execz .LBB931_171
.LBB931_169:                            ; =>This Inner Loop Header: Depth=1
	s_or_b64 s[36:37], s[36:37], exec
	s_cmp_eq_u64 s[0:1], s[38:39]
	s_cbranch_scc0 .LBB931_167
; %bb.170:                              ;   in Loop: Header=BB931_169 Depth=1
                                        ; implicit-def: $vgpr14_vgpr15
                                        ; implicit-def: $vgpr16_vgpr17
	s_mov_b64 s[38:39], s[26:27]
	s_branch .LBB931_168
.LBB931_171:
	s_or_b64 exec, exec, s[2:3]
	v_cmp_gt_i64_e32 vcc, s[26:27], v[18:19]
	s_orn2_b64 s[36:37], vcc, exec
.LBB931_172:
	s_or_b64 exec, exec, s[18:19]
.LBB931_173:
	v_perm_b32 v16, v12, v12, s33
	s_and_b64 s[18:19], s[36:37], exec
	s_or_b64 s[12:13], s[12:13], exec
.LBB931_174:
	s_or_b64 exec, exec, s[8:9]
	s_branch .LBB931_233
.LBB931_175:
	v_cmp_gt_u32_e32 vcc, s7, v23
	s_mov_b64 s[18:19], 0
	s_mov_b64 s[8:9], 0
	s_and_saveexec_b64 s[36:37], vcc
	s_cbranch_execz .LBB931_186
; %bb.176:
	s_andn2_b64 vcc, exec, s[14:15]
	s_mov_b64 s[38:39], 0
	s_cbranch_vccnz .LBB931_185
; %bb.177:
	v_mul_lo_u32 v14, v5, s26
	v_mul_lo_u32 v15, v4, s27
	v_mad_u64_u32 v[12:13], s[0:1], v4, s26, 0
	v_add3_u32 v13, v13, v15, v14
	v_mul_lo_u32 v14, v11, s26
	v_mul_lo_u32 v15, v10, s27
	v_mad_u64_u32 v[18:19], s[0:1], v10, s26, 0
	v_add3_u32 v19, v19, v15, v14
	v_lshlrev_b64 v[14:15], 2, v[12:13]
	v_mov_b32_e32 v12, s29
	v_add_co_u32_e32 v16, vcc, s28, v14
	v_addc_co_u32_e64 v17, s[0:1], v12, v15, vcc
	v_lshlrev_b64 v[12:13], 2, v[18:19]
	v_mov_b32_e32 v14, s29
	v_add_co_u32_e64 v18, s[0:1], s28, v12
	v_addc_co_u32_e64 v19, s[2:3], v14, v13, s[0:1]
	global_load_dword v12, v[16:17], off
	global_load_dword v14, v[18:19], off
	s_mov_b64 s[38:39], -1
	s_waitcnt vmcnt(0)
	v_cmp_eq_f32_e64 s[2:3], v12, v14
	s_and_saveexec_b64 s[8:9], s[2:3]
	s_cbranch_execz .LBB931_184
; %bb.178:
	v_mov_b32_e32 v12, s29
	v_addc_co_u32_e64 v13, s[0:1], v13, v12, s[0:1]
	v_add_co_u32_e64 v12, s[0:1], 4, v18
	v_mov_b32_e32 v14, s29
	v_addc_co_u32_e64 v13, s[0:1], 0, v13, s[0:1]
	v_addc_co_u32_e32 v15, vcc, v15, v14, vcc
	v_add_co_u32_e32 v14, vcc, 4, v16
	s_add_u32 s0, s26, -1
	v_addc_co_u32_e32 v15, vcc, 0, v15, vcc
	s_addc_u32 s1, s27, -1
	s_mov_b64 s[2:3], 0
	s_mov_b64 s[40:41], 0
                                        ; implicit-def: $sgpr38_sgpr39
	s_branch .LBB931_181
.LBB931_179:                            ;   in Loop: Header=BB931_181 Depth=1
	global_load_dword v16, v[14:15], off
	global_load_dword v17, v[12:13], off
	v_add_co_u32_e32 v12, vcc, 4, v12
	v_addc_co_u32_e32 v13, vcc, 0, v13, vcc
	v_add_co_u32_e32 v14, vcc, 4, v14
	v_addc_co_u32_e32 v15, vcc, 0, v15, vcc
	s_add_u32 s40, s40, 1
	s_addc_u32 s41, s41, 0
	s_andn2_b64 s[38:39], s[38:39], exec
	s_waitcnt vmcnt(0)
	v_cmp_neq_f32_e32 vcc, v16, v17
	s_and_b64 s[42:43], vcc, exec
	s_or_b64 s[38:39], s[38:39], s[42:43]
.LBB931_180:                            ;   in Loop: Header=BB931_181 Depth=1
	s_and_b64 s[42:43], exec, s[38:39]
	s_or_b64 s[2:3], s[42:43], s[2:3]
	v_pk_mov_b32 v[16:17], s[40:41], s[40:41] op_sel:[0,1]
	s_andn2_b64 exec, exec, s[2:3]
	s_cbranch_execz .LBB931_183
.LBB931_181:                            ; =>This Inner Loop Header: Depth=1
	s_or_b64 s[38:39], s[38:39], exec
	s_cmp_eq_u64 s[0:1], s[40:41]
	s_cbranch_scc0 .LBB931_179
; %bb.182:                              ;   in Loop: Header=BB931_181 Depth=1
                                        ; implicit-def: $vgpr12_vgpr13
                                        ; implicit-def: $vgpr14_vgpr15
	s_mov_b64 s[40:41], s[26:27]
	s_branch .LBB931_180
.LBB931_183:
	s_or_b64 exec, exec, s[2:3]
	v_cmp_gt_i64_e32 vcc, s[26:27], v[16:17]
	s_orn2_b64 s[38:39], vcc, exec
.LBB931_184:
	s_or_b64 exec, exec, s[8:9]
.LBB931_185:
	s_and_b64 s[8:9], s[38:39], exec
.LBB931_186:
	s_or_b64 exec, exec, s[36:37]
	v_cmp_gt_u32_e32 vcc, s7, v25
	s_and_saveexec_b64 s[36:37], vcc
	s_cbranch_execz .LBB931_197
; %bb.187:
	s_andn2_b64 vcc, exec, s[14:15]
	s_mov_b64 s[38:39], 0
	s_cbranch_vccnz .LBB931_196
; %bb.188:
	v_mul_lo_u32 v14, v3, s26
	v_mul_lo_u32 v15, v2, s27
	v_mad_u64_u32 v[12:13], s[0:1], v2, s26, 0
	v_add3_u32 v13, v13, v15, v14
	v_mul_lo_u32 v14, v5, s26
	v_mul_lo_u32 v15, v4, s27
	v_mad_u64_u32 v[18:19], s[0:1], v4, s26, 0
	v_add3_u32 v19, v19, v15, v14
	v_lshlrev_b64 v[14:15], 2, v[12:13]
	v_mov_b32_e32 v12, s29
	v_add_co_u32_e32 v16, vcc, s28, v14
	v_addc_co_u32_e64 v17, s[0:1], v12, v15, vcc
	v_lshlrev_b64 v[12:13], 2, v[18:19]
	v_mov_b32_e32 v14, s29
	v_add_co_u32_e64 v18, s[0:1], s28, v12
	v_addc_co_u32_e64 v19, s[2:3], v14, v13, s[0:1]
	global_load_dword v12, v[16:17], off
	global_load_dword v14, v[18:19], off
	s_mov_b64 s[38:39], -1
	s_waitcnt vmcnt(0)
	v_cmp_eq_f32_e64 s[2:3], v12, v14
	s_and_saveexec_b64 s[18:19], s[2:3]
	s_cbranch_execz .LBB931_195
; %bb.189:
	v_mov_b32_e32 v12, s29
	v_addc_co_u32_e64 v13, s[0:1], v13, v12, s[0:1]
	v_add_co_u32_e64 v12, s[0:1], 4, v18
	v_mov_b32_e32 v14, s29
	v_addc_co_u32_e64 v13, s[0:1], 0, v13, s[0:1]
	v_addc_co_u32_e32 v15, vcc, v15, v14, vcc
	v_add_co_u32_e32 v14, vcc, 4, v16
	s_add_u32 s0, s26, -1
	v_addc_co_u32_e32 v15, vcc, 0, v15, vcc
	s_addc_u32 s1, s27, -1
	s_mov_b64 s[2:3], 0
	s_mov_b64 s[40:41], 0
                                        ; implicit-def: $sgpr38_sgpr39
	s_branch .LBB931_192
.LBB931_190:                            ;   in Loop: Header=BB931_192 Depth=1
	global_load_dword v16, v[14:15], off
	global_load_dword v17, v[12:13], off
	v_add_co_u32_e32 v12, vcc, 4, v12
	v_addc_co_u32_e32 v13, vcc, 0, v13, vcc
	v_add_co_u32_e32 v14, vcc, 4, v14
	v_addc_co_u32_e32 v15, vcc, 0, v15, vcc
	s_add_u32 s40, s40, 1
	s_addc_u32 s41, s41, 0
	s_andn2_b64 s[38:39], s[38:39], exec
	s_waitcnt vmcnt(0)
	v_cmp_neq_f32_e32 vcc, v16, v17
	s_and_b64 s[42:43], vcc, exec
	s_or_b64 s[38:39], s[38:39], s[42:43]
.LBB931_191:                            ;   in Loop: Header=BB931_192 Depth=1
	s_and_b64 s[42:43], exec, s[38:39]
	s_or_b64 s[2:3], s[42:43], s[2:3]
	v_pk_mov_b32 v[16:17], s[40:41], s[40:41] op_sel:[0,1]
	s_andn2_b64 exec, exec, s[2:3]
	s_cbranch_execz .LBB931_194
.LBB931_192:                            ; =>This Inner Loop Header: Depth=1
	s_or_b64 s[38:39], s[38:39], exec
	s_cmp_eq_u64 s[0:1], s[40:41]
	s_cbranch_scc0 .LBB931_190
; %bb.193:                              ;   in Loop: Header=BB931_192 Depth=1
                                        ; implicit-def: $vgpr12_vgpr13
                                        ; implicit-def: $vgpr14_vgpr15
	s_mov_b64 s[40:41], s[26:27]
	s_branch .LBB931_191
.LBB931_194:
	s_or_b64 exec, exec, s[2:3]
	v_cmp_gt_i64_e32 vcc, s[26:27], v[16:17]
	s_orn2_b64 s[38:39], vcc, exec
.LBB931_195:
	s_or_b64 exec, exec, s[18:19]
.LBB931_196:
	s_and_b64 s[18:19], s[38:39], exec
.LBB931_197:
	s_or_b64 exec, exec, s[36:37]
	v_cmp_gt_u32_e32 vcc, s7, v22
	s_mov_b64 s[36:37], 0
	s_mov_b64 s[38:39], 0
	s_and_saveexec_b64 s[40:41], vcc
	s_cbranch_execz .LBB931_208
; %bb.198:
	s_andn2_b64 vcc, exec, s[14:15]
	s_mov_b64 s[42:43], 0
	s_cbranch_vccnz .LBB931_207
; %bb.199:
	v_mul_lo_u32 v14, v9, s26
	v_mul_lo_u32 v15, v8, s27
	v_mad_u64_u32 v[12:13], s[0:1], v8, s26, 0
	v_add3_u32 v13, v13, v15, v14
	v_mul_lo_u32 v14, v3, s26
	v_mul_lo_u32 v15, v2, s27
	v_mad_u64_u32 v[18:19], s[0:1], v2, s26, 0
	v_add3_u32 v19, v19, v15, v14
	v_lshlrev_b64 v[14:15], 2, v[12:13]
	v_mov_b32_e32 v12, s29
	v_add_co_u32_e32 v16, vcc, s28, v14
	v_addc_co_u32_e64 v17, s[0:1], v12, v15, vcc
	v_lshlrev_b64 v[12:13], 2, v[18:19]
	v_mov_b32_e32 v14, s29
	v_add_co_u32_e64 v18, s[0:1], s28, v12
	v_addc_co_u32_e64 v19, s[2:3], v14, v13, s[0:1]
	global_load_dword v12, v[16:17], off
	global_load_dword v14, v[18:19], off
	s_mov_b64 s[42:43], -1
	s_waitcnt vmcnt(0)
	v_cmp_eq_f32_e64 s[2:3], v12, v14
	s_and_saveexec_b64 s[38:39], s[2:3]
	s_cbranch_execz .LBB931_206
; %bb.200:
	v_mov_b32_e32 v12, s29
	v_addc_co_u32_e64 v13, s[0:1], v13, v12, s[0:1]
	v_add_co_u32_e64 v12, s[0:1], 4, v18
	v_mov_b32_e32 v14, s29
	v_addc_co_u32_e64 v13, s[0:1], 0, v13, s[0:1]
	v_addc_co_u32_e32 v15, vcc, v15, v14, vcc
	v_add_co_u32_e32 v14, vcc, 4, v16
	s_add_u32 s0, s26, -1
	v_addc_co_u32_e32 v15, vcc, 0, v15, vcc
	s_addc_u32 s1, s27, -1
	s_mov_b64 s[2:3], 0
	s_mov_b64 s[44:45], 0
                                        ; implicit-def: $sgpr42_sgpr43
	s_branch .LBB931_203
.LBB931_201:                            ;   in Loop: Header=BB931_203 Depth=1
	global_load_dword v16, v[14:15], off
	global_load_dword v17, v[12:13], off
	v_add_co_u32_e32 v12, vcc, 4, v12
	v_addc_co_u32_e32 v13, vcc, 0, v13, vcc
	v_add_co_u32_e32 v14, vcc, 4, v14
	v_addc_co_u32_e32 v15, vcc, 0, v15, vcc
	s_add_u32 s44, s44, 1
	s_addc_u32 s45, s45, 0
	s_andn2_b64 s[42:43], s[42:43], exec
	s_waitcnt vmcnt(0)
	v_cmp_neq_f32_e32 vcc, v16, v17
	s_and_b64 s[46:47], vcc, exec
	s_or_b64 s[42:43], s[42:43], s[46:47]
.LBB931_202:                            ;   in Loop: Header=BB931_203 Depth=1
	s_and_b64 s[46:47], exec, s[42:43]
	s_or_b64 s[2:3], s[46:47], s[2:3]
	v_pk_mov_b32 v[16:17], s[44:45], s[44:45] op_sel:[0,1]
	s_andn2_b64 exec, exec, s[2:3]
	s_cbranch_execz .LBB931_205
.LBB931_203:                            ; =>This Inner Loop Header: Depth=1
	s_or_b64 s[42:43], s[42:43], exec
	s_cmp_eq_u64 s[0:1], s[44:45]
	s_cbranch_scc0 .LBB931_201
; %bb.204:                              ;   in Loop: Header=BB931_203 Depth=1
                                        ; implicit-def: $vgpr12_vgpr13
                                        ; implicit-def: $vgpr14_vgpr15
	s_mov_b64 s[44:45], s[26:27]
	s_branch .LBB931_202
.LBB931_205:
	s_or_b64 exec, exec, s[2:3]
	v_cmp_gt_i64_e32 vcc, s[26:27], v[16:17]
	s_orn2_b64 s[42:43], vcc, exec
.LBB931_206:
	s_or_b64 exec, exec, s[38:39]
.LBB931_207:
	s_and_b64 s[38:39], s[42:43], exec
.LBB931_208:
	s_or_b64 exec, exec, s[40:41]
	v_cmp_gt_u32_e32 vcc, s7, v24
	s_and_saveexec_b64 s[40:41], vcc
	s_cbranch_execz .LBB931_219
; %bb.209:
	s_andn2_b64 vcc, exec, s[14:15]
	s_mov_b64 s[42:43], 0
	s_cbranch_vccnz .LBB931_218
; %bb.210:
	v_mul_lo_u32 v14, v7, s26
	v_mul_lo_u32 v15, v6, s27
	v_mad_u64_u32 v[12:13], s[0:1], v6, s26, 0
	v_add3_u32 v13, v13, v15, v14
	v_mul_lo_u32 v14, v9, s26
	v_mul_lo_u32 v15, v8, s27
	v_mad_u64_u32 v[18:19], s[0:1], v8, s26, 0
	v_add3_u32 v19, v19, v15, v14
	v_lshlrev_b64 v[14:15], 2, v[12:13]
	v_mov_b32_e32 v12, s29
	v_add_co_u32_e32 v16, vcc, s28, v14
	v_addc_co_u32_e64 v17, s[0:1], v12, v15, vcc
	v_lshlrev_b64 v[12:13], 2, v[18:19]
	v_mov_b32_e32 v14, s29
	v_add_co_u32_e64 v18, s[0:1], s28, v12
	v_addc_co_u32_e64 v19, s[2:3], v14, v13, s[0:1]
	global_load_dword v12, v[16:17], off
	global_load_dword v14, v[18:19], off
	s_mov_b64 s[42:43], -1
	s_waitcnt vmcnt(0)
	v_cmp_eq_f32_e64 s[2:3], v12, v14
	s_and_saveexec_b64 s[36:37], s[2:3]
	s_cbranch_execz .LBB931_217
; %bb.211:
	v_mov_b32_e32 v12, s29
	v_addc_co_u32_e64 v13, s[0:1], v13, v12, s[0:1]
	v_add_co_u32_e64 v12, s[0:1], 4, v18
	v_mov_b32_e32 v14, s29
	v_addc_co_u32_e64 v13, s[0:1], 0, v13, s[0:1]
	v_addc_co_u32_e32 v15, vcc, v15, v14, vcc
	v_add_co_u32_e32 v14, vcc, 4, v16
	s_add_u32 s0, s26, -1
	v_addc_co_u32_e32 v15, vcc, 0, v15, vcc
	s_addc_u32 s1, s27, -1
	s_mov_b64 s[2:3], 0
	s_mov_b64 s[44:45], 0
                                        ; implicit-def: $sgpr42_sgpr43
	s_branch .LBB931_214
.LBB931_212:                            ;   in Loop: Header=BB931_214 Depth=1
	global_load_dword v16, v[14:15], off
	global_load_dword v17, v[12:13], off
	v_add_co_u32_e32 v12, vcc, 4, v12
	v_addc_co_u32_e32 v13, vcc, 0, v13, vcc
	v_add_co_u32_e32 v14, vcc, 4, v14
	v_addc_co_u32_e32 v15, vcc, 0, v15, vcc
	s_add_u32 s44, s44, 1
	s_addc_u32 s45, s45, 0
	s_andn2_b64 s[42:43], s[42:43], exec
	s_waitcnt vmcnt(0)
	v_cmp_neq_f32_e32 vcc, v16, v17
	s_and_b64 s[46:47], vcc, exec
	s_or_b64 s[42:43], s[42:43], s[46:47]
.LBB931_213:                            ;   in Loop: Header=BB931_214 Depth=1
	s_and_b64 s[46:47], exec, s[42:43]
	s_or_b64 s[2:3], s[46:47], s[2:3]
	v_pk_mov_b32 v[16:17], s[44:45], s[44:45] op_sel:[0,1]
	s_andn2_b64 exec, exec, s[2:3]
	s_cbranch_execz .LBB931_216
.LBB931_214:                            ; =>This Inner Loop Header: Depth=1
	s_or_b64 s[42:43], s[42:43], exec
	s_cmp_eq_u64 s[0:1], s[44:45]
	s_cbranch_scc0 .LBB931_212
; %bb.215:                              ;   in Loop: Header=BB931_214 Depth=1
                                        ; implicit-def: $vgpr12_vgpr13
                                        ; implicit-def: $vgpr14_vgpr15
	s_mov_b64 s[44:45], s[26:27]
	s_branch .LBB931_213
.LBB931_216:
	s_or_b64 exec, exec, s[2:3]
	v_cmp_gt_i64_e32 vcc, s[26:27], v[16:17]
	s_orn2_b64 s[42:43], vcc, exec
.LBB931_217:
	s_or_b64 exec, exec, s[36:37]
.LBB931_218:
	s_and_b64 s[36:37], s[42:43], exec
.LBB931_219:
	s_or_b64 exec, exec, s[40:41]
	v_cndmask_b32_e64 v13, 0, 1, s[18:19]
	v_cndmask_b32_e64 v14, 0, 1, s[36:37]
	;; [unrolled: 1-line block ×3, first 2 shown]
	v_lshlrev_b16_e32 v14, 8, v14
	v_lshlrev_b16_e32 v13, 8, v13
	v_or_b32_e32 v14, 1, v14
	v_or_b32_sdwa v12, v12, v13 dst_sel:WORD_1 dst_unused:UNUSED_PAD src0_sel:DWORD src1_sel:DWORD
	v_or_b32_sdwa v12, v14, v12 dst_sel:DWORD dst_unused:UNUSED_PAD src0_sel:WORD_0 src1_sel:DWORD
	v_cndmask_b32_e64 v13, 0, 1, s[8:9]
	v_cmp_ne_u32_e32 vcc, 0, v0
	s_waitcnt lgkmcnt(0)
	s_barrier
	s_waitcnt lgkmcnt(0)
                                        ; implicit-def: $sgpr18_sgpr19
                                        ; implicit-def: $vgpr16
	s_and_saveexec_b64 s[8:9], vcc
	s_cbranch_execz .LBB931_232
; %bb.220:
	v_cmp_gt_u32_e32 vcc, s7, v1
	s_mov_b32 s33, 0x3020104
	s_mov_b64 s[0:1], 0
	s_and_saveexec_b64 s[18:19], vcc
	s_cbranch_execz .LBB931_231
; %bb.221:
	s_andn2_b64 vcc, exec, s[14:15]
	s_mov_b64 s[36:37], 0
	s_cbranch_vccnz .LBB931_230
; %bb.222:
	v_add_u32_e32 v14, -8, v26
	ds_read_b64 v[14:15], v14
	v_mul_lo_u32 v16, v7, s26
	v_mad_u64_u32 v[20:21], s[0:1], v6, s26, 0
	s_mov_b64 s[36:37], -1
	s_waitcnt lgkmcnt(0)
	v_mul_lo_u32 v17, v15, s26
	v_mul_lo_u32 v18, v14, s27
	v_mad_u64_u32 v[14:15], s[0:1], v14, s26, 0
	v_add3_u32 v15, v15, v18, v17
	v_mul_lo_u32 v17, v6, s27
	v_add3_u32 v21, v21, v17, v16
	v_lshlrev_b64 v[16:17], 2, v[14:15]
	v_mov_b32_e32 v14, s29
	v_add_co_u32_e32 v18, vcc, s28, v16
	v_addc_co_u32_e64 v19, s[0:1], v14, v17, vcc
	v_lshlrev_b64 v[14:15], 2, v[20:21]
	v_mov_b32_e32 v16, s29
	v_add_co_u32_e64 v20, s[0:1], s28, v14
	v_addc_co_u32_e64 v21, s[2:3], v16, v15, s[0:1]
	global_load_dword v14, v[18:19], off
	global_load_dword v16, v[20:21], off
	s_waitcnt vmcnt(0)
	v_cmp_eq_f32_e64 s[2:3], v14, v16
	s_and_saveexec_b64 s[14:15], s[2:3]
	s_cbranch_execz .LBB931_229
; %bb.223:
	v_mov_b32_e32 v14, s29
	v_addc_co_u32_e64 v15, s[0:1], v15, v14, s[0:1]
	v_add_co_u32_e64 v14, s[0:1], 4, v20
	v_mov_b32_e32 v16, s29
	v_addc_co_u32_e64 v15, s[0:1], 0, v15, s[0:1]
	v_addc_co_u32_e32 v17, vcc, v17, v16, vcc
	v_add_co_u32_e32 v16, vcc, 4, v18
	s_add_u32 s0, s26, -1
	v_addc_co_u32_e32 v17, vcc, 0, v17, vcc
	s_addc_u32 s1, s27, -1
	s_mov_b64 s[2:3], 0
	s_mov_b64 s[36:37], 0
                                        ; implicit-def: $sgpr28_sgpr29
	s_branch .LBB931_226
.LBB931_224:                            ;   in Loop: Header=BB931_226 Depth=1
	global_load_dword v18, v[16:17], off
	global_load_dword v19, v[14:15], off
	v_add_co_u32_e32 v14, vcc, 4, v14
	v_addc_co_u32_e32 v15, vcc, 0, v15, vcc
	v_add_co_u32_e32 v16, vcc, 4, v16
	v_addc_co_u32_e32 v17, vcc, 0, v17, vcc
	s_add_u32 s36, s36, 1
	s_addc_u32 s37, s37, 0
	s_andn2_b64 s[28:29], s[28:29], exec
	s_waitcnt vmcnt(0)
	v_cmp_neq_f32_e32 vcc, v18, v19
	s_and_b64 s[38:39], vcc, exec
	s_or_b64 s[28:29], s[28:29], s[38:39]
.LBB931_225:                            ;   in Loop: Header=BB931_226 Depth=1
	s_and_b64 s[38:39], exec, s[28:29]
	s_or_b64 s[2:3], s[38:39], s[2:3]
	v_pk_mov_b32 v[18:19], s[36:37], s[36:37] op_sel:[0,1]
	s_andn2_b64 exec, exec, s[2:3]
	s_cbranch_execz .LBB931_228
.LBB931_226:                            ; =>This Inner Loop Header: Depth=1
	s_or_b64 s[28:29], s[28:29], exec
	s_cmp_eq_u64 s[0:1], s[36:37]
	s_cbranch_scc0 .LBB931_224
; %bb.227:                              ;   in Loop: Header=BB931_226 Depth=1
                                        ; implicit-def: $vgpr14_vgpr15
                                        ; implicit-def: $vgpr16_vgpr17
	s_mov_b64 s[36:37], s[26:27]
	s_branch .LBB931_225
.LBB931_228:
	s_or_b64 exec, exec, s[2:3]
	v_cmp_gt_i64_e32 vcc, s[26:27], v[18:19]
	s_orn2_b64 s[36:37], vcc, exec
.LBB931_229:
	s_or_b64 exec, exec, s[14:15]
.LBB931_230:
	s_and_b64 s[0:1], s[36:37], exec
.LBB931_231:
	s_or_b64 exec, exec, s[18:19]
	v_perm_b32 v16, v12, v12, s33
	s_and_b64 s[18:19], s[0:1], exec
	s_or_b64 s[12:13], s[12:13], exec
.LBB931_232:
	s_or_b64 exec, exec, s[8:9]
.LBB931_233:
	s_and_saveexec_b64 s[0:1], s[12:13]
	s_cbranch_execz .LBB931_235
; %bb.234:
	v_lshrrev_b32_e32 v14, 24, v16
	s_movk_i32 s2, 0xff
	v_lshlrev_b16_e32 v14, 8, v14
	v_and_b32_sdwa v15, v16, s2 dst_sel:DWORD dst_unused:UNUSED_PAD src0_sel:WORD_1 src1_sel:DWORD
	v_or_b32_sdwa v14, v15, v14 dst_sel:WORD_1 dst_unused:UNUSED_PAD src0_sel:DWORD src1_sel:DWORD
	v_mov_b32_e32 v15, 8
	v_cndmask_b32_e64 v12, 0, 1, s[18:19]
	v_lshrrev_b32_sdwa v15, v15, v16 dst_sel:BYTE_1 dst_unused:UNUSED_PAD src0_sel:DWORD src1_sel:DWORD
	v_or_b32_e32 v12, v12, v15
	s_mov_b32 s2, 0xffff
	v_or_b32_sdwa v12, v12, v14 dst_sel:DWORD dst_unused:UNUSED_PAD src0_sel:WORD_0 src1_sel:DWORD
	v_and_b32_sdwa v13, s2, v13 dst_sel:DWORD dst_unused:UNUSED_PAD src0_sel:DWORD src1_sel:BYTE_0
.LBB931_235:
	s_or_b64 exec, exec, s[0:1]
	s_andn2_b64 vcc, exec, s[10:11]
	s_cbranch_vccnz .LBB931_237
; %bb.236:
	v_cmp_gt_u32_e32 vcc, s7, v1
	v_cndmask_b32_e32 v1, 0, v12, vcc
	v_and_b32_e32 v1, 0xffff00ff, v1
	v_cmp_gt_u32_e64 s[0:1], s7, v24
	v_cndmask_b32_e64 v1, v1, v12, s[0:1]
	v_lshrrev_b32_e32 v14, 24, v1
	s_mov_b32 s2, 0x40c0100
	v_perm_b32 v1, v14, v1, s2
	v_cmp_gt_u32_e64 s[2:3], s7, v22
	v_cmp_gt_u32_e64 s[8:9], s7, v25
	v_cndmask_b32_e64 v1, v1, v12, s[2:3]
	s_or_b64 s[2:3], s[8:9], s[2:3]
	s_or_b64 s[0:1], s[2:3], s[0:1]
	s_or_b64 vcc, s[0:1], vcc
	v_and_b32_e32 v1, 0xffffff, v1
	v_cndmask_b32_e32 v14, 0, v13, vcc
	v_cndmask_b32_e64 v1, v1, v12, s[8:9]
	v_and_b32_e32 v14, 0xffffff00, v14
	v_cmp_gt_u32_e32 vcc, s7, v23
	v_cndmask_b32_e32 v1, v1, v12, vcc
	v_cndmask_b32_e32 v12, v14, v13, vcc
	s_mov_b32 s0, 0x3020104
	v_and_b32_e32 v13, 0xff, v12
	v_perm_b32 v12, v1, v1, s0
.LBB931_237:
	v_and_b32_e32 v1, 0xff, v12
	v_bfe_u32 v25, v12, 8, 8
	v_bfe_u32 v27, v12, 16, 8
	v_alignbit_b32 v14, v13, v12, 24
	v_and_b32_e32 v28, 0xff, v14
	v_and_b32_e32 v14, 0xff, v13
	v_add3_u32 v15, v25, v1, v27
	v_add3_u32 v31, v15, v28, v14
	v_mbcnt_lo_u32_b32 v14, -1, 0
	v_mbcnt_hi_u32_b32 v29, -1, v14
	v_and_b32_e32 v14, 15, v29
	v_cmp_eq_u32_e64 s[14:15], 0, v14
	v_cmp_lt_u32_e64 s[12:13], 1, v14
	v_cmp_lt_u32_e64 s[10:11], 3, v14
	;; [unrolled: 1-line block ×3, first 2 shown]
	v_and_b32_e32 v14, 16, v29
	v_cmp_eq_u32_e64 s[18:19], 0, v14
	v_or_b32_e32 v14, 63, v0
	v_cmp_lt_u32_e64 s[0:1], 31, v29
	v_lshrrev_b32_e32 v30, 6, v0
	v_cmp_eq_u32_e64 s[2:3], v14, v0
	s_and_b64 vcc, exec, s[16:17]
	s_waitcnt lgkmcnt(0)
	s_barrier
	s_cbranch_vccz .LBB931_264
; %bb.238:
	v_mov_b32_dpp v14, v31 row_shr:1 row_mask:0xf bank_mask:0xf
	v_cndmask_b32_e64 v14, v14, 0, s[14:15]
	v_add_u32_e32 v14, v14, v31
	s_nop 1
	v_mov_b32_dpp v15, v14 row_shr:2 row_mask:0xf bank_mask:0xf
	v_cndmask_b32_e64 v15, 0, v15, s[12:13]
	v_add_u32_e32 v14, v14, v15
	s_nop 1
	;; [unrolled: 4-line block ×4, first 2 shown]
	v_mov_b32_dpp v15, v14 row_bcast:15 row_mask:0xf bank_mask:0xf
	v_cndmask_b32_e64 v15, v15, 0, s[18:19]
	v_add_u32_e32 v14, v14, v15
	s_nop 1
	v_mov_b32_dpp v15, v14 row_bcast:31 row_mask:0xf bank_mask:0xf
	v_cndmask_b32_e64 v15, 0, v15, s[0:1]
	v_add_u32_e32 v14, v14, v15
	s_and_saveexec_b64 s[16:17], s[2:3]
	s_cbranch_execz .LBB931_240
; %bb.239:
	v_lshlrev_b32_e32 v15, 2, v30
	ds_write_b32 v15, v14
.LBB931_240:
	s_or_b64 exec, exec, s[16:17]
	v_cmp_gt_u32_e32 vcc, 4, v0
	s_waitcnt lgkmcnt(0)
	s_barrier
	s_and_saveexec_b64 s[16:17], vcc
	s_cbranch_execz .LBB931_242
; %bb.241:
	v_lshlrev_b32_e32 v15, 2, v0
	ds_read_b32 v16, v15
	v_and_b32_e32 v17, 3, v29
	v_cmp_ne_u32_e32 vcc, 0, v17
	s_waitcnt lgkmcnt(0)
	v_mov_b32_dpp v18, v16 row_shr:1 row_mask:0xf bank_mask:0xf
	v_cndmask_b32_e32 v18, 0, v18, vcc
	v_add_u32_e32 v16, v18, v16
	v_cmp_lt_u32_e32 vcc, 1, v17
	s_nop 0
	v_mov_b32_dpp v18, v16 row_shr:2 row_mask:0xf bank_mask:0xf
	v_cndmask_b32_e32 v17, 0, v18, vcc
	v_add_u32_e32 v16, v16, v17
	ds_write_b32 v15, v16
.LBB931_242:
	s_or_b64 exec, exec, s[16:17]
	v_cmp_gt_u32_e32 vcc, 64, v0
	v_cmp_lt_u32_e64 s[16:17], 63, v0
	s_waitcnt lgkmcnt(0)
	s_barrier
	s_waitcnt lgkmcnt(0)
                                        ; implicit-def: $vgpr24
	s_and_saveexec_b64 s[26:27], s[16:17]
	s_cbranch_execz .LBB931_244
; %bb.243:
	v_lshl_add_u32 v15, v30, 2, -4
	ds_read_b32 v24, v15
	s_waitcnt lgkmcnt(0)
	v_add_u32_e32 v14, v24, v14
.LBB931_244:
	s_or_b64 exec, exec, s[26:27]
	v_add_u32_e32 v15, -1, v29
	v_and_b32_e32 v16, 64, v29
	v_cmp_lt_i32_e64 s[16:17], v15, v16
	v_cndmask_b32_e64 v15, v15, v29, s[16:17]
	v_lshlrev_b32_e32 v15, 2, v15
	ds_bpermute_b32 v26, v15, v14
	v_cmp_eq_u32_e64 s[16:17], 0, v29
	s_and_saveexec_b64 s[26:27], vcc
	s_cbranch_execz .LBB931_263
; %bb.245:
	v_mov_b32_e32 v21, 0
	ds_read_b32 v14, v21 offset:12
	s_and_saveexec_b64 s[28:29], s[16:17]
	s_cbranch_execz .LBB931_247
; %bb.246:
	s_add_i32 s36, s6, 64
	s_mov_b32 s37, 0
	s_lshl_b64 s[36:37], s[36:37], 3
	s_add_u32 s36, s30, s36
	v_mov_b32_e32 v15, 1
	s_addc_u32 s37, s31, s37
	s_waitcnt lgkmcnt(0)
	global_store_dwordx2 v21, v[14:15], s[36:37]
.LBB931_247:
	s_or_b64 exec, exec, s[28:29]
	v_xad_u32 v16, v29, -1, s6
	v_add_u32_e32 v20, 64, v16
	v_lshlrev_b64 v[18:19], 3, v[20:21]
	v_mov_b32_e32 v15, s31
	v_add_co_u32_e32 v22, vcc, s30, v18
	v_addc_co_u32_e32 v23, vcc, v15, v19, vcc
	global_load_dwordx2 v[18:19], v[22:23], off glc
	s_waitcnt vmcnt(0)
	v_cmp_eq_u16_sdwa s[36:37], v19, v21 src0_sel:BYTE_0 src1_sel:DWORD
	s_and_saveexec_b64 s[28:29], s[36:37]
	s_cbranch_execz .LBB931_251
; %bb.248:
	s_mov_b64 s[36:37], 0
	v_mov_b32_e32 v15, 0
.LBB931_249:                            ; =>This Inner Loop Header: Depth=1
	global_load_dwordx2 v[18:19], v[22:23], off glc
	s_waitcnt vmcnt(0)
	v_cmp_ne_u16_sdwa s[38:39], v19, v15 src0_sel:BYTE_0 src1_sel:DWORD
	s_or_b64 s[36:37], s[38:39], s[36:37]
	s_andn2_b64 exec, exec, s[36:37]
	s_cbranch_execnz .LBB931_249
; %bb.250:
	s_or_b64 exec, exec, s[36:37]
.LBB931_251:
	s_or_b64 exec, exec, s[28:29]
	v_and_b32_e32 v32, 63, v29
	v_mov_b32_e32 v15, 2
	v_cmp_ne_u32_e32 vcc, 63, v32
	v_cmp_eq_u16_sdwa s[28:29], v19, v15 src0_sel:BYTE_0 src1_sel:DWORD
	v_lshlrev_b64 v[20:21], v29, -1
	v_addc_co_u32_e32 v23, vcc, 0, v29, vcc
	v_and_b32_e32 v17, s29, v21
	v_lshlrev_b32_e32 v33, 2, v23
	v_or_b32_e32 v17, 0x80000000, v17
	ds_bpermute_b32 v23, v33, v18
	v_and_b32_e32 v22, s28, v20
	v_ffbl_b32_e32 v17, v17
	v_add_u32_e32 v17, 32, v17
	v_ffbl_b32_e32 v22, v22
	v_min_u32_e32 v17, v22, v17
	v_cmp_lt_u32_e32 vcc, v32, v17
	s_waitcnt lgkmcnt(0)
	v_cndmask_b32_e32 v22, 0, v23, vcc
	v_cmp_gt_u32_e32 vcc, 62, v32
	v_add_u32_e32 v18, v22, v18
	v_cndmask_b32_e64 v22, 0, 1, vcc
	v_lshlrev_b32_e32 v22, 1, v22
	v_add_lshl_u32 v34, v22, v29, 2
	ds_bpermute_b32 v22, v34, v18
	v_add_u32_e32 v35, 2, v32
	v_cmp_le_u32_e32 vcc, v35, v17
	v_add_u32_e32 v37, 4, v32
	v_add_u32_e32 v39, 8, v32
	s_waitcnt lgkmcnt(0)
	v_cndmask_b32_e32 v22, 0, v22, vcc
	v_cmp_gt_u32_e32 vcc, 60, v32
	v_add_u32_e32 v18, v18, v22
	v_cndmask_b32_e64 v22, 0, 1, vcc
	v_lshlrev_b32_e32 v22, 2, v22
	v_add_lshl_u32 v36, v22, v29, 2
	ds_bpermute_b32 v22, v36, v18
	v_cmp_le_u32_e32 vcc, v37, v17
	v_add_u32_e32 v42, 16, v32
	v_add_u32_e32 v44, 32, v32
	s_waitcnt lgkmcnt(0)
	v_cndmask_b32_e32 v22, 0, v22, vcc
	v_cmp_gt_u32_e32 vcc, 56, v32
	v_add_u32_e32 v18, v18, v22
	v_cndmask_b32_e64 v22, 0, 1, vcc
	v_lshlrev_b32_e32 v22, 3, v22
	v_add_lshl_u32 v38, v22, v29, 2
	ds_bpermute_b32 v22, v38, v18
	v_cmp_le_u32_e32 vcc, v39, v17
	s_waitcnt lgkmcnt(0)
	v_cndmask_b32_e32 v22, 0, v22, vcc
	v_cmp_gt_u32_e32 vcc, 48, v32
	v_add_u32_e32 v18, v18, v22
	v_cndmask_b32_e64 v22, 0, 1, vcc
	v_lshlrev_b32_e32 v22, 4, v22
	v_add_lshl_u32 v41, v22, v29, 2
	ds_bpermute_b32 v22, v41, v18
	v_cmp_le_u32_e32 vcc, v42, v17
	;; [unrolled: 9-line block ×3, first 2 shown]
	s_waitcnt lgkmcnt(0)
	v_cndmask_b32_e32 v17, 0, v22, vcc
	v_add_u32_e32 v18, v18, v17
	v_mov_b32_e32 v17, 0
	s_branch .LBB931_253
.LBB931_252:                            ;   in Loop: Header=BB931_253 Depth=1
	s_or_b64 exec, exec, s[28:29]
	v_cmp_eq_u16_sdwa s[28:29], v19, v15 src0_sel:BYTE_0 src1_sel:DWORD
	v_and_b32_e32 v22, s29, v21
	v_or_b32_e32 v22, 0x80000000, v22
	ds_bpermute_b32 v45, v33, v18
	v_and_b32_e32 v23, s28, v20
	v_ffbl_b32_e32 v22, v22
	v_add_u32_e32 v22, 32, v22
	v_ffbl_b32_e32 v23, v23
	v_min_u32_e32 v22, v23, v22
	v_cmp_lt_u32_e32 vcc, v32, v22
	s_waitcnt lgkmcnt(0)
	v_cndmask_b32_e32 v23, 0, v45, vcc
	v_add_u32_e32 v18, v23, v18
	ds_bpermute_b32 v23, v34, v18
	v_cmp_le_u32_e32 vcc, v35, v22
	v_subrev_u32_e32 v16, 64, v16
	s_waitcnt lgkmcnt(0)
	v_cndmask_b32_e32 v23, 0, v23, vcc
	v_add_u32_e32 v18, v18, v23
	ds_bpermute_b32 v23, v36, v18
	v_cmp_le_u32_e32 vcc, v37, v22
	s_waitcnt lgkmcnt(0)
	v_cndmask_b32_e32 v23, 0, v23, vcc
	v_add_u32_e32 v18, v18, v23
	ds_bpermute_b32 v23, v38, v18
	v_cmp_le_u32_e32 vcc, v39, v22
	;; [unrolled: 5-line block ×4, first 2 shown]
	s_waitcnt lgkmcnt(0)
	v_cndmask_b32_e32 v22, 0, v23, vcc
	v_add3_u32 v18, v22, v40, v18
.LBB931_253:                            ; =>This Loop Header: Depth=1
                                        ;     Child Loop BB931_256 Depth 2
	v_cmp_ne_u16_sdwa s[28:29], v19, v15 src0_sel:BYTE_0 src1_sel:DWORD
	v_cndmask_b32_e64 v19, 0, 1, s[28:29]
	;;#ASMSTART
	;;#ASMEND
	v_cmp_ne_u32_e32 vcc, 0, v19
	s_cmp_lg_u64 vcc, exec
	v_mov_b32_e32 v40, v18
	s_cbranch_scc1 .LBB931_258
; %bb.254:                              ;   in Loop: Header=BB931_253 Depth=1
	v_lshlrev_b64 v[18:19], 3, v[16:17]
	v_mov_b32_e32 v23, s31
	v_add_co_u32_e32 v22, vcc, s30, v18
	v_addc_co_u32_e32 v23, vcc, v23, v19, vcc
	global_load_dwordx2 v[18:19], v[22:23], off glc
	s_waitcnt vmcnt(0)
	v_cmp_eq_u16_sdwa s[36:37], v19, v17 src0_sel:BYTE_0 src1_sel:DWORD
	s_and_saveexec_b64 s[28:29], s[36:37]
	s_cbranch_execz .LBB931_252
; %bb.255:                              ;   in Loop: Header=BB931_253 Depth=1
	s_mov_b64 s[36:37], 0
.LBB931_256:                            ;   Parent Loop BB931_253 Depth=1
                                        ; =>  This Inner Loop Header: Depth=2
	global_load_dwordx2 v[18:19], v[22:23], off glc
	s_waitcnt vmcnt(0)
	v_cmp_ne_u16_sdwa s[38:39], v19, v17 src0_sel:BYTE_0 src1_sel:DWORD
	s_or_b64 s[36:37], s[38:39], s[36:37]
	s_andn2_b64 exec, exec, s[36:37]
	s_cbranch_execnz .LBB931_256
; %bb.257:                              ;   in Loop: Header=BB931_253 Depth=1
	s_or_b64 exec, exec, s[36:37]
	s_branch .LBB931_252
.LBB931_258:                            ;   in Loop: Header=BB931_253 Depth=1
                                        ; implicit-def: $vgpr18
                                        ; implicit-def: $vgpr19
	s_cbranch_execz .LBB931_253
; %bb.259:
	s_and_saveexec_b64 s[28:29], s[16:17]
	s_cbranch_execz .LBB931_261
; %bb.260:
	s_add_i32 s6, s6, 64
	s_mov_b32 s7, 0
	s_lshl_b64 s[6:7], s[6:7], 3
	s_add_u32 s6, s30, s6
	v_add_u32_e32 v16, v40, v14
	v_mov_b32_e32 v17, 2
	s_addc_u32 s7, s31, s7
	v_mov_b32_e32 v15, 0
	global_store_dwordx2 v15, v[16:17], s[6:7]
	s_movk_i32 s6, 0x2800
	v_add_u32_e64 v15, s6, 0
	ds_write2_b32 v15, v14, v40 offset1:2
.LBB931_261:
	s_or_b64 exec, exec, s[28:29]
	v_cmp_eq_u32_e32 vcc, 0, v0
	s_and_b64 exec, exec, vcc
	s_cbranch_execz .LBB931_263
; %bb.262:
	v_mov_b32_e32 v14, 0
	ds_write_b32 v14, v40 offset:12
.LBB931_263:
	s_or_b64 exec, exec, s[26:27]
	v_mov_b32_e32 v14, 0
	s_waitcnt lgkmcnt(0)
	s_barrier
	ds_read_b32 v14, v14 offset:12
	v_cndmask_b32_e64 v15, v26, v24, s[16:17]
	v_cmp_ne_u32_e32 vcc, 0, v0
	v_cndmask_b32_e32 v15, 0, v15, vcc
	s_movk_i32 s6, 0x2800
	s_waitcnt lgkmcnt(0)
	v_add_u32_e32 v26, v14, v15
	v_add_u32_e64 v14, s6, 0
	s_barrier
	ds_read2_b32 v[14:15], v14 offset1:2
	v_add_u32_e32 v24, v26, v1
	v_add_u32_e32 v22, v24, v25
	;; [unrolled: 1-line block ×4, first 2 shown]
	s_load_dwordx2 s[4:5], s[4:5], 0x28
	v_lshrrev_b64 v[16:17], 24, v[12:13]
	s_branch .LBB931_274
.LBB931_264:
                                        ; implicit-def: $vgpr18
                                        ; implicit-def: $vgpr20
                                        ; implicit-def: $vgpr22
                                        ; implicit-def: $vgpr24
                                        ; implicit-def: $vgpr26
                                        ; implicit-def: $vgpr15
	s_load_dwordx2 s[4:5], s[4:5], 0x28
	v_lshrrev_b64 v[16:17], 24, v[12:13]
	s_cbranch_execz .LBB931_274
; %bb.265:
	s_waitcnt lgkmcnt(0)
	v_mov_b32_dpp v14, v31 row_shr:1 row_mask:0xf bank_mask:0xf
	v_cndmask_b32_e64 v14, v14, 0, s[14:15]
	v_add_u32_e32 v14, v14, v31
	s_nop 1
	v_mov_b32_dpp v15, v14 row_shr:2 row_mask:0xf bank_mask:0xf
	v_cndmask_b32_e64 v15, 0, v15, s[12:13]
	v_add_u32_e32 v14, v14, v15
	s_nop 1
	;; [unrolled: 4-line block ×4, first 2 shown]
	v_mov_b32_dpp v15, v14 row_bcast:15 row_mask:0xf bank_mask:0xf
	v_cndmask_b32_e64 v15, v15, 0, s[18:19]
	v_add_u32_e32 v14, v14, v15
	s_nop 1
	v_mov_b32_dpp v15, v14 row_bcast:31 row_mask:0xf bank_mask:0xf
	v_cndmask_b32_e64 v15, 0, v15, s[0:1]
	v_add_u32_e32 v14, v14, v15
	s_and_saveexec_b64 s[0:1], s[2:3]
	s_cbranch_execz .LBB931_267
; %bb.266:
	v_lshlrev_b32_e32 v15, 2, v30
	ds_write_b32 v15, v14
.LBB931_267:
	s_or_b64 exec, exec, s[0:1]
	v_cmp_gt_u32_e32 vcc, 4, v0
	s_waitcnt lgkmcnt(0)
	s_barrier
	s_and_saveexec_b64 s[0:1], vcc
	s_cbranch_execz .LBB931_269
; %bb.268:
	v_lshlrev_b32_e32 v15, 2, v0
	ds_read_b32 v17, v15
	v_and_b32_e32 v18, 3, v29
	v_cmp_ne_u32_e32 vcc, 0, v18
	s_waitcnt lgkmcnt(0)
	v_mov_b32_dpp v19, v17 row_shr:1 row_mask:0xf bank_mask:0xf
	v_cndmask_b32_e32 v19, 0, v19, vcc
	v_add_u32_e32 v17, v19, v17
	v_cmp_lt_u32_e32 vcc, 1, v18
	s_nop 0
	v_mov_b32_dpp v19, v17 row_shr:2 row_mask:0xf bank_mask:0xf
	v_cndmask_b32_e32 v18, 0, v19, vcc
	v_add_u32_e32 v17, v17, v18
	ds_write_b32 v15, v17
.LBB931_269:
	s_or_b64 exec, exec, s[0:1]
	v_cmp_lt_u32_e32 vcc, 63, v0
	v_mov_b32_e32 v15, 0
	v_mov_b32_e32 v17, 0
	s_waitcnt lgkmcnt(0)
	s_barrier
	s_and_saveexec_b64 s[0:1], vcc
	s_cbranch_execz .LBB931_271
; %bb.270:
	v_lshl_add_u32 v17, v30, 2, -4
	ds_read_b32 v17, v17
.LBB931_271:
	s_or_b64 exec, exec, s[0:1]
	v_add_u32_e32 v18, -1, v29
	v_and_b32_e32 v19, 64, v29
	v_cmp_lt_i32_e32 vcc, v18, v19
	v_cndmask_b32_e32 v18, v18, v29, vcc
	s_waitcnt lgkmcnt(0)
	v_add_u32_e32 v14, v17, v14
	v_lshlrev_b32_e32 v18, 2, v18
	ds_bpermute_b32 v18, v18, v14
	ds_read_b32 v14, v15 offset:12
	v_cmp_eq_u32_e32 vcc, 0, v0
	s_and_saveexec_b64 s[0:1], vcc
	s_cbranch_execz .LBB931_273
; %bb.272:
	v_mov_b32_e32 v19, 0
	v_mov_b32_e32 v15, 2
	s_waitcnt lgkmcnt(0)
	global_store_dwordx2 v19, v[14:15], s[30:31] offset:512
.LBB931_273:
	s_or_b64 exec, exec, s[0:1]
	v_cmp_eq_u32_e64 s[0:1], 0, v29
	s_waitcnt lgkmcnt(1)
	v_cndmask_b32_e64 v17, v18, v17, s[0:1]
	v_cndmask_b32_e64 v26, v17, 0, vcc
	v_add_u32_e32 v24, v26, v1
	v_add_u32_e32 v22, v24, v25
	v_add_u32_e32 v20, v22, v27
	v_mov_b32_e32 v15, 0
	v_add_u32_e32 v18, v20, v28
	s_waitcnt lgkmcnt(0)
	s_barrier
.LBB931_274:
	s_movk_i32 s0, 0x101
	s_waitcnt lgkmcnt(0)
	v_cmp_gt_u32_e32 vcc, s0, v14
	v_lshrrev_b32_e32 v1, 8, v12
	s_mov_b64 s[0:1], -1
	s_cbranch_vccnz .LBB931_278
; %bb.275:
	s_and_b64 vcc, exec, s[0:1]
	s_cbranch_vccnz .LBB931_294
.LBB931_276:
	v_cmp_eq_u32_e32 vcc, 0, v0
	s_and_b64 s[0:1], vcc, s[24:25]
	s_and_saveexec_b64 s[2:3], s[0:1]
	s_cbranch_execnz .LBB931_308
.LBB931_277:
	s_endpgm
.LBB931_278:
	v_add_u32_e32 v17, v15, v14
	v_cmp_lt_u32_e32 vcc, v26, v17
	s_or_b64 s[2:3], s[34:35], vcc
	s_and_saveexec_b64 s[0:1], s[2:3]
	s_cbranch_execz .LBB931_281
; %bb.279:
	v_and_b32_e32 v19, 1, v12
	v_cmp_eq_u32_e32 vcc, 1, v19
	s_and_b64 exec, exec, vcc
	s_cbranch_execz .LBB931_281
; %bb.280:
	s_lshl_b64 s[2:3], s[22:23], 3
	s_add_u32 s2, s4, s2
	v_mov_b32_e32 v27, 0
	s_addc_u32 s3, s5, s3
	v_lshlrev_b64 v[28:29], 3, v[26:27]
	v_mov_b32_e32 v19, s3
	v_add_co_u32_e32 v28, vcc, s2, v28
	v_addc_co_u32_e32 v29, vcc, v19, v29, vcc
	global_store_dwordx2 v[28:29], v[6:7], off
.LBB931_281:
	s_or_b64 exec, exec, s[0:1]
	v_cmp_lt_u32_e32 vcc, v24, v17
	s_or_b64 s[2:3], s[34:35], vcc
	s_and_saveexec_b64 s[0:1], s[2:3]
	s_cbranch_execz .LBB931_284
; %bb.282:
	v_and_b32_e32 v19, 1, v1
	v_cmp_eq_u32_e32 vcc, 1, v19
	s_and_b64 exec, exec, vcc
	s_cbranch_execz .LBB931_284
; %bb.283:
	s_lshl_b64 s[2:3], s[22:23], 3
	s_add_u32 s2, s4, s2
	v_mov_b32_e32 v25, 0
	s_addc_u32 s3, s5, s3
	v_lshlrev_b64 v[28:29], 3, v[24:25]
	v_mov_b32_e32 v19, s3
	v_add_co_u32_e32 v28, vcc, s2, v28
	v_addc_co_u32_e32 v29, vcc, v19, v29, vcc
	global_store_dwordx2 v[28:29], v[8:9], off
.LBB931_284:
	s_or_b64 exec, exec, s[0:1]
	v_cmp_lt_u32_e32 vcc, v22, v17
	s_or_b64 s[2:3], s[34:35], vcc
	s_and_saveexec_b64 s[0:1], s[2:3]
	s_cbranch_execz .LBB931_287
; %bb.285:
	v_mov_b32_e32 v19, 1
	v_and_b32_sdwa v19, v19, v12 dst_sel:DWORD dst_unused:UNUSED_PAD src0_sel:DWORD src1_sel:WORD_1
	v_cmp_eq_u32_e32 vcc, 1, v19
	s_and_b64 exec, exec, vcc
	s_cbranch_execz .LBB931_287
; %bb.286:
	s_lshl_b64 s[2:3], s[22:23], 3
	s_add_u32 s2, s4, s2
	v_mov_b32_e32 v23, 0
	s_addc_u32 s3, s5, s3
	v_lshlrev_b64 v[28:29], 3, v[22:23]
	v_mov_b32_e32 v19, s3
	v_add_co_u32_e32 v28, vcc, s2, v28
	v_addc_co_u32_e32 v29, vcc, v19, v29, vcc
	global_store_dwordx2 v[28:29], v[2:3], off
.LBB931_287:
	s_or_b64 exec, exec, s[0:1]
	v_cmp_lt_u32_e32 vcc, v20, v17
	s_or_b64 s[2:3], s[34:35], vcc
	s_and_saveexec_b64 s[0:1], s[2:3]
	s_cbranch_execz .LBB931_290
; %bb.288:
	v_and_b32_e32 v19, 1, v16
	v_cmp_eq_u32_e32 vcc, 1, v19
	s_and_b64 exec, exec, vcc
	s_cbranch_execz .LBB931_290
; %bb.289:
	s_lshl_b64 s[2:3], s[22:23], 3
	s_add_u32 s2, s4, s2
	v_mov_b32_e32 v21, 0
	s_addc_u32 s3, s5, s3
	v_lshlrev_b64 v[28:29], 3, v[20:21]
	v_mov_b32_e32 v19, s3
	v_add_co_u32_e32 v28, vcc, s2, v28
	v_addc_co_u32_e32 v29, vcc, v19, v29, vcc
	global_store_dwordx2 v[28:29], v[4:5], off
.LBB931_290:
	s_or_b64 exec, exec, s[0:1]
	v_cmp_lt_u32_e32 vcc, v18, v17
	s_or_b64 s[2:3], s[34:35], vcc
	s_and_saveexec_b64 s[0:1], s[2:3]
	s_cbranch_execz .LBB931_293
; %bb.291:
	v_and_b32_e32 v17, 1, v13
	v_cmp_eq_u32_e32 vcc, 1, v17
	s_and_b64 exec, exec, vcc
	s_cbranch_execz .LBB931_293
; %bb.292:
	s_lshl_b64 s[2:3], s[22:23], 3
	s_add_u32 s2, s4, s2
	v_mov_b32_e32 v19, 0
	s_addc_u32 s3, s5, s3
	v_lshlrev_b64 v[28:29], 3, v[18:19]
	v_mov_b32_e32 v17, s3
	v_add_co_u32_e32 v28, vcc, s2, v28
	v_addc_co_u32_e32 v29, vcc, v17, v29, vcc
	global_store_dwordx2 v[28:29], v[10:11], off
.LBB931_293:
	s_or_b64 exec, exec, s[0:1]
	s_branch .LBB931_276
.LBB931_294:
	v_and_b32_e32 v17, 1, v12
	v_cmp_eq_u32_e32 vcc, 1, v17
	s_and_saveexec_b64 s[0:1], vcc
	s_cbranch_execz .LBB931_296
; %bb.295:
	v_sub_u32_e32 v17, v26, v15
	v_lshlrev_b32_e32 v17, 3, v17
	ds_write_b64 v17, v[6:7]
.LBB931_296:
	s_or_b64 exec, exec, s[0:1]
	v_and_b32_e32 v1, 1, v1
	v_cmp_eq_u32_e32 vcc, 1, v1
	s_and_saveexec_b64 s[0:1], vcc
	s_cbranch_execz .LBB931_298
; %bb.297:
	v_sub_u32_e32 v1, v24, v15
	v_lshlrev_b32_e32 v1, 3, v1
	ds_write_b64 v1, v[8:9]
.LBB931_298:
	s_or_b64 exec, exec, s[0:1]
	v_mov_b32_e32 v1, 1
	v_and_b32_sdwa v1, v1, v12 dst_sel:DWORD dst_unused:UNUSED_PAD src0_sel:DWORD src1_sel:WORD_1
	v_cmp_eq_u32_e32 vcc, 1, v1
	s_and_saveexec_b64 s[0:1], vcc
	s_cbranch_execz .LBB931_300
; %bb.299:
	v_sub_u32_e32 v1, v22, v15
	v_lshlrev_b32_e32 v1, 3, v1
	ds_write_b64 v1, v[2:3]
.LBB931_300:
	s_or_b64 exec, exec, s[0:1]
	v_and_b32_e32 v1, 1, v16
	v_cmp_eq_u32_e32 vcc, 1, v1
	s_and_saveexec_b64 s[0:1], vcc
	s_cbranch_execz .LBB931_302
; %bb.301:
	v_sub_u32_e32 v1, v20, v15
	v_lshlrev_b32_e32 v1, 3, v1
	ds_write_b64 v1, v[4:5]
.LBB931_302:
	s_or_b64 exec, exec, s[0:1]
	v_and_b32_e32 v1, 1, v13
	v_cmp_eq_u32_e32 vcc, 1, v1
	s_and_saveexec_b64 s[0:1], vcc
	s_cbranch_execz .LBB931_304
; %bb.303:
	v_sub_u32_e32 v1, v18, v15
	v_lshlrev_b32_e32 v1, 3, v1
	ds_write_b64 v1, v[10:11]
.LBB931_304:
	s_or_b64 exec, exec, s[0:1]
	v_cmp_lt_u32_e32 vcc, v0, v14
	s_waitcnt lgkmcnt(0)
	s_barrier
	s_and_saveexec_b64 s[0:1], vcc
	s_cbranch_execz .LBB931_307
; %bb.305:
	v_mov_b32_e32 v3, 0
	v_mov_b32_e32 v2, v15
	v_lshlrev_b64 v[4:5], 3, v[2:3]
	v_mov_b32_e32 v1, s5
	v_add_co_u32_e32 v2, vcc, s4, v4
	v_addc_co_u32_e32 v4, vcc, v1, v5, vcc
	s_lshl_b64 s[2:3], s[22:23], 3
	v_mov_b32_e32 v5, s3
	v_add_co_u32_e32 v1, vcc, s2, v2
	v_addc_co_u32_e32 v4, vcc, v4, v5, vcc
	v_lshlrev_b32_e32 v5, 3, v0
	s_mov_b64 s[2:3], 0
	v_mov_b32_e32 v2, v0
.LBB931_306:                            ; =>This Inner Loop Header: Depth=1
	ds_read_b64 v[6:7], v5
	v_lshlrev_b64 v[8:9], 3, v[2:3]
	v_add_co_u32_e32 v8, vcc, v1, v8
	v_add_u32_e32 v2, 0x100, v2
	v_addc_co_u32_e32 v9, vcc, v4, v9, vcc
	v_cmp_ge_u32_e32 vcc, v2, v14
	v_add_u32_e32 v5, 0x800, v5
	s_or_b64 s[2:3], vcc, s[2:3]
	s_waitcnt lgkmcnt(0)
	global_store_dwordx2 v[8:9], v[6:7], off
	s_andn2_b64 exec, exec, s[2:3]
	s_cbranch_execnz .LBB931_306
.LBB931_307:
	s_or_b64 exec, exec, s[0:1]
	v_cmp_eq_u32_e32 vcc, 0, v0
	s_and_b64 s[0:1], vcc, s[24:25]
	s_and_saveexec_b64 s[2:3], s[0:1]
	s_cbranch_execz .LBB931_277
.LBB931_308:
	v_mov_b32_e32 v0, s23
	v_add_co_u32_e32 v1, vcc, s22, v14
	v_addc_co_u32_e32 v3, vcc, 0, v0, vcc
	v_add_co_u32_e32 v0, vcc, v1, v15
	v_mov_b32_e32 v2, 0
	v_addc_co_u32_e32 v1, vcc, 0, v3, vcc
	global_store_dwordx2 v2, v[0:1], s[20:21]
	s_endpgm
	.section	.rodata,"a",@progbits
	.p2align	6, 0x0
	.amdhsa_kernel _ZN7rocprim17ROCPRIM_400000_NS6detail17trampoline_kernelINS0_14default_configENS1_25partition_config_selectorILNS1_17partition_subalgoE8ElNS0_10empty_typeEbEEZZNS1_14partition_implILS5_8ELb0ES3_jPlPS6_PKS6_NS0_5tupleIJS9_S6_EEENSD_IJSA_SA_EEENS0_18inequality_wrapperIZN2at6native12_GLOBAL__N_124unique_dim_cuda_templateIfEESt5tupleIJNSH_6TensorESM_SM_EERKSM_lbbbEUlllE0_EEPmJS6_EEE10hipError_tPvRmT3_T4_T5_T6_T7_T9_mT8_P12ihipStream_tbDpT10_ENKUlT_T0_E_clISt17integral_constantIbLb0EES1C_EEDaS17_S18_EUlS17_E_NS1_11comp_targetILNS1_3genE4ELNS1_11target_archE910ELNS1_3gpuE8ELNS1_3repE0EEENS1_30default_config_static_selectorELNS0_4arch9wavefront6targetE1EEEvT1_
		.amdhsa_group_segment_fixed_size 10252
		.amdhsa_private_segment_fixed_size 0
		.amdhsa_kernarg_size 120
		.amdhsa_user_sgpr_count 6
		.amdhsa_user_sgpr_private_segment_buffer 1
		.amdhsa_user_sgpr_dispatch_ptr 0
		.amdhsa_user_sgpr_queue_ptr 0
		.amdhsa_user_sgpr_kernarg_segment_ptr 1
		.amdhsa_user_sgpr_dispatch_id 0
		.amdhsa_user_sgpr_flat_scratch_init 0
		.amdhsa_user_sgpr_kernarg_preload_length 0
		.amdhsa_user_sgpr_kernarg_preload_offset 0
		.amdhsa_user_sgpr_private_segment_size 0
		.amdhsa_uses_dynamic_stack 0
		.amdhsa_system_sgpr_private_segment_wavefront_offset 0
		.amdhsa_system_sgpr_workgroup_id_x 1
		.amdhsa_system_sgpr_workgroup_id_y 0
		.amdhsa_system_sgpr_workgroup_id_z 0
		.amdhsa_system_sgpr_workgroup_info 0
		.amdhsa_system_vgpr_workitem_id 0
		.amdhsa_next_free_vgpr 46
		.amdhsa_next_free_sgpr 48
		.amdhsa_accum_offset 48
		.amdhsa_reserve_vcc 1
		.amdhsa_reserve_flat_scratch 0
		.amdhsa_float_round_mode_32 0
		.amdhsa_float_round_mode_16_64 0
		.amdhsa_float_denorm_mode_32 3
		.amdhsa_float_denorm_mode_16_64 3
		.amdhsa_dx10_clamp 1
		.amdhsa_ieee_mode 1
		.amdhsa_fp16_overflow 0
		.amdhsa_tg_split 0
		.amdhsa_exception_fp_ieee_invalid_op 0
		.amdhsa_exception_fp_denorm_src 0
		.amdhsa_exception_fp_ieee_div_zero 0
		.amdhsa_exception_fp_ieee_overflow 0
		.amdhsa_exception_fp_ieee_underflow 0
		.amdhsa_exception_fp_ieee_inexact 0
		.amdhsa_exception_int_div_zero 0
	.end_amdhsa_kernel
	.section	.text._ZN7rocprim17ROCPRIM_400000_NS6detail17trampoline_kernelINS0_14default_configENS1_25partition_config_selectorILNS1_17partition_subalgoE8ElNS0_10empty_typeEbEEZZNS1_14partition_implILS5_8ELb0ES3_jPlPS6_PKS6_NS0_5tupleIJS9_S6_EEENSD_IJSA_SA_EEENS0_18inequality_wrapperIZN2at6native12_GLOBAL__N_124unique_dim_cuda_templateIfEESt5tupleIJNSH_6TensorESM_SM_EERKSM_lbbbEUlllE0_EEPmJS6_EEE10hipError_tPvRmT3_T4_T5_T6_T7_T9_mT8_P12ihipStream_tbDpT10_ENKUlT_T0_E_clISt17integral_constantIbLb0EES1C_EEDaS17_S18_EUlS17_E_NS1_11comp_targetILNS1_3genE4ELNS1_11target_archE910ELNS1_3gpuE8ELNS1_3repE0EEENS1_30default_config_static_selectorELNS0_4arch9wavefront6targetE1EEEvT1_,"axG",@progbits,_ZN7rocprim17ROCPRIM_400000_NS6detail17trampoline_kernelINS0_14default_configENS1_25partition_config_selectorILNS1_17partition_subalgoE8ElNS0_10empty_typeEbEEZZNS1_14partition_implILS5_8ELb0ES3_jPlPS6_PKS6_NS0_5tupleIJS9_S6_EEENSD_IJSA_SA_EEENS0_18inequality_wrapperIZN2at6native12_GLOBAL__N_124unique_dim_cuda_templateIfEESt5tupleIJNSH_6TensorESM_SM_EERKSM_lbbbEUlllE0_EEPmJS6_EEE10hipError_tPvRmT3_T4_T5_T6_T7_T9_mT8_P12ihipStream_tbDpT10_ENKUlT_T0_E_clISt17integral_constantIbLb0EES1C_EEDaS17_S18_EUlS17_E_NS1_11comp_targetILNS1_3genE4ELNS1_11target_archE910ELNS1_3gpuE8ELNS1_3repE0EEENS1_30default_config_static_selectorELNS0_4arch9wavefront6targetE1EEEvT1_,comdat
.Lfunc_end931:
	.size	_ZN7rocprim17ROCPRIM_400000_NS6detail17trampoline_kernelINS0_14default_configENS1_25partition_config_selectorILNS1_17partition_subalgoE8ElNS0_10empty_typeEbEEZZNS1_14partition_implILS5_8ELb0ES3_jPlPS6_PKS6_NS0_5tupleIJS9_S6_EEENSD_IJSA_SA_EEENS0_18inequality_wrapperIZN2at6native12_GLOBAL__N_124unique_dim_cuda_templateIfEESt5tupleIJNSH_6TensorESM_SM_EERKSM_lbbbEUlllE0_EEPmJS6_EEE10hipError_tPvRmT3_T4_T5_T6_T7_T9_mT8_P12ihipStream_tbDpT10_ENKUlT_T0_E_clISt17integral_constantIbLb0EES1C_EEDaS17_S18_EUlS17_E_NS1_11comp_targetILNS1_3genE4ELNS1_11target_archE910ELNS1_3gpuE8ELNS1_3repE0EEENS1_30default_config_static_selectorELNS0_4arch9wavefront6targetE1EEEvT1_, .Lfunc_end931-_ZN7rocprim17ROCPRIM_400000_NS6detail17trampoline_kernelINS0_14default_configENS1_25partition_config_selectorILNS1_17partition_subalgoE8ElNS0_10empty_typeEbEEZZNS1_14partition_implILS5_8ELb0ES3_jPlPS6_PKS6_NS0_5tupleIJS9_S6_EEENSD_IJSA_SA_EEENS0_18inequality_wrapperIZN2at6native12_GLOBAL__N_124unique_dim_cuda_templateIfEESt5tupleIJNSH_6TensorESM_SM_EERKSM_lbbbEUlllE0_EEPmJS6_EEE10hipError_tPvRmT3_T4_T5_T6_T7_T9_mT8_P12ihipStream_tbDpT10_ENKUlT_T0_E_clISt17integral_constantIbLb0EES1C_EEDaS17_S18_EUlS17_E_NS1_11comp_targetILNS1_3genE4ELNS1_11target_archE910ELNS1_3gpuE8ELNS1_3repE0EEENS1_30default_config_static_selectorELNS0_4arch9wavefront6targetE1EEEvT1_
                                        ; -- End function
	.section	.AMDGPU.csdata,"",@progbits
; Kernel info:
; codeLenInByte = 11376
; NumSgprs: 52
; NumVgprs: 46
; NumAgprs: 0
; TotalNumVgprs: 46
; ScratchSize: 0
; MemoryBound: 0
; FloatMode: 240
; IeeeMode: 1
; LDSByteSize: 10252 bytes/workgroup (compile time only)
; SGPRBlocks: 6
; VGPRBlocks: 5
; NumSGPRsForWavesPerEU: 52
; NumVGPRsForWavesPerEU: 46
; AccumOffset: 48
; Occupancy: 6
; WaveLimiterHint : 1
; COMPUTE_PGM_RSRC2:SCRATCH_EN: 0
; COMPUTE_PGM_RSRC2:USER_SGPR: 6
; COMPUTE_PGM_RSRC2:TRAP_HANDLER: 0
; COMPUTE_PGM_RSRC2:TGID_X_EN: 1
; COMPUTE_PGM_RSRC2:TGID_Y_EN: 0
; COMPUTE_PGM_RSRC2:TGID_Z_EN: 0
; COMPUTE_PGM_RSRC2:TIDIG_COMP_CNT: 0
; COMPUTE_PGM_RSRC3_GFX90A:ACCUM_OFFSET: 11
; COMPUTE_PGM_RSRC3_GFX90A:TG_SPLIT: 0
	.section	.text._ZN7rocprim17ROCPRIM_400000_NS6detail17trampoline_kernelINS0_14default_configENS1_25partition_config_selectorILNS1_17partition_subalgoE8ElNS0_10empty_typeEbEEZZNS1_14partition_implILS5_8ELb0ES3_jPlPS6_PKS6_NS0_5tupleIJS9_S6_EEENSD_IJSA_SA_EEENS0_18inequality_wrapperIZN2at6native12_GLOBAL__N_124unique_dim_cuda_templateIfEESt5tupleIJNSH_6TensorESM_SM_EERKSM_lbbbEUlllE0_EEPmJS6_EEE10hipError_tPvRmT3_T4_T5_T6_T7_T9_mT8_P12ihipStream_tbDpT10_ENKUlT_T0_E_clISt17integral_constantIbLb0EES1C_EEDaS17_S18_EUlS17_E_NS1_11comp_targetILNS1_3genE3ELNS1_11target_archE908ELNS1_3gpuE7ELNS1_3repE0EEENS1_30default_config_static_selectorELNS0_4arch9wavefront6targetE1EEEvT1_,"axG",@progbits,_ZN7rocprim17ROCPRIM_400000_NS6detail17trampoline_kernelINS0_14default_configENS1_25partition_config_selectorILNS1_17partition_subalgoE8ElNS0_10empty_typeEbEEZZNS1_14partition_implILS5_8ELb0ES3_jPlPS6_PKS6_NS0_5tupleIJS9_S6_EEENSD_IJSA_SA_EEENS0_18inequality_wrapperIZN2at6native12_GLOBAL__N_124unique_dim_cuda_templateIfEESt5tupleIJNSH_6TensorESM_SM_EERKSM_lbbbEUlllE0_EEPmJS6_EEE10hipError_tPvRmT3_T4_T5_T6_T7_T9_mT8_P12ihipStream_tbDpT10_ENKUlT_T0_E_clISt17integral_constantIbLb0EES1C_EEDaS17_S18_EUlS17_E_NS1_11comp_targetILNS1_3genE3ELNS1_11target_archE908ELNS1_3gpuE7ELNS1_3repE0EEENS1_30default_config_static_selectorELNS0_4arch9wavefront6targetE1EEEvT1_,comdat
	.globl	_ZN7rocprim17ROCPRIM_400000_NS6detail17trampoline_kernelINS0_14default_configENS1_25partition_config_selectorILNS1_17partition_subalgoE8ElNS0_10empty_typeEbEEZZNS1_14partition_implILS5_8ELb0ES3_jPlPS6_PKS6_NS0_5tupleIJS9_S6_EEENSD_IJSA_SA_EEENS0_18inequality_wrapperIZN2at6native12_GLOBAL__N_124unique_dim_cuda_templateIfEESt5tupleIJNSH_6TensorESM_SM_EERKSM_lbbbEUlllE0_EEPmJS6_EEE10hipError_tPvRmT3_T4_T5_T6_T7_T9_mT8_P12ihipStream_tbDpT10_ENKUlT_T0_E_clISt17integral_constantIbLb0EES1C_EEDaS17_S18_EUlS17_E_NS1_11comp_targetILNS1_3genE3ELNS1_11target_archE908ELNS1_3gpuE7ELNS1_3repE0EEENS1_30default_config_static_selectorELNS0_4arch9wavefront6targetE1EEEvT1_ ; -- Begin function _ZN7rocprim17ROCPRIM_400000_NS6detail17trampoline_kernelINS0_14default_configENS1_25partition_config_selectorILNS1_17partition_subalgoE8ElNS0_10empty_typeEbEEZZNS1_14partition_implILS5_8ELb0ES3_jPlPS6_PKS6_NS0_5tupleIJS9_S6_EEENSD_IJSA_SA_EEENS0_18inequality_wrapperIZN2at6native12_GLOBAL__N_124unique_dim_cuda_templateIfEESt5tupleIJNSH_6TensorESM_SM_EERKSM_lbbbEUlllE0_EEPmJS6_EEE10hipError_tPvRmT3_T4_T5_T6_T7_T9_mT8_P12ihipStream_tbDpT10_ENKUlT_T0_E_clISt17integral_constantIbLb0EES1C_EEDaS17_S18_EUlS17_E_NS1_11comp_targetILNS1_3genE3ELNS1_11target_archE908ELNS1_3gpuE7ELNS1_3repE0EEENS1_30default_config_static_selectorELNS0_4arch9wavefront6targetE1EEEvT1_
	.p2align	8
	.type	_ZN7rocprim17ROCPRIM_400000_NS6detail17trampoline_kernelINS0_14default_configENS1_25partition_config_selectorILNS1_17partition_subalgoE8ElNS0_10empty_typeEbEEZZNS1_14partition_implILS5_8ELb0ES3_jPlPS6_PKS6_NS0_5tupleIJS9_S6_EEENSD_IJSA_SA_EEENS0_18inequality_wrapperIZN2at6native12_GLOBAL__N_124unique_dim_cuda_templateIfEESt5tupleIJNSH_6TensorESM_SM_EERKSM_lbbbEUlllE0_EEPmJS6_EEE10hipError_tPvRmT3_T4_T5_T6_T7_T9_mT8_P12ihipStream_tbDpT10_ENKUlT_T0_E_clISt17integral_constantIbLb0EES1C_EEDaS17_S18_EUlS17_E_NS1_11comp_targetILNS1_3genE3ELNS1_11target_archE908ELNS1_3gpuE7ELNS1_3repE0EEENS1_30default_config_static_selectorELNS0_4arch9wavefront6targetE1EEEvT1_,@function
_ZN7rocprim17ROCPRIM_400000_NS6detail17trampoline_kernelINS0_14default_configENS1_25partition_config_selectorILNS1_17partition_subalgoE8ElNS0_10empty_typeEbEEZZNS1_14partition_implILS5_8ELb0ES3_jPlPS6_PKS6_NS0_5tupleIJS9_S6_EEENSD_IJSA_SA_EEENS0_18inequality_wrapperIZN2at6native12_GLOBAL__N_124unique_dim_cuda_templateIfEESt5tupleIJNSH_6TensorESM_SM_EERKSM_lbbbEUlllE0_EEPmJS6_EEE10hipError_tPvRmT3_T4_T5_T6_T7_T9_mT8_P12ihipStream_tbDpT10_ENKUlT_T0_E_clISt17integral_constantIbLb0EES1C_EEDaS17_S18_EUlS17_E_NS1_11comp_targetILNS1_3genE3ELNS1_11target_archE908ELNS1_3gpuE7ELNS1_3repE0EEENS1_30default_config_static_selectorELNS0_4arch9wavefront6targetE1EEEvT1_: ; @_ZN7rocprim17ROCPRIM_400000_NS6detail17trampoline_kernelINS0_14default_configENS1_25partition_config_selectorILNS1_17partition_subalgoE8ElNS0_10empty_typeEbEEZZNS1_14partition_implILS5_8ELb0ES3_jPlPS6_PKS6_NS0_5tupleIJS9_S6_EEENSD_IJSA_SA_EEENS0_18inequality_wrapperIZN2at6native12_GLOBAL__N_124unique_dim_cuda_templateIfEESt5tupleIJNSH_6TensorESM_SM_EERKSM_lbbbEUlllE0_EEPmJS6_EEE10hipError_tPvRmT3_T4_T5_T6_T7_T9_mT8_P12ihipStream_tbDpT10_ENKUlT_T0_E_clISt17integral_constantIbLb0EES1C_EEDaS17_S18_EUlS17_E_NS1_11comp_targetILNS1_3genE3ELNS1_11target_archE908ELNS1_3gpuE7ELNS1_3repE0EEENS1_30default_config_static_selectorELNS0_4arch9wavefront6targetE1EEEvT1_
; %bb.0:
	.section	.rodata,"a",@progbits
	.p2align	6, 0x0
	.amdhsa_kernel _ZN7rocprim17ROCPRIM_400000_NS6detail17trampoline_kernelINS0_14default_configENS1_25partition_config_selectorILNS1_17partition_subalgoE8ElNS0_10empty_typeEbEEZZNS1_14partition_implILS5_8ELb0ES3_jPlPS6_PKS6_NS0_5tupleIJS9_S6_EEENSD_IJSA_SA_EEENS0_18inequality_wrapperIZN2at6native12_GLOBAL__N_124unique_dim_cuda_templateIfEESt5tupleIJNSH_6TensorESM_SM_EERKSM_lbbbEUlllE0_EEPmJS6_EEE10hipError_tPvRmT3_T4_T5_T6_T7_T9_mT8_P12ihipStream_tbDpT10_ENKUlT_T0_E_clISt17integral_constantIbLb0EES1C_EEDaS17_S18_EUlS17_E_NS1_11comp_targetILNS1_3genE3ELNS1_11target_archE908ELNS1_3gpuE7ELNS1_3repE0EEENS1_30default_config_static_selectorELNS0_4arch9wavefront6targetE1EEEvT1_
		.amdhsa_group_segment_fixed_size 0
		.amdhsa_private_segment_fixed_size 0
		.amdhsa_kernarg_size 120
		.amdhsa_user_sgpr_count 6
		.amdhsa_user_sgpr_private_segment_buffer 1
		.amdhsa_user_sgpr_dispatch_ptr 0
		.amdhsa_user_sgpr_queue_ptr 0
		.amdhsa_user_sgpr_kernarg_segment_ptr 1
		.amdhsa_user_sgpr_dispatch_id 0
		.amdhsa_user_sgpr_flat_scratch_init 0
		.amdhsa_user_sgpr_kernarg_preload_length 0
		.amdhsa_user_sgpr_kernarg_preload_offset 0
		.amdhsa_user_sgpr_private_segment_size 0
		.amdhsa_uses_dynamic_stack 0
		.amdhsa_system_sgpr_private_segment_wavefront_offset 0
		.amdhsa_system_sgpr_workgroup_id_x 1
		.amdhsa_system_sgpr_workgroup_id_y 0
		.amdhsa_system_sgpr_workgroup_id_z 0
		.amdhsa_system_sgpr_workgroup_info 0
		.amdhsa_system_vgpr_workitem_id 0
		.amdhsa_next_free_vgpr 1
		.amdhsa_next_free_sgpr 0
		.amdhsa_accum_offset 4
		.amdhsa_reserve_vcc 0
		.amdhsa_reserve_flat_scratch 0
		.amdhsa_float_round_mode_32 0
		.amdhsa_float_round_mode_16_64 0
		.amdhsa_float_denorm_mode_32 3
		.amdhsa_float_denorm_mode_16_64 3
		.amdhsa_dx10_clamp 1
		.amdhsa_ieee_mode 1
		.amdhsa_fp16_overflow 0
		.amdhsa_tg_split 0
		.amdhsa_exception_fp_ieee_invalid_op 0
		.amdhsa_exception_fp_denorm_src 0
		.amdhsa_exception_fp_ieee_div_zero 0
		.amdhsa_exception_fp_ieee_overflow 0
		.amdhsa_exception_fp_ieee_underflow 0
		.amdhsa_exception_fp_ieee_inexact 0
		.amdhsa_exception_int_div_zero 0
	.end_amdhsa_kernel
	.section	.text._ZN7rocprim17ROCPRIM_400000_NS6detail17trampoline_kernelINS0_14default_configENS1_25partition_config_selectorILNS1_17partition_subalgoE8ElNS0_10empty_typeEbEEZZNS1_14partition_implILS5_8ELb0ES3_jPlPS6_PKS6_NS0_5tupleIJS9_S6_EEENSD_IJSA_SA_EEENS0_18inequality_wrapperIZN2at6native12_GLOBAL__N_124unique_dim_cuda_templateIfEESt5tupleIJNSH_6TensorESM_SM_EERKSM_lbbbEUlllE0_EEPmJS6_EEE10hipError_tPvRmT3_T4_T5_T6_T7_T9_mT8_P12ihipStream_tbDpT10_ENKUlT_T0_E_clISt17integral_constantIbLb0EES1C_EEDaS17_S18_EUlS17_E_NS1_11comp_targetILNS1_3genE3ELNS1_11target_archE908ELNS1_3gpuE7ELNS1_3repE0EEENS1_30default_config_static_selectorELNS0_4arch9wavefront6targetE1EEEvT1_,"axG",@progbits,_ZN7rocprim17ROCPRIM_400000_NS6detail17trampoline_kernelINS0_14default_configENS1_25partition_config_selectorILNS1_17partition_subalgoE8ElNS0_10empty_typeEbEEZZNS1_14partition_implILS5_8ELb0ES3_jPlPS6_PKS6_NS0_5tupleIJS9_S6_EEENSD_IJSA_SA_EEENS0_18inequality_wrapperIZN2at6native12_GLOBAL__N_124unique_dim_cuda_templateIfEESt5tupleIJNSH_6TensorESM_SM_EERKSM_lbbbEUlllE0_EEPmJS6_EEE10hipError_tPvRmT3_T4_T5_T6_T7_T9_mT8_P12ihipStream_tbDpT10_ENKUlT_T0_E_clISt17integral_constantIbLb0EES1C_EEDaS17_S18_EUlS17_E_NS1_11comp_targetILNS1_3genE3ELNS1_11target_archE908ELNS1_3gpuE7ELNS1_3repE0EEENS1_30default_config_static_selectorELNS0_4arch9wavefront6targetE1EEEvT1_,comdat
.Lfunc_end932:
	.size	_ZN7rocprim17ROCPRIM_400000_NS6detail17trampoline_kernelINS0_14default_configENS1_25partition_config_selectorILNS1_17partition_subalgoE8ElNS0_10empty_typeEbEEZZNS1_14partition_implILS5_8ELb0ES3_jPlPS6_PKS6_NS0_5tupleIJS9_S6_EEENSD_IJSA_SA_EEENS0_18inequality_wrapperIZN2at6native12_GLOBAL__N_124unique_dim_cuda_templateIfEESt5tupleIJNSH_6TensorESM_SM_EERKSM_lbbbEUlllE0_EEPmJS6_EEE10hipError_tPvRmT3_T4_T5_T6_T7_T9_mT8_P12ihipStream_tbDpT10_ENKUlT_T0_E_clISt17integral_constantIbLb0EES1C_EEDaS17_S18_EUlS17_E_NS1_11comp_targetILNS1_3genE3ELNS1_11target_archE908ELNS1_3gpuE7ELNS1_3repE0EEENS1_30default_config_static_selectorELNS0_4arch9wavefront6targetE1EEEvT1_, .Lfunc_end932-_ZN7rocprim17ROCPRIM_400000_NS6detail17trampoline_kernelINS0_14default_configENS1_25partition_config_selectorILNS1_17partition_subalgoE8ElNS0_10empty_typeEbEEZZNS1_14partition_implILS5_8ELb0ES3_jPlPS6_PKS6_NS0_5tupleIJS9_S6_EEENSD_IJSA_SA_EEENS0_18inequality_wrapperIZN2at6native12_GLOBAL__N_124unique_dim_cuda_templateIfEESt5tupleIJNSH_6TensorESM_SM_EERKSM_lbbbEUlllE0_EEPmJS6_EEE10hipError_tPvRmT3_T4_T5_T6_T7_T9_mT8_P12ihipStream_tbDpT10_ENKUlT_T0_E_clISt17integral_constantIbLb0EES1C_EEDaS17_S18_EUlS17_E_NS1_11comp_targetILNS1_3genE3ELNS1_11target_archE908ELNS1_3gpuE7ELNS1_3repE0EEENS1_30default_config_static_selectorELNS0_4arch9wavefront6targetE1EEEvT1_
                                        ; -- End function
	.section	.AMDGPU.csdata,"",@progbits
; Kernel info:
; codeLenInByte = 0
; NumSgprs: 4
; NumVgprs: 0
; NumAgprs: 0
; TotalNumVgprs: 0
; ScratchSize: 0
; MemoryBound: 0
; FloatMode: 240
; IeeeMode: 1
; LDSByteSize: 0 bytes/workgroup (compile time only)
; SGPRBlocks: 0
; VGPRBlocks: 0
; NumSGPRsForWavesPerEU: 4
; NumVGPRsForWavesPerEU: 1
; AccumOffset: 4
; Occupancy: 8
; WaveLimiterHint : 0
; COMPUTE_PGM_RSRC2:SCRATCH_EN: 0
; COMPUTE_PGM_RSRC2:USER_SGPR: 6
; COMPUTE_PGM_RSRC2:TRAP_HANDLER: 0
; COMPUTE_PGM_RSRC2:TGID_X_EN: 1
; COMPUTE_PGM_RSRC2:TGID_Y_EN: 0
; COMPUTE_PGM_RSRC2:TGID_Z_EN: 0
; COMPUTE_PGM_RSRC2:TIDIG_COMP_CNT: 0
; COMPUTE_PGM_RSRC3_GFX90A:ACCUM_OFFSET: 0
; COMPUTE_PGM_RSRC3_GFX90A:TG_SPLIT: 0
	.section	.text._ZN7rocprim17ROCPRIM_400000_NS6detail17trampoline_kernelINS0_14default_configENS1_25partition_config_selectorILNS1_17partition_subalgoE8ElNS0_10empty_typeEbEEZZNS1_14partition_implILS5_8ELb0ES3_jPlPS6_PKS6_NS0_5tupleIJS9_S6_EEENSD_IJSA_SA_EEENS0_18inequality_wrapperIZN2at6native12_GLOBAL__N_124unique_dim_cuda_templateIfEESt5tupleIJNSH_6TensorESM_SM_EERKSM_lbbbEUlllE0_EEPmJS6_EEE10hipError_tPvRmT3_T4_T5_T6_T7_T9_mT8_P12ihipStream_tbDpT10_ENKUlT_T0_E_clISt17integral_constantIbLb0EES1C_EEDaS17_S18_EUlS17_E_NS1_11comp_targetILNS1_3genE2ELNS1_11target_archE906ELNS1_3gpuE6ELNS1_3repE0EEENS1_30default_config_static_selectorELNS0_4arch9wavefront6targetE1EEEvT1_,"axG",@progbits,_ZN7rocprim17ROCPRIM_400000_NS6detail17trampoline_kernelINS0_14default_configENS1_25partition_config_selectorILNS1_17partition_subalgoE8ElNS0_10empty_typeEbEEZZNS1_14partition_implILS5_8ELb0ES3_jPlPS6_PKS6_NS0_5tupleIJS9_S6_EEENSD_IJSA_SA_EEENS0_18inequality_wrapperIZN2at6native12_GLOBAL__N_124unique_dim_cuda_templateIfEESt5tupleIJNSH_6TensorESM_SM_EERKSM_lbbbEUlllE0_EEPmJS6_EEE10hipError_tPvRmT3_T4_T5_T6_T7_T9_mT8_P12ihipStream_tbDpT10_ENKUlT_T0_E_clISt17integral_constantIbLb0EES1C_EEDaS17_S18_EUlS17_E_NS1_11comp_targetILNS1_3genE2ELNS1_11target_archE906ELNS1_3gpuE6ELNS1_3repE0EEENS1_30default_config_static_selectorELNS0_4arch9wavefront6targetE1EEEvT1_,comdat
	.globl	_ZN7rocprim17ROCPRIM_400000_NS6detail17trampoline_kernelINS0_14default_configENS1_25partition_config_selectorILNS1_17partition_subalgoE8ElNS0_10empty_typeEbEEZZNS1_14partition_implILS5_8ELb0ES3_jPlPS6_PKS6_NS0_5tupleIJS9_S6_EEENSD_IJSA_SA_EEENS0_18inequality_wrapperIZN2at6native12_GLOBAL__N_124unique_dim_cuda_templateIfEESt5tupleIJNSH_6TensorESM_SM_EERKSM_lbbbEUlllE0_EEPmJS6_EEE10hipError_tPvRmT3_T4_T5_T6_T7_T9_mT8_P12ihipStream_tbDpT10_ENKUlT_T0_E_clISt17integral_constantIbLb0EES1C_EEDaS17_S18_EUlS17_E_NS1_11comp_targetILNS1_3genE2ELNS1_11target_archE906ELNS1_3gpuE6ELNS1_3repE0EEENS1_30default_config_static_selectorELNS0_4arch9wavefront6targetE1EEEvT1_ ; -- Begin function _ZN7rocprim17ROCPRIM_400000_NS6detail17trampoline_kernelINS0_14default_configENS1_25partition_config_selectorILNS1_17partition_subalgoE8ElNS0_10empty_typeEbEEZZNS1_14partition_implILS5_8ELb0ES3_jPlPS6_PKS6_NS0_5tupleIJS9_S6_EEENSD_IJSA_SA_EEENS0_18inequality_wrapperIZN2at6native12_GLOBAL__N_124unique_dim_cuda_templateIfEESt5tupleIJNSH_6TensorESM_SM_EERKSM_lbbbEUlllE0_EEPmJS6_EEE10hipError_tPvRmT3_T4_T5_T6_T7_T9_mT8_P12ihipStream_tbDpT10_ENKUlT_T0_E_clISt17integral_constantIbLb0EES1C_EEDaS17_S18_EUlS17_E_NS1_11comp_targetILNS1_3genE2ELNS1_11target_archE906ELNS1_3gpuE6ELNS1_3repE0EEENS1_30default_config_static_selectorELNS0_4arch9wavefront6targetE1EEEvT1_
	.p2align	8
	.type	_ZN7rocprim17ROCPRIM_400000_NS6detail17trampoline_kernelINS0_14default_configENS1_25partition_config_selectorILNS1_17partition_subalgoE8ElNS0_10empty_typeEbEEZZNS1_14partition_implILS5_8ELb0ES3_jPlPS6_PKS6_NS0_5tupleIJS9_S6_EEENSD_IJSA_SA_EEENS0_18inequality_wrapperIZN2at6native12_GLOBAL__N_124unique_dim_cuda_templateIfEESt5tupleIJNSH_6TensorESM_SM_EERKSM_lbbbEUlllE0_EEPmJS6_EEE10hipError_tPvRmT3_T4_T5_T6_T7_T9_mT8_P12ihipStream_tbDpT10_ENKUlT_T0_E_clISt17integral_constantIbLb0EES1C_EEDaS17_S18_EUlS17_E_NS1_11comp_targetILNS1_3genE2ELNS1_11target_archE906ELNS1_3gpuE6ELNS1_3repE0EEENS1_30default_config_static_selectorELNS0_4arch9wavefront6targetE1EEEvT1_,@function
_ZN7rocprim17ROCPRIM_400000_NS6detail17trampoline_kernelINS0_14default_configENS1_25partition_config_selectorILNS1_17partition_subalgoE8ElNS0_10empty_typeEbEEZZNS1_14partition_implILS5_8ELb0ES3_jPlPS6_PKS6_NS0_5tupleIJS9_S6_EEENSD_IJSA_SA_EEENS0_18inequality_wrapperIZN2at6native12_GLOBAL__N_124unique_dim_cuda_templateIfEESt5tupleIJNSH_6TensorESM_SM_EERKSM_lbbbEUlllE0_EEPmJS6_EEE10hipError_tPvRmT3_T4_T5_T6_T7_T9_mT8_P12ihipStream_tbDpT10_ENKUlT_T0_E_clISt17integral_constantIbLb0EES1C_EEDaS17_S18_EUlS17_E_NS1_11comp_targetILNS1_3genE2ELNS1_11target_archE906ELNS1_3gpuE6ELNS1_3repE0EEENS1_30default_config_static_selectorELNS0_4arch9wavefront6targetE1EEEvT1_: ; @_ZN7rocprim17ROCPRIM_400000_NS6detail17trampoline_kernelINS0_14default_configENS1_25partition_config_selectorILNS1_17partition_subalgoE8ElNS0_10empty_typeEbEEZZNS1_14partition_implILS5_8ELb0ES3_jPlPS6_PKS6_NS0_5tupleIJS9_S6_EEENSD_IJSA_SA_EEENS0_18inequality_wrapperIZN2at6native12_GLOBAL__N_124unique_dim_cuda_templateIfEESt5tupleIJNSH_6TensorESM_SM_EERKSM_lbbbEUlllE0_EEPmJS6_EEE10hipError_tPvRmT3_T4_T5_T6_T7_T9_mT8_P12ihipStream_tbDpT10_ENKUlT_T0_E_clISt17integral_constantIbLb0EES1C_EEDaS17_S18_EUlS17_E_NS1_11comp_targetILNS1_3genE2ELNS1_11target_archE906ELNS1_3gpuE6ELNS1_3repE0EEENS1_30default_config_static_selectorELNS0_4arch9wavefront6targetE1EEEvT1_
; %bb.0:
	.section	.rodata,"a",@progbits
	.p2align	6, 0x0
	.amdhsa_kernel _ZN7rocprim17ROCPRIM_400000_NS6detail17trampoline_kernelINS0_14default_configENS1_25partition_config_selectorILNS1_17partition_subalgoE8ElNS0_10empty_typeEbEEZZNS1_14partition_implILS5_8ELb0ES3_jPlPS6_PKS6_NS0_5tupleIJS9_S6_EEENSD_IJSA_SA_EEENS0_18inequality_wrapperIZN2at6native12_GLOBAL__N_124unique_dim_cuda_templateIfEESt5tupleIJNSH_6TensorESM_SM_EERKSM_lbbbEUlllE0_EEPmJS6_EEE10hipError_tPvRmT3_T4_T5_T6_T7_T9_mT8_P12ihipStream_tbDpT10_ENKUlT_T0_E_clISt17integral_constantIbLb0EES1C_EEDaS17_S18_EUlS17_E_NS1_11comp_targetILNS1_3genE2ELNS1_11target_archE906ELNS1_3gpuE6ELNS1_3repE0EEENS1_30default_config_static_selectorELNS0_4arch9wavefront6targetE1EEEvT1_
		.amdhsa_group_segment_fixed_size 0
		.amdhsa_private_segment_fixed_size 0
		.amdhsa_kernarg_size 120
		.amdhsa_user_sgpr_count 6
		.amdhsa_user_sgpr_private_segment_buffer 1
		.amdhsa_user_sgpr_dispatch_ptr 0
		.amdhsa_user_sgpr_queue_ptr 0
		.amdhsa_user_sgpr_kernarg_segment_ptr 1
		.amdhsa_user_sgpr_dispatch_id 0
		.amdhsa_user_sgpr_flat_scratch_init 0
		.amdhsa_user_sgpr_kernarg_preload_length 0
		.amdhsa_user_sgpr_kernarg_preload_offset 0
		.amdhsa_user_sgpr_private_segment_size 0
		.amdhsa_uses_dynamic_stack 0
		.amdhsa_system_sgpr_private_segment_wavefront_offset 0
		.amdhsa_system_sgpr_workgroup_id_x 1
		.amdhsa_system_sgpr_workgroup_id_y 0
		.amdhsa_system_sgpr_workgroup_id_z 0
		.amdhsa_system_sgpr_workgroup_info 0
		.amdhsa_system_vgpr_workitem_id 0
		.amdhsa_next_free_vgpr 1
		.amdhsa_next_free_sgpr 0
		.amdhsa_accum_offset 4
		.amdhsa_reserve_vcc 0
		.amdhsa_reserve_flat_scratch 0
		.amdhsa_float_round_mode_32 0
		.amdhsa_float_round_mode_16_64 0
		.amdhsa_float_denorm_mode_32 3
		.amdhsa_float_denorm_mode_16_64 3
		.amdhsa_dx10_clamp 1
		.amdhsa_ieee_mode 1
		.amdhsa_fp16_overflow 0
		.amdhsa_tg_split 0
		.amdhsa_exception_fp_ieee_invalid_op 0
		.amdhsa_exception_fp_denorm_src 0
		.amdhsa_exception_fp_ieee_div_zero 0
		.amdhsa_exception_fp_ieee_overflow 0
		.amdhsa_exception_fp_ieee_underflow 0
		.amdhsa_exception_fp_ieee_inexact 0
		.amdhsa_exception_int_div_zero 0
	.end_amdhsa_kernel
	.section	.text._ZN7rocprim17ROCPRIM_400000_NS6detail17trampoline_kernelINS0_14default_configENS1_25partition_config_selectorILNS1_17partition_subalgoE8ElNS0_10empty_typeEbEEZZNS1_14partition_implILS5_8ELb0ES3_jPlPS6_PKS6_NS0_5tupleIJS9_S6_EEENSD_IJSA_SA_EEENS0_18inequality_wrapperIZN2at6native12_GLOBAL__N_124unique_dim_cuda_templateIfEESt5tupleIJNSH_6TensorESM_SM_EERKSM_lbbbEUlllE0_EEPmJS6_EEE10hipError_tPvRmT3_T4_T5_T6_T7_T9_mT8_P12ihipStream_tbDpT10_ENKUlT_T0_E_clISt17integral_constantIbLb0EES1C_EEDaS17_S18_EUlS17_E_NS1_11comp_targetILNS1_3genE2ELNS1_11target_archE906ELNS1_3gpuE6ELNS1_3repE0EEENS1_30default_config_static_selectorELNS0_4arch9wavefront6targetE1EEEvT1_,"axG",@progbits,_ZN7rocprim17ROCPRIM_400000_NS6detail17trampoline_kernelINS0_14default_configENS1_25partition_config_selectorILNS1_17partition_subalgoE8ElNS0_10empty_typeEbEEZZNS1_14partition_implILS5_8ELb0ES3_jPlPS6_PKS6_NS0_5tupleIJS9_S6_EEENSD_IJSA_SA_EEENS0_18inequality_wrapperIZN2at6native12_GLOBAL__N_124unique_dim_cuda_templateIfEESt5tupleIJNSH_6TensorESM_SM_EERKSM_lbbbEUlllE0_EEPmJS6_EEE10hipError_tPvRmT3_T4_T5_T6_T7_T9_mT8_P12ihipStream_tbDpT10_ENKUlT_T0_E_clISt17integral_constantIbLb0EES1C_EEDaS17_S18_EUlS17_E_NS1_11comp_targetILNS1_3genE2ELNS1_11target_archE906ELNS1_3gpuE6ELNS1_3repE0EEENS1_30default_config_static_selectorELNS0_4arch9wavefront6targetE1EEEvT1_,comdat
.Lfunc_end933:
	.size	_ZN7rocprim17ROCPRIM_400000_NS6detail17trampoline_kernelINS0_14default_configENS1_25partition_config_selectorILNS1_17partition_subalgoE8ElNS0_10empty_typeEbEEZZNS1_14partition_implILS5_8ELb0ES3_jPlPS6_PKS6_NS0_5tupleIJS9_S6_EEENSD_IJSA_SA_EEENS0_18inequality_wrapperIZN2at6native12_GLOBAL__N_124unique_dim_cuda_templateIfEESt5tupleIJNSH_6TensorESM_SM_EERKSM_lbbbEUlllE0_EEPmJS6_EEE10hipError_tPvRmT3_T4_T5_T6_T7_T9_mT8_P12ihipStream_tbDpT10_ENKUlT_T0_E_clISt17integral_constantIbLb0EES1C_EEDaS17_S18_EUlS17_E_NS1_11comp_targetILNS1_3genE2ELNS1_11target_archE906ELNS1_3gpuE6ELNS1_3repE0EEENS1_30default_config_static_selectorELNS0_4arch9wavefront6targetE1EEEvT1_, .Lfunc_end933-_ZN7rocprim17ROCPRIM_400000_NS6detail17trampoline_kernelINS0_14default_configENS1_25partition_config_selectorILNS1_17partition_subalgoE8ElNS0_10empty_typeEbEEZZNS1_14partition_implILS5_8ELb0ES3_jPlPS6_PKS6_NS0_5tupleIJS9_S6_EEENSD_IJSA_SA_EEENS0_18inequality_wrapperIZN2at6native12_GLOBAL__N_124unique_dim_cuda_templateIfEESt5tupleIJNSH_6TensorESM_SM_EERKSM_lbbbEUlllE0_EEPmJS6_EEE10hipError_tPvRmT3_T4_T5_T6_T7_T9_mT8_P12ihipStream_tbDpT10_ENKUlT_T0_E_clISt17integral_constantIbLb0EES1C_EEDaS17_S18_EUlS17_E_NS1_11comp_targetILNS1_3genE2ELNS1_11target_archE906ELNS1_3gpuE6ELNS1_3repE0EEENS1_30default_config_static_selectorELNS0_4arch9wavefront6targetE1EEEvT1_
                                        ; -- End function
	.section	.AMDGPU.csdata,"",@progbits
; Kernel info:
; codeLenInByte = 0
; NumSgprs: 4
; NumVgprs: 0
; NumAgprs: 0
; TotalNumVgprs: 0
; ScratchSize: 0
; MemoryBound: 0
; FloatMode: 240
; IeeeMode: 1
; LDSByteSize: 0 bytes/workgroup (compile time only)
; SGPRBlocks: 0
; VGPRBlocks: 0
; NumSGPRsForWavesPerEU: 4
; NumVGPRsForWavesPerEU: 1
; AccumOffset: 4
; Occupancy: 8
; WaveLimiterHint : 0
; COMPUTE_PGM_RSRC2:SCRATCH_EN: 0
; COMPUTE_PGM_RSRC2:USER_SGPR: 6
; COMPUTE_PGM_RSRC2:TRAP_HANDLER: 0
; COMPUTE_PGM_RSRC2:TGID_X_EN: 1
; COMPUTE_PGM_RSRC2:TGID_Y_EN: 0
; COMPUTE_PGM_RSRC2:TGID_Z_EN: 0
; COMPUTE_PGM_RSRC2:TIDIG_COMP_CNT: 0
; COMPUTE_PGM_RSRC3_GFX90A:ACCUM_OFFSET: 0
; COMPUTE_PGM_RSRC3_GFX90A:TG_SPLIT: 0
	.section	.text._ZN7rocprim17ROCPRIM_400000_NS6detail17trampoline_kernelINS0_14default_configENS1_25partition_config_selectorILNS1_17partition_subalgoE8ElNS0_10empty_typeEbEEZZNS1_14partition_implILS5_8ELb0ES3_jPlPS6_PKS6_NS0_5tupleIJS9_S6_EEENSD_IJSA_SA_EEENS0_18inequality_wrapperIZN2at6native12_GLOBAL__N_124unique_dim_cuda_templateIfEESt5tupleIJNSH_6TensorESM_SM_EERKSM_lbbbEUlllE0_EEPmJS6_EEE10hipError_tPvRmT3_T4_T5_T6_T7_T9_mT8_P12ihipStream_tbDpT10_ENKUlT_T0_E_clISt17integral_constantIbLb0EES1C_EEDaS17_S18_EUlS17_E_NS1_11comp_targetILNS1_3genE10ELNS1_11target_archE1200ELNS1_3gpuE4ELNS1_3repE0EEENS1_30default_config_static_selectorELNS0_4arch9wavefront6targetE1EEEvT1_,"axG",@progbits,_ZN7rocprim17ROCPRIM_400000_NS6detail17trampoline_kernelINS0_14default_configENS1_25partition_config_selectorILNS1_17partition_subalgoE8ElNS0_10empty_typeEbEEZZNS1_14partition_implILS5_8ELb0ES3_jPlPS6_PKS6_NS0_5tupleIJS9_S6_EEENSD_IJSA_SA_EEENS0_18inequality_wrapperIZN2at6native12_GLOBAL__N_124unique_dim_cuda_templateIfEESt5tupleIJNSH_6TensorESM_SM_EERKSM_lbbbEUlllE0_EEPmJS6_EEE10hipError_tPvRmT3_T4_T5_T6_T7_T9_mT8_P12ihipStream_tbDpT10_ENKUlT_T0_E_clISt17integral_constantIbLb0EES1C_EEDaS17_S18_EUlS17_E_NS1_11comp_targetILNS1_3genE10ELNS1_11target_archE1200ELNS1_3gpuE4ELNS1_3repE0EEENS1_30default_config_static_selectorELNS0_4arch9wavefront6targetE1EEEvT1_,comdat
	.globl	_ZN7rocprim17ROCPRIM_400000_NS6detail17trampoline_kernelINS0_14default_configENS1_25partition_config_selectorILNS1_17partition_subalgoE8ElNS0_10empty_typeEbEEZZNS1_14partition_implILS5_8ELb0ES3_jPlPS6_PKS6_NS0_5tupleIJS9_S6_EEENSD_IJSA_SA_EEENS0_18inequality_wrapperIZN2at6native12_GLOBAL__N_124unique_dim_cuda_templateIfEESt5tupleIJNSH_6TensorESM_SM_EERKSM_lbbbEUlllE0_EEPmJS6_EEE10hipError_tPvRmT3_T4_T5_T6_T7_T9_mT8_P12ihipStream_tbDpT10_ENKUlT_T0_E_clISt17integral_constantIbLb0EES1C_EEDaS17_S18_EUlS17_E_NS1_11comp_targetILNS1_3genE10ELNS1_11target_archE1200ELNS1_3gpuE4ELNS1_3repE0EEENS1_30default_config_static_selectorELNS0_4arch9wavefront6targetE1EEEvT1_ ; -- Begin function _ZN7rocprim17ROCPRIM_400000_NS6detail17trampoline_kernelINS0_14default_configENS1_25partition_config_selectorILNS1_17partition_subalgoE8ElNS0_10empty_typeEbEEZZNS1_14partition_implILS5_8ELb0ES3_jPlPS6_PKS6_NS0_5tupleIJS9_S6_EEENSD_IJSA_SA_EEENS0_18inequality_wrapperIZN2at6native12_GLOBAL__N_124unique_dim_cuda_templateIfEESt5tupleIJNSH_6TensorESM_SM_EERKSM_lbbbEUlllE0_EEPmJS6_EEE10hipError_tPvRmT3_T4_T5_T6_T7_T9_mT8_P12ihipStream_tbDpT10_ENKUlT_T0_E_clISt17integral_constantIbLb0EES1C_EEDaS17_S18_EUlS17_E_NS1_11comp_targetILNS1_3genE10ELNS1_11target_archE1200ELNS1_3gpuE4ELNS1_3repE0EEENS1_30default_config_static_selectorELNS0_4arch9wavefront6targetE1EEEvT1_
	.p2align	8
	.type	_ZN7rocprim17ROCPRIM_400000_NS6detail17trampoline_kernelINS0_14default_configENS1_25partition_config_selectorILNS1_17partition_subalgoE8ElNS0_10empty_typeEbEEZZNS1_14partition_implILS5_8ELb0ES3_jPlPS6_PKS6_NS0_5tupleIJS9_S6_EEENSD_IJSA_SA_EEENS0_18inequality_wrapperIZN2at6native12_GLOBAL__N_124unique_dim_cuda_templateIfEESt5tupleIJNSH_6TensorESM_SM_EERKSM_lbbbEUlllE0_EEPmJS6_EEE10hipError_tPvRmT3_T4_T5_T6_T7_T9_mT8_P12ihipStream_tbDpT10_ENKUlT_T0_E_clISt17integral_constantIbLb0EES1C_EEDaS17_S18_EUlS17_E_NS1_11comp_targetILNS1_3genE10ELNS1_11target_archE1200ELNS1_3gpuE4ELNS1_3repE0EEENS1_30default_config_static_selectorELNS0_4arch9wavefront6targetE1EEEvT1_,@function
_ZN7rocprim17ROCPRIM_400000_NS6detail17trampoline_kernelINS0_14default_configENS1_25partition_config_selectorILNS1_17partition_subalgoE8ElNS0_10empty_typeEbEEZZNS1_14partition_implILS5_8ELb0ES3_jPlPS6_PKS6_NS0_5tupleIJS9_S6_EEENSD_IJSA_SA_EEENS0_18inequality_wrapperIZN2at6native12_GLOBAL__N_124unique_dim_cuda_templateIfEESt5tupleIJNSH_6TensorESM_SM_EERKSM_lbbbEUlllE0_EEPmJS6_EEE10hipError_tPvRmT3_T4_T5_T6_T7_T9_mT8_P12ihipStream_tbDpT10_ENKUlT_T0_E_clISt17integral_constantIbLb0EES1C_EEDaS17_S18_EUlS17_E_NS1_11comp_targetILNS1_3genE10ELNS1_11target_archE1200ELNS1_3gpuE4ELNS1_3repE0EEENS1_30default_config_static_selectorELNS0_4arch9wavefront6targetE1EEEvT1_: ; @_ZN7rocprim17ROCPRIM_400000_NS6detail17trampoline_kernelINS0_14default_configENS1_25partition_config_selectorILNS1_17partition_subalgoE8ElNS0_10empty_typeEbEEZZNS1_14partition_implILS5_8ELb0ES3_jPlPS6_PKS6_NS0_5tupleIJS9_S6_EEENSD_IJSA_SA_EEENS0_18inequality_wrapperIZN2at6native12_GLOBAL__N_124unique_dim_cuda_templateIfEESt5tupleIJNSH_6TensorESM_SM_EERKSM_lbbbEUlllE0_EEPmJS6_EEE10hipError_tPvRmT3_T4_T5_T6_T7_T9_mT8_P12ihipStream_tbDpT10_ENKUlT_T0_E_clISt17integral_constantIbLb0EES1C_EEDaS17_S18_EUlS17_E_NS1_11comp_targetILNS1_3genE10ELNS1_11target_archE1200ELNS1_3gpuE4ELNS1_3repE0EEENS1_30default_config_static_selectorELNS0_4arch9wavefront6targetE1EEEvT1_
; %bb.0:
	.section	.rodata,"a",@progbits
	.p2align	6, 0x0
	.amdhsa_kernel _ZN7rocprim17ROCPRIM_400000_NS6detail17trampoline_kernelINS0_14default_configENS1_25partition_config_selectorILNS1_17partition_subalgoE8ElNS0_10empty_typeEbEEZZNS1_14partition_implILS5_8ELb0ES3_jPlPS6_PKS6_NS0_5tupleIJS9_S6_EEENSD_IJSA_SA_EEENS0_18inequality_wrapperIZN2at6native12_GLOBAL__N_124unique_dim_cuda_templateIfEESt5tupleIJNSH_6TensorESM_SM_EERKSM_lbbbEUlllE0_EEPmJS6_EEE10hipError_tPvRmT3_T4_T5_T6_T7_T9_mT8_P12ihipStream_tbDpT10_ENKUlT_T0_E_clISt17integral_constantIbLb0EES1C_EEDaS17_S18_EUlS17_E_NS1_11comp_targetILNS1_3genE10ELNS1_11target_archE1200ELNS1_3gpuE4ELNS1_3repE0EEENS1_30default_config_static_selectorELNS0_4arch9wavefront6targetE1EEEvT1_
		.amdhsa_group_segment_fixed_size 0
		.amdhsa_private_segment_fixed_size 0
		.amdhsa_kernarg_size 120
		.amdhsa_user_sgpr_count 6
		.amdhsa_user_sgpr_private_segment_buffer 1
		.amdhsa_user_sgpr_dispatch_ptr 0
		.amdhsa_user_sgpr_queue_ptr 0
		.amdhsa_user_sgpr_kernarg_segment_ptr 1
		.amdhsa_user_sgpr_dispatch_id 0
		.amdhsa_user_sgpr_flat_scratch_init 0
		.amdhsa_user_sgpr_kernarg_preload_length 0
		.amdhsa_user_sgpr_kernarg_preload_offset 0
		.amdhsa_user_sgpr_private_segment_size 0
		.amdhsa_uses_dynamic_stack 0
		.amdhsa_system_sgpr_private_segment_wavefront_offset 0
		.amdhsa_system_sgpr_workgroup_id_x 1
		.amdhsa_system_sgpr_workgroup_id_y 0
		.amdhsa_system_sgpr_workgroup_id_z 0
		.amdhsa_system_sgpr_workgroup_info 0
		.amdhsa_system_vgpr_workitem_id 0
		.amdhsa_next_free_vgpr 1
		.amdhsa_next_free_sgpr 0
		.amdhsa_accum_offset 4
		.amdhsa_reserve_vcc 0
		.amdhsa_reserve_flat_scratch 0
		.amdhsa_float_round_mode_32 0
		.amdhsa_float_round_mode_16_64 0
		.amdhsa_float_denorm_mode_32 3
		.amdhsa_float_denorm_mode_16_64 3
		.amdhsa_dx10_clamp 1
		.amdhsa_ieee_mode 1
		.amdhsa_fp16_overflow 0
		.amdhsa_tg_split 0
		.amdhsa_exception_fp_ieee_invalid_op 0
		.amdhsa_exception_fp_denorm_src 0
		.amdhsa_exception_fp_ieee_div_zero 0
		.amdhsa_exception_fp_ieee_overflow 0
		.amdhsa_exception_fp_ieee_underflow 0
		.amdhsa_exception_fp_ieee_inexact 0
		.amdhsa_exception_int_div_zero 0
	.end_amdhsa_kernel
	.section	.text._ZN7rocprim17ROCPRIM_400000_NS6detail17trampoline_kernelINS0_14default_configENS1_25partition_config_selectorILNS1_17partition_subalgoE8ElNS0_10empty_typeEbEEZZNS1_14partition_implILS5_8ELb0ES3_jPlPS6_PKS6_NS0_5tupleIJS9_S6_EEENSD_IJSA_SA_EEENS0_18inequality_wrapperIZN2at6native12_GLOBAL__N_124unique_dim_cuda_templateIfEESt5tupleIJNSH_6TensorESM_SM_EERKSM_lbbbEUlllE0_EEPmJS6_EEE10hipError_tPvRmT3_T4_T5_T6_T7_T9_mT8_P12ihipStream_tbDpT10_ENKUlT_T0_E_clISt17integral_constantIbLb0EES1C_EEDaS17_S18_EUlS17_E_NS1_11comp_targetILNS1_3genE10ELNS1_11target_archE1200ELNS1_3gpuE4ELNS1_3repE0EEENS1_30default_config_static_selectorELNS0_4arch9wavefront6targetE1EEEvT1_,"axG",@progbits,_ZN7rocprim17ROCPRIM_400000_NS6detail17trampoline_kernelINS0_14default_configENS1_25partition_config_selectorILNS1_17partition_subalgoE8ElNS0_10empty_typeEbEEZZNS1_14partition_implILS5_8ELb0ES3_jPlPS6_PKS6_NS0_5tupleIJS9_S6_EEENSD_IJSA_SA_EEENS0_18inequality_wrapperIZN2at6native12_GLOBAL__N_124unique_dim_cuda_templateIfEESt5tupleIJNSH_6TensorESM_SM_EERKSM_lbbbEUlllE0_EEPmJS6_EEE10hipError_tPvRmT3_T4_T5_T6_T7_T9_mT8_P12ihipStream_tbDpT10_ENKUlT_T0_E_clISt17integral_constantIbLb0EES1C_EEDaS17_S18_EUlS17_E_NS1_11comp_targetILNS1_3genE10ELNS1_11target_archE1200ELNS1_3gpuE4ELNS1_3repE0EEENS1_30default_config_static_selectorELNS0_4arch9wavefront6targetE1EEEvT1_,comdat
.Lfunc_end934:
	.size	_ZN7rocprim17ROCPRIM_400000_NS6detail17trampoline_kernelINS0_14default_configENS1_25partition_config_selectorILNS1_17partition_subalgoE8ElNS0_10empty_typeEbEEZZNS1_14partition_implILS5_8ELb0ES3_jPlPS6_PKS6_NS0_5tupleIJS9_S6_EEENSD_IJSA_SA_EEENS0_18inequality_wrapperIZN2at6native12_GLOBAL__N_124unique_dim_cuda_templateIfEESt5tupleIJNSH_6TensorESM_SM_EERKSM_lbbbEUlllE0_EEPmJS6_EEE10hipError_tPvRmT3_T4_T5_T6_T7_T9_mT8_P12ihipStream_tbDpT10_ENKUlT_T0_E_clISt17integral_constantIbLb0EES1C_EEDaS17_S18_EUlS17_E_NS1_11comp_targetILNS1_3genE10ELNS1_11target_archE1200ELNS1_3gpuE4ELNS1_3repE0EEENS1_30default_config_static_selectorELNS0_4arch9wavefront6targetE1EEEvT1_, .Lfunc_end934-_ZN7rocprim17ROCPRIM_400000_NS6detail17trampoline_kernelINS0_14default_configENS1_25partition_config_selectorILNS1_17partition_subalgoE8ElNS0_10empty_typeEbEEZZNS1_14partition_implILS5_8ELb0ES3_jPlPS6_PKS6_NS0_5tupleIJS9_S6_EEENSD_IJSA_SA_EEENS0_18inequality_wrapperIZN2at6native12_GLOBAL__N_124unique_dim_cuda_templateIfEESt5tupleIJNSH_6TensorESM_SM_EERKSM_lbbbEUlllE0_EEPmJS6_EEE10hipError_tPvRmT3_T4_T5_T6_T7_T9_mT8_P12ihipStream_tbDpT10_ENKUlT_T0_E_clISt17integral_constantIbLb0EES1C_EEDaS17_S18_EUlS17_E_NS1_11comp_targetILNS1_3genE10ELNS1_11target_archE1200ELNS1_3gpuE4ELNS1_3repE0EEENS1_30default_config_static_selectorELNS0_4arch9wavefront6targetE1EEEvT1_
                                        ; -- End function
	.section	.AMDGPU.csdata,"",@progbits
; Kernel info:
; codeLenInByte = 0
; NumSgprs: 4
; NumVgprs: 0
; NumAgprs: 0
; TotalNumVgprs: 0
; ScratchSize: 0
; MemoryBound: 0
; FloatMode: 240
; IeeeMode: 1
; LDSByteSize: 0 bytes/workgroup (compile time only)
; SGPRBlocks: 0
; VGPRBlocks: 0
; NumSGPRsForWavesPerEU: 4
; NumVGPRsForWavesPerEU: 1
; AccumOffset: 4
; Occupancy: 8
; WaveLimiterHint : 0
; COMPUTE_PGM_RSRC2:SCRATCH_EN: 0
; COMPUTE_PGM_RSRC2:USER_SGPR: 6
; COMPUTE_PGM_RSRC2:TRAP_HANDLER: 0
; COMPUTE_PGM_RSRC2:TGID_X_EN: 1
; COMPUTE_PGM_RSRC2:TGID_Y_EN: 0
; COMPUTE_PGM_RSRC2:TGID_Z_EN: 0
; COMPUTE_PGM_RSRC2:TIDIG_COMP_CNT: 0
; COMPUTE_PGM_RSRC3_GFX90A:ACCUM_OFFSET: 0
; COMPUTE_PGM_RSRC3_GFX90A:TG_SPLIT: 0
	.section	.text._ZN7rocprim17ROCPRIM_400000_NS6detail17trampoline_kernelINS0_14default_configENS1_25partition_config_selectorILNS1_17partition_subalgoE8ElNS0_10empty_typeEbEEZZNS1_14partition_implILS5_8ELb0ES3_jPlPS6_PKS6_NS0_5tupleIJS9_S6_EEENSD_IJSA_SA_EEENS0_18inequality_wrapperIZN2at6native12_GLOBAL__N_124unique_dim_cuda_templateIfEESt5tupleIJNSH_6TensorESM_SM_EERKSM_lbbbEUlllE0_EEPmJS6_EEE10hipError_tPvRmT3_T4_T5_T6_T7_T9_mT8_P12ihipStream_tbDpT10_ENKUlT_T0_E_clISt17integral_constantIbLb0EES1C_EEDaS17_S18_EUlS17_E_NS1_11comp_targetILNS1_3genE9ELNS1_11target_archE1100ELNS1_3gpuE3ELNS1_3repE0EEENS1_30default_config_static_selectorELNS0_4arch9wavefront6targetE1EEEvT1_,"axG",@progbits,_ZN7rocprim17ROCPRIM_400000_NS6detail17trampoline_kernelINS0_14default_configENS1_25partition_config_selectorILNS1_17partition_subalgoE8ElNS0_10empty_typeEbEEZZNS1_14partition_implILS5_8ELb0ES3_jPlPS6_PKS6_NS0_5tupleIJS9_S6_EEENSD_IJSA_SA_EEENS0_18inequality_wrapperIZN2at6native12_GLOBAL__N_124unique_dim_cuda_templateIfEESt5tupleIJNSH_6TensorESM_SM_EERKSM_lbbbEUlllE0_EEPmJS6_EEE10hipError_tPvRmT3_T4_T5_T6_T7_T9_mT8_P12ihipStream_tbDpT10_ENKUlT_T0_E_clISt17integral_constantIbLb0EES1C_EEDaS17_S18_EUlS17_E_NS1_11comp_targetILNS1_3genE9ELNS1_11target_archE1100ELNS1_3gpuE3ELNS1_3repE0EEENS1_30default_config_static_selectorELNS0_4arch9wavefront6targetE1EEEvT1_,comdat
	.globl	_ZN7rocprim17ROCPRIM_400000_NS6detail17trampoline_kernelINS0_14default_configENS1_25partition_config_selectorILNS1_17partition_subalgoE8ElNS0_10empty_typeEbEEZZNS1_14partition_implILS5_8ELb0ES3_jPlPS6_PKS6_NS0_5tupleIJS9_S6_EEENSD_IJSA_SA_EEENS0_18inequality_wrapperIZN2at6native12_GLOBAL__N_124unique_dim_cuda_templateIfEESt5tupleIJNSH_6TensorESM_SM_EERKSM_lbbbEUlllE0_EEPmJS6_EEE10hipError_tPvRmT3_T4_T5_T6_T7_T9_mT8_P12ihipStream_tbDpT10_ENKUlT_T0_E_clISt17integral_constantIbLb0EES1C_EEDaS17_S18_EUlS17_E_NS1_11comp_targetILNS1_3genE9ELNS1_11target_archE1100ELNS1_3gpuE3ELNS1_3repE0EEENS1_30default_config_static_selectorELNS0_4arch9wavefront6targetE1EEEvT1_ ; -- Begin function _ZN7rocprim17ROCPRIM_400000_NS6detail17trampoline_kernelINS0_14default_configENS1_25partition_config_selectorILNS1_17partition_subalgoE8ElNS0_10empty_typeEbEEZZNS1_14partition_implILS5_8ELb0ES3_jPlPS6_PKS6_NS0_5tupleIJS9_S6_EEENSD_IJSA_SA_EEENS0_18inequality_wrapperIZN2at6native12_GLOBAL__N_124unique_dim_cuda_templateIfEESt5tupleIJNSH_6TensorESM_SM_EERKSM_lbbbEUlllE0_EEPmJS6_EEE10hipError_tPvRmT3_T4_T5_T6_T7_T9_mT8_P12ihipStream_tbDpT10_ENKUlT_T0_E_clISt17integral_constantIbLb0EES1C_EEDaS17_S18_EUlS17_E_NS1_11comp_targetILNS1_3genE9ELNS1_11target_archE1100ELNS1_3gpuE3ELNS1_3repE0EEENS1_30default_config_static_selectorELNS0_4arch9wavefront6targetE1EEEvT1_
	.p2align	8
	.type	_ZN7rocprim17ROCPRIM_400000_NS6detail17trampoline_kernelINS0_14default_configENS1_25partition_config_selectorILNS1_17partition_subalgoE8ElNS0_10empty_typeEbEEZZNS1_14partition_implILS5_8ELb0ES3_jPlPS6_PKS6_NS0_5tupleIJS9_S6_EEENSD_IJSA_SA_EEENS0_18inequality_wrapperIZN2at6native12_GLOBAL__N_124unique_dim_cuda_templateIfEESt5tupleIJNSH_6TensorESM_SM_EERKSM_lbbbEUlllE0_EEPmJS6_EEE10hipError_tPvRmT3_T4_T5_T6_T7_T9_mT8_P12ihipStream_tbDpT10_ENKUlT_T0_E_clISt17integral_constantIbLb0EES1C_EEDaS17_S18_EUlS17_E_NS1_11comp_targetILNS1_3genE9ELNS1_11target_archE1100ELNS1_3gpuE3ELNS1_3repE0EEENS1_30default_config_static_selectorELNS0_4arch9wavefront6targetE1EEEvT1_,@function
_ZN7rocprim17ROCPRIM_400000_NS6detail17trampoline_kernelINS0_14default_configENS1_25partition_config_selectorILNS1_17partition_subalgoE8ElNS0_10empty_typeEbEEZZNS1_14partition_implILS5_8ELb0ES3_jPlPS6_PKS6_NS0_5tupleIJS9_S6_EEENSD_IJSA_SA_EEENS0_18inequality_wrapperIZN2at6native12_GLOBAL__N_124unique_dim_cuda_templateIfEESt5tupleIJNSH_6TensorESM_SM_EERKSM_lbbbEUlllE0_EEPmJS6_EEE10hipError_tPvRmT3_T4_T5_T6_T7_T9_mT8_P12ihipStream_tbDpT10_ENKUlT_T0_E_clISt17integral_constantIbLb0EES1C_EEDaS17_S18_EUlS17_E_NS1_11comp_targetILNS1_3genE9ELNS1_11target_archE1100ELNS1_3gpuE3ELNS1_3repE0EEENS1_30default_config_static_selectorELNS0_4arch9wavefront6targetE1EEEvT1_: ; @_ZN7rocprim17ROCPRIM_400000_NS6detail17trampoline_kernelINS0_14default_configENS1_25partition_config_selectorILNS1_17partition_subalgoE8ElNS0_10empty_typeEbEEZZNS1_14partition_implILS5_8ELb0ES3_jPlPS6_PKS6_NS0_5tupleIJS9_S6_EEENSD_IJSA_SA_EEENS0_18inequality_wrapperIZN2at6native12_GLOBAL__N_124unique_dim_cuda_templateIfEESt5tupleIJNSH_6TensorESM_SM_EERKSM_lbbbEUlllE0_EEPmJS6_EEE10hipError_tPvRmT3_T4_T5_T6_T7_T9_mT8_P12ihipStream_tbDpT10_ENKUlT_T0_E_clISt17integral_constantIbLb0EES1C_EEDaS17_S18_EUlS17_E_NS1_11comp_targetILNS1_3genE9ELNS1_11target_archE1100ELNS1_3gpuE3ELNS1_3repE0EEENS1_30default_config_static_selectorELNS0_4arch9wavefront6targetE1EEEvT1_
; %bb.0:
	.section	.rodata,"a",@progbits
	.p2align	6, 0x0
	.amdhsa_kernel _ZN7rocprim17ROCPRIM_400000_NS6detail17trampoline_kernelINS0_14default_configENS1_25partition_config_selectorILNS1_17partition_subalgoE8ElNS0_10empty_typeEbEEZZNS1_14partition_implILS5_8ELb0ES3_jPlPS6_PKS6_NS0_5tupleIJS9_S6_EEENSD_IJSA_SA_EEENS0_18inequality_wrapperIZN2at6native12_GLOBAL__N_124unique_dim_cuda_templateIfEESt5tupleIJNSH_6TensorESM_SM_EERKSM_lbbbEUlllE0_EEPmJS6_EEE10hipError_tPvRmT3_T4_T5_T6_T7_T9_mT8_P12ihipStream_tbDpT10_ENKUlT_T0_E_clISt17integral_constantIbLb0EES1C_EEDaS17_S18_EUlS17_E_NS1_11comp_targetILNS1_3genE9ELNS1_11target_archE1100ELNS1_3gpuE3ELNS1_3repE0EEENS1_30default_config_static_selectorELNS0_4arch9wavefront6targetE1EEEvT1_
		.amdhsa_group_segment_fixed_size 0
		.amdhsa_private_segment_fixed_size 0
		.amdhsa_kernarg_size 120
		.amdhsa_user_sgpr_count 6
		.amdhsa_user_sgpr_private_segment_buffer 1
		.amdhsa_user_sgpr_dispatch_ptr 0
		.amdhsa_user_sgpr_queue_ptr 0
		.amdhsa_user_sgpr_kernarg_segment_ptr 1
		.amdhsa_user_sgpr_dispatch_id 0
		.amdhsa_user_sgpr_flat_scratch_init 0
		.amdhsa_user_sgpr_kernarg_preload_length 0
		.amdhsa_user_sgpr_kernarg_preload_offset 0
		.amdhsa_user_sgpr_private_segment_size 0
		.amdhsa_uses_dynamic_stack 0
		.amdhsa_system_sgpr_private_segment_wavefront_offset 0
		.amdhsa_system_sgpr_workgroup_id_x 1
		.amdhsa_system_sgpr_workgroup_id_y 0
		.amdhsa_system_sgpr_workgroup_id_z 0
		.amdhsa_system_sgpr_workgroup_info 0
		.amdhsa_system_vgpr_workitem_id 0
		.amdhsa_next_free_vgpr 1
		.amdhsa_next_free_sgpr 0
		.amdhsa_accum_offset 4
		.amdhsa_reserve_vcc 0
		.amdhsa_reserve_flat_scratch 0
		.amdhsa_float_round_mode_32 0
		.amdhsa_float_round_mode_16_64 0
		.amdhsa_float_denorm_mode_32 3
		.amdhsa_float_denorm_mode_16_64 3
		.amdhsa_dx10_clamp 1
		.amdhsa_ieee_mode 1
		.amdhsa_fp16_overflow 0
		.amdhsa_tg_split 0
		.amdhsa_exception_fp_ieee_invalid_op 0
		.amdhsa_exception_fp_denorm_src 0
		.amdhsa_exception_fp_ieee_div_zero 0
		.amdhsa_exception_fp_ieee_overflow 0
		.amdhsa_exception_fp_ieee_underflow 0
		.amdhsa_exception_fp_ieee_inexact 0
		.amdhsa_exception_int_div_zero 0
	.end_amdhsa_kernel
	.section	.text._ZN7rocprim17ROCPRIM_400000_NS6detail17trampoline_kernelINS0_14default_configENS1_25partition_config_selectorILNS1_17partition_subalgoE8ElNS0_10empty_typeEbEEZZNS1_14partition_implILS5_8ELb0ES3_jPlPS6_PKS6_NS0_5tupleIJS9_S6_EEENSD_IJSA_SA_EEENS0_18inequality_wrapperIZN2at6native12_GLOBAL__N_124unique_dim_cuda_templateIfEESt5tupleIJNSH_6TensorESM_SM_EERKSM_lbbbEUlllE0_EEPmJS6_EEE10hipError_tPvRmT3_T4_T5_T6_T7_T9_mT8_P12ihipStream_tbDpT10_ENKUlT_T0_E_clISt17integral_constantIbLb0EES1C_EEDaS17_S18_EUlS17_E_NS1_11comp_targetILNS1_3genE9ELNS1_11target_archE1100ELNS1_3gpuE3ELNS1_3repE0EEENS1_30default_config_static_selectorELNS0_4arch9wavefront6targetE1EEEvT1_,"axG",@progbits,_ZN7rocprim17ROCPRIM_400000_NS6detail17trampoline_kernelINS0_14default_configENS1_25partition_config_selectorILNS1_17partition_subalgoE8ElNS0_10empty_typeEbEEZZNS1_14partition_implILS5_8ELb0ES3_jPlPS6_PKS6_NS0_5tupleIJS9_S6_EEENSD_IJSA_SA_EEENS0_18inequality_wrapperIZN2at6native12_GLOBAL__N_124unique_dim_cuda_templateIfEESt5tupleIJNSH_6TensorESM_SM_EERKSM_lbbbEUlllE0_EEPmJS6_EEE10hipError_tPvRmT3_T4_T5_T6_T7_T9_mT8_P12ihipStream_tbDpT10_ENKUlT_T0_E_clISt17integral_constantIbLb0EES1C_EEDaS17_S18_EUlS17_E_NS1_11comp_targetILNS1_3genE9ELNS1_11target_archE1100ELNS1_3gpuE3ELNS1_3repE0EEENS1_30default_config_static_selectorELNS0_4arch9wavefront6targetE1EEEvT1_,comdat
.Lfunc_end935:
	.size	_ZN7rocprim17ROCPRIM_400000_NS6detail17trampoline_kernelINS0_14default_configENS1_25partition_config_selectorILNS1_17partition_subalgoE8ElNS0_10empty_typeEbEEZZNS1_14partition_implILS5_8ELb0ES3_jPlPS6_PKS6_NS0_5tupleIJS9_S6_EEENSD_IJSA_SA_EEENS0_18inequality_wrapperIZN2at6native12_GLOBAL__N_124unique_dim_cuda_templateIfEESt5tupleIJNSH_6TensorESM_SM_EERKSM_lbbbEUlllE0_EEPmJS6_EEE10hipError_tPvRmT3_T4_T5_T6_T7_T9_mT8_P12ihipStream_tbDpT10_ENKUlT_T0_E_clISt17integral_constantIbLb0EES1C_EEDaS17_S18_EUlS17_E_NS1_11comp_targetILNS1_3genE9ELNS1_11target_archE1100ELNS1_3gpuE3ELNS1_3repE0EEENS1_30default_config_static_selectorELNS0_4arch9wavefront6targetE1EEEvT1_, .Lfunc_end935-_ZN7rocprim17ROCPRIM_400000_NS6detail17trampoline_kernelINS0_14default_configENS1_25partition_config_selectorILNS1_17partition_subalgoE8ElNS0_10empty_typeEbEEZZNS1_14partition_implILS5_8ELb0ES3_jPlPS6_PKS6_NS0_5tupleIJS9_S6_EEENSD_IJSA_SA_EEENS0_18inequality_wrapperIZN2at6native12_GLOBAL__N_124unique_dim_cuda_templateIfEESt5tupleIJNSH_6TensorESM_SM_EERKSM_lbbbEUlllE0_EEPmJS6_EEE10hipError_tPvRmT3_T4_T5_T6_T7_T9_mT8_P12ihipStream_tbDpT10_ENKUlT_T0_E_clISt17integral_constantIbLb0EES1C_EEDaS17_S18_EUlS17_E_NS1_11comp_targetILNS1_3genE9ELNS1_11target_archE1100ELNS1_3gpuE3ELNS1_3repE0EEENS1_30default_config_static_selectorELNS0_4arch9wavefront6targetE1EEEvT1_
                                        ; -- End function
	.section	.AMDGPU.csdata,"",@progbits
; Kernel info:
; codeLenInByte = 0
; NumSgprs: 4
; NumVgprs: 0
; NumAgprs: 0
; TotalNumVgprs: 0
; ScratchSize: 0
; MemoryBound: 0
; FloatMode: 240
; IeeeMode: 1
; LDSByteSize: 0 bytes/workgroup (compile time only)
; SGPRBlocks: 0
; VGPRBlocks: 0
; NumSGPRsForWavesPerEU: 4
; NumVGPRsForWavesPerEU: 1
; AccumOffset: 4
; Occupancy: 8
; WaveLimiterHint : 0
; COMPUTE_PGM_RSRC2:SCRATCH_EN: 0
; COMPUTE_PGM_RSRC2:USER_SGPR: 6
; COMPUTE_PGM_RSRC2:TRAP_HANDLER: 0
; COMPUTE_PGM_RSRC2:TGID_X_EN: 1
; COMPUTE_PGM_RSRC2:TGID_Y_EN: 0
; COMPUTE_PGM_RSRC2:TGID_Z_EN: 0
; COMPUTE_PGM_RSRC2:TIDIG_COMP_CNT: 0
; COMPUTE_PGM_RSRC3_GFX90A:ACCUM_OFFSET: 0
; COMPUTE_PGM_RSRC3_GFX90A:TG_SPLIT: 0
	.section	.text._ZN7rocprim17ROCPRIM_400000_NS6detail17trampoline_kernelINS0_14default_configENS1_25partition_config_selectorILNS1_17partition_subalgoE8ElNS0_10empty_typeEbEEZZNS1_14partition_implILS5_8ELb0ES3_jPlPS6_PKS6_NS0_5tupleIJS9_S6_EEENSD_IJSA_SA_EEENS0_18inequality_wrapperIZN2at6native12_GLOBAL__N_124unique_dim_cuda_templateIfEESt5tupleIJNSH_6TensorESM_SM_EERKSM_lbbbEUlllE0_EEPmJS6_EEE10hipError_tPvRmT3_T4_T5_T6_T7_T9_mT8_P12ihipStream_tbDpT10_ENKUlT_T0_E_clISt17integral_constantIbLb0EES1C_EEDaS17_S18_EUlS17_E_NS1_11comp_targetILNS1_3genE8ELNS1_11target_archE1030ELNS1_3gpuE2ELNS1_3repE0EEENS1_30default_config_static_selectorELNS0_4arch9wavefront6targetE1EEEvT1_,"axG",@progbits,_ZN7rocprim17ROCPRIM_400000_NS6detail17trampoline_kernelINS0_14default_configENS1_25partition_config_selectorILNS1_17partition_subalgoE8ElNS0_10empty_typeEbEEZZNS1_14partition_implILS5_8ELb0ES3_jPlPS6_PKS6_NS0_5tupleIJS9_S6_EEENSD_IJSA_SA_EEENS0_18inequality_wrapperIZN2at6native12_GLOBAL__N_124unique_dim_cuda_templateIfEESt5tupleIJNSH_6TensorESM_SM_EERKSM_lbbbEUlllE0_EEPmJS6_EEE10hipError_tPvRmT3_T4_T5_T6_T7_T9_mT8_P12ihipStream_tbDpT10_ENKUlT_T0_E_clISt17integral_constantIbLb0EES1C_EEDaS17_S18_EUlS17_E_NS1_11comp_targetILNS1_3genE8ELNS1_11target_archE1030ELNS1_3gpuE2ELNS1_3repE0EEENS1_30default_config_static_selectorELNS0_4arch9wavefront6targetE1EEEvT1_,comdat
	.globl	_ZN7rocprim17ROCPRIM_400000_NS6detail17trampoline_kernelINS0_14default_configENS1_25partition_config_selectorILNS1_17partition_subalgoE8ElNS0_10empty_typeEbEEZZNS1_14partition_implILS5_8ELb0ES3_jPlPS6_PKS6_NS0_5tupleIJS9_S6_EEENSD_IJSA_SA_EEENS0_18inequality_wrapperIZN2at6native12_GLOBAL__N_124unique_dim_cuda_templateIfEESt5tupleIJNSH_6TensorESM_SM_EERKSM_lbbbEUlllE0_EEPmJS6_EEE10hipError_tPvRmT3_T4_T5_T6_T7_T9_mT8_P12ihipStream_tbDpT10_ENKUlT_T0_E_clISt17integral_constantIbLb0EES1C_EEDaS17_S18_EUlS17_E_NS1_11comp_targetILNS1_3genE8ELNS1_11target_archE1030ELNS1_3gpuE2ELNS1_3repE0EEENS1_30default_config_static_selectorELNS0_4arch9wavefront6targetE1EEEvT1_ ; -- Begin function _ZN7rocprim17ROCPRIM_400000_NS6detail17trampoline_kernelINS0_14default_configENS1_25partition_config_selectorILNS1_17partition_subalgoE8ElNS0_10empty_typeEbEEZZNS1_14partition_implILS5_8ELb0ES3_jPlPS6_PKS6_NS0_5tupleIJS9_S6_EEENSD_IJSA_SA_EEENS0_18inequality_wrapperIZN2at6native12_GLOBAL__N_124unique_dim_cuda_templateIfEESt5tupleIJNSH_6TensorESM_SM_EERKSM_lbbbEUlllE0_EEPmJS6_EEE10hipError_tPvRmT3_T4_T5_T6_T7_T9_mT8_P12ihipStream_tbDpT10_ENKUlT_T0_E_clISt17integral_constantIbLb0EES1C_EEDaS17_S18_EUlS17_E_NS1_11comp_targetILNS1_3genE8ELNS1_11target_archE1030ELNS1_3gpuE2ELNS1_3repE0EEENS1_30default_config_static_selectorELNS0_4arch9wavefront6targetE1EEEvT1_
	.p2align	8
	.type	_ZN7rocprim17ROCPRIM_400000_NS6detail17trampoline_kernelINS0_14default_configENS1_25partition_config_selectorILNS1_17partition_subalgoE8ElNS0_10empty_typeEbEEZZNS1_14partition_implILS5_8ELb0ES3_jPlPS6_PKS6_NS0_5tupleIJS9_S6_EEENSD_IJSA_SA_EEENS0_18inequality_wrapperIZN2at6native12_GLOBAL__N_124unique_dim_cuda_templateIfEESt5tupleIJNSH_6TensorESM_SM_EERKSM_lbbbEUlllE0_EEPmJS6_EEE10hipError_tPvRmT3_T4_T5_T6_T7_T9_mT8_P12ihipStream_tbDpT10_ENKUlT_T0_E_clISt17integral_constantIbLb0EES1C_EEDaS17_S18_EUlS17_E_NS1_11comp_targetILNS1_3genE8ELNS1_11target_archE1030ELNS1_3gpuE2ELNS1_3repE0EEENS1_30default_config_static_selectorELNS0_4arch9wavefront6targetE1EEEvT1_,@function
_ZN7rocprim17ROCPRIM_400000_NS6detail17trampoline_kernelINS0_14default_configENS1_25partition_config_selectorILNS1_17partition_subalgoE8ElNS0_10empty_typeEbEEZZNS1_14partition_implILS5_8ELb0ES3_jPlPS6_PKS6_NS0_5tupleIJS9_S6_EEENSD_IJSA_SA_EEENS0_18inequality_wrapperIZN2at6native12_GLOBAL__N_124unique_dim_cuda_templateIfEESt5tupleIJNSH_6TensorESM_SM_EERKSM_lbbbEUlllE0_EEPmJS6_EEE10hipError_tPvRmT3_T4_T5_T6_T7_T9_mT8_P12ihipStream_tbDpT10_ENKUlT_T0_E_clISt17integral_constantIbLb0EES1C_EEDaS17_S18_EUlS17_E_NS1_11comp_targetILNS1_3genE8ELNS1_11target_archE1030ELNS1_3gpuE2ELNS1_3repE0EEENS1_30default_config_static_selectorELNS0_4arch9wavefront6targetE1EEEvT1_: ; @_ZN7rocprim17ROCPRIM_400000_NS6detail17trampoline_kernelINS0_14default_configENS1_25partition_config_selectorILNS1_17partition_subalgoE8ElNS0_10empty_typeEbEEZZNS1_14partition_implILS5_8ELb0ES3_jPlPS6_PKS6_NS0_5tupleIJS9_S6_EEENSD_IJSA_SA_EEENS0_18inequality_wrapperIZN2at6native12_GLOBAL__N_124unique_dim_cuda_templateIfEESt5tupleIJNSH_6TensorESM_SM_EERKSM_lbbbEUlllE0_EEPmJS6_EEE10hipError_tPvRmT3_T4_T5_T6_T7_T9_mT8_P12ihipStream_tbDpT10_ENKUlT_T0_E_clISt17integral_constantIbLb0EES1C_EEDaS17_S18_EUlS17_E_NS1_11comp_targetILNS1_3genE8ELNS1_11target_archE1030ELNS1_3gpuE2ELNS1_3repE0EEENS1_30default_config_static_selectorELNS0_4arch9wavefront6targetE1EEEvT1_
; %bb.0:
	.section	.rodata,"a",@progbits
	.p2align	6, 0x0
	.amdhsa_kernel _ZN7rocprim17ROCPRIM_400000_NS6detail17trampoline_kernelINS0_14default_configENS1_25partition_config_selectorILNS1_17partition_subalgoE8ElNS0_10empty_typeEbEEZZNS1_14partition_implILS5_8ELb0ES3_jPlPS6_PKS6_NS0_5tupleIJS9_S6_EEENSD_IJSA_SA_EEENS0_18inequality_wrapperIZN2at6native12_GLOBAL__N_124unique_dim_cuda_templateIfEESt5tupleIJNSH_6TensorESM_SM_EERKSM_lbbbEUlllE0_EEPmJS6_EEE10hipError_tPvRmT3_T4_T5_T6_T7_T9_mT8_P12ihipStream_tbDpT10_ENKUlT_T0_E_clISt17integral_constantIbLb0EES1C_EEDaS17_S18_EUlS17_E_NS1_11comp_targetILNS1_3genE8ELNS1_11target_archE1030ELNS1_3gpuE2ELNS1_3repE0EEENS1_30default_config_static_selectorELNS0_4arch9wavefront6targetE1EEEvT1_
		.amdhsa_group_segment_fixed_size 0
		.amdhsa_private_segment_fixed_size 0
		.amdhsa_kernarg_size 120
		.amdhsa_user_sgpr_count 6
		.amdhsa_user_sgpr_private_segment_buffer 1
		.amdhsa_user_sgpr_dispatch_ptr 0
		.amdhsa_user_sgpr_queue_ptr 0
		.amdhsa_user_sgpr_kernarg_segment_ptr 1
		.amdhsa_user_sgpr_dispatch_id 0
		.amdhsa_user_sgpr_flat_scratch_init 0
		.amdhsa_user_sgpr_kernarg_preload_length 0
		.amdhsa_user_sgpr_kernarg_preload_offset 0
		.amdhsa_user_sgpr_private_segment_size 0
		.amdhsa_uses_dynamic_stack 0
		.amdhsa_system_sgpr_private_segment_wavefront_offset 0
		.amdhsa_system_sgpr_workgroup_id_x 1
		.amdhsa_system_sgpr_workgroup_id_y 0
		.amdhsa_system_sgpr_workgroup_id_z 0
		.amdhsa_system_sgpr_workgroup_info 0
		.amdhsa_system_vgpr_workitem_id 0
		.amdhsa_next_free_vgpr 1
		.amdhsa_next_free_sgpr 0
		.amdhsa_accum_offset 4
		.amdhsa_reserve_vcc 0
		.amdhsa_reserve_flat_scratch 0
		.amdhsa_float_round_mode_32 0
		.amdhsa_float_round_mode_16_64 0
		.amdhsa_float_denorm_mode_32 3
		.amdhsa_float_denorm_mode_16_64 3
		.amdhsa_dx10_clamp 1
		.amdhsa_ieee_mode 1
		.amdhsa_fp16_overflow 0
		.amdhsa_tg_split 0
		.amdhsa_exception_fp_ieee_invalid_op 0
		.amdhsa_exception_fp_denorm_src 0
		.amdhsa_exception_fp_ieee_div_zero 0
		.amdhsa_exception_fp_ieee_overflow 0
		.amdhsa_exception_fp_ieee_underflow 0
		.amdhsa_exception_fp_ieee_inexact 0
		.amdhsa_exception_int_div_zero 0
	.end_amdhsa_kernel
	.section	.text._ZN7rocprim17ROCPRIM_400000_NS6detail17trampoline_kernelINS0_14default_configENS1_25partition_config_selectorILNS1_17partition_subalgoE8ElNS0_10empty_typeEbEEZZNS1_14partition_implILS5_8ELb0ES3_jPlPS6_PKS6_NS0_5tupleIJS9_S6_EEENSD_IJSA_SA_EEENS0_18inequality_wrapperIZN2at6native12_GLOBAL__N_124unique_dim_cuda_templateIfEESt5tupleIJNSH_6TensorESM_SM_EERKSM_lbbbEUlllE0_EEPmJS6_EEE10hipError_tPvRmT3_T4_T5_T6_T7_T9_mT8_P12ihipStream_tbDpT10_ENKUlT_T0_E_clISt17integral_constantIbLb0EES1C_EEDaS17_S18_EUlS17_E_NS1_11comp_targetILNS1_3genE8ELNS1_11target_archE1030ELNS1_3gpuE2ELNS1_3repE0EEENS1_30default_config_static_selectorELNS0_4arch9wavefront6targetE1EEEvT1_,"axG",@progbits,_ZN7rocprim17ROCPRIM_400000_NS6detail17trampoline_kernelINS0_14default_configENS1_25partition_config_selectorILNS1_17partition_subalgoE8ElNS0_10empty_typeEbEEZZNS1_14partition_implILS5_8ELb0ES3_jPlPS6_PKS6_NS0_5tupleIJS9_S6_EEENSD_IJSA_SA_EEENS0_18inequality_wrapperIZN2at6native12_GLOBAL__N_124unique_dim_cuda_templateIfEESt5tupleIJNSH_6TensorESM_SM_EERKSM_lbbbEUlllE0_EEPmJS6_EEE10hipError_tPvRmT3_T4_T5_T6_T7_T9_mT8_P12ihipStream_tbDpT10_ENKUlT_T0_E_clISt17integral_constantIbLb0EES1C_EEDaS17_S18_EUlS17_E_NS1_11comp_targetILNS1_3genE8ELNS1_11target_archE1030ELNS1_3gpuE2ELNS1_3repE0EEENS1_30default_config_static_selectorELNS0_4arch9wavefront6targetE1EEEvT1_,comdat
.Lfunc_end936:
	.size	_ZN7rocprim17ROCPRIM_400000_NS6detail17trampoline_kernelINS0_14default_configENS1_25partition_config_selectorILNS1_17partition_subalgoE8ElNS0_10empty_typeEbEEZZNS1_14partition_implILS5_8ELb0ES3_jPlPS6_PKS6_NS0_5tupleIJS9_S6_EEENSD_IJSA_SA_EEENS0_18inequality_wrapperIZN2at6native12_GLOBAL__N_124unique_dim_cuda_templateIfEESt5tupleIJNSH_6TensorESM_SM_EERKSM_lbbbEUlllE0_EEPmJS6_EEE10hipError_tPvRmT3_T4_T5_T6_T7_T9_mT8_P12ihipStream_tbDpT10_ENKUlT_T0_E_clISt17integral_constantIbLb0EES1C_EEDaS17_S18_EUlS17_E_NS1_11comp_targetILNS1_3genE8ELNS1_11target_archE1030ELNS1_3gpuE2ELNS1_3repE0EEENS1_30default_config_static_selectorELNS0_4arch9wavefront6targetE1EEEvT1_, .Lfunc_end936-_ZN7rocprim17ROCPRIM_400000_NS6detail17trampoline_kernelINS0_14default_configENS1_25partition_config_selectorILNS1_17partition_subalgoE8ElNS0_10empty_typeEbEEZZNS1_14partition_implILS5_8ELb0ES3_jPlPS6_PKS6_NS0_5tupleIJS9_S6_EEENSD_IJSA_SA_EEENS0_18inequality_wrapperIZN2at6native12_GLOBAL__N_124unique_dim_cuda_templateIfEESt5tupleIJNSH_6TensorESM_SM_EERKSM_lbbbEUlllE0_EEPmJS6_EEE10hipError_tPvRmT3_T4_T5_T6_T7_T9_mT8_P12ihipStream_tbDpT10_ENKUlT_T0_E_clISt17integral_constantIbLb0EES1C_EEDaS17_S18_EUlS17_E_NS1_11comp_targetILNS1_3genE8ELNS1_11target_archE1030ELNS1_3gpuE2ELNS1_3repE0EEENS1_30default_config_static_selectorELNS0_4arch9wavefront6targetE1EEEvT1_
                                        ; -- End function
	.section	.AMDGPU.csdata,"",@progbits
; Kernel info:
; codeLenInByte = 0
; NumSgprs: 4
; NumVgprs: 0
; NumAgprs: 0
; TotalNumVgprs: 0
; ScratchSize: 0
; MemoryBound: 0
; FloatMode: 240
; IeeeMode: 1
; LDSByteSize: 0 bytes/workgroup (compile time only)
; SGPRBlocks: 0
; VGPRBlocks: 0
; NumSGPRsForWavesPerEU: 4
; NumVGPRsForWavesPerEU: 1
; AccumOffset: 4
; Occupancy: 8
; WaveLimiterHint : 0
; COMPUTE_PGM_RSRC2:SCRATCH_EN: 0
; COMPUTE_PGM_RSRC2:USER_SGPR: 6
; COMPUTE_PGM_RSRC2:TRAP_HANDLER: 0
; COMPUTE_PGM_RSRC2:TGID_X_EN: 1
; COMPUTE_PGM_RSRC2:TGID_Y_EN: 0
; COMPUTE_PGM_RSRC2:TGID_Z_EN: 0
; COMPUTE_PGM_RSRC2:TIDIG_COMP_CNT: 0
; COMPUTE_PGM_RSRC3_GFX90A:ACCUM_OFFSET: 0
; COMPUTE_PGM_RSRC3_GFX90A:TG_SPLIT: 0
	.section	.text._ZN7rocprim17ROCPRIM_400000_NS6detail17trampoline_kernelINS0_14default_configENS1_25partition_config_selectorILNS1_17partition_subalgoE8ElNS0_10empty_typeEbEEZZNS1_14partition_implILS5_8ELb0ES3_jPlPS6_PKS6_NS0_5tupleIJS9_S6_EEENSD_IJSA_SA_EEENS0_18inequality_wrapperIZN2at6native12_GLOBAL__N_124unique_dim_cuda_templateIfEESt5tupleIJNSH_6TensorESM_SM_EERKSM_lbbbEUlllE0_EEPmJS6_EEE10hipError_tPvRmT3_T4_T5_T6_T7_T9_mT8_P12ihipStream_tbDpT10_ENKUlT_T0_E_clISt17integral_constantIbLb1EES1C_EEDaS17_S18_EUlS17_E_NS1_11comp_targetILNS1_3genE0ELNS1_11target_archE4294967295ELNS1_3gpuE0ELNS1_3repE0EEENS1_30default_config_static_selectorELNS0_4arch9wavefront6targetE1EEEvT1_,"axG",@progbits,_ZN7rocprim17ROCPRIM_400000_NS6detail17trampoline_kernelINS0_14default_configENS1_25partition_config_selectorILNS1_17partition_subalgoE8ElNS0_10empty_typeEbEEZZNS1_14partition_implILS5_8ELb0ES3_jPlPS6_PKS6_NS0_5tupleIJS9_S6_EEENSD_IJSA_SA_EEENS0_18inequality_wrapperIZN2at6native12_GLOBAL__N_124unique_dim_cuda_templateIfEESt5tupleIJNSH_6TensorESM_SM_EERKSM_lbbbEUlllE0_EEPmJS6_EEE10hipError_tPvRmT3_T4_T5_T6_T7_T9_mT8_P12ihipStream_tbDpT10_ENKUlT_T0_E_clISt17integral_constantIbLb1EES1C_EEDaS17_S18_EUlS17_E_NS1_11comp_targetILNS1_3genE0ELNS1_11target_archE4294967295ELNS1_3gpuE0ELNS1_3repE0EEENS1_30default_config_static_selectorELNS0_4arch9wavefront6targetE1EEEvT1_,comdat
	.globl	_ZN7rocprim17ROCPRIM_400000_NS6detail17trampoline_kernelINS0_14default_configENS1_25partition_config_selectorILNS1_17partition_subalgoE8ElNS0_10empty_typeEbEEZZNS1_14partition_implILS5_8ELb0ES3_jPlPS6_PKS6_NS0_5tupleIJS9_S6_EEENSD_IJSA_SA_EEENS0_18inequality_wrapperIZN2at6native12_GLOBAL__N_124unique_dim_cuda_templateIfEESt5tupleIJNSH_6TensorESM_SM_EERKSM_lbbbEUlllE0_EEPmJS6_EEE10hipError_tPvRmT3_T4_T5_T6_T7_T9_mT8_P12ihipStream_tbDpT10_ENKUlT_T0_E_clISt17integral_constantIbLb1EES1C_EEDaS17_S18_EUlS17_E_NS1_11comp_targetILNS1_3genE0ELNS1_11target_archE4294967295ELNS1_3gpuE0ELNS1_3repE0EEENS1_30default_config_static_selectorELNS0_4arch9wavefront6targetE1EEEvT1_ ; -- Begin function _ZN7rocprim17ROCPRIM_400000_NS6detail17trampoline_kernelINS0_14default_configENS1_25partition_config_selectorILNS1_17partition_subalgoE8ElNS0_10empty_typeEbEEZZNS1_14partition_implILS5_8ELb0ES3_jPlPS6_PKS6_NS0_5tupleIJS9_S6_EEENSD_IJSA_SA_EEENS0_18inequality_wrapperIZN2at6native12_GLOBAL__N_124unique_dim_cuda_templateIfEESt5tupleIJNSH_6TensorESM_SM_EERKSM_lbbbEUlllE0_EEPmJS6_EEE10hipError_tPvRmT3_T4_T5_T6_T7_T9_mT8_P12ihipStream_tbDpT10_ENKUlT_T0_E_clISt17integral_constantIbLb1EES1C_EEDaS17_S18_EUlS17_E_NS1_11comp_targetILNS1_3genE0ELNS1_11target_archE4294967295ELNS1_3gpuE0ELNS1_3repE0EEENS1_30default_config_static_selectorELNS0_4arch9wavefront6targetE1EEEvT1_
	.p2align	8
	.type	_ZN7rocprim17ROCPRIM_400000_NS6detail17trampoline_kernelINS0_14default_configENS1_25partition_config_selectorILNS1_17partition_subalgoE8ElNS0_10empty_typeEbEEZZNS1_14partition_implILS5_8ELb0ES3_jPlPS6_PKS6_NS0_5tupleIJS9_S6_EEENSD_IJSA_SA_EEENS0_18inequality_wrapperIZN2at6native12_GLOBAL__N_124unique_dim_cuda_templateIfEESt5tupleIJNSH_6TensorESM_SM_EERKSM_lbbbEUlllE0_EEPmJS6_EEE10hipError_tPvRmT3_T4_T5_T6_T7_T9_mT8_P12ihipStream_tbDpT10_ENKUlT_T0_E_clISt17integral_constantIbLb1EES1C_EEDaS17_S18_EUlS17_E_NS1_11comp_targetILNS1_3genE0ELNS1_11target_archE4294967295ELNS1_3gpuE0ELNS1_3repE0EEENS1_30default_config_static_selectorELNS0_4arch9wavefront6targetE1EEEvT1_,@function
_ZN7rocprim17ROCPRIM_400000_NS6detail17trampoline_kernelINS0_14default_configENS1_25partition_config_selectorILNS1_17partition_subalgoE8ElNS0_10empty_typeEbEEZZNS1_14partition_implILS5_8ELb0ES3_jPlPS6_PKS6_NS0_5tupleIJS9_S6_EEENSD_IJSA_SA_EEENS0_18inequality_wrapperIZN2at6native12_GLOBAL__N_124unique_dim_cuda_templateIfEESt5tupleIJNSH_6TensorESM_SM_EERKSM_lbbbEUlllE0_EEPmJS6_EEE10hipError_tPvRmT3_T4_T5_T6_T7_T9_mT8_P12ihipStream_tbDpT10_ENKUlT_T0_E_clISt17integral_constantIbLb1EES1C_EEDaS17_S18_EUlS17_E_NS1_11comp_targetILNS1_3genE0ELNS1_11target_archE4294967295ELNS1_3gpuE0ELNS1_3repE0EEENS1_30default_config_static_selectorELNS0_4arch9wavefront6targetE1EEEvT1_: ; @_ZN7rocprim17ROCPRIM_400000_NS6detail17trampoline_kernelINS0_14default_configENS1_25partition_config_selectorILNS1_17partition_subalgoE8ElNS0_10empty_typeEbEEZZNS1_14partition_implILS5_8ELb0ES3_jPlPS6_PKS6_NS0_5tupleIJS9_S6_EEENSD_IJSA_SA_EEENS0_18inequality_wrapperIZN2at6native12_GLOBAL__N_124unique_dim_cuda_templateIfEESt5tupleIJNSH_6TensorESM_SM_EERKSM_lbbbEUlllE0_EEPmJS6_EEE10hipError_tPvRmT3_T4_T5_T6_T7_T9_mT8_P12ihipStream_tbDpT10_ENKUlT_T0_E_clISt17integral_constantIbLb1EES1C_EEDaS17_S18_EUlS17_E_NS1_11comp_targetILNS1_3genE0ELNS1_11target_archE4294967295ELNS1_3gpuE0ELNS1_3repE0EEENS1_30default_config_static_selectorELNS0_4arch9wavefront6targetE1EEEvT1_
; %bb.0:
	.section	.rodata,"a",@progbits
	.p2align	6, 0x0
	.amdhsa_kernel _ZN7rocprim17ROCPRIM_400000_NS6detail17trampoline_kernelINS0_14default_configENS1_25partition_config_selectorILNS1_17partition_subalgoE8ElNS0_10empty_typeEbEEZZNS1_14partition_implILS5_8ELb0ES3_jPlPS6_PKS6_NS0_5tupleIJS9_S6_EEENSD_IJSA_SA_EEENS0_18inequality_wrapperIZN2at6native12_GLOBAL__N_124unique_dim_cuda_templateIfEESt5tupleIJNSH_6TensorESM_SM_EERKSM_lbbbEUlllE0_EEPmJS6_EEE10hipError_tPvRmT3_T4_T5_T6_T7_T9_mT8_P12ihipStream_tbDpT10_ENKUlT_T0_E_clISt17integral_constantIbLb1EES1C_EEDaS17_S18_EUlS17_E_NS1_11comp_targetILNS1_3genE0ELNS1_11target_archE4294967295ELNS1_3gpuE0ELNS1_3repE0EEENS1_30default_config_static_selectorELNS0_4arch9wavefront6targetE1EEEvT1_
		.amdhsa_group_segment_fixed_size 0
		.amdhsa_private_segment_fixed_size 0
		.amdhsa_kernarg_size 136
		.amdhsa_user_sgpr_count 6
		.amdhsa_user_sgpr_private_segment_buffer 1
		.amdhsa_user_sgpr_dispatch_ptr 0
		.amdhsa_user_sgpr_queue_ptr 0
		.amdhsa_user_sgpr_kernarg_segment_ptr 1
		.amdhsa_user_sgpr_dispatch_id 0
		.amdhsa_user_sgpr_flat_scratch_init 0
		.amdhsa_user_sgpr_kernarg_preload_length 0
		.amdhsa_user_sgpr_kernarg_preload_offset 0
		.amdhsa_user_sgpr_private_segment_size 0
		.amdhsa_uses_dynamic_stack 0
		.amdhsa_system_sgpr_private_segment_wavefront_offset 0
		.amdhsa_system_sgpr_workgroup_id_x 1
		.amdhsa_system_sgpr_workgroup_id_y 0
		.amdhsa_system_sgpr_workgroup_id_z 0
		.amdhsa_system_sgpr_workgroup_info 0
		.amdhsa_system_vgpr_workitem_id 0
		.amdhsa_next_free_vgpr 1
		.amdhsa_next_free_sgpr 0
		.amdhsa_accum_offset 4
		.amdhsa_reserve_vcc 0
		.amdhsa_reserve_flat_scratch 0
		.amdhsa_float_round_mode_32 0
		.amdhsa_float_round_mode_16_64 0
		.amdhsa_float_denorm_mode_32 3
		.amdhsa_float_denorm_mode_16_64 3
		.amdhsa_dx10_clamp 1
		.amdhsa_ieee_mode 1
		.amdhsa_fp16_overflow 0
		.amdhsa_tg_split 0
		.amdhsa_exception_fp_ieee_invalid_op 0
		.amdhsa_exception_fp_denorm_src 0
		.amdhsa_exception_fp_ieee_div_zero 0
		.amdhsa_exception_fp_ieee_overflow 0
		.amdhsa_exception_fp_ieee_underflow 0
		.amdhsa_exception_fp_ieee_inexact 0
		.amdhsa_exception_int_div_zero 0
	.end_amdhsa_kernel
	.section	.text._ZN7rocprim17ROCPRIM_400000_NS6detail17trampoline_kernelINS0_14default_configENS1_25partition_config_selectorILNS1_17partition_subalgoE8ElNS0_10empty_typeEbEEZZNS1_14partition_implILS5_8ELb0ES3_jPlPS6_PKS6_NS0_5tupleIJS9_S6_EEENSD_IJSA_SA_EEENS0_18inequality_wrapperIZN2at6native12_GLOBAL__N_124unique_dim_cuda_templateIfEESt5tupleIJNSH_6TensorESM_SM_EERKSM_lbbbEUlllE0_EEPmJS6_EEE10hipError_tPvRmT3_T4_T5_T6_T7_T9_mT8_P12ihipStream_tbDpT10_ENKUlT_T0_E_clISt17integral_constantIbLb1EES1C_EEDaS17_S18_EUlS17_E_NS1_11comp_targetILNS1_3genE0ELNS1_11target_archE4294967295ELNS1_3gpuE0ELNS1_3repE0EEENS1_30default_config_static_selectorELNS0_4arch9wavefront6targetE1EEEvT1_,"axG",@progbits,_ZN7rocprim17ROCPRIM_400000_NS6detail17trampoline_kernelINS0_14default_configENS1_25partition_config_selectorILNS1_17partition_subalgoE8ElNS0_10empty_typeEbEEZZNS1_14partition_implILS5_8ELb0ES3_jPlPS6_PKS6_NS0_5tupleIJS9_S6_EEENSD_IJSA_SA_EEENS0_18inequality_wrapperIZN2at6native12_GLOBAL__N_124unique_dim_cuda_templateIfEESt5tupleIJNSH_6TensorESM_SM_EERKSM_lbbbEUlllE0_EEPmJS6_EEE10hipError_tPvRmT3_T4_T5_T6_T7_T9_mT8_P12ihipStream_tbDpT10_ENKUlT_T0_E_clISt17integral_constantIbLb1EES1C_EEDaS17_S18_EUlS17_E_NS1_11comp_targetILNS1_3genE0ELNS1_11target_archE4294967295ELNS1_3gpuE0ELNS1_3repE0EEENS1_30default_config_static_selectorELNS0_4arch9wavefront6targetE1EEEvT1_,comdat
.Lfunc_end937:
	.size	_ZN7rocprim17ROCPRIM_400000_NS6detail17trampoline_kernelINS0_14default_configENS1_25partition_config_selectorILNS1_17partition_subalgoE8ElNS0_10empty_typeEbEEZZNS1_14partition_implILS5_8ELb0ES3_jPlPS6_PKS6_NS0_5tupleIJS9_S6_EEENSD_IJSA_SA_EEENS0_18inequality_wrapperIZN2at6native12_GLOBAL__N_124unique_dim_cuda_templateIfEESt5tupleIJNSH_6TensorESM_SM_EERKSM_lbbbEUlllE0_EEPmJS6_EEE10hipError_tPvRmT3_T4_T5_T6_T7_T9_mT8_P12ihipStream_tbDpT10_ENKUlT_T0_E_clISt17integral_constantIbLb1EES1C_EEDaS17_S18_EUlS17_E_NS1_11comp_targetILNS1_3genE0ELNS1_11target_archE4294967295ELNS1_3gpuE0ELNS1_3repE0EEENS1_30default_config_static_selectorELNS0_4arch9wavefront6targetE1EEEvT1_, .Lfunc_end937-_ZN7rocprim17ROCPRIM_400000_NS6detail17trampoline_kernelINS0_14default_configENS1_25partition_config_selectorILNS1_17partition_subalgoE8ElNS0_10empty_typeEbEEZZNS1_14partition_implILS5_8ELb0ES3_jPlPS6_PKS6_NS0_5tupleIJS9_S6_EEENSD_IJSA_SA_EEENS0_18inequality_wrapperIZN2at6native12_GLOBAL__N_124unique_dim_cuda_templateIfEESt5tupleIJNSH_6TensorESM_SM_EERKSM_lbbbEUlllE0_EEPmJS6_EEE10hipError_tPvRmT3_T4_T5_T6_T7_T9_mT8_P12ihipStream_tbDpT10_ENKUlT_T0_E_clISt17integral_constantIbLb1EES1C_EEDaS17_S18_EUlS17_E_NS1_11comp_targetILNS1_3genE0ELNS1_11target_archE4294967295ELNS1_3gpuE0ELNS1_3repE0EEENS1_30default_config_static_selectorELNS0_4arch9wavefront6targetE1EEEvT1_
                                        ; -- End function
	.section	.AMDGPU.csdata,"",@progbits
; Kernel info:
; codeLenInByte = 0
; NumSgprs: 4
; NumVgprs: 0
; NumAgprs: 0
; TotalNumVgprs: 0
; ScratchSize: 0
; MemoryBound: 0
; FloatMode: 240
; IeeeMode: 1
; LDSByteSize: 0 bytes/workgroup (compile time only)
; SGPRBlocks: 0
; VGPRBlocks: 0
; NumSGPRsForWavesPerEU: 4
; NumVGPRsForWavesPerEU: 1
; AccumOffset: 4
; Occupancy: 8
; WaveLimiterHint : 0
; COMPUTE_PGM_RSRC2:SCRATCH_EN: 0
; COMPUTE_PGM_RSRC2:USER_SGPR: 6
; COMPUTE_PGM_RSRC2:TRAP_HANDLER: 0
; COMPUTE_PGM_RSRC2:TGID_X_EN: 1
; COMPUTE_PGM_RSRC2:TGID_Y_EN: 0
; COMPUTE_PGM_RSRC2:TGID_Z_EN: 0
; COMPUTE_PGM_RSRC2:TIDIG_COMP_CNT: 0
; COMPUTE_PGM_RSRC3_GFX90A:ACCUM_OFFSET: 0
; COMPUTE_PGM_RSRC3_GFX90A:TG_SPLIT: 0
	.section	.text._ZN7rocprim17ROCPRIM_400000_NS6detail17trampoline_kernelINS0_14default_configENS1_25partition_config_selectorILNS1_17partition_subalgoE8ElNS0_10empty_typeEbEEZZNS1_14partition_implILS5_8ELb0ES3_jPlPS6_PKS6_NS0_5tupleIJS9_S6_EEENSD_IJSA_SA_EEENS0_18inequality_wrapperIZN2at6native12_GLOBAL__N_124unique_dim_cuda_templateIfEESt5tupleIJNSH_6TensorESM_SM_EERKSM_lbbbEUlllE0_EEPmJS6_EEE10hipError_tPvRmT3_T4_T5_T6_T7_T9_mT8_P12ihipStream_tbDpT10_ENKUlT_T0_E_clISt17integral_constantIbLb1EES1C_EEDaS17_S18_EUlS17_E_NS1_11comp_targetILNS1_3genE5ELNS1_11target_archE942ELNS1_3gpuE9ELNS1_3repE0EEENS1_30default_config_static_selectorELNS0_4arch9wavefront6targetE1EEEvT1_,"axG",@progbits,_ZN7rocprim17ROCPRIM_400000_NS6detail17trampoline_kernelINS0_14default_configENS1_25partition_config_selectorILNS1_17partition_subalgoE8ElNS0_10empty_typeEbEEZZNS1_14partition_implILS5_8ELb0ES3_jPlPS6_PKS6_NS0_5tupleIJS9_S6_EEENSD_IJSA_SA_EEENS0_18inequality_wrapperIZN2at6native12_GLOBAL__N_124unique_dim_cuda_templateIfEESt5tupleIJNSH_6TensorESM_SM_EERKSM_lbbbEUlllE0_EEPmJS6_EEE10hipError_tPvRmT3_T4_T5_T6_T7_T9_mT8_P12ihipStream_tbDpT10_ENKUlT_T0_E_clISt17integral_constantIbLb1EES1C_EEDaS17_S18_EUlS17_E_NS1_11comp_targetILNS1_3genE5ELNS1_11target_archE942ELNS1_3gpuE9ELNS1_3repE0EEENS1_30default_config_static_selectorELNS0_4arch9wavefront6targetE1EEEvT1_,comdat
	.globl	_ZN7rocprim17ROCPRIM_400000_NS6detail17trampoline_kernelINS0_14default_configENS1_25partition_config_selectorILNS1_17partition_subalgoE8ElNS0_10empty_typeEbEEZZNS1_14partition_implILS5_8ELb0ES3_jPlPS6_PKS6_NS0_5tupleIJS9_S6_EEENSD_IJSA_SA_EEENS0_18inequality_wrapperIZN2at6native12_GLOBAL__N_124unique_dim_cuda_templateIfEESt5tupleIJNSH_6TensorESM_SM_EERKSM_lbbbEUlllE0_EEPmJS6_EEE10hipError_tPvRmT3_T4_T5_T6_T7_T9_mT8_P12ihipStream_tbDpT10_ENKUlT_T0_E_clISt17integral_constantIbLb1EES1C_EEDaS17_S18_EUlS17_E_NS1_11comp_targetILNS1_3genE5ELNS1_11target_archE942ELNS1_3gpuE9ELNS1_3repE0EEENS1_30default_config_static_selectorELNS0_4arch9wavefront6targetE1EEEvT1_ ; -- Begin function _ZN7rocprim17ROCPRIM_400000_NS6detail17trampoline_kernelINS0_14default_configENS1_25partition_config_selectorILNS1_17partition_subalgoE8ElNS0_10empty_typeEbEEZZNS1_14partition_implILS5_8ELb0ES3_jPlPS6_PKS6_NS0_5tupleIJS9_S6_EEENSD_IJSA_SA_EEENS0_18inequality_wrapperIZN2at6native12_GLOBAL__N_124unique_dim_cuda_templateIfEESt5tupleIJNSH_6TensorESM_SM_EERKSM_lbbbEUlllE0_EEPmJS6_EEE10hipError_tPvRmT3_T4_T5_T6_T7_T9_mT8_P12ihipStream_tbDpT10_ENKUlT_T0_E_clISt17integral_constantIbLb1EES1C_EEDaS17_S18_EUlS17_E_NS1_11comp_targetILNS1_3genE5ELNS1_11target_archE942ELNS1_3gpuE9ELNS1_3repE0EEENS1_30default_config_static_selectorELNS0_4arch9wavefront6targetE1EEEvT1_
	.p2align	8
	.type	_ZN7rocprim17ROCPRIM_400000_NS6detail17trampoline_kernelINS0_14default_configENS1_25partition_config_selectorILNS1_17partition_subalgoE8ElNS0_10empty_typeEbEEZZNS1_14partition_implILS5_8ELb0ES3_jPlPS6_PKS6_NS0_5tupleIJS9_S6_EEENSD_IJSA_SA_EEENS0_18inequality_wrapperIZN2at6native12_GLOBAL__N_124unique_dim_cuda_templateIfEESt5tupleIJNSH_6TensorESM_SM_EERKSM_lbbbEUlllE0_EEPmJS6_EEE10hipError_tPvRmT3_T4_T5_T6_T7_T9_mT8_P12ihipStream_tbDpT10_ENKUlT_T0_E_clISt17integral_constantIbLb1EES1C_EEDaS17_S18_EUlS17_E_NS1_11comp_targetILNS1_3genE5ELNS1_11target_archE942ELNS1_3gpuE9ELNS1_3repE0EEENS1_30default_config_static_selectorELNS0_4arch9wavefront6targetE1EEEvT1_,@function
_ZN7rocprim17ROCPRIM_400000_NS6detail17trampoline_kernelINS0_14default_configENS1_25partition_config_selectorILNS1_17partition_subalgoE8ElNS0_10empty_typeEbEEZZNS1_14partition_implILS5_8ELb0ES3_jPlPS6_PKS6_NS0_5tupleIJS9_S6_EEENSD_IJSA_SA_EEENS0_18inequality_wrapperIZN2at6native12_GLOBAL__N_124unique_dim_cuda_templateIfEESt5tupleIJNSH_6TensorESM_SM_EERKSM_lbbbEUlllE0_EEPmJS6_EEE10hipError_tPvRmT3_T4_T5_T6_T7_T9_mT8_P12ihipStream_tbDpT10_ENKUlT_T0_E_clISt17integral_constantIbLb1EES1C_EEDaS17_S18_EUlS17_E_NS1_11comp_targetILNS1_3genE5ELNS1_11target_archE942ELNS1_3gpuE9ELNS1_3repE0EEENS1_30default_config_static_selectorELNS0_4arch9wavefront6targetE1EEEvT1_: ; @_ZN7rocprim17ROCPRIM_400000_NS6detail17trampoline_kernelINS0_14default_configENS1_25partition_config_selectorILNS1_17partition_subalgoE8ElNS0_10empty_typeEbEEZZNS1_14partition_implILS5_8ELb0ES3_jPlPS6_PKS6_NS0_5tupleIJS9_S6_EEENSD_IJSA_SA_EEENS0_18inequality_wrapperIZN2at6native12_GLOBAL__N_124unique_dim_cuda_templateIfEESt5tupleIJNSH_6TensorESM_SM_EERKSM_lbbbEUlllE0_EEPmJS6_EEE10hipError_tPvRmT3_T4_T5_T6_T7_T9_mT8_P12ihipStream_tbDpT10_ENKUlT_T0_E_clISt17integral_constantIbLb1EES1C_EEDaS17_S18_EUlS17_E_NS1_11comp_targetILNS1_3genE5ELNS1_11target_archE942ELNS1_3gpuE9ELNS1_3repE0EEENS1_30default_config_static_selectorELNS0_4arch9wavefront6targetE1EEEvT1_
; %bb.0:
	.section	.rodata,"a",@progbits
	.p2align	6, 0x0
	.amdhsa_kernel _ZN7rocprim17ROCPRIM_400000_NS6detail17trampoline_kernelINS0_14default_configENS1_25partition_config_selectorILNS1_17partition_subalgoE8ElNS0_10empty_typeEbEEZZNS1_14partition_implILS5_8ELb0ES3_jPlPS6_PKS6_NS0_5tupleIJS9_S6_EEENSD_IJSA_SA_EEENS0_18inequality_wrapperIZN2at6native12_GLOBAL__N_124unique_dim_cuda_templateIfEESt5tupleIJNSH_6TensorESM_SM_EERKSM_lbbbEUlllE0_EEPmJS6_EEE10hipError_tPvRmT3_T4_T5_T6_T7_T9_mT8_P12ihipStream_tbDpT10_ENKUlT_T0_E_clISt17integral_constantIbLb1EES1C_EEDaS17_S18_EUlS17_E_NS1_11comp_targetILNS1_3genE5ELNS1_11target_archE942ELNS1_3gpuE9ELNS1_3repE0EEENS1_30default_config_static_selectorELNS0_4arch9wavefront6targetE1EEEvT1_
		.amdhsa_group_segment_fixed_size 0
		.amdhsa_private_segment_fixed_size 0
		.amdhsa_kernarg_size 136
		.amdhsa_user_sgpr_count 6
		.amdhsa_user_sgpr_private_segment_buffer 1
		.amdhsa_user_sgpr_dispatch_ptr 0
		.amdhsa_user_sgpr_queue_ptr 0
		.amdhsa_user_sgpr_kernarg_segment_ptr 1
		.amdhsa_user_sgpr_dispatch_id 0
		.amdhsa_user_sgpr_flat_scratch_init 0
		.amdhsa_user_sgpr_kernarg_preload_length 0
		.amdhsa_user_sgpr_kernarg_preload_offset 0
		.amdhsa_user_sgpr_private_segment_size 0
		.amdhsa_uses_dynamic_stack 0
		.amdhsa_system_sgpr_private_segment_wavefront_offset 0
		.amdhsa_system_sgpr_workgroup_id_x 1
		.amdhsa_system_sgpr_workgroup_id_y 0
		.amdhsa_system_sgpr_workgroup_id_z 0
		.amdhsa_system_sgpr_workgroup_info 0
		.amdhsa_system_vgpr_workitem_id 0
		.amdhsa_next_free_vgpr 1
		.amdhsa_next_free_sgpr 0
		.amdhsa_accum_offset 4
		.amdhsa_reserve_vcc 0
		.amdhsa_reserve_flat_scratch 0
		.amdhsa_float_round_mode_32 0
		.amdhsa_float_round_mode_16_64 0
		.amdhsa_float_denorm_mode_32 3
		.amdhsa_float_denorm_mode_16_64 3
		.amdhsa_dx10_clamp 1
		.amdhsa_ieee_mode 1
		.amdhsa_fp16_overflow 0
		.amdhsa_tg_split 0
		.amdhsa_exception_fp_ieee_invalid_op 0
		.amdhsa_exception_fp_denorm_src 0
		.amdhsa_exception_fp_ieee_div_zero 0
		.amdhsa_exception_fp_ieee_overflow 0
		.amdhsa_exception_fp_ieee_underflow 0
		.amdhsa_exception_fp_ieee_inexact 0
		.amdhsa_exception_int_div_zero 0
	.end_amdhsa_kernel
	.section	.text._ZN7rocprim17ROCPRIM_400000_NS6detail17trampoline_kernelINS0_14default_configENS1_25partition_config_selectorILNS1_17partition_subalgoE8ElNS0_10empty_typeEbEEZZNS1_14partition_implILS5_8ELb0ES3_jPlPS6_PKS6_NS0_5tupleIJS9_S6_EEENSD_IJSA_SA_EEENS0_18inequality_wrapperIZN2at6native12_GLOBAL__N_124unique_dim_cuda_templateIfEESt5tupleIJNSH_6TensorESM_SM_EERKSM_lbbbEUlllE0_EEPmJS6_EEE10hipError_tPvRmT3_T4_T5_T6_T7_T9_mT8_P12ihipStream_tbDpT10_ENKUlT_T0_E_clISt17integral_constantIbLb1EES1C_EEDaS17_S18_EUlS17_E_NS1_11comp_targetILNS1_3genE5ELNS1_11target_archE942ELNS1_3gpuE9ELNS1_3repE0EEENS1_30default_config_static_selectorELNS0_4arch9wavefront6targetE1EEEvT1_,"axG",@progbits,_ZN7rocprim17ROCPRIM_400000_NS6detail17trampoline_kernelINS0_14default_configENS1_25partition_config_selectorILNS1_17partition_subalgoE8ElNS0_10empty_typeEbEEZZNS1_14partition_implILS5_8ELb0ES3_jPlPS6_PKS6_NS0_5tupleIJS9_S6_EEENSD_IJSA_SA_EEENS0_18inequality_wrapperIZN2at6native12_GLOBAL__N_124unique_dim_cuda_templateIfEESt5tupleIJNSH_6TensorESM_SM_EERKSM_lbbbEUlllE0_EEPmJS6_EEE10hipError_tPvRmT3_T4_T5_T6_T7_T9_mT8_P12ihipStream_tbDpT10_ENKUlT_T0_E_clISt17integral_constantIbLb1EES1C_EEDaS17_S18_EUlS17_E_NS1_11comp_targetILNS1_3genE5ELNS1_11target_archE942ELNS1_3gpuE9ELNS1_3repE0EEENS1_30default_config_static_selectorELNS0_4arch9wavefront6targetE1EEEvT1_,comdat
.Lfunc_end938:
	.size	_ZN7rocprim17ROCPRIM_400000_NS6detail17trampoline_kernelINS0_14default_configENS1_25partition_config_selectorILNS1_17partition_subalgoE8ElNS0_10empty_typeEbEEZZNS1_14partition_implILS5_8ELb0ES3_jPlPS6_PKS6_NS0_5tupleIJS9_S6_EEENSD_IJSA_SA_EEENS0_18inequality_wrapperIZN2at6native12_GLOBAL__N_124unique_dim_cuda_templateIfEESt5tupleIJNSH_6TensorESM_SM_EERKSM_lbbbEUlllE0_EEPmJS6_EEE10hipError_tPvRmT3_T4_T5_T6_T7_T9_mT8_P12ihipStream_tbDpT10_ENKUlT_T0_E_clISt17integral_constantIbLb1EES1C_EEDaS17_S18_EUlS17_E_NS1_11comp_targetILNS1_3genE5ELNS1_11target_archE942ELNS1_3gpuE9ELNS1_3repE0EEENS1_30default_config_static_selectorELNS0_4arch9wavefront6targetE1EEEvT1_, .Lfunc_end938-_ZN7rocprim17ROCPRIM_400000_NS6detail17trampoline_kernelINS0_14default_configENS1_25partition_config_selectorILNS1_17partition_subalgoE8ElNS0_10empty_typeEbEEZZNS1_14partition_implILS5_8ELb0ES3_jPlPS6_PKS6_NS0_5tupleIJS9_S6_EEENSD_IJSA_SA_EEENS0_18inequality_wrapperIZN2at6native12_GLOBAL__N_124unique_dim_cuda_templateIfEESt5tupleIJNSH_6TensorESM_SM_EERKSM_lbbbEUlllE0_EEPmJS6_EEE10hipError_tPvRmT3_T4_T5_T6_T7_T9_mT8_P12ihipStream_tbDpT10_ENKUlT_T0_E_clISt17integral_constantIbLb1EES1C_EEDaS17_S18_EUlS17_E_NS1_11comp_targetILNS1_3genE5ELNS1_11target_archE942ELNS1_3gpuE9ELNS1_3repE0EEENS1_30default_config_static_selectorELNS0_4arch9wavefront6targetE1EEEvT1_
                                        ; -- End function
	.section	.AMDGPU.csdata,"",@progbits
; Kernel info:
; codeLenInByte = 0
; NumSgprs: 4
; NumVgprs: 0
; NumAgprs: 0
; TotalNumVgprs: 0
; ScratchSize: 0
; MemoryBound: 0
; FloatMode: 240
; IeeeMode: 1
; LDSByteSize: 0 bytes/workgroup (compile time only)
; SGPRBlocks: 0
; VGPRBlocks: 0
; NumSGPRsForWavesPerEU: 4
; NumVGPRsForWavesPerEU: 1
; AccumOffset: 4
; Occupancy: 8
; WaveLimiterHint : 0
; COMPUTE_PGM_RSRC2:SCRATCH_EN: 0
; COMPUTE_PGM_RSRC2:USER_SGPR: 6
; COMPUTE_PGM_RSRC2:TRAP_HANDLER: 0
; COMPUTE_PGM_RSRC2:TGID_X_EN: 1
; COMPUTE_PGM_RSRC2:TGID_Y_EN: 0
; COMPUTE_PGM_RSRC2:TGID_Z_EN: 0
; COMPUTE_PGM_RSRC2:TIDIG_COMP_CNT: 0
; COMPUTE_PGM_RSRC3_GFX90A:ACCUM_OFFSET: 0
; COMPUTE_PGM_RSRC3_GFX90A:TG_SPLIT: 0
	.section	.text._ZN7rocprim17ROCPRIM_400000_NS6detail17trampoline_kernelINS0_14default_configENS1_25partition_config_selectorILNS1_17partition_subalgoE8ElNS0_10empty_typeEbEEZZNS1_14partition_implILS5_8ELb0ES3_jPlPS6_PKS6_NS0_5tupleIJS9_S6_EEENSD_IJSA_SA_EEENS0_18inequality_wrapperIZN2at6native12_GLOBAL__N_124unique_dim_cuda_templateIfEESt5tupleIJNSH_6TensorESM_SM_EERKSM_lbbbEUlllE0_EEPmJS6_EEE10hipError_tPvRmT3_T4_T5_T6_T7_T9_mT8_P12ihipStream_tbDpT10_ENKUlT_T0_E_clISt17integral_constantIbLb1EES1C_EEDaS17_S18_EUlS17_E_NS1_11comp_targetILNS1_3genE4ELNS1_11target_archE910ELNS1_3gpuE8ELNS1_3repE0EEENS1_30default_config_static_selectorELNS0_4arch9wavefront6targetE1EEEvT1_,"axG",@progbits,_ZN7rocprim17ROCPRIM_400000_NS6detail17trampoline_kernelINS0_14default_configENS1_25partition_config_selectorILNS1_17partition_subalgoE8ElNS0_10empty_typeEbEEZZNS1_14partition_implILS5_8ELb0ES3_jPlPS6_PKS6_NS0_5tupleIJS9_S6_EEENSD_IJSA_SA_EEENS0_18inequality_wrapperIZN2at6native12_GLOBAL__N_124unique_dim_cuda_templateIfEESt5tupleIJNSH_6TensorESM_SM_EERKSM_lbbbEUlllE0_EEPmJS6_EEE10hipError_tPvRmT3_T4_T5_T6_T7_T9_mT8_P12ihipStream_tbDpT10_ENKUlT_T0_E_clISt17integral_constantIbLb1EES1C_EEDaS17_S18_EUlS17_E_NS1_11comp_targetILNS1_3genE4ELNS1_11target_archE910ELNS1_3gpuE8ELNS1_3repE0EEENS1_30default_config_static_selectorELNS0_4arch9wavefront6targetE1EEEvT1_,comdat
	.globl	_ZN7rocprim17ROCPRIM_400000_NS6detail17trampoline_kernelINS0_14default_configENS1_25partition_config_selectorILNS1_17partition_subalgoE8ElNS0_10empty_typeEbEEZZNS1_14partition_implILS5_8ELb0ES3_jPlPS6_PKS6_NS0_5tupleIJS9_S6_EEENSD_IJSA_SA_EEENS0_18inequality_wrapperIZN2at6native12_GLOBAL__N_124unique_dim_cuda_templateIfEESt5tupleIJNSH_6TensorESM_SM_EERKSM_lbbbEUlllE0_EEPmJS6_EEE10hipError_tPvRmT3_T4_T5_T6_T7_T9_mT8_P12ihipStream_tbDpT10_ENKUlT_T0_E_clISt17integral_constantIbLb1EES1C_EEDaS17_S18_EUlS17_E_NS1_11comp_targetILNS1_3genE4ELNS1_11target_archE910ELNS1_3gpuE8ELNS1_3repE0EEENS1_30default_config_static_selectorELNS0_4arch9wavefront6targetE1EEEvT1_ ; -- Begin function _ZN7rocprim17ROCPRIM_400000_NS6detail17trampoline_kernelINS0_14default_configENS1_25partition_config_selectorILNS1_17partition_subalgoE8ElNS0_10empty_typeEbEEZZNS1_14partition_implILS5_8ELb0ES3_jPlPS6_PKS6_NS0_5tupleIJS9_S6_EEENSD_IJSA_SA_EEENS0_18inequality_wrapperIZN2at6native12_GLOBAL__N_124unique_dim_cuda_templateIfEESt5tupleIJNSH_6TensorESM_SM_EERKSM_lbbbEUlllE0_EEPmJS6_EEE10hipError_tPvRmT3_T4_T5_T6_T7_T9_mT8_P12ihipStream_tbDpT10_ENKUlT_T0_E_clISt17integral_constantIbLb1EES1C_EEDaS17_S18_EUlS17_E_NS1_11comp_targetILNS1_3genE4ELNS1_11target_archE910ELNS1_3gpuE8ELNS1_3repE0EEENS1_30default_config_static_selectorELNS0_4arch9wavefront6targetE1EEEvT1_
	.p2align	8
	.type	_ZN7rocprim17ROCPRIM_400000_NS6detail17trampoline_kernelINS0_14default_configENS1_25partition_config_selectorILNS1_17partition_subalgoE8ElNS0_10empty_typeEbEEZZNS1_14partition_implILS5_8ELb0ES3_jPlPS6_PKS6_NS0_5tupleIJS9_S6_EEENSD_IJSA_SA_EEENS0_18inequality_wrapperIZN2at6native12_GLOBAL__N_124unique_dim_cuda_templateIfEESt5tupleIJNSH_6TensorESM_SM_EERKSM_lbbbEUlllE0_EEPmJS6_EEE10hipError_tPvRmT3_T4_T5_T6_T7_T9_mT8_P12ihipStream_tbDpT10_ENKUlT_T0_E_clISt17integral_constantIbLb1EES1C_EEDaS17_S18_EUlS17_E_NS1_11comp_targetILNS1_3genE4ELNS1_11target_archE910ELNS1_3gpuE8ELNS1_3repE0EEENS1_30default_config_static_selectorELNS0_4arch9wavefront6targetE1EEEvT1_,@function
_ZN7rocprim17ROCPRIM_400000_NS6detail17trampoline_kernelINS0_14default_configENS1_25partition_config_selectorILNS1_17partition_subalgoE8ElNS0_10empty_typeEbEEZZNS1_14partition_implILS5_8ELb0ES3_jPlPS6_PKS6_NS0_5tupleIJS9_S6_EEENSD_IJSA_SA_EEENS0_18inequality_wrapperIZN2at6native12_GLOBAL__N_124unique_dim_cuda_templateIfEESt5tupleIJNSH_6TensorESM_SM_EERKSM_lbbbEUlllE0_EEPmJS6_EEE10hipError_tPvRmT3_T4_T5_T6_T7_T9_mT8_P12ihipStream_tbDpT10_ENKUlT_T0_E_clISt17integral_constantIbLb1EES1C_EEDaS17_S18_EUlS17_E_NS1_11comp_targetILNS1_3genE4ELNS1_11target_archE910ELNS1_3gpuE8ELNS1_3repE0EEENS1_30default_config_static_selectorELNS0_4arch9wavefront6targetE1EEEvT1_: ; @_ZN7rocprim17ROCPRIM_400000_NS6detail17trampoline_kernelINS0_14default_configENS1_25partition_config_selectorILNS1_17partition_subalgoE8ElNS0_10empty_typeEbEEZZNS1_14partition_implILS5_8ELb0ES3_jPlPS6_PKS6_NS0_5tupleIJS9_S6_EEENSD_IJSA_SA_EEENS0_18inequality_wrapperIZN2at6native12_GLOBAL__N_124unique_dim_cuda_templateIfEESt5tupleIJNSH_6TensorESM_SM_EERKSM_lbbbEUlllE0_EEPmJS6_EEE10hipError_tPvRmT3_T4_T5_T6_T7_T9_mT8_P12ihipStream_tbDpT10_ENKUlT_T0_E_clISt17integral_constantIbLb1EES1C_EEDaS17_S18_EUlS17_E_NS1_11comp_targetILNS1_3genE4ELNS1_11target_archE910ELNS1_3gpuE8ELNS1_3repE0EEENS1_30default_config_static_selectorELNS0_4arch9wavefront6targetE1EEEvT1_
; %bb.0:
	s_load_dwordx2 s[28:29], s[4:5], 0x28
	s_load_dwordx8 s[20:27], s[4:5], 0x40
	s_load_dwordx4 s[16:19], s[4:5], 0x60
	v_cmp_ne_u32_e64 s[2:3], 0, v0
	v_cmp_eq_u32_e64 s[0:1], 0, v0
	s_and_saveexec_b64 s[6:7], s[0:1]
	s_cbranch_execz .LBB939_4
; %bb.1:
	s_mov_b64 s[10:11], exec
	v_mbcnt_lo_u32_b32 v1, s10, 0
	v_mbcnt_hi_u32_b32 v1, s11, v1
	v_cmp_eq_u32_e32 vcc, 0, v1
                                        ; implicit-def: $vgpr2
	s_and_saveexec_b64 s[8:9], vcc
	s_cbranch_execz .LBB939_3
; %bb.2:
	s_load_dwordx2 s[12:13], s[4:5], 0x78
	s_bcnt1_i32_b64 s10, s[10:11]
	v_mov_b32_e32 v2, 0
	v_mov_b32_e32 v3, s10
	s_waitcnt lgkmcnt(0)
	global_atomic_add v2, v2, v3, s[12:13] glc
.LBB939_3:
	s_or_b64 exec, exec, s[8:9]
	s_waitcnt vmcnt(0)
	v_readfirstlane_b32 s8, v2
	v_add_u32_e32 v1, s8, v1
	v_mov_b32_e32 v2, 0
	ds_write_b32 v2, v1
.LBB939_4:
	s_or_b64 exec, exec, s[6:7]
	v_mov_b32_e32 v3, 0
	s_load_dwordx4 s[8:11], s[4:5], 0x8
	s_load_dword s12, s[4:5], 0x70
	s_waitcnt lgkmcnt(0)
	s_barrier
	ds_read_b32 v1, v3
	s_waitcnt lgkmcnt(0)
	s_barrier
	global_load_dwordx2 v[4:5], v3, s[22:23]
	s_lshl_b64 s[4:5], s[10:11], 3
	s_mul_i32 s14, s12, 0x500
	s_add_u32 s8, s8, s4
	s_addc_u32 s4, s9, s5
	s_add_i32 s5, s14, s10
	s_add_i32 s12, s12, -1
	s_sub_i32 s48, s24, s5
	v_mov_b32_e32 v8, s4
	s_add_u32 s4, s10, s14
	s_addc_u32 s5, s11, 0
	v_readfirstlane_b32 s33, v1
	v_mov_b32_e32 v6, s24
	v_mov_b32_e32 v7, s25
	s_movk_i32 s13, 0x500
	s_cmp_eq_u32 s33, s12
	v_mul_lo_u32 v2, v1, s13
	v_cmp_ge_u64_e32 vcc, s[4:5], v[6:7]
	s_cselect_b64 s[24:25], -1, 0
	v_lshlrev_b64 v[2:3], 3, v[2:3]
	s_and_b64 s[12:13], vcc, s[24:25]
	v_add_co_u32_e64 v18, s[4:5], s8, v2
	s_xor_b64 s[30:31], s[12:13], -1
	s_mov_b64 s[6:7], -1
	v_addc_co_u32_e64 v19, s[4:5], v8, v3, s[4:5]
	s_and_b64 vcc, exec, s[30:31]
	s_waitcnt vmcnt(0)
	v_readfirstlane_b32 s22, v4
	v_readfirstlane_b32 s23, v5
	s_cbranch_vccz .LBB939_6
; %bb.5:
	v_lshlrev_b32_e32 v1, 3, v0
	v_add_co_u32_e32 v12, vcc, v18, v1
	v_addc_co_u32_e32 v13, vcc, 0, v19, vcc
	v_add_co_u32_e32 v2, vcc, 0x1000, v12
	v_readfirstlane_b32 s4, v18
	v_readfirstlane_b32 s5, v19
	v_addc_co_u32_e32 v3, vcc, 0, v13, vcc
	s_nop 3
	global_load_dwordx2 v[4:5], v1, s[4:5]
	global_load_dwordx2 v[6:7], v1, s[4:5] offset:2048
	global_load_dwordx2 v[8:9], v[2:3], off
	global_load_dwordx2 v[10:11], v[2:3], off offset:2048
	v_add_co_u32_e32 v2, vcc, 0x2000, v12
	v_addc_co_u32_e32 v3, vcc, 0, v13, vcc
	global_load_dwordx2 v[2:3], v[2:3], off
	s_mov_b64 s[6:7], 0
	s_waitcnt vmcnt(3)
	ds_write2st64_b64 v1, v[4:5], v[6:7] offset1:4
	s_waitcnt vmcnt(1)
	ds_write2st64_b64 v1, v[8:9], v[10:11] offset0:8 offset1:12
	s_waitcnt vmcnt(0)
	ds_write_b64 v1, v[2:3] offset:8192
	s_waitcnt lgkmcnt(0)
	s_barrier
.LBB939_6:
	s_andn2_b64 vcc, exec, s[6:7]
	s_addk_i32 s48, 0x500
	s_cbranch_vccnz .LBB939_18
; %bb.7:
	v_cmp_gt_u32_e32 vcc, s48, v0
                                        ; implicit-def: $vgpr2_vgpr3_vgpr4_vgpr5_vgpr6_vgpr7_vgpr8_vgpr9_vgpr10_vgpr11_vgpr12_vgpr13_vgpr14_vgpr15_vgpr16_vgpr17
	s_and_saveexec_b64 s[4:5], vcc
	s_cbranch_execz .LBB939_9
; %bb.8:
	v_lshlrev_b32_e32 v1, 3, v0
	v_readfirstlane_b32 s6, v18
	v_readfirstlane_b32 s7, v19
	s_nop 4
	global_load_dwordx2 v[2:3], v1, s[6:7]
.LBB939_9:
	s_or_b64 exec, exec, s[4:5]
	v_or_b32_e32 v1, 0x100, v0
	v_cmp_gt_u32_e32 vcc, s48, v1
	s_and_saveexec_b64 s[4:5], vcc
	s_cbranch_execz .LBB939_11
; %bb.10:
	v_lshlrev_b32_e32 v1, 3, v0
	v_readfirstlane_b32 s6, v18
	v_readfirstlane_b32 s7, v19
	s_nop 4
	global_load_dwordx2 v[4:5], v1, s[6:7] offset:2048
.LBB939_11:
	s_or_b64 exec, exec, s[4:5]
	v_or_b32_e32 v1, 0x200, v0
	v_cmp_gt_u32_e32 vcc, s48, v1
	s_and_saveexec_b64 s[4:5], vcc
	s_cbranch_execz .LBB939_13
; %bb.12:
	v_lshlrev_b32_e32 v1, 3, v1
	v_readfirstlane_b32 s6, v18
	v_readfirstlane_b32 s7, v19
	s_nop 4
	global_load_dwordx2 v[6:7], v1, s[6:7]
.LBB939_13:
	s_or_b64 exec, exec, s[4:5]
	v_or_b32_e32 v1, 0x300, v0
	v_cmp_gt_u32_e32 vcc, s48, v1
	s_and_saveexec_b64 s[4:5], vcc
	s_cbranch_execz .LBB939_15
; %bb.14:
	v_lshlrev_b32_e32 v1, 3, v1
	v_readfirstlane_b32 s6, v18
	v_readfirstlane_b32 s7, v19
	s_nop 4
	global_load_dwordx2 v[8:9], v1, s[6:7]
.LBB939_15:
	;; [unrolled: 12-line block ×3, first 2 shown]
	s_or_b64 exec, exec, s[4:5]
	v_lshlrev_b32_e32 v1, 3, v0
	s_waitcnt vmcnt(0)
	ds_write2st64_b64 v1, v[2:3], v[4:5] offset1:4
	ds_write2st64_b64 v1, v[6:7], v[8:9] offset0:8 offset1:12
	ds_write_b64 v1, v[10:11] offset:8192
	s_waitcnt lgkmcnt(0)
	s_barrier
.LBB939_18:
	v_mul_u32_u24_e32 v1, 5, v0
	v_lshlrev_b32_e32 v26, 3, v1
	ds_read2_b64 v[6:9], v26 offset1:1
	ds_read2_b64 v[2:5], v26 offset0:2 offset1:3
	ds_read_b64 v[10:11], v26 offset:32
	s_cmp_lg_u32 s33, 0
	s_cselect_b64 s[34:35], -1, 0
	s_cmp_lg_u64 s[10:11], 0
	s_cselect_b64 s[4:5], -1, 0
	s_or_b64 s[4:5], s[4:5], s[34:35]
	v_mad_u32_u24 v24, v0, 5, 1
	v_mad_u32_u24 v22, v0, 5, 2
	;; [unrolled: 1-line block ×4, first 2 shown]
	s_mov_b64 s[14:15], 0
	s_and_b64 vcc, exec, s[4:5]
	v_cmp_gt_i64_e64 s[4:5], s[26:27], 0
	s_waitcnt lgkmcnt(0)
	s_barrier
	s_cbranch_vccz .LBB939_27
; %bb.19:
	global_load_dwordx2 v[14:15], v[18:19], off offset:-8
	v_cndmask_b32_e64 v12, 0, 1, s[4:5]
	v_lshlrev_b32_e32 v27, 3, v0
	s_mov_b64 s[10:11], 0
	s_and_b64 vcc, exec, s[30:31]
	v_cmp_ne_u32_e64 s[4:5], 1, v12
	ds_write_b64 v27, v[10:11]
	s_cbranch_vccz .LBB939_28
; %bb.20:
	v_mul_lo_u32 v16, v5, s26
	v_mul_lo_u32 v17, v4, s27
	v_mad_u64_u32 v[12:13], s[6:7], v4, s26, 0
	v_add3_u32 v13, v13, v17, v16
	s_and_b64 vcc, exec, s[4:5]
	v_lshlrev_b64 v[12:13], 2, v[12:13]
	s_cbranch_vccnz .LBB939_31
; %bb.21:
	v_mul_lo_u32 v18, v11, s26
	v_mul_lo_u32 v19, v10, s27
	v_mad_u64_u32 v[16:17], s[6:7], v10, s26, 0
	v_add3_u32 v17, v17, v19, v18
	v_mov_b32_e32 v19, s17
	v_add_co_u32_e32 v18, vcc, s16, v12
	v_addc_co_u32_e64 v19, s[6:7], v19, v13, vcc
	v_lshlrev_b64 v[16:17], 2, v[16:17]
	v_mov_b32_e32 v21, s17
	v_add_co_u32_e64 v20, s[6:7], s16, v16
	v_addc_co_u32_e64 v21, s[8:9], v21, v17, s[6:7]
	global_load_dword v16, v[18:19], off
	global_load_dword v28, v[20:21], off
	s_mov_b64 s[10:11], -1
	s_waitcnt vmcnt(0)
	v_cmp_eq_f32_e64 s[8:9], v16, v28
	s_and_saveexec_b64 s[14:15], s[8:9]
	s_cbranch_execz .LBB939_30
; %bb.22:
	v_mov_b32_e32 v16, s17
	v_addc_co_u32_e64 v17, s[6:7], v17, v16, s[6:7]
	v_add_co_u32_e64 v16, s[6:7], 4, v20
	v_mov_b32_e32 v19, s17
	v_addc_co_u32_e64 v17, s[6:7], 0, v17, s[6:7]
	v_addc_co_u32_e32 v19, vcc, v13, v19, vcc
	v_add_co_u32_e32 v18, vcc, 4, v18
	s_add_u32 s6, s26, -1
	v_addc_co_u32_e32 v19, vcc, 0, v19, vcc
	s_addc_u32 s7, s27, -1
	s_mov_b64 s[8:9], 0
	s_mov_b64 s[36:37], 0
                                        ; implicit-def: $sgpr10_sgpr11
	s_branch .LBB939_25
.LBB939_23:                             ;   in Loop: Header=BB939_25 Depth=1
	global_load_dword v20, v[18:19], off
	global_load_dword v21, v[16:17], off
	v_add_co_u32_e32 v16, vcc, 4, v16
	v_addc_co_u32_e32 v17, vcc, 0, v17, vcc
	v_add_co_u32_e32 v18, vcc, 4, v18
	v_addc_co_u32_e32 v19, vcc, 0, v19, vcc
	s_add_u32 s36, s36, 1
	s_addc_u32 s37, s37, 0
	s_andn2_b64 s[10:11], s[10:11], exec
	s_waitcnt vmcnt(0)
	v_cmp_neq_f32_e32 vcc, v20, v21
	s_and_b64 s[38:39], vcc, exec
	s_or_b64 s[10:11], s[10:11], s[38:39]
.LBB939_24:                             ;   in Loop: Header=BB939_25 Depth=1
	s_and_b64 s[38:39], exec, s[10:11]
	s_or_b64 s[8:9], s[38:39], s[8:9]
	v_pk_mov_b32 v[20:21], s[36:37], s[36:37] op_sel:[0,1]
	s_andn2_b64 exec, exec, s[8:9]
	s_cbranch_execz .LBB939_29
.LBB939_25:                             ; =>This Inner Loop Header: Depth=1
	s_or_b64 s[10:11], s[10:11], exec
	s_cmp_eq_u64 s[6:7], s[36:37]
	s_cbranch_scc0 .LBB939_23
; %bb.26:                               ;   in Loop: Header=BB939_25 Depth=1
                                        ; implicit-def: $vgpr16_vgpr17
                                        ; implicit-def: $vgpr18_vgpr19
	s_mov_b64 s[36:37], s[26:27]
	s_branch .LBB939_24
.LBB939_27:
                                        ; implicit-def: $sgpr36_sgpr37
                                        ; implicit-def: $vgpr13
                                        ; implicit-def: $vgpr16
	s_branch .LBB939_129
.LBB939_28:
                                        ; implicit-def: $sgpr36_sgpr37
                                        ; implicit-def: $vgpr13
                                        ; implicit-def: $vgpr16
	s_cbranch_execnz .LBB939_70
	s_branch .LBB939_128
.LBB939_29:
	s_or_b64 exec, exec, s[8:9]
	v_cmp_gt_i64_e32 vcc, s[26:27], v[20:21]
	s_orn2_b64 s[10:11], vcc, exec
.LBB939_30:
	s_or_b64 exec, exec, s[14:15]
.LBB939_31:
	v_mul_lo_u32 v18, v3, s26
	v_mul_lo_u32 v19, v2, s27
	v_mad_u64_u32 v[16:17], s[6:7], v2, s26, 0
	v_add3_u32 v17, v17, v19, v18
	s_mov_b64 s[14:15], 0
	s_and_b64 vcc, exec, s[4:5]
	v_lshlrev_b64 v[18:19], 2, v[16:17]
	s_mov_b64 s[36:37], 0
	s_cbranch_vccnz .LBB939_40
; %bb.32:
	v_mov_b32_e32 v17, s17
	v_add_co_u32_e32 v16, vcc, s16, v18
	v_addc_co_u32_e64 v17, s[6:7], v17, v19, vcc
	v_mov_b32_e32 v21, s17
	v_add_co_u32_e64 v20, s[6:7], s16, v12
	v_addc_co_u32_e64 v21, s[8:9], v21, v13, s[6:7]
	global_load_dword v12, v[16:17], off
	global_load_dword v28, v[20:21], off
	s_mov_b64 s[36:37], -1
	s_waitcnt vmcnt(0)
	v_cmp_eq_f32_e64 s[8:9], v12, v28
	s_and_saveexec_b64 s[38:39], s[8:9]
	s_cbranch_execz .LBB939_39
; %bb.33:
	v_mov_b32_e32 v12, s17
	v_addc_co_u32_e64 v13, s[6:7], v13, v12, s[6:7]
	v_add_co_u32_e64 v12, s[6:7], 4, v20
	v_mov_b32_e32 v17, s17
	v_addc_co_u32_e64 v13, s[6:7], 0, v13, s[6:7]
	v_addc_co_u32_e32 v17, vcc, v19, v17, vcc
	v_add_co_u32_e32 v16, vcc, 4, v16
	s_add_u32 s6, s26, -1
	v_addc_co_u32_e32 v17, vcc, 0, v17, vcc
	s_addc_u32 s7, s27, -1
	s_mov_b64 s[8:9], 0
	s_mov_b64 s[40:41], 0
                                        ; implicit-def: $sgpr36_sgpr37
	s_branch .LBB939_36
.LBB939_34:                             ;   in Loop: Header=BB939_36 Depth=1
	global_load_dword v20, v[16:17], off
	global_load_dword v21, v[12:13], off
	v_add_co_u32_e32 v12, vcc, 4, v12
	v_addc_co_u32_e32 v13, vcc, 0, v13, vcc
	v_add_co_u32_e32 v16, vcc, 4, v16
	v_addc_co_u32_e32 v17, vcc, 0, v17, vcc
	s_add_u32 s40, s40, 1
	s_addc_u32 s41, s41, 0
	s_andn2_b64 s[36:37], s[36:37], exec
	s_waitcnt vmcnt(0)
	v_cmp_neq_f32_e32 vcc, v20, v21
	s_and_b64 s[42:43], vcc, exec
	s_or_b64 s[36:37], s[36:37], s[42:43]
.LBB939_35:                             ;   in Loop: Header=BB939_36 Depth=1
	s_and_b64 s[42:43], exec, s[36:37]
	s_or_b64 s[8:9], s[42:43], s[8:9]
	v_pk_mov_b32 v[20:21], s[40:41], s[40:41] op_sel:[0,1]
	s_andn2_b64 exec, exec, s[8:9]
	s_cbranch_execz .LBB939_38
.LBB939_36:                             ; =>This Inner Loop Header: Depth=1
	s_or_b64 s[36:37], s[36:37], exec
	s_cmp_eq_u64 s[6:7], s[40:41]
	s_cbranch_scc0 .LBB939_34
; %bb.37:                               ;   in Loop: Header=BB939_36 Depth=1
                                        ; implicit-def: $vgpr12_vgpr13
                                        ; implicit-def: $vgpr16_vgpr17
	s_mov_b64 s[40:41], s[26:27]
	s_branch .LBB939_35
.LBB939_38:
	s_or_b64 exec, exec, s[8:9]
	v_cmp_gt_i64_e32 vcc, s[26:27], v[20:21]
	s_orn2_b64 s[36:37], vcc, exec
.LBB939_39:
	s_or_b64 exec, exec, s[38:39]
.LBB939_40:
	v_mul_lo_u32 v16, v9, s26
	v_mul_lo_u32 v17, v8, s27
	v_mad_u64_u32 v[12:13], s[6:7], v8, s26, 0
	v_add3_u32 v13, v13, v17, v16
	s_and_b64 vcc, exec, s[4:5]
	v_lshlrev_b64 v[16:17], 2, v[12:13]
	s_cbranch_vccnz .LBB939_49
; %bb.41:
	v_mov_b32_e32 v12, s17
	v_add_co_u32_e32 v20, vcc, s16, v16
	v_addc_co_u32_e64 v21, s[6:7], v12, v17, vcc
	v_mov_b32_e32 v13, s17
	v_add_co_u32_e64 v12, s[6:7], s16, v18
	v_addc_co_u32_e64 v13, s[8:9], v13, v19, s[6:7]
	global_load_dword v18, v[20:21], off
	global_load_dword v28, v[12:13], off
	s_mov_b64 s[14:15], -1
	s_waitcnt vmcnt(0)
	v_cmp_eq_f32_e64 s[8:9], v18, v28
	s_and_saveexec_b64 s[38:39], s[8:9]
	s_cbranch_execz .LBB939_48
; %bb.42:
	v_mov_b32_e32 v13, s17
	v_addc_co_u32_e64 v13, s[6:7], v19, v13, s[6:7]
	v_add_co_u32_e64 v12, s[6:7], 4, v12
	v_mov_b32_e32 v18, s17
	v_addc_co_u32_e64 v13, s[6:7], 0, v13, s[6:7]
	v_addc_co_u32_e32 v19, vcc, v17, v18, vcc
	v_add_co_u32_e32 v18, vcc, 4, v20
	s_add_u32 s6, s26, -1
	v_addc_co_u32_e32 v19, vcc, 0, v19, vcc
	s_addc_u32 s7, s27, -1
	s_mov_b64 s[8:9], 0
	s_mov_b64 s[40:41], 0
                                        ; implicit-def: $sgpr14_sgpr15
	s_branch .LBB939_45
.LBB939_43:                             ;   in Loop: Header=BB939_45 Depth=1
	global_load_dword v20, v[18:19], off
	global_load_dword v21, v[12:13], off
	v_add_co_u32_e32 v12, vcc, 4, v12
	v_addc_co_u32_e32 v13, vcc, 0, v13, vcc
	v_add_co_u32_e32 v18, vcc, 4, v18
	v_addc_co_u32_e32 v19, vcc, 0, v19, vcc
	s_add_u32 s40, s40, 1
	s_addc_u32 s41, s41, 0
	s_andn2_b64 s[14:15], s[14:15], exec
	s_waitcnt vmcnt(0)
	v_cmp_neq_f32_e32 vcc, v20, v21
	s_and_b64 s[42:43], vcc, exec
	s_or_b64 s[14:15], s[14:15], s[42:43]
.LBB939_44:                             ;   in Loop: Header=BB939_45 Depth=1
	s_and_b64 s[42:43], exec, s[14:15]
	s_or_b64 s[8:9], s[42:43], s[8:9]
	v_pk_mov_b32 v[20:21], s[40:41], s[40:41] op_sel:[0,1]
	s_andn2_b64 exec, exec, s[8:9]
	s_cbranch_execz .LBB939_47
.LBB939_45:                             ; =>This Inner Loop Header: Depth=1
	s_or_b64 s[14:15], s[14:15], exec
	s_cmp_eq_u64 s[6:7], s[40:41]
	s_cbranch_scc0 .LBB939_43
; %bb.46:                               ;   in Loop: Header=BB939_45 Depth=1
                                        ; implicit-def: $vgpr12_vgpr13
                                        ; implicit-def: $vgpr18_vgpr19
	s_mov_b64 s[40:41], s[26:27]
	s_branch .LBB939_44
.LBB939_47:
	s_or_b64 exec, exec, s[8:9]
	v_cmp_gt_i64_e32 vcc, s[26:27], v[20:21]
	s_orn2_b64 s[14:15], vcc, exec
.LBB939_48:
	s_or_b64 exec, exec, s[38:39]
.LBB939_49:
	v_mul_lo_u32 v18, v7, s26
	v_mul_lo_u32 v19, v6, s27
	v_mad_u64_u32 v[12:13], s[6:7], v6, s26, 0
	v_add3_u32 v13, v13, v19, v18
	s_mov_b64 s[40:41], 0
	s_and_b64 vcc, exec, s[4:5]
	v_lshlrev_b64 v[12:13], 2, v[12:13]
	s_cbranch_vccnz .LBB939_58
; %bb.50:
	v_mov_b32_e32 v19, s17
	v_add_co_u32_e32 v18, vcc, s16, v12
	v_addc_co_u32_e64 v19, s[6:7], v19, v13, vcc
	v_mov_b32_e32 v21, s17
	v_add_co_u32_e64 v20, s[6:7], s16, v16
	v_addc_co_u32_e64 v21, s[8:9], v21, v17, s[6:7]
	global_load_dword v16, v[18:19], off
	global_load_dword v28, v[20:21], off
	s_mov_b64 s[40:41], -1
	s_waitcnt vmcnt(0)
	v_cmp_eq_f32_e64 s[8:9], v16, v28
	s_and_saveexec_b64 s[38:39], s[8:9]
	s_cbranch_execz .LBB939_57
; %bb.51:
	v_mov_b32_e32 v16, s17
	v_addc_co_u32_e64 v17, s[6:7], v17, v16, s[6:7]
	v_add_co_u32_e64 v16, s[6:7], 4, v20
	v_mov_b32_e32 v19, s17
	v_addc_co_u32_e64 v17, s[6:7], 0, v17, s[6:7]
	v_addc_co_u32_e32 v19, vcc, v13, v19, vcc
	v_add_co_u32_e32 v18, vcc, 4, v18
	s_add_u32 s6, s26, -1
	v_addc_co_u32_e32 v19, vcc, 0, v19, vcc
	s_addc_u32 s7, s27, -1
	s_mov_b64 s[8:9], 0
	s_mov_b64 s[42:43], 0
                                        ; implicit-def: $sgpr40_sgpr41
	s_branch .LBB939_54
.LBB939_52:                             ;   in Loop: Header=BB939_54 Depth=1
	global_load_dword v20, v[18:19], off
	global_load_dword v21, v[16:17], off
	v_add_co_u32_e32 v16, vcc, 4, v16
	v_addc_co_u32_e32 v17, vcc, 0, v17, vcc
	v_add_co_u32_e32 v18, vcc, 4, v18
	v_addc_co_u32_e32 v19, vcc, 0, v19, vcc
	s_add_u32 s42, s42, 1
	s_addc_u32 s43, s43, 0
	s_andn2_b64 s[40:41], s[40:41], exec
	s_waitcnt vmcnt(0)
	v_cmp_neq_f32_e32 vcc, v20, v21
	s_and_b64 s[44:45], vcc, exec
	s_or_b64 s[40:41], s[40:41], s[44:45]
.LBB939_53:                             ;   in Loop: Header=BB939_54 Depth=1
	s_and_b64 s[44:45], exec, s[40:41]
	s_or_b64 s[8:9], s[44:45], s[8:9]
	v_pk_mov_b32 v[20:21], s[42:43], s[42:43] op_sel:[0,1]
	s_andn2_b64 exec, exec, s[8:9]
	s_cbranch_execz .LBB939_56
.LBB939_54:                             ; =>This Inner Loop Header: Depth=1
	s_or_b64 s[40:41], s[40:41], exec
	s_cmp_eq_u64 s[6:7], s[42:43]
	s_cbranch_scc0 .LBB939_52
; %bb.55:                               ;   in Loop: Header=BB939_54 Depth=1
                                        ; implicit-def: $vgpr16_vgpr17
                                        ; implicit-def: $vgpr18_vgpr19
	s_mov_b64 s[42:43], s[26:27]
	s_branch .LBB939_53
.LBB939_56:
	s_or_b64 exec, exec, s[8:9]
	v_cmp_gt_i64_e32 vcc, s[26:27], v[20:21]
	s_orn2_b64 s[40:41], vcc, exec
.LBB939_57:
	s_or_b64 exec, exec, s[38:39]
.LBB939_58:
	s_waitcnt vmcnt(0)
	v_pk_mov_b32 v[16:17], v[14:15], v[14:15] op_sel:[0,1]
	s_waitcnt lgkmcnt(0)
	s_barrier
	s_and_saveexec_b64 s[6:7], s[2:3]
	s_cbranch_execz .LBB939_60
; %bb.59:
	v_add_u32_e32 v16, -8, v27
	ds_read_b64 v[16:17], v16
.LBB939_60:
	s_or_b64 exec, exec, s[6:7]
	v_cndmask_b32_e64 v19, 0, 1, s[36:37]
	v_cndmask_b32_e64 v18, 0, 1, s[14:15]
	;; [unrolled: 1-line block ×3, first 2 shown]
	v_lshlrev_b16_e32 v19, 8, v19
	v_lshlrev_b16_e32 v28, 8, v20
	v_or_b32_sdwa v29, v18, v19 dst_sel:WORD_1 dst_unused:UNUSED_PAD src0_sel:DWORD src1_sel:DWORD
	s_mov_b64 s[14:15], 0
	s_and_b64 vcc, exec, s[4:5]
	s_mov_b64 s[36:37], 0
	s_cbranch_vccnz .LBB939_69
; %bb.61:
	s_waitcnt lgkmcnt(0)
	v_mul_lo_u32 v18, v17, s26
	v_mul_lo_u32 v19, v16, s27
	v_mad_u64_u32 v[16:17], s[6:7], v16, s26, 0
	v_add3_u32 v17, v17, v19, v18
	v_lshlrev_b64 v[16:17], 2, v[16:17]
	v_mov_b32_e32 v19, s17
	v_add_co_u32_e32 v18, vcc, s16, v16
	v_addc_co_u32_e64 v19, s[6:7], v19, v17, vcc
	v_mov_b32_e32 v16, s17
	v_add_co_u32_e64 v20, s[6:7], s16, v12
	v_addc_co_u32_e64 v21, s[8:9], v16, v13, s[6:7]
	global_load_dword v12, v[18:19], off
	global_load_dword v16, v[20:21], off
	s_mov_b64 s[36:37], -1
	s_waitcnt vmcnt(0)
	v_cmp_eq_f32_e64 s[8:9], v12, v16
	s_and_saveexec_b64 s[38:39], s[8:9]
	s_cbranch_execz .LBB939_68
; %bb.62:
	v_mov_b32_e32 v12, s17
	v_addc_co_u32_e64 v13, s[6:7], v13, v12, s[6:7]
	v_add_co_u32_e64 v12, s[6:7], 4, v20
	v_mov_b32_e32 v16, s17
	v_addc_co_u32_e64 v13, s[6:7], 0, v13, s[6:7]
	v_addc_co_u32_e32 v17, vcc, v17, v16, vcc
	v_add_co_u32_e32 v16, vcc, 4, v18
	s_add_u32 s6, s26, -1
	v_addc_co_u32_e32 v17, vcc, 0, v17, vcc
	s_addc_u32 s7, s27, -1
	s_mov_b64 s[8:9], 0
	s_mov_b64 s[40:41], 0
                                        ; implicit-def: $sgpr36_sgpr37
	s_branch .LBB939_65
.LBB939_63:                             ;   in Loop: Header=BB939_65 Depth=1
	global_load_dword v18, v[16:17], off
	global_load_dword v19, v[12:13], off
	v_add_co_u32_e32 v12, vcc, 4, v12
	v_addc_co_u32_e32 v13, vcc, 0, v13, vcc
	v_add_co_u32_e32 v16, vcc, 4, v16
	v_addc_co_u32_e32 v17, vcc, 0, v17, vcc
	s_add_u32 s40, s40, 1
	s_addc_u32 s41, s41, 0
	s_andn2_b64 s[36:37], s[36:37], exec
	s_waitcnt vmcnt(0)
	v_cmp_neq_f32_e32 vcc, v18, v19
	s_and_b64 s[42:43], vcc, exec
	s_or_b64 s[36:37], s[36:37], s[42:43]
.LBB939_64:                             ;   in Loop: Header=BB939_65 Depth=1
	s_and_b64 s[42:43], exec, s[36:37]
	s_or_b64 s[8:9], s[42:43], s[8:9]
	v_pk_mov_b32 v[18:19], s[40:41], s[40:41] op_sel:[0,1]
	s_andn2_b64 exec, exec, s[8:9]
	s_cbranch_execz .LBB939_67
.LBB939_65:                             ; =>This Inner Loop Header: Depth=1
	s_or_b64 s[36:37], s[36:37], exec
	s_cmp_eq_u64 s[6:7], s[40:41]
	s_cbranch_scc0 .LBB939_63
; %bb.66:                               ;   in Loop: Header=BB939_65 Depth=1
                                        ; implicit-def: $vgpr12_vgpr13
                                        ; implicit-def: $vgpr16_vgpr17
	s_mov_b64 s[40:41], s[26:27]
	s_branch .LBB939_64
.LBB939_67:
	s_or_b64 exec, exec, s[8:9]
	v_cmp_gt_i64_e32 vcc, s[26:27], v[18:19]
	s_orn2_b64 s[36:37], vcc, exec
.LBB939_68:
	s_or_b64 exec, exec, s[38:39]
.LBB939_69:
	v_cndmask_b32_e64 v13, 0, 1, s[10:11]
	s_waitcnt lgkmcnt(0)
	v_or_b32_e32 v16, v28, v29
	s_and_b64 vcc, exec, s[14:15]
	s_cbranch_vccz .LBB939_128
.LBB939_70:
	v_cmp_gt_u32_e32 vcc, s48, v23
	s_mov_b64 s[14:15], 0
	s_mov_b64 s[10:11], 0
	s_and_saveexec_b64 s[36:37], vcc
	s_cbranch_execz .LBB939_81
; %bb.71:
	s_and_b64 vcc, exec, s[4:5]
	s_mov_b64 s[38:39], 0
	s_cbranch_vccnz .LBB939_80
; %bb.72:
	v_mul_lo_u32 v16, v5, s26
	v_mul_lo_u32 v17, v4, s27
	v_mad_u64_u32 v[12:13], s[6:7], v4, s26, 0
	v_add3_u32 v13, v13, v17, v16
	v_mul_lo_u32 v16, v11, s26
	v_mul_lo_u32 v17, v10, s27
	v_mad_u64_u32 v[20:21], s[6:7], v10, s26, 0
	v_add3_u32 v21, v21, v17, v16
	v_lshlrev_b64 v[16:17], 2, v[12:13]
	v_mov_b32_e32 v12, s17
	v_add_co_u32_e32 v18, vcc, s16, v16
	v_addc_co_u32_e64 v19, s[6:7], v12, v17, vcc
	v_lshlrev_b64 v[12:13], 2, v[20:21]
	v_mov_b32_e32 v16, s17
	v_add_co_u32_e64 v20, s[6:7], s16, v12
	v_addc_co_u32_e64 v21, s[8:9], v16, v13, s[6:7]
	global_load_dword v12, v[18:19], off
	global_load_dword v16, v[20:21], off
	s_mov_b64 s[38:39], -1
	s_waitcnt vmcnt(0)
	v_cmp_eq_f32_e64 s[8:9], v12, v16
	s_and_saveexec_b64 s[10:11], s[8:9]
	s_cbranch_execz .LBB939_79
; %bb.73:
	v_mov_b32_e32 v12, s17
	v_addc_co_u32_e64 v13, s[6:7], v13, v12, s[6:7]
	v_add_co_u32_e64 v12, s[6:7], 4, v20
	v_mov_b32_e32 v16, s17
	v_addc_co_u32_e64 v13, s[6:7], 0, v13, s[6:7]
	v_addc_co_u32_e32 v17, vcc, v17, v16, vcc
	v_add_co_u32_e32 v16, vcc, 4, v18
	s_add_u32 s6, s26, -1
	v_addc_co_u32_e32 v17, vcc, 0, v17, vcc
	s_addc_u32 s7, s27, -1
	s_mov_b64 s[8:9], 0
	s_mov_b64 s[40:41], 0
                                        ; implicit-def: $sgpr38_sgpr39
	s_branch .LBB939_76
.LBB939_74:                             ;   in Loop: Header=BB939_76 Depth=1
	global_load_dword v18, v[16:17], off
	global_load_dword v19, v[12:13], off
	v_add_co_u32_e32 v12, vcc, 4, v12
	v_addc_co_u32_e32 v13, vcc, 0, v13, vcc
	v_add_co_u32_e32 v16, vcc, 4, v16
	v_addc_co_u32_e32 v17, vcc, 0, v17, vcc
	s_add_u32 s40, s40, 1
	s_addc_u32 s41, s41, 0
	s_andn2_b64 s[38:39], s[38:39], exec
	s_waitcnt vmcnt(0)
	v_cmp_neq_f32_e32 vcc, v18, v19
	s_and_b64 s[42:43], vcc, exec
	s_or_b64 s[38:39], s[38:39], s[42:43]
.LBB939_75:                             ;   in Loop: Header=BB939_76 Depth=1
	s_and_b64 s[42:43], exec, s[38:39]
	s_or_b64 s[8:9], s[42:43], s[8:9]
	v_pk_mov_b32 v[18:19], s[40:41], s[40:41] op_sel:[0,1]
	s_andn2_b64 exec, exec, s[8:9]
	s_cbranch_execz .LBB939_78
.LBB939_76:                             ; =>This Inner Loop Header: Depth=1
	s_or_b64 s[38:39], s[38:39], exec
	s_cmp_eq_u64 s[6:7], s[40:41]
	s_cbranch_scc0 .LBB939_74
; %bb.77:                               ;   in Loop: Header=BB939_76 Depth=1
                                        ; implicit-def: $vgpr12_vgpr13
                                        ; implicit-def: $vgpr16_vgpr17
	s_mov_b64 s[40:41], s[26:27]
	s_branch .LBB939_75
.LBB939_78:
	s_or_b64 exec, exec, s[8:9]
	v_cmp_gt_i64_e32 vcc, s[26:27], v[18:19]
	s_orn2_b64 s[38:39], vcc, exec
.LBB939_79:
	s_or_b64 exec, exec, s[10:11]
.LBB939_80:
	s_and_b64 s[10:11], s[38:39], exec
.LBB939_81:
	s_or_b64 exec, exec, s[36:37]
	v_cmp_gt_u32_e32 vcc, s48, v25
	s_and_saveexec_b64 s[36:37], vcc
	s_cbranch_execz .LBB939_92
; %bb.82:
	s_and_b64 vcc, exec, s[4:5]
	s_mov_b64 s[38:39], 0
	s_cbranch_vccnz .LBB939_91
; %bb.83:
	v_mul_lo_u32 v16, v3, s26
	v_mul_lo_u32 v17, v2, s27
	v_mad_u64_u32 v[12:13], s[6:7], v2, s26, 0
	v_add3_u32 v13, v13, v17, v16
	v_mul_lo_u32 v16, v5, s26
	v_mul_lo_u32 v17, v4, s27
	v_mad_u64_u32 v[20:21], s[6:7], v4, s26, 0
	v_add3_u32 v21, v21, v17, v16
	v_lshlrev_b64 v[16:17], 2, v[12:13]
	v_mov_b32_e32 v12, s17
	v_add_co_u32_e32 v18, vcc, s16, v16
	v_addc_co_u32_e64 v19, s[6:7], v12, v17, vcc
	v_lshlrev_b64 v[12:13], 2, v[20:21]
	v_mov_b32_e32 v16, s17
	v_add_co_u32_e64 v20, s[6:7], s16, v12
	v_addc_co_u32_e64 v21, s[8:9], v16, v13, s[6:7]
	global_load_dword v12, v[18:19], off
	global_load_dword v16, v[20:21], off
	s_mov_b64 s[38:39], -1
	s_waitcnt vmcnt(0)
	v_cmp_eq_f32_e64 s[8:9], v12, v16
	s_and_saveexec_b64 s[14:15], s[8:9]
	s_cbranch_execz .LBB939_90
; %bb.84:
	v_mov_b32_e32 v12, s17
	v_addc_co_u32_e64 v13, s[6:7], v13, v12, s[6:7]
	v_add_co_u32_e64 v12, s[6:7], 4, v20
	v_mov_b32_e32 v16, s17
	v_addc_co_u32_e64 v13, s[6:7], 0, v13, s[6:7]
	v_addc_co_u32_e32 v17, vcc, v17, v16, vcc
	v_add_co_u32_e32 v16, vcc, 4, v18
	s_add_u32 s6, s26, -1
	v_addc_co_u32_e32 v17, vcc, 0, v17, vcc
	s_addc_u32 s7, s27, -1
	s_mov_b64 s[8:9], 0
	s_mov_b64 s[40:41], 0
                                        ; implicit-def: $sgpr38_sgpr39
	s_branch .LBB939_87
.LBB939_85:                             ;   in Loop: Header=BB939_87 Depth=1
	global_load_dword v18, v[16:17], off
	global_load_dword v19, v[12:13], off
	v_add_co_u32_e32 v12, vcc, 4, v12
	v_addc_co_u32_e32 v13, vcc, 0, v13, vcc
	v_add_co_u32_e32 v16, vcc, 4, v16
	v_addc_co_u32_e32 v17, vcc, 0, v17, vcc
	s_add_u32 s40, s40, 1
	s_addc_u32 s41, s41, 0
	s_andn2_b64 s[38:39], s[38:39], exec
	s_waitcnt vmcnt(0)
	v_cmp_neq_f32_e32 vcc, v18, v19
	s_and_b64 s[42:43], vcc, exec
	s_or_b64 s[38:39], s[38:39], s[42:43]
.LBB939_86:                             ;   in Loop: Header=BB939_87 Depth=1
	s_and_b64 s[42:43], exec, s[38:39]
	s_or_b64 s[8:9], s[42:43], s[8:9]
	v_pk_mov_b32 v[18:19], s[40:41], s[40:41] op_sel:[0,1]
	s_andn2_b64 exec, exec, s[8:9]
	s_cbranch_execz .LBB939_89
.LBB939_87:                             ; =>This Inner Loop Header: Depth=1
	s_or_b64 s[38:39], s[38:39], exec
	s_cmp_eq_u64 s[6:7], s[40:41]
	s_cbranch_scc0 .LBB939_85
; %bb.88:                               ;   in Loop: Header=BB939_87 Depth=1
                                        ; implicit-def: $vgpr12_vgpr13
                                        ; implicit-def: $vgpr16_vgpr17
	s_mov_b64 s[40:41], s[26:27]
	s_branch .LBB939_86
.LBB939_89:
	s_or_b64 exec, exec, s[8:9]
	v_cmp_gt_i64_e32 vcc, s[26:27], v[18:19]
	s_orn2_b64 s[38:39], vcc, exec
.LBB939_90:
	s_or_b64 exec, exec, s[14:15]
.LBB939_91:
	s_and_b64 s[14:15], s[38:39], exec
.LBB939_92:
	s_or_b64 exec, exec, s[36:37]
	v_cmp_gt_u32_e32 vcc, s48, v22
	s_mov_b64 s[36:37], 0
	s_mov_b64 s[38:39], 0
	s_and_saveexec_b64 s[40:41], vcc
	s_cbranch_execz .LBB939_103
; %bb.93:
	s_and_b64 vcc, exec, s[4:5]
	s_mov_b64 s[42:43], 0
	s_cbranch_vccnz .LBB939_102
; %bb.94:
	v_mul_lo_u32 v16, v9, s26
	v_mul_lo_u32 v17, v8, s27
	v_mad_u64_u32 v[12:13], s[6:7], v8, s26, 0
	v_add3_u32 v13, v13, v17, v16
	v_mul_lo_u32 v16, v3, s26
	v_mul_lo_u32 v17, v2, s27
	v_mad_u64_u32 v[20:21], s[6:7], v2, s26, 0
	v_add3_u32 v21, v21, v17, v16
	v_lshlrev_b64 v[16:17], 2, v[12:13]
	v_mov_b32_e32 v12, s17
	v_add_co_u32_e32 v18, vcc, s16, v16
	v_addc_co_u32_e64 v19, s[6:7], v12, v17, vcc
	v_lshlrev_b64 v[12:13], 2, v[20:21]
	v_mov_b32_e32 v16, s17
	v_add_co_u32_e64 v20, s[6:7], s16, v12
	v_addc_co_u32_e64 v21, s[8:9], v16, v13, s[6:7]
	global_load_dword v12, v[18:19], off
	global_load_dword v16, v[20:21], off
	s_mov_b64 s[42:43], -1
	s_waitcnt vmcnt(0)
	v_cmp_eq_f32_e64 s[8:9], v12, v16
	s_and_saveexec_b64 s[38:39], s[8:9]
	s_cbranch_execz .LBB939_101
; %bb.95:
	v_mov_b32_e32 v12, s17
	v_addc_co_u32_e64 v13, s[6:7], v13, v12, s[6:7]
	v_add_co_u32_e64 v12, s[6:7], 4, v20
	v_mov_b32_e32 v16, s17
	v_addc_co_u32_e64 v13, s[6:7], 0, v13, s[6:7]
	v_addc_co_u32_e32 v17, vcc, v17, v16, vcc
	v_add_co_u32_e32 v16, vcc, 4, v18
	s_add_u32 s6, s26, -1
	v_addc_co_u32_e32 v17, vcc, 0, v17, vcc
	s_addc_u32 s7, s27, -1
	s_mov_b64 s[8:9], 0
	s_mov_b64 s[44:45], 0
                                        ; implicit-def: $sgpr42_sgpr43
	s_branch .LBB939_98
.LBB939_96:                             ;   in Loop: Header=BB939_98 Depth=1
	global_load_dword v18, v[16:17], off
	global_load_dword v19, v[12:13], off
	v_add_co_u32_e32 v12, vcc, 4, v12
	v_addc_co_u32_e32 v13, vcc, 0, v13, vcc
	v_add_co_u32_e32 v16, vcc, 4, v16
	v_addc_co_u32_e32 v17, vcc, 0, v17, vcc
	s_add_u32 s44, s44, 1
	s_addc_u32 s45, s45, 0
	s_andn2_b64 s[42:43], s[42:43], exec
	s_waitcnt vmcnt(0)
	v_cmp_neq_f32_e32 vcc, v18, v19
	s_and_b64 s[46:47], vcc, exec
	s_or_b64 s[42:43], s[42:43], s[46:47]
.LBB939_97:                             ;   in Loop: Header=BB939_98 Depth=1
	s_and_b64 s[46:47], exec, s[42:43]
	s_or_b64 s[8:9], s[46:47], s[8:9]
	v_pk_mov_b32 v[18:19], s[44:45], s[44:45] op_sel:[0,1]
	s_andn2_b64 exec, exec, s[8:9]
	s_cbranch_execz .LBB939_100
.LBB939_98:                             ; =>This Inner Loop Header: Depth=1
	s_or_b64 s[42:43], s[42:43], exec
	s_cmp_eq_u64 s[6:7], s[44:45]
	s_cbranch_scc0 .LBB939_96
; %bb.99:                               ;   in Loop: Header=BB939_98 Depth=1
                                        ; implicit-def: $vgpr12_vgpr13
                                        ; implicit-def: $vgpr16_vgpr17
	s_mov_b64 s[44:45], s[26:27]
	s_branch .LBB939_97
.LBB939_100:
	s_or_b64 exec, exec, s[8:9]
	v_cmp_gt_i64_e32 vcc, s[26:27], v[18:19]
	s_orn2_b64 s[42:43], vcc, exec
.LBB939_101:
	s_or_b64 exec, exec, s[38:39]
.LBB939_102:
	s_and_b64 s[38:39], s[42:43], exec
.LBB939_103:
	s_or_b64 exec, exec, s[40:41]
	v_cmp_gt_u32_e32 vcc, s48, v24
	s_and_saveexec_b64 s[40:41], vcc
	s_cbranch_execz .LBB939_114
; %bb.104:
	s_and_b64 vcc, exec, s[4:5]
	s_mov_b64 s[42:43], 0
	s_cbranch_vccnz .LBB939_113
; %bb.105:
	v_mul_lo_u32 v16, v7, s26
	v_mul_lo_u32 v17, v6, s27
	v_mad_u64_u32 v[12:13], s[6:7], v6, s26, 0
	v_add3_u32 v13, v13, v17, v16
	v_mul_lo_u32 v16, v9, s26
	v_mul_lo_u32 v17, v8, s27
	v_mad_u64_u32 v[20:21], s[6:7], v8, s26, 0
	v_add3_u32 v21, v21, v17, v16
	v_lshlrev_b64 v[16:17], 2, v[12:13]
	v_mov_b32_e32 v12, s17
	v_add_co_u32_e32 v18, vcc, s16, v16
	v_addc_co_u32_e64 v19, s[6:7], v12, v17, vcc
	v_lshlrev_b64 v[12:13], 2, v[20:21]
	v_mov_b32_e32 v16, s17
	v_add_co_u32_e64 v20, s[6:7], s16, v12
	v_addc_co_u32_e64 v21, s[8:9], v16, v13, s[6:7]
	global_load_dword v12, v[18:19], off
	global_load_dword v16, v[20:21], off
	s_mov_b64 s[42:43], -1
	s_waitcnt vmcnt(0)
	v_cmp_eq_f32_e64 s[8:9], v12, v16
	s_and_saveexec_b64 s[36:37], s[8:9]
	s_cbranch_execz .LBB939_112
; %bb.106:
	v_mov_b32_e32 v12, s17
	v_addc_co_u32_e64 v13, s[6:7], v13, v12, s[6:7]
	v_add_co_u32_e64 v12, s[6:7], 4, v20
	v_mov_b32_e32 v16, s17
	v_addc_co_u32_e64 v13, s[6:7], 0, v13, s[6:7]
	v_addc_co_u32_e32 v17, vcc, v17, v16, vcc
	v_add_co_u32_e32 v16, vcc, 4, v18
	s_add_u32 s6, s26, -1
	v_addc_co_u32_e32 v17, vcc, 0, v17, vcc
	s_addc_u32 s7, s27, -1
	s_mov_b64 s[8:9], 0
	s_mov_b64 s[44:45], 0
                                        ; implicit-def: $sgpr42_sgpr43
	s_branch .LBB939_109
.LBB939_107:                            ;   in Loop: Header=BB939_109 Depth=1
	global_load_dword v18, v[16:17], off
	global_load_dword v19, v[12:13], off
	v_add_co_u32_e32 v12, vcc, 4, v12
	v_addc_co_u32_e32 v13, vcc, 0, v13, vcc
	v_add_co_u32_e32 v16, vcc, 4, v16
	v_addc_co_u32_e32 v17, vcc, 0, v17, vcc
	s_add_u32 s44, s44, 1
	s_addc_u32 s45, s45, 0
	s_andn2_b64 s[42:43], s[42:43], exec
	s_waitcnt vmcnt(0)
	v_cmp_neq_f32_e32 vcc, v18, v19
	s_and_b64 s[46:47], vcc, exec
	s_or_b64 s[42:43], s[42:43], s[46:47]
.LBB939_108:                            ;   in Loop: Header=BB939_109 Depth=1
	s_and_b64 s[46:47], exec, s[42:43]
	s_or_b64 s[8:9], s[46:47], s[8:9]
	v_pk_mov_b32 v[18:19], s[44:45], s[44:45] op_sel:[0,1]
	s_andn2_b64 exec, exec, s[8:9]
	s_cbranch_execz .LBB939_111
.LBB939_109:                            ; =>This Inner Loop Header: Depth=1
	s_or_b64 s[42:43], s[42:43], exec
	s_cmp_eq_u64 s[6:7], s[44:45]
	s_cbranch_scc0 .LBB939_107
; %bb.110:                              ;   in Loop: Header=BB939_109 Depth=1
                                        ; implicit-def: $vgpr12_vgpr13
                                        ; implicit-def: $vgpr16_vgpr17
	s_mov_b64 s[44:45], s[26:27]
	s_branch .LBB939_108
.LBB939_111:
	s_or_b64 exec, exec, s[8:9]
	v_cmp_gt_i64_e32 vcc, s[26:27], v[18:19]
	s_orn2_b64 s[42:43], vcc, exec
.LBB939_112:
	s_or_b64 exec, exec, s[36:37]
.LBB939_113:
	s_and_b64 s[36:37], s[42:43], exec
.LBB939_114:
	s_or_b64 exec, exec, s[40:41]
	s_waitcnt lgkmcnt(0)
	s_barrier
	s_and_saveexec_b64 s[6:7], s[2:3]
	s_cbranch_execz .LBB939_116
; %bb.115:
	v_add_u32_e32 v12, -8, v27
	s_waitcnt vmcnt(0)
	ds_read_b64 v[14:15], v12
.LBB939_116:
	s_or_b64 exec, exec, s[6:7]
	v_cndmask_b32_e64 v13, 0, 1, s[14:15]
	v_cndmask_b32_e64 v12, 0, 1, s[38:39]
	;; [unrolled: 1-line block ×3, first 2 shown]
	v_lshlrev_b16_e32 v13, 8, v13
	v_cmp_gt_u32_e32 vcc, s48, v1
	v_lshlrev_b16_e32 v20, 8, v16
	v_or_b32_sdwa v21, v12, v13 dst_sel:WORD_1 dst_unused:UNUSED_PAD src0_sel:DWORD src1_sel:DWORD
	s_mov_b64 s[36:37], 0
	s_and_saveexec_b64 s[8:9], vcc
	s_cbranch_execz .LBB939_127
; %bb.117:
	s_and_b64 vcc, exec, s[4:5]
	s_cbranch_vccnz .LBB939_126
; %bb.118:
	s_waitcnt vmcnt(0) lgkmcnt(0)
	v_mul_lo_u32 v15, v15, s26
	v_mul_lo_u32 v16, v14, s27
	v_mad_u64_u32 v[12:13], s[4:5], v14, s26, 0
	v_add3_u32 v13, v13, v16, v15
	v_mul_lo_u32 v14, v7, s26
	v_mul_lo_u32 v15, v6, s27
	v_mad_u64_u32 v[18:19], s[4:5], v6, s26, 0
	v_add3_u32 v19, v19, v15, v14
	v_lshlrev_b64 v[14:15], 2, v[12:13]
	v_mov_b32_e32 v12, s17
	v_add_co_u32_e32 v16, vcc, s16, v14
	v_addc_co_u32_e64 v17, s[4:5], v12, v15, vcc
	v_lshlrev_b64 v[12:13], 2, v[18:19]
	v_mov_b32_e32 v14, s17
	v_add_co_u32_e64 v18, s[4:5], s16, v12
	v_addc_co_u32_e64 v19, s[6:7], v14, v13, s[4:5]
	global_load_dword v12, v[16:17], off
	global_load_dword v14, v[18:19], off
	s_mov_b64 s[36:37], -1
	s_waitcnt vmcnt(0)
	v_cmp_eq_f32_e64 s[6:7], v12, v14
	s_and_saveexec_b64 s[14:15], s[6:7]
	s_cbranch_execz .LBB939_125
; %bb.119:
	v_mov_b32_e32 v12, s17
	v_addc_co_u32_e64 v13, s[4:5], v13, v12, s[4:5]
	v_add_co_u32_e64 v12, s[4:5], 4, v18
	v_mov_b32_e32 v14, s17
	v_addc_co_u32_e64 v13, s[4:5], 0, v13, s[4:5]
	v_addc_co_u32_e32 v15, vcc, v15, v14, vcc
	v_add_co_u32_e32 v14, vcc, 4, v16
	s_add_u32 s4, s26, -1
	v_addc_co_u32_e32 v15, vcc, 0, v15, vcc
	s_addc_u32 s5, s27, -1
	s_mov_b64 s[6:7], 0
	s_mov_b64 s[38:39], 0
                                        ; implicit-def: $sgpr36_sgpr37
	s_branch .LBB939_122
.LBB939_120:                            ;   in Loop: Header=BB939_122 Depth=1
	global_load_dword v16, v[14:15], off
	global_load_dword v17, v[12:13], off
	v_add_co_u32_e32 v12, vcc, 4, v12
	v_addc_co_u32_e32 v13, vcc, 0, v13, vcc
	v_add_co_u32_e32 v14, vcc, 4, v14
	v_addc_co_u32_e32 v15, vcc, 0, v15, vcc
	s_add_u32 s38, s38, 1
	s_addc_u32 s39, s39, 0
	s_andn2_b64 s[36:37], s[36:37], exec
	s_waitcnt vmcnt(0)
	v_cmp_neq_f32_e32 vcc, v16, v17
	s_and_b64 s[40:41], vcc, exec
	s_or_b64 s[36:37], s[36:37], s[40:41]
.LBB939_121:                            ;   in Loop: Header=BB939_122 Depth=1
	s_and_b64 s[40:41], exec, s[36:37]
	s_or_b64 s[6:7], s[40:41], s[6:7]
	v_pk_mov_b32 v[16:17], s[38:39], s[38:39] op_sel:[0,1]
	s_andn2_b64 exec, exec, s[6:7]
	s_cbranch_execz .LBB939_124
.LBB939_122:                            ; =>This Inner Loop Header: Depth=1
	s_or_b64 s[36:37], s[36:37], exec
	s_cmp_eq_u64 s[4:5], s[38:39]
	s_cbranch_scc0 .LBB939_120
; %bb.123:                              ;   in Loop: Header=BB939_122 Depth=1
                                        ; implicit-def: $vgpr12_vgpr13
                                        ; implicit-def: $vgpr14_vgpr15
	s_mov_b64 s[38:39], s[26:27]
	s_branch .LBB939_121
.LBB939_124:
	s_or_b64 exec, exec, s[6:7]
	v_cmp_gt_i64_e32 vcc, s[26:27], v[16:17]
	s_orn2_b64 s[36:37], vcc, exec
.LBB939_125:
	s_or_b64 exec, exec, s[14:15]
.LBB939_126:
	s_and_b64 s[36:37], s[36:37], exec
.LBB939_127:
	s_or_b64 exec, exec, s[8:9]
	v_cndmask_b32_e64 v13, 0, 1, s[10:11]
	v_or_b32_e32 v16, v20, v21
.LBB939_128:
	s_mov_b64 s[14:15], -1
	s_cbranch_execnz .LBB939_237
.LBB939_129:
	v_lshlrev_b32_e32 v12, 5, v0
	v_sub_u32_e32 v26, v26, v12
	s_mov_b64 s[36:37], 0
	v_cmp_gt_i64_e64 s[10:11], s[26:27], 0
	s_and_b64 vcc, exec, s[30:31]
	ds_write_b64 v26, v[10:11]
	s_cbranch_vccz .LBB939_137
; %bb.130:
	s_waitcnt vmcnt(0) lgkmcnt(1)
	v_mul_lo_u32 v14, v5, s26
	v_mul_lo_u32 v15, v4, s27
	v_mad_u64_u32 v[12:13], s[4:5], v4, s26, 0
	v_add3_u32 v13, v13, v15, v14
	v_cndmask_b32_e64 v14, 0, 1, s[10:11]
	v_cmp_ne_u32_e64 s[4:5], 1, v14
	s_andn2_b64 vcc, exec, s[10:11]
	v_lshlrev_b64 v[12:13], 2, v[12:13]
	s_cbranch_vccnz .LBB939_140
; %bb.131:
	v_mul_lo_u32 v16, v11, s26
	v_mul_lo_u32 v17, v10, s27
	v_mad_u64_u32 v[14:15], s[6:7], v10, s26, 0
	v_add3_u32 v15, v15, v17, v16
	v_mov_b32_e32 v17, s17
	v_add_co_u32_e32 v16, vcc, s16, v12
	v_addc_co_u32_e64 v17, s[6:7], v17, v13, vcc
	v_lshlrev_b64 v[14:15], 2, v[14:15]
	v_mov_b32_e32 v19, s17
	v_add_co_u32_e64 v18, s[6:7], s16, v14
	v_addc_co_u32_e64 v19, s[8:9], v19, v15, s[6:7]
	global_load_dword v14, v[16:17], off
	global_load_dword v20, v[18:19], off
	s_mov_b64 s[36:37], -1
	s_waitcnt vmcnt(0)
	v_cmp_eq_f32_e64 s[8:9], v14, v20
	s_and_saveexec_b64 s[38:39], s[8:9]
	s_cbranch_execz .LBB939_139
; %bb.132:
	v_mov_b32_e32 v14, s17
	v_addc_co_u32_e64 v15, s[6:7], v15, v14, s[6:7]
	v_add_co_u32_e64 v14, s[6:7], 4, v18
	v_mov_b32_e32 v17, s17
	v_addc_co_u32_e64 v15, s[6:7], 0, v15, s[6:7]
	v_addc_co_u32_e32 v17, vcc, v13, v17, vcc
	v_add_co_u32_e32 v16, vcc, 4, v16
	s_add_u32 s6, s26, -1
	v_addc_co_u32_e32 v17, vcc, 0, v17, vcc
	s_addc_u32 s7, s27, -1
	s_mov_b64 s[8:9], 0
	s_mov_b64 s[40:41], 0
                                        ; implicit-def: $sgpr36_sgpr37
	s_branch .LBB939_135
.LBB939_133:                            ;   in Loop: Header=BB939_135 Depth=1
	global_load_dword v18, v[16:17], off
	global_load_dword v19, v[14:15], off
	v_add_co_u32_e32 v14, vcc, 4, v14
	v_addc_co_u32_e32 v15, vcc, 0, v15, vcc
	v_add_co_u32_e32 v16, vcc, 4, v16
	v_addc_co_u32_e32 v17, vcc, 0, v17, vcc
	s_add_u32 s40, s40, 1
	s_addc_u32 s41, s41, 0
	s_andn2_b64 s[36:37], s[36:37], exec
	s_waitcnt vmcnt(0)
	v_cmp_neq_f32_e32 vcc, v18, v19
	s_and_b64 s[42:43], vcc, exec
	s_or_b64 s[36:37], s[36:37], s[42:43]
.LBB939_134:                            ;   in Loop: Header=BB939_135 Depth=1
	s_and_b64 s[42:43], exec, s[36:37]
	s_or_b64 s[8:9], s[42:43], s[8:9]
	v_pk_mov_b32 v[18:19], s[40:41], s[40:41] op_sel:[0,1]
	s_andn2_b64 exec, exec, s[8:9]
	s_cbranch_execz .LBB939_138
.LBB939_135:                            ; =>This Inner Loop Header: Depth=1
	s_or_b64 s[36:37], s[36:37], exec
	s_cmp_eq_u64 s[6:7], s[40:41]
	s_cbranch_scc0 .LBB939_133
; %bb.136:                              ;   in Loop: Header=BB939_135 Depth=1
                                        ; implicit-def: $vgpr14_vgpr15
                                        ; implicit-def: $vgpr16_vgpr17
	s_mov_b64 s[40:41], s[26:27]
	s_branch .LBB939_134
.LBB939_137:
                                        ; implicit-def: $sgpr36_sgpr37
                                        ; implicit-def: $vgpr13
                                        ; implicit-def: $vgpr16
	s_cbranch_execnz .LBB939_179
	s_branch .LBB939_237
.LBB939_138:
	s_or_b64 exec, exec, s[8:9]
	v_cmp_gt_i64_e32 vcc, s[26:27], v[18:19]
	s_orn2_b64 s[36:37], vcc, exec
.LBB939_139:
	s_or_b64 exec, exec, s[38:39]
.LBB939_140:
	v_mul_lo_u32 v16, v3, s26
	v_mul_lo_u32 v17, v2, s27
	v_mad_u64_u32 v[14:15], s[6:7], v2, s26, 0
	v_add3_u32 v15, v15, v17, v16
	s_mov_b64 s[38:39], 0
	s_and_b64 vcc, exec, s[4:5]
	v_lshlrev_b64 v[14:15], 2, v[14:15]
	s_mov_b64 s[40:41], 0
	s_cbranch_vccnz .LBB939_149
; %bb.141:
	v_mov_b32_e32 v17, s17
	v_add_co_u32_e32 v16, vcc, s16, v14
	v_addc_co_u32_e64 v17, s[6:7], v17, v15, vcc
	v_mov_b32_e32 v19, s17
	v_add_co_u32_e64 v18, s[6:7], s16, v12
	v_addc_co_u32_e64 v19, s[8:9], v19, v13, s[6:7]
	global_load_dword v12, v[16:17], off
	global_load_dword v20, v[18:19], off
	s_mov_b64 s[40:41], -1
	s_waitcnt vmcnt(0)
	v_cmp_eq_f32_e64 s[8:9], v12, v20
	s_and_saveexec_b64 s[42:43], s[8:9]
	s_cbranch_execz .LBB939_148
; %bb.142:
	v_mov_b32_e32 v12, s17
	v_addc_co_u32_e64 v13, s[6:7], v13, v12, s[6:7]
	v_add_co_u32_e64 v12, s[6:7], 4, v18
	v_mov_b32_e32 v17, s17
	v_addc_co_u32_e64 v13, s[6:7], 0, v13, s[6:7]
	v_addc_co_u32_e32 v17, vcc, v15, v17, vcc
	v_add_co_u32_e32 v16, vcc, 4, v16
	s_add_u32 s6, s26, -1
	v_addc_co_u32_e32 v17, vcc, 0, v17, vcc
	s_addc_u32 s7, s27, -1
	s_mov_b64 s[8:9], 0
	s_mov_b64 s[44:45], 0
                                        ; implicit-def: $sgpr40_sgpr41
	s_branch .LBB939_145
.LBB939_143:                            ;   in Loop: Header=BB939_145 Depth=1
	global_load_dword v18, v[16:17], off
	global_load_dword v19, v[12:13], off
	v_add_co_u32_e32 v12, vcc, 4, v12
	v_addc_co_u32_e32 v13, vcc, 0, v13, vcc
	v_add_co_u32_e32 v16, vcc, 4, v16
	v_addc_co_u32_e32 v17, vcc, 0, v17, vcc
	s_add_u32 s44, s44, 1
	s_addc_u32 s45, s45, 0
	s_andn2_b64 s[40:41], s[40:41], exec
	s_waitcnt vmcnt(0)
	v_cmp_neq_f32_e32 vcc, v18, v19
	s_and_b64 s[46:47], vcc, exec
	s_or_b64 s[40:41], s[40:41], s[46:47]
.LBB939_144:                            ;   in Loop: Header=BB939_145 Depth=1
	s_and_b64 s[46:47], exec, s[40:41]
	s_or_b64 s[8:9], s[46:47], s[8:9]
	v_pk_mov_b32 v[18:19], s[44:45], s[44:45] op_sel:[0,1]
	s_andn2_b64 exec, exec, s[8:9]
	s_cbranch_execz .LBB939_147
.LBB939_145:                            ; =>This Inner Loop Header: Depth=1
	s_or_b64 s[40:41], s[40:41], exec
	s_cmp_eq_u64 s[6:7], s[44:45]
	s_cbranch_scc0 .LBB939_143
; %bb.146:                              ;   in Loop: Header=BB939_145 Depth=1
                                        ; implicit-def: $vgpr12_vgpr13
                                        ; implicit-def: $vgpr16_vgpr17
	s_mov_b64 s[44:45], s[26:27]
	s_branch .LBB939_144
.LBB939_147:
	s_or_b64 exec, exec, s[8:9]
	v_cmp_gt_i64_e32 vcc, s[26:27], v[18:19]
	s_orn2_b64 s[40:41], vcc, exec
.LBB939_148:
	s_or_b64 exec, exec, s[42:43]
.LBB939_149:
	v_mul_lo_u32 v16, v9, s26
	v_mul_lo_u32 v17, v8, s27
	v_mad_u64_u32 v[12:13], s[6:7], v8, s26, 0
	v_add3_u32 v13, v13, v17, v16
	s_and_b64 vcc, exec, s[4:5]
	v_lshlrev_b64 v[12:13], 2, v[12:13]
	s_cbranch_vccnz .LBB939_158
; %bb.150:
	v_mov_b32_e32 v17, s17
	v_add_co_u32_e32 v16, vcc, s16, v12
	v_addc_co_u32_e64 v17, s[6:7], v17, v13, vcc
	v_mov_b32_e32 v19, s17
	v_add_co_u32_e64 v18, s[6:7], s16, v14
	v_addc_co_u32_e64 v19, s[8:9], v19, v15, s[6:7]
	global_load_dword v14, v[16:17], off
	global_load_dword v20, v[18:19], off
	s_mov_b64 s[38:39], -1
	s_waitcnt vmcnt(0)
	v_cmp_eq_f32_e64 s[8:9], v14, v20
	s_and_saveexec_b64 s[42:43], s[8:9]
	s_cbranch_execz .LBB939_157
; %bb.151:
	v_mov_b32_e32 v14, s17
	v_addc_co_u32_e64 v15, s[6:7], v15, v14, s[6:7]
	v_add_co_u32_e64 v14, s[6:7], 4, v18
	v_mov_b32_e32 v17, s17
	v_addc_co_u32_e64 v15, s[6:7], 0, v15, s[6:7]
	v_addc_co_u32_e32 v17, vcc, v13, v17, vcc
	v_add_co_u32_e32 v16, vcc, 4, v16
	s_add_u32 s6, s26, -1
	v_addc_co_u32_e32 v17, vcc, 0, v17, vcc
	s_addc_u32 s7, s27, -1
	s_mov_b64 s[8:9], 0
	s_mov_b64 s[44:45], 0
                                        ; implicit-def: $sgpr38_sgpr39
	s_branch .LBB939_154
.LBB939_152:                            ;   in Loop: Header=BB939_154 Depth=1
	global_load_dword v18, v[16:17], off
	global_load_dword v19, v[14:15], off
	v_add_co_u32_e32 v14, vcc, 4, v14
	v_addc_co_u32_e32 v15, vcc, 0, v15, vcc
	v_add_co_u32_e32 v16, vcc, 4, v16
	v_addc_co_u32_e32 v17, vcc, 0, v17, vcc
	s_add_u32 s44, s44, 1
	s_addc_u32 s45, s45, 0
	s_andn2_b64 s[38:39], s[38:39], exec
	s_waitcnt vmcnt(0)
	v_cmp_neq_f32_e32 vcc, v18, v19
	s_and_b64 s[46:47], vcc, exec
	s_or_b64 s[38:39], s[38:39], s[46:47]
.LBB939_153:                            ;   in Loop: Header=BB939_154 Depth=1
	s_and_b64 s[46:47], exec, s[38:39]
	s_or_b64 s[8:9], s[46:47], s[8:9]
	v_pk_mov_b32 v[18:19], s[44:45], s[44:45] op_sel:[0,1]
	s_andn2_b64 exec, exec, s[8:9]
	s_cbranch_execz .LBB939_156
.LBB939_154:                            ; =>This Inner Loop Header: Depth=1
	s_or_b64 s[38:39], s[38:39], exec
	s_cmp_eq_u64 s[6:7], s[44:45]
	s_cbranch_scc0 .LBB939_152
; %bb.155:                              ;   in Loop: Header=BB939_154 Depth=1
                                        ; implicit-def: $vgpr14_vgpr15
                                        ; implicit-def: $vgpr16_vgpr17
	s_mov_b64 s[44:45], s[26:27]
	s_branch .LBB939_153
.LBB939_156:
	s_or_b64 exec, exec, s[8:9]
	v_cmp_gt_i64_e32 vcc, s[26:27], v[18:19]
	s_orn2_b64 s[38:39], vcc, exec
.LBB939_157:
	s_or_b64 exec, exec, s[42:43]
.LBB939_158:
	v_mul_lo_u32 v16, v7, s26
	v_mul_lo_u32 v17, v6, s27
	v_mad_u64_u32 v[14:15], s[6:7], v6, s26, 0
	v_add3_u32 v15, v15, v17, v16
	s_and_b64 vcc, exec, s[4:5]
	s_mov_b64 s[44:45], 0
	s_cbranch_vccnz .LBB939_167
; %bb.159:
	v_lshlrev_b64 v[16:17], 2, v[14:15]
	v_mov_b32_e32 v19, s17
	v_add_co_u32_e32 v18, vcc, s16, v16
	v_addc_co_u32_e64 v19, s[6:7], v19, v17, vcc
	v_mov_b32_e32 v16, s17
	v_add_co_u32_e64 v20, s[6:7], s16, v12
	v_addc_co_u32_e64 v21, s[8:9], v16, v13, s[6:7]
	global_load_dword v12, v[18:19], off
	global_load_dword v16, v[20:21], off
	s_mov_b64 s[44:45], -1
	s_waitcnt vmcnt(0)
	v_cmp_eq_f32_e64 s[8:9], v12, v16
	s_and_saveexec_b64 s[42:43], s[8:9]
	s_cbranch_execz .LBB939_166
; %bb.160:
	v_mov_b32_e32 v12, s17
	v_addc_co_u32_e64 v13, s[6:7], v13, v12, s[6:7]
	v_add_co_u32_e64 v12, s[6:7], 4, v20
	v_mov_b32_e32 v16, s17
	v_addc_co_u32_e64 v13, s[6:7], 0, v13, s[6:7]
	v_addc_co_u32_e32 v17, vcc, v17, v16, vcc
	v_add_co_u32_e32 v16, vcc, 4, v18
	s_add_u32 s6, s26, -1
	v_addc_co_u32_e32 v17, vcc, 0, v17, vcc
	s_addc_u32 s7, s27, -1
	s_mov_b64 s[8:9], 0
	s_mov_b64 s[46:47], 0
                                        ; implicit-def: $sgpr44_sgpr45
	s_branch .LBB939_163
.LBB939_161:                            ;   in Loop: Header=BB939_163 Depth=1
	global_load_dword v18, v[16:17], off
	global_load_dword v19, v[12:13], off
	v_add_co_u32_e32 v12, vcc, 4, v12
	v_addc_co_u32_e32 v13, vcc, 0, v13, vcc
	v_add_co_u32_e32 v16, vcc, 4, v16
	v_addc_co_u32_e32 v17, vcc, 0, v17, vcc
	s_add_u32 s46, s46, 1
	s_addc_u32 s47, s47, 0
	s_andn2_b64 s[44:45], s[44:45], exec
	s_waitcnt vmcnt(0)
	v_cmp_neq_f32_e32 vcc, v18, v19
	s_and_b64 s[50:51], vcc, exec
	s_or_b64 s[44:45], s[44:45], s[50:51]
.LBB939_162:                            ;   in Loop: Header=BB939_163 Depth=1
	s_and_b64 s[50:51], exec, s[44:45]
	s_or_b64 s[8:9], s[50:51], s[8:9]
	v_pk_mov_b32 v[18:19], s[46:47], s[46:47] op_sel:[0,1]
	s_andn2_b64 exec, exec, s[8:9]
	s_cbranch_execz .LBB939_165
.LBB939_163:                            ; =>This Inner Loop Header: Depth=1
	s_or_b64 s[44:45], s[44:45], exec
	s_cmp_eq_u64 s[6:7], s[46:47]
	s_cbranch_scc0 .LBB939_161
; %bb.164:                              ;   in Loop: Header=BB939_163 Depth=1
                                        ; implicit-def: $vgpr12_vgpr13
                                        ; implicit-def: $vgpr16_vgpr17
	s_mov_b64 s[46:47], s[26:27]
	s_branch .LBB939_162
.LBB939_165:
	s_or_b64 exec, exec, s[8:9]
	v_cmp_gt_i64_e32 vcc, s[26:27], v[18:19]
	s_orn2_b64 s[44:45], vcc, exec
.LBB939_166:
	s_or_b64 exec, exec, s[42:43]
.LBB939_167:
	v_cndmask_b32_e64 v13, 0, 1, s[40:41]
	v_cndmask_b32_e64 v16, 0, 1, s[44:45]
	;; [unrolled: 1-line block ×3, first 2 shown]
	v_lshlrev_b16_e32 v16, 8, v16
	v_lshlrev_b16_e32 v13, 8, v13
	v_or_b32_e32 v16, 1, v16
	v_or_b32_sdwa v12, v12, v13 dst_sel:WORD_1 dst_unused:UNUSED_PAD src0_sel:DWORD src1_sel:DWORD
	v_or_b32_sdwa v12, v16, v12 dst_sel:DWORD dst_unused:UNUSED_PAD src0_sel:WORD_0 src1_sel:DWORD
	v_cndmask_b32_e64 v13, 0, 1, s[36:37]
	s_waitcnt lgkmcnt(0)
	s_barrier
	s_waitcnt lgkmcnt(0)
                                        ; implicit-def: $sgpr36_sgpr37
                                        ; implicit-def: $vgpr16
	s_and_saveexec_b64 s[6:7], s[2:3]
	s_xor_b64 s[8:9], exec, s[6:7]
	s_cbranch_execz .LBB939_178
; %bb.168:
	s_mov_b32 s42, 0x3020104
	s_and_b64 vcc, exec, s[4:5]
	s_mov_b64 s[38:39], 0
	s_cbranch_vccnz .LBB939_177
; %bb.169:
	v_add_u32_e32 v16, -8, v26
	ds_read_b64 v[16:17], v16
	v_mov_b32_e32 v19, s17
	v_lshlrev_b64 v[14:15], 2, v[14:15]
	s_mov_b64 s[38:39], -1
	s_waitcnt lgkmcnt(0)
	v_mul_lo_u32 v18, v17, s26
	v_mul_lo_u32 v20, v16, s27
	v_mad_u64_u32 v[16:17], s[4:5], v16, s26, 0
	v_add3_u32 v17, v17, v20, v18
	v_lshlrev_b64 v[16:17], 2, v[16:17]
	v_add_co_u32_e32 v18, vcc, s16, v16
	v_addc_co_u32_e64 v19, s[4:5], v19, v17, vcc
	v_mov_b32_e32 v16, s17
	v_add_co_u32_e64 v20, s[4:5], s16, v14
	v_addc_co_u32_e64 v21, s[6:7], v16, v15, s[4:5]
	global_load_dword v14, v[18:19], off
	global_load_dword v16, v[20:21], off
	s_waitcnt vmcnt(0)
	v_cmp_eq_f32_e64 s[6:7], v14, v16
	s_and_saveexec_b64 s[36:37], s[6:7]
	s_cbranch_execz .LBB939_176
; %bb.170:
	v_mov_b32_e32 v14, s17
	v_addc_co_u32_e64 v15, s[4:5], v15, v14, s[4:5]
	v_add_co_u32_e64 v14, s[4:5], 4, v20
	v_mov_b32_e32 v16, s17
	v_addc_co_u32_e64 v15, s[4:5], 0, v15, s[4:5]
	v_addc_co_u32_e32 v17, vcc, v17, v16, vcc
	v_add_co_u32_e32 v16, vcc, 4, v18
	s_add_u32 s4, s26, -1
	v_addc_co_u32_e32 v17, vcc, 0, v17, vcc
	s_addc_u32 s5, s27, -1
	s_mov_b64 s[6:7], 0
	s_mov_b64 s[40:41], 0
                                        ; implicit-def: $sgpr38_sgpr39
	s_branch .LBB939_173
.LBB939_171:                            ;   in Loop: Header=BB939_173 Depth=1
	global_load_dword v18, v[16:17], off
	global_load_dword v19, v[14:15], off
	v_add_co_u32_e32 v14, vcc, 4, v14
	v_addc_co_u32_e32 v15, vcc, 0, v15, vcc
	v_add_co_u32_e32 v16, vcc, 4, v16
	v_addc_co_u32_e32 v17, vcc, 0, v17, vcc
	s_add_u32 s40, s40, 1
	s_addc_u32 s41, s41, 0
	s_andn2_b64 s[38:39], s[38:39], exec
	s_waitcnt vmcnt(0)
	v_cmp_neq_f32_e32 vcc, v18, v19
	s_and_b64 s[44:45], vcc, exec
	s_or_b64 s[38:39], s[38:39], s[44:45]
.LBB939_172:                            ;   in Loop: Header=BB939_173 Depth=1
	s_and_b64 s[44:45], exec, s[38:39]
	s_or_b64 s[6:7], s[44:45], s[6:7]
	v_pk_mov_b32 v[18:19], s[40:41], s[40:41] op_sel:[0,1]
	s_andn2_b64 exec, exec, s[6:7]
	s_cbranch_execz .LBB939_175
.LBB939_173:                            ; =>This Inner Loop Header: Depth=1
	s_or_b64 s[38:39], s[38:39], exec
	s_cmp_eq_u64 s[4:5], s[40:41]
	s_cbranch_scc0 .LBB939_171
; %bb.174:                              ;   in Loop: Header=BB939_173 Depth=1
                                        ; implicit-def: $vgpr14_vgpr15
                                        ; implicit-def: $vgpr16_vgpr17
	s_mov_b64 s[40:41], s[26:27]
	s_branch .LBB939_172
.LBB939_175:
	s_or_b64 exec, exec, s[6:7]
	v_cmp_gt_i64_e32 vcc, s[26:27], v[18:19]
	s_orn2_b64 s[38:39], vcc, exec
.LBB939_176:
	s_or_b64 exec, exec, s[36:37]
.LBB939_177:
	v_perm_b32 v16, v12, v12, s42
	s_and_b64 s[36:37], s[38:39], exec
	s_or_b64 s[14:15], s[14:15], exec
.LBB939_178:
	s_or_b64 exec, exec, s[8:9]
	s_branch .LBB939_237
.LBB939_179:
	v_cmp_gt_u32_e32 vcc, s48, v23
	s_mov_b64 s[36:37], 0
	s_mov_b64 s[8:9], 0
	s_and_saveexec_b64 s[38:39], vcc
	s_cbranch_execz .LBB939_190
; %bb.180:
	s_andn2_b64 vcc, exec, s[10:11]
	s_mov_b64 s[40:41], 0
	s_cbranch_vccnz .LBB939_189
; %bb.181:
	s_waitcnt vmcnt(0) lgkmcnt(1)
	v_mul_lo_u32 v14, v5, s26
	v_mul_lo_u32 v15, v4, s27
	v_mad_u64_u32 v[12:13], s[4:5], v4, s26, 0
	v_add3_u32 v13, v13, v15, v14
	v_mul_lo_u32 v14, v11, s26
	v_mul_lo_u32 v15, v10, s27
	v_mad_u64_u32 v[18:19], s[4:5], v10, s26, 0
	v_add3_u32 v19, v19, v15, v14
	v_lshlrev_b64 v[14:15], 2, v[12:13]
	v_mov_b32_e32 v12, s17
	v_add_co_u32_e32 v16, vcc, s16, v14
	v_addc_co_u32_e64 v17, s[4:5], v12, v15, vcc
	v_lshlrev_b64 v[12:13], 2, v[18:19]
	v_mov_b32_e32 v14, s17
	v_add_co_u32_e64 v18, s[4:5], s16, v12
	v_addc_co_u32_e64 v19, s[6:7], v14, v13, s[4:5]
	global_load_dword v12, v[16:17], off
	global_load_dword v14, v[18:19], off
	s_mov_b64 s[40:41], -1
	s_waitcnt vmcnt(0)
	v_cmp_eq_f32_e64 s[6:7], v12, v14
	s_and_saveexec_b64 s[8:9], s[6:7]
	s_cbranch_execz .LBB939_188
; %bb.182:
	v_mov_b32_e32 v12, s17
	v_addc_co_u32_e64 v13, s[4:5], v13, v12, s[4:5]
	v_add_co_u32_e64 v12, s[4:5], 4, v18
	v_mov_b32_e32 v14, s17
	v_addc_co_u32_e64 v13, s[4:5], 0, v13, s[4:5]
	v_addc_co_u32_e32 v15, vcc, v15, v14, vcc
	v_add_co_u32_e32 v14, vcc, 4, v16
	s_add_u32 s4, s26, -1
	v_addc_co_u32_e32 v15, vcc, 0, v15, vcc
	s_addc_u32 s5, s27, -1
	s_mov_b64 s[6:7], 0
	s_mov_b64 s[42:43], 0
                                        ; implicit-def: $sgpr40_sgpr41
	s_branch .LBB939_185
.LBB939_183:                            ;   in Loop: Header=BB939_185 Depth=1
	global_load_dword v16, v[14:15], off
	global_load_dword v17, v[12:13], off
	v_add_co_u32_e32 v12, vcc, 4, v12
	v_addc_co_u32_e32 v13, vcc, 0, v13, vcc
	v_add_co_u32_e32 v14, vcc, 4, v14
	v_addc_co_u32_e32 v15, vcc, 0, v15, vcc
	s_add_u32 s42, s42, 1
	s_addc_u32 s43, s43, 0
	s_andn2_b64 s[40:41], s[40:41], exec
	s_waitcnt vmcnt(0)
	v_cmp_neq_f32_e32 vcc, v16, v17
	s_and_b64 s[44:45], vcc, exec
	s_or_b64 s[40:41], s[40:41], s[44:45]
.LBB939_184:                            ;   in Loop: Header=BB939_185 Depth=1
	s_and_b64 s[44:45], exec, s[40:41]
	s_or_b64 s[6:7], s[44:45], s[6:7]
	v_pk_mov_b32 v[16:17], s[42:43], s[42:43] op_sel:[0,1]
	s_andn2_b64 exec, exec, s[6:7]
	s_cbranch_execz .LBB939_187
.LBB939_185:                            ; =>This Inner Loop Header: Depth=1
	s_or_b64 s[40:41], s[40:41], exec
	s_cmp_eq_u64 s[4:5], s[42:43]
	s_cbranch_scc0 .LBB939_183
; %bb.186:                              ;   in Loop: Header=BB939_185 Depth=1
                                        ; implicit-def: $vgpr12_vgpr13
                                        ; implicit-def: $vgpr14_vgpr15
	s_mov_b64 s[42:43], s[26:27]
	s_branch .LBB939_184
.LBB939_187:
	s_or_b64 exec, exec, s[6:7]
	v_cmp_gt_i64_e32 vcc, s[26:27], v[16:17]
	s_orn2_b64 s[40:41], vcc, exec
.LBB939_188:
	s_or_b64 exec, exec, s[8:9]
.LBB939_189:
	s_and_b64 s[8:9], s[40:41], exec
.LBB939_190:
	s_or_b64 exec, exec, s[38:39]
	v_cmp_gt_u32_e32 vcc, s48, v25
	s_and_saveexec_b64 s[38:39], vcc
	s_cbranch_execz .LBB939_201
; %bb.191:
	s_andn2_b64 vcc, exec, s[10:11]
	s_mov_b64 s[40:41], 0
	s_cbranch_vccnz .LBB939_200
; %bb.192:
	s_waitcnt vmcnt(0) lgkmcnt(1)
	v_mul_lo_u32 v14, v3, s26
	v_mul_lo_u32 v15, v2, s27
	v_mad_u64_u32 v[12:13], s[4:5], v2, s26, 0
	v_add3_u32 v13, v13, v15, v14
	v_mul_lo_u32 v14, v5, s26
	v_mul_lo_u32 v15, v4, s27
	v_mad_u64_u32 v[18:19], s[4:5], v4, s26, 0
	v_add3_u32 v19, v19, v15, v14
	v_lshlrev_b64 v[14:15], 2, v[12:13]
	v_mov_b32_e32 v12, s17
	v_add_co_u32_e32 v16, vcc, s16, v14
	v_addc_co_u32_e64 v17, s[4:5], v12, v15, vcc
	v_lshlrev_b64 v[12:13], 2, v[18:19]
	v_mov_b32_e32 v14, s17
	v_add_co_u32_e64 v18, s[4:5], s16, v12
	v_addc_co_u32_e64 v19, s[6:7], v14, v13, s[4:5]
	global_load_dword v12, v[16:17], off
	global_load_dword v14, v[18:19], off
	s_mov_b64 s[40:41], -1
	s_waitcnt vmcnt(0)
	v_cmp_eq_f32_e64 s[6:7], v12, v14
	s_and_saveexec_b64 s[36:37], s[6:7]
	s_cbranch_execz .LBB939_199
; %bb.193:
	v_mov_b32_e32 v12, s17
	v_addc_co_u32_e64 v13, s[4:5], v13, v12, s[4:5]
	v_add_co_u32_e64 v12, s[4:5], 4, v18
	v_mov_b32_e32 v14, s17
	v_addc_co_u32_e64 v13, s[4:5], 0, v13, s[4:5]
	v_addc_co_u32_e32 v15, vcc, v15, v14, vcc
	v_add_co_u32_e32 v14, vcc, 4, v16
	s_add_u32 s4, s26, -1
	v_addc_co_u32_e32 v15, vcc, 0, v15, vcc
	s_addc_u32 s5, s27, -1
	s_mov_b64 s[6:7], 0
	s_mov_b64 s[42:43], 0
                                        ; implicit-def: $sgpr40_sgpr41
	s_branch .LBB939_196
.LBB939_194:                            ;   in Loop: Header=BB939_196 Depth=1
	global_load_dword v16, v[14:15], off
	global_load_dword v17, v[12:13], off
	v_add_co_u32_e32 v12, vcc, 4, v12
	v_addc_co_u32_e32 v13, vcc, 0, v13, vcc
	v_add_co_u32_e32 v14, vcc, 4, v14
	v_addc_co_u32_e32 v15, vcc, 0, v15, vcc
	s_add_u32 s42, s42, 1
	s_addc_u32 s43, s43, 0
	s_andn2_b64 s[40:41], s[40:41], exec
	s_waitcnt vmcnt(0)
	v_cmp_neq_f32_e32 vcc, v16, v17
	s_and_b64 s[44:45], vcc, exec
	s_or_b64 s[40:41], s[40:41], s[44:45]
.LBB939_195:                            ;   in Loop: Header=BB939_196 Depth=1
	s_and_b64 s[44:45], exec, s[40:41]
	s_or_b64 s[6:7], s[44:45], s[6:7]
	v_pk_mov_b32 v[16:17], s[42:43], s[42:43] op_sel:[0,1]
	s_andn2_b64 exec, exec, s[6:7]
	s_cbranch_execz .LBB939_198
.LBB939_196:                            ; =>This Inner Loop Header: Depth=1
	s_or_b64 s[40:41], s[40:41], exec
	s_cmp_eq_u64 s[4:5], s[42:43]
	s_cbranch_scc0 .LBB939_194
; %bb.197:                              ;   in Loop: Header=BB939_196 Depth=1
                                        ; implicit-def: $vgpr12_vgpr13
                                        ; implicit-def: $vgpr14_vgpr15
	s_mov_b64 s[42:43], s[26:27]
	s_branch .LBB939_195
.LBB939_198:
	s_or_b64 exec, exec, s[6:7]
	v_cmp_gt_i64_e32 vcc, s[26:27], v[16:17]
	s_orn2_b64 s[40:41], vcc, exec
.LBB939_199:
	s_or_b64 exec, exec, s[36:37]
.LBB939_200:
	s_and_b64 s[36:37], s[40:41], exec
.LBB939_201:
	s_or_b64 exec, exec, s[38:39]
	v_cmp_gt_u32_e32 vcc, s48, v22
	s_mov_b64 s[38:39], 0
	s_mov_b64 s[40:41], 0
	s_and_saveexec_b64 s[42:43], vcc
	s_cbranch_execz .LBB939_212
; %bb.202:
	s_andn2_b64 vcc, exec, s[10:11]
	s_mov_b64 s[44:45], 0
	s_cbranch_vccnz .LBB939_211
; %bb.203:
	s_waitcnt vmcnt(0) lgkmcnt(1)
	v_mul_lo_u32 v14, v9, s26
	v_mul_lo_u32 v15, v8, s27
	v_mad_u64_u32 v[12:13], s[4:5], v8, s26, 0
	v_add3_u32 v13, v13, v15, v14
	v_mul_lo_u32 v14, v3, s26
	v_mul_lo_u32 v15, v2, s27
	v_mad_u64_u32 v[18:19], s[4:5], v2, s26, 0
	v_add3_u32 v19, v19, v15, v14
	v_lshlrev_b64 v[14:15], 2, v[12:13]
	v_mov_b32_e32 v12, s17
	v_add_co_u32_e32 v16, vcc, s16, v14
	v_addc_co_u32_e64 v17, s[4:5], v12, v15, vcc
	v_lshlrev_b64 v[12:13], 2, v[18:19]
	v_mov_b32_e32 v14, s17
	v_add_co_u32_e64 v18, s[4:5], s16, v12
	v_addc_co_u32_e64 v19, s[6:7], v14, v13, s[4:5]
	global_load_dword v12, v[16:17], off
	global_load_dword v14, v[18:19], off
	s_mov_b64 s[44:45], -1
	s_waitcnt vmcnt(0)
	v_cmp_eq_f32_e64 s[6:7], v12, v14
	s_and_saveexec_b64 s[40:41], s[6:7]
	s_cbranch_execz .LBB939_210
; %bb.204:
	v_mov_b32_e32 v12, s17
	v_addc_co_u32_e64 v13, s[4:5], v13, v12, s[4:5]
	v_add_co_u32_e64 v12, s[4:5], 4, v18
	v_mov_b32_e32 v14, s17
	v_addc_co_u32_e64 v13, s[4:5], 0, v13, s[4:5]
	v_addc_co_u32_e32 v15, vcc, v15, v14, vcc
	v_add_co_u32_e32 v14, vcc, 4, v16
	s_add_u32 s4, s26, -1
	v_addc_co_u32_e32 v15, vcc, 0, v15, vcc
	s_addc_u32 s5, s27, -1
	s_mov_b64 s[6:7], 0
	s_mov_b64 s[46:47], 0
                                        ; implicit-def: $sgpr44_sgpr45
	s_branch .LBB939_207
.LBB939_205:                            ;   in Loop: Header=BB939_207 Depth=1
	global_load_dword v16, v[14:15], off
	global_load_dword v17, v[12:13], off
	v_add_co_u32_e32 v12, vcc, 4, v12
	v_addc_co_u32_e32 v13, vcc, 0, v13, vcc
	v_add_co_u32_e32 v14, vcc, 4, v14
	v_addc_co_u32_e32 v15, vcc, 0, v15, vcc
	s_add_u32 s46, s46, 1
	s_addc_u32 s47, s47, 0
	s_andn2_b64 s[44:45], s[44:45], exec
	s_waitcnt vmcnt(0)
	v_cmp_neq_f32_e32 vcc, v16, v17
	s_and_b64 s[50:51], vcc, exec
	s_or_b64 s[44:45], s[44:45], s[50:51]
.LBB939_206:                            ;   in Loop: Header=BB939_207 Depth=1
	s_and_b64 s[50:51], exec, s[44:45]
	s_or_b64 s[6:7], s[50:51], s[6:7]
	v_pk_mov_b32 v[16:17], s[46:47], s[46:47] op_sel:[0,1]
	s_andn2_b64 exec, exec, s[6:7]
	s_cbranch_execz .LBB939_209
.LBB939_207:                            ; =>This Inner Loop Header: Depth=1
	s_or_b64 s[44:45], s[44:45], exec
	s_cmp_eq_u64 s[4:5], s[46:47]
	s_cbranch_scc0 .LBB939_205
; %bb.208:                              ;   in Loop: Header=BB939_207 Depth=1
                                        ; implicit-def: $vgpr12_vgpr13
                                        ; implicit-def: $vgpr14_vgpr15
	s_mov_b64 s[46:47], s[26:27]
	s_branch .LBB939_206
.LBB939_209:
	s_or_b64 exec, exec, s[6:7]
	v_cmp_gt_i64_e32 vcc, s[26:27], v[16:17]
	s_orn2_b64 s[44:45], vcc, exec
.LBB939_210:
	s_or_b64 exec, exec, s[40:41]
.LBB939_211:
	s_and_b64 s[40:41], s[44:45], exec
.LBB939_212:
	s_or_b64 exec, exec, s[42:43]
	v_cmp_gt_u32_e32 vcc, s48, v24
	s_and_saveexec_b64 s[42:43], vcc
	s_cbranch_execz .LBB939_223
; %bb.213:
	s_andn2_b64 vcc, exec, s[10:11]
	s_mov_b64 s[44:45], 0
	s_cbranch_vccnz .LBB939_222
; %bb.214:
	s_waitcnt vmcnt(0) lgkmcnt(1)
	v_mul_lo_u32 v14, v7, s26
	v_mul_lo_u32 v15, v6, s27
	v_mad_u64_u32 v[12:13], s[4:5], v6, s26, 0
	v_add3_u32 v13, v13, v15, v14
	v_mul_lo_u32 v14, v9, s26
	v_mul_lo_u32 v15, v8, s27
	v_mad_u64_u32 v[18:19], s[4:5], v8, s26, 0
	v_add3_u32 v19, v19, v15, v14
	v_lshlrev_b64 v[14:15], 2, v[12:13]
	v_mov_b32_e32 v12, s17
	v_add_co_u32_e32 v16, vcc, s16, v14
	v_addc_co_u32_e64 v17, s[4:5], v12, v15, vcc
	v_lshlrev_b64 v[12:13], 2, v[18:19]
	v_mov_b32_e32 v14, s17
	v_add_co_u32_e64 v18, s[4:5], s16, v12
	v_addc_co_u32_e64 v19, s[6:7], v14, v13, s[4:5]
	global_load_dword v12, v[16:17], off
	global_load_dword v14, v[18:19], off
	s_mov_b64 s[44:45], -1
	s_waitcnt vmcnt(0)
	v_cmp_eq_f32_e64 s[6:7], v12, v14
	s_and_saveexec_b64 s[38:39], s[6:7]
	s_cbranch_execz .LBB939_221
; %bb.215:
	v_mov_b32_e32 v12, s17
	v_addc_co_u32_e64 v13, s[4:5], v13, v12, s[4:5]
	v_add_co_u32_e64 v12, s[4:5], 4, v18
	v_mov_b32_e32 v14, s17
	v_addc_co_u32_e64 v13, s[4:5], 0, v13, s[4:5]
	v_addc_co_u32_e32 v15, vcc, v15, v14, vcc
	v_add_co_u32_e32 v14, vcc, 4, v16
	s_add_u32 s4, s26, -1
	v_addc_co_u32_e32 v15, vcc, 0, v15, vcc
	s_addc_u32 s5, s27, -1
	s_mov_b64 s[6:7], 0
	s_mov_b64 s[46:47], 0
                                        ; implicit-def: $sgpr44_sgpr45
	s_branch .LBB939_218
.LBB939_216:                            ;   in Loop: Header=BB939_218 Depth=1
	global_load_dword v16, v[14:15], off
	global_load_dword v17, v[12:13], off
	v_add_co_u32_e32 v12, vcc, 4, v12
	v_addc_co_u32_e32 v13, vcc, 0, v13, vcc
	v_add_co_u32_e32 v14, vcc, 4, v14
	v_addc_co_u32_e32 v15, vcc, 0, v15, vcc
	s_add_u32 s46, s46, 1
	s_addc_u32 s47, s47, 0
	s_andn2_b64 s[44:45], s[44:45], exec
	s_waitcnt vmcnt(0)
	v_cmp_neq_f32_e32 vcc, v16, v17
	s_and_b64 s[50:51], vcc, exec
	s_or_b64 s[44:45], s[44:45], s[50:51]
.LBB939_217:                            ;   in Loop: Header=BB939_218 Depth=1
	s_and_b64 s[50:51], exec, s[44:45]
	s_or_b64 s[6:7], s[50:51], s[6:7]
	v_pk_mov_b32 v[16:17], s[46:47], s[46:47] op_sel:[0,1]
	s_andn2_b64 exec, exec, s[6:7]
	s_cbranch_execz .LBB939_220
.LBB939_218:                            ; =>This Inner Loop Header: Depth=1
	s_or_b64 s[44:45], s[44:45], exec
	s_cmp_eq_u64 s[4:5], s[46:47]
	s_cbranch_scc0 .LBB939_216
; %bb.219:                              ;   in Loop: Header=BB939_218 Depth=1
                                        ; implicit-def: $vgpr12_vgpr13
                                        ; implicit-def: $vgpr14_vgpr15
	s_mov_b64 s[46:47], s[26:27]
	s_branch .LBB939_217
.LBB939_220:
	s_or_b64 exec, exec, s[6:7]
	v_cmp_gt_i64_e32 vcc, s[26:27], v[16:17]
	s_orn2_b64 s[44:45], vcc, exec
.LBB939_221:
	s_or_b64 exec, exec, s[38:39]
.LBB939_222:
	s_and_b64 s[38:39], s[44:45], exec
.LBB939_223:
	s_or_b64 exec, exec, s[42:43]
	v_cndmask_b32_e64 v13, 0, 1, s[36:37]
	s_waitcnt vmcnt(0) lgkmcnt(1)
	v_cndmask_b32_e64 v14, 0, 1, s[38:39]
	v_cndmask_b32_e64 v12, 0, 1, s[40:41]
	v_lshlrev_b16_e32 v14, 8, v14
	v_lshlrev_b16_e32 v13, 8, v13
	v_or_b32_e32 v14, 1, v14
	v_or_b32_sdwa v12, v12, v13 dst_sel:WORD_1 dst_unused:UNUSED_PAD src0_sel:DWORD src1_sel:DWORD
	v_or_b32_sdwa v12, v14, v12 dst_sel:DWORD dst_unused:UNUSED_PAD src0_sel:WORD_0 src1_sel:DWORD
	v_cndmask_b32_e64 v13, 0, 1, s[8:9]
	s_waitcnt lgkmcnt(0)
	s_barrier
	s_waitcnt lgkmcnt(0)
                                        ; implicit-def: $sgpr36_sgpr37
                                        ; implicit-def: $vgpr16
	s_and_saveexec_b64 s[6:7], s[2:3]
	s_cbranch_execz .LBB939_236
; %bb.224:
	v_cmp_gt_u32_e32 vcc, s48, v1
	s_mov_b32 s38, 0x3020104
	s_mov_b64 s[2:3], 0
	s_and_saveexec_b64 s[8:9], vcc
	s_cbranch_execz .LBB939_235
; %bb.225:
	s_andn2_b64 vcc, exec, s[10:11]
	s_mov_b64 s[36:37], 0
	s_cbranch_vccnz .LBB939_234
; %bb.226:
	v_add_u32_e32 v14, -8, v26
	ds_read_b64 v[14:15], v14
	v_mul_lo_u32 v16, v7, s26
	v_mad_u64_u32 v[20:21], s[2:3], v6, s26, 0
	s_mov_b64 s[36:37], -1
	s_waitcnt lgkmcnt(0)
	v_mul_lo_u32 v17, v15, s26
	v_mul_lo_u32 v18, v14, s27
	v_mad_u64_u32 v[14:15], s[2:3], v14, s26, 0
	v_add3_u32 v15, v15, v18, v17
	v_mul_lo_u32 v17, v6, s27
	v_add3_u32 v21, v21, v17, v16
	v_lshlrev_b64 v[16:17], 2, v[14:15]
	v_mov_b32_e32 v14, s17
	v_add_co_u32_e32 v18, vcc, s16, v16
	v_addc_co_u32_e64 v19, s[2:3], v14, v17, vcc
	v_lshlrev_b64 v[14:15], 2, v[20:21]
	v_mov_b32_e32 v16, s17
	v_add_co_u32_e64 v20, s[2:3], s16, v14
	v_addc_co_u32_e64 v21, s[4:5], v16, v15, s[2:3]
	global_load_dword v14, v[18:19], off
	global_load_dword v16, v[20:21], off
	s_waitcnt vmcnt(0)
	v_cmp_eq_f32_e64 s[4:5], v14, v16
	s_and_saveexec_b64 s[10:11], s[4:5]
	s_cbranch_execz .LBB939_233
; %bb.227:
	v_mov_b32_e32 v14, s17
	v_addc_co_u32_e64 v15, s[2:3], v15, v14, s[2:3]
	v_add_co_u32_e64 v14, s[2:3], 4, v20
	v_mov_b32_e32 v16, s17
	v_addc_co_u32_e64 v15, s[2:3], 0, v15, s[2:3]
	v_addc_co_u32_e32 v17, vcc, v17, v16, vcc
	v_add_co_u32_e32 v16, vcc, 4, v18
	s_add_u32 s2, s26, -1
	v_addc_co_u32_e32 v17, vcc, 0, v17, vcc
	s_addc_u32 s3, s27, -1
	s_mov_b64 s[4:5], 0
	s_mov_b64 s[36:37], 0
                                        ; implicit-def: $sgpr16_sgpr17
	s_branch .LBB939_230
.LBB939_228:                            ;   in Loop: Header=BB939_230 Depth=1
	global_load_dword v18, v[16:17], off
	global_load_dword v19, v[14:15], off
	v_add_co_u32_e32 v14, vcc, 4, v14
	v_addc_co_u32_e32 v15, vcc, 0, v15, vcc
	v_add_co_u32_e32 v16, vcc, 4, v16
	v_addc_co_u32_e32 v17, vcc, 0, v17, vcc
	s_add_u32 s36, s36, 1
	s_addc_u32 s37, s37, 0
	s_andn2_b64 s[16:17], s[16:17], exec
	s_waitcnt vmcnt(0)
	v_cmp_neq_f32_e32 vcc, v18, v19
	s_and_b64 s[40:41], vcc, exec
	s_or_b64 s[16:17], s[16:17], s[40:41]
.LBB939_229:                            ;   in Loop: Header=BB939_230 Depth=1
	s_and_b64 s[40:41], exec, s[16:17]
	s_or_b64 s[4:5], s[40:41], s[4:5]
	v_pk_mov_b32 v[18:19], s[36:37], s[36:37] op_sel:[0,1]
	s_andn2_b64 exec, exec, s[4:5]
	s_cbranch_execz .LBB939_232
.LBB939_230:                            ; =>This Inner Loop Header: Depth=1
	s_or_b64 s[16:17], s[16:17], exec
	s_cmp_eq_u64 s[2:3], s[36:37]
	s_cbranch_scc0 .LBB939_228
; %bb.231:                              ;   in Loop: Header=BB939_230 Depth=1
                                        ; implicit-def: $vgpr14_vgpr15
                                        ; implicit-def: $vgpr16_vgpr17
	s_mov_b64 s[36:37], s[26:27]
	s_branch .LBB939_229
.LBB939_232:
	s_or_b64 exec, exec, s[4:5]
	v_cmp_gt_i64_e32 vcc, s[26:27], v[18:19]
	s_orn2_b64 s[36:37], vcc, exec
.LBB939_233:
	s_or_b64 exec, exec, s[10:11]
.LBB939_234:
	s_and_b64 s[2:3], s[36:37], exec
.LBB939_235:
	s_or_b64 exec, exec, s[8:9]
	v_perm_b32 v16, v12, v12, s38
	s_and_b64 s[36:37], s[2:3], exec
	s_or_b64 s[14:15], s[14:15], exec
.LBB939_236:
	s_or_b64 exec, exec, s[6:7]
.LBB939_237:
	s_and_saveexec_b64 s[2:3], s[14:15]
	s_cbranch_execz .LBB939_239
; %bb.238:
	s_waitcnt vmcnt(0) lgkmcnt(0)
	v_lshrrev_b32_e32 v14, 24, v16
	s_movk_i32 s4, 0xff
	v_lshlrev_b16_e32 v14, 8, v14
	v_and_b32_sdwa v15, v16, s4 dst_sel:DWORD dst_unused:UNUSED_PAD src0_sel:WORD_1 src1_sel:DWORD
	v_or_b32_sdwa v14, v15, v14 dst_sel:WORD_1 dst_unused:UNUSED_PAD src0_sel:DWORD src1_sel:DWORD
	v_mov_b32_e32 v15, 8
	v_cndmask_b32_e64 v12, 0, 1, s[36:37]
	v_lshrrev_b32_sdwa v15, v15, v16 dst_sel:BYTE_1 dst_unused:UNUSED_PAD src0_sel:DWORD src1_sel:DWORD
	v_or_b32_e32 v12, v12, v15
	s_mov_b32 s4, 0xffff
	v_or_b32_sdwa v12, v12, v14 dst_sel:DWORD dst_unused:UNUSED_PAD src0_sel:WORD_0 src1_sel:DWORD
	v_and_b32_sdwa v13, s4, v13 dst_sel:DWORD dst_unused:UNUSED_PAD src0_sel:DWORD src1_sel:BYTE_0
.LBB939_239:
	s_or_b64 exec, exec, s[2:3]
	s_andn2_b64 vcc, exec, s[12:13]
	s_cbranch_vccnz .LBB939_241
; %bb.240:
	v_cmp_gt_u32_e32 vcc, s48, v1
	v_cndmask_b32_e32 v1, 0, v12, vcc
	v_and_b32_e32 v1, 0xffff00ff, v1
	v_cmp_gt_u32_e64 s[2:3], s48, v24
	v_cndmask_b32_e64 v1, v1, v12, s[2:3]
	s_waitcnt vmcnt(0) lgkmcnt(0)
	v_lshrrev_b32_e32 v14, 24, v1
	s_mov_b32 s4, 0x40c0100
	v_perm_b32 v1, v14, v1, s4
	v_cmp_gt_u32_e64 s[4:5], s48, v22
	v_cmp_gt_u32_e64 s[6:7], s48, v25
	v_cndmask_b32_e64 v1, v1, v12, s[4:5]
	s_or_b64 s[4:5], s[6:7], s[4:5]
	s_or_b64 s[2:3], s[4:5], s[2:3]
	s_or_b64 vcc, s[2:3], vcc
	v_and_b32_e32 v1, 0xffffff, v1
	v_cndmask_b32_e32 v14, 0, v13, vcc
	v_cndmask_b32_e64 v1, v1, v12, s[6:7]
	v_and_b32_e32 v14, 0xffffff00, v14
	v_cmp_gt_u32_e32 vcc, s48, v23
	v_cndmask_b32_e32 v1, v1, v12, vcc
	v_cndmask_b32_e32 v12, v14, v13, vcc
	s_mov_b32 s2, 0x3020104
	v_and_b32_e32 v13, 0xff, v12
	v_perm_b32 v12, v1, v1, s2
.LBB939_241:
	v_and_b32_e32 v1, 0xff, v12
	v_bfe_u32 v25, v12, 8, 8
	v_bfe_u32 v27, v12, 16, 8
	s_waitcnt vmcnt(0) lgkmcnt(0)
	v_alignbit_b32 v14, v13, v12, 24
	v_and_b32_e32 v28, 0xff, v14
	v_and_b32_e32 v14, 0xff, v13
	v_add3_u32 v15, v25, v1, v27
	v_add3_u32 v31, v15, v28, v14
	v_mbcnt_lo_u32_b32 v14, -1, 0
	v_mbcnt_hi_u32_b32 v29, -1, v14
	v_and_b32_e32 v14, 15, v29
	v_cmp_eq_u32_e64 s[14:15], 0, v14
	v_cmp_lt_u32_e64 s[12:13], 1, v14
	v_cmp_lt_u32_e64 s[10:11], 3, v14
	;; [unrolled: 1-line block ×3, first 2 shown]
	v_and_b32_e32 v14, 16, v29
	v_cmp_eq_u32_e64 s[6:7], 0, v14
	v_or_b32_e32 v14, 63, v0
	v_cmp_lt_u32_e64 s[2:3], 31, v29
	v_lshrrev_b32_e32 v30, 6, v0
	v_cmp_eq_u32_e64 s[4:5], v14, v0
	s_and_b64 vcc, exec, s[34:35]
	s_barrier
	s_cbranch_vccz .LBB939_272
; %bb.242:
	v_mov_b32_dpp v14, v31 row_shr:1 row_mask:0xf bank_mask:0xf
	v_cndmask_b32_e64 v14, v14, 0, s[14:15]
	v_add_u32_e32 v14, v14, v31
	s_nop 1
	v_mov_b32_dpp v15, v14 row_shr:2 row_mask:0xf bank_mask:0xf
	v_cndmask_b32_e64 v15, 0, v15, s[12:13]
	v_add_u32_e32 v14, v14, v15
	s_nop 1
	;; [unrolled: 4-line block ×4, first 2 shown]
	v_mov_b32_dpp v15, v14 row_bcast:15 row_mask:0xf bank_mask:0xf
	v_cndmask_b32_e64 v15, v15, 0, s[6:7]
	v_add_u32_e32 v14, v14, v15
	s_nop 1
	v_mov_b32_dpp v15, v14 row_bcast:31 row_mask:0xf bank_mask:0xf
	v_cndmask_b32_e64 v15, 0, v15, s[2:3]
	v_add_u32_e32 v14, v14, v15
	s_and_saveexec_b64 s[16:17], s[4:5]
	s_cbranch_execz .LBB939_244
; %bb.243:
	v_lshlrev_b32_e32 v15, 2, v30
	ds_write_b32 v15, v14
.LBB939_244:
	s_or_b64 exec, exec, s[16:17]
	v_cmp_gt_u32_e32 vcc, 4, v0
	s_waitcnt lgkmcnt(0)
	s_barrier
	s_and_saveexec_b64 s[16:17], vcc
	s_cbranch_execz .LBB939_246
; %bb.245:
	v_lshlrev_b32_e32 v15, 2, v0
	ds_read_b32 v16, v15
	v_and_b32_e32 v17, 3, v29
	v_cmp_ne_u32_e32 vcc, 0, v17
	s_waitcnt lgkmcnt(0)
	v_mov_b32_dpp v18, v16 row_shr:1 row_mask:0xf bank_mask:0xf
	v_cndmask_b32_e32 v18, 0, v18, vcc
	v_add_u32_e32 v16, v18, v16
	v_cmp_lt_u32_e32 vcc, 1, v17
	s_nop 0
	v_mov_b32_dpp v18, v16 row_shr:2 row_mask:0xf bank_mask:0xf
	v_cndmask_b32_e32 v17, 0, v18, vcc
	v_add_u32_e32 v16, v16, v17
	ds_write_b32 v15, v16
.LBB939_246:
	s_or_b64 exec, exec, s[16:17]
	v_cmp_gt_u32_e32 vcc, 64, v0
	v_cmp_lt_u32_e64 s[16:17], 63, v0
	s_waitcnt lgkmcnt(0)
	s_barrier
	s_waitcnt lgkmcnt(0)
                                        ; implicit-def: $vgpr24
	s_and_saveexec_b64 s[26:27], s[16:17]
	s_cbranch_execz .LBB939_248
; %bb.247:
	v_lshl_add_u32 v15, v30, 2, -4
	ds_read_b32 v24, v15
	s_waitcnt lgkmcnt(0)
	v_add_u32_e32 v14, v24, v14
.LBB939_248:
	s_or_b64 exec, exec, s[26:27]
	v_add_u32_e32 v15, -1, v29
	v_and_b32_e32 v16, 64, v29
	v_cmp_lt_i32_e64 s[16:17], v15, v16
	v_cndmask_b32_e64 v15, v15, v29, s[16:17]
	v_lshlrev_b32_e32 v15, 2, v15
	ds_bpermute_b32 v26, v15, v14
	v_cmp_eq_u32_e64 s[16:17], 0, v29
	s_and_saveexec_b64 s[26:27], vcc
	s_cbranch_execz .LBB939_271
; %bb.249:
	v_mov_b32_e32 v23, 0
	ds_read_b32 v14, v23 offset:12
	s_and_saveexec_b64 s[34:35], s[16:17]
	s_cbranch_execz .LBB939_251
; %bb.250:
	s_add_i32 s36, s33, 64
	s_mov_b32 s37, 0
	s_lshl_b64 s[36:37], s[36:37], 3
	s_add_u32 s36, s18, s36
	v_mov_b32_e32 v15, 1
	s_addc_u32 s37, s19, s37
	s_waitcnt lgkmcnt(0)
	global_store_dwordx2 v23, v[14:15], s[36:37]
.LBB939_251:
	s_or_b64 exec, exec, s[34:35]
	v_xad_u32 v16, v29, -1, s33
	v_add_u32_e32 v22, 64, v16
	v_lshlrev_b64 v[18:19], 3, v[22:23]
	v_mov_b32_e32 v15, s19
	v_add_co_u32_e32 v18, vcc, s18, v18
	v_addc_co_u32_e32 v19, vcc, v15, v19, vcc
	global_load_dwordx2 v[20:21], v[18:19], off glc
	s_waitcnt vmcnt(0)
	v_cmp_eq_u16_sdwa s[36:37], v21, v23 src0_sel:BYTE_0 src1_sel:DWORD
	s_and_saveexec_b64 s[34:35], s[36:37]
	s_cbranch_execz .LBB939_257
; %bb.252:
	s_mov_b32 s38, 1
	s_mov_b64 s[36:37], 0
	v_mov_b32_e32 v15, 0
.LBB939_253:                            ; =>This Loop Header: Depth=1
                                        ;     Child Loop BB939_254 Depth 2
	s_max_u32 s39, s38, 1
.LBB939_254:                            ;   Parent Loop BB939_253 Depth=1
                                        ; =>  This Inner Loop Header: Depth=2
	s_add_i32 s39, s39, -1
	s_cmp_eq_u32 s39, 0
	s_sleep 1
	s_cbranch_scc0 .LBB939_254
; %bb.255:                              ;   in Loop: Header=BB939_253 Depth=1
	global_load_dwordx2 v[20:21], v[18:19], off glc
	s_cmp_lt_u32 s38, 32
	s_cselect_b64 s[40:41], -1, 0
	s_cmp_lg_u64 s[40:41], 0
	s_addc_u32 s38, s38, 0
	s_waitcnt vmcnt(0)
	v_cmp_ne_u16_sdwa s[40:41], v21, v15 src0_sel:BYTE_0 src1_sel:DWORD
	s_or_b64 s[36:37], s[40:41], s[36:37]
	s_andn2_b64 exec, exec, s[36:37]
	s_cbranch_execnz .LBB939_253
; %bb.256:
	s_or_b64 exec, exec, s[36:37]
.LBB939_257:
	s_or_b64 exec, exec, s[34:35]
	v_and_b32_e32 v32, 63, v29
	v_mov_b32_e32 v15, 2
	v_cmp_ne_u32_e32 vcc, 63, v32
	v_cmp_eq_u16_sdwa s[34:35], v21, v15 src0_sel:BYTE_0 src1_sel:DWORD
	v_lshlrev_b64 v[18:19], v29, -1
	v_addc_co_u32_e32 v23, vcc, 0, v29, vcc
	v_and_b32_e32 v17, s35, v19
	v_lshlrev_b32_e32 v33, 2, v23
	v_or_b32_e32 v17, 0x80000000, v17
	ds_bpermute_b32 v23, v33, v20
	v_and_b32_e32 v22, s34, v18
	v_ffbl_b32_e32 v17, v17
	v_add_u32_e32 v17, 32, v17
	v_ffbl_b32_e32 v22, v22
	v_min_u32_e32 v17, v22, v17
	v_cmp_lt_u32_e32 vcc, v32, v17
	s_waitcnt lgkmcnt(0)
	v_cndmask_b32_e32 v22, 0, v23, vcc
	v_cmp_gt_u32_e32 vcc, 62, v32
	v_add_u32_e32 v20, v22, v20
	v_cndmask_b32_e64 v22, 0, 1, vcc
	v_lshlrev_b32_e32 v22, 1, v22
	v_add_lshl_u32 v34, v22, v29, 2
	ds_bpermute_b32 v22, v34, v20
	v_add_u32_e32 v35, 2, v32
	v_cmp_le_u32_e32 vcc, v35, v17
	v_add_u32_e32 v37, 4, v32
	v_add_u32_e32 v39, 8, v32
	s_waitcnt lgkmcnt(0)
	v_cndmask_b32_e32 v22, 0, v22, vcc
	v_cmp_gt_u32_e32 vcc, 60, v32
	v_add_u32_e32 v20, v20, v22
	v_cndmask_b32_e64 v22, 0, 1, vcc
	v_lshlrev_b32_e32 v22, 2, v22
	v_add_lshl_u32 v36, v22, v29, 2
	ds_bpermute_b32 v22, v36, v20
	v_cmp_le_u32_e32 vcc, v37, v17
	v_add_u32_e32 v42, 16, v32
	v_add_u32_e32 v44, 32, v32
	s_waitcnt lgkmcnt(0)
	v_cndmask_b32_e32 v22, 0, v22, vcc
	v_cmp_gt_u32_e32 vcc, 56, v32
	v_add_u32_e32 v20, v20, v22
	v_cndmask_b32_e64 v22, 0, 1, vcc
	v_lshlrev_b32_e32 v22, 3, v22
	v_add_lshl_u32 v38, v22, v29, 2
	ds_bpermute_b32 v22, v38, v20
	v_cmp_le_u32_e32 vcc, v39, v17
	s_waitcnt lgkmcnt(0)
	v_cndmask_b32_e32 v22, 0, v22, vcc
	v_cmp_gt_u32_e32 vcc, 48, v32
	v_add_u32_e32 v20, v20, v22
	v_cndmask_b32_e64 v22, 0, 1, vcc
	v_lshlrev_b32_e32 v22, 4, v22
	v_add_lshl_u32 v41, v22, v29, 2
	ds_bpermute_b32 v22, v41, v20
	v_cmp_le_u32_e32 vcc, v42, v17
	;; [unrolled: 9-line block ×3, first 2 shown]
	s_waitcnt lgkmcnt(0)
	v_cndmask_b32_e32 v17, 0, v22, vcc
	v_add_u32_e32 v20, v20, v17
	v_mov_b32_e32 v17, 0
	s_branch .LBB939_259
.LBB939_258:                            ;   in Loop: Header=BB939_259 Depth=1
	s_or_b64 exec, exec, s[34:35]
	v_cmp_eq_u16_sdwa s[34:35], v21, v15 src0_sel:BYTE_0 src1_sel:DWORD
	v_and_b32_e32 v22, s35, v19
	v_or_b32_e32 v22, 0x80000000, v22
	ds_bpermute_b32 v45, v33, v20
	v_and_b32_e32 v23, s34, v18
	v_ffbl_b32_e32 v22, v22
	v_add_u32_e32 v22, 32, v22
	v_ffbl_b32_e32 v23, v23
	v_min_u32_e32 v22, v23, v22
	v_cmp_lt_u32_e32 vcc, v32, v22
	s_waitcnt lgkmcnt(0)
	v_cndmask_b32_e32 v23, 0, v45, vcc
	v_add_u32_e32 v20, v23, v20
	ds_bpermute_b32 v23, v34, v20
	v_cmp_le_u32_e32 vcc, v35, v22
	v_subrev_u32_e32 v16, 64, v16
	s_waitcnt lgkmcnt(0)
	v_cndmask_b32_e32 v23, 0, v23, vcc
	v_add_u32_e32 v20, v20, v23
	ds_bpermute_b32 v23, v36, v20
	v_cmp_le_u32_e32 vcc, v37, v22
	s_waitcnt lgkmcnt(0)
	v_cndmask_b32_e32 v23, 0, v23, vcc
	v_add_u32_e32 v20, v20, v23
	ds_bpermute_b32 v23, v38, v20
	v_cmp_le_u32_e32 vcc, v39, v22
	;; [unrolled: 5-line block ×4, first 2 shown]
	s_waitcnt lgkmcnt(0)
	v_cndmask_b32_e32 v22, 0, v23, vcc
	v_add3_u32 v20, v22, v40, v20
.LBB939_259:                            ; =>This Loop Header: Depth=1
                                        ;     Child Loop BB939_262 Depth 2
                                        ;       Child Loop BB939_263 Depth 3
	v_cmp_ne_u16_sdwa s[34:35], v21, v15 src0_sel:BYTE_0 src1_sel:DWORD
	v_cndmask_b32_e64 v21, 0, 1, s[34:35]
	;;#ASMSTART
	;;#ASMEND
	v_cmp_ne_u32_e32 vcc, 0, v21
	s_cmp_lg_u64 vcc, exec
	v_mov_b32_e32 v40, v20
	s_cbranch_scc1 .LBB939_266
; %bb.260:                              ;   in Loop: Header=BB939_259 Depth=1
	v_lshlrev_b64 v[20:21], 3, v[16:17]
	v_mov_b32_e32 v23, s19
	v_add_co_u32_e32 v22, vcc, s18, v20
	v_addc_co_u32_e32 v23, vcc, v23, v21, vcc
	global_load_dwordx2 v[20:21], v[22:23], off glc
	s_waitcnt vmcnt(0)
	v_cmp_eq_u16_sdwa s[36:37], v21, v17 src0_sel:BYTE_0 src1_sel:DWORD
	s_and_saveexec_b64 s[34:35], s[36:37]
	s_cbranch_execz .LBB939_258
; %bb.261:                              ;   in Loop: Header=BB939_259 Depth=1
	s_mov_b32 s38, 1
	s_mov_b64 s[36:37], 0
.LBB939_262:                            ;   Parent Loop BB939_259 Depth=1
                                        ; =>  This Loop Header: Depth=2
                                        ;       Child Loop BB939_263 Depth 3
	s_max_u32 s39, s38, 1
.LBB939_263:                            ;   Parent Loop BB939_259 Depth=1
                                        ;     Parent Loop BB939_262 Depth=2
                                        ; =>    This Inner Loop Header: Depth=3
	s_add_i32 s39, s39, -1
	s_cmp_eq_u32 s39, 0
	s_sleep 1
	s_cbranch_scc0 .LBB939_263
; %bb.264:                              ;   in Loop: Header=BB939_262 Depth=2
	global_load_dwordx2 v[20:21], v[22:23], off glc
	s_cmp_lt_u32 s38, 32
	s_cselect_b64 s[40:41], -1, 0
	s_cmp_lg_u64 s[40:41], 0
	s_addc_u32 s38, s38, 0
	s_waitcnt vmcnt(0)
	v_cmp_ne_u16_sdwa s[40:41], v21, v17 src0_sel:BYTE_0 src1_sel:DWORD
	s_or_b64 s[36:37], s[40:41], s[36:37]
	s_andn2_b64 exec, exec, s[36:37]
	s_cbranch_execnz .LBB939_262
; %bb.265:                              ;   in Loop: Header=BB939_259 Depth=1
	s_or_b64 exec, exec, s[36:37]
	s_branch .LBB939_258
.LBB939_266:                            ;   in Loop: Header=BB939_259 Depth=1
                                        ; implicit-def: $vgpr20
                                        ; implicit-def: $vgpr21
	s_cbranch_execz .LBB939_259
; %bb.267:
	s_and_saveexec_b64 s[34:35], s[16:17]
	s_cbranch_execz .LBB939_269
; %bb.268:
	s_add_i32 s36, s33, 64
	s_mov_b32 s37, 0
	s_lshl_b64 s[36:37], s[36:37], 3
	s_add_u32 s36, s18, s36
	v_add_u32_e32 v16, v40, v14
	v_mov_b32_e32 v17, 2
	s_addc_u32 s37, s19, s37
	v_mov_b32_e32 v15, 0
	s_movk_i32 s33, 0x2800
	global_store_dwordx2 v15, v[16:17], s[36:37]
	v_add_u32_e64 v15, s33, 0
	ds_write2_b32 v15, v14, v40 offset1:2
.LBB939_269:
	s_or_b64 exec, exec, s[34:35]
	s_and_b64 exec, exec, s[0:1]
	s_cbranch_execz .LBB939_271
; %bb.270:
	v_mov_b32_e32 v14, 0
	ds_write_b32 v14, v40 offset:12
.LBB939_271:
	s_or_b64 exec, exec, s[26:27]
	v_mov_b32_e32 v14, 0
	s_waitcnt lgkmcnt(0)
	s_barrier
	ds_read_b32 v14, v14 offset:12
	v_cndmask_b32_e64 v15, v26, v24, s[16:17]
	v_cndmask_b32_e64 v15, v15, 0, s[0:1]
	s_movk_i32 s16, 0x2800
	s_waitcnt lgkmcnt(0)
	v_add_u32_e32 v26, v14, v15
	v_add_u32_e64 v14, s16, 0
	s_barrier
	ds_read2_b32 v[14:15], v14 offset1:2
	v_add_u32_e32 v24, v26, v1
	v_add_u32_e32 v22, v24, v25
	;; [unrolled: 1-line block ×4, first 2 shown]
	v_lshrrev_b64 v[16:17], 24, v[12:13]
	s_branch .LBB939_282
.LBB939_272:
                                        ; implicit-def: $vgpr18
                                        ; implicit-def: $vgpr20
                                        ; implicit-def: $vgpr22
                                        ; implicit-def: $vgpr24
                                        ; implicit-def: $vgpr26
                                        ; implicit-def: $vgpr15
	v_lshrrev_b64 v[16:17], 24, v[12:13]
	s_cbranch_execz .LBB939_282
; %bb.273:
	s_waitcnt lgkmcnt(0)
	v_mov_b32_dpp v14, v31 row_shr:1 row_mask:0xf bank_mask:0xf
	v_cndmask_b32_e64 v14, v14, 0, s[14:15]
	v_add_u32_e32 v14, v14, v31
	s_nop 1
	v_mov_b32_dpp v15, v14 row_shr:2 row_mask:0xf bank_mask:0xf
	v_cndmask_b32_e64 v15, 0, v15, s[12:13]
	v_add_u32_e32 v14, v14, v15
	s_nop 1
	;; [unrolled: 4-line block ×4, first 2 shown]
	v_mov_b32_dpp v15, v14 row_bcast:15 row_mask:0xf bank_mask:0xf
	v_cndmask_b32_e64 v15, v15, 0, s[6:7]
	v_add_u32_e32 v14, v14, v15
	s_nop 1
	v_mov_b32_dpp v15, v14 row_bcast:31 row_mask:0xf bank_mask:0xf
	v_cndmask_b32_e64 v15, 0, v15, s[2:3]
	v_add_u32_e32 v14, v14, v15
	s_and_saveexec_b64 s[2:3], s[4:5]
	s_cbranch_execz .LBB939_275
; %bb.274:
	v_lshlrev_b32_e32 v15, 2, v30
	ds_write_b32 v15, v14
.LBB939_275:
	s_or_b64 exec, exec, s[2:3]
	v_cmp_gt_u32_e32 vcc, 4, v0
	s_waitcnt lgkmcnt(0)
	s_barrier
	s_and_saveexec_b64 s[2:3], vcc
	s_cbranch_execz .LBB939_277
; %bb.276:
	v_lshlrev_b32_e32 v15, 2, v0
	ds_read_b32 v17, v15
	v_and_b32_e32 v18, 3, v29
	v_cmp_ne_u32_e32 vcc, 0, v18
	s_waitcnt lgkmcnt(0)
	v_mov_b32_dpp v19, v17 row_shr:1 row_mask:0xf bank_mask:0xf
	v_cndmask_b32_e32 v19, 0, v19, vcc
	v_add_u32_e32 v17, v19, v17
	v_cmp_lt_u32_e32 vcc, 1, v18
	s_nop 0
	v_mov_b32_dpp v19, v17 row_shr:2 row_mask:0xf bank_mask:0xf
	v_cndmask_b32_e32 v18, 0, v19, vcc
	v_add_u32_e32 v17, v17, v18
	ds_write_b32 v15, v17
.LBB939_277:
	s_or_b64 exec, exec, s[2:3]
	v_cmp_lt_u32_e32 vcc, 63, v0
	v_mov_b32_e32 v15, 0
	v_mov_b32_e32 v17, 0
	s_waitcnt lgkmcnt(0)
	s_barrier
	s_and_saveexec_b64 s[2:3], vcc
	s_cbranch_execz .LBB939_279
; %bb.278:
	v_lshl_add_u32 v17, v30, 2, -4
	ds_read_b32 v17, v17
.LBB939_279:
	s_or_b64 exec, exec, s[2:3]
	v_add_u32_e32 v18, -1, v29
	v_and_b32_e32 v19, 64, v29
	v_cmp_lt_i32_e32 vcc, v18, v19
	v_cndmask_b32_e32 v18, v18, v29, vcc
	s_waitcnt lgkmcnt(0)
	v_add_u32_e32 v14, v17, v14
	v_lshlrev_b32_e32 v18, 2, v18
	ds_bpermute_b32 v18, v18, v14
	ds_read_b32 v14, v15 offset:12
	s_and_saveexec_b64 s[2:3], s[0:1]
	s_cbranch_execz .LBB939_281
; %bb.280:
	v_mov_b32_e32 v19, 0
	v_mov_b32_e32 v15, 2
	s_waitcnt lgkmcnt(0)
	global_store_dwordx2 v19, v[14:15], s[18:19] offset:512
.LBB939_281:
	s_or_b64 exec, exec, s[2:3]
	v_cmp_eq_u32_e32 vcc, 0, v29
	s_waitcnt lgkmcnt(1)
	v_cndmask_b32_e32 v17, v18, v17, vcc
	v_cndmask_b32_e64 v26, v17, 0, s[0:1]
	v_add_u32_e32 v24, v26, v1
	v_add_u32_e32 v22, v24, v25
	;; [unrolled: 1-line block ×3, first 2 shown]
	v_mov_b32_e32 v15, 0
	v_add_u32_e32 v18, v20, v28
	s_waitcnt lgkmcnt(0)
	s_barrier
.LBB939_282:
	s_movk_i32 s2, 0x101
	s_waitcnt lgkmcnt(0)
	v_cmp_gt_u32_e32 vcc, s2, v14
	v_lshrrev_b32_e32 v1, 8, v12
	s_mov_b64 s[2:3], -1
	s_cbranch_vccnz .LBB939_286
; %bb.283:
	s_and_b64 vcc, exec, s[2:3]
	s_cbranch_vccnz .LBB939_302
.LBB939_284:
	s_and_b64 s[0:1], s[0:1], s[24:25]
	s_and_saveexec_b64 s[2:3], s[0:1]
	s_cbranch_execnz .LBB939_316
.LBB939_285:
	s_endpgm
.LBB939_286:
	v_add_u32_e32 v17, v15, v14
	v_cmp_lt_u32_e32 vcc, v26, v17
	s_or_b64 s[4:5], s[30:31], vcc
	s_and_saveexec_b64 s[2:3], s[4:5]
	s_cbranch_execz .LBB939_289
; %bb.287:
	v_and_b32_e32 v19, 1, v12
	v_cmp_eq_u32_e32 vcc, 1, v19
	s_and_b64 exec, exec, vcc
	s_cbranch_execz .LBB939_289
; %bb.288:
	s_lshl_b64 s[4:5], s[22:23], 3
	s_add_u32 s4, s28, s4
	v_mov_b32_e32 v27, 0
	s_addc_u32 s5, s29, s5
	v_lshlrev_b64 v[28:29], 3, v[26:27]
	v_mov_b32_e32 v19, s5
	v_add_co_u32_e32 v28, vcc, s4, v28
	v_addc_co_u32_e32 v29, vcc, v19, v29, vcc
	global_store_dwordx2 v[28:29], v[6:7], off
.LBB939_289:
	s_or_b64 exec, exec, s[2:3]
	v_cmp_lt_u32_e32 vcc, v24, v17
	s_or_b64 s[4:5], s[30:31], vcc
	s_and_saveexec_b64 s[2:3], s[4:5]
	s_cbranch_execz .LBB939_292
; %bb.290:
	v_and_b32_e32 v19, 1, v1
	v_cmp_eq_u32_e32 vcc, 1, v19
	s_and_b64 exec, exec, vcc
	s_cbranch_execz .LBB939_292
; %bb.291:
	s_lshl_b64 s[4:5], s[22:23], 3
	s_add_u32 s4, s28, s4
	v_mov_b32_e32 v25, 0
	s_addc_u32 s5, s29, s5
	v_lshlrev_b64 v[28:29], 3, v[24:25]
	v_mov_b32_e32 v19, s5
	v_add_co_u32_e32 v28, vcc, s4, v28
	v_addc_co_u32_e32 v29, vcc, v19, v29, vcc
	global_store_dwordx2 v[28:29], v[8:9], off
.LBB939_292:
	s_or_b64 exec, exec, s[2:3]
	v_cmp_lt_u32_e32 vcc, v22, v17
	s_or_b64 s[4:5], s[30:31], vcc
	s_and_saveexec_b64 s[2:3], s[4:5]
	s_cbranch_execz .LBB939_295
; %bb.293:
	v_mov_b32_e32 v19, 1
	v_and_b32_sdwa v19, v19, v12 dst_sel:DWORD dst_unused:UNUSED_PAD src0_sel:DWORD src1_sel:WORD_1
	v_cmp_eq_u32_e32 vcc, 1, v19
	s_and_b64 exec, exec, vcc
	s_cbranch_execz .LBB939_295
; %bb.294:
	s_lshl_b64 s[4:5], s[22:23], 3
	s_add_u32 s4, s28, s4
	v_mov_b32_e32 v23, 0
	s_addc_u32 s5, s29, s5
	v_lshlrev_b64 v[28:29], 3, v[22:23]
	v_mov_b32_e32 v19, s5
	v_add_co_u32_e32 v28, vcc, s4, v28
	v_addc_co_u32_e32 v29, vcc, v19, v29, vcc
	global_store_dwordx2 v[28:29], v[2:3], off
.LBB939_295:
	s_or_b64 exec, exec, s[2:3]
	v_cmp_lt_u32_e32 vcc, v20, v17
	s_or_b64 s[4:5], s[30:31], vcc
	s_and_saveexec_b64 s[2:3], s[4:5]
	s_cbranch_execz .LBB939_298
; %bb.296:
	v_and_b32_e32 v19, 1, v16
	v_cmp_eq_u32_e32 vcc, 1, v19
	s_and_b64 exec, exec, vcc
	s_cbranch_execz .LBB939_298
; %bb.297:
	s_lshl_b64 s[4:5], s[22:23], 3
	s_add_u32 s4, s28, s4
	v_mov_b32_e32 v21, 0
	s_addc_u32 s5, s29, s5
	v_lshlrev_b64 v[28:29], 3, v[20:21]
	v_mov_b32_e32 v19, s5
	v_add_co_u32_e32 v28, vcc, s4, v28
	v_addc_co_u32_e32 v29, vcc, v19, v29, vcc
	global_store_dwordx2 v[28:29], v[4:5], off
.LBB939_298:
	s_or_b64 exec, exec, s[2:3]
	v_cmp_lt_u32_e32 vcc, v18, v17
	s_or_b64 s[4:5], s[30:31], vcc
	s_and_saveexec_b64 s[2:3], s[4:5]
	s_cbranch_execz .LBB939_301
; %bb.299:
	v_and_b32_e32 v17, 1, v13
	v_cmp_eq_u32_e32 vcc, 1, v17
	s_and_b64 exec, exec, vcc
	s_cbranch_execz .LBB939_301
; %bb.300:
	s_lshl_b64 s[4:5], s[22:23], 3
	s_add_u32 s4, s28, s4
	v_mov_b32_e32 v19, 0
	s_addc_u32 s5, s29, s5
	v_lshlrev_b64 v[28:29], 3, v[18:19]
	v_mov_b32_e32 v17, s5
	v_add_co_u32_e32 v28, vcc, s4, v28
	v_addc_co_u32_e32 v29, vcc, v17, v29, vcc
	global_store_dwordx2 v[28:29], v[10:11], off
.LBB939_301:
	s_or_b64 exec, exec, s[2:3]
	s_branch .LBB939_284
.LBB939_302:
	v_and_b32_e32 v17, 1, v12
	v_cmp_eq_u32_e32 vcc, 1, v17
	s_and_saveexec_b64 s[2:3], vcc
	s_cbranch_execz .LBB939_304
; %bb.303:
	v_sub_u32_e32 v17, v26, v15
	v_lshlrev_b32_e32 v17, 3, v17
	ds_write_b64 v17, v[6:7]
.LBB939_304:
	s_or_b64 exec, exec, s[2:3]
	v_and_b32_e32 v1, 1, v1
	v_cmp_eq_u32_e32 vcc, 1, v1
	s_and_saveexec_b64 s[2:3], vcc
	s_cbranch_execz .LBB939_306
; %bb.305:
	v_sub_u32_e32 v1, v24, v15
	v_lshlrev_b32_e32 v1, 3, v1
	ds_write_b64 v1, v[8:9]
.LBB939_306:
	s_or_b64 exec, exec, s[2:3]
	v_mov_b32_e32 v1, 1
	v_and_b32_sdwa v1, v1, v12 dst_sel:DWORD dst_unused:UNUSED_PAD src0_sel:DWORD src1_sel:WORD_1
	v_cmp_eq_u32_e32 vcc, 1, v1
	s_and_saveexec_b64 s[2:3], vcc
	s_cbranch_execz .LBB939_308
; %bb.307:
	v_sub_u32_e32 v1, v22, v15
	v_lshlrev_b32_e32 v1, 3, v1
	ds_write_b64 v1, v[2:3]
.LBB939_308:
	s_or_b64 exec, exec, s[2:3]
	v_and_b32_e32 v1, 1, v16
	v_cmp_eq_u32_e32 vcc, 1, v1
	s_and_saveexec_b64 s[2:3], vcc
	s_cbranch_execz .LBB939_310
; %bb.309:
	v_sub_u32_e32 v1, v20, v15
	v_lshlrev_b32_e32 v1, 3, v1
	ds_write_b64 v1, v[4:5]
.LBB939_310:
	s_or_b64 exec, exec, s[2:3]
	v_and_b32_e32 v1, 1, v13
	v_cmp_eq_u32_e32 vcc, 1, v1
	s_and_saveexec_b64 s[2:3], vcc
	s_cbranch_execz .LBB939_312
; %bb.311:
	v_sub_u32_e32 v1, v18, v15
	v_lshlrev_b32_e32 v1, 3, v1
	ds_write_b64 v1, v[10:11]
.LBB939_312:
	s_or_b64 exec, exec, s[2:3]
	v_cmp_lt_u32_e32 vcc, v0, v14
	s_waitcnt lgkmcnt(0)
	s_barrier
	s_and_saveexec_b64 s[2:3], vcc
	s_cbranch_execz .LBB939_315
; %bb.313:
	v_mov_b32_e32 v1, 0
	v_mov_b32_e32 v2, v15
	;; [unrolled: 1-line block ×3, first 2 shown]
	v_lshlrev_b64 v[2:3], 3, v[2:3]
	v_mov_b32_e32 v4, s29
	v_add_co_u32_e32 v2, vcc, s28, v2
	v_addc_co_u32_e32 v3, vcc, v4, v3, vcc
	s_lshl_b64 s[4:5], s[22:23], 3
	v_mov_b32_e32 v4, s5
	v_add_co_u32_e32 v2, vcc, s4, v2
	v_addc_co_u32_e32 v3, vcc, v3, v4, vcc
	v_lshlrev_b32_e32 v4, 3, v0
	s_mov_b64 s[4:5], 0
.LBB939_314:                            ; =>This Inner Loop Header: Depth=1
	ds_read_b64 v[6:7], v4
	v_lshlrev_b64 v[8:9], 3, v[0:1]
	v_add_co_u32_e32 v8, vcc, v2, v8
	v_add_u32_e32 v0, 0x100, v0
	v_addc_co_u32_e32 v9, vcc, v3, v9, vcc
	v_cmp_ge_u32_e32 vcc, v0, v14
	v_add_u32_e32 v4, 0x800, v4
	s_or_b64 s[4:5], vcc, s[4:5]
	s_waitcnt lgkmcnt(0)
	global_store_dwordx2 v[8:9], v[6:7], off
	s_andn2_b64 exec, exec, s[4:5]
	s_cbranch_execnz .LBB939_314
.LBB939_315:
	s_or_b64 exec, exec, s[2:3]
	s_and_b64 s[0:1], s[0:1], s[24:25]
	s_and_saveexec_b64 s[2:3], s[0:1]
	s_cbranch_execz .LBB939_285
.LBB939_316:
	v_mov_b32_e32 v0, s23
	v_add_co_u32_e32 v1, vcc, s22, v14
	v_addc_co_u32_e32 v3, vcc, 0, v0, vcc
	v_add_co_u32_e32 v0, vcc, v1, v15
	v_mov_b32_e32 v2, 0
	v_addc_co_u32_e32 v1, vcc, 0, v3, vcc
	global_store_dwordx2 v2, v[0:1], s[20:21]
	s_endpgm
	.section	.rodata,"a",@progbits
	.p2align	6, 0x0
	.amdhsa_kernel _ZN7rocprim17ROCPRIM_400000_NS6detail17trampoline_kernelINS0_14default_configENS1_25partition_config_selectorILNS1_17partition_subalgoE8ElNS0_10empty_typeEbEEZZNS1_14partition_implILS5_8ELb0ES3_jPlPS6_PKS6_NS0_5tupleIJS9_S6_EEENSD_IJSA_SA_EEENS0_18inequality_wrapperIZN2at6native12_GLOBAL__N_124unique_dim_cuda_templateIfEESt5tupleIJNSH_6TensorESM_SM_EERKSM_lbbbEUlllE0_EEPmJS6_EEE10hipError_tPvRmT3_T4_T5_T6_T7_T9_mT8_P12ihipStream_tbDpT10_ENKUlT_T0_E_clISt17integral_constantIbLb1EES1C_EEDaS17_S18_EUlS17_E_NS1_11comp_targetILNS1_3genE4ELNS1_11target_archE910ELNS1_3gpuE8ELNS1_3repE0EEENS1_30default_config_static_selectorELNS0_4arch9wavefront6targetE1EEEvT1_
		.amdhsa_group_segment_fixed_size 10252
		.amdhsa_private_segment_fixed_size 0
		.amdhsa_kernarg_size 136
		.amdhsa_user_sgpr_count 6
		.amdhsa_user_sgpr_private_segment_buffer 1
		.amdhsa_user_sgpr_dispatch_ptr 0
		.amdhsa_user_sgpr_queue_ptr 0
		.amdhsa_user_sgpr_kernarg_segment_ptr 1
		.amdhsa_user_sgpr_dispatch_id 0
		.amdhsa_user_sgpr_flat_scratch_init 0
		.amdhsa_user_sgpr_kernarg_preload_length 0
		.amdhsa_user_sgpr_kernarg_preload_offset 0
		.amdhsa_user_sgpr_private_segment_size 0
		.amdhsa_uses_dynamic_stack 0
		.amdhsa_system_sgpr_private_segment_wavefront_offset 0
		.amdhsa_system_sgpr_workgroup_id_x 1
		.amdhsa_system_sgpr_workgroup_id_y 0
		.amdhsa_system_sgpr_workgroup_id_z 0
		.amdhsa_system_sgpr_workgroup_info 0
		.amdhsa_system_vgpr_workitem_id 0
		.amdhsa_next_free_vgpr 46
		.amdhsa_next_free_sgpr 52
		.amdhsa_accum_offset 48
		.amdhsa_reserve_vcc 1
		.amdhsa_reserve_flat_scratch 0
		.amdhsa_float_round_mode_32 0
		.amdhsa_float_round_mode_16_64 0
		.amdhsa_float_denorm_mode_32 3
		.amdhsa_float_denorm_mode_16_64 3
		.amdhsa_dx10_clamp 1
		.amdhsa_ieee_mode 1
		.amdhsa_fp16_overflow 0
		.amdhsa_tg_split 0
		.amdhsa_exception_fp_ieee_invalid_op 0
		.amdhsa_exception_fp_denorm_src 0
		.amdhsa_exception_fp_ieee_div_zero 0
		.amdhsa_exception_fp_ieee_overflow 0
		.amdhsa_exception_fp_ieee_underflow 0
		.amdhsa_exception_fp_ieee_inexact 0
		.amdhsa_exception_int_div_zero 0
	.end_amdhsa_kernel
	.section	.text._ZN7rocprim17ROCPRIM_400000_NS6detail17trampoline_kernelINS0_14default_configENS1_25partition_config_selectorILNS1_17partition_subalgoE8ElNS0_10empty_typeEbEEZZNS1_14partition_implILS5_8ELb0ES3_jPlPS6_PKS6_NS0_5tupleIJS9_S6_EEENSD_IJSA_SA_EEENS0_18inequality_wrapperIZN2at6native12_GLOBAL__N_124unique_dim_cuda_templateIfEESt5tupleIJNSH_6TensorESM_SM_EERKSM_lbbbEUlllE0_EEPmJS6_EEE10hipError_tPvRmT3_T4_T5_T6_T7_T9_mT8_P12ihipStream_tbDpT10_ENKUlT_T0_E_clISt17integral_constantIbLb1EES1C_EEDaS17_S18_EUlS17_E_NS1_11comp_targetILNS1_3genE4ELNS1_11target_archE910ELNS1_3gpuE8ELNS1_3repE0EEENS1_30default_config_static_selectorELNS0_4arch9wavefront6targetE1EEEvT1_,"axG",@progbits,_ZN7rocprim17ROCPRIM_400000_NS6detail17trampoline_kernelINS0_14default_configENS1_25partition_config_selectorILNS1_17partition_subalgoE8ElNS0_10empty_typeEbEEZZNS1_14partition_implILS5_8ELb0ES3_jPlPS6_PKS6_NS0_5tupleIJS9_S6_EEENSD_IJSA_SA_EEENS0_18inequality_wrapperIZN2at6native12_GLOBAL__N_124unique_dim_cuda_templateIfEESt5tupleIJNSH_6TensorESM_SM_EERKSM_lbbbEUlllE0_EEPmJS6_EEE10hipError_tPvRmT3_T4_T5_T6_T7_T9_mT8_P12ihipStream_tbDpT10_ENKUlT_T0_E_clISt17integral_constantIbLb1EES1C_EEDaS17_S18_EUlS17_E_NS1_11comp_targetILNS1_3genE4ELNS1_11target_archE910ELNS1_3gpuE8ELNS1_3repE0EEENS1_30default_config_static_selectorELNS0_4arch9wavefront6targetE1EEEvT1_,comdat
.Lfunc_end939:
	.size	_ZN7rocprim17ROCPRIM_400000_NS6detail17trampoline_kernelINS0_14default_configENS1_25partition_config_selectorILNS1_17partition_subalgoE8ElNS0_10empty_typeEbEEZZNS1_14partition_implILS5_8ELb0ES3_jPlPS6_PKS6_NS0_5tupleIJS9_S6_EEENSD_IJSA_SA_EEENS0_18inequality_wrapperIZN2at6native12_GLOBAL__N_124unique_dim_cuda_templateIfEESt5tupleIJNSH_6TensorESM_SM_EERKSM_lbbbEUlllE0_EEPmJS6_EEE10hipError_tPvRmT3_T4_T5_T6_T7_T9_mT8_P12ihipStream_tbDpT10_ENKUlT_T0_E_clISt17integral_constantIbLb1EES1C_EEDaS17_S18_EUlS17_E_NS1_11comp_targetILNS1_3genE4ELNS1_11target_archE910ELNS1_3gpuE8ELNS1_3repE0EEENS1_30default_config_static_selectorELNS0_4arch9wavefront6targetE1EEEvT1_, .Lfunc_end939-_ZN7rocprim17ROCPRIM_400000_NS6detail17trampoline_kernelINS0_14default_configENS1_25partition_config_selectorILNS1_17partition_subalgoE8ElNS0_10empty_typeEbEEZZNS1_14partition_implILS5_8ELb0ES3_jPlPS6_PKS6_NS0_5tupleIJS9_S6_EEENSD_IJSA_SA_EEENS0_18inequality_wrapperIZN2at6native12_GLOBAL__N_124unique_dim_cuda_templateIfEESt5tupleIJNSH_6TensorESM_SM_EERKSM_lbbbEUlllE0_EEPmJS6_EEE10hipError_tPvRmT3_T4_T5_T6_T7_T9_mT8_P12ihipStream_tbDpT10_ENKUlT_T0_E_clISt17integral_constantIbLb1EES1C_EEDaS17_S18_EUlS17_E_NS1_11comp_targetILNS1_3genE4ELNS1_11target_archE910ELNS1_3gpuE8ELNS1_3repE0EEENS1_30default_config_static_selectorELNS0_4arch9wavefront6targetE1EEEvT1_
                                        ; -- End function
	.section	.AMDGPU.csdata,"",@progbits
; Kernel info:
; codeLenInByte = 11652
; NumSgprs: 56
; NumVgprs: 46
; NumAgprs: 0
; TotalNumVgprs: 46
; ScratchSize: 0
; MemoryBound: 0
; FloatMode: 240
; IeeeMode: 1
; LDSByteSize: 10252 bytes/workgroup (compile time only)
; SGPRBlocks: 6
; VGPRBlocks: 5
; NumSGPRsForWavesPerEU: 56
; NumVGPRsForWavesPerEU: 46
; AccumOffset: 48
; Occupancy: 6
; WaveLimiterHint : 1
; COMPUTE_PGM_RSRC2:SCRATCH_EN: 0
; COMPUTE_PGM_RSRC2:USER_SGPR: 6
; COMPUTE_PGM_RSRC2:TRAP_HANDLER: 0
; COMPUTE_PGM_RSRC2:TGID_X_EN: 1
; COMPUTE_PGM_RSRC2:TGID_Y_EN: 0
; COMPUTE_PGM_RSRC2:TGID_Z_EN: 0
; COMPUTE_PGM_RSRC2:TIDIG_COMP_CNT: 0
; COMPUTE_PGM_RSRC3_GFX90A:ACCUM_OFFSET: 11
; COMPUTE_PGM_RSRC3_GFX90A:TG_SPLIT: 0
	.section	.text._ZN7rocprim17ROCPRIM_400000_NS6detail17trampoline_kernelINS0_14default_configENS1_25partition_config_selectorILNS1_17partition_subalgoE8ElNS0_10empty_typeEbEEZZNS1_14partition_implILS5_8ELb0ES3_jPlPS6_PKS6_NS0_5tupleIJS9_S6_EEENSD_IJSA_SA_EEENS0_18inequality_wrapperIZN2at6native12_GLOBAL__N_124unique_dim_cuda_templateIfEESt5tupleIJNSH_6TensorESM_SM_EERKSM_lbbbEUlllE0_EEPmJS6_EEE10hipError_tPvRmT3_T4_T5_T6_T7_T9_mT8_P12ihipStream_tbDpT10_ENKUlT_T0_E_clISt17integral_constantIbLb1EES1C_EEDaS17_S18_EUlS17_E_NS1_11comp_targetILNS1_3genE3ELNS1_11target_archE908ELNS1_3gpuE7ELNS1_3repE0EEENS1_30default_config_static_selectorELNS0_4arch9wavefront6targetE1EEEvT1_,"axG",@progbits,_ZN7rocprim17ROCPRIM_400000_NS6detail17trampoline_kernelINS0_14default_configENS1_25partition_config_selectorILNS1_17partition_subalgoE8ElNS0_10empty_typeEbEEZZNS1_14partition_implILS5_8ELb0ES3_jPlPS6_PKS6_NS0_5tupleIJS9_S6_EEENSD_IJSA_SA_EEENS0_18inequality_wrapperIZN2at6native12_GLOBAL__N_124unique_dim_cuda_templateIfEESt5tupleIJNSH_6TensorESM_SM_EERKSM_lbbbEUlllE0_EEPmJS6_EEE10hipError_tPvRmT3_T4_T5_T6_T7_T9_mT8_P12ihipStream_tbDpT10_ENKUlT_T0_E_clISt17integral_constantIbLb1EES1C_EEDaS17_S18_EUlS17_E_NS1_11comp_targetILNS1_3genE3ELNS1_11target_archE908ELNS1_3gpuE7ELNS1_3repE0EEENS1_30default_config_static_selectorELNS0_4arch9wavefront6targetE1EEEvT1_,comdat
	.globl	_ZN7rocprim17ROCPRIM_400000_NS6detail17trampoline_kernelINS0_14default_configENS1_25partition_config_selectorILNS1_17partition_subalgoE8ElNS0_10empty_typeEbEEZZNS1_14partition_implILS5_8ELb0ES3_jPlPS6_PKS6_NS0_5tupleIJS9_S6_EEENSD_IJSA_SA_EEENS0_18inequality_wrapperIZN2at6native12_GLOBAL__N_124unique_dim_cuda_templateIfEESt5tupleIJNSH_6TensorESM_SM_EERKSM_lbbbEUlllE0_EEPmJS6_EEE10hipError_tPvRmT3_T4_T5_T6_T7_T9_mT8_P12ihipStream_tbDpT10_ENKUlT_T0_E_clISt17integral_constantIbLb1EES1C_EEDaS17_S18_EUlS17_E_NS1_11comp_targetILNS1_3genE3ELNS1_11target_archE908ELNS1_3gpuE7ELNS1_3repE0EEENS1_30default_config_static_selectorELNS0_4arch9wavefront6targetE1EEEvT1_ ; -- Begin function _ZN7rocprim17ROCPRIM_400000_NS6detail17trampoline_kernelINS0_14default_configENS1_25partition_config_selectorILNS1_17partition_subalgoE8ElNS0_10empty_typeEbEEZZNS1_14partition_implILS5_8ELb0ES3_jPlPS6_PKS6_NS0_5tupleIJS9_S6_EEENSD_IJSA_SA_EEENS0_18inequality_wrapperIZN2at6native12_GLOBAL__N_124unique_dim_cuda_templateIfEESt5tupleIJNSH_6TensorESM_SM_EERKSM_lbbbEUlllE0_EEPmJS6_EEE10hipError_tPvRmT3_T4_T5_T6_T7_T9_mT8_P12ihipStream_tbDpT10_ENKUlT_T0_E_clISt17integral_constantIbLb1EES1C_EEDaS17_S18_EUlS17_E_NS1_11comp_targetILNS1_3genE3ELNS1_11target_archE908ELNS1_3gpuE7ELNS1_3repE0EEENS1_30default_config_static_selectorELNS0_4arch9wavefront6targetE1EEEvT1_
	.p2align	8
	.type	_ZN7rocprim17ROCPRIM_400000_NS6detail17trampoline_kernelINS0_14default_configENS1_25partition_config_selectorILNS1_17partition_subalgoE8ElNS0_10empty_typeEbEEZZNS1_14partition_implILS5_8ELb0ES3_jPlPS6_PKS6_NS0_5tupleIJS9_S6_EEENSD_IJSA_SA_EEENS0_18inequality_wrapperIZN2at6native12_GLOBAL__N_124unique_dim_cuda_templateIfEESt5tupleIJNSH_6TensorESM_SM_EERKSM_lbbbEUlllE0_EEPmJS6_EEE10hipError_tPvRmT3_T4_T5_T6_T7_T9_mT8_P12ihipStream_tbDpT10_ENKUlT_T0_E_clISt17integral_constantIbLb1EES1C_EEDaS17_S18_EUlS17_E_NS1_11comp_targetILNS1_3genE3ELNS1_11target_archE908ELNS1_3gpuE7ELNS1_3repE0EEENS1_30default_config_static_selectorELNS0_4arch9wavefront6targetE1EEEvT1_,@function
_ZN7rocprim17ROCPRIM_400000_NS6detail17trampoline_kernelINS0_14default_configENS1_25partition_config_selectorILNS1_17partition_subalgoE8ElNS0_10empty_typeEbEEZZNS1_14partition_implILS5_8ELb0ES3_jPlPS6_PKS6_NS0_5tupleIJS9_S6_EEENSD_IJSA_SA_EEENS0_18inequality_wrapperIZN2at6native12_GLOBAL__N_124unique_dim_cuda_templateIfEESt5tupleIJNSH_6TensorESM_SM_EERKSM_lbbbEUlllE0_EEPmJS6_EEE10hipError_tPvRmT3_T4_T5_T6_T7_T9_mT8_P12ihipStream_tbDpT10_ENKUlT_T0_E_clISt17integral_constantIbLb1EES1C_EEDaS17_S18_EUlS17_E_NS1_11comp_targetILNS1_3genE3ELNS1_11target_archE908ELNS1_3gpuE7ELNS1_3repE0EEENS1_30default_config_static_selectorELNS0_4arch9wavefront6targetE1EEEvT1_: ; @_ZN7rocprim17ROCPRIM_400000_NS6detail17trampoline_kernelINS0_14default_configENS1_25partition_config_selectorILNS1_17partition_subalgoE8ElNS0_10empty_typeEbEEZZNS1_14partition_implILS5_8ELb0ES3_jPlPS6_PKS6_NS0_5tupleIJS9_S6_EEENSD_IJSA_SA_EEENS0_18inequality_wrapperIZN2at6native12_GLOBAL__N_124unique_dim_cuda_templateIfEESt5tupleIJNSH_6TensorESM_SM_EERKSM_lbbbEUlllE0_EEPmJS6_EEE10hipError_tPvRmT3_T4_T5_T6_T7_T9_mT8_P12ihipStream_tbDpT10_ENKUlT_T0_E_clISt17integral_constantIbLb1EES1C_EEDaS17_S18_EUlS17_E_NS1_11comp_targetILNS1_3genE3ELNS1_11target_archE908ELNS1_3gpuE7ELNS1_3repE0EEENS1_30default_config_static_selectorELNS0_4arch9wavefront6targetE1EEEvT1_
; %bb.0:
	.section	.rodata,"a",@progbits
	.p2align	6, 0x0
	.amdhsa_kernel _ZN7rocprim17ROCPRIM_400000_NS6detail17trampoline_kernelINS0_14default_configENS1_25partition_config_selectorILNS1_17partition_subalgoE8ElNS0_10empty_typeEbEEZZNS1_14partition_implILS5_8ELb0ES3_jPlPS6_PKS6_NS0_5tupleIJS9_S6_EEENSD_IJSA_SA_EEENS0_18inequality_wrapperIZN2at6native12_GLOBAL__N_124unique_dim_cuda_templateIfEESt5tupleIJNSH_6TensorESM_SM_EERKSM_lbbbEUlllE0_EEPmJS6_EEE10hipError_tPvRmT3_T4_T5_T6_T7_T9_mT8_P12ihipStream_tbDpT10_ENKUlT_T0_E_clISt17integral_constantIbLb1EES1C_EEDaS17_S18_EUlS17_E_NS1_11comp_targetILNS1_3genE3ELNS1_11target_archE908ELNS1_3gpuE7ELNS1_3repE0EEENS1_30default_config_static_selectorELNS0_4arch9wavefront6targetE1EEEvT1_
		.amdhsa_group_segment_fixed_size 0
		.amdhsa_private_segment_fixed_size 0
		.amdhsa_kernarg_size 136
		.amdhsa_user_sgpr_count 6
		.amdhsa_user_sgpr_private_segment_buffer 1
		.amdhsa_user_sgpr_dispatch_ptr 0
		.amdhsa_user_sgpr_queue_ptr 0
		.amdhsa_user_sgpr_kernarg_segment_ptr 1
		.amdhsa_user_sgpr_dispatch_id 0
		.amdhsa_user_sgpr_flat_scratch_init 0
		.amdhsa_user_sgpr_kernarg_preload_length 0
		.amdhsa_user_sgpr_kernarg_preload_offset 0
		.amdhsa_user_sgpr_private_segment_size 0
		.amdhsa_uses_dynamic_stack 0
		.amdhsa_system_sgpr_private_segment_wavefront_offset 0
		.amdhsa_system_sgpr_workgroup_id_x 1
		.amdhsa_system_sgpr_workgroup_id_y 0
		.amdhsa_system_sgpr_workgroup_id_z 0
		.amdhsa_system_sgpr_workgroup_info 0
		.amdhsa_system_vgpr_workitem_id 0
		.amdhsa_next_free_vgpr 1
		.amdhsa_next_free_sgpr 0
		.amdhsa_accum_offset 4
		.amdhsa_reserve_vcc 0
		.amdhsa_reserve_flat_scratch 0
		.amdhsa_float_round_mode_32 0
		.amdhsa_float_round_mode_16_64 0
		.amdhsa_float_denorm_mode_32 3
		.amdhsa_float_denorm_mode_16_64 3
		.amdhsa_dx10_clamp 1
		.amdhsa_ieee_mode 1
		.amdhsa_fp16_overflow 0
		.amdhsa_tg_split 0
		.amdhsa_exception_fp_ieee_invalid_op 0
		.amdhsa_exception_fp_denorm_src 0
		.amdhsa_exception_fp_ieee_div_zero 0
		.amdhsa_exception_fp_ieee_overflow 0
		.amdhsa_exception_fp_ieee_underflow 0
		.amdhsa_exception_fp_ieee_inexact 0
		.amdhsa_exception_int_div_zero 0
	.end_amdhsa_kernel
	.section	.text._ZN7rocprim17ROCPRIM_400000_NS6detail17trampoline_kernelINS0_14default_configENS1_25partition_config_selectorILNS1_17partition_subalgoE8ElNS0_10empty_typeEbEEZZNS1_14partition_implILS5_8ELb0ES3_jPlPS6_PKS6_NS0_5tupleIJS9_S6_EEENSD_IJSA_SA_EEENS0_18inequality_wrapperIZN2at6native12_GLOBAL__N_124unique_dim_cuda_templateIfEESt5tupleIJNSH_6TensorESM_SM_EERKSM_lbbbEUlllE0_EEPmJS6_EEE10hipError_tPvRmT3_T4_T5_T6_T7_T9_mT8_P12ihipStream_tbDpT10_ENKUlT_T0_E_clISt17integral_constantIbLb1EES1C_EEDaS17_S18_EUlS17_E_NS1_11comp_targetILNS1_3genE3ELNS1_11target_archE908ELNS1_3gpuE7ELNS1_3repE0EEENS1_30default_config_static_selectorELNS0_4arch9wavefront6targetE1EEEvT1_,"axG",@progbits,_ZN7rocprim17ROCPRIM_400000_NS6detail17trampoline_kernelINS0_14default_configENS1_25partition_config_selectorILNS1_17partition_subalgoE8ElNS0_10empty_typeEbEEZZNS1_14partition_implILS5_8ELb0ES3_jPlPS6_PKS6_NS0_5tupleIJS9_S6_EEENSD_IJSA_SA_EEENS0_18inequality_wrapperIZN2at6native12_GLOBAL__N_124unique_dim_cuda_templateIfEESt5tupleIJNSH_6TensorESM_SM_EERKSM_lbbbEUlllE0_EEPmJS6_EEE10hipError_tPvRmT3_T4_T5_T6_T7_T9_mT8_P12ihipStream_tbDpT10_ENKUlT_T0_E_clISt17integral_constantIbLb1EES1C_EEDaS17_S18_EUlS17_E_NS1_11comp_targetILNS1_3genE3ELNS1_11target_archE908ELNS1_3gpuE7ELNS1_3repE0EEENS1_30default_config_static_selectorELNS0_4arch9wavefront6targetE1EEEvT1_,comdat
.Lfunc_end940:
	.size	_ZN7rocprim17ROCPRIM_400000_NS6detail17trampoline_kernelINS0_14default_configENS1_25partition_config_selectorILNS1_17partition_subalgoE8ElNS0_10empty_typeEbEEZZNS1_14partition_implILS5_8ELb0ES3_jPlPS6_PKS6_NS0_5tupleIJS9_S6_EEENSD_IJSA_SA_EEENS0_18inequality_wrapperIZN2at6native12_GLOBAL__N_124unique_dim_cuda_templateIfEESt5tupleIJNSH_6TensorESM_SM_EERKSM_lbbbEUlllE0_EEPmJS6_EEE10hipError_tPvRmT3_T4_T5_T6_T7_T9_mT8_P12ihipStream_tbDpT10_ENKUlT_T0_E_clISt17integral_constantIbLb1EES1C_EEDaS17_S18_EUlS17_E_NS1_11comp_targetILNS1_3genE3ELNS1_11target_archE908ELNS1_3gpuE7ELNS1_3repE0EEENS1_30default_config_static_selectorELNS0_4arch9wavefront6targetE1EEEvT1_, .Lfunc_end940-_ZN7rocprim17ROCPRIM_400000_NS6detail17trampoline_kernelINS0_14default_configENS1_25partition_config_selectorILNS1_17partition_subalgoE8ElNS0_10empty_typeEbEEZZNS1_14partition_implILS5_8ELb0ES3_jPlPS6_PKS6_NS0_5tupleIJS9_S6_EEENSD_IJSA_SA_EEENS0_18inequality_wrapperIZN2at6native12_GLOBAL__N_124unique_dim_cuda_templateIfEESt5tupleIJNSH_6TensorESM_SM_EERKSM_lbbbEUlllE0_EEPmJS6_EEE10hipError_tPvRmT3_T4_T5_T6_T7_T9_mT8_P12ihipStream_tbDpT10_ENKUlT_T0_E_clISt17integral_constantIbLb1EES1C_EEDaS17_S18_EUlS17_E_NS1_11comp_targetILNS1_3genE3ELNS1_11target_archE908ELNS1_3gpuE7ELNS1_3repE0EEENS1_30default_config_static_selectorELNS0_4arch9wavefront6targetE1EEEvT1_
                                        ; -- End function
	.section	.AMDGPU.csdata,"",@progbits
; Kernel info:
; codeLenInByte = 0
; NumSgprs: 4
; NumVgprs: 0
; NumAgprs: 0
; TotalNumVgprs: 0
; ScratchSize: 0
; MemoryBound: 0
; FloatMode: 240
; IeeeMode: 1
; LDSByteSize: 0 bytes/workgroup (compile time only)
; SGPRBlocks: 0
; VGPRBlocks: 0
; NumSGPRsForWavesPerEU: 4
; NumVGPRsForWavesPerEU: 1
; AccumOffset: 4
; Occupancy: 8
; WaveLimiterHint : 0
; COMPUTE_PGM_RSRC2:SCRATCH_EN: 0
; COMPUTE_PGM_RSRC2:USER_SGPR: 6
; COMPUTE_PGM_RSRC2:TRAP_HANDLER: 0
; COMPUTE_PGM_RSRC2:TGID_X_EN: 1
; COMPUTE_PGM_RSRC2:TGID_Y_EN: 0
; COMPUTE_PGM_RSRC2:TGID_Z_EN: 0
; COMPUTE_PGM_RSRC2:TIDIG_COMP_CNT: 0
; COMPUTE_PGM_RSRC3_GFX90A:ACCUM_OFFSET: 0
; COMPUTE_PGM_RSRC3_GFX90A:TG_SPLIT: 0
	.section	.text._ZN7rocprim17ROCPRIM_400000_NS6detail17trampoline_kernelINS0_14default_configENS1_25partition_config_selectorILNS1_17partition_subalgoE8ElNS0_10empty_typeEbEEZZNS1_14partition_implILS5_8ELb0ES3_jPlPS6_PKS6_NS0_5tupleIJS9_S6_EEENSD_IJSA_SA_EEENS0_18inequality_wrapperIZN2at6native12_GLOBAL__N_124unique_dim_cuda_templateIfEESt5tupleIJNSH_6TensorESM_SM_EERKSM_lbbbEUlllE0_EEPmJS6_EEE10hipError_tPvRmT3_T4_T5_T6_T7_T9_mT8_P12ihipStream_tbDpT10_ENKUlT_T0_E_clISt17integral_constantIbLb1EES1C_EEDaS17_S18_EUlS17_E_NS1_11comp_targetILNS1_3genE2ELNS1_11target_archE906ELNS1_3gpuE6ELNS1_3repE0EEENS1_30default_config_static_selectorELNS0_4arch9wavefront6targetE1EEEvT1_,"axG",@progbits,_ZN7rocprim17ROCPRIM_400000_NS6detail17trampoline_kernelINS0_14default_configENS1_25partition_config_selectorILNS1_17partition_subalgoE8ElNS0_10empty_typeEbEEZZNS1_14partition_implILS5_8ELb0ES3_jPlPS6_PKS6_NS0_5tupleIJS9_S6_EEENSD_IJSA_SA_EEENS0_18inequality_wrapperIZN2at6native12_GLOBAL__N_124unique_dim_cuda_templateIfEESt5tupleIJNSH_6TensorESM_SM_EERKSM_lbbbEUlllE0_EEPmJS6_EEE10hipError_tPvRmT3_T4_T5_T6_T7_T9_mT8_P12ihipStream_tbDpT10_ENKUlT_T0_E_clISt17integral_constantIbLb1EES1C_EEDaS17_S18_EUlS17_E_NS1_11comp_targetILNS1_3genE2ELNS1_11target_archE906ELNS1_3gpuE6ELNS1_3repE0EEENS1_30default_config_static_selectorELNS0_4arch9wavefront6targetE1EEEvT1_,comdat
	.globl	_ZN7rocprim17ROCPRIM_400000_NS6detail17trampoline_kernelINS0_14default_configENS1_25partition_config_selectorILNS1_17partition_subalgoE8ElNS0_10empty_typeEbEEZZNS1_14partition_implILS5_8ELb0ES3_jPlPS6_PKS6_NS0_5tupleIJS9_S6_EEENSD_IJSA_SA_EEENS0_18inequality_wrapperIZN2at6native12_GLOBAL__N_124unique_dim_cuda_templateIfEESt5tupleIJNSH_6TensorESM_SM_EERKSM_lbbbEUlllE0_EEPmJS6_EEE10hipError_tPvRmT3_T4_T5_T6_T7_T9_mT8_P12ihipStream_tbDpT10_ENKUlT_T0_E_clISt17integral_constantIbLb1EES1C_EEDaS17_S18_EUlS17_E_NS1_11comp_targetILNS1_3genE2ELNS1_11target_archE906ELNS1_3gpuE6ELNS1_3repE0EEENS1_30default_config_static_selectorELNS0_4arch9wavefront6targetE1EEEvT1_ ; -- Begin function _ZN7rocprim17ROCPRIM_400000_NS6detail17trampoline_kernelINS0_14default_configENS1_25partition_config_selectorILNS1_17partition_subalgoE8ElNS0_10empty_typeEbEEZZNS1_14partition_implILS5_8ELb0ES3_jPlPS6_PKS6_NS0_5tupleIJS9_S6_EEENSD_IJSA_SA_EEENS0_18inequality_wrapperIZN2at6native12_GLOBAL__N_124unique_dim_cuda_templateIfEESt5tupleIJNSH_6TensorESM_SM_EERKSM_lbbbEUlllE0_EEPmJS6_EEE10hipError_tPvRmT3_T4_T5_T6_T7_T9_mT8_P12ihipStream_tbDpT10_ENKUlT_T0_E_clISt17integral_constantIbLb1EES1C_EEDaS17_S18_EUlS17_E_NS1_11comp_targetILNS1_3genE2ELNS1_11target_archE906ELNS1_3gpuE6ELNS1_3repE0EEENS1_30default_config_static_selectorELNS0_4arch9wavefront6targetE1EEEvT1_
	.p2align	8
	.type	_ZN7rocprim17ROCPRIM_400000_NS6detail17trampoline_kernelINS0_14default_configENS1_25partition_config_selectorILNS1_17partition_subalgoE8ElNS0_10empty_typeEbEEZZNS1_14partition_implILS5_8ELb0ES3_jPlPS6_PKS6_NS0_5tupleIJS9_S6_EEENSD_IJSA_SA_EEENS0_18inequality_wrapperIZN2at6native12_GLOBAL__N_124unique_dim_cuda_templateIfEESt5tupleIJNSH_6TensorESM_SM_EERKSM_lbbbEUlllE0_EEPmJS6_EEE10hipError_tPvRmT3_T4_T5_T6_T7_T9_mT8_P12ihipStream_tbDpT10_ENKUlT_T0_E_clISt17integral_constantIbLb1EES1C_EEDaS17_S18_EUlS17_E_NS1_11comp_targetILNS1_3genE2ELNS1_11target_archE906ELNS1_3gpuE6ELNS1_3repE0EEENS1_30default_config_static_selectorELNS0_4arch9wavefront6targetE1EEEvT1_,@function
_ZN7rocprim17ROCPRIM_400000_NS6detail17trampoline_kernelINS0_14default_configENS1_25partition_config_selectorILNS1_17partition_subalgoE8ElNS0_10empty_typeEbEEZZNS1_14partition_implILS5_8ELb0ES3_jPlPS6_PKS6_NS0_5tupleIJS9_S6_EEENSD_IJSA_SA_EEENS0_18inequality_wrapperIZN2at6native12_GLOBAL__N_124unique_dim_cuda_templateIfEESt5tupleIJNSH_6TensorESM_SM_EERKSM_lbbbEUlllE0_EEPmJS6_EEE10hipError_tPvRmT3_T4_T5_T6_T7_T9_mT8_P12ihipStream_tbDpT10_ENKUlT_T0_E_clISt17integral_constantIbLb1EES1C_EEDaS17_S18_EUlS17_E_NS1_11comp_targetILNS1_3genE2ELNS1_11target_archE906ELNS1_3gpuE6ELNS1_3repE0EEENS1_30default_config_static_selectorELNS0_4arch9wavefront6targetE1EEEvT1_: ; @_ZN7rocprim17ROCPRIM_400000_NS6detail17trampoline_kernelINS0_14default_configENS1_25partition_config_selectorILNS1_17partition_subalgoE8ElNS0_10empty_typeEbEEZZNS1_14partition_implILS5_8ELb0ES3_jPlPS6_PKS6_NS0_5tupleIJS9_S6_EEENSD_IJSA_SA_EEENS0_18inequality_wrapperIZN2at6native12_GLOBAL__N_124unique_dim_cuda_templateIfEESt5tupleIJNSH_6TensorESM_SM_EERKSM_lbbbEUlllE0_EEPmJS6_EEE10hipError_tPvRmT3_T4_T5_T6_T7_T9_mT8_P12ihipStream_tbDpT10_ENKUlT_T0_E_clISt17integral_constantIbLb1EES1C_EEDaS17_S18_EUlS17_E_NS1_11comp_targetILNS1_3genE2ELNS1_11target_archE906ELNS1_3gpuE6ELNS1_3repE0EEENS1_30default_config_static_selectorELNS0_4arch9wavefront6targetE1EEEvT1_
; %bb.0:
	.section	.rodata,"a",@progbits
	.p2align	6, 0x0
	.amdhsa_kernel _ZN7rocprim17ROCPRIM_400000_NS6detail17trampoline_kernelINS0_14default_configENS1_25partition_config_selectorILNS1_17partition_subalgoE8ElNS0_10empty_typeEbEEZZNS1_14partition_implILS5_8ELb0ES3_jPlPS6_PKS6_NS0_5tupleIJS9_S6_EEENSD_IJSA_SA_EEENS0_18inequality_wrapperIZN2at6native12_GLOBAL__N_124unique_dim_cuda_templateIfEESt5tupleIJNSH_6TensorESM_SM_EERKSM_lbbbEUlllE0_EEPmJS6_EEE10hipError_tPvRmT3_T4_T5_T6_T7_T9_mT8_P12ihipStream_tbDpT10_ENKUlT_T0_E_clISt17integral_constantIbLb1EES1C_EEDaS17_S18_EUlS17_E_NS1_11comp_targetILNS1_3genE2ELNS1_11target_archE906ELNS1_3gpuE6ELNS1_3repE0EEENS1_30default_config_static_selectorELNS0_4arch9wavefront6targetE1EEEvT1_
		.amdhsa_group_segment_fixed_size 0
		.amdhsa_private_segment_fixed_size 0
		.amdhsa_kernarg_size 136
		.amdhsa_user_sgpr_count 6
		.amdhsa_user_sgpr_private_segment_buffer 1
		.amdhsa_user_sgpr_dispatch_ptr 0
		.amdhsa_user_sgpr_queue_ptr 0
		.amdhsa_user_sgpr_kernarg_segment_ptr 1
		.amdhsa_user_sgpr_dispatch_id 0
		.amdhsa_user_sgpr_flat_scratch_init 0
		.amdhsa_user_sgpr_kernarg_preload_length 0
		.amdhsa_user_sgpr_kernarg_preload_offset 0
		.amdhsa_user_sgpr_private_segment_size 0
		.amdhsa_uses_dynamic_stack 0
		.amdhsa_system_sgpr_private_segment_wavefront_offset 0
		.amdhsa_system_sgpr_workgroup_id_x 1
		.amdhsa_system_sgpr_workgroup_id_y 0
		.amdhsa_system_sgpr_workgroup_id_z 0
		.amdhsa_system_sgpr_workgroup_info 0
		.amdhsa_system_vgpr_workitem_id 0
		.amdhsa_next_free_vgpr 1
		.amdhsa_next_free_sgpr 0
		.amdhsa_accum_offset 4
		.amdhsa_reserve_vcc 0
		.amdhsa_reserve_flat_scratch 0
		.amdhsa_float_round_mode_32 0
		.amdhsa_float_round_mode_16_64 0
		.amdhsa_float_denorm_mode_32 3
		.amdhsa_float_denorm_mode_16_64 3
		.amdhsa_dx10_clamp 1
		.amdhsa_ieee_mode 1
		.amdhsa_fp16_overflow 0
		.amdhsa_tg_split 0
		.amdhsa_exception_fp_ieee_invalid_op 0
		.amdhsa_exception_fp_denorm_src 0
		.amdhsa_exception_fp_ieee_div_zero 0
		.amdhsa_exception_fp_ieee_overflow 0
		.amdhsa_exception_fp_ieee_underflow 0
		.amdhsa_exception_fp_ieee_inexact 0
		.amdhsa_exception_int_div_zero 0
	.end_amdhsa_kernel
	.section	.text._ZN7rocprim17ROCPRIM_400000_NS6detail17trampoline_kernelINS0_14default_configENS1_25partition_config_selectorILNS1_17partition_subalgoE8ElNS0_10empty_typeEbEEZZNS1_14partition_implILS5_8ELb0ES3_jPlPS6_PKS6_NS0_5tupleIJS9_S6_EEENSD_IJSA_SA_EEENS0_18inequality_wrapperIZN2at6native12_GLOBAL__N_124unique_dim_cuda_templateIfEESt5tupleIJNSH_6TensorESM_SM_EERKSM_lbbbEUlllE0_EEPmJS6_EEE10hipError_tPvRmT3_T4_T5_T6_T7_T9_mT8_P12ihipStream_tbDpT10_ENKUlT_T0_E_clISt17integral_constantIbLb1EES1C_EEDaS17_S18_EUlS17_E_NS1_11comp_targetILNS1_3genE2ELNS1_11target_archE906ELNS1_3gpuE6ELNS1_3repE0EEENS1_30default_config_static_selectorELNS0_4arch9wavefront6targetE1EEEvT1_,"axG",@progbits,_ZN7rocprim17ROCPRIM_400000_NS6detail17trampoline_kernelINS0_14default_configENS1_25partition_config_selectorILNS1_17partition_subalgoE8ElNS0_10empty_typeEbEEZZNS1_14partition_implILS5_8ELb0ES3_jPlPS6_PKS6_NS0_5tupleIJS9_S6_EEENSD_IJSA_SA_EEENS0_18inequality_wrapperIZN2at6native12_GLOBAL__N_124unique_dim_cuda_templateIfEESt5tupleIJNSH_6TensorESM_SM_EERKSM_lbbbEUlllE0_EEPmJS6_EEE10hipError_tPvRmT3_T4_T5_T6_T7_T9_mT8_P12ihipStream_tbDpT10_ENKUlT_T0_E_clISt17integral_constantIbLb1EES1C_EEDaS17_S18_EUlS17_E_NS1_11comp_targetILNS1_3genE2ELNS1_11target_archE906ELNS1_3gpuE6ELNS1_3repE0EEENS1_30default_config_static_selectorELNS0_4arch9wavefront6targetE1EEEvT1_,comdat
.Lfunc_end941:
	.size	_ZN7rocprim17ROCPRIM_400000_NS6detail17trampoline_kernelINS0_14default_configENS1_25partition_config_selectorILNS1_17partition_subalgoE8ElNS0_10empty_typeEbEEZZNS1_14partition_implILS5_8ELb0ES3_jPlPS6_PKS6_NS0_5tupleIJS9_S6_EEENSD_IJSA_SA_EEENS0_18inequality_wrapperIZN2at6native12_GLOBAL__N_124unique_dim_cuda_templateIfEESt5tupleIJNSH_6TensorESM_SM_EERKSM_lbbbEUlllE0_EEPmJS6_EEE10hipError_tPvRmT3_T4_T5_T6_T7_T9_mT8_P12ihipStream_tbDpT10_ENKUlT_T0_E_clISt17integral_constantIbLb1EES1C_EEDaS17_S18_EUlS17_E_NS1_11comp_targetILNS1_3genE2ELNS1_11target_archE906ELNS1_3gpuE6ELNS1_3repE0EEENS1_30default_config_static_selectorELNS0_4arch9wavefront6targetE1EEEvT1_, .Lfunc_end941-_ZN7rocprim17ROCPRIM_400000_NS6detail17trampoline_kernelINS0_14default_configENS1_25partition_config_selectorILNS1_17partition_subalgoE8ElNS0_10empty_typeEbEEZZNS1_14partition_implILS5_8ELb0ES3_jPlPS6_PKS6_NS0_5tupleIJS9_S6_EEENSD_IJSA_SA_EEENS0_18inequality_wrapperIZN2at6native12_GLOBAL__N_124unique_dim_cuda_templateIfEESt5tupleIJNSH_6TensorESM_SM_EERKSM_lbbbEUlllE0_EEPmJS6_EEE10hipError_tPvRmT3_T4_T5_T6_T7_T9_mT8_P12ihipStream_tbDpT10_ENKUlT_T0_E_clISt17integral_constantIbLb1EES1C_EEDaS17_S18_EUlS17_E_NS1_11comp_targetILNS1_3genE2ELNS1_11target_archE906ELNS1_3gpuE6ELNS1_3repE0EEENS1_30default_config_static_selectorELNS0_4arch9wavefront6targetE1EEEvT1_
                                        ; -- End function
	.section	.AMDGPU.csdata,"",@progbits
; Kernel info:
; codeLenInByte = 0
; NumSgprs: 4
; NumVgprs: 0
; NumAgprs: 0
; TotalNumVgprs: 0
; ScratchSize: 0
; MemoryBound: 0
; FloatMode: 240
; IeeeMode: 1
; LDSByteSize: 0 bytes/workgroup (compile time only)
; SGPRBlocks: 0
; VGPRBlocks: 0
; NumSGPRsForWavesPerEU: 4
; NumVGPRsForWavesPerEU: 1
; AccumOffset: 4
; Occupancy: 8
; WaveLimiterHint : 0
; COMPUTE_PGM_RSRC2:SCRATCH_EN: 0
; COMPUTE_PGM_RSRC2:USER_SGPR: 6
; COMPUTE_PGM_RSRC2:TRAP_HANDLER: 0
; COMPUTE_PGM_RSRC2:TGID_X_EN: 1
; COMPUTE_PGM_RSRC2:TGID_Y_EN: 0
; COMPUTE_PGM_RSRC2:TGID_Z_EN: 0
; COMPUTE_PGM_RSRC2:TIDIG_COMP_CNT: 0
; COMPUTE_PGM_RSRC3_GFX90A:ACCUM_OFFSET: 0
; COMPUTE_PGM_RSRC3_GFX90A:TG_SPLIT: 0
	.section	.text._ZN7rocprim17ROCPRIM_400000_NS6detail17trampoline_kernelINS0_14default_configENS1_25partition_config_selectorILNS1_17partition_subalgoE8ElNS0_10empty_typeEbEEZZNS1_14partition_implILS5_8ELb0ES3_jPlPS6_PKS6_NS0_5tupleIJS9_S6_EEENSD_IJSA_SA_EEENS0_18inequality_wrapperIZN2at6native12_GLOBAL__N_124unique_dim_cuda_templateIfEESt5tupleIJNSH_6TensorESM_SM_EERKSM_lbbbEUlllE0_EEPmJS6_EEE10hipError_tPvRmT3_T4_T5_T6_T7_T9_mT8_P12ihipStream_tbDpT10_ENKUlT_T0_E_clISt17integral_constantIbLb1EES1C_EEDaS17_S18_EUlS17_E_NS1_11comp_targetILNS1_3genE10ELNS1_11target_archE1200ELNS1_3gpuE4ELNS1_3repE0EEENS1_30default_config_static_selectorELNS0_4arch9wavefront6targetE1EEEvT1_,"axG",@progbits,_ZN7rocprim17ROCPRIM_400000_NS6detail17trampoline_kernelINS0_14default_configENS1_25partition_config_selectorILNS1_17partition_subalgoE8ElNS0_10empty_typeEbEEZZNS1_14partition_implILS5_8ELb0ES3_jPlPS6_PKS6_NS0_5tupleIJS9_S6_EEENSD_IJSA_SA_EEENS0_18inequality_wrapperIZN2at6native12_GLOBAL__N_124unique_dim_cuda_templateIfEESt5tupleIJNSH_6TensorESM_SM_EERKSM_lbbbEUlllE0_EEPmJS6_EEE10hipError_tPvRmT3_T4_T5_T6_T7_T9_mT8_P12ihipStream_tbDpT10_ENKUlT_T0_E_clISt17integral_constantIbLb1EES1C_EEDaS17_S18_EUlS17_E_NS1_11comp_targetILNS1_3genE10ELNS1_11target_archE1200ELNS1_3gpuE4ELNS1_3repE0EEENS1_30default_config_static_selectorELNS0_4arch9wavefront6targetE1EEEvT1_,comdat
	.globl	_ZN7rocprim17ROCPRIM_400000_NS6detail17trampoline_kernelINS0_14default_configENS1_25partition_config_selectorILNS1_17partition_subalgoE8ElNS0_10empty_typeEbEEZZNS1_14partition_implILS5_8ELb0ES3_jPlPS6_PKS6_NS0_5tupleIJS9_S6_EEENSD_IJSA_SA_EEENS0_18inequality_wrapperIZN2at6native12_GLOBAL__N_124unique_dim_cuda_templateIfEESt5tupleIJNSH_6TensorESM_SM_EERKSM_lbbbEUlllE0_EEPmJS6_EEE10hipError_tPvRmT3_T4_T5_T6_T7_T9_mT8_P12ihipStream_tbDpT10_ENKUlT_T0_E_clISt17integral_constantIbLb1EES1C_EEDaS17_S18_EUlS17_E_NS1_11comp_targetILNS1_3genE10ELNS1_11target_archE1200ELNS1_3gpuE4ELNS1_3repE0EEENS1_30default_config_static_selectorELNS0_4arch9wavefront6targetE1EEEvT1_ ; -- Begin function _ZN7rocprim17ROCPRIM_400000_NS6detail17trampoline_kernelINS0_14default_configENS1_25partition_config_selectorILNS1_17partition_subalgoE8ElNS0_10empty_typeEbEEZZNS1_14partition_implILS5_8ELb0ES3_jPlPS6_PKS6_NS0_5tupleIJS9_S6_EEENSD_IJSA_SA_EEENS0_18inequality_wrapperIZN2at6native12_GLOBAL__N_124unique_dim_cuda_templateIfEESt5tupleIJNSH_6TensorESM_SM_EERKSM_lbbbEUlllE0_EEPmJS6_EEE10hipError_tPvRmT3_T4_T5_T6_T7_T9_mT8_P12ihipStream_tbDpT10_ENKUlT_T0_E_clISt17integral_constantIbLb1EES1C_EEDaS17_S18_EUlS17_E_NS1_11comp_targetILNS1_3genE10ELNS1_11target_archE1200ELNS1_3gpuE4ELNS1_3repE0EEENS1_30default_config_static_selectorELNS0_4arch9wavefront6targetE1EEEvT1_
	.p2align	8
	.type	_ZN7rocprim17ROCPRIM_400000_NS6detail17trampoline_kernelINS0_14default_configENS1_25partition_config_selectorILNS1_17partition_subalgoE8ElNS0_10empty_typeEbEEZZNS1_14partition_implILS5_8ELb0ES3_jPlPS6_PKS6_NS0_5tupleIJS9_S6_EEENSD_IJSA_SA_EEENS0_18inequality_wrapperIZN2at6native12_GLOBAL__N_124unique_dim_cuda_templateIfEESt5tupleIJNSH_6TensorESM_SM_EERKSM_lbbbEUlllE0_EEPmJS6_EEE10hipError_tPvRmT3_T4_T5_T6_T7_T9_mT8_P12ihipStream_tbDpT10_ENKUlT_T0_E_clISt17integral_constantIbLb1EES1C_EEDaS17_S18_EUlS17_E_NS1_11comp_targetILNS1_3genE10ELNS1_11target_archE1200ELNS1_3gpuE4ELNS1_3repE0EEENS1_30default_config_static_selectorELNS0_4arch9wavefront6targetE1EEEvT1_,@function
_ZN7rocprim17ROCPRIM_400000_NS6detail17trampoline_kernelINS0_14default_configENS1_25partition_config_selectorILNS1_17partition_subalgoE8ElNS0_10empty_typeEbEEZZNS1_14partition_implILS5_8ELb0ES3_jPlPS6_PKS6_NS0_5tupleIJS9_S6_EEENSD_IJSA_SA_EEENS0_18inequality_wrapperIZN2at6native12_GLOBAL__N_124unique_dim_cuda_templateIfEESt5tupleIJNSH_6TensorESM_SM_EERKSM_lbbbEUlllE0_EEPmJS6_EEE10hipError_tPvRmT3_T4_T5_T6_T7_T9_mT8_P12ihipStream_tbDpT10_ENKUlT_T0_E_clISt17integral_constantIbLb1EES1C_EEDaS17_S18_EUlS17_E_NS1_11comp_targetILNS1_3genE10ELNS1_11target_archE1200ELNS1_3gpuE4ELNS1_3repE0EEENS1_30default_config_static_selectorELNS0_4arch9wavefront6targetE1EEEvT1_: ; @_ZN7rocprim17ROCPRIM_400000_NS6detail17trampoline_kernelINS0_14default_configENS1_25partition_config_selectorILNS1_17partition_subalgoE8ElNS0_10empty_typeEbEEZZNS1_14partition_implILS5_8ELb0ES3_jPlPS6_PKS6_NS0_5tupleIJS9_S6_EEENSD_IJSA_SA_EEENS0_18inequality_wrapperIZN2at6native12_GLOBAL__N_124unique_dim_cuda_templateIfEESt5tupleIJNSH_6TensorESM_SM_EERKSM_lbbbEUlllE0_EEPmJS6_EEE10hipError_tPvRmT3_T4_T5_T6_T7_T9_mT8_P12ihipStream_tbDpT10_ENKUlT_T0_E_clISt17integral_constantIbLb1EES1C_EEDaS17_S18_EUlS17_E_NS1_11comp_targetILNS1_3genE10ELNS1_11target_archE1200ELNS1_3gpuE4ELNS1_3repE0EEENS1_30default_config_static_selectorELNS0_4arch9wavefront6targetE1EEEvT1_
; %bb.0:
	.section	.rodata,"a",@progbits
	.p2align	6, 0x0
	.amdhsa_kernel _ZN7rocprim17ROCPRIM_400000_NS6detail17trampoline_kernelINS0_14default_configENS1_25partition_config_selectorILNS1_17partition_subalgoE8ElNS0_10empty_typeEbEEZZNS1_14partition_implILS5_8ELb0ES3_jPlPS6_PKS6_NS0_5tupleIJS9_S6_EEENSD_IJSA_SA_EEENS0_18inequality_wrapperIZN2at6native12_GLOBAL__N_124unique_dim_cuda_templateIfEESt5tupleIJNSH_6TensorESM_SM_EERKSM_lbbbEUlllE0_EEPmJS6_EEE10hipError_tPvRmT3_T4_T5_T6_T7_T9_mT8_P12ihipStream_tbDpT10_ENKUlT_T0_E_clISt17integral_constantIbLb1EES1C_EEDaS17_S18_EUlS17_E_NS1_11comp_targetILNS1_3genE10ELNS1_11target_archE1200ELNS1_3gpuE4ELNS1_3repE0EEENS1_30default_config_static_selectorELNS0_4arch9wavefront6targetE1EEEvT1_
		.amdhsa_group_segment_fixed_size 0
		.amdhsa_private_segment_fixed_size 0
		.amdhsa_kernarg_size 136
		.amdhsa_user_sgpr_count 6
		.amdhsa_user_sgpr_private_segment_buffer 1
		.amdhsa_user_sgpr_dispatch_ptr 0
		.amdhsa_user_sgpr_queue_ptr 0
		.amdhsa_user_sgpr_kernarg_segment_ptr 1
		.amdhsa_user_sgpr_dispatch_id 0
		.amdhsa_user_sgpr_flat_scratch_init 0
		.amdhsa_user_sgpr_kernarg_preload_length 0
		.amdhsa_user_sgpr_kernarg_preload_offset 0
		.amdhsa_user_sgpr_private_segment_size 0
		.amdhsa_uses_dynamic_stack 0
		.amdhsa_system_sgpr_private_segment_wavefront_offset 0
		.amdhsa_system_sgpr_workgroup_id_x 1
		.amdhsa_system_sgpr_workgroup_id_y 0
		.amdhsa_system_sgpr_workgroup_id_z 0
		.amdhsa_system_sgpr_workgroup_info 0
		.amdhsa_system_vgpr_workitem_id 0
		.amdhsa_next_free_vgpr 1
		.amdhsa_next_free_sgpr 0
		.amdhsa_accum_offset 4
		.amdhsa_reserve_vcc 0
		.amdhsa_reserve_flat_scratch 0
		.amdhsa_float_round_mode_32 0
		.amdhsa_float_round_mode_16_64 0
		.amdhsa_float_denorm_mode_32 3
		.amdhsa_float_denorm_mode_16_64 3
		.amdhsa_dx10_clamp 1
		.amdhsa_ieee_mode 1
		.amdhsa_fp16_overflow 0
		.amdhsa_tg_split 0
		.amdhsa_exception_fp_ieee_invalid_op 0
		.amdhsa_exception_fp_denorm_src 0
		.amdhsa_exception_fp_ieee_div_zero 0
		.amdhsa_exception_fp_ieee_overflow 0
		.amdhsa_exception_fp_ieee_underflow 0
		.amdhsa_exception_fp_ieee_inexact 0
		.amdhsa_exception_int_div_zero 0
	.end_amdhsa_kernel
	.section	.text._ZN7rocprim17ROCPRIM_400000_NS6detail17trampoline_kernelINS0_14default_configENS1_25partition_config_selectorILNS1_17partition_subalgoE8ElNS0_10empty_typeEbEEZZNS1_14partition_implILS5_8ELb0ES3_jPlPS6_PKS6_NS0_5tupleIJS9_S6_EEENSD_IJSA_SA_EEENS0_18inequality_wrapperIZN2at6native12_GLOBAL__N_124unique_dim_cuda_templateIfEESt5tupleIJNSH_6TensorESM_SM_EERKSM_lbbbEUlllE0_EEPmJS6_EEE10hipError_tPvRmT3_T4_T5_T6_T7_T9_mT8_P12ihipStream_tbDpT10_ENKUlT_T0_E_clISt17integral_constantIbLb1EES1C_EEDaS17_S18_EUlS17_E_NS1_11comp_targetILNS1_3genE10ELNS1_11target_archE1200ELNS1_3gpuE4ELNS1_3repE0EEENS1_30default_config_static_selectorELNS0_4arch9wavefront6targetE1EEEvT1_,"axG",@progbits,_ZN7rocprim17ROCPRIM_400000_NS6detail17trampoline_kernelINS0_14default_configENS1_25partition_config_selectorILNS1_17partition_subalgoE8ElNS0_10empty_typeEbEEZZNS1_14partition_implILS5_8ELb0ES3_jPlPS6_PKS6_NS0_5tupleIJS9_S6_EEENSD_IJSA_SA_EEENS0_18inequality_wrapperIZN2at6native12_GLOBAL__N_124unique_dim_cuda_templateIfEESt5tupleIJNSH_6TensorESM_SM_EERKSM_lbbbEUlllE0_EEPmJS6_EEE10hipError_tPvRmT3_T4_T5_T6_T7_T9_mT8_P12ihipStream_tbDpT10_ENKUlT_T0_E_clISt17integral_constantIbLb1EES1C_EEDaS17_S18_EUlS17_E_NS1_11comp_targetILNS1_3genE10ELNS1_11target_archE1200ELNS1_3gpuE4ELNS1_3repE0EEENS1_30default_config_static_selectorELNS0_4arch9wavefront6targetE1EEEvT1_,comdat
.Lfunc_end942:
	.size	_ZN7rocprim17ROCPRIM_400000_NS6detail17trampoline_kernelINS0_14default_configENS1_25partition_config_selectorILNS1_17partition_subalgoE8ElNS0_10empty_typeEbEEZZNS1_14partition_implILS5_8ELb0ES3_jPlPS6_PKS6_NS0_5tupleIJS9_S6_EEENSD_IJSA_SA_EEENS0_18inequality_wrapperIZN2at6native12_GLOBAL__N_124unique_dim_cuda_templateIfEESt5tupleIJNSH_6TensorESM_SM_EERKSM_lbbbEUlllE0_EEPmJS6_EEE10hipError_tPvRmT3_T4_T5_T6_T7_T9_mT8_P12ihipStream_tbDpT10_ENKUlT_T0_E_clISt17integral_constantIbLb1EES1C_EEDaS17_S18_EUlS17_E_NS1_11comp_targetILNS1_3genE10ELNS1_11target_archE1200ELNS1_3gpuE4ELNS1_3repE0EEENS1_30default_config_static_selectorELNS0_4arch9wavefront6targetE1EEEvT1_, .Lfunc_end942-_ZN7rocprim17ROCPRIM_400000_NS6detail17trampoline_kernelINS0_14default_configENS1_25partition_config_selectorILNS1_17partition_subalgoE8ElNS0_10empty_typeEbEEZZNS1_14partition_implILS5_8ELb0ES3_jPlPS6_PKS6_NS0_5tupleIJS9_S6_EEENSD_IJSA_SA_EEENS0_18inequality_wrapperIZN2at6native12_GLOBAL__N_124unique_dim_cuda_templateIfEESt5tupleIJNSH_6TensorESM_SM_EERKSM_lbbbEUlllE0_EEPmJS6_EEE10hipError_tPvRmT3_T4_T5_T6_T7_T9_mT8_P12ihipStream_tbDpT10_ENKUlT_T0_E_clISt17integral_constantIbLb1EES1C_EEDaS17_S18_EUlS17_E_NS1_11comp_targetILNS1_3genE10ELNS1_11target_archE1200ELNS1_3gpuE4ELNS1_3repE0EEENS1_30default_config_static_selectorELNS0_4arch9wavefront6targetE1EEEvT1_
                                        ; -- End function
	.section	.AMDGPU.csdata,"",@progbits
; Kernel info:
; codeLenInByte = 0
; NumSgprs: 4
; NumVgprs: 0
; NumAgprs: 0
; TotalNumVgprs: 0
; ScratchSize: 0
; MemoryBound: 0
; FloatMode: 240
; IeeeMode: 1
; LDSByteSize: 0 bytes/workgroup (compile time only)
; SGPRBlocks: 0
; VGPRBlocks: 0
; NumSGPRsForWavesPerEU: 4
; NumVGPRsForWavesPerEU: 1
; AccumOffset: 4
; Occupancy: 8
; WaveLimiterHint : 0
; COMPUTE_PGM_RSRC2:SCRATCH_EN: 0
; COMPUTE_PGM_RSRC2:USER_SGPR: 6
; COMPUTE_PGM_RSRC2:TRAP_HANDLER: 0
; COMPUTE_PGM_RSRC2:TGID_X_EN: 1
; COMPUTE_PGM_RSRC2:TGID_Y_EN: 0
; COMPUTE_PGM_RSRC2:TGID_Z_EN: 0
; COMPUTE_PGM_RSRC2:TIDIG_COMP_CNT: 0
; COMPUTE_PGM_RSRC3_GFX90A:ACCUM_OFFSET: 0
; COMPUTE_PGM_RSRC3_GFX90A:TG_SPLIT: 0
	.section	.text._ZN7rocprim17ROCPRIM_400000_NS6detail17trampoline_kernelINS0_14default_configENS1_25partition_config_selectorILNS1_17partition_subalgoE8ElNS0_10empty_typeEbEEZZNS1_14partition_implILS5_8ELb0ES3_jPlPS6_PKS6_NS0_5tupleIJS9_S6_EEENSD_IJSA_SA_EEENS0_18inequality_wrapperIZN2at6native12_GLOBAL__N_124unique_dim_cuda_templateIfEESt5tupleIJNSH_6TensorESM_SM_EERKSM_lbbbEUlllE0_EEPmJS6_EEE10hipError_tPvRmT3_T4_T5_T6_T7_T9_mT8_P12ihipStream_tbDpT10_ENKUlT_T0_E_clISt17integral_constantIbLb1EES1C_EEDaS17_S18_EUlS17_E_NS1_11comp_targetILNS1_3genE9ELNS1_11target_archE1100ELNS1_3gpuE3ELNS1_3repE0EEENS1_30default_config_static_selectorELNS0_4arch9wavefront6targetE1EEEvT1_,"axG",@progbits,_ZN7rocprim17ROCPRIM_400000_NS6detail17trampoline_kernelINS0_14default_configENS1_25partition_config_selectorILNS1_17partition_subalgoE8ElNS0_10empty_typeEbEEZZNS1_14partition_implILS5_8ELb0ES3_jPlPS6_PKS6_NS0_5tupleIJS9_S6_EEENSD_IJSA_SA_EEENS0_18inequality_wrapperIZN2at6native12_GLOBAL__N_124unique_dim_cuda_templateIfEESt5tupleIJNSH_6TensorESM_SM_EERKSM_lbbbEUlllE0_EEPmJS6_EEE10hipError_tPvRmT3_T4_T5_T6_T7_T9_mT8_P12ihipStream_tbDpT10_ENKUlT_T0_E_clISt17integral_constantIbLb1EES1C_EEDaS17_S18_EUlS17_E_NS1_11comp_targetILNS1_3genE9ELNS1_11target_archE1100ELNS1_3gpuE3ELNS1_3repE0EEENS1_30default_config_static_selectorELNS0_4arch9wavefront6targetE1EEEvT1_,comdat
	.globl	_ZN7rocprim17ROCPRIM_400000_NS6detail17trampoline_kernelINS0_14default_configENS1_25partition_config_selectorILNS1_17partition_subalgoE8ElNS0_10empty_typeEbEEZZNS1_14partition_implILS5_8ELb0ES3_jPlPS6_PKS6_NS0_5tupleIJS9_S6_EEENSD_IJSA_SA_EEENS0_18inequality_wrapperIZN2at6native12_GLOBAL__N_124unique_dim_cuda_templateIfEESt5tupleIJNSH_6TensorESM_SM_EERKSM_lbbbEUlllE0_EEPmJS6_EEE10hipError_tPvRmT3_T4_T5_T6_T7_T9_mT8_P12ihipStream_tbDpT10_ENKUlT_T0_E_clISt17integral_constantIbLb1EES1C_EEDaS17_S18_EUlS17_E_NS1_11comp_targetILNS1_3genE9ELNS1_11target_archE1100ELNS1_3gpuE3ELNS1_3repE0EEENS1_30default_config_static_selectorELNS0_4arch9wavefront6targetE1EEEvT1_ ; -- Begin function _ZN7rocprim17ROCPRIM_400000_NS6detail17trampoline_kernelINS0_14default_configENS1_25partition_config_selectorILNS1_17partition_subalgoE8ElNS0_10empty_typeEbEEZZNS1_14partition_implILS5_8ELb0ES3_jPlPS6_PKS6_NS0_5tupleIJS9_S6_EEENSD_IJSA_SA_EEENS0_18inequality_wrapperIZN2at6native12_GLOBAL__N_124unique_dim_cuda_templateIfEESt5tupleIJNSH_6TensorESM_SM_EERKSM_lbbbEUlllE0_EEPmJS6_EEE10hipError_tPvRmT3_T4_T5_T6_T7_T9_mT8_P12ihipStream_tbDpT10_ENKUlT_T0_E_clISt17integral_constantIbLb1EES1C_EEDaS17_S18_EUlS17_E_NS1_11comp_targetILNS1_3genE9ELNS1_11target_archE1100ELNS1_3gpuE3ELNS1_3repE0EEENS1_30default_config_static_selectorELNS0_4arch9wavefront6targetE1EEEvT1_
	.p2align	8
	.type	_ZN7rocprim17ROCPRIM_400000_NS6detail17trampoline_kernelINS0_14default_configENS1_25partition_config_selectorILNS1_17partition_subalgoE8ElNS0_10empty_typeEbEEZZNS1_14partition_implILS5_8ELb0ES3_jPlPS6_PKS6_NS0_5tupleIJS9_S6_EEENSD_IJSA_SA_EEENS0_18inequality_wrapperIZN2at6native12_GLOBAL__N_124unique_dim_cuda_templateIfEESt5tupleIJNSH_6TensorESM_SM_EERKSM_lbbbEUlllE0_EEPmJS6_EEE10hipError_tPvRmT3_T4_T5_T6_T7_T9_mT8_P12ihipStream_tbDpT10_ENKUlT_T0_E_clISt17integral_constantIbLb1EES1C_EEDaS17_S18_EUlS17_E_NS1_11comp_targetILNS1_3genE9ELNS1_11target_archE1100ELNS1_3gpuE3ELNS1_3repE0EEENS1_30default_config_static_selectorELNS0_4arch9wavefront6targetE1EEEvT1_,@function
_ZN7rocprim17ROCPRIM_400000_NS6detail17trampoline_kernelINS0_14default_configENS1_25partition_config_selectorILNS1_17partition_subalgoE8ElNS0_10empty_typeEbEEZZNS1_14partition_implILS5_8ELb0ES3_jPlPS6_PKS6_NS0_5tupleIJS9_S6_EEENSD_IJSA_SA_EEENS0_18inequality_wrapperIZN2at6native12_GLOBAL__N_124unique_dim_cuda_templateIfEESt5tupleIJNSH_6TensorESM_SM_EERKSM_lbbbEUlllE0_EEPmJS6_EEE10hipError_tPvRmT3_T4_T5_T6_T7_T9_mT8_P12ihipStream_tbDpT10_ENKUlT_T0_E_clISt17integral_constantIbLb1EES1C_EEDaS17_S18_EUlS17_E_NS1_11comp_targetILNS1_3genE9ELNS1_11target_archE1100ELNS1_3gpuE3ELNS1_3repE0EEENS1_30default_config_static_selectorELNS0_4arch9wavefront6targetE1EEEvT1_: ; @_ZN7rocprim17ROCPRIM_400000_NS6detail17trampoline_kernelINS0_14default_configENS1_25partition_config_selectorILNS1_17partition_subalgoE8ElNS0_10empty_typeEbEEZZNS1_14partition_implILS5_8ELb0ES3_jPlPS6_PKS6_NS0_5tupleIJS9_S6_EEENSD_IJSA_SA_EEENS0_18inequality_wrapperIZN2at6native12_GLOBAL__N_124unique_dim_cuda_templateIfEESt5tupleIJNSH_6TensorESM_SM_EERKSM_lbbbEUlllE0_EEPmJS6_EEE10hipError_tPvRmT3_T4_T5_T6_T7_T9_mT8_P12ihipStream_tbDpT10_ENKUlT_T0_E_clISt17integral_constantIbLb1EES1C_EEDaS17_S18_EUlS17_E_NS1_11comp_targetILNS1_3genE9ELNS1_11target_archE1100ELNS1_3gpuE3ELNS1_3repE0EEENS1_30default_config_static_selectorELNS0_4arch9wavefront6targetE1EEEvT1_
; %bb.0:
	.section	.rodata,"a",@progbits
	.p2align	6, 0x0
	.amdhsa_kernel _ZN7rocprim17ROCPRIM_400000_NS6detail17trampoline_kernelINS0_14default_configENS1_25partition_config_selectorILNS1_17partition_subalgoE8ElNS0_10empty_typeEbEEZZNS1_14partition_implILS5_8ELb0ES3_jPlPS6_PKS6_NS0_5tupleIJS9_S6_EEENSD_IJSA_SA_EEENS0_18inequality_wrapperIZN2at6native12_GLOBAL__N_124unique_dim_cuda_templateIfEESt5tupleIJNSH_6TensorESM_SM_EERKSM_lbbbEUlllE0_EEPmJS6_EEE10hipError_tPvRmT3_T4_T5_T6_T7_T9_mT8_P12ihipStream_tbDpT10_ENKUlT_T0_E_clISt17integral_constantIbLb1EES1C_EEDaS17_S18_EUlS17_E_NS1_11comp_targetILNS1_3genE9ELNS1_11target_archE1100ELNS1_3gpuE3ELNS1_3repE0EEENS1_30default_config_static_selectorELNS0_4arch9wavefront6targetE1EEEvT1_
		.amdhsa_group_segment_fixed_size 0
		.amdhsa_private_segment_fixed_size 0
		.amdhsa_kernarg_size 136
		.amdhsa_user_sgpr_count 6
		.amdhsa_user_sgpr_private_segment_buffer 1
		.amdhsa_user_sgpr_dispatch_ptr 0
		.amdhsa_user_sgpr_queue_ptr 0
		.amdhsa_user_sgpr_kernarg_segment_ptr 1
		.amdhsa_user_sgpr_dispatch_id 0
		.amdhsa_user_sgpr_flat_scratch_init 0
		.amdhsa_user_sgpr_kernarg_preload_length 0
		.amdhsa_user_sgpr_kernarg_preload_offset 0
		.amdhsa_user_sgpr_private_segment_size 0
		.amdhsa_uses_dynamic_stack 0
		.amdhsa_system_sgpr_private_segment_wavefront_offset 0
		.amdhsa_system_sgpr_workgroup_id_x 1
		.amdhsa_system_sgpr_workgroup_id_y 0
		.amdhsa_system_sgpr_workgroup_id_z 0
		.amdhsa_system_sgpr_workgroup_info 0
		.amdhsa_system_vgpr_workitem_id 0
		.amdhsa_next_free_vgpr 1
		.amdhsa_next_free_sgpr 0
		.amdhsa_accum_offset 4
		.amdhsa_reserve_vcc 0
		.amdhsa_reserve_flat_scratch 0
		.amdhsa_float_round_mode_32 0
		.amdhsa_float_round_mode_16_64 0
		.amdhsa_float_denorm_mode_32 3
		.amdhsa_float_denorm_mode_16_64 3
		.amdhsa_dx10_clamp 1
		.amdhsa_ieee_mode 1
		.amdhsa_fp16_overflow 0
		.amdhsa_tg_split 0
		.amdhsa_exception_fp_ieee_invalid_op 0
		.amdhsa_exception_fp_denorm_src 0
		.amdhsa_exception_fp_ieee_div_zero 0
		.amdhsa_exception_fp_ieee_overflow 0
		.amdhsa_exception_fp_ieee_underflow 0
		.amdhsa_exception_fp_ieee_inexact 0
		.amdhsa_exception_int_div_zero 0
	.end_amdhsa_kernel
	.section	.text._ZN7rocprim17ROCPRIM_400000_NS6detail17trampoline_kernelINS0_14default_configENS1_25partition_config_selectorILNS1_17partition_subalgoE8ElNS0_10empty_typeEbEEZZNS1_14partition_implILS5_8ELb0ES3_jPlPS6_PKS6_NS0_5tupleIJS9_S6_EEENSD_IJSA_SA_EEENS0_18inequality_wrapperIZN2at6native12_GLOBAL__N_124unique_dim_cuda_templateIfEESt5tupleIJNSH_6TensorESM_SM_EERKSM_lbbbEUlllE0_EEPmJS6_EEE10hipError_tPvRmT3_T4_T5_T6_T7_T9_mT8_P12ihipStream_tbDpT10_ENKUlT_T0_E_clISt17integral_constantIbLb1EES1C_EEDaS17_S18_EUlS17_E_NS1_11comp_targetILNS1_3genE9ELNS1_11target_archE1100ELNS1_3gpuE3ELNS1_3repE0EEENS1_30default_config_static_selectorELNS0_4arch9wavefront6targetE1EEEvT1_,"axG",@progbits,_ZN7rocprim17ROCPRIM_400000_NS6detail17trampoline_kernelINS0_14default_configENS1_25partition_config_selectorILNS1_17partition_subalgoE8ElNS0_10empty_typeEbEEZZNS1_14partition_implILS5_8ELb0ES3_jPlPS6_PKS6_NS0_5tupleIJS9_S6_EEENSD_IJSA_SA_EEENS0_18inequality_wrapperIZN2at6native12_GLOBAL__N_124unique_dim_cuda_templateIfEESt5tupleIJNSH_6TensorESM_SM_EERKSM_lbbbEUlllE0_EEPmJS6_EEE10hipError_tPvRmT3_T4_T5_T6_T7_T9_mT8_P12ihipStream_tbDpT10_ENKUlT_T0_E_clISt17integral_constantIbLb1EES1C_EEDaS17_S18_EUlS17_E_NS1_11comp_targetILNS1_3genE9ELNS1_11target_archE1100ELNS1_3gpuE3ELNS1_3repE0EEENS1_30default_config_static_selectorELNS0_4arch9wavefront6targetE1EEEvT1_,comdat
.Lfunc_end943:
	.size	_ZN7rocprim17ROCPRIM_400000_NS6detail17trampoline_kernelINS0_14default_configENS1_25partition_config_selectorILNS1_17partition_subalgoE8ElNS0_10empty_typeEbEEZZNS1_14partition_implILS5_8ELb0ES3_jPlPS6_PKS6_NS0_5tupleIJS9_S6_EEENSD_IJSA_SA_EEENS0_18inequality_wrapperIZN2at6native12_GLOBAL__N_124unique_dim_cuda_templateIfEESt5tupleIJNSH_6TensorESM_SM_EERKSM_lbbbEUlllE0_EEPmJS6_EEE10hipError_tPvRmT3_T4_T5_T6_T7_T9_mT8_P12ihipStream_tbDpT10_ENKUlT_T0_E_clISt17integral_constantIbLb1EES1C_EEDaS17_S18_EUlS17_E_NS1_11comp_targetILNS1_3genE9ELNS1_11target_archE1100ELNS1_3gpuE3ELNS1_3repE0EEENS1_30default_config_static_selectorELNS0_4arch9wavefront6targetE1EEEvT1_, .Lfunc_end943-_ZN7rocprim17ROCPRIM_400000_NS6detail17trampoline_kernelINS0_14default_configENS1_25partition_config_selectorILNS1_17partition_subalgoE8ElNS0_10empty_typeEbEEZZNS1_14partition_implILS5_8ELb0ES3_jPlPS6_PKS6_NS0_5tupleIJS9_S6_EEENSD_IJSA_SA_EEENS0_18inequality_wrapperIZN2at6native12_GLOBAL__N_124unique_dim_cuda_templateIfEESt5tupleIJNSH_6TensorESM_SM_EERKSM_lbbbEUlllE0_EEPmJS6_EEE10hipError_tPvRmT3_T4_T5_T6_T7_T9_mT8_P12ihipStream_tbDpT10_ENKUlT_T0_E_clISt17integral_constantIbLb1EES1C_EEDaS17_S18_EUlS17_E_NS1_11comp_targetILNS1_3genE9ELNS1_11target_archE1100ELNS1_3gpuE3ELNS1_3repE0EEENS1_30default_config_static_selectorELNS0_4arch9wavefront6targetE1EEEvT1_
                                        ; -- End function
	.section	.AMDGPU.csdata,"",@progbits
; Kernel info:
; codeLenInByte = 0
; NumSgprs: 4
; NumVgprs: 0
; NumAgprs: 0
; TotalNumVgprs: 0
; ScratchSize: 0
; MemoryBound: 0
; FloatMode: 240
; IeeeMode: 1
; LDSByteSize: 0 bytes/workgroup (compile time only)
; SGPRBlocks: 0
; VGPRBlocks: 0
; NumSGPRsForWavesPerEU: 4
; NumVGPRsForWavesPerEU: 1
; AccumOffset: 4
; Occupancy: 8
; WaveLimiterHint : 0
; COMPUTE_PGM_RSRC2:SCRATCH_EN: 0
; COMPUTE_PGM_RSRC2:USER_SGPR: 6
; COMPUTE_PGM_RSRC2:TRAP_HANDLER: 0
; COMPUTE_PGM_RSRC2:TGID_X_EN: 1
; COMPUTE_PGM_RSRC2:TGID_Y_EN: 0
; COMPUTE_PGM_RSRC2:TGID_Z_EN: 0
; COMPUTE_PGM_RSRC2:TIDIG_COMP_CNT: 0
; COMPUTE_PGM_RSRC3_GFX90A:ACCUM_OFFSET: 0
; COMPUTE_PGM_RSRC3_GFX90A:TG_SPLIT: 0
	.section	.text._ZN7rocprim17ROCPRIM_400000_NS6detail17trampoline_kernelINS0_14default_configENS1_25partition_config_selectorILNS1_17partition_subalgoE8ElNS0_10empty_typeEbEEZZNS1_14partition_implILS5_8ELb0ES3_jPlPS6_PKS6_NS0_5tupleIJS9_S6_EEENSD_IJSA_SA_EEENS0_18inequality_wrapperIZN2at6native12_GLOBAL__N_124unique_dim_cuda_templateIfEESt5tupleIJNSH_6TensorESM_SM_EERKSM_lbbbEUlllE0_EEPmJS6_EEE10hipError_tPvRmT3_T4_T5_T6_T7_T9_mT8_P12ihipStream_tbDpT10_ENKUlT_T0_E_clISt17integral_constantIbLb1EES1C_EEDaS17_S18_EUlS17_E_NS1_11comp_targetILNS1_3genE8ELNS1_11target_archE1030ELNS1_3gpuE2ELNS1_3repE0EEENS1_30default_config_static_selectorELNS0_4arch9wavefront6targetE1EEEvT1_,"axG",@progbits,_ZN7rocprim17ROCPRIM_400000_NS6detail17trampoline_kernelINS0_14default_configENS1_25partition_config_selectorILNS1_17partition_subalgoE8ElNS0_10empty_typeEbEEZZNS1_14partition_implILS5_8ELb0ES3_jPlPS6_PKS6_NS0_5tupleIJS9_S6_EEENSD_IJSA_SA_EEENS0_18inequality_wrapperIZN2at6native12_GLOBAL__N_124unique_dim_cuda_templateIfEESt5tupleIJNSH_6TensorESM_SM_EERKSM_lbbbEUlllE0_EEPmJS6_EEE10hipError_tPvRmT3_T4_T5_T6_T7_T9_mT8_P12ihipStream_tbDpT10_ENKUlT_T0_E_clISt17integral_constantIbLb1EES1C_EEDaS17_S18_EUlS17_E_NS1_11comp_targetILNS1_3genE8ELNS1_11target_archE1030ELNS1_3gpuE2ELNS1_3repE0EEENS1_30default_config_static_selectorELNS0_4arch9wavefront6targetE1EEEvT1_,comdat
	.globl	_ZN7rocprim17ROCPRIM_400000_NS6detail17trampoline_kernelINS0_14default_configENS1_25partition_config_selectorILNS1_17partition_subalgoE8ElNS0_10empty_typeEbEEZZNS1_14partition_implILS5_8ELb0ES3_jPlPS6_PKS6_NS0_5tupleIJS9_S6_EEENSD_IJSA_SA_EEENS0_18inequality_wrapperIZN2at6native12_GLOBAL__N_124unique_dim_cuda_templateIfEESt5tupleIJNSH_6TensorESM_SM_EERKSM_lbbbEUlllE0_EEPmJS6_EEE10hipError_tPvRmT3_T4_T5_T6_T7_T9_mT8_P12ihipStream_tbDpT10_ENKUlT_T0_E_clISt17integral_constantIbLb1EES1C_EEDaS17_S18_EUlS17_E_NS1_11comp_targetILNS1_3genE8ELNS1_11target_archE1030ELNS1_3gpuE2ELNS1_3repE0EEENS1_30default_config_static_selectorELNS0_4arch9wavefront6targetE1EEEvT1_ ; -- Begin function _ZN7rocprim17ROCPRIM_400000_NS6detail17trampoline_kernelINS0_14default_configENS1_25partition_config_selectorILNS1_17partition_subalgoE8ElNS0_10empty_typeEbEEZZNS1_14partition_implILS5_8ELb0ES3_jPlPS6_PKS6_NS0_5tupleIJS9_S6_EEENSD_IJSA_SA_EEENS0_18inequality_wrapperIZN2at6native12_GLOBAL__N_124unique_dim_cuda_templateIfEESt5tupleIJNSH_6TensorESM_SM_EERKSM_lbbbEUlllE0_EEPmJS6_EEE10hipError_tPvRmT3_T4_T5_T6_T7_T9_mT8_P12ihipStream_tbDpT10_ENKUlT_T0_E_clISt17integral_constantIbLb1EES1C_EEDaS17_S18_EUlS17_E_NS1_11comp_targetILNS1_3genE8ELNS1_11target_archE1030ELNS1_3gpuE2ELNS1_3repE0EEENS1_30default_config_static_selectorELNS0_4arch9wavefront6targetE1EEEvT1_
	.p2align	8
	.type	_ZN7rocprim17ROCPRIM_400000_NS6detail17trampoline_kernelINS0_14default_configENS1_25partition_config_selectorILNS1_17partition_subalgoE8ElNS0_10empty_typeEbEEZZNS1_14partition_implILS5_8ELb0ES3_jPlPS6_PKS6_NS0_5tupleIJS9_S6_EEENSD_IJSA_SA_EEENS0_18inequality_wrapperIZN2at6native12_GLOBAL__N_124unique_dim_cuda_templateIfEESt5tupleIJNSH_6TensorESM_SM_EERKSM_lbbbEUlllE0_EEPmJS6_EEE10hipError_tPvRmT3_T4_T5_T6_T7_T9_mT8_P12ihipStream_tbDpT10_ENKUlT_T0_E_clISt17integral_constantIbLb1EES1C_EEDaS17_S18_EUlS17_E_NS1_11comp_targetILNS1_3genE8ELNS1_11target_archE1030ELNS1_3gpuE2ELNS1_3repE0EEENS1_30default_config_static_selectorELNS0_4arch9wavefront6targetE1EEEvT1_,@function
_ZN7rocprim17ROCPRIM_400000_NS6detail17trampoline_kernelINS0_14default_configENS1_25partition_config_selectorILNS1_17partition_subalgoE8ElNS0_10empty_typeEbEEZZNS1_14partition_implILS5_8ELb0ES3_jPlPS6_PKS6_NS0_5tupleIJS9_S6_EEENSD_IJSA_SA_EEENS0_18inequality_wrapperIZN2at6native12_GLOBAL__N_124unique_dim_cuda_templateIfEESt5tupleIJNSH_6TensorESM_SM_EERKSM_lbbbEUlllE0_EEPmJS6_EEE10hipError_tPvRmT3_T4_T5_T6_T7_T9_mT8_P12ihipStream_tbDpT10_ENKUlT_T0_E_clISt17integral_constantIbLb1EES1C_EEDaS17_S18_EUlS17_E_NS1_11comp_targetILNS1_3genE8ELNS1_11target_archE1030ELNS1_3gpuE2ELNS1_3repE0EEENS1_30default_config_static_selectorELNS0_4arch9wavefront6targetE1EEEvT1_: ; @_ZN7rocprim17ROCPRIM_400000_NS6detail17trampoline_kernelINS0_14default_configENS1_25partition_config_selectorILNS1_17partition_subalgoE8ElNS0_10empty_typeEbEEZZNS1_14partition_implILS5_8ELb0ES3_jPlPS6_PKS6_NS0_5tupleIJS9_S6_EEENSD_IJSA_SA_EEENS0_18inequality_wrapperIZN2at6native12_GLOBAL__N_124unique_dim_cuda_templateIfEESt5tupleIJNSH_6TensorESM_SM_EERKSM_lbbbEUlllE0_EEPmJS6_EEE10hipError_tPvRmT3_T4_T5_T6_T7_T9_mT8_P12ihipStream_tbDpT10_ENKUlT_T0_E_clISt17integral_constantIbLb1EES1C_EEDaS17_S18_EUlS17_E_NS1_11comp_targetILNS1_3genE8ELNS1_11target_archE1030ELNS1_3gpuE2ELNS1_3repE0EEENS1_30default_config_static_selectorELNS0_4arch9wavefront6targetE1EEEvT1_
; %bb.0:
	.section	.rodata,"a",@progbits
	.p2align	6, 0x0
	.amdhsa_kernel _ZN7rocprim17ROCPRIM_400000_NS6detail17trampoline_kernelINS0_14default_configENS1_25partition_config_selectorILNS1_17partition_subalgoE8ElNS0_10empty_typeEbEEZZNS1_14partition_implILS5_8ELb0ES3_jPlPS6_PKS6_NS0_5tupleIJS9_S6_EEENSD_IJSA_SA_EEENS0_18inequality_wrapperIZN2at6native12_GLOBAL__N_124unique_dim_cuda_templateIfEESt5tupleIJNSH_6TensorESM_SM_EERKSM_lbbbEUlllE0_EEPmJS6_EEE10hipError_tPvRmT3_T4_T5_T6_T7_T9_mT8_P12ihipStream_tbDpT10_ENKUlT_T0_E_clISt17integral_constantIbLb1EES1C_EEDaS17_S18_EUlS17_E_NS1_11comp_targetILNS1_3genE8ELNS1_11target_archE1030ELNS1_3gpuE2ELNS1_3repE0EEENS1_30default_config_static_selectorELNS0_4arch9wavefront6targetE1EEEvT1_
		.amdhsa_group_segment_fixed_size 0
		.amdhsa_private_segment_fixed_size 0
		.amdhsa_kernarg_size 136
		.amdhsa_user_sgpr_count 6
		.amdhsa_user_sgpr_private_segment_buffer 1
		.amdhsa_user_sgpr_dispatch_ptr 0
		.amdhsa_user_sgpr_queue_ptr 0
		.amdhsa_user_sgpr_kernarg_segment_ptr 1
		.amdhsa_user_sgpr_dispatch_id 0
		.amdhsa_user_sgpr_flat_scratch_init 0
		.amdhsa_user_sgpr_kernarg_preload_length 0
		.amdhsa_user_sgpr_kernarg_preload_offset 0
		.amdhsa_user_sgpr_private_segment_size 0
		.amdhsa_uses_dynamic_stack 0
		.amdhsa_system_sgpr_private_segment_wavefront_offset 0
		.amdhsa_system_sgpr_workgroup_id_x 1
		.amdhsa_system_sgpr_workgroup_id_y 0
		.amdhsa_system_sgpr_workgroup_id_z 0
		.amdhsa_system_sgpr_workgroup_info 0
		.amdhsa_system_vgpr_workitem_id 0
		.amdhsa_next_free_vgpr 1
		.amdhsa_next_free_sgpr 0
		.amdhsa_accum_offset 4
		.amdhsa_reserve_vcc 0
		.amdhsa_reserve_flat_scratch 0
		.amdhsa_float_round_mode_32 0
		.amdhsa_float_round_mode_16_64 0
		.amdhsa_float_denorm_mode_32 3
		.amdhsa_float_denorm_mode_16_64 3
		.amdhsa_dx10_clamp 1
		.amdhsa_ieee_mode 1
		.amdhsa_fp16_overflow 0
		.amdhsa_tg_split 0
		.amdhsa_exception_fp_ieee_invalid_op 0
		.amdhsa_exception_fp_denorm_src 0
		.amdhsa_exception_fp_ieee_div_zero 0
		.amdhsa_exception_fp_ieee_overflow 0
		.amdhsa_exception_fp_ieee_underflow 0
		.amdhsa_exception_fp_ieee_inexact 0
		.amdhsa_exception_int_div_zero 0
	.end_amdhsa_kernel
	.section	.text._ZN7rocprim17ROCPRIM_400000_NS6detail17trampoline_kernelINS0_14default_configENS1_25partition_config_selectorILNS1_17partition_subalgoE8ElNS0_10empty_typeEbEEZZNS1_14partition_implILS5_8ELb0ES3_jPlPS6_PKS6_NS0_5tupleIJS9_S6_EEENSD_IJSA_SA_EEENS0_18inequality_wrapperIZN2at6native12_GLOBAL__N_124unique_dim_cuda_templateIfEESt5tupleIJNSH_6TensorESM_SM_EERKSM_lbbbEUlllE0_EEPmJS6_EEE10hipError_tPvRmT3_T4_T5_T6_T7_T9_mT8_P12ihipStream_tbDpT10_ENKUlT_T0_E_clISt17integral_constantIbLb1EES1C_EEDaS17_S18_EUlS17_E_NS1_11comp_targetILNS1_3genE8ELNS1_11target_archE1030ELNS1_3gpuE2ELNS1_3repE0EEENS1_30default_config_static_selectorELNS0_4arch9wavefront6targetE1EEEvT1_,"axG",@progbits,_ZN7rocprim17ROCPRIM_400000_NS6detail17trampoline_kernelINS0_14default_configENS1_25partition_config_selectorILNS1_17partition_subalgoE8ElNS0_10empty_typeEbEEZZNS1_14partition_implILS5_8ELb0ES3_jPlPS6_PKS6_NS0_5tupleIJS9_S6_EEENSD_IJSA_SA_EEENS0_18inequality_wrapperIZN2at6native12_GLOBAL__N_124unique_dim_cuda_templateIfEESt5tupleIJNSH_6TensorESM_SM_EERKSM_lbbbEUlllE0_EEPmJS6_EEE10hipError_tPvRmT3_T4_T5_T6_T7_T9_mT8_P12ihipStream_tbDpT10_ENKUlT_T0_E_clISt17integral_constantIbLb1EES1C_EEDaS17_S18_EUlS17_E_NS1_11comp_targetILNS1_3genE8ELNS1_11target_archE1030ELNS1_3gpuE2ELNS1_3repE0EEENS1_30default_config_static_selectorELNS0_4arch9wavefront6targetE1EEEvT1_,comdat
.Lfunc_end944:
	.size	_ZN7rocprim17ROCPRIM_400000_NS6detail17trampoline_kernelINS0_14default_configENS1_25partition_config_selectorILNS1_17partition_subalgoE8ElNS0_10empty_typeEbEEZZNS1_14partition_implILS5_8ELb0ES3_jPlPS6_PKS6_NS0_5tupleIJS9_S6_EEENSD_IJSA_SA_EEENS0_18inequality_wrapperIZN2at6native12_GLOBAL__N_124unique_dim_cuda_templateIfEESt5tupleIJNSH_6TensorESM_SM_EERKSM_lbbbEUlllE0_EEPmJS6_EEE10hipError_tPvRmT3_T4_T5_T6_T7_T9_mT8_P12ihipStream_tbDpT10_ENKUlT_T0_E_clISt17integral_constantIbLb1EES1C_EEDaS17_S18_EUlS17_E_NS1_11comp_targetILNS1_3genE8ELNS1_11target_archE1030ELNS1_3gpuE2ELNS1_3repE0EEENS1_30default_config_static_selectorELNS0_4arch9wavefront6targetE1EEEvT1_, .Lfunc_end944-_ZN7rocprim17ROCPRIM_400000_NS6detail17trampoline_kernelINS0_14default_configENS1_25partition_config_selectorILNS1_17partition_subalgoE8ElNS0_10empty_typeEbEEZZNS1_14partition_implILS5_8ELb0ES3_jPlPS6_PKS6_NS0_5tupleIJS9_S6_EEENSD_IJSA_SA_EEENS0_18inequality_wrapperIZN2at6native12_GLOBAL__N_124unique_dim_cuda_templateIfEESt5tupleIJNSH_6TensorESM_SM_EERKSM_lbbbEUlllE0_EEPmJS6_EEE10hipError_tPvRmT3_T4_T5_T6_T7_T9_mT8_P12ihipStream_tbDpT10_ENKUlT_T0_E_clISt17integral_constantIbLb1EES1C_EEDaS17_S18_EUlS17_E_NS1_11comp_targetILNS1_3genE8ELNS1_11target_archE1030ELNS1_3gpuE2ELNS1_3repE0EEENS1_30default_config_static_selectorELNS0_4arch9wavefront6targetE1EEEvT1_
                                        ; -- End function
	.section	.AMDGPU.csdata,"",@progbits
; Kernel info:
; codeLenInByte = 0
; NumSgprs: 4
; NumVgprs: 0
; NumAgprs: 0
; TotalNumVgprs: 0
; ScratchSize: 0
; MemoryBound: 0
; FloatMode: 240
; IeeeMode: 1
; LDSByteSize: 0 bytes/workgroup (compile time only)
; SGPRBlocks: 0
; VGPRBlocks: 0
; NumSGPRsForWavesPerEU: 4
; NumVGPRsForWavesPerEU: 1
; AccumOffset: 4
; Occupancy: 8
; WaveLimiterHint : 0
; COMPUTE_PGM_RSRC2:SCRATCH_EN: 0
; COMPUTE_PGM_RSRC2:USER_SGPR: 6
; COMPUTE_PGM_RSRC2:TRAP_HANDLER: 0
; COMPUTE_PGM_RSRC2:TGID_X_EN: 1
; COMPUTE_PGM_RSRC2:TGID_Y_EN: 0
; COMPUTE_PGM_RSRC2:TGID_Z_EN: 0
; COMPUTE_PGM_RSRC2:TIDIG_COMP_CNT: 0
; COMPUTE_PGM_RSRC3_GFX90A:ACCUM_OFFSET: 0
; COMPUTE_PGM_RSRC3_GFX90A:TG_SPLIT: 0
	.section	.text._ZN7rocprim17ROCPRIM_400000_NS6detail17trampoline_kernelINS0_14default_configENS1_25partition_config_selectorILNS1_17partition_subalgoE8ElNS0_10empty_typeEbEEZZNS1_14partition_implILS5_8ELb0ES3_jPlPS6_PKS6_NS0_5tupleIJS9_S6_EEENSD_IJSA_SA_EEENS0_18inequality_wrapperIZN2at6native12_GLOBAL__N_124unique_dim_cuda_templateIfEESt5tupleIJNSH_6TensorESM_SM_EERKSM_lbbbEUlllE0_EEPmJS6_EEE10hipError_tPvRmT3_T4_T5_T6_T7_T9_mT8_P12ihipStream_tbDpT10_ENKUlT_T0_E_clISt17integral_constantIbLb1EES1B_IbLb0EEEEDaS17_S18_EUlS17_E_NS1_11comp_targetILNS1_3genE0ELNS1_11target_archE4294967295ELNS1_3gpuE0ELNS1_3repE0EEENS1_30default_config_static_selectorELNS0_4arch9wavefront6targetE1EEEvT1_,"axG",@progbits,_ZN7rocprim17ROCPRIM_400000_NS6detail17trampoline_kernelINS0_14default_configENS1_25partition_config_selectorILNS1_17partition_subalgoE8ElNS0_10empty_typeEbEEZZNS1_14partition_implILS5_8ELb0ES3_jPlPS6_PKS6_NS0_5tupleIJS9_S6_EEENSD_IJSA_SA_EEENS0_18inequality_wrapperIZN2at6native12_GLOBAL__N_124unique_dim_cuda_templateIfEESt5tupleIJNSH_6TensorESM_SM_EERKSM_lbbbEUlllE0_EEPmJS6_EEE10hipError_tPvRmT3_T4_T5_T6_T7_T9_mT8_P12ihipStream_tbDpT10_ENKUlT_T0_E_clISt17integral_constantIbLb1EES1B_IbLb0EEEEDaS17_S18_EUlS17_E_NS1_11comp_targetILNS1_3genE0ELNS1_11target_archE4294967295ELNS1_3gpuE0ELNS1_3repE0EEENS1_30default_config_static_selectorELNS0_4arch9wavefront6targetE1EEEvT1_,comdat
	.globl	_ZN7rocprim17ROCPRIM_400000_NS6detail17trampoline_kernelINS0_14default_configENS1_25partition_config_selectorILNS1_17partition_subalgoE8ElNS0_10empty_typeEbEEZZNS1_14partition_implILS5_8ELb0ES3_jPlPS6_PKS6_NS0_5tupleIJS9_S6_EEENSD_IJSA_SA_EEENS0_18inequality_wrapperIZN2at6native12_GLOBAL__N_124unique_dim_cuda_templateIfEESt5tupleIJNSH_6TensorESM_SM_EERKSM_lbbbEUlllE0_EEPmJS6_EEE10hipError_tPvRmT3_T4_T5_T6_T7_T9_mT8_P12ihipStream_tbDpT10_ENKUlT_T0_E_clISt17integral_constantIbLb1EES1B_IbLb0EEEEDaS17_S18_EUlS17_E_NS1_11comp_targetILNS1_3genE0ELNS1_11target_archE4294967295ELNS1_3gpuE0ELNS1_3repE0EEENS1_30default_config_static_selectorELNS0_4arch9wavefront6targetE1EEEvT1_ ; -- Begin function _ZN7rocprim17ROCPRIM_400000_NS6detail17trampoline_kernelINS0_14default_configENS1_25partition_config_selectorILNS1_17partition_subalgoE8ElNS0_10empty_typeEbEEZZNS1_14partition_implILS5_8ELb0ES3_jPlPS6_PKS6_NS0_5tupleIJS9_S6_EEENSD_IJSA_SA_EEENS0_18inequality_wrapperIZN2at6native12_GLOBAL__N_124unique_dim_cuda_templateIfEESt5tupleIJNSH_6TensorESM_SM_EERKSM_lbbbEUlllE0_EEPmJS6_EEE10hipError_tPvRmT3_T4_T5_T6_T7_T9_mT8_P12ihipStream_tbDpT10_ENKUlT_T0_E_clISt17integral_constantIbLb1EES1B_IbLb0EEEEDaS17_S18_EUlS17_E_NS1_11comp_targetILNS1_3genE0ELNS1_11target_archE4294967295ELNS1_3gpuE0ELNS1_3repE0EEENS1_30default_config_static_selectorELNS0_4arch9wavefront6targetE1EEEvT1_
	.p2align	8
	.type	_ZN7rocprim17ROCPRIM_400000_NS6detail17trampoline_kernelINS0_14default_configENS1_25partition_config_selectorILNS1_17partition_subalgoE8ElNS0_10empty_typeEbEEZZNS1_14partition_implILS5_8ELb0ES3_jPlPS6_PKS6_NS0_5tupleIJS9_S6_EEENSD_IJSA_SA_EEENS0_18inequality_wrapperIZN2at6native12_GLOBAL__N_124unique_dim_cuda_templateIfEESt5tupleIJNSH_6TensorESM_SM_EERKSM_lbbbEUlllE0_EEPmJS6_EEE10hipError_tPvRmT3_T4_T5_T6_T7_T9_mT8_P12ihipStream_tbDpT10_ENKUlT_T0_E_clISt17integral_constantIbLb1EES1B_IbLb0EEEEDaS17_S18_EUlS17_E_NS1_11comp_targetILNS1_3genE0ELNS1_11target_archE4294967295ELNS1_3gpuE0ELNS1_3repE0EEENS1_30default_config_static_selectorELNS0_4arch9wavefront6targetE1EEEvT1_,@function
_ZN7rocprim17ROCPRIM_400000_NS6detail17trampoline_kernelINS0_14default_configENS1_25partition_config_selectorILNS1_17partition_subalgoE8ElNS0_10empty_typeEbEEZZNS1_14partition_implILS5_8ELb0ES3_jPlPS6_PKS6_NS0_5tupleIJS9_S6_EEENSD_IJSA_SA_EEENS0_18inequality_wrapperIZN2at6native12_GLOBAL__N_124unique_dim_cuda_templateIfEESt5tupleIJNSH_6TensorESM_SM_EERKSM_lbbbEUlllE0_EEPmJS6_EEE10hipError_tPvRmT3_T4_T5_T6_T7_T9_mT8_P12ihipStream_tbDpT10_ENKUlT_T0_E_clISt17integral_constantIbLb1EES1B_IbLb0EEEEDaS17_S18_EUlS17_E_NS1_11comp_targetILNS1_3genE0ELNS1_11target_archE4294967295ELNS1_3gpuE0ELNS1_3repE0EEENS1_30default_config_static_selectorELNS0_4arch9wavefront6targetE1EEEvT1_: ; @_ZN7rocprim17ROCPRIM_400000_NS6detail17trampoline_kernelINS0_14default_configENS1_25partition_config_selectorILNS1_17partition_subalgoE8ElNS0_10empty_typeEbEEZZNS1_14partition_implILS5_8ELb0ES3_jPlPS6_PKS6_NS0_5tupleIJS9_S6_EEENSD_IJSA_SA_EEENS0_18inequality_wrapperIZN2at6native12_GLOBAL__N_124unique_dim_cuda_templateIfEESt5tupleIJNSH_6TensorESM_SM_EERKSM_lbbbEUlllE0_EEPmJS6_EEE10hipError_tPvRmT3_T4_T5_T6_T7_T9_mT8_P12ihipStream_tbDpT10_ENKUlT_T0_E_clISt17integral_constantIbLb1EES1B_IbLb0EEEEDaS17_S18_EUlS17_E_NS1_11comp_targetILNS1_3genE0ELNS1_11target_archE4294967295ELNS1_3gpuE0ELNS1_3repE0EEENS1_30default_config_static_selectorELNS0_4arch9wavefront6targetE1EEEvT1_
; %bb.0:
	.section	.rodata,"a",@progbits
	.p2align	6, 0x0
	.amdhsa_kernel _ZN7rocprim17ROCPRIM_400000_NS6detail17trampoline_kernelINS0_14default_configENS1_25partition_config_selectorILNS1_17partition_subalgoE8ElNS0_10empty_typeEbEEZZNS1_14partition_implILS5_8ELb0ES3_jPlPS6_PKS6_NS0_5tupleIJS9_S6_EEENSD_IJSA_SA_EEENS0_18inequality_wrapperIZN2at6native12_GLOBAL__N_124unique_dim_cuda_templateIfEESt5tupleIJNSH_6TensorESM_SM_EERKSM_lbbbEUlllE0_EEPmJS6_EEE10hipError_tPvRmT3_T4_T5_T6_T7_T9_mT8_P12ihipStream_tbDpT10_ENKUlT_T0_E_clISt17integral_constantIbLb1EES1B_IbLb0EEEEDaS17_S18_EUlS17_E_NS1_11comp_targetILNS1_3genE0ELNS1_11target_archE4294967295ELNS1_3gpuE0ELNS1_3repE0EEENS1_30default_config_static_selectorELNS0_4arch9wavefront6targetE1EEEvT1_
		.amdhsa_group_segment_fixed_size 0
		.amdhsa_private_segment_fixed_size 0
		.amdhsa_kernarg_size 120
		.amdhsa_user_sgpr_count 6
		.amdhsa_user_sgpr_private_segment_buffer 1
		.amdhsa_user_sgpr_dispatch_ptr 0
		.amdhsa_user_sgpr_queue_ptr 0
		.amdhsa_user_sgpr_kernarg_segment_ptr 1
		.amdhsa_user_sgpr_dispatch_id 0
		.amdhsa_user_sgpr_flat_scratch_init 0
		.amdhsa_user_sgpr_kernarg_preload_length 0
		.amdhsa_user_sgpr_kernarg_preload_offset 0
		.amdhsa_user_sgpr_private_segment_size 0
		.amdhsa_uses_dynamic_stack 0
		.amdhsa_system_sgpr_private_segment_wavefront_offset 0
		.amdhsa_system_sgpr_workgroup_id_x 1
		.amdhsa_system_sgpr_workgroup_id_y 0
		.amdhsa_system_sgpr_workgroup_id_z 0
		.amdhsa_system_sgpr_workgroup_info 0
		.amdhsa_system_vgpr_workitem_id 0
		.amdhsa_next_free_vgpr 1
		.amdhsa_next_free_sgpr 0
		.amdhsa_accum_offset 4
		.amdhsa_reserve_vcc 0
		.amdhsa_reserve_flat_scratch 0
		.amdhsa_float_round_mode_32 0
		.amdhsa_float_round_mode_16_64 0
		.amdhsa_float_denorm_mode_32 3
		.amdhsa_float_denorm_mode_16_64 3
		.amdhsa_dx10_clamp 1
		.amdhsa_ieee_mode 1
		.amdhsa_fp16_overflow 0
		.amdhsa_tg_split 0
		.amdhsa_exception_fp_ieee_invalid_op 0
		.amdhsa_exception_fp_denorm_src 0
		.amdhsa_exception_fp_ieee_div_zero 0
		.amdhsa_exception_fp_ieee_overflow 0
		.amdhsa_exception_fp_ieee_underflow 0
		.amdhsa_exception_fp_ieee_inexact 0
		.amdhsa_exception_int_div_zero 0
	.end_amdhsa_kernel
	.section	.text._ZN7rocprim17ROCPRIM_400000_NS6detail17trampoline_kernelINS0_14default_configENS1_25partition_config_selectorILNS1_17partition_subalgoE8ElNS0_10empty_typeEbEEZZNS1_14partition_implILS5_8ELb0ES3_jPlPS6_PKS6_NS0_5tupleIJS9_S6_EEENSD_IJSA_SA_EEENS0_18inequality_wrapperIZN2at6native12_GLOBAL__N_124unique_dim_cuda_templateIfEESt5tupleIJNSH_6TensorESM_SM_EERKSM_lbbbEUlllE0_EEPmJS6_EEE10hipError_tPvRmT3_T4_T5_T6_T7_T9_mT8_P12ihipStream_tbDpT10_ENKUlT_T0_E_clISt17integral_constantIbLb1EES1B_IbLb0EEEEDaS17_S18_EUlS17_E_NS1_11comp_targetILNS1_3genE0ELNS1_11target_archE4294967295ELNS1_3gpuE0ELNS1_3repE0EEENS1_30default_config_static_selectorELNS0_4arch9wavefront6targetE1EEEvT1_,"axG",@progbits,_ZN7rocprim17ROCPRIM_400000_NS6detail17trampoline_kernelINS0_14default_configENS1_25partition_config_selectorILNS1_17partition_subalgoE8ElNS0_10empty_typeEbEEZZNS1_14partition_implILS5_8ELb0ES3_jPlPS6_PKS6_NS0_5tupleIJS9_S6_EEENSD_IJSA_SA_EEENS0_18inequality_wrapperIZN2at6native12_GLOBAL__N_124unique_dim_cuda_templateIfEESt5tupleIJNSH_6TensorESM_SM_EERKSM_lbbbEUlllE0_EEPmJS6_EEE10hipError_tPvRmT3_T4_T5_T6_T7_T9_mT8_P12ihipStream_tbDpT10_ENKUlT_T0_E_clISt17integral_constantIbLb1EES1B_IbLb0EEEEDaS17_S18_EUlS17_E_NS1_11comp_targetILNS1_3genE0ELNS1_11target_archE4294967295ELNS1_3gpuE0ELNS1_3repE0EEENS1_30default_config_static_selectorELNS0_4arch9wavefront6targetE1EEEvT1_,comdat
.Lfunc_end945:
	.size	_ZN7rocprim17ROCPRIM_400000_NS6detail17trampoline_kernelINS0_14default_configENS1_25partition_config_selectorILNS1_17partition_subalgoE8ElNS0_10empty_typeEbEEZZNS1_14partition_implILS5_8ELb0ES3_jPlPS6_PKS6_NS0_5tupleIJS9_S6_EEENSD_IJSA_SA_EEENS0_18inequality_wrapperIZN2at6native12_GLOBAL__N_124unique_dim_cuda_templateIfEESt5tupleIJNSH_6TensorESM_SM_EERKSM_lbbbEUlllE0_EEPmJS6_EEE10hipError_tPvRmT3_T4_T5_T6_T7_T9_mT8_P12ihipStream_tbDpT10_ENKUlT_T0_E_clISt17integral_constantIbLb1EES1B_IbLb0EEEEDaS17_S18_EUlS17_E_NS1_11comp_targetILNS1_3genE0ELNS1_11target_archE4294967295ELNS1_3gpuE0ELNS1_3repE0EEENS1_30default_config_static_selectorELNS0_4arch9wavefront6targetE1EEEvT1_, .Lfunc_end945-_ZN7rocprim17ROCPRIM_400000_NS6detail17trampoline_kernelINS0_14default_configENS1_25partition_config_selectorILNS1_17partition_subalgoE8ElNS0_10empty_typeEbEEZZNS1_14partition_implILS5_8ELb0ES3_jPlPS6_PKS6_NS0_5tupleIJS9_S6_EEENSD_IJSA_SA_EEENS0_18inequality_wrapperIZN2at6native12_GLOBAL__N_124unique_dim_cuda_templateIfEESt5tupleIJNSH_6TensorESM_SM_EERKSM_lbbbEUlllE0_EEPmJS6_EEE10hipError_tPvRmT3_T4_T5_T6_T7_T9_mT8_P12ihipStream_tbDpT10_ENKUlT_T0_E_clISt17integral_constantIbLb1EES1B_IbLb0EEEEDaS17_S18_EUlS17_E_NS1_11comp_targetILNS1_3genE0ELNS1_11target_archE4294967295ELNS1_3gpuE0ELNS1_3repE0EEENS1_30default_config_static_selectorELNS0_4arch9wavefront6targetE1EEEvT1_
                                        ; -- End function
	.section	.AMDGPU.csdata,"",@progbits
; Kernel info:
; codeLenInByte = 0
; NumSgprs: 4
; NumVgprs: 0
; NumAgprs: 0
; TotalNumVgprs: 0
; ScratchSize: 0
; MemoryBound: 0
; FloatMode: 240
; IeeeMode: 1
; LDSByteSize: 0 bytes/workgroup (compile time only)
; SGPRBlocks: 0
; VGPRBlocks: 0
; NumSGPRsForWavesPerEU: 4
; NumVGPRsForWavesPerEU: 1
; AccumOffset: 4
; Occupancy: 8
; WaveLimiterHint : 0
; COMPUTE_PGM_RSRC2:SCRATCH_EN: 0
; COMPUTE_PGM_RSRC2:USER_SGPR: 6
; COMPUTE_PGM_RSRC2:TRAP_HANDLER: 0
; COMPUTE_PGM_RSRC2:TGID_X_EN: 1
; COMPUTE_PGM_RSRC2:TGID_Y_EN: 0
; COMPUTE_PGM_RSRC2:TGID_Z_EN: 0
; COMPUTE_PGM_RSRC2:TIDIG_COMP_CNT: 0
; COMPUTE_PGM_RSRC3_GFX90A:ACCUM_OFFSET: 0
; COMPUTE_PGM_RSRC3_GFX90A:TG_SPLIT: 0
	.section	.text._ZN7rocprim17ROCPRIM_400000_NS6detail17trampoline_kernelINS0_14default_configENS1_25partition_config_selectorILNS1_17partition_subalgoE8ElNS0_10empty_typeEbEEZZNS1_14partition_implILS5_8ELb0ES3_jPlPS6_PKS6_NS0_5tupleIJS9_S6_EEENSD_IJSA_SA_EEENS0_18inequality_wrapperIZN2at6native12_GLOBAL__N_124unique_dim_cuda_templateIfEESt5tupleIJNSH_6TensorESM_SM_EERKSM_lbbbEUlllE0_EEPmJS6_EEE10hipError_tPvRmT3_T4_T5_T6_T7_T9_mT8_P12ihipStream_tbDpT10_ENKUlT_T0_E_clISt17integral_constantIbLb1EES1B_IbLb0EEEEDaS17_S18_EUlS17_E_NS1_11comp_targetILNS1_3genE5ELNS1_11target_archE942ELNS1_3gpuE9ELNS1_3repE0EEENS1_30default_config_static_selectorELNS0_4arch9wavefront6targetE1EEEvT1_,"axG",@progbits,_ZN7rocprim17ROCPRIM_400000_NS6detail17trampoline_kernelINS0_14default_configENS1_25partition_config_selectorILNS1_17partition_subalgoE8ElNS0_10empty_typeEbEEZZNS1_14partition_implILS5_8ELb0ES3_jPlPS6_PKS6_NS0_5tupleIJS9_S6_EEENSD_IJSA_SA_EEENS0_18inequality_wrapperIZN2at6native12_GLOBAL__N_124unique_dim_cuda_templateIfEESt5tupleIJNSH_6TensorESM_SM_EERKSM_lbbbEUlllE0_EEPmJS6_EEE10hipError_tPvRmT3_T4_T5_T6_T7_T9_mT8_P12ihipStream_tbDpT10_ENKUlT_T0_E_clISt17integral_constantIbLb1EES1B_IbLb0EEEEDaS17_S18_EUlS17_E_NS1_11comp_targetILNS1_3genE5ELNS1_11target_archE942ELNS1_3gpuE9ELNS1_3repE0EEENS1_30default_config_static_selectorELNS0_4arch9wavefront6targetE1EEEvT1_,comdat
	.globl	_ZN7rocprim17ROCPRIM_400000_NS6detail17trampoline_kernelINS0_14default_configENS1_25partition_config_selectorILNS1_17partition_subalgoE8ElNS0_10empty_typeEbEEZZNS1_14partition_implILS5_8ELb0ES3_jPlPS6_PKS6_NS0_5tupleIJS9_S6_EEENSD_IJSA_SA_EEENS0_18inequality_wrapperIZN2at6native12_GLOBAL__N_124unique_dim_cuda_templateIfEESt5tupleIJNSH_6TensorESM_SM_EERKSM_lbbbEUlllE0_EEPmJS6_EEE10hipError_tPvRmT3_T4_T5_T6_T7_T9_mT8_P12ihipStream_tbDpT10_ENKUlT_T0_E_clISt17integral_constantIbLb1EES1B_IbLb0EEEEDaS17_S18_EUlS17_E_NS1_11comp_targetILNS1_3genE5ELNS1_11target_archE942ELNS1_3gpuE9ELNS1_3repE0EEENS1_30default_config_static_selectorELNS0_4arch9wavefront6targetE1EEEvT1_ ; -- Begin function _ZN7rocprim17ROCPRIM_400000_NS6detail17trampoline_kernelINS0_14default_configENS1_25partition_config_selectorILNS1_17partition_subalgoE8ElNS0_10empty_typeEbEEZZNS1_14partition_implILS5_8ELb0ES3_jPlPS6_PKS6_NS0_5tupleIJS9_S6_EEENSD_IJSA_SA_EEENS0_18inequality_wrapperIZN2at6native12_GLOBAL__N_124unique_dim_cuda_templateIfEESt5tupleIJNSH_6TensorESM_SM_EERKSM_lbbbEUlllE0_EEPmJS6_EEE10hipError_tPvRmT3_T4_T5_T6_T7_T9_mT8_P12ihipStream_tbDpT10_ENKUlT_T0_E_clISt17integral_constantIbLb1EES1B_IbLb0EEEEDaS17_S18_EUlS17_E_NS1_11comp_targetILNS1_3genE5ELNS1_11target_archE942ELNS1_3gpuE9ELNS1_3repE0EEENS1_30default_config_static_selectorELNS0_4arch9wavefront6targetE1EEEvT1_
	.p2align	8
	.type	_ZN7rocprim17ROCPRIM_400000_NS6detail17trampoline_kernelINS0_14default_configENS1_25partition_config_selectorILNS1_17partition_subalgoE8ElNS0_10empty_typeEbEEZZNS1_14partition_implILS5_8ELb0ES3_jPlPS6_PKS6_NS0_5tupleIJS9_S6_EEENSD_IJSA_SA_EEENS0_18inequality_wrapperIZN2at6native12_GLOBAL__N_124unique_dim_cuda_templateIfEESt5tupleIJNSH_6TensorESM_SM_EERKSM_lbbbEUlllE0_EEPmJS6_EEE10hipError_tPvRmT3_T4_T5_T6_T7_T9_mT8_P12ihipStream_tbDpT10_ENKUlT_T0_E_clISt17integral_constantIbLb1EES1B_IbLb0EEEEDaS17_S18_EUlS17_E_NS1_11comp_targetILNS1_3genE5ELNS1_11target_archE942ELNS1_3gpuE9ELNS1_3repE0EEENS1_30default_config_static_selectorELNS0_4arch9wavefront6targetE1EEEvT1_,@function
_ZN7rocprim17ROCPRIM_400000_NS6detail17trampoline_kernelINS0_14default_configENS1_25partition_config_selectorILNS1_17partition_subalgoE8ElNS0_10empty_typeEbEEZZNS1_14partition_implILS5_8ELb0ES3_jPlPS6_PKS6_NS0_5tupleIJS9_S6_EEENSD_IJSA_SA_EEENS0_18inequality_wrapperIZN2at6native12_GLOBAL__N_124unique_dim_cuda_templateIfEESt5tupleIJNSH_6TensorESM_SM_EERKSM_lbbbEUlllE0_EEPmJS6_EEE10hipError_tPvRmT3_T4_T5_T6_T7_T9_mT8_P12ihipStream_tbDpT10_ENKUlT_T0_E_clISt17integral_constantIbLb1EES1B_IbLb0EEEEDaS17_S18_EUlS17_E_NS1_11comp_targetILNS1_3genE5ELNS1_11target_archE942ELNS1_3gpuE9ELNS1_3repE0EEENS1_30default_config_static_selectorELNS0_4arch9wavefront6targetE1EEEvT1_: ; @_ZN7rocprim17ROCPRIM_400000_NS6detail17trampoline_kernelINS0_14default_configENS1_25partition_config_selectorILNS1_17partition_subalgoE8ElNS0_10empty_typeEbEEZZNS1_14partition_implILS5_8ELb0ES3_jPlPS6_PKS6_NS0_5tupleIJS9_S6_EEENSD_IJSA_SA_EEENS0_18inequality_wrapperIZN2at6native12_GLOBAL__N_124unique_dim_cuda_templateIfEESt5tupleIJNSH_6TensorESM_SM_EERKSM_lbbbEUlllE0_EEPmJS6_EEE10hipError_tPvRmT3_T4_T5_T6_T7_T9_mT8_P12ihipStream_tbDpT10_ENKUlT_T0_E_clISt17integral_constantIbLb1EES1B_IbLb0EEEEDaS17_S18_EUlS17_E_NS1_11comp_targetILNS1_3genE5ELNS1_11target_archE942ELNS1_3gpuE9ELNS1_3repE0EEENS1_30default_config_static_selectorELNS0_4arch9wavefront6targetE1EEEvT1_
; %bb.0:
	.section	.rodata,"a",@progbits
	.p2align	6, 0x0
	.amdhsa_kernel _ZN7rocprim17ROCPRIM_400000_NS6detail17trampoline_kernelINS0_14default_configENS1_25partition_config_selectorILNS1_17partition_subalgoE8ElNS0_10empty_typeEbEEZZNS1_14partition_implILS5_8ELb0ES3_jPlPS6_PKS6_NS0_5tupleIJS9_S6_EEENSD_IJSA_SA_EEENS0_18inequality_wrapperIZN2at6native12_GLOBAL__N_124unique_dim_cuda_templateIfEESt5tupleIJNSH_6TensorESM_SM_EERKSM_lbbbEUlllE0_EEPmJS6_EEE10hipError_tPvRmT3_T4_T5_T6_T7_T9_mT8_P12ihipStream_tbDpT10_ENKUlT_T0_E_clISt17integral_constantIbLb1EES1B_IbLb0EEEEDaS17_S18_EUlS17_E_NS1_11comp_targetILNS1_3genE5ELNS1_11target_archE942ELNS1_3gpuE9ELNS1_3repE0EEENS1_30default_config_static_selectorELNS0_4arch9wavefront6targetE1EEEvT1_
		.amdhsa_group_segment_fixed_size 0
		.amdhsa_private_segment_fixed_size 0
		.amdhsa_kernarg_size 120
		.amdhsa_user_sgpr_count 6
		.amdhsa_user_sgpr_private_segment_buffer 1
		.amdhsa_user_sgpr_dispatch_ptr 0
		.amdhsa_user_sgpr_queue_ptr 0
		.amdhsa_user_sgpr_kernarg_segment_ptr 1
		.amdhsa_user_sgpr_dispatch_id 0
		.amdhsa_user_sgpr_flat_scratch_init 0
		.amdhsa_user_sgpr_kernarg_preload_length 0
		.amdhsa_user_sgpr_kernarg_preload_offset 0
		.amdhsa_user_sgpr_private_segment_size 0
		.amdhsa_uses_dynamic_stack 0
		.amdhsa_system_sgpr_private_segment_wavefront_offset 0
		.amdhsa_system_sgpr_workgroup_id_x 1
		.amdhsa_system_sgpr_workgroup_id_y 0
		.amdhsa_system_sgpr_workgroup_id_z 0
		.amdhsa_system_sgpr_workgroup_info 0
		.amdhsa_system_vgpr_workitem_id 0
		.amdhsa_next_free_vgpr 1
		.amdhsa_next_free_sgpr 0
		.amdhsa_accum_offset 4
		.amdhsa_reserve_vcc 0
		.amdhsa_reserve_flat_scratch 0
		.amdhsa_float_round_mode_32 0
		.amdhsa_float_round_mode_16_64 0
		.amdhsa_float_denorm_mode_32 3
		.amdhsa_float_denorm_mode_16_64 3
		.amdhsa_dx10_clamp 1
		.amdhsa_ieee_mode 1
		.amdhsa_fp16_overflow 0
		.amdhsa_tg_split 0
		.amdhsa_exception_fp_ieee_invalid_op 0
		.amdhsa_exception_fp_denorm_src 0
		.amdhsa_exception_fp_ieee_div_zero 0
		.amdhsa_exception_fp_ieee_overflow 0
		.amdhsa_exception_fp_ieee_underflow 0
		.amdhsa_exception_fp_ieee_inexact 0
		.amdhsa_exception_int_div_zero 0
	.end_amdhsa_kernel
	.section	.text._ZN7rocprim17ROCPRIM_400000_NS6detail17trampoline_kernelINS0_14default_configENS1_25partition_config_selectorILNS1_17partition_subalgoE8ElNS0_10empty_typeEbEEZZNS1_14partition_implILS5_8ELb0ES3_jPlPS6_PKS6_NS0_5tupleIJS9_S6_EEENSD_IJSA_SA_EEENS0_18inequality_wrapperIZN2at6native12_GLOBAL__N_124unique_dim_cuda_templateIfEESt5tupleIJNSH_6TensorESM_SM_EERKSM_lbbbEUlllE0_EEPmJS6_EEE10hipError_tPvRmT3_T4_T5_T6_T7_T9_mT8_P12ihipStream_tbDpT10_ENKUlT_T0_E_clISt17integral_constantIbLb1EES1B_IbLb0EEEEDaS17_S18_EUlS17_E_NS1_11comp_targetILNS1_3genE5ELNS1_11target_archE942ELNS1_3gpuE9ELNS1_3repE0EEENS1_30default_config_static_selectorELNS0_4arch9wavefront6targetE1EEEvT1_,"axG",@progbits,_ZN7rocprim17ROCPRIM_400000_NS6detail17trampoline_kernelINS0_14default_configENS1_25partition_config_selectorILNS1_17partition_subalgoE8ElNS0_10empty_typeEbEEZZNS1_14partition_implILS5_8ELb0ES3_jPlPS6_PKS6_NS0_5tupleIJS9_S6_EEENSD_IJSA_SA_EEENS0_18inequality_wrapperIZN2at6native12_GLOBAL__N_124unique_dim_cuda_templateIfEESt5tupleIJNSH_6TensorESM_SM_EERKSM_lbbbEUlllE0_EEPmJS6_EEE10hipError_tPvRmT3_T4_T5_T6_T7_T9_mT8_P12ihipStream_tbDpT10_ENKUlT_T0_E_clISt17integral_constantIbLb1EES1B_IbLb0EEEEDaS17_S18_EUlS17_E_NS1_11comp_targetILNS1_3genE5ELNS1_11target_archE942ELNS1_3gpuE9ELNS1_3repE0EEENS1_30default_config_static_selectorELNS0_4arch9wavefront6targetE1EEEvT1_,comdat
.Lfunc_end946:
	.size	_ZN7rocprim17ROCPRIM_400000_NS6detail17trampoline_kernelINS0_14default_configENS1_25partition_config_selectorILNS1_17partition_subalgoE8ElNS0_10empty_typeEbEEZZNS1_14partition_implILS5_8ELb0ES3_jPlPS6_PKS6_NS0_5tupleIJS9_S6_EEENSD_IJSA_SA_EEENS0_18inequality_wrapperIZN2at6native12_GLOBAL__N_124unique_dim_cuda_templateIfEESt5tupleIJNSH_6TensorESM_SM_EERKSM_lbbbEUlllE0_EEPmJS6_EEE10hipError_tPvRmT3_T4_T5_T6_T7_T9_mT8_P12ihipStream_tbDpT10_ENKUlT_T0_E_clISt17integral_constantIbLb1EES1B_IbLb0EEEEDaS17_S18_EUlS17_E_NS1_11comp_targetILNS1_3genE5ELNS1_11target_archE942ELNS1_3gpuE9ELNS1_3repE0EEENS1_30default_config_static_selectorELNS0_4arch9wavefront6targetE1EEEvT1_, .Lfunc_end946-_ZN7rocprim17ROCPRIM_400000_NS6detail17trampoline_kernelINS0_14default_configENS1_25partition_config_selectorILNS1_17partition_subalgoE8ElNS0_10empty_typeEbEEZZNS1_14partition_implILS5_8ELb0ES3_jPlPS6_PKS6_NS0_5tupleIJS9_S6_EEENSD_IJSA_SA_EEENS0_18inequality_wrapperIZN2at6native12_GLOBAL__N_124unique_dim_cuda_templateIfEESt5tupleIJNSH_6TensorESM_SM_EERKSM_lbbbEUlllE0_EEPmJS6_EEE10hipError_tPvRmT3_T4_T5_T6_T7_T9_mT8_P12ihipStream_tbDpT10_ENKUlT_T0_E_clISt17integral_constantIbLb1EES1B_IbLb0EEEEDaS17_S18_EUlS17_E_NS1_11comp_targetILNS1_3genE5ELNS1_11target_archE942ELNS1_3gpuE9ELNS1_3repE0EEENS1_30default_config_static_selectorELNS0_4arch9wavefront6targetE1EEEvT1_
                                        ; -- End function
	.section	.AMDGPU.csdata,"",@progbits
; Kernel info:
; codeLenInByte = 0
; NumSgprs: 4
; NumVgprs: 0
; NumAgprs: 0
; TotalNumVgprs: 0
; ScratchSize: 0
; MemoryBound: 0
; FloatMode: 240
; IeeeMode: 1
; LDSByteSize: 0 bytes/workgroup (compile time only)
; SGPRBlocks: 0
; VGPRBlocks: 0
; NumSGPRsForWavesPerEU: 4
; NumVGPRsForWavesPerEU: 1
; AccumOffset: 4
; Occupancy: 8
; WaveLimiterHint : 0
; COMPUTE_PGM_RSRC2:SCRATCH_EN: 0
; COMPUTE_PGM_RSRC2:USER_SGPR: 6
; COMPUTE_PGM_RSRC2:TRAP_HANDLER: 0
; COMPUTE_PGM_RSRC2:TGID_X_EN: 1
; COMPUTE_PGM_RSRC2:TGID_Y_EN: 0
; COMPUTE_PGM_RSRC2:TGID_Z_EN: 0
; COMPUTE_PGM_RSRC2:TIDIG_COMP_CNT: 0
; COMPUTE_PGM_RSRC3_GFX90A:ACCUM_OFFSET: 0
; COMPUTE_PGM_RSRC3_GFX90A:TG_SPLIT: 0
	.section	.text._ZN7rocprim17ROCPRIM_400000_NS6detail17trampoline_kernelINS0_14default_configENS1_25partition_config_selectorILNS1_17partition_subalgoE8ElNS0_10empty_typeEbEEZZNS1_14partition_implILS5_8ELb0ES3_jPlPS6_PKS6_NS0_5tupleIJS9_S6_EEENSD_IJSA_SA_EEENS0_18inequality_wrapperIZN2at6native12_GLOBAL__N_124unique_dim_cuda_templateIfEESt5tupleIJNSH_6TensorESM_SM_EERKSM_lbbbEUlllE0_EEPmJS6_EEE10hipError_tPvRmT3_T4_T5_T6_T7_T9_mT8_P12ihipStream_tbDpT10_ENKUlT_T0_E_clISt17integral_constantIbLb1EES1B_IbLb0EEEEDaS17_S18_EUlS17_E_NS1_11comp_targetILNS1_3genE4ELNS1_11target_archE910ELNS1_3gpuE8ELNS1_3repE0EEENS1_30default_config_static_selectorELNS0_4arch9wavefront6targetE1EEEvT1_,"axG",@progbits,_ZN7rocprim17ROCPRIM_400000_NS6detail17trampoline_kernelINS0_14default_configENS1_25partition_config_selectorILNS1_17partition_subalgoE8ElNS0_10empty_typeEbEEZZNS1_14partition_implILS5_8ELb0ES3_jPlPS6_PKS6_NS0_5tupleIJS9_S6_EEENSD_IJSA_SA_EEENS0_18inequality_wrapperIZN2at6native12_GLOBAL__N_124unique_dim_cuda_templateIfEESt5tupleIJNSH_6TensorESM_SM_EERKSM_lbbbEUlllE0_EEPmJS6_EEE10hipError_tPvRmT3_T4_T5_T6_T7_T9_mT8_P12ihipStream_tbDpT10_ENKUlT_T0_E_clISt17integral_constantIbLb1EES1B_IbLb0EEEEDaS17_S18_EUlS17_E_NS1_11comp_targetILNS1_3genE4ELNS1_11target_archE910ELNS1_3gpuE8ELNS1_3repE0EEENS1_30default_config_static_selectorELNS0_4arch9wavefront6targetE1EEEvT1_,comdat
	.globl	_ZN7rocprim17ROCPRIM_400000_NS6detail17trampoline_kernelINS0_14default_configENS1_25partition_config_selectorILNS1_17partition_subalgoE8ElNS0_10empty_typeEbEEZZNS1_14partition_implILS5_8ELb0ES3_jPlPS6_PKS6_NS0_5tupleIJS9_S6_EEENSD_IJSA_SA_EEENS0_18inequality_wrapperIZN2at6native12_GLOBAL__N_124unique_dim_cuda_templateIfEESt5tupleIJNSH_6TensorESM_SM_EERKSM_lbbbEUlllE0_EEPmJS6_EEE10hipError_tPvRmT3_T4_T5_T6_T7_T9_mT8_P12ihipStream_tbDpT10_ENKUlT_T0_E_clISt17integral_constantIbLb1EES1B_IbLb0EEEEDaS17_S18_EUlS17_E_NS1_11comp_targetILNS1_3genE4ELNS1_11target_archE910ELNS1_3gpuE8ELNS1_3repE0EEENS1_30default_config_static_selectorELNS0_4arch9wavefront6targetE1EEEvT1_ ; -- Begin function _ZN7rocprim17ROCPRIM_400000_NS6detail17trampoline_kernelINS0_14default_configENS1_25partition_config_selectorILNS1_17partition_subalgoE8ElNS0_10empty_typeEbEEZZNS1_14partition_implILS5_8ELb0ES3_jPlPS6_PKS6_NS0_5tupleIJS9_S6_EEENSD_IJSA_SA_EEENS0_18inequality_wrapperIZN2at6native12_GLOBAL__N_124unique_dim_cuda_templateIfEESt5tupleIJNSH_6TensorESM_SM_EERKSM_lbbbEUlllE0_EEPmJS6_EEE10hipError_tPvRmT3_T4_T5_T6_T7_T9_mT8_P12ihipStream_tbDpT10_ENKUlT_T0_E_clISt17integral_constantIbLb1EES1B_IbLb0EEEEDaS17_S18_EUlS17_E_NS1_11comp_targetILNS1_3genE4ELNS1_11target_archE910ELNS1_3gpuE8ELNS1_3repE0EEENS1_30default_config_static_selectorELNS0_4arch9wavefront6targetE1EEEvT1_
	.p2align	8
	.type	_ZN7rocprim17ROCPRIM_400000_NS6detail17trampoline_kernelINS0_14default_configENS1_25partition_config_selectorILNS1_17partition_subalgoE8ElNS0_10empty_typeEbEEZZNS1_14partition_implILS5_8ELb0ES3_jPlPS6_PKS6_NS0_5tupleIJS9_S6_EEENSD_IJSA_SA_EEENS0_18inequality_wrapperIZN2at6native12_GLOBAL__N_124unique_dim_cuda_templateIfEESt5tupleIJNSH_6TensorESM_SM_EERKSM_lbbbEUlllE0_EEPmJS6_EEE10hipError_tPvRmT3_T4_T5_T6_T7_T9_mT8_P12ihipStream_tbDpT10_ENKUlT_T0_E_clISt17integral_constantIbLb1EES1B_IbLb0EEEEDaS17_S18_EUlS17_E_NS1_11comp_targetILNS1_3genE4ELNS1_11target_archE910ELNS1_3gpuE8ELNS1_3repE0EEENS1_30default_config_static_selectorELNS0_4arch9wavefront6targetE1EEEvT1_,@function
_ZN7rocprim17ROCPRIM_400000_NS6detail17trampoline_kernelINS0_14default_configENS1_25partition_config_selectorILNS1_17partition_subalgoE8ElNS0_10empty_typeEbEEZZNS1_14partition_implILS5_8ELb0ES3_jPlPS6_PKS6_NS0_5tupleIJS9_S6_EEENSD_IJSA_SA_EEENS0_18inequality_wrapperIZN2at6native12_GLOBAL__N_124unique_dim_cuda_templateIfEESt5tupleIJNSH_6TensorESM_SM_EERKSM_lbbbEUlllE0_EEPmJS6_EEE10hipError_tPvRmT3_T4_T5_T6_T7_T9_mT8_P12ihipStream_tbDpT10_ENKUlT_T0_E_clISt17integral_constantIbLb1EES1B_IbLb0EEEEDaS17_S18_EUlS17_E_NS1_11comp_targetILNS1_3genE4ELNS1_11target_archE910ELNS1_3gpuE8ELNS1_3repE0EEENS1_30default_config_static_selectorELNS0_4arch9wavefront6targetE1EEEvT1_: ; @_ZN7rocprim17ROCPRIM_400000_NS6detail17trampoline_kernelINS0_14default_configENS1_25partition_config_selectorILNS1_17partition_subalgoE8ElNS0_10empty_typeEbEEZZNS1_14partition_implILS5_8ELb0ES3_jPlPS6_PKS6_NS0_5tupleIJS9_S6_EEENSD_IJSA_SA_EEENS0_18inequality_wrapperIZN2at6native12_GLOBAL__N_124unique_dim_cuda_templateIfEESt5tupleIJNSH_6TensorESM_SM_EERKSM_lbbbEUlllE0_EEPmJS6_EEE10hipError_tPvRmT3_T4_T5_T6_T7_T9_mT8_P12ihipStream_tbDpT10_ENKUlT_T0_E_clISt17integral_constantIbLb1EES1B_IbLb0EEEEDaS17_S18_EUlS17_E_NS1_11comp_targetILNS1_3genE4ELNS1_11target_archE910ELNS1_3gpuE8ELNS1_3repE0EEENS1_30default_config_static_selectorELNS0_4arch9wavefront6targetE1EEEvT1_
; %bb.0:
	s_load_dwordx8 s[20:27], s[4:5], 0x40
	s_load_dwordx4 s[0:3], s[4:5], 0x8
	s_load_dwordx4 s[28:31], s[4:5], 0x60
	s_load_dword s7, s[4:5], 0x70
	s_waitcnt lgkmcnt(0)
	v_mov_b32_e32 v2, s24
	s_lshl_b64 s[8:9], s[2:3], 3
	s_add_u32 s12, s0, s8
	s_mul_i32 s8, s7, 0x500
	s_addc_u32 s13, s1, s9
	s_add_i32 s1, s8, s2
	s_add_i32 s10, s7, -1
	s_sub_i32 s7, s24, s1
	s_add_u32 s8, s2, s8
	s_addc_u32 s9, s3, 0
	v_mov_b32_e32 v3, s25
	s_cmp_eq_u32 s6, s10
	s_load_dwordx2 s[22:23], s[22:23], 0x0
	v_cmp_ge_u64_e32 vcc, s[8:9], v[2:3]
	s_cselect_b64 s[24:25], -1, 0
	s_mul_i32 s0, s6, 0x500
	s_mov_b32 s1, 0
	s_and_b64 s[10:11], s[24:25], vcc
	s_xor_b64 s[34:35], s[10:11], -1
	s_lshl_b64 s[0:1], s[0:1], 3
	s_add_u32 s0, s12, s0
	s_mov_b64 s[8:9], -1
	s_addc_u32 s1, s13, s1
	s_and_b64 vcc, exec, s[34:35]
	s_cbranch_vccz .LBB947_2
; %bb.1:
	v_lshlrev_b32_e32 v1, 3, v0
	v_mov_b32_e32 v2, s1
	v_add_co_u32_e32 v12, vcc, s0, v1
	v_addc_co_u32_e32 v13, vcc, 0, v2, vcc
	v_add_co_u32_e32 v2, vcc, 0x1000, v12
	v_addc_co_u32_e32 v3, vcc, 0, v13, vcc
	global_load_dwordx2 v[4:5], v1, s[0:1]
	global_load_dwordx2 v[6:7], v1, s[0:1] offset:2048
	global_load_dwordx2 v[8:9], v[2:3], off
	global_load_dwordx2 v[10:11], v[2:3], off offset:2048
	v_add_co_u32_e32 v2, vcc, 0x2000, v12
	v_addc_co_u32_e32 v3, vcc, 0, v13, vcc
	global_load_dwordx2 v[2:3], v[2:3], off
	s_mov_b64 s[8:9], 0
	s_waitcnt vmcnt(3)
	ds_write2st64_b64 v1, v[4:5], v[6:7] offset1:4
	s_waitcnt vmcnt(1)
	ds_write2st64_b64 v1, v[8:9], v[10:11] offset0:8 offset1:12
	s_waitcnt vmcnt(0)
	ds_write_b64 v1, v[2:3] offset:8192
	s_waitcnt lgkmcnt(0)
	s_barrier
.LBB947_2:
	s_andn2_b64 vcc, exec, s[8:9]
	s_addk_i32 s7, 0x500
	s_cbranch_vccnz .LBB947_14
; %bb.3:
	v_cmp_gt_u32_e32 vcc, s7, v0
                                        ; implicit-def: $vgpr2_vgpr3_vgpr4_vgpr5_vgpr6_vgpr7_vgpr8_vgpr9_vgpr10_vgpr11_vgpr12_vgpr13_vgpr14_vgpr15_vgpr16_vgpr17
	s_and_saveexec_b64 s[8:9], vcc
	s_cbranch_execz .LBB947_5
; %bb.4:
	v_lshlrev_b32_e32 v1, 3, v0
	global_load_dwordx2 v[2:3], v1, s[0:1]
.LBB947_5:
	s_or_b64 exec, exec, s[8:9]
	v_or_b32_e32 v1, 0x100, v0
	v_cmp_gt_u32_e32 vcc, s7, v1
	s_and_saveexec_b64 s[8:9], vcc
	s_cbranch_execz .LBB947_7
; %bb.6:
	v_lshlrev_b32_e32 v1, 3, v0
	global_load_dwordx2 v[4:5], v1, s[0:1] offset:2048
.LBB947_7:
	s_or_b64 exec, exec, s[8:9]
	v_or_b32_e32 v1, 0x200, v0
	v_cmp_gt_u32_e32 vcc, s7, v1
	s_and_saveexec_b64 s[8:9], vcc
	s_cbranch_execz .LBB947_9
; %bb.8:
	v_lshlrev_b32_e32 v1, 3, v1
	global_load_dwordx2 v[6:7], v1, s[0:1]
.LBB947_9:
	s_or_b64 exec, exec, s[8:9]
	v_or_b32_e32 v1, 0x300, v0
	v_cmp_gt_u32_e32 vcc, s7, v1
	s_and_saveexec_b64 s[8:9], vcc
	s_cbranch_execz .LBB947_11
; %bb.10:
	v_lshlrev_b32_e32 v1, 3, v1
	global_load_dwordx2 v[8:9], v1, s[0:1]
.LBB947_11:
	;; [unrolled: 9-line block ×3, first 2 shown]
	s_or_b64 exec, exec, s[8:9]
	v_lshlrev_b32_e32 v1, 3, v0
	s_waitcnt vmcnt(0)
	ds_write2st64_b64 v1, v[2:3], v[4:5] offset1:4
	ds_write2st64_b64 v1, v[6:7], v[8:9] offset0:8 offset1:12
	ds_write_b64 v1, v[10:11] offset:8192
	s_waitcnt lgkmcnt(0)
	s_barrier
.LBB947_14:
	v_mul_u32_u24_e32 v1, 5, v0
	v_lshlrev_b32_e32 v20, 3, v1
	s_waitcnt lgkmcnt(0)
	ds_read2_b64 v[6:9], v20 offset1:1
	ds_read2_b64 v[2:5], v20 offset0:2 offset1:3
	ds_read_b64 v[10:11], v20 offset:32
	s_cmp_lg_u32 s6, 0
	s_cselect_b64 s[16:17], -1, 0
	s_cmp_lg_u64 s[2:3], 0
	s_cselect_b64 s[2:3], -1, 0
	s_or_b64 s[2:3], s[16:17], s[2:3]
	v_mad_u32_u24 v24, v0, 5, 1
	v_mad_u32_u24 v22, v0, 5, 2
	;; [unrolled: 1-line block ×4, first 2 shown]
	s_mov_b64 s[12:13], 0
	s_and_b64 vcc, exec, s[2:3]
	v_cmp_gt_i64_e64 s[2:3], s[26:27], 0
	s_waitcnt lgkmcnt(0)
	s_barrier
	s_cbranch_vccz .LBB947_23
; %bb.15:
	s_add_u32 s0, s0, -8
	s_addc_u32 s1, s1, -1
	s_load_dwordx2 s[12:13], s[0:1], 0x0
	v_cndmask_b32_e64 v12, 0, 1, s[2:3]
	v_lshlrev_b32_e32 v21, 3, v0
	s_mov_b64 s[14:15], 0
	s_and_b64 vcc, exec, s[34:35]
	v_cmp_ne_u32_e64 s[0:1], 1, v12
	ds_write_b64 v21, v[10:11]
	s_cbranch_vccz .LBB947_24
; %bb.16:
	v_mul_lo_u32 v14, v5, s26
	v_mul_lo_u32 v15, v4, s27
	v_mad_u64_u32 v[12:13], s[2:3], v4, s26, 0
	v_add3_u32 v13, v13, v15, v14
	s_and_b64 vcc, exec, s[0:1]
	v_lshlrev_b64 v[12:13], 2, v[12:13]
	s_cbranch_vccnz .LBB947_27
; %bb.17:
	v_mul_lo_u32 v16, v11, s26
	v_mul_lo_u32 v17, v10, s27
	v_mad_u64_u32 v[14:15], s[2:3], v10, s26, 0
	v_add3_u32 v15, v15, v17, v16
	v_mov_b32_e32 v17, s29
	v_add_co_u32_e32 v16, vcc, s28, v12
	v_addc_co_u32_e64 v17, s[2:3], v17, v13, vcc
	v_lshlrev_b64 v[14:15], 2, v[14:15]
	v_mov_b32_e32 v19, s29
	v_add_co_u32_e64 v18, s[2:3], s28, v14
	v_addc_co_u32_e64 v19, s[8:9], v19, v15, s[2:3]
	global_load_dword v14, v[16:17], off
	global_load_dword v26, v[18:19], off
	s_mov_b64 s[14:15], -1
	s_waitcnt vmcnt(0)
	v_cmp_eq_f32_e64 s[8:9], v14, v26
	s_and_saveexec_b64 s[18:19], s[8:9]
	s_cbranch_execz .LBB947_26
; %bb.18:
	v_mov_b32_e32 v14, s29
	v_addc_co_u32_e64 v15, s[2:3], v15, v14, s[2:3]
	v_add_co_u32_e64 v14, s[2:3], 4, v18
	v_mov_b32_e32 v17, s29
	v_addc_co_u32_e64 v15, s[2:3], 0, v15, s[2:3]
	v_addc_co_u32_e32 v17, vcc, v13, v17, vcc
	v_add_co_u32_e32 v16, vcc, 4, v16
	s_add_u32 s2, s26, -1
	v_addc_co_u32_e32 v17, vcc, 0, v17, vcc
	s_addc_u32 s3, s27, -1
	s_mov_b64 s[8:9], 0
	s_mov_b64 s[36:37], 0
                                        ; implicit-def: $sgpr14_sgpr15
	s_branch .LBB947_21
.LBB947_19:                             ;   in Loop: Header=BB947_21 Depth=1
	global_load_dword v18, v[16:17], off
	global_load_dword v19, v[14:15], off
	v_add_co_u32_e32 v14, vcc, 4, v14
	v_addc_co_u32_e32 v15, vcc, 0, v15, vcc
	v_add_co_u32_e32 v16, vcc, 4, v16
	v_addc_co_u32_e32 v17, vcc, 0, v17, vcc
	s_add_u32 s36, s36, 1
	s_addc_u32 s37, s37, 0
	s_andn2_b64 s[14:15], s[14:15], exec
	s_waitcnt vmcnt(0)
	v_cmp_neq_f32_e32 vcc, v18, v19
	s_and_b64 s[38:39], vcc, exec
	s_or_b64 s[14:15], s[14:15], s[38:39]
.LBB947_20:                             ;   in Loop: Header=BB947_21 Depth=1
	s_and_b64 s[38:39], exec, s[14:15]
	s_or_b64 s[8:9], s[38:39], s[8:9]
	v_pk_mov_b32 v[18:19], s[36:37], s[36:37] op_sel:[0,1]
	s_andn2_b64 exec, exec, s[8:9]
	s_cbranch_execz .LBB947_25
.LBB947_21:                             ; =>This Inner Loop Header: Depth=1
	s_or_b64 s[14:15], s[14:15], exec
	s_cmp_eq_u64 s[2:3], s[36:37]
	s_cbranch_scc0 .LBB947_19
; %bb.22:                               ;   in Loop: Header=BB947_21 Depth=1
                                        ; implicit-def: $vgpr14_vgpr15
                                        ; implicit-def: $vgpr16_vgpr17
	s_mov_b64 s[36:37], s[26:27]
	s_branch .LBB947_20
.LBB947_23:
                                        ; implicit-def: $sgpr18_sgpr19
                                        ; implicit-def: $vgpr13
                                        ; implicit-def: $vgpr16
	s_branch .LBB947_125
.LBB947_24:
                                        ; implicit-def: $sgpr18_sgpr19
                                        ; implicit-def: $vgpr13
                                        ; implicit-def: $vgpr16
	s_cbranch_execnz .LBB947_66
	s_branch .LBB947_124
.LBB947_25:
	s_or_b64 exec, exec, s[8:9]
	v_cmp_gt_i64_e32 vcc, s[26:27], v[18:19]
	s_orn2_b64 s[14:15], vcc, exec
.LBB947_26:
	s_or_b64 exec, exec, s[18:19]
.LBB947_27:
	v_mul_lo_u32 v16, v3, s26
	v_mul_lo_u32 v17, v2, s27
	v_mad_u64_u32 v[14:15], s[2:3], v2, s26, 0
	v_add3_u32 v15, v15, v17, v16
	s_mov_b64 s[18:19], 0
	s_and_b64 vcc, exec, s[0:1]
	v_lshlrev_b64 v[16:17], 2, v[14:15]
	s_mov_b64 s[36:37], 0
	s_cbranch_vccnz .LBB947_36
; %bb.28:
	v_mov_b32_e32 v15, s29
	v_add_co_u32_e32 v14, vcc, s28, v16
	v_addc_co_u32_e64 v15, s[2:3], v15, v17, vcc
	v_mov_b32_e32 v19, s29
	v_add_co_u32_e64 v18, s[2:3], s28, v12
	v_addc_co_u32_e64 v19, s[8:9], v19, v13, s[2:3]
	global_load_dword v12, v[14:15], off
	global_load_dword v26, v[18:19], off
	s_mov_b64 s[36:37], -1
	s_waitcnt vmcnt(0)
	v_cmp_eq_f32_e64 s[8:9], v12, v26
	s_and_saveexec_b64 s[38:39], s[8:9]
	s_cbranch_execz .LBB947_35
; %bb.29:
	v_mov_b32_e32 v12, s29
	v_addc_co_u32_e64 v13, s[2:3], v13, v12, s[2:3]
	v_add_co_u32_e64 v12, s[2:3], 4, v18
	v_mov_b32_e32 v15, s29
	v_addc_co_u32_e64 v13, s[2:3], 0, v13, s[2:3]
	v_addc_co_u32_e32 v15, vcc, v17, v15, vcc
	v_add_co_u32_e32 v14, vcc, 4, v14
	s_add_u32 s2, s26, -1
	v_addc_co_u32_e32 v15, vcc, 0, v15, vcc
	s_addc_u32 s3, s27, -1
	s_mov_b64 s[8:9], 0
	s_mov_b64 s[40:41], 0
                                        ; implicit-def: $sgpr36_sgpr37
	s_branch .LBB947_32
.LBB947_30:                             ;   in Loop: Header=BB947_32 Depth=1
	global_load_dword v18, v[14:15], off
	global_load_dword v19, v[12:13], off
	v_add_co_u32_e32 v12, vcc, 4, v12
	v_addc_co_u32_e32 v13, vcc, 0, v13, vcc
	v_add_co_u32_e32 v14, vcc, 4, v14
	v_addc_co_u32_e32 v15, vcc, 0, v15, vcc
	s_add_u32 s40, s40, 1
	s_addc_u32 s41, s41, 0
	s_andn2_b64 s[36:37], s[36:37], exec
	s_waitcnt vmcnt(0)
	v_cmp_neq_f32_e32 vcc, v18, v19
	s_and_b64 s[42:43], vcc, exec
	s_or_b64 s[36:37], s[36:37], s[42:43]
.LBB947_31:                             ;   in Loop: Header=BB947_32 Depth=1
	s_and_b64 s[42:43], exec, s[36:37]
	s_or_b64 s[8:9], s[42:43], s[8:9]
	v_pk_mov_b32 v[18:19], s[40:41], s[40:41] op_sel:[0,1]
	s_andn2_b64 exec, exec, s[8:9]
	s_cbranch_execz .LBB947_34
.LBB947_32:                             ; =>This Inner Loop Header: Depth=1
	s_or_b64 s[36:37], s[36:37], exec
	s_cmp_eq_u64 s[2:3], s[40:41]
	s_cbranch_scc0 .LBB947_30
; %bb.33:                               ;   in Loop: Header=BB947_32 Depth=1
                                        ; implicit-def: $vgpr12_vgpr13
                                        ; implicit-def: $vgpr14_vgpr15
	s_mov_b64 s[40:41], s[26:27]
	s_branch .LBB947_31
.LBB947_34:
	s_or_b64 exec, exec, s[8:9]
	v_cmp_gt_i64_e32 vcc, s[26:27], v[18:19]
	s_orn2_b64 s[36:37], vcc, exec
.LBB947_35:
	s_or_b64 exec, exec, s[38:39]
.LBB947_36:
	v_mul_lo_u32 v14, v9, s26
	v_mul_lo_u32 v15, v8, s27
	v_mad_u64_u32 v[12:13], s[2:3], v8, s26, 0
	v_add3_u32 v13, v13, v15, v14
	s_and_b64 vcc, exec, s[0:1]
	v_lshlrev_b64 v[14:15], 2, v[12:13]
	s_cbranch_vccnz .LBB947_45
; %bb.37:
	v_mov_b32_e32 v12, s29
	v_add_co_u32_e32 v18, vcc, s28, v14
	v_addc_co_u32_e64 v19, s[2:3], v12, v15, vcc
	v_mov_b32_e32 v13, s29
	v_add_co_u32_e64 v12, s[2:3], s28, v16
	v_addc_co_u32_e64 v13, s[8:9], v13, v17, s[2:3]
	global_load_dword v16, v[18:19], off
	global_load_dword v26, v[12:13], off
	s_mov_b64 s[18:19], -1
	s_waitcnt vmcnt(0)
	v_cmp_eq_f32_e64 s[8:9], v16, v26
	s_and_saveexec_b64 s[38:39], s[8:9]
	s_cbranch_execz .LBB947_44
; %bb.38:
	v_mov_b32_e32 v13, s29
	v_addc_co_u32_e64 v13, s[2:3], v17, v13, s[2:3]
	v_add_co_u32_e64 v12, s[2:3], 4, v12
	v_mov_b32_e32 v16, s29
	v_addc_co_u32_e64 v13, s[2:3], 0, v13, s[2:3]
	v_addc_co_u32_e32 v17, vcc, v15, v16, vcc
	v_add_co_u32_e32 v16, vcc, 4, v18
	s_add_u32 s2, s26, -1
	v_addc_co_u32_e32 v17, vcc, 0, v17, vcc
	s_addc_u32 s3, s27, -1
	s_mov_b64 s[8:9], 0
	s_mov_b64 s[40:41], 0
                                        ; implicit-def: $sgpr18_sgpr19
	s_branch .LBB947_41
.LBB947_39:                             ;   in Loop: Header=BB947_41 Depth=1
	global_load_dword v18, v[16:17], off
	global_load_dword v19, v[12:13], off
	v_add_co_u32_e32 v12, vcc, 4, v12
	v_addc_co_u32_e32 v13, vcc, 0, v13, vcc
	v_add_co_u32_e32 v16, vcc, 4, v16
	v_addc_co_u32_e32 v17, vcc, 0, v17, vcc
	s_add_u32 s40, s40, 1
	s_addc_u32 s41, s41, 0
	s_andn2_b64 s[18:19], s[18:19], exec
	s_waitcnt vmcnt(0)
	v_cmp_neq_f32_e32 vcc, v18, v19
	s_and_b64 s[42:43], vcc, exec
	s_or_b64 s[18:19], s[18:19], s[42:43]
.LBB947_40:                             ;   in Loop: Header=BB947_41 Depth=1
	s_and_b64 s[42:43], exec, s[18:19]
	s_or_b64 s[8:9], s[42:43], s[8:9]
	v_pk_mov_b32 v[18:19], s[40:41], s[40:41] op_sel:[0,1]
	s_andn2_b64 exec, exec, s[8:9]
	s_cbranch_execz .LBB947_43
.LBB947_41:                             ; =>This Inner Loop Header: Depth=1
	s_or_b64 s[18:19], s[18:19], exec
	s_cmp_eq_u64 s[2:3], s[40:41]
	s_cbranch_scc0 .LBB947_39
; %bb.42:                               ;   in Loop: Header=BB947_41 Depth=1
                                        ; implicit-def: $vgpr12_vgpr13
                                        ; implicit-def: $vgpr16_vgpr17
	s_mov_b64 s[40:41], s[26:27]
	s_branch .LBB947_40
.LBB947_43:
	s_or_b64 exec, exec, s[8:9]
	v_cmp_gt_i64_e32 vcc, s[26:27], v[18:19]
	s_orn2_b64 s[18:19], vcc, exec
.LBB947_44:
	s_or_b64 exec, exec, s[38:39]
.LBB947_45:
	v_mul_lo_u32 v16, v7, s26
	v_mul_lo_u32 v17, v6, s27
	v_mad_u64_u32 v[12:13], s[2:3], v6, s26, 0
	v_add3_u32 v13, v13, v17, v16
	s_mov_b64 s[40:41], 0
	s_and_b64 vcc, exec, s[0:1]
	v_lshlrev_b64 v[12:13], 2, v[12:13]
	s_cbranch_vccnz .LBB947_54
; %bb.46:
	v_mov_b32_e32 v17, s29
	v_add_co_u32_e32 v16, vcc, s28, v12
	v_addc_co_u32_e64 v17, s[2:3], v17, v13, vcc
	v_mov_b32_e32 v19, s29
	v_add_co_u32_e64 v18, s[2:3], s28, v14
	v_addc_co_u32_e64 v19, s[8:9], v19, v15, s[2:3]
	global_load_dword v14, v[16:17], off
	global_load_dword v26, v[18:19], off
	s_mov_b64 s[40:41], -1
	s_waitcnt vmcnt(0)
	v_cmp_eq_f32_e64 s[8:9], v14, v26
	s_and_saveexec_b64 s[38:39], s[8:9]
	s_cbranch_execz .LBB947_53
; %bb.47:
	v_mov_b32_e32 v14, s29
	v_addc_co_u32_e64 v15, s[2:3], v15, v14, s[2:3]
	v_add_co_u32_e64 v14, s[2:3], 4, v18
	v_mov_b32_e32 v17, s29
	v_addc_co_u32_e64 v15, s[2:3], 0, v15, s[2:3]
	v_addc_co_u32_e32 v17, vcc, v13, v17, vcc
	v_add_co_u32_e32 v16, vcc, 4, v16
	s_add_u32 s2, s26, -1
	v_addc_co_u32_e32 v17, vcc, 0, v17, vcc
	s_addc_u32 s3, s27, -1
	s_mov_b64 s[8:9], 0
	s_mov_b64 s[42:43], 0
                                        ; implicit-def: $sgpr40_sgpr41
	s_branch .LBB947_50
.LBB947_48:                             ;   in Loop: Header=BB947_50 Depth=1
	global_load_dword v18, v[16:17], off
	global_load_dword v19, v[14:15], off
	v_add_co_u32_e32 v14, vcc, 4, v14
	v_addc_co_u32_e32 v15, vcc, 0, v15, vcc
	v_add_co_u32_e32 v16, vcc, 4, v16
	v_addc_co_u32_e32 v17, vcc, 0, v17, vcc
	s_add_u32 s42, s42, 1
	s_addc_u32 s43, s43, 0
	s_andn2_b64 s[40:41], s[40:41], exec
	s_waitcnt vmcnt(0)
	v_cmp_neq_f32_e32 vcc, v18, v19
	s_and_b64 s[44:45], vcc, exec
	s_or_b64 s[40:41], s[40:41], s[44:45]
.LBB947_49:                             ;   in Loop: Header=BB947_50 Depth=1
	s_and_b64 s[44:45], exec, s[40:41]
	s_or_b64 s[8:9], s[44:45], s[8:9]
	v_pk_mov_b32 v[18:19], s[42:43], s[42:43] op_sel:[0,1]
	s_andn2_b64 exec, exec, s[8:9]
	s_cbranch_execz .LBB947_52
.LBB947_50:                             ; =>This Inner Loop Header: Depth=1
	s_or_b64 s[40:41], s[40:41], exec
	s_cmp_eq_u64 s[2:3], s[42:43]
	s_cbranch_scc0 .LBB947_48
; %bb.51:                               ;   in Loop: Header=BB947_50 Depth=1
                                        ; implicit-def: $vgpr14_vgpr15
                                        ; implicit-def: $vgpr16_vgpr17
	s_mov_b64 s[42:43], s[26:27]
	s_branch .LBB947_49
.LBB947_52:
	s_or_b64 exec, exec, s[8:9]
	v_cmp_gt_i64_e32 vcc, s[26:27], v[18:19]
	s_orn2_b64 s[40:41], vcc, exec
.LBB947_53:
	s_or_b64 exec, exec, s[38:39]
.LBB947_54:
	v_cmp_ne_u32_e32 vcc, 0, v0
	s_waitcnt lgkmcnt(0)
	v_pk_mov_b32 v[14:15], s[12:13], s[12:13] op_sel:[0,1]
	s_barrier
	s_and_saveexec_b64 s[2:3], vcc
	s_cbranch_execz .LBB947_56
; %bb.55:
	v_add_u32_e32 v14, -8, v21
	ds_read_b64 v[14:15], v14
.LBB947_56:
	s_or_b64 exec, exec, s[2:3]
	v_cndmask_b32_e64 v17, 0, 1, s[36:37]
	v_cndmask_b32_e64 v16, 0, 1, s[18:19]
	;; [unrolled: 1-line block ×3, first 2 shown]
	v_lshlrev_b16_e32 v17, 8, v17
	v_lshlrev_b16_e32 v26, 8, v18
	v_or_b32_sdwa v27, v16, v17 dst_sel:WORD_1 dst_unused:UNUSED_PAD src0_sel:DWORD src1_sel:DWORD
	s_mov_b64 s[36:37], 0
	s_and_b64 vcc, exec, s[0:1]
	s_mov_b64 s[18:19], 0
	s_cbranch_vccnz .LBB947_65
; %bb.57:
	s_waitcnt lgkmcnt(0)
	v_mul_lo_u32 v16, v15, s26
	v_mul_lo_u32 v17, v14, s27
	v_mad_u64_u32 v[14:15], s[2:3], v14, s26, 0
	v_add3_u32 v15, v15, v17, v16
	v_lshlrev_b64 v[14:15], 2, v[14:15]
	v_mov_b32_e32 v17, s29
	v_add_co_u32_e32 v16, vcc, s28, v14
	v_addc_co_u32_e64 v17, s[2:3], v17, v15, vcc
	v_mov_b32_e32 v14, s29
	v_add_co_u32_e64 v18, s[2:3], s28, v12
	v_addc_co_u32_e64 v19, s[8:9], v14, v13, s[2:3]
	global_load_dword v12, v[16:17], off
	global_load_dword v14, v[18:19], off
	s_mov_b64 s[18:19], -1
	s_waitcnt vmcnt(0)
	v_cmp_eq_f32_e64 s[8:9], v12, v14
	s_and_saveexec_b64 s[38:39], s[8:9]
	s_cbranch_execz .LBB947_64
; %bb.58:
	v_mov_b32_e32 v12, s29
	v_addc_co_u32_e64 v13, s[2:3], v13, v12, s[2:3]
	v_add_co_u32_e64 v12, s[2:3], 4, v18
	v_mov_b32_e32 v14, s29
	v_addc_co_u32_e64 v13, s[2:3], 0, v13, s[2:3]
	v_addc_co_u32_e32 v15, vcc, v15, v14, vcc
	v_add_co_u32_e32 v14, vcc, 4, v16
	s_add_u32 s2, s26, -1
	v_addc_co_u32_e32 v15, vcc, 0, v15, vcc
	s_addc_u32 s3, s27, -1
	s_mov_b64 s[8:9], 0
	s_mov_b64 s[40:41], 0
                                        ; implicit-def: $sgpr18_sgpr19
	s_branch .LBB947_61
.LBB947_59:                             ;   in Loop: Header=BB947_61 Depth=1
	global_load_dword v16, v[14:15], off
	global_load_dword v17, v[12:13], off
	v_add_co_u32_e32 v12, vcc, 4, v12
	v_addc_co_u32_e32 v13, vcc, 0, v13, vcc
	v_add_co_u32_e32 v14, vcc, 4, v14
	v_addc_co_u32_e32 v15, vcc, 0, v15, vcc
	s_add_u32 s40, s40, 1
	s_addc_u32 s41, s41, 0
	s_andn2_b64 s[18:19], s[18:19], exec
	s_waitcnt vmcnt(0)
	v_cmp_neq_f32_e32 vcc, v16, v17
	s_and_b64 s[42:43], vcc, exec
	s_or_b64 s[18:19], s[18:19], s[42:43]
.LBB947_60:                             ;   in Loop: Header=BB947_61 Depth=1
	s_and_b64 s[42:43], exec, s[18:19]
	s_or_b64 s[8:9], s[42:43], s[8:9]
	v_pk_mov_b32 v[16:17], s[40:41], s[40:41] op_sel:[0,1]
	s_andn2_b64 exec, exec, s[8:9]
	s_cbranch_execz .LBB947_63
.LBB947_61:                             ; =>This Inner Loop Header: Depth=1
	s_or_b64 s[18:19], s[18:19], exec
	s_cmp_eq_u64 s[2:3], s[40:41]
	s_cbranch_scc0 .LBB947_59
; %bb.62:                               ;   in Loop: Header=BB947_61 Depth=1
                                        ; implicit-def: $vgpr12_vgpr13
                                        ; implicit-def: $vgpr14_vgpr15
	s_mov_b64 s[40:41], s[26:27]
	s_branch .LBB947_60
.LBB947_63:
	s_or_b64 exec, exec, s[8:9]
	v_cmp_gt_i64_e32 vcc, s[26:27], v[16:17]
	s_orn2_b64 s[18:19], vcc, exec
.LBB947_64:
	s_or_b64 exec, exec, s[38:39]
.LBB947_65:
	v_cndmask_b32_e64 v13, 0, 1, s[14:15]
	v_or_b32_e32 v16, v26, v27
	s_and_b64 vcc, exec, s[36:37]
	s_cbranch_vccz .LBB947_124
.LBB947_66:
	v_cmp_gt_u32_e32 vcc, s7, v23
	s_mov_b64 s[18:19], 0
	s_mov_b64 s[14:15], 0
	s_and_saveexec_b64 s[36:37], vcc
	s_cbranch_execz .LBB947_77
; %bb.67:
	s_and_b64 vcc, exec, s[0:1]
	s_mov_b64 s[38:39], 0
	s_cbranch_vccnz .LBB947_76
; %bb.68:
	s_waitcnt lgkmcnt(0)
	v_mul_lo_u32 v14, v5, s26
	v_mul_lo_u32 v15, v4, s27
	v_mad_u64_u32 v[12:13], s[2:3], v4, s26, 0
	v_add3_u32 v13, v13, v15, v14
	v_mul_lo_u32 v14, v11, s26
	v_mul_lo_u32 v15, v10, s27
	v_mad_u64_u32 v[18:19], s[2:3], v10, s26, 0
	v_add3_u32 v19, v19, v15, v14
	v_lshlrev_b64 v[14:15], 2, v[12:13]
	v_mov_b32_e32 v12, s29
	v_add_co_u32_e32 v16, vcc, s28, v14
	v_addc_co_u32_e64 v17, s[2:3], v12, v15, vcc
	v_lshlrev_b64 v[12:13], 2, v[18:19]
	v_mov_b32_e32 v14, s29
	v_add_co_u32_e64 v18, s[2:3], s28, v12
	v_addc_co_u32_e64 v19, s[8:9], v14, v13, s[2:3]
	global_load_dword v12, v[16:17], off
	global_load_dword v14, v[18:19], off
	s_mov_b64 s[38:39], -1
	s_waitcnt vmcnt(0)
	v_cmp_eq_f32_e64 s[8:9], v12, v14
	s_and_saveexec_b64 s[14:15], s[8:9]
	s_cbranch_execz .LBB947_75
; %bb.69:
	v_mov_b32_e32 v12, s29
	v_addc_co_u32_e64 v13, s[2:3], v13, v12, s[2:3]
	v_add_co_u32_e64 v12, s[2:3], 4, v18
	v_mov_b32_e32 v14, s29
	v_addc_co_u32_e64 v13, s[2:3], 0, v13, s[2:3]
	v_addc_co_u32_e32 v15, vcc, v15, v14, vcc
	v_add_co_u32_e32 v14, vcc, 4, v16
	s_add_u32 s2, s26, -1
	v_addc_co_u32_e32 v15, vcc, 0, v15, vcc
	s_addc_u32 s3, s27, -1
	s_mov_b64 s[8:9], 0
	s_mov_b64 s[40:41], 0
                                        ; implicit-def: $sgpr38_sgpr39
	s_branch .LBB947_72
.LBB947_70:                             ;   in Loop: Header=BB947_72 Depth=1
	global_load_dword v16, v[14:15], off
	global_load_dword v17, v[12:13], off
	v_add_co_u32_e32 v12, vcc, 4, v12
	v_addc_co_u32_e32 v13, vcc, 0, v13, vcc
	v_add_co_u32_e32 v14, vcc, 4, v14
	v_addc_co_u32_e32 v15, vcc, 0, v15, vcc
	s_add_u32 s40, s40, 1
	s_addc_u32 s41, s41, 0
	s_andn2_b64 s[38:39], s[38:39], exec
	s_waitcnt vmcnt(0)
	v_cmp_neq_f32_e32 vcc, v16, v17
	s_and_b64 s[42:43], vcc, exec
	s_or_b64 s[38:39], s[38:39], s[42:43]
.LBB947_71:                             ;   in Loop: Header=BB947_72 Depth=1
	s_and_b64 s[42:43], exec, s[38:39]
	s_or_b64 s[8:9], s[42:43], s[8:9]
	v_pk_mov_b32 v[16:17], s[40:41], s[40:41] op_sel:[0,1]
	s_andn2_b64 exec, exec, s[8:9]
	s_cbranch_execz .LBB947_74
.LBB947_72:                             ; =>This Inner Loop Header: Depth=1
	s_or_b64 s[38:39], s[38:39], exec
	s_cmp_eq_u64 s[2:3], s[40:41]
	s_cbranch_scc0 .LBB947_70
; %bb.73:                               ;   in Loop: Header=BB947_72 Depth=1
                                        ; implicit-def: $vgpr12_vgpr13
                                        ; implicit-def: $vgpr14_vgpr15
	s_mov_b64 s[40:41], s[26:27]
	s_branch .LBB947_71
.LBB947_74:
	s_or_b64 exec, exec, s[8:9]
	v_cmp_gt_i64_e32 vcc, s[26:27], v[16:17]
	s_orn2_b64 s[38:39], vcc, exec
.LBB947_75:
	s_or_b64 exec, exec, s[14:15]
.LBB947_76:
	s_and_b64 s[14:15], s[38:39], exec
.LBB947_77:
	s_or_b64 exec, exec, s[36:37]
	v_cmp_gt_u32_e32 vcc, s7, v25
	s_and_saveexec_b64 s[36:37], vcc
	s_cbranch_execz .LBB947_88
; %bb.78:
	s_and_b64 vcc, exec, s[0:1]
	s_mov_b64 s[38:39], 0
	s_cbranch_vccnz .LBB947_87
; %bb.79:
	s_waitcnt lgkmcnt(0)
	v_mul_lo_u32 v14, v3, s26
	v_mul_lo_u32 v15, v2, s27
	v_mad_u64_u32 v[12:13], s[2:3], v2, s26, 0
	v_add3_u32 v13, v13, v15, v14
	v_mul_lo_u32 v14, v5, s26
	v_mul_lo_u32 v15, v4, s27
	v_mad_u64_u32 v[18:19], s[2:3], v4, s26, 0
	v_add3_u32 v19, v19, v15, v14
	v_lshlrev_b64 v[14:15], 2, v[12:13]
	v_mov_b32_e32 v12, s29
	v_add_co_u32_e32 v16, vcc, s28, v14
	v_addc_co_u32_e64 v17, s[2:3], v12, v15, vcc
	v_lshlrev_b64 v[12:13], 2, v[18:19]
	v_mov_b32_e32 v14, s29
	v_add_co_u32_e64 v18, s[2:3], s28, v12
	v_addc_co_u32_e64 v19, s[8:9], v14, v13, s[2:3]
	global_load_dword v12, v[16:17], off
	global_load_dword v14, v[18:19], off
	s_mov_b64 s[38:39], -1
	s_waitcnt vmcnt(0)
	v_cmp_eq_f32_e64 s[8:9], v12, v14
	s_and_saveexec_b64 s[18:19], s[8:9]
	s_cbranch_execz .LBB947_86
; %bb.80:
	v_mov_b32_e32 v12, s29
	v_addc_co_u32_e64 v13, s[2:3], v13, v12, s[2:3]
	v_add_co_u32_e64 v12, s[2:3], 4, v18
	v_mov_b32_e32 v14, s29
	v_addc_co_u32_e64 v13, s[2:3], 0, v13, s[2:3]
	v_addc_co_u32_e32 v15, vcc, v15, v14, vcc
	v_add_co_u32_e32 v14, vcc, 4, v16
	s_add_u32 s2, s26, -1
	v_addc_co_u32_e32 v15, vcc, 0, v15, vcc
	s_addc_u32 s3, s27, -1
	s_mov_b64 s[8:9], 0
	s_mov_b64 s[40:41], 0
                                        ; implicit-def: $sgpr38_sgpr39
	s_branch .LBB947_83
.LBB947_81:                             ;   in Loop: Header=BB947_83 Depth=1
	global_load_dword v16, v[14:15], off
	global_load_dword v17, v[12:13], off
	v_add_co_u32_e32 v12, vcc, 4, v12
	v_addc_co_u32_e32 v13, vcc, 0, v13, vcc
	v_add_co_u32_e32 v14, vcc, 4, v14
	v_addc_co_u32_e32 v15, vcc, 0, v15, vcc
	s_add_u32 s40, s40, 1
	s_addc_u32 s41, s41, 0
	s_andn2_b64 s[38:39], s[38:39], exec
	s_waitcnt vmcnt(0)
	v_cmp_neq_f32_e32 vcc, v16, v17
	s_and_b64 s[42:43], vcc, exec
	s_or_b64 s[38:39], s[38:39], s[42:43]
.LBB947_82:                             ;   in Loop: Header=BB947_83 Depth=1
	s_and_b64 s[42:43], exec, s[38:39]
	s_or_b64 s[8:9], s[42:43], s[8:9]
	v_pk_mov_b32 v[16:17], s[40:41], s[40:41] op_sel:[0,1]
	s_andn2_b64 exec, exec, s[8:9]
	s_cbranch_execz .LBB947_85
.LBB947_83:                             ; =>This Inner Loop Header: Depth=1
	s_or_b64 s[38:39], s[38:39], exec
	s_cmp_eq_u64 s[2:3], s[40:41]
	s_cbranch_scc0 .LBB947_81
; %bb.84:                               ;   in Loop: Header=BB947_83 Depth=1
                                        ; implicit-def: $vgpr12_vgpr13
                                        ; implicit-def: $vgpr14_vgpr15
	s_mov_b64 s[40:41], s[26:27]
	s_branch .LBB947_82
.LBB947_85:
	s_or_b64 exec, exec, s[8:9]
	v_cmp_gt_i64_e32 vcc, s[26:27], v[16:17]
	s_orn2_b64 s[38:39], vcc, exec
.LBB947_86:
	s_or_b64 exec, exec, s[18:19]
.LBB947_87:
	s_and_b64 s[18:19], s[38:39], exec
.LBB947_88:
	s_or_b64 exec, exec, s[36:37]
	v_cmp_gt_u32_e32 vcc, s7, v22
	s_mov_b64 s[36:37], 0
	s_mov_b64 s[38:39], 0
	s_and_saveexec_b64 s[40:41], vcc
	s_cbranch_execz .LBB947_99
; %bb.89:
	s_and_b64 vcc, exec, s[0:1]
	s_mov_b64 s[42:43], 0
	s_cbranch_vccnz .LBB947_98
; %bb.90:
	s_waitcnt lgkmcnt(0)
	v_mul_lo_u32 v14, v9, s26
	v_mul_lo_u32 v15, v8, s27
	v_mad_u64_u32 v[12:13], s[2:3], v8, s26, 0
	v_add3_u32 v13, v13, v15, v14
	v_mul_lo_u32 v14, v3, s26
	v_mul_lo_u32 v15, v2, s27
	v_mad_u64_u32 v[18:19], s[2:3], v2, s26, 0
	v_add3_u32 v19, v19, v15, v14
	v_lshlrev_b64 v[14:15], 2, v[12:13]
	v_mov_b32_e32 v12, s29
	v_add_co_u32_e32 v16, vcc, s28, v14
	v_addc_co_u32_e64 v17, s[2:3], v12, v15, vcc
	v_lshlrev_b64 v[12:13], 2, v[18:19]
	v_mov_b32_e32 v14, s29
	v_add_co_u32_e64 v18, s[2:3], s28, v12
	v_addc_co_u32_e64 v19, s[8:9], v14, v13, s[2:3]
	global_load_dword v12, v[16:17], off
	global_load_dword v14, v[18:19], off
	s_mov_b64 s[42:43], -1
	s_waitcnt vmcnt(0)
	v_cmp_eq_f32_e64 s[8:9], v12, v14
	s_and_saveexec_b64 s[38:39], s[8:9]
	s_cbranch_execz .LBB947_97
; %bb.91:
	v_mov_b32_e32 v12, s29
	v_addc_co_u32_e64 v13, s[2:3], v13, v12, s[2:3]
	v_add_co_u32_e64 v12, s[2:3], 4, v18
	v_mov_b32_e32 v14, s29
	v_addc_co_u32_e64 v13, s[2:3], 0, v13, s[2:3]
	v_addc_co_u32_e32 v15, vcc, v15, v14, vcc
	v_add_co_u32_e32 v14, vcc, 4, v16
	s_add_u32 s2, s26, -1
	v_addc_co_u32_e32 v15, vcc, 0, v15, vcc
	s_addc_u32 s3, s27, -1
	s_mov_b64 s[8:9], 0
	s_mov_b64 s[44:45], 0
                                        ; implicit-def: $sgpr42_sgpr43
	s_branch .LBB947_94
.LBB947_92:                             ;   in Loop: Header=BB947_94 Depth=1
	global_load_dword v16, v[14:15], off
	global_load_dword v17, v[12:13], off
	v_add_co_u32_e32 v12, vcc, 4, v12
	v_addc_co_u32_e32 v13, vcc, 0, v13, vcc
	v_add_co_u32_e32 v14, vcc, 4, v14
	v_addc_co_u32_e32 v15, vcc, 0, v15, vcc
	s_add_u32 s44, s44, 1
	s_addc_u32 s45, s45, 0
	s_andn2_b64 s[42:43], s[42:43], exec
	s_waitcnt vmcnt(0)
	v_cmp_neq_f32_e32 vcc, v16, v17
	s_and_b64 s[46:47], vcc, exec
	s_or_b64 s[42:43], s[42:43], s[46:47]
.LBB947_93:                             ;   in Loop: Header=BB947_94 Depth=1
	s_and_b64 s[46:47], exec, s[42:43]
	s_or_b64 s[8:9], s[46:47], s[8:9]
	v_pk_mov_b32 v[16:17], s[44:45], s[44:45] op_sel:[0,1]
	s_andn2_b64 exec, exec, s[8:9]
	s_cbranch_execz .LBB947_96
.LBB947_94:                             ; =>This Inner Loop Header: Depth=1
	s_or_b64 s[42:43], s[42:43], exec
	s_cmp_eq_u64 s[2:3], s[44:45]
	s_cbranch_scc0 .LBB947_92
; %bb.95:                               ;   in Loop: Header=BB947_94 Depth=1
                                        ; implicit-def: $vgpr12_vgpr13
                                        ; implicit-def: $vgpr14_vgpr15
	s_mov_b64 s[44:45], s[26:27]
	s_branch .LBB947_93
.LBB947_96:
	s_or_b64 exec, exec, s[8:9]
	v_cmp_gt_i64_e32 vcc, s[26:27], v[16:17]
	s_orn2_b64 s[42:43], vcc, exec
.LBB947_97:
	s_or_b64 exec, exec, s[38:39]
.LBB947_98:
	s_and_b64 s[38:39], s[42:43], exec
.LBB947_99:
	s_or_b64 exec, exec, s[40:41]
	v_cmp_gt_u32_e32 vcc, s7, v24
	s_and_saveexec_b64 s[40:41], vcc
	s_cbranch_execz .LBB947_110
; %bb.100:
	s_and_b64 vcc, exec, s[0:1]
	s_mov_b64 s[42:43], 0
	s_cbranch_vccnz .LBB947_109
; %bb.101:
	s_waitcnt lgkmcnt(0)
	v_mul_lo_u32 v14, v7, s26
	v_mul_lo_u32 v15, v6, s27
	v_mad_u64_u32 v[12:13], s[2:3], v6, s26, 0
	v_add3_u32 v13, v13, v15, v14
	v_mul_lo_u32 v14, v9, s26
	v_mul_lo_u32 v15, v8, s27
	v_mad_u64_u32 v[18:19], s[2:3], v8, s26, 0
	v_add3_u32 v19, v19, v15, v14
	v_lshlrev_b64 v[14:15], 2, v[12:13]
	v_mov_b32_e32 v12, s29
	v_add_co_u32_e32 v16, vcc, s28, v14
	v_addc_co_u32_e64 v17, s[2:3], v12, v15, vcc
	v_lshlrev_b64 v[12:13], 2, v[18:19]
	v_mov_b32_e32 v14, s29
	v_add_co_u32_e64 v18, s[2:3], s28, v12
	v_addc_co_u32_e64 v19, s[8:9], v14, v13, s[2:3]
	global_load_dword v12, v[16:17], off
	global_load_dword v14, v[18:19], off
	s_mov_b64 s[42:43], -1
	s_waitcnt vmcnt(0)
	v_cmp_eq_f32_e64 s[8:9], v12, v14
	s_and_saveexec_b64 s[36:37], s[8:9]
	s_cbranch_execz .LBB947_108
; %bb.102:
	v_mov_b32_e32 v12, s29
	v_addc_co_u32_e64 v13, s[2:3], v13, v12, s[2:3]
	v_add_co_u32_e64 v12, s[2:3], 4, v18
	v_mov_b32_e32 v14, s29
	v_addc_co_u32_e64 v13, s[2:3], 0, v13, s[2:3]
	v_addc_co_u32_e32 v15, vcc, v15, v14, vcc
	v_add_co_u32_e32 v14, vcc, 4, v16
	s_add_u32 s2, s26, -1
	v_addc_co_u32_e32 v15, vcc, 0, v15, vcc
	s_addc_u32 s3, s27, -1
	s_mov_b64 s[8:9], 0
	s_mov_b64 s[44:45], 0
                                        ; implicit-def: $sgpr42_sgpr43
	s_branch .LBB947_105
.LBB947_103:                            ;   in Loop: Header=BB947_105 Depth=1
	global_load_dword v16, v[14:15], off
	global_load_dword v17, v[12:13], off
	v_add_co_u32_e32 v12, vcc, 4, v12
	v_addc_co_u32_e32 v13, vcc, 0, v13, vcc
	v_add_co_u32_e32 v14, vcc, 4, v14
	v_addc_co_u32_e32 v15, vcc, 0, v15, vcc
	s_add_u32 s44, s44, 1
	s_addc_u32 s45, s45, 0
	s_andn2_b64 s[42:43], s[42:43], exec
	s_waitcnt vmcnt(0)
	v_cmp_neq_f32_e32 vcc, v16, v17
	s_and_b64 s[46:47], vcc, exec
	s_or_b64 s[42:43], s[42:43], s[46:47]
.LBB947_104:                            ;   in Loop: Header=BB947_105 Depth=1
	s_and_b64 s[46:47], exec, s[42:43]
	s_or_b64 s[8:9], s[46:47], s[8:9]
	v_pk_mov_b32 v[16:17], s[44:45], s[44:45] op_sel:[0,1]
	s_andn2_b64 exec, exec, s[8:9]
	s_cbranch_execz .LBB947_107
.LBB947_105:                            ; =>This Inner Loop Header: Depth=1
	s_or_b64 s[42:43], s[42:43], exec
	s_cmp_eq_u64 s[2:3], s[44:45]
	s_cbranch_scc0 .LBB947_103
; %bb.106:                              ;   in Loop: Header=BB947_105 Depth=1
                                        ; implicit-def: $vgpr12_vgpr13
                                        ; implicit-def: $vgpr14_vgpr15
	s_mov_b64 s[44:45], s[26:27]
	s_branch .LBB947_104
.LBB947_107:
	s_or_b64 exec, exec, s[8:9]
	v_cmp_gt_i64_e32 vcc, s[26:27], v[16:17]
	s_orn2_b64 s[42:43], vcc, exec
.LBB947_108:
	s_or_b64 exec, exec, s[36:37]
.LBB947_109:
	s_and_b64 s[36:37], s[42:43], exec
.LBB947_110:
	s_or_b64 exec, exec, s[40:41]
	v_cmp_ne_u32_e32 vcc, 0, v0
	s_waitcnt lgkmcnt(0)
	v_pk_mov_b32 v[12:13], s[12:13], s[12:13] op_sel:[0,1]
	s_barrier
	s_and_saveexec_b64 s[2:3], vcc
	s_cbranch_execz .LBB947_112
; %bb.111:
	v_add_u32_e32 v12, -8, v21
	ds_read_b64 v[12:13], v12
.LBB947_112:
	s_or_b64 exec, exec, s[2:3]
	v_cndmask_b32_e64 v15, 0, 1, s[18:19]
	v_cndmask_b32_e64 v14, 0, 1, s[38:39]
	;; [unrolled: 1-line block ×3, first 2 shown]
	v_lshlrev_b16_e32 v15, 8, v15
	v_cmp_gt_u32_e32 vcc, s7, v1
	v_lshlrev_b16_e32 v21, 8, v16
	v_or_b32_sdwa v26, v14, v15 dst_sel:WORD_1 dst_unused:UNUSED_PAD src0_sel:DWORD src1_sel:DWORD
	s_mov_b64 s[18:19], 0
	s_and_saveexec_b64 s[8:9], vcc
	s_cbranch_execz .LBB947_123
; %bb.113:
	s_and_b64 vcc, exec, s[0:1]
	s_cbranch_vccnz .LBB947_122
; %bb.114:
	s_waitcnt lgkmcnt(0)
	v_mul_lo_u32 v14, v13, s26
	v_mul_lo_u32 v15, v12, s27
	v_mad_u64_u32 v[12:13], s[0:1], v12, s26, 0
	v_add3_u32 v13, v13, v15, v14
	v_mul_lo_u32 v14, v7, s26
	v_mul_lo_u32 v15, v6, s27
	v_mad_u64_u32 v[18:19], s[0:1], v6, s26, 0
	v_add3_u32 v19, v19, v15, v14
	v_lshlrev_b64 v[14:15], 2, v[12:13]
	v_mov_b32_e32 v12, s29
	v_add_co_u32_e32 v16, vcc, s28, v14
	v_addc_co_u32_e64 v17, s[0:1], v12, v15, vcc
	v_lshlrev_b64 v[12:13], 2, v[18:19]
	v_mov_b32_e32 v14, s29
	v_add_co_u32_e64 v18, s[0:1], s28, v12
	v_addc_co_u32_e64 v19, s[2:3], v14, v13, s[0:1]
	global_load_dword v12, v[16:17], off
	global_load_dword v14, v[18:19], off
	s_mov_b64 s[18:19], -1
	s_waitcnt vmcnt(0)
	v_cmp_eq_f32_e64 s[2:3], v12, v14
	s_and_saveexec_b64 s[12:13], s[2:3]
	s_cbranch_execz .LBB947_121
; %bb.115:
	v_mov_b32_e32 v12, s29
	v_addc_co_u32_e64 v13, s[0:1], v13, v12, s[0:1]
	v_add_co_u32_e64 v12, s[0:1], 4, v18
	v_mov_b32_e32 v14, s29
	v_addc_co_u32_e64 v13, s[0:1], 0, v13, s[0:1]
	v_addc_co_u32_e32 v15, vcc, v15, v14, vcc
	v_add_co_u32_e32 v14, vcc, 4, v16
	s_add_u32 s0, s26, -1
	v_addc_co_u32_e32 v15, vcc, 0, v15, vcc
	s_addc_u32 s1, s27, -1
	s_mov_b64 s[2:3], 0
	s_mov_b64 s[36:37], 0
                                        ; implicit-def: $sgpr18_sgpr19
	s_branch .LBB947_118
.LBB947_116:                            ;   in Loop: Header=BB947_118 Depth=1
	global_load_dword v16, v[14:15], off
	global_load_dword v17, v[12:13], off
	v_add_co_u32_e32 v12, vcc, 4, v12
	v_addc_co_u32_e32 v13, vcc, 0, v13, vcc
	v_add_co_u32_e32 v14, vcc, 4, v14
	v_addc_co_u32_e32 v15, vcc, 0, v15, vcc
	s_add_u32 s36, s36, 1
	s_addc_u32 s37, s37, 0
	s_andn2_b64 s[18:19], s[18:19], exec
	s_waitcnt vmcnt(0)
	v_cmp_neq_f32_e32 vcc, v16, v17
	s_and_b64 s[38:39], vcc, exec
	s_or_b64 s[18:19], s[18:19], s[38:39]
.LBB947_117:                            ;   in Loop: Header=BB947_118 Depth=1
	s_and_b64 s[38:39], exec, s[18:19]
	s_or_b64 s[2:3], s[38:39], s[2:3]
	v_pk_mov_b32 v[16:17], s[36:37], s[36:37] op_sel:[0,1]
	s_andn2_b64 exec, exec, s[2:3]
	s_cbranch_execz .LBB947_120
.LBB947_118:                            ; =>This Inner Loop Header: Depth=1
	s_or_b64 s[18:19], s[18:19], exec
	s_cmp_eq_u64 s[0:1], s[36:37]
	s_cbranch_scc0 .LBB947_116
; %bb.119:                              ;   in Loop: Header=BB947_118 Depth=1
                                        ; implicit-def: $vgpr12_vgpr13
                                        ; implicit-def: $vgpr14_vgpr15
	s_mov_b64 s[36:37], s[26:27]
	s_branch .LBB947_117
.LBB947_120:
	s_or_b64 exec, exec, s[2:3]
	v_cmp_gt_i64_e32 vcc, s[26:27], v[16:17]
	s_orn2_b64 s[18:19], vcc, exec
.LBB947_121:
	s_or_b64 exec, exec, s[12:13]
.LBB947_122:
	s_and_b64 s[18:19], s[18:19], exec
.LBB947_123:
	s_or_b64 exec, exec, s[8:9]
	s_waitcnt lgkmcnt(0)
	v_cndmask_b32_e64 v13, 0, 1, s[14:15]
	v_or_b32_e32 v16, v21, v26
.LBB947_124:
	s_waitcnt lgkmcnt(0)
	s_mov_b64 s[12:13], -1
	s_cbranch_execnz .LBB947_233
.LBB947_125:
	v_lshlrev_b32_e32 v12, 5, v0
	v_sub_u32_e32 v26, v20, v12
	s_mov_b64 s[18:19], 0
	v_cmp_gt_i64_e64 s[14:15], s[26:27], 0
	s_and_b64 vcc, exec, s[34:35]
	ds_write_b64 v26, v[10:11]
	s_cbranch_vccz .LBB947_133
; %bb.126:
	v_mul_lo_u32 v14, v5, s26
	v_mul_lo_u32 v15, v4, s27
	v_mad_u64_u32 v[12:13], s[0:1], v4, s26, 0
	v_add3_u32 v13, v13, v15, v14
	v_cndmask_b32_e64 v14, 0, 1, s[14:15]
	v_cmp_ne_u32_e64 s[0:1], 1, v14
	s_andn2_b64 vcc, exec, s[14:15]
	v_lshlrev_b64 v[12:13], 2, v[12:13]
	s_cbranch_vccnz .LBB947_136
; %bb.127:
	v_mul_lo_u32 v16, v11, s26
	v_mul_lo_u32 v17, v10, s27
	v_mad_u64_u32 v[14:15], s[2:3], v10, s26, 0
	v_add3_u32 v15, v15, v17, v16
	v_mov_b32_e32 v17, s29
	v_add_co_u32_e32 v16, vcc, s28, v12
	v_addc_co_u32_e64 v17, s[2:3], v17, v13, vcc
	v_lshlrev_b64 v[14:15], 2, v[14:15]
	v_mov_b32_e32 v19, s29
	v_add_co_u32_e64 v18, s[2:3], s28, v14
	v_addc_co_u32_e64 v19, s[8:9], v19, v15, s[2:3]
	global_load_dword v14, v[16:17], off
	global_load_dword v20, v[18:19], off
	s_mov_b64 s[18:19], -1
	s_waitcnt vmcnt(0)
	v_cmp_eq_f32_e64 s[8:9], v14, v20
	s_and_saveexec_b64 s[36:37], s[8:9]
	s_cbranch_execz .LBB947_135
; %bb.128:
	v_mov_b32_e32 v14, s29
	v_addc_co_u32_e64 v15, s[2:3], v15, v14, s[2:3]
	v_add_co_u32_e64 v14, s[2:3], 4, v18
	v_mov_b32_e32 v17, s29
	v_addc_co_u32_e64 v15, s[2:3], 0, v15, s[2:3]
	v_addc_co_u32_e32 v17, vcc, v13, v17, vcc
	v_add_co_u32_e32 v16, vcc, 4, v16
	s_add_u32 s2, s26, -1
	v_addc_co_u32_e32 v17, vcc, 0, v17, vcc
	s_addc_u32 s3, s27, -1
	s_mov_b64 s[8:9], 0
	s_mov_b64 s[38:39], 0
                                        ; implicit-def: $sgpr18_sgpr19
	s_branch .LBB947_131
.LBB947_129:                            ;   in Loop: Header=BB947_131 Depth=1
	global_load_dword v18, v[16:17], off
	global_load_dword v19, v[14:15], off
	v_add_co_u32_e32 v14, vcc, 4, v14
	v_addc_co_u32_e32 v15, vcc, 0, v15, vcc
	v_add_co_u32_e32 v16, vcc, 4, v16
	v_addc_co_u32_e32 v17, vcc, 0, v17, vcc
	s_add_u32 s38, s38, 1
	s_addc_u32 s39, s39, 0
	s_andn2_b64 s[18:19], s[18:19], exec
	s_waitcnt vmcnt(0)
	v_cmp_neq_f32_e32 vcc, v18, v19
	s_and_b64 s[40:41], vcc, exec
	s_or_b64 s[18:19], s[18:19], s[40:41]
.LBB947_130:                            ;   in Loop: Header=BB947_131 Depth=1
	s_and_b64 s[40:41], exec, s[18:19]
	s_or_b64 s[8:9], s[40:41], s[8:9]
	v_pk_mov_b32 v[18:19], s[38:39], s[38:39] op_sel:[0,1]
	s_andn2_b64 exec, exec, s[8:9]
	s_cbranch_execz .LBB947_134
.LBB947_131:                            ; =>This Inner Loop Header: Depth=1
	s_or_b64 s[18:19], s[18:19], exec
	s_cmp_eq_u64 s[2:3], s[38:39]
	s_cbranch_scc0 .LBB947_129
; %bb.132:                              ;   in Loop: Header=BB947_131 Depth=1
                                        ; implicit-def: $vgpr14_vgpr15
                                        ; implicit-def: $vgpr16_vgpr17
	s_mov_b64 s[38:39], s[26:27]
	s_branch .LBB947_130
.LBB947_133:
                                        ; implicit-def: $sgpr18_sgpr19
                                        ; implicit-def: $vgpr13
                                        ; implicit-def: $vgpr16
	s_cbranch_execnz .LBB947_175
	s_branch .LBB947_233
.LBB947_134:
	s_or_b64 exec, exec, s[8:9]
	v_cmp_gt_i64_e32 vcc, s[26:27], v[18:19]
	s_orn2_b64 s[18:19], vcc, exec
.LBB947_135:
	s_or_b64 exec, exec, s[36:37]
.LBB947_136:
	v_mul_lo_u32 v16, v3, s26
	v_mul_lo_u32 v17, v2, s27
	v_mad_u64_u32 v[14:15], s[2:3], v2, s26, 0
	v_add3_u32 v15, v15, v17, v16
	s_mov_b64 s[36:37], 0
	s_and_b64 vcc, exec, s[0:1]
	v_lshlrev_b64 v[14:15], 2, v[14:15]
	s_mov_b64 s[38:39], 0
	s_cbranch_vccnz .LBB947_145
; %bb.137:
	v_mov_b32_e32 v17, s29
	v_add_co_u32_e32 v16, vcc, s28, v14
	v_addc_co_u32_e64 v17, s[2:3], v17, v15, vcc
	v_mov_b32_e32 v19, s29
	v_add_co_u32_e64 v18, s[2:3], s28, v12
	v_addc_co_u32_e64 v19, s[8:9], v19, v13, s[2:3]
	global_load_dword v12, v[16:17], off
	global_load_dword v20, v[18:19], off
	s_mov_b64 s[38:39], -1
	s_waitcnt vmcnt(0)
	v_cmp_eq_f32_e64 s[8:9], v12, v20
	s_and_saveexec_b64 s[40:41], s[8:9]
	s_cbranch_execz .LBB947_144
; %bb.138:
	v_mov_b32_e32 v12, s29
	v_addc_co_u32_e64 v13, s[2:3], v13, v12, s[2:3]
	v_add_co_u32_e64 v12, s[2:3], 4, v18
	v_mov_b32_e32 v17, s29
	v_addc_co_u32_e64 v13, s[2:3], 0, v13, s[2:3]
	v_addc_co_u32_e32 v17, vcc, v15, v17, vcc
	v_add_co_u32_e32 v16, vcc, 4, v16
	s_add_u32 s2, s26, -1
	v_addc_co_u32_e32 v17, vcc, 0, v17, vcc
	s_addc_u32 s3, s27, -1
	s_mov_b64 s[8:9], 0
	s_mov_b64 s[42:43], 0
                                        ; implicit-def: $sgpr38_sgpr39
	s_branch .LBB947_141
.LBB947_139:                            ;   in Loop: Header=BB947_141 Depth=1
	global_load_dword v18, v[16:17], off
	global_load_dword v19, v[12:13], off
	v_add_co_u32_e32 v12, vcc, 4, v12
	v_addc_co_u32_e32 v13, vcc, 0, v13, vcc
	v_add_co_u32_e32 v16, vcc, 4, v16
	v_addc_co_u32_e32 v17, vcc, 0, v17, vcc
	s_add_u32 s42, s42, 1
	s_addc_u32 s43, s43, 0
	s_andn2_b64 s[38:39], s[38:39], exec
	s_waitcnt vmcnt(0)
	v_cmp_neq_f32_e32 vcc, v18, v19
	s_and_b64 s[44:45], vcc, exec
	s_or_b64 s[38:39], s[38:39], s[44:45]
.LBB947_140:                            ;   in Loop: Header=BB947_141 Depth=1
	s_and_b64 s[44:45], exec, s[38:39]
	s_or_b64 s[8:9], s[44:45], s[8:9]
	v_pk_mov_b32 v[18:19], s[42:43], s[42:43] op_sel:[0,1]
	s_andn2_b64 exec, exec, s[8:9]
	s_cbranch_execz .LBB947_143
.LBB947_141:                            ; =>This Inner Loop Header: Depth=1
	s_or_b64 s[38:39], s[38:39], exec
	s_cmp_eq_u64 s[2:3], s[42:43]
	s_cbranch_scc0 .LBB947_139
; %bb.142:                              ;   in Loop: Header=BB947_141 Depth=1
                                        ; implicit-def: $vgpr12_vgpr13
                                        ; implicit-def: $vgpr16_vgpr17
	s_mov_b64 s[42:43], s[26:27]
	s_branch .LBB947_140
.LBB947_143:
	s_or_b64 exec, exec, s[8:9]
	v_cmp_gt_i64_e32 vcc, s[26:27], v[18:19]
	s_orn2_b64 s[38:39], vcc, exec
.LBB947_144:
	s_or_b64 exec, exec, s[40:41]
.LBB947_145:
	v_mul_lo_u32 v16, v9, s26
	v_mul_lo_u32 v17, v8, s27
	v_mad_u64_u32 v[12:13], s[2:3], v8, s26, 0
	v_add3_u32 v13, v13, v17, v16
	s_and_b64 vcc, exec, s[0:1]
	v_lshlrev_b64 v[12:13], 2, v[12:13]
	s_cbranch_vccnz .LBB947_154
; %bb.146:
	v_mov_b32_e32 v17, s29
	v_add_co_u32_e32 v16, vcc, s28, v12
	v_addc_co_u32_e64 v17, s[2:3], v17, v13, vcc
	v_mov_b32_e32 v19, s29
	v_add_co_u32_e64 v18, s[2:3], s28, v14
	v_addc_co_u32_e64 v19, s[8:9], v19, v15, s[2:3]
	global_load_dword v14, v[16:17], off
	global_load_dword v20, v[18:19], off
	s_mov_b64 s[36:37], -1
	s_waitcnt vmcnt(0)
	v_cmp_eq_f32_e64 s[8:9], v14, v20
	s_and_saveexec_b64 s[40:41], s[8:9]
	s_cbranch_execz .LBB947_153
; %bb.147:
	v_mov_b32_e32 v14, s29
	v_addc_co_u32_e64 v15, s[2:3], v15, v14, s[2:3]
	v_add_co_u32_e64 v14, s[2:3], 4, v18
	v_mov_b32_e32 v17, s29
	v_addc_co_u32_e64 v15, s[2:3], 0, v15, s[2:3]
	v_addc_co_u32_e32 v17, vcc, v13, v17, vcc
	v_add_co_u32_e32 v16, vcc, 4, v16
	s_add_u32 s2, s26, -1
	v_addc_co_u32_e32 v17, vcc, 0, v17, vcc
	s_addc_u32 s3, s27, -1
	s_mov_b64 s[8:9], 0
	s_mov_b64 s[42:43], 0
                                        ; implicit-def: $sgpr36_sgpr37
	s_branch .LBB947_150
.LBB947_148:                            ;   in Loop: Header=BB947_150 Depth=1
	global_load_dword v18, v[16:17], off
	global_load_dword v19, v[14:15], off
	v_add_co_u32_e32 v14, vcc, 4, v14
	v_addc_co_u32_e32 v15, vcc, 0, v15, vcc
	v_add_co_u32_e32 v16, vcc, 4, v16
	v_addc_co_u32_e32 v17, vcc, 0, v17, vcc
	s_add_u32 s42, s42, 1
	s_addc_u32 s43, s43, 0
	s_andn2_b64 s[36:37], s[36:37], exec
	s_waitcnt vmcnt(0)
	v_cmp_neq_f32_e32 vcc, v18, v19
	s_and_b64 s[44:45], vcc, exec
	s_or_b64 s[36:37], s[36:37], s[44:45]
.LBB947_149:                            ;   in Loop: Header=BB947_150 Depth=1
	s_and_b64 s[44:45], exec, s[36:37]
	s_or_b64 s[8:9], s[44:45], s[8:9]
	v_pk_mov_b32 v[18:19], s[42:43], s[42:43] op_sel:[0,1]
	s_andn2_b64 exec, exec, s[8:9]
	s_cbranch_execz .LBB947_152
.LBB947_150:                            ; =>This Inner Loop Header: Depth=1
	s_or_b64 s[36:37], s[36:37], exec
	s_cmp_eq_u64 s[2:3], s[42:43]
	s_cbranch_scc0 .LBB947_148
; %bb.151:                              ;   in Loop: Header=BB947_150 Depth=1
                                        ; implicit-def: $vgpr14_vgpr15
                                        ; implicit-def: $vgpr16_vgpr17
	s_mov_b64 s[42:43], s[26:27]
	s_branch .LBB947_149
.LBB947_152:
	s_or_b64 exec, exec, s[8:9]
	v_cmp_gt_i64_e32 vcc, s[26:27], v[18:19]
	s_orn2_b64 s[36:37], vcc, exec
.LBB947_153:
	s_or_b64 exec, exec, s[40:41]
.LBB947_154:
	v_mul_lo_u32 v16, v7, s26
	v_mul_lo_u32 v17, v6, s27
	v_mad_u64_u32 v[14:15], s[2:3], v6, s26, 0
	v_add3_u32 v15, v15, v17, v16
	s_and_b64 vcc, exec, s[0:1]
	s_mov_b64 s[42:43], 0
	s_cbranch_vccnz .LBB947_163
; %bb.155:
	v_lshlrev_b64 v[16:17], 2, v[14:15]
	v_mov_b32_e32 v19, s29
	v_add_co_u32_e32 v18, vcc, s28, v16
	v_addc_co_u32_e64 v19, s[2:3], v19, v17, vcc
	v_mov_b32_e32 v16, s29
	v_add_co_u32_e64 v20, s[2:3], s28, v12
	v_addc_co_u32_e64 v21, s[8:9], v16, v13, s[2:3]
	global_load_dword v12, v[18:19], off
	global_load_dword v16, v[20:21], off
	s_mov_b64 s[42:43], -1
	s_waitcnt vmcnt(0)
	v_cmp_eq_f32_e64 s[8:9], v12, v16
	s_and_saveexec_b64 s[40:41], s[8:9]
	s_cbranch_execz .LBB947_162
; %bb.156:
	v_mov_b32_e32 v12, s29
	v_addc_co_u32_e64 v13, s[2:3], v13, v12, s[2:3]
	v_add_co_u32_e64 v12, s[2:3], 4, v20
	v_mov_b32_e32 v16, s29
	v_addc_co_u32_e64 v13, s[2:3], 0, v13, s[2:3]
	v_addc_co_u32_e32 v17, vcc, v17, v16, vcc
	v_add_co_u32_e32 v16, vcc, 4, v18
	s_add_u32 s2, s26, -1
	v_addc_co_u32_e32 v17, vcc, 0, v17, vcc
	s_addc_u32 s3, s27, -1
	s_mov_b64 s[8:9], 0
	s_mov_b64 s[44:45], 0
                                        ; implicit-def: $sgpr42_sgpr43
	s_branch .LBB947_159
.LBB947_157:                            ;   in Loop: Header=BB947_159 Depth=1
	global_load_dword v18, v[16:17], off
	global_load_dword v19, v[12:13], off
	v_add_co_u32_e32 v12, vcc, 4, v12
	v_addc_co_u32_e32 v13, vcc, 0, v13, vcc
	v_add_co_u32_e32 v16, vcc, 4, v16
	v_addc_co_u32_e32 v17, vcc, 0, v17, vcc
	s_add_u32 s44, s44, 1
	s_addc_u32 s45, s45, 0
	s_andn2_b64 s[42:43], s[42:43], exec
	s_waitcnt vmcnt(0)
	v_cmp_neq_f32_e32 vcc, v18, v19
	s_and_b64 s[46:47], vcc, exec
	s_or_b64 s[42:43], s[42:43], s[46:47]
.LBB947_158:                            ;   in Loop: Header=BB947_159 Depth=1
	s_and_b64 s[46:47], exec, s[42:43]
	s_or_b64 s[8:9], s[46:47], s[8:9]
	v_pk_mov_b32 v[18:19], s[44:45], s[44:45] op_sel:[0,1]
	s_andn2_b64 exec, exec, s[8:9]
	s_cbranch_execz .LBB947_161
.LBB947_159:                            ; =>This Inner Loop Header: Depth=1
	s_or_b64 s[42:43], s[42:43], exec
	s_cmp_eq_u64 s[2:3], s[44:45]
	s_cbranch_scc0 .LBB947_157
; %bb.160:                              ;   in Loop: Header=BB947_159 Depth=1
                                        ; implicit-def: $vgpr12_vgpr13
                                        ; implicit-def: $vgpr16_vgpr17
	s_mov_b64 s[44:45], s[26:27]
	s_branch .LBB947_158
.LBB947_161:
	s_or_b64 exec, exec, s[8:9]
	v_cmp_gt_i64_e32 vcc, s[26:27], v[18:19]
	s_orn2_b64 s[42:43], vcc, exec
.LBB947_162:
	s_or_b64 exec, exec, s[40:41]
.LBB947_163:
	v_cndmask_b32_e64 v13, 0, 1, s[38:39]
	v_cndmask_b32_e64 v16, 0, 1, s[42:43]
	;; [unrolled: 1-line block ×3, first 2 shown]
	v_lshlrev_b16_e32 v16, 8, v16
	v_lshlrev_b16_e32 v13, 8, v13
	v_or_b32_e32 v16, 1, v16
	v_or_b32_sdwa v12, v12, v13 dst_sel:WORD_1 dst_unused:UNUSED_PAD src0_sel:DWORD src1_sel:DWORD
	v_or_b32_sdwa v12, v16, v12 dst_sel:DWORD dst_unused:UNUSED_PAD src0_sel:WORD_0 src1_sel:DWORD
	v_cndmask_b32_e64 v13, 0, 1, s[18:19]
	v_cmp_ne_u32_e32 vcc, 0, v0
	s_waitcnt lgkmcnt(0)
	s_barrier
	s_waitcnt lgkmcnt(0)
                                        ; implicit-def: $sgpr18_sgpr19
                                        ; implicit-def: $vgpr16
	s_and_saveexec_b64 s[2:3], vcc
	s_xor_b64 s[8:9], exec, s[2:3]
	s_cbranch_execz .LBB947_174
; %bb.164:
	s_mov_b32 s33, 0x3020104
	s_and_b64 vcc, exec, s[0:1]
	s_mov_b64 s[36:37], 0
	s_cbranch_vccnz .LBB947_173
; %bb.165:
	v_add_u32_e32 v16, -8, v26
	ds_read_b64 v[16:17], v16
	v_mov_b32_e32 v19, s29
	v_lshlrev_b64 v[14:15], 2, v[14:15]
	s_mov_b64 s[36:37], -1
	s_waitcnt lgkmcnt(0)
	v_mul_lo_u32 v18, v17, s26
	v_mul_lo_u32 v20, v16, s27
	v_mad_u64_u32 v[16:17], s[0:1], v16, s26, 0
	v_add3_u32 v17, v17, v20, v18
	v_lshlrev_b64 v[16:17], 2, v[16:17]
	v_add_co_u32_e32 v18, vcc, s28, v16
	v_addc_co_u32_e64 v19, s[0:1], v19, v17, vcc
	v_mov_b32_e32 v16, s29
	v_add_co_u32_e64 v20, s[0:1], s28, v14
	v_addc_co_u32_e64 v21, s[2:3], v16, v15, s[0:1]
	global_load_dword v14, v[18:19], off
	global_load_dword v16, v[20:21], off
	s_waitcnt vmcnt(0)
	v_cmp_eq_f32_e64 s[2:3], v14, v16
	s_and_saveexec_b64 s[18:19], s[2:3]
	s_cbranch_execz .LBB947_172
; %bb.166:
	v_mov_b32_e32 v14, s29
	v_addc_co_u32_e64 v15, s[0:1], v15, v14, s[0:1]
	v_add_co_u32_e64 v14, s[0:1], 4, v20
	v_mov_b32_e32 v16, s29
	v_addc_co_u32_e64 v15, s[0:1], 0, v15, s[0:1]
	v_addc_co_u32_e32 v17, vcc, v17, v16, vcc
	v_add_co_u32_e32 v16, vcc, 4, v18
	s_add_u32 s0, s26, -1
	v_addc_co_u32_e32 v17, vcc, 0, v17, vcc
	s_addc_u32 s1, s27, -1
	s_mov_b64 s[2:3], 0
	s_mov_b64 s[38:39], 0
                                        ; implicit-def: $sgpr36_sgpr37
	s_branch .LBB947_169
.LBB947_167:                            ;   in Loop: Header=BB947_169 Depth=1
	global_load_dword v18, v[16:17], off
	global_load_dword v19, v[14:15], off
	v_add_co_u32_e32 v14, vcc, 4, v14
	v_addc_co_u32_e32 v15, vcc, 0, v15, vcc
	v_add_co_u32_e32 v16, vcc, 4, v16
	v_addc_co_u32_e32 v17, vcc, 0, v17, vcc
	s_add_u32 s38, s38, 1
	s_addc_u32 s39, s39, 0
	s_andn2_b64 s[36:37], s[36:37], exec
	s_waitcnt vmcnt(0)
	v_cmp_neq_f32_e32 vcc, v18, v19
	s_and_b64 s[40:41], vcc, exec
	s_or_b64 s[36:37], s[36:37], s[40:41]
.LBB947_168:                            ;   in Loop: Header=BB947_169 Depth=1
	s_and_b64 s[40:41], exec, s[36:37]
	s_or_b64 s[2:3], s[40:41], s[2:3]
	v_pk_mov_b32 v[18:19], s[38:39], s[38:39] op_sel:[0,1]
	s_andn2_b64 exec, exec, s[2:3]
	s_cbranch_execz .LBB947_171
.LBB947_169:                            ; =>This Inner Loop Header: Depth=1
	s_or_b64 s[36:37], s[36:37], exec
	s_cmp_eq_u64 s[0:1], s[38:39]
	s_cbranch_scc0 .LBB947_167
; %bb.170:                              ;   in Loop: Header=BB947_169 Depth=1
                                        ; implicit-def: $vgpr14_vgpr15
                                        ; implicit-def: $vgpr16_vgpr17
	s_mov_b64 s[38:39], s[26:27]
	s_branch .LBB947_168
.LBB947_171:
	s_or_b64 exec, exec, s[2:3]
	v_cmp_gt_i64_e32 vcc, s[26:27], v[18:19]
	s_orn2_b64 s[36:37], vcc, exec
.LBB947_172:
	s_or_b64 exec, exec, s[18:19]
.LBB947_173:
	v_perm_b32 v16, v12, v12, s33
	s_and_b64 s[18:19], s[36:37], exec
	s_or_b64 s[12:13], s[12:13], exec
.LBB947_174:
	s_or_b64 exec, exec, s[8:9]
	s_branch .LBB947_233
.LBB947_175:
	v_cmp_gt_u32_e32 vcc, s7, v23
	s_mov_b64 s[18:19], 0
	s_mov_b64 s[8:9], 0
	s_and_saveexec_b64 s[36:37], vcc
	s_cbranch_execz .LBB947_186
; %bb.176:
	s_andn2_b64 vcc, exec, s[14:15]
	s_mov_b64 s[38:39], 0
	s_cbranch_vccnz .LBB947_185
; %bb.177:
	v_mul_lo_u32 v14, v5, s26
	v_mul_lo_u32 v15, v4, s27
	v_mad_u64_u32 v[12:13], s[0:1], v4, s26, 0
	v_add3_u32 v13, v13, v15, v14
	v_mul_lo_u32 v14, v11, s26
	v_mul_lo_u32 v15, v10, s27
	v_mad_u64_u32 v[18:19], s[0:1], v10, s26, 0
	v_add3_u32 v19, v19, v15, v14
	v_lshlrev_b64 v[14:15], 2, v[12:13]
	v_mov_b32_e32 v12, s29
	v_add_co_u32_e32 v16, vcc, s28, v14
	v_addc_co_u32_e64 v17, s[0:1], v12, v15, vcc
	v_lshlrev_b64 v[12:13], 2, v[18:19]
	v_mov_b32_e32 v14, s29
	v_add_co_u32_e64 v18, s[0:1], s28, v12
	v_addc_co_u32_e64 v19, s[2:3], v14, v13, s[0:1]
	global_load_dword v12, v[16:17], off
	global_load_dword v14, v[18:19], off
	s_mov_b64 s[38:39], -1
	s_waitcnt vmcnt(0)
	v_cmp_eq_f32_e64 s[2:3], v12, v14
	s_and_saveexec_b64 s[8:9], s[2:3]
	s_cbranch_execz .LBB947_184
; %bb.178:
	v_mov_b32_e32 v12, s29
	v_addc_co_u32_e64 v13, s[0:1], v13, v12, s[0:1]
	v_add_co_u32_e64 v12, s[0:1], 4, v18
	v_mov_b32_e32 v14, s29
	v_addc_co_u32_e64 v13, s[0:1], 0, v13, s[0:1]
	v_addc_co_u32_e32 v15, vcc, v15, v14, vcc
	v_add_co_u32_e32 v14, vcc, 4, v16
	s_add_u32 s0, s26, -1
	v_addc_co_u32_e32 v15, vcc, 0, v15, vcc
	s_addc_u32 s1, s27, -1
	s_mov_b64 s[2:3], 0
	s_mov_b64 s[40:41], 0
                                        ; implicit-def: $sgpr38_sgpr39
	s_branch .LBB947_181
.LBB947_179:                            ;   in Loop: Header=BB947_181 Depth=1
	global_load_dword v16, v[14:15], off
	global_load_dword v17, v[12:13], off
	v_add_co_u32_e32 v12, vcc, 4, v12
	v_addc_co_u32_e32 v13, vcc, 0, v13, vcc
	v_add_co_u32_e32 v14, vcc, 4, v14
	v_addc_co_u32_e32 v15, vcc, 0, v15, vcc
	s_add_u32 s40, s40, 1
	s_addc_u32 s41, s41, 0
	s_andn2_b64 s[38:39], s[38:39], exec
	s_waitcnt vmcnt(0)
	v_cmp_neq_f32_e32 vcc, v16, v17
	s_and_b64 s[42:43], vcc, exec
	s_or_b64 s[38:39], s[38:39], s[42:43]
.LBB947_180:                            ;   in Loop: Header=BB947_181 Depth=1
	s_and_b64 s[42:43], exec, s[38:39]
	s_or_b64 s[2:3], s[42:43], s[2:3]
	v_pk_mov_b32 v[16:17], s[40:41], s[40:41] op_sel:[0,1]
	s_andn2_b64 exec, exec, s[2:3]
	s_cbranch_execz .LBB947_183
.LBB947_181:                            ; =>This Inner Loop Header: Depth=1
	s_or_b64 s[38:39], s[38:39], exec
	s_cmp_eq_u64 s[0:1], s[40:41]
	s_cbranch_scc0 .LBB947_179
; %bb.182:                              ;   in Loop: Header=BB947_181 Depth=1
                                        ; implicit-def: $vgpr12_vgpr13
                                        ; implicit-def: $vgpr14_vgpr15
	s_mov_b64 s[40:41], s[26:27]
	s_branch .LBB947_180
.LBB947_183:
	s_or_b64 exec, exec, s[2:3]
	v_cmp_gt_i64_e32 vcc, s[26:27], v[16:17]
	s_orn2_b64 s[38:39], vcc, exec
.LBB947_184:
	s_or_b64 exec, exec, s[8:9]
.LBB947_185:
	s_and_b64 s[8:9], s[38:39], exec
.LBB947_186:
	s_or_b64 exec, exec, s[36:37]
	v_cmp_gt_u32_e32 vcc, s7, v25
	s_and_saveexec_b64 s[36:37], vcc
	s_cbranch_execz .LBB947_197
; %bb.187:
	s_andn2_b64 vcc, exec, s[14:15]
	s_mov_b64 s[38:39], 0
	s_cbranch_vccnz .LBB947_196
; %bb.188:
	v_mul_lo_u32 v14, v3, s26
	v_mul_lo_u32 v15, v2, s27
	v_mad_u64_u32 v[12:13], s[0:1], v2, s26, 0
	v_add3_u32 v13, v13, v15, v14
	v_mul_lo_u32 v14, v5, s26
	v_mul_lo_u32 v15, v4, s27
	v_mad_u64_u32 v[18:19], s[0:1], v4, s26, 0
	v_add3_u32 v19, v19, v15, v14
	v_lshlrev_b64 v[14:15], 2, v[12:13]
	v_mov_b32_e32 v12, s29
	v_add_co_u32_e32 v16, vcc, s28, v14
	v_addc_co_u32_e64 v17, s[0:1], v12, v15, vcc
	v_lshlrev_b64 v[12:13], 2, v[18:19]
	v_mov_b32_e32 v14, s29
	v_add_co_u32_e64 v18, s[0:1], s28, v12
	v_addc_co_u32_e64 v19, s[2:3], v14, v13, s[0:1]
	global_load_dword v12, v[16:17], off
	global_load_dword v14, v[18:19], off
	s_mov_b64 s[38:39], -1
	s_waitcnt vmcnt(0)
	v_cmp_eq_f32_e64 s[2:3], v12, v14
	s_and_saveexec_b64 s[18:19], s[2:3]
	s_cbranch_execz .LBB947_195
; %bb.189:
	v_mov_b32_e32 v12, s29
	v_addc_co_u32_e64 v13, s[0:1], v13, v12, s[0:1]
	v_add_co_u32_e64 v12, s[0:1], 4, v18
	v_mov_b32_e32 v14, s29
	v_addc_co_u32_e64 v13, s[0:1], 0, v13, s[0:1]
	v_addc_co_u32_e32 v15, vcc, v15, v14, vcc
	v_add_co_u32_e32 v14, vcc, 4, v16
	s_add_u32 s0, s26, -1
	v_addc_co_u32_e32 v15, vcc, 0, v15, vcc
	s_addc_u32 s1, s27, -1
	s_mov_b64 s[2:3], 0
	s_mov_b64 s[40:41], 0
                                        ; implicit-def: $sgpr38_sgpr39
	s_branch .LBB947_192
.LBB947_190:                            ;   in Loop: Header=BB947_192 Depth=1
	global_load_dword v16, v[14:15], off
	global_load_dword v17, v[12:13], off
	v_add_co_u32_e32 v12, vcc, 4, v12
	v_addc_co_u32_e32 v13, vcc, 0, v13, vcc
	v_add_co_u32_e32 v14, vcc, 4, v14
	v_addc_co_u32_e32 v15, vcc, 0, v15, vcc
	s_add_u32 s40, s40, 1
	s_addc_u32 s41, s41, 0
	s_andn2_b64 s[38:39], s[38:39], exec
	s_waitcnt vmcnt(0)
	v_cmp_neq_f32_e32 vcc, v16, v17
	s_and_b64 s[42:43], vcc, exec
	s_or_b64 s[38:39], s[38:39], s[42:43]
.LBB947_191:                            ;   in Loop: Header=BB947_192 Depth=1
	s_and_b64 s[42:43], exec, s[38:39]
	s_or_b64 s[2:3], s[42:43], s[2:3]
	v_pk_mov_b32 v[16:17], s[40:41], s[40:41] op_sel:[0,1]
	s_andn2_b64 exec, exec, s[2:3]
	s_cbranch_execz .LBB947_194
.LBB947_192:                            ; =>This Inner Loop Header: Depth=1
	s_or_b64 s[38:39], s[38:39], exec
	s_cmp_eq_u64 s[0:1], s[40:41]
	s_cbranch_scc0 .LBB947_190
; %bb.193:                              ;   in Loop: Header=BB947_192 Depth=1
                                        ; implicit-def: $vgpr12_vgpr13
                                        ; implicit-def: $vgpr14_vgpr15
	s_mov_b64 s[40:41], s[26:27]
	s_branch .LBB947_191
.LBB947_194:
	s_or_b64 exec, exec, s[2:3]
	v_cmp_gt_i64_e32 vcc, s[26:27], v[16:17]
	s_orn2_b64 s[38:39], vcc, exec
.LBB947_195:
	s_or_b64 exec, exec, s[18:19]
.LBB947_196:
	s_and_b64 s[18:19], s[38:39], exec
.LBB947_197:
	s_or_b64 exec, exec, s[36:37]
	v_cmp_gt_u32_e32 vcc, s7, v22
	s_mov_b64 s[36:37], 0
	s_mov_b64 s[38:39], 0
	s_and_saveexec_b64 s[40:41], vcc
	s_cbranch_execz .LBB947_208
; %bb.198:
	s_andn2_b64 vcc, exec, s[14:15]
	s_mov_b64 s[42:43], 0
	s_cbranch_vccnz .LBB947_207
; %bb.199:
	v_mul_lo_u32 v14, v9, s26
	v_mul_lo_u32 v15, v8, s27
	v_mad_u64_u32 v[12:13], s[0:1], v8, s26, 0
	v_add3_u32 v13, v13, v15, v14
	v_mul_lo_u32 v14, v3, s26
	v_mul_lo_u32 v15, v2, s27
	v_mad_u64_u32 v[18:19], s[0:1], v2, s26, 0
	v_add3_u32 v19, v19, v15, v14
	v_lshlrev_b64 v[14:15], 2, v[12:13]
	v_mov_b32_e32 v12, s29
	v_add_co_u32_e32 v16, vcc, s28, v14
	v_addc_co_u32_e64 v17, s[0:1], v12, v15, vcc
	v_lshlrev_b64 v[12:13], 2, v[18:19]
	v_mov_b32_e32 v14, s29
	v_add_co_u32_e64 v18, s[0:1], s28, v12
	v_addc_co_u32_e64 v19, s[2:3], v14, v13, s[0:1]
	global_load_dword v12, v[16:17], off
	global_load_dword v14, v[18:19], off
	s_mov_b64 s[42:43], -1
	s_waitcnt vmcnt(0)
	v_cmp_eq_f32_e64 s[2:3], v12, v14
	s_and_saveexec_b64 s[38:39], s[2:3]
	s_cbranch_execz .LBB947_206
; %bb.200:
	v_mov_b32_e32 v12, s29
	v_addc_co_u32_e64 v13, s[0:1], v13, v12, s[0:1]
	v_add_co_u32_e64 v12, s[0:1], 4, v18
	v_mov_b32_e32 v14, s29
	v_addc_co_u32_e64 v13, s[0:1], 0, v13, s[0:1]
	v_addc_co_u32_e32 v15, vcc, v15, v14, vcc
	v_add_co_u32_e32 v14, vcc, 4, v16
	s_add_u32 s0, s26, -1
	v_addc_co_u32_e32 v15, vcc, 0, v15, vcc
	s_addc_u32 s1, s27, -1
	s_mov_b64 s[2:3], 0
	s_mov_b64 s[44:45], 0
                                        ; implicit-def: $sgpr42_sgpr43
	s_branch .LBB947_203
.LBB947_201:                            ;   in Loop: Header=BB947_203 Depth=1
	global_load_dword v16, v[14:15], off
	global_load_dword v17, v[12:13], off
	v_add_co_u32_e32 v12, vcc, 4, v12
	v_addc_co_u32_e32 v13, vcc, 0, v13, vcc
	v_add_co_u32_e32 v14, vcc, 4, v14
	v_addc_co_u32_e32 v15, vcc, 0, v15, vcc
	s_add_u32 s44, s44, 1
	s_addc_u32 s45, s45, 0
	s_andn2_b64 s[42:43], s[42:43], exec
	s_waitcnt vmcnt(0)
	v_cmp_neq_f32_e32 vcc, v16, v17
	s_and_b64 s[46:47], vcc, exec
	s_or_b64 s[42:43], s[42:43], s[46:47]
.LBB947_202:                            ;   in Loop: Header=BB947_203 Depth=1
	s_and_b64 s[46:47], exec, s[42:43]
	s_or_b64 s[2:3], s[46:47], s[2:3]
	v_pk_mov_b32 v[16:17], s[44:45], s[44:45] op_sel:[0,1]
	s_andn2_b64 exec, exec, s[2:3]
	s_cbranch_execz .LBB947_205
.LBB947_203:                            ; =>This Inner Loop Header: Depth=1
	s_or_b64 s[42:43], s[42:43], exec
	s_cmp_eq_u64 s[0:1], s[44:45]
	s_cbranch_scc0 .LBB947_201
; %bb.204:                              ;   in Loop: Header=BB947_203 Depth=1
                                        ; implicit-def: $vgpr12_vgpr13
                                        ; implicit-def: $vgpr14_vgpr15
	s_mov_b64 s[44:45], s[26:27]
	s_branch .LBB947_202
.LBB947_205:
	s_or_b64 exec, exec, s[2:3]
	v_cmp_gt_i64_e32 vcc, s[26:27], v[16:17]
	s_orn2_b64 s[42:43], vcc, exec
.LBB947_206:
	s_or_b64 exec, exec, s[38:39]
.LBB947_207:
	s_and_b64 s[38:39], s[42:43], exec
.LBB947_208:
	s_or_b64 exec, exec, s[40:41]
	v_cmp_gt_u32_e32 vcc, s7, v24
	s_and_saveexec_b64 s[40:41], vcc
	s_cbranch_execz .LBB947_219
; %bb.209:
	s_andn2_b64 vcc, exec, s[14:15]
	s_mov_b64 s[42:43], 0
	s_cbranch_vccnz .LBB947_218
; %bb.210:
	v_mul_lo_u32 v14, v7, s26
	v_mul_lo_u32 v15, v6, s27
	v_mad_u64_u32 v[12:13], s[0:1], v6, s26, 0
	v_add3_u32 v13, v13, v15, v14
	v_mul_lo_u32 v14, v9, s26
	v_mul_lo_u32 v15, v8, s27
	v_mad_u64_u32 v[18:19], s[0:1], v8, s26, 0
	v_add3_u32 v19, v19, v15, v14
	v_lshlrev_b64 v[14:15], 2, v[12:13]
	v_mov_b32_e32 v12, s29
	v_add_co_u32_e32 v16, vcc, s28, v14
	v_addc_co_u32_e64 v17, s[0:1], v12, v15, vcc
	v_lshlrev_b64 v[12:13], 2, v[18:19]
	v_mov_b32_e32 v14, s29
	v_add_co_u32_e64 v18, s[0:1], s28, v12
	v_addc_co_u32_e64 v19, s[2:3], v14, v13, s[0:1]
	global_load_dword v12, v[16:17], off
	global_load_dword v14, v[18:19], off
	s_mov_b64 s[42:43], -1
	s_waitcnt vmcnt(0)
	v_cmp_eq_f32_e64 s[2:3], v12, v14
	s_and_saveexec_b64 s[36:37], s[2:3]
	s_cbranch_execz .LBB947_217
; %bb.211:
	v_mov_b32_e32 v12, s29
	v_addc_co_u32_e64 v13, s[0:1], v13, v12, s[0:1]
	v_add_co_u32_e64 v12, s[0:1], 4, v18
	v_mov_b32_e32 v14, s29
	v_addc_co_u32_e64 v13, s[0:1], 0, v13, s[0:1]
	v_addc_co_u32_e32 v15, vcc, v15, v14, vcc
	v_add_co_u32_e32 v14, vcc, 4, v16
	s_add_u32 s0, s26, -1
	v_addc_co_u32_e32 v15, vcc, 0, v15, vcc
	s_addc_u32 s1, s27, -1
	s_mov_b64 s[2:3], 0
	s_mov_b64 s[44:45], 0
                                        ; implicit-def: $sgpr42_sgpr43
	s_branch .LBB947_214
.LBB947_212:                            ;   in Loop: Header=BB947_214 Depth=1
	global_load_dword v16, v[14:15], off
	global_load_dword v17, v[12:13], off
	v_add_co_u32_e32 v12, vcc, 4, v12
	v_addc_co_u32_e32 v13, vcc, 0, v13, vcc
	v_add_co_u32_e32 v14, vcc, 4, v14
	v_addc_co_u32_e32 v15, vcc, 0, v15, vcc
	s_add_u32 s44, s44, 1
	s_addc_u32 s45, s45, 0
	s_andn2_b64 s[42:43], s[42:43], exec
	s_waitcnt vmcnt(0)
	v_cmp_neq_f32_e32 vcc, v16, v17
	s_and_b64 s[46:47], vcc, exec
	s_or_b64 s[42:43], s[42:43], s[46:47]
.LBB947_213:                            ;   in Loop: Header=BB947_214 Depth=1
	s_and_b64 s[46:47], exec, s[42:43]
	s_or_b64 s[2:3], s[46:47], s[2:3]
	v_pk_mov_b32 v[16:17], s[44:45], s[44:45] op_sel:[0,1]
	s_andn2_b64 exec, exec, s[2:3]
	s_cbranch_execz .LBB947_216
.LBB947_214:                            ; =>This Inner Loop Header: Depth=1
	s_or_b64 s[42:43], s[42:43], exec
	s_cmp_eq_u64 s[0:1], s[44:45]
	s_cbranch_scc0 .LBB947_212
; %bb.215:                              ;   in Loop: Header=BB947_214 Depth=1
                                        ; implicit-def: $vgpr12_vgpr13
                                        ; implicit-def: $vgpr14_vgpr15
	s_mov_b64 s[44:45], s[26:27]
	s_branch .LBB947_213
.LBB947_216:
	s_or_b64 exec, exec, s[2:3]
	v_cmp_gt_i64_e32 vcc, s[26:27], v[16:17]
	s_orn2_b64 s[42:43], vcc, exec
.LBB947_217:
	s_or_b64 exec, exec, s[36:37]
.LBB947_218:
	s_and_b64 s[36:37], s[42:43], exec
.LBB947_219:
	s_or_b64 exec, exec, s[40:41]
	v_cndmask_b32_e64 v13, 0, 1, s[18:19]
	v_cndmask_b32_e64 v14, 0, 1, s[36:37]
	;; [unrolled: 1-line block ×3, first 2 shown]
	v_lshlrev_b16_e32 v14, 8, v14
	v_lshlrev_b16_e32 v13, 8, v13
	v_or_b32_e32 v14, 1, v14
	v_or_b32_sdwa v12, v12, v13 dst_sel:WORD_1 dst_unused:UNUSED_PAD src0_sel:DWORD src1_sel:DWORD
	v_or_b32_sdwa v12, v14, v12 dst_sel:DWORD dst_unused:UNUSED_PAD src0_sel:WORD_0 src1_sel:DWORD
	v_cndmask_b32_e64 v13, 0, 1, s[8:9]
	v_cmp_ne_u32_e32 vcc, 0, v0
	s_waitcnt lgkmcnt(0)
	s_barrier
	s_waitcnt lgkmcnt(0)
                                        ; implicit-def: $sgpr18_sgpr19
                                        ; implicit-def: $vgpr16
	s_and_saveexec_b64 s[8:9], vcc
	s_cbranch_execz .LBB947_232
; %bb.220:
	v_cmp_gt_u32_e32 vcc, s7, v1
	s_mov_b32 s33, 0x3020104
	s_mov_b64 s[0:1], 0
	s_and_saveexec_b64 s[18:19], vcc
	s_cbranch_execz .LBB947_231
; %bb.221:
	s_andn2_b64 vcc, exec, s[14:15]
	s_mov_b64 s[36:37], 0
	s_cbranch_vccnz .LBB947_230
; %bb.222:
	v_add_u32_e32 v14, -8, v26
	ds_read_b64 v[14:15], v14
	v_mul_lo_u32 v16, v7, s26
	v_mad_u64_u32 v[20:21], s[0:1], v6, s26, 0
	s_mov_b64 s[36:37], -1
	s_waitcnt lgkmcnt(0)
	v_mul_lo_u32 v17, v15, s26
	v_mul_lo_u32 v18, v14, s27
	v_mad_u64_u32 v[14:15], s[0:1], v14, s26, 0
	v_add3_u32 v15, v15, v18, v17
	v_mul_lo_u32 v17, v6, s27
	v_add3_u32 v21, v21, v17, v16
	v_lshlrev_b64 v[16:17], 2, v[14:15]
	v_mov_b32_e32 v14, s29
	v_add_co_u32_e32 v18, vcc, s28, v16
	v_addc_co_u32_e64 v19, s[0:1], v14, v17, vcc
	v_lshlrev_b64 v[14:15], 2, v[20:21]
	v_mov_b32_e32 v16, s29
	v_add_co_u32_e64 v20, s[0:1], s28, v14
	v_addc_co_u32_e64 v21, s[2:3], v16, v15, s[0:1]
	global_load_dword v14, v[18:19], off
	global_load_dword v16, v[20:21], off
	s_waitcnt vmcnt(0)
	v_cmp_eq_f32_e64 s[2:3], v14, v16
	s_and_saveexec_b64 s[14:15], s[2:3]
	s_cbranch_execz .LBB947_229
; %bb.223:
	v_mov_b32_e32 v14, s29
	v_addc_co_u32_e64 v15, s[0:1], v15, v14, s[0:1]
	v_add_co_u32_e64 v14, s[0:1], 4, v20
	v_mov_b32_e32 v16, s29
	v_addc_co_u32_e64 v15, s[0:1], 0, v15, s[0:1]
	v_addc_co_u32_e32 v17, vcc, v17, v16, vcc
	v_add_co_u32_e32 v16, vcc, 4, v18
	s_add_u32 s0, s26, -1
	v_addc_co_u32_e32 v17, vcc, 0, v17, vcc
	s_addc_u32 s1, s27, -1
	s_mov_b64 s[2:3], 0
	s_mov_b64 s[36:37], 0
                                        ; implicit-def: $sgpr28_sgpr29
	s_branch .LBB947_226
.LBB947_224:                            ;   in Loop: Header=BB947_226 Depth=1
	global_load_dword v18, v[16:17], off
	global_load_dword v19, v[14:15], off
	v_add_co_u32_e32 v14, vcc, 4, v14
	v_addc_co_u32_e32 v15, vcc, 0, v15, vcc
	v_add_co_u32_e32 v16, vcc, 4, v16
	v_addc_co_u32_e32 v17, vcc, 0, v17, vcc
	s_add_u32 s36, s36, 1
	s_addc_u32 s37, s37, 0
	s_andn2_b64 s[28:29], s[28:29], exec
	s_waitcnt vmcnt(0)
	v_cmp_neq_f32_e32 vcc, v18, v19
	s_and_b64 s[38:39], vcc, exec
	s_or_b64 s[28:29], s[28:29], s[38:39]
.LBB947_225:                            ;   in Loop: Header=BB947_226 Depth=1
	s_and_b64 s[38:39], exec, s[28:29]
	s_or_b64 s[2:3], s[38:39], s[2:3]
	v_pk_mov_b32 v[18:19], s[36:37], s[36:37] op_sel:[0,1]
	s_andn2_b64 exec, exec, s[2:3]
	s_cbranch_execz .LBB947_228
.LBB947_226:                            ; =>This Inner Loop Header: Depth=1
	s_or_b64 s[28:29], s[28:29], exec
	s_cmp_eq_u64 s[0:1], s[36:37]
	s_cbranch_scc0 .LBB947_224
; %bb.227:                              ;   in Loop: Header=BB947_226 Depth=1
                                        ; implicit-def: $vgpr14_vgpr15
                                        ; implicit-def: $vgpr16_vgpr17
	s_mov_b64 s[36:37], s[26:27]
	s_branch .LBB947_225
.LBB947_228:
	s_or_b64 exec, exec, s[2:3]
	v_cmp_gt_i64_e32 vcc, s[26:27], v[18:19]
	s_orn2_b64 s[36:37], vcc, exec
.LBB947_229:
	s_or_b64 exec, exec, s[14:15]
.LBB947_230:
	s_and_b64 s[0:1], s[36:37], exec
.LBB947_231:
	s_or_b64 exec, exec, s[18:19]
	v_perm_b32 v16, v12, v12, s33
	s_and_b64 s[18:19], s[0:1], exec
	s_or_b64 s[12:13], s[12:13], exec
.LBB947_232:
	s_or_b64 exec, exec, s[8:9]
.LBB947_233:
	s_and_saveexec_b64 s[0:1], s[12:13]
	s_cbranch_execz .LBB947_235
; %bb.234:
	v_lshrrev_b32_e32 v14, 24, v16
	s_movk_i32 s2, 0xff
	v_lshlrev_b16_e32 v14, 8, v14
	v_and_b32_sdwa v15, v16, s2 dst_sel:DWORD dst_unused:UNUSED_PAD src0_sel:WORD_1 src1_sel:DWORD
	v_or_b32_sdwa v14, v15, v14 dst_sel:WORD_1 dst_unused:UNUSED_PAD src0_sel:DWORD src1_sel:DWORD
	v_mov_b32_e32 v15, 8
	v_cndmask_b32_e64 v12, 0, 1, s[18:19]
	v_lshrrev_b32_sdwa v15, v15, v16 dst_sel:BYTE_1 dst_unused:UNUSED_PAD src0_sel:DWORD src1_sel:DWORD
	v_or_b32_e32 v12, v12, v15
	s_mov_b32 s2, 0xffff
	v_or_b32_sdwa v12, v12, v14 dst_sel:DWORD dst_unused:UNUSED_PAD src0_sel:WORD_0 src1_sel:DWORD
	v_and_b32_sdwa v13, s2, v13 dst_sel:DWORD dst_unused:UNUSED_PAD src0_sel:DWORD src1_sel:BYTE_0
.LBB947_235:
	s_or_b64 exec, exec, s[0:1]
	s_andn2_b64 vcc, exec, s[10:11]
	s_cbranch_vccnz .LBB947_237
; %bb.236:
	v_cmp_gt_u32_e32 vcc, s7, v1
	v_cndmask_b32_e32 v1, 0, v12, vcc
	v_and_b32_e32 v1, 0xffff00ff, v1
	v_cmp_gt_u32_e64 s[0:1], s7, v24
	v_cndmask_b32_e64 v1, v1, v12, s[0:1]
	v_lshrrev_b32_e32 v14, 24, v1
	s_mov_b32 s2, 0x40c0100
	v_perm_b32 v1, v14, v1, s2
	v_cmp_gt_u32_e64 s[2:3], s7, v22
	v_cmp_gt_u32_e64 s[8:9], s7, v25
	v_cndmask_b32_e64 v1, v1, v12, s[2:3]
	s_or_b64 s[2:3], s[8:9], s[2:3]
	s_or_b64 s[0:1], s[2:3], s[0:1]
	s_or_b64 vcc, s[0:1], vcc
	v_and_b32_e32 v1, 0xffffff, v1
	v_cndmask_b32_e32 v14, 0, v13, vcc
	v_cndmask_b32_e64 v1, v1, v12, s[8:9]
	v_and_b32_e32 v14, 0xffffff00, v14
	v_cmp_gt_u32_e32 vcc, s7, v23
	v_cndmask_b32_e32 v1, v1, v12, vcc
	v_cndmask_b32_e32 v12, v14, v13, vcc
	s_mov_b32 s0, 0x3020104
	v_and_b32_e32 v13, 0xff, v12
	v_perm_b32 v12, v1, v1, s0
.LBB947_237:
	v_and_b32_e32 v1, 0xff, v12
	v_bfe_u32 v25, v12, 8, 8
	v_bfe_u32 v27, v12, 16, 8
	v_alignbit_b32 v14, v13, v12, 24
	v_and_b32_e32 v28, 0xff, v14
	v_and_b32_e32 v14, 0xff, v13
	v_add3_u32 v15, v25, v1, v27
	v_add3_u32 v31, v15, v28, v14
	v_mbcnt_lo_u32_b32 v14, -1, 0
	v_mbcnt_hi_u32_b32 v29, -1, v14
	v_and_b32_e32 v14, 15, v29
	v_cmp_eq_u32_e64 s[14:15], 0, v14
	v_cmp_lt_u32_e64 s[12:13], 1, v14
	v_cmp_lt_u32_e64 s[10:11], 3, v14
	;; [unrolled: 1-line block ×3, first 2 shown]
	v_and_b32_e32 v14, 16, v29
	v_cmp_eq_u32_e64 s[18:19], 0, v14
	v_or_b32_e32 v14, 63, v0
	v_cmp_lt_u32_e64 s[0:1], 31, v29
	v_lshrrev_b32_e32 v30, 6, v0
	v_cmp_eq_u32_e64 s[2:3], v14, v0
	s_and_b64 vcc, exec, s[16:17]
	s_waitcnt lgkmcnt(0)
	s_barrier
	s_cbranch_vccz .LBB947_268
; %bb.238:
	v_mov_b32_dpp v14, v31 row_shr:1 row_mask:0xf bank_mask:0xf
	v_cndmask_b32_e64 v14, v14, 0, s[14:15]
	v_add_u32_e32 v14, v14, v31
	s_nop 1
	v_mov_b32_dpp v15, v14 row_shr:2 row_mask:0xf bank_mask:0xf
	v_cndmask_b32_e64 v15, 0, v15, s[12:13]
	v_add_u32_e32 v14, v14, v15
	s_nop 1
	;; [unrolled: 4-line block ×4, first 2 shown]
	v_mov_b32_dpp v15, v14 row_bcast:15 row_mask:0xf bank_mask:0xf
	v_cndmask_b32_e64 v15, v15, 0, s[18:19]
	v_add_u32_e32 v14, v14, v15
	s_nop 1
	v_mov_b32_dpp v15, v14 row_bcast:31 row_mask:0xf bank_mask:0xf
	v_cndmask_b32_e64 v15, 0, v15, s[0:1]
	v_add_u32_e32 v14, v14, v15
	s_and_saveexec_b64 s[16:17], s[2:3]
	s_cbranch_execz .LBB947_240
; %bb.239:
	v_lshlrev_b32_e32 v15, 2, v30
	ds_write_b32 v15, v14
.LBB947_240:
	s_or_b64 exec, exec, s[16:17]
	v_cmp_gt_u32_e32 vcc, 4, v0
	s_waitcnt lgkmcnt(0)
	s_barrier
	s_and_saveexec_b64 s[16:17], vcc
	s_cbranch_execz .LBB947_242
; %bb.241:
	v_lshlrev_b32_e32 v15, 2, v0
	ds_read_b32 v16, v15
	v_and_b32_e32 v17, 3, v29
	v_cmp_ne_u32_e32 vcc, 0, v17
	s_waitcnt lgkmcnt(0)
	v_mov_b32_dpp v18, v16 row_shr:1 row_mask:0xf bank_mask:0xf
	v_cndmask_b32_e32 v18, 0, v18, vcc
	v_add_u32_e32 v16, v18, v16
	v_cmp_lt_u32_e32 vcc, 1, v17
	s_nop 0
	v_mov_b32_dpp v18, v16 row_shr:2 row_mask:0xf bank_mask:0xf
	v_cndmask_b32_e32 v17, 0, v18, vcc
	v_add_u32_e32 v16, v16, v17
	ds_write_b32 v15, v16
.LBB947_242:
	s_or_b64 exec, exec, s[16:17]
	v_cmp_gt_u32_e32 vcc, 64, v0
	v_cmp_lt_u32_e64 s[16:17], 63, v0
	s_waitcnt lgkmcnt(0)
	s_barrier
	s_waitcnt lgkmcnt(0)
                                        ; implicit-def: $vgpr24
	s_and_saveexec_b64 s[26:27], s[16:17]
	s_cbranch_execz .LBB947_244
; %bb.243:
	v_lshl_add_u32 v15, v30, 2, -4
	ds_read_b32 v24, v15
	s_waitcnt lgkmcnt(0)
	v_add_u32_e32 v14, v24, v14
.LBB947_244:
	s_or_b64 exec, exec, s[26:27]
	v_add_u32_e32 v15, -1, v29
	v_and_b32_e32 v16, 64, v29
	v_cmp_lt_i32_e64 s[16:17], v15, v16
	v_cndmask_b32_e64 v15, v15, v29, s[16:17]
	v_lshlrev_b32_e32 v15, 2, v15
	ds_bpermute_b32 v26, v15, v14
	v_cmp_eq_u32_e64 s[16:17], 0, v29
	s_and_saveexec_b64 s[26:27], vcc
	s_cbranch_execz .LBB947_267
; %bb.245:
	v_mov_b32_e32 v23, 0
	ds_read_b32 v14, v23 offset:12
	s_and_saveexec_b64 s[28:29], s[16:17]
	s_cbranch_execz .LBB947_247
; %bb.246:
	s_add_i32 s36, s6, 64
	s_mov_b32 s37, 0
	s_lshl_b64 s[36:37], s[36:37], 3
	s_add_u32 s36, s30, s36
	v_mov_b32_e32 v15, 1
	s_addc_u32 s37, s31, s37
	s_waitcnt lgkmcnt(0)
	global_store_dwordx2 v23, v[14:15], s[36:37]
.LBB947_247:
	s_or_b64 exec, exec, s[28:29]
	v_xad_u32 v16, v29, -1, s6
	v_add_u32_e32 v22, 64, v16
	v_lshlrev_b64 v[18:19], 3, v[22:23]
	v_mov_b32_e32 v15, s31
	v_add_co_u32_e32 v18, vcc, s30, v18
	v_addc_co_u32_e32 v19, vcc, v15, v19, vcc
	global_load_dwordx2 v[20:21], v[18:19], off glc
	s_waitcnt vmcnt(0)
	v_cmp_eq_u16_sdwa s[36:37], v21, v23 src0_sel:BYTE_0 src1_sel:DWORD
	s_and_saveexec_b64 s[28:29], s[36:37]
	s_cbranch_execz .LBB947_253
; %bb.248:
	s_mov_b32 s7, 1
	s_mov_b64 s[36:37], 0
	v_mov_b32_e32 v15, 0
.LBB947_249:                            ; =>This Loop Header: Depth=1
                                        ;     Child Loop BB947_250 Depth 2
	s_max_u32 s33, s7, 1
.LBB947_250:                            ;   Parent Loop BB947_249 Depth=1
                                        ; =>  This Inner Loop Header: Depth=2
	s_add_i32 s33, s33, -1
	s_cmp_eq_u32 s33, 0
	s_sleep 1
	s_cbranch_scc0 .LBB947_250
; %bb.251:                              ;   in Loop: Header=BB947_249 Depth=1
	global_load_dwordx2 v[20:21], v[18:19], off glc
	s_cmp_lt_u32 s7, 32
	s_cselect_b64 s[38:39], -1, 0
	s_cmp_lg_u64 s[38:39], 0
	s_addc_u32 s7, s7, 0
	s_waitcnt vmcnt(0)
	v_cmp_ne_u16_sdwa s[38:39], v21, v15 src0_sel:BYTE_0 src1_sel:DWORD
	s_or_b64 s[36:37], s[38:39], s[36:37]
	s_andn2_b64 exec, exec, s[36:37]
	s_cbranch_execnz .LBB947_249
; %bb.252:
	s_or_b64 exec, exec, s[36:37]
.LBB947_253:
	s_or_b64 exec, exec, s[28:29]
	v_and_b32_e32 v32, 63, v29
	v_mov_b32_e32 v15, 2
	v_cmp_ne_u32_e32 vcc, 63, v32
	v_cmp_eq_u16_sdwa s[28:29], v21, v15 src0_sel:BYTE_0 src1_sel:DWORD
	v_lshlrev_b64 v[18:19], v29, -1
	v_addc_co_u32_e32 v23, vcc, 0, v29, vcc
	v_and_b32_e32 v17, s29, v19
	v_lshlrev_b32_e32 v33, 2, v23
	v_or_b32_e32 v17, 0x80000000, v17
	ds_bpermute_b32 v23, v33, v20
	v_and_b32_e32 v22, s28, v18
	v_ffbl_b32_e32 v17, v17
	v_add_u32_e32 v17, 32, v17
	v_ffbl_b32_e32 v22, v22
	v_min_u32_e32 v17, v22, v17
	v_cmp_lt_u32_e32 vcc, v32, v17
	s_waitcnt lgkmcnt(0)
	v_cndmask_b32_e32 v22, 0, v23, vcc
	v_cmp_gt_u32_e32 vcc, 62, v32
	v_add_u32_e32 v20, v22, v20
	v_cndmask_b32_e64 v22, 0, 1, vcc
	v_lshlrev_b32_e32 v22, 1, v22
	v_add_lshl_u32 v34, v22, v29, 2
	ds_bpermute_b32 v22, v34, v20
	v_add_u32_e32 v35, 2, v32
	v_cmp_le_u32_e32 vcc, v35, v17
	v_add_u32_e32 v37, 4, v32
	v_add_u32_e32 v39, 8, v32
	s_waitcnt lgkmcnt(0)
	v_cndmask_b32_e32 v22, 0, v22, vcc
	v_cmp_gt_u32_e32 vcc, 60, v32
	v_add_u32_e32 v20, v20, v22
	v_cndmask_b32_e64 v22, 0, 1, vcc
	v_lshlrev_b32_e32 v22, 2, v22
	v_add_lshl_u32 v36, v22, v29, 2
	ds_bpermute_b32 v22, v36, v20
	v_cmp_le_u32_e32 vcc, v37, v17
	v_add_u32_e32 v42, 16, v32
	v_add_u32_e32 v44, 32, v32
	s_waitcnt lgkmcnt(0)
	v_cndmask_b32_e32 v22, 0, v22, vcc
	v_cmp_gt_u32_e32 vcc, 56, v32
	v_add_u32_e32 v20, v20, v22
	v_cndmask_b32_e64 v22, 0, 1, vcc
	v_lshlrev_b32_e32 v22, 3, v22
	v_add_lshl_u32 v38, v22, v29, 2
	ds_bpermute_b32 v22, v38, v20
	v_cmp_le_u32_e32 vcc, v39, v17
	s_waitcnt lgkmcnt(0)
	v_cndmask_b32_e32 v22, 0, v22, vcc
	v_cmp_gt_u32_e32 vcc, 48, v32
	v_add_u32_e32 v20, v20, v22
	v_cndmask_b32_e64 v22, 0, 1, vcc
	v_lshlrev_b32_e32 v22, 4, v22
	v_add_lshl_u32 v41, v22, v29, 2
	ds_bpermute_b32 v22, v41, v20
	v_cmp_le_u32_e32 vcc, v42, v17
	;; [unrolled: 9-line block ×3, first 2 shown]
	s_waitcnt lgkmcnt(0)
	v_cndmask_b32_e32 v17, 0, v22, vcc
	v_add_u32_e32 v20, v20, v17
	v_mov_b32_e32 v17, 0
	s_branch .LBB947_255
.LBB947_254:                            ;   in Loop: Header=BB947_255 Depth=1
	s_or_b64 exec, exec, s[28:29]
	v_cmp_eq_u16_sdwa s[28:29], v21, v15 src0_sel:BYTE_0 src1_sel:DWORD
	v_and_b32_e32 v22, s29, v19
	v_or_b32_e32 v22, 0x80000000, v22
	ds_bpermute_b32 v45, v33, v20
	v_and_b32_e32 v23, s28, v18
	v_ffbl_b32_e32 v22, v22
	v_add_u32_e32 v22, 32, v22
	v_ffbl_b32_e32 v23, v23
	v_min_u32_e32 v22, v23, v22
	v_cmp_lt_u32_e32 vcc, v32, v22
	s_waitcnt lgkmcnt(0)
	v_cndmask_b32_e32 v23, 0, v45, vcc
	v_add_u32_e32 v20, v23, v20
	ds_bpermute_b32 v23, v34, v20
	v_cmp_le_u32_e32 vcc, v35, v22
	v_subrev_u32_e32 v16, 64, v16
	s_waitcnt lgkmcnt(0)
	v_cndmask_b32_e32 v23, 0, v23, vcc
	v_add_u32_e32 v20, v20, v23
	ds_bpermute_b32 v23, v36, v20
	v_cmp_le_u32_e32 vcc, v37, v22
	s_waitcnt lgkmcnt(0)
	v_cndmask_b32_e32 v23, 0, v23, vcc
	v_add_u32_e32 v20, v20, v23
	ds_bpermute_b32 v23, v38, v20
	v_cmp_le_u32_e32 vcc, v39, v22
	;; [unrolled: 5-line block ×4, first 2 shown]
	s_waitcnt lgkmcnt(0)
	v_cndmask_b32_e32 v22, 0, v23, vcc
	v_add3_u32 v20, v22, v40, v20
.LBB947_255:                            ; =>This Loop Header: Depth=1
                                        ;     Child Loop BB947_258 Depth 2
                                        ;       Child Loop BB947_259 Depth 3
	v_cmp_ne_u16_sdwa s[28:29], v21, v15 src0_sel:BYTE_0 src1_sel:DWORD
	v_cndmask_b32_e64 v21, 0, 1, s[28:29]
	;;#ASMSTART
	;;#ASMEND
	v_cmp_ne_u32_e32 vcc, 0, v21
	s_cmp_lg_u64 vcc, exec
	v_mov_b32_e32 v40, v20
	s_cbranch_scc1 .LBB947_262
; %bb.256:                              ;   in Loop: Header=BB947_255 Depth=1
	v_lshlrev_b64 v[20:21], 3, v[16:17]
	v_mov_b32_e32 v23, s31
	v_add_co_u32_e32 v22, vcc, s30, v20
	v_addc_co_u32_e32 v23, vcc, v23, v21, vcc
	global_load_dwordx2 v[20:21], v[22:23], off glc
	s_waitcnt vmcnt(0)
	v_cmp_eq_u16_sdwa s[36:37], v21, v17 src0_sel:BYTE_0 src1_sel:DWORD
	s_and_saveexec_b64 s[28:29], s[36:37]
	s_cbranch_execz .LBB947_254
; %bb.257:                              ;   in Loop: Header=BB947_255 Depth=1
	s_mov_b32 s7, 1
	s_mov_b64 s[36:37], 0
.LBB947_258:                            ;   Parent Loop BB947_255 Depth=1
                                        ; =>  This Loop Header: Depth=2
                                        ;       Child Loop BB947_259 Depth 3
	s_max_u32 s33, s7, 1
.LBB947_259:                            ;   Parent Loop BB947_255 Depth=1
                                        ;     Parent Loop BB947_258 Depth=2
                                        ; =>    This Inner Loop Header: Depth=3
	s_add_i32 s33, s33, -1
	s_cmp_eq_u32 s33, 0
	s_sleep 1
	s_cbranch_scc0 .LBB947_259
; %bb.260:                              ;   in Loop: Header=BB947_258 Depth=2
	global_load_dwordx2 v[20:21], v[22:23], off glc
	s_cmp_lt_u32 s7, 32
	s_cselect_b64 s[38:39], -1, 0
	s_cmp_lg_u64 s[38:39], 0
	s_addc_u32 s7, s7, 0
	s_waitcnt vmcnt(0)
	v_cmp_ne_u16_sdwa s[38:39], v21, v17 src0_sel:BYTE_0 src1_sel:DWORD
	s_or_b64 s[36:37], s[38:39], s[36:37]
	s_andn2_b64 exec, exec, s[36:37]
	s_cbranch_execnz .LBB947_258
; %bb.261:                              ;   in Loop: Header=BB947_255 Depth=1
	s_or_b64 exec, exec, s[36:37]
	s_branch .LBB947_254
.LBB947_262:                            ;   in Loop: Header=BB947_255 Depth=1
                                        ; implicit-def: $vgpr20
                                        ; implicit-def: $vgpr21
	s_cbranch_execz .LBB947_255
; %bb.263:
	s_and_saveexec_b64 s[28:29], s[16:17]
	s_cbranch_execz .LBB947_265
; %bb.264:
	s_add_i32 s6, s6, 64
	s_mov_b32 s7, 0
	s_lshl_b64 s[6:7], s[6:7], 3
	s_add_u32 s6, s30, s6
	v_add_u32_e32 v16, v40, v14
	v_mov_b32_e32 v17, 2
	s_addc_u32 s7, s31, s7
	v_mov_b32_e32 v15, 0
	global_store_dwordx2 v15, v[16:17], s[6:7]
	s_movk_i32 s6, 0x2800
	v_add_u32_e64 v15, s6, 0
	ds_write2_b32 v15, v14, v40 offset1:2
.LBB947_265:
	s_or_b64 exec, exec, s[28:29]
	v_cmp_eq_u32_e32 vcc, 0, v0
	s_and_b64 exec, exec, vcc
	s_cbranch_execz .LBB947_267
; %bb.266:
	v_mov_b32_e32 v14, 0
	ds_write_b32 v14, v40 offset:12
.LBB947_267:
	s_or_b64 exec, exec, s[26:27]
	v_mov_b32_e32 v14, 0
	s_waitcnt lgkmcnt(0)
	s_barrier
	ds_read_b32 v14, v14 offset:12
	v_cndmask_b32_e64 v15, v26, v24, s[16:17]
	v_cmp_ne_u32_e32 vcc, 0, v0
	v_cndmask_b32_e32 v15, 0, v15, vcc
	s_movk_i32 s6, 0x2800
	s_waitcnt lgkmcnt(0)
	v_add_u32_e32 v26, v14, v15
	v_add_u32_e64 v14, s6, 0
	s_barrier
	ds_read2_b32 v[14:15], v14 offset1:2
	v_add_u32_e32 v24, v26, v1
	v_add_u32_e32 v22, v24, v25
	;; [unrolled: 1-line block ×4, first 2 shown]
	s_load_dwordx2 s[4:5], s[4:5], 0x28
	v_lshrrev_b64 v[16:17], 24, v[12:13]
	s_branch .LBB947_278
.LBB947_268:
                                        ; implicit-def: $vgpr18
                                        ; implicit-def: $vgpr20
                                        ; implicit-def: $vgpr22
                                        ; implicit-def: $vgpr24
                                        ; implicit-def: $vgpr26
                                        ; implicit-def: $vgpr15
	s_load_dwordx2 s[4:5], s[4:5], 0x28
	v_lshrrev_b64 v[16:17], 24, v[12:13]
	s_cbranch_execz .LBB947_278
; %bb.269:
	s_waitcnt lgkmcnt(0)
	v_mov_b32_dpp v14, v31 row_shr:1 row_mask:0xf bank_mask:0xf
	v_cndmask_b32_e64 v14, v14, 0, s[14:15]
	v_add_u32_e32 v14, v14, v31
	s_nop 1
	v_mov_b32_dpp v15, v14 row_shr:2 row_mask:0xf bank_mask:0xf
	v_cndmask_b32_e64 v15, 0, v15, s[12:13]
	v_add_u32_e32 v14, v14, v15
	s_nop 1
	;; [unrolled: 4-line block ×4, first 2 shown]
	v_mov_b32_dpp v15, v14 row_bcast:15 row_mask:0xf bank_mask:0xf
	v_cndmask_b32_e64 v15, v15, 0, s[18:19]
	v_add_u32_e32 v14, v14, v15
	s_nop 1
	v_mov_b32_dpp v15, v14 row_bcast:31 row_mask:0xf bank_mask:0xf
	v_cndmask_b32_e64 v15, 0, v15, s[0:1]
	v_add_u32_e32 v14, v14, v15
	s_and_saveexec_b64 s[0:1], s[2:3]
	s_cbranch_execz .LBB947_271
; %bb.270:
	v_lshlrev_b32_e32 v15, 2, v30
	ds_write_b32 v15, v14
.LBB947_271:
	s_or_b64 exec, exec, s[0:1]
	v_cmp_gt_u32_e32 vcc, 4, v0
	s_waitcnt lgkmcnt(0)
	s_barrier
	s_and_saveexec_b64 s[0:1], vcc
	s_cbranch_execz .LBB947_273
; %bb.272:
	v_lshlrev_b32_e32 v15, 2, v0
	ds_read_b32 v17, v15
	v_and_b32_e32 v18, 3, v29
	v_cmp_ne_u32_e32 vcc, 0, v18
	s_waitcnt lgkmcnt(0)
	v_mov_b32_dpp v19, v17 row_shr:1 row_mask:0xf bank_mask:0xf
	v_cndmask_b32_e32 v19, 0, v19, vcc
	v_add_u32_e32 v17, v19, v17
	v_cmp_lt_u32_e32 vcc, 1, v18
	s_nop 0
	v_mov_b32_dpp v19, v17 row_shr:2 row_mask:0xf bank_mask:0xf
	v_cndmask_b32_e32 v18, 0, v19, vcc
	v_add_u32_e32 v17, v17, v18
	ds_write_b32 v15, v17
.LBB947_273:
	s_or_b64 exec, exec, s[0:1]
	v_cmp_lt_u32_e32 vcc, 63, v0
	v_mov_b32_e32 v15, 0
	v_mov_b32_e32 v17, 0
	s_waitcnt lgkmcnt(0)
	s_barrier
	s_and_saveexec_b64 s[0:1], vcc
	s_cbranch_execz .LBB947_275
; %bb.274:
	v_lshl_add_u32 v17, v30, 2, -4
	ds_read_b32 v17, v17
.LBB947_275:
	s_or_b64 exec, exec, s[0:1]
	v_add_u32_e32 v18, -1, v29
	v_and_b32_e32 v19, 64, v29
	v_cmp_lt_i32_e32 vcc, v18, v19
	v_cndmask_b32_e32 v18, v18, v29, vcc
	s_waitcnt lgkmcnt(0)
	v_add_u32_e32 v14, v17, v14
	v_lshlrev_b32_e32 v18, 2, v18
	ds_bpermute_b32 v18, v18, v14
	ds_read_b32 v14, v15 offset:12
	v_cmp_eq_u32_e32 vcc, 0, v0
	s_and_saveexec_b64 s[0:1], vcc
	s_cbranch_execz .LBB947_277
; %bb.276:
	v_mov_b32_e32 v19, 0
	v_mov_b32_e32 v15, 2
	s_waitcnt lgkmcnt(0)
	global_store_dwordx2 v19, v[14:15], s[30:31] offset:512
.LBB947_277:
	s_or_b64 exec, exec, s[0:1]
	v_cmp_eq_u32_e64 s[0:1], 0, v29
	s_waitcnt lgkmcnt(1)
	v_cndmask_b32_e64 v17, v18, v17, s[0:1]
	v_cndmask_b32_e64 v26, v17, 0, vcc
	v_add_u32_e32 v24, v26, v1
	v_add_u32_e32 v22, v24, v25
	;; [unrolled: 1-line block ×3, first 2 shown]
	v_mov_b32_e32 v15, 0
	v_add_u32_e32 v18, v20, v28
	s_waitcnt lgkmcnt(0)
	s_barrier
.LBB947_278:
	s_movk_i32 s0, 0x101
	s_waitcnt lgkmcnt(0)
	v_cmp_gt_u32_e32 vcc, s0, v14
	v_lshrrev_b32_e32 v1, 8, v12
	s_mov_b64 s[0:1], -1
	s_cbranch_vccnz .LBB947_282
; %bb.279:
	s_and_b64 vcc, exec, s[0:1]
	s_cbranch_vccnz .LBB947_298
.LBB947_280:
	v_cmp_eq_u32_e32 vcc, 0, v0
	s_and_b64 s[0:1], vcc, s[24:25]
	s_and_saveexec_b64 s[2:3], s[0:1]
	s_cbranch_execnz .LBB947_312
.LBB947_281:
	s_endpgm
.LBB947_282:
	v_add_u32_e32 v17, v15, v14
	v_cmp_lt_u32_e32 vcc, v26, v17
	s_or_b64 s[2:3], s[34:35], vcc
	s_and_saveexec_b64 s[0:1], s[2:3]
	s_cbranch_execz .LBB947_285
; %bb.283:
	v_and_b32_e32 v19, 1, v12
	v_cmp_eq_u32_e32 vcc, 1, v19
	s_and_b64 exec, exec, vcc
	s_cbranch_execz .LBB947_285
; %bb.284:
	s_lshl_b64 s[2:3], s[22:23], 3
	s_add_u32 s2, s4, s2
	v_mov_b32_e32 v27, 0
	s_addc_u32 s3, s5, s3
	v_lshlrev_b64 v[28:29], 3, v[26:27]
	v_mov_b32_e32 v19, s3
	v_add_co_u32_e32 v28, vcc, s2, v28
	v_addc_co_u32_e32 v29, vcc, v19, v29, vcc
	global_store_dwordx2 v[28:29], v[6:7], off
.LBB947_285:
	s_or_b64 exec, exec, s[0:1]
	v_cmp_lt_u32_e32 vcc, v24, v17
	s_or_b64 s[2:3], s[34:35], vcc
	s_and_saveexec_b64 s[0:1], s[2:3]
	s_cbranch_execz .LBB947_288
; %bb.286:
	v_and_b32_e32 v19, 1, v1
	v_cmp_eq_u32_e32 vcc, 1, v19
	s_and_b64 exec, exec, vcc
	s_cbranch_execz .LBB947_288
; %bb.287:
	s_lshl_b64 s[2:3], s[22:23], 3
	s_add_u32 s2, s4, s2
	v_mov_b32_e32 v25, 0
	s_addc_u32 s3, s5, s3
	v_lshlrev_b64 v[28:29], 3, v[24:25]
	v_mov_b32_e32 v19, s3
	v_add_co_u32_e32 v28, vcc, s2, v28
	v_addc_co_u32_e32 v29, vcc, v19, v29, vcc
	global_store_dwordx2 v[28:29], v[8:9], off
.LBB947_288:
	s_or_b64 exec, exec, s[0:1]
	v_cmp_lt_u32_e32 vcc, v22, v17
	s_or_b64 s[2:3], s[34:35], vcc
	s_and_saveexec_b64 s[0:1], s[2:3]
	s_cbranch_execz .LBB947_291
; %bb.289:
	v_mov_b32_e32 v19, 1
	v_and_b32_sdwa v19, v19, v12 dst_sel:DWORD dst_unused:UNUSED_PAD src0_sel:DWORD src1_sel:WORD_1
	v_cmp_eq_u32_e32 vcc, 1, v19
	s_and_b64 exec, exec, vcc
	s_cbranch_execz .LBB947_291
; %bb.290:
	s_lshl_b64 s[2:3], s[22:23], 3
	s_add_u32 s2, s4, s2
	v_mov_b32_e32 v23, 0
	s_addc_u32 s3, s5, s3
	v_lshlrev_b64 v[28:29], 3, v[22:23]
	v_mov_b32_e32 v19, s3
	v_add_co_u32_e32 v28, vcc, s2, v28
	v_addc_co_u32_e32 v29, vcc, v19, v29, vcc
	global_store_dwordx2 v[28:29], v[2:3], off
.LBB947_291:
	s_or_b64 exec, exec, s[0:1]
	v_cmp_lt_u32_e32 vcc, v20, v17
	s_or_b64 s[2:3], s[34:35], vcc
	s_and_saveexec_b64 s[0:1], s[2:3]
	s_cbranch_execz .LBB947_294
; %bb.292:
	v_and_b32_e32 v19, 1, v16
	v_cmp_eq_u32_e32 vcc, 1, v19
	s_and_b64 exec, exec, vcc
	s_cbranch_execz .LBB947_294
; %bb.293:
	s_lshl_b64 s[2:3], s[22:23], 3
	s_add_u32 s2, s4, s2
	v_mov_b32_e32 v21, 0
	s_addc_u32 s3, s5, s3
	v_lshlrev_b64 v[28:29], 3, v[20:21]
	v_mov_b32_e32 v19, s3
	v_add_co_u32_e32 v28, vcc, s2, v28
	v_addc_co_u32_e32 v29, vcc, v19, v29, vcc
	global_store_dwordx2 v[28:29], v[4:5], off
.LBB947_294:
	s_or_b64 exec, exec, s[0:1]
	v_cmp_lt_u32_e32 vcc, v18, v17
	s_or_b64 s[2:3], s[34:35], vcc
	s_and_saveexec_b64 s[0:1], s[2:3]
	s_cbranch_execz .LBB947_297
; %bb.295:
	v_and_b32_e32 v17, 1, v13
	v_cmp_eq_u32_e32 vcc, 1, v17
	s_and_b64 exec, exec, vcc
	s_cbranch_execz .LBB947_297
; %bb.296:
	s_lshl_b64 s[2:3], s[22:23], 3
	s_add_u32 s2, s4, s2
	v_mov_b32_e32 v19, 0
	s_addc_u32 s3, s5, s3
	v_lshlrev_b64 v[28:29], 3, v[18:19]
	v_mov_b32_e32 v17, s3
	v_add_co_u32_e32 v28, vcc, s2, v28
	v_addc_co_u32_e32 v29, vcc, v17, v29, vcc
	global_store_dwordx2 v[28:29], v[10:11], off
.LBB947_297:
	s_or_b64 exec, exec, s[0:1]
	s_branch .LBB947_280
.LBB947_298:
	v_and_b32_e32 v17, 1, v12
	v_cmp_eq_u32_e32 vcc, 1, v17
	s_and_saveexec_b64 s[0:1], vcc
	s_cbranch_execz .LBB947_300
; %bb.299:
	v_sub_u32_e32 v17, v26, v15
	v_lshlrev_b32_e32 v17, 3, v17
	ds_write_b64 v17, v[6:7]
.LBB947_300:
	s_or_b64 exec, exec, s[0:1]
	v_and_b32_e32 v1, 1, v1
	v_cmp_eq_u32_e32 vcc, 1, v1
	s_and_saveexec_b64 s[0:1], vcc
	s_cbranch_execz .LBB947_302
; %bb.301:
	v_sub_u32_e32 v1, v24, v15
	v_lshlrev_b32_e32 v1, 3, v1
	ds_write_b64 v1, v[8:9]
.LBB947_302:
	s_or_b64 exec, exec, s[0:1]
	v_mov_b32_e32 v1, 1
	v_and_b32_sdwa v1, v1, v12 dst_sel:DWORD dst_unused:UNUSED_PAD src0_sel:DWORD src1_sel:WORD_1
	v_cmp_eq_u32_e32 vcc, 1, v1
	s_and_saveexec_b64 s[0:1], vcc
	s_cbranch_execz .LBB947_304
; %bb.303:
	v_sub_u32_e32 v1, v22, v15
	v_lshlrev_b32_e32 v1, 3, v1
	ds_write_b64 v1, v[2:3]
.LBB947_304:
	s_or_b64 exec, exec, s[0:1]
	v_and_b32_e32 v1, 1, v16
	v_cmp_eq_u32_e32 vcc, 1, v1
	s_and_saveexec_b64 s[0:1], vcc
	s_cbranch_execz .LBB947_306
; %bb.305:
	v_sub_u32_e32 v1, v20, v15
	v_lshlrev_b32_e32 v1, 3, v1
	ds_write_b64 v1, v[4:5]
.LBB947_306:
	s_or_b64 exec, exec, s[0:1]
	v_and_b32_e32 v1, 1, v13
	v_cmp_eq_u32_e32 vcc, 1, v1
	s_and_saveexec_b64 s[0:1], vcc
	s_cbranch_execz .LBB947_308
; %bb.307:
	v_sub_u32_e32 v1, v18, v15
	v_lshlrev_b32_e32 v1, 3, v1
	ds_write_b64 v1, v[10:11]
.LBB947_308:
	s_or_b64 exec, exec, s[0:1]
	v_cmp_lt_u32_e32 vcc, v0, v14
	s_waitcnt lgkmcnt(0)
	s_barrier
	s_and_saveexec_b64 s[0:1], vcc
	s_cbranch_execz .LBB947_311
; %bb.309:
	v_mov_b32_e32 v3, 0
	v_mov_b32_e32 v2, v15
	v_lshlrev_b64 v[4:5], 3, v[2:3]
	v_mov_b32_e32 v1, s5
	v_add_co_u32_e32 v2, vcc, s4, v4
	v_addc_co_u32_e32 v4, vcc, v1, v5, vcc
	s_lshl_b64 s[2:3], s[22:23], 3
	v_mov_b32_e32 v5, s3
	v_add_co_u32_e32 v1, vcc, s2, v2
	v_addc_co_u32_e32 v4, vcc, v4, v5, vcc
	v_lshlrev_b32_e32 v5, 3, v0
	s_mov_b64 s[2:3], 0
	v_mov_b32_e32 v2, v0
.LBB947_310:                            ; =>This Inner Loop Header: Depth=1
	ds_read_b64 v[6:7], v5
	v_lshlrev_b64 v[8:9], 3, v[2:3]
	v_add_co_u32_e32 v8, vcc, v1, v8
	v_add_u32_e32 v2, 0x100, v2
	v_addc_co_u32_e32 v9, vcc, v4, v9, vcc
	v_cmp_ge_u32_e32 vcc, v2, v14
	v_add_u32_e32 v5, 0x800, v5
	s_or_b64 s[2:3], vcc, s[2:3]
	s_waitcnt lgkmcnt(0)
	global_store_dwordx2 v[8:9], v[6:7], off
	s_andn2_b64 exec, exec, s[2:3]
	s_cbranch_execnz .LBB947_310
.LBB947_311:
	s_or_b64 exec, exec, s[0:1]
	v_cmp_eq_u32_e32 vcc, 0, v0
	s_and_b64 s[0:1], vcc, s[24:25]
	s_and_saveexec_b64 s[2:3], s[0:1]
	s_cbranch_execz .LBB947_281
.LBB947_312:
	v_mov_b32_e32 v0, s23
	v_add_co_u32_e32 v1, vcc, s22, v14
	v_addc_co_u32_e32 v3, vcc, 0, v0, vcc
	v_add_co_u32_e32 v0, vcc, v1, v15
	v_mov_b32_e32 v2, 0
	v_addc_co_u32_e32 v1, vcc, 0, v3, vcc
	global_store_dwordx2 v2, v[0:1], s[20:21]
	s_endpgm
	.section	.rodata,"a",@progbits
	.p2align	6, 0x0
	.amdhsa_kernel _ZN7rocprim17ROCPRIM_400000_NS6detail17trampoline_kernelINS0_14default_configENS1_25partition_config_selectorILNS1_17partition_subalgoE8ElNS0_10empty_typeEbEEZZNS1_14partition_implILS5_8ELb0ES3_jPlPS6_PKS6_NS0_5tupleIJS9_S6_EEENSD_IJSA_SA_EEENS0_18inequality_wrapperIZN2at6native12_GLOBAL__N_124unique_dim_cuda_templateIfEESt5tupleIJNSH_6TensorESM_SM_EERKSM_lbbbEUlllE0_EEPmJS6_EEE10hipError_tPvRmT3_T4_T5_T6_T7_T9_mT8_P12ihipStream_tbDpT10_ENKUlT_T0_E_clISt17integral_constantIbLb1EES1B_IbLb0EEEEDaS17_S18_EUlS17_E_NS1_11comp_targetILNS1_3genE4ELNS1_11target_archE910ELNS1_3gpuE8ELNS1_3repE0EEENS1_30default_config_static_selectorELNS0_4arch9wavefront6targetE1EEEvT1_
		.amdhsa_group_segment_fixed_size 10252
		.amdhsa_private_segment_fixed_size 0
		.amdhsa_kernarg_size 120
		.amdhsa_user_sgpr_count 6
		.amdhsa_user_sgpr_private_segment_buffer 1
		.amdhsa_user_sgpr_dispatch_ptr 0
		.amdhsa_user_sgpr_queue_ptr 0
		.amdhsa_user_sgpr_kernarg_segment_ptr 1
		.amdhsa_user_sgpr_dispatch_id 0
		.amdhsa_user_sgpr_flat_scratch_init 0
		.amdhsa_user_sgpr_kernarg_preload_length 0
		.amdhsa_user_sgpr_kernarg_preload_offset 0
		.amdhsa_user_sgpr_private_segment_size 0
		.amdhsa_uses_dynamic_stack 0
		.amdhsa_system_sgpr_private_segment_wavefront_offset 0
		.amdhsa_system_sgpr_workgroup_id_x 1
		.amdhsa_system_sgpr_workgroup_id_y 0
		.amdhsa_system_sgpr_workgroup_id_z 0
		.amdhsa_system_sgpr_workgroup_info 0
		.amdhsa_system_vgpr_workitem_id 0
		.amdhsa_next_free_vgpr 46
		.amdhsa_next_free_sgpr 48
		.amdhsa_accum_offset 48
		.amdhsa_reserve_vcc 1
		.amdhsa_reserve_flat_scratch 0
		.amdhsa_float_round_mode_32 0
		.amdhsa_float_round_mode_16_64 0
		.amdhsa_float_denorm_mode_32 3
		.amdhsa_float_denorm_mode_16_64 3
		.amdhsa_dx10_clamp 1
		.amdhsa_ieee_mode 1
		.amdhsa_fp16_overflow 0
		.amdhsa_tg_split 0
		.amdhsa_exception_fp_ieee_invalid_op 0
		.amdhsa_exception_fp_denorm_src 0
		.amdhsa_exception_fp_ieee_div_zero 0
		.amdhsa_exception_fp_ieee_overflow 0
		.amdhsa_exception_fp_ieee_underflow 0
		.amdhsa_exception_fp_ieee_inexact 0
		.amdhsa_exception_int_div_zero 0
	.end_amdhsa_kernel
	.section	.text._ZN7rocprim17ROCPRIM_400000_NS6detail17trampoline_kernelINS0_14default_configENS1_25partition_config_selectorILNS1_17partition_subalgoE8ElNS0_10empty_typeEbEEZZNS1_14partition_implILS5_8ELb0ES3_jPlPS6_PKS6_NS0_5tupleIJS9_S6_EEENSD_IJSA_SA_EEENS0_18inequality_wrapperIZN2at6native12_GLOBAL__N_124unique_dim_cuda_templateIfEESt5tupleIJNSH_6TensorESM_SM_EERKSM_lbbbEUlllE0_EEPmJS6_EEE10hipError_tPvRmT3_T4_T5_T6_T7_T9_mT8_P12ihipStream_tbDpT10_ENKUlT_T0_E_clISt17integral_constantIbLb1EES1B_IbLb0EEEEDaS17_S18_EUlS17_E_NS1_11comp_targetILNS1_3genE4ELNS1_11target_archE910ELNS1_3gpuE8ELNS1_3repE0EEENS1_30default_config_static_selectorELNS0_4arch9wavefront6targetE1EEEvT1_,"axG",@progbits,_ZN7rocprim17ROCPRIM_400000_NS6detail17trampoline_kernelINS0_14default_configENS1_25partition_config_selectorILNS1_17partition_subalgoE8ElNS0_10empty_typeEbEEZZNS1_14partition_implILS5_8ELb0ES3_jPlPS6_PKS6_NS0_5tupleIJS9_S6_EEENSD_IJSA_SA_EEENS0_18inequality_wrapperIZN2at6native12_GLOBAL__N_124unique_dim_cuda_templateIfEESt5tupleIJNSH_6TensorESM_SM_EERKSM_lbbbEUlllE0_EEPmJS6_EEE10hipError_tPvRmT3_T4_T5_T6_T7_T9_mT8_P12ihipStream_tbDpT10_ENKUlT_T0_E_clISt17integral_constantIbLb1EES1B_IbLb0EEEEDaS17_S18_EUlS17_E_NS1_11comp_targetILNS1_3genE4ELNS1_11target_archE910ELNS1_3gpuE8ELNS1_3repE0EEENS1_30default_config_static_selectorELNS0_4arch9wavefront6targetE1EEEvT1_,comdat
.Lfunc_end947:
	.size	_ZN7rocprim17ROCPRIM_400000_NS6detail17trampoline_kernelINS0_14default_configENS1_25partition_config_selectorILNS1_17partition_subalgoE8ElNS0_10empty_typeEbEEZZNS1_14partition_implILS5_8ELb0ES3_jPlPS6_PKS6_NS0_5tupleIJS9_S6_EEENSD_IJSA_SA_EEENS0_18inequality_wrapperIZN2at6native12_GLOBAL__N_124unique_dim_cuda_templateIfEESt5tupleIJNSH_6TensorESM_SM_EERKSM_lbbbEUlllE0_EEPmJS6_EEE10hipError_tPvRmT3_T4_T5_T6_T7_T9_mT8_P12ihipStream_tbDpT10_ENKUlT_T0_E_clISt17integral_constantIbLb1EES1B_IbLb0EEEEDaS17_S18_EUlS17_E_NS1_11comp_targetILNS1_3genE4ELNS1_11target_archE910ELNS1_3gpuE8ELNS1_3repE0EEENS1_30default_config_static_selectorELNS0_4arch9wavefront6targetE1EEEvT1_, .Lfunc_end947-_ZN7rocprim17ROCPRIM_400000_NS6detail17trampoline_kernelINS0_14default_configENS1_25partition_config_selectorILNS1_17partition_subalgoE8ElNS0_10empty_typeEbEEZZNS1_14partition_implILS5_8ELb0ES3_jPlPS6_PKS6_NS0_5tupleIJS9_S6_EEENSD_IJSA_SA_EEENS0_18inequality_wrapperIZN2at6native12_GLOBAL__N_124unique_dim_cuda_templateIfEESt5tupleIJNSH_6TensorESM_SM_EERKSM_lbbbEUlllE0_EEPmJS6_EEE10hipError_tPvRmT3_T4_T5_T6_T7_T9_mT8_P12ihipStream_tbDpT10_ENKUlT_T0_E_clISt17integral_constantIbLb1EES1B_IbLb0EEEEDaS17_S18_EUlS17_E_NS1_11comp_targetILNS1_3genE4ELNS1_11target_archE910ELNS1_3gpuE8ELNS1_3repE0EEENS1_30default_config_static_selectorELNS0_4arch9wavefront6targetE1EEEvT1_
                                        ; -- End function
	.section	.AMDGPU.csdata,"",@progbits
; Kernel info:
; codeLenInByte = 11456
; NumSgprs: 52
; NumVgprs: 46
; NumAgprs: 0
; TotalNumVgprs: 46
; ScratchSize: 0
; MemoryBound: 0
; FloatMode: 240
; IeeeMode: 1
; LDSByteSize: 10252 bytes/workgroup (compile time only)
; SGPRBlocks: 6
; VGPRBlocks: 5
; NumSGPRsForWavesPerEU: 52
; NumVGPRsForWavesPerEU: 46
; AccumOffset: 48
; Occupancy: 6
; WaveLimiterHint : 1
; COMPUTE_PGM_RSRC2:SCRATCH_EN: 0
; COMPUTE_PGM_RSRC2:USER_SGPR: 6
; COMPUTE_PGM_RSRC2:TRAP_HANDLER: 0
; COMPUTE_PGM_RSRC2:TGID_X_EN: 1
; COMPUTE_PGM_RSRC2:TGID_Y_EN: 0
; COMPUTE_PGM_RSRC2:TGID_Z_EN: 0
; COMPUTE_PGM_RSRC2:TIDIG_COMP_CNT: 0
; COMPUTE_PGM_RSRC3_GFX90A:ACCUM_OFFSET: 11
; COMPUTE_PGM_RSRC3_GFX90A:TG_SPLIT: 0
	.section	.text._ZN7rocprim17ROCPRIM_400000_NS6detail17trampoline_kernelINS0_14default_configENS1_25partition_config_selectorILNS1_17partition_subalgoE8ElNS0_10empty_typeEbEEZZNS1_14partition_implILS5_8ELb0ES3_jPlPS6_PKS6_NS0_5tupleIJS9_S6_EEENSD_IJSA_SA_EEENS0_18inequality_wrapperIZN2at6native12_GLOBAL__N_124unique_dim_cuda_templateIfEESt5tupleIJNSH_6TensorESM_SM_EERKSM_lbbbEUlllE0_EEPmJS6_EEE10hipError_tPvRmT3_T4_T5_T6_T7_T9_mT8_P12ihipStream_tbDpT10_ENKUlT_T0_E_clISt17integral_constantIbLb1EES1B_IbLb0EEEEDaS17_S18_EUlS17_E_NS1_11comp_targetILNS1_3genE3ELNS1_11target_archE908ELNS1_3gpuE7ELNS1_3repE0EEENS1_30default_config_static_selectorELNS0_4arch9wavefront6targetE1EEEvT1_,"axG",@progbits,_ZN7rocprim17ROCPRIM_400000_NS6detail17trampoline_kernelINS0_14default_configENS1_25partition_config_selectorILNS1_17partition_subalgoE8ElNS0_10empty_typeEbEEZZNS1_14partition_implILS5_8ELb0ES3_jPlPS6_PKS6_NS0_5tupleIJS9_S6_EEENSD_IJSA_SA_EEENS0_18inequality_wrapperIZN2at6native12_GLOBAL__N_124unique_dim_cuda_templateIfEESt5tupleIJNSH_6TensorESM_SM_EERKSM_lbbbEUlllE0_EEPmJS6_EEE10hipError_tPvRmT3_T4_T5_T6_T7_T9_mT8_P12ihipStream_tbDpT10_ENKUlT_T0_E_clISt17integral_constantIbLb1EES1B_IbLb0EEEEDaS17_S18_EUlS17_E_NS1_11comp_targetILNS1_3genE3ELNS1_11target_archE908ELNS1_3gpuE7ELNS1_3repE0EEENS1_30default_config_static_selectorELNS0_4arch9wavefront6targetE1EEEvT1_,comdat
	.globl	_ZN7rocprim17ROCPRIM_400000_NS6detail17trampoline_kernelINS0_14default_configENS1_25partition_config_selectorILNS1_17partition_subalgoE8ElNS0_10empty_typeEbEEZZNS1_14partition_implILS5_8ELb0ES3_jPlPS6_PKS6_NS0_5tupleIJS9_S6_EEENSD_IJSA_SA_EEENS0_18inequality_wrapperIZN2at6native12_GLOBAL__N_124unique_dim_cuda_templateIfEESt5tupleIJNSH_6TensorESM_SM_EERKSM_lbbbEUlllE0_EEPmJS6_EEE10hipError_tPvRmT3_T4_T5_T6_T7_T9_mT8_P12ihipStream_tbDpT10_ENKUlT_T0_E_clISt17integral_constantIbLb1EES1B_IbLb0EEEEDaS17_S18_EUlS17_E_NS1_11comp_targetILNS1_3genE3ELNS1_11target_archE908ELNS1_3gpuE7ELNS1_3repE0EEENS1_30default_config_static_selectorELNS0_4arch9wavefront6targetE1EEEvT1_ ; -- Begin function _ZN7rocprim17ROCPRIM_400000_NS6detail17trampoline_kernelINS0_14default_configENS1_25partition_config_selectorILNS1_17partition_subalgoE8ElNS0_10empty_typeEbEEZZNS1_14partition_implILS5_8ELb0ES3_jPlPS6_PKS6_NS0_5tupleIJS9_S6_EEENSD_IJSA_SA_EEENS0_18inequality_wrapperIZN2at6native12_GLOBAL__N_124unique_dim_cuda_templateIfEESt5tupleIJNSH_6TensorESM_SM_EERKSM_lbbbEUlllE0_EEPmJS6_EEE10hipError_tPvRmT3_T4_T5_T6_T7_T9_mT8_P12ihipStream_tbDpT10_ENKUlT_T0_E_clISt17integral_constantIbLb1EES1B_IbLb0EEEEDaS17_S18_EUlS17_E_NS1_11comp_targetILNS1_3genE3ELNS1_11target_archE908ELNS1_3gpuE7ELNS1_3repE0EEENS1_30default_config_static_selectorELNS0_4arch9wavefront6targetE1EEEvT1_
	.p2align	8
	.type	_ZN7rocprim17ROCPRIM_400000_NS6detail17trampoline_kernelINS0_14default_configENS1_25partition_config_selectorILNS1_17partition_subalgoE8ElNS0_10empty_typeEbEEZZNS1_14partition_implILS5_8ELb0ES3_jPlPS6_PKS6_NS0_5tupleIJS9_S6_EEENSD_IJSA_SA_EEENS0_18inequality_wrapperIZN2at6native12_GLOBAL__N_124unique_dim_cuda_templateIfEESt5tupleIJNSH_6TensorESM_SM_EERKSM_lbbbEUlllE0_EEPmJS6_EEE10hipError_tPvRmT3_T4_T5_T6_T7_T9_mT8_P12ihipStream_tbDpT10_ENKUlT_T0_E_clISt17integral_constantIbLb1EES1B_IbLb0EEEEDaS17_S18_EUlS17_E_NS1_11comp_targetILNS1_3genE3ELNS1_11target_archE908ELNS1_3gpuE7ELNS1_3repE0EEENS1_30default_config_static_selectorELNS0_4arch9wavefront6targetE1EEEvT1_,@function
_ZN7rocprim17ROCPRIM_400000_NS6detail17trampoline_kernelINS0_14default_configENS1_25partition_config_selectorILNS1_17partition_subalgoE8ElNS0_10empty_typeEbEEZZNS1_14partition_implILS5_8ELb0ES3_jPlPS6_PKS6_NS0_5tupleIJS9_S6_EEENSD_IJSA_SA_EEENS0_18inequality_wrapperIZN2at6native12_GLOBAL__N_124unique_dim_cuda_templateIfEESt5tupleIJNSH_6TensorESM_SM_EERKSM_lbbbEUlllE0_EEPmJS6_EEE10hipError_tPvRmT3_T4_T5_T6_T7_T9_mT8_P12ihipStream_tbDpT10_ENKUlT_T0_E_clISt17integral_constantIbLb1EES1B_IbLb0EEEEDaS17_S18_EUlS17_E_NS1_11comp_targetILNS1_3genE3ELNS1_11target_archE908ELNS1_3gpuE7ELNS1_3repE0EEENS1_30default_config_static_selectorELNS0_4arch9wavefront6targetE1EEEvT1_: ; @_ZN7rocprim17ROCPRIM_400000_NS6detail17trampoline_kernelINS0_14default_configENS1_25partition_config_selectorILNS1_17partition_subalgoE8ElNS0_10empty_typeEbEEZZNS1_14partition_implILS5_8ELb0ES3_jPlPS6_PKS6_NS0_5tupleIJS9_S6_EEENSD_IJSA_SA_EEENS0_18inequality_wrapperIZN2at6native12_GLOBAL__N_124unique_dim_cuda_templateIfEESt5tupleIJNSH_6TensorESM_SM_EERKSM_lbbbEUlllE0_EEPmJS6_EEE10hipError_tPvRmT3_T4_T5_T6_T7_T9_mT8_P12ihipStream_tbDpT10_ENKUlT_T0_E_clISt17integral_constantIbLb1EES1B_IbLb0EEEEDaS17_S18_EUlS17_E_NS1_11comp_targetILNS1_3genE3ELNS1_11target_archE908ELNS1_3gpuE7ELNS1_3repE0EEENS1_30default_config_static_selectorELNS0_4arch9wavefront6targetE1EEEvT1_
; %bb.0:
	.section	.rodata,"a",@progbits
	.p2align	6, 0x0
	.amdhsa_kernel _ZN7rocprim17ROCPRIM_400000_NS6detail17trampoline_kernelINS0_14default_configENS1_25partition_config_selectorILNS1_17partition_subalgoE8ElNS0_10empty_typeEbEEZZNS1_14partition_implILS5_8ELb0ES3_jPlPS6_PKS6_NS0_5tupleIJS9_S6_EEENSD_IJSA_SA_EEENS0_18inequality_wrapperIZN2at6native12_GLOBAL__N_124unique_dim_cuda_templateIfEESt5tupleIJNSH_6TensorESM_SM_EERKSM_lbbbEUlllE0_EEPmJS6_EEE10hipError_tPvRmT3_T4_T5_T6_T7_T9_mT8_P12ihipStream_tbDpT10_ENKUlT_T0_E_clISt17integral_constantIbLb1EES1B_IbLb0EEEEDaS17_S18_EUlS17_E_NS1_11comp_targetILNS1_3genE3ELNS1_11target_archE908ELNS1_3gpuE7ELNS1_3repE0EEENS1_30default_config_static_selectorELNS0_4arch9wavefront6targetE1EEEvT1_
		.amdhsa_group_segment_fixed_size 0
		.amdhsa_private_segment_fixed_size 0
		.amdhsa_kernarg_size 120
		.amdhsa_user_sgpr_count 6
		.amdhsa_user_sgpr_private_segment_buffer 1
		.amdhsa_user_sgpr_dispatch_ptr 0
		.amdhsa_user_sgpr_queue_ptr 0
		.amdhsa_user_sgpr_kernarg_segment_ptr 1
		.amdhsa_user_sgpr_dispatch_id 0
		.amdhsa_user_sgpr_flat_scratch_init 0
		.amdhsa_user_sgpr_kernarg_preload_length 0
		.amdhsa_user_sgpr_kernarg_preload_offset 0
		.amdhsa_user_sgpr_private_segment_size 0
		.amdhsa_uses_dynamic_stack 0
		.amdhsa_system_sgpr_private_segment_wavefront_offset 0
		.amdhsa_system_sgpr_workgroup_id_x 1
		.amdhsa_system_sgpr_workgroup_id_y 0
		.amdhsa_system_sgpr_workgroup_id_z 0
		.amdhsa_system_sgpr_workgroup_info 0
		.amdhsa_system_vgpr_workitem_id 0
		.amdhsa_next_free_vgpr 1
		.amdhsa_next_free_sgpr 0
		.amdhsa_accum_offset 4
		.amdhsa_reserve_vcc 0
		.amdhsa_reserve_flat_scratch 0
		.amdhsa_float_round_mode_32 0
		.amdhsa_float_round_mode_16_64 0
		.amdhsa_float_denorm_mode_32 3
		.amdhsa_float_denorm_mode_16_64 3
		.amdhsa_dx10_clamp 1
		.amdhsa_ieee_mode 1
		.amdhsa_fp16_overflow 0
		.amdhsa_tg_split 0
		.amdhsa_exception_fp_ieee_invalid_op 0
		.amdhsa_exception_fp_denorm_src 0
		.amdhsa_exception_fp_ieee_div_zero 0
		.amdhsa_exception_fp_ieee_overflow 0
		.amdhsa_exception_fp_ieee_underflow 0
		.amdhsa_exception_fp_ieee_inexact 0
		.amdhsa_exception_int_div_zero 0
	.end_amdhsa_kernel
	.section	.text._ZN7rocprim17ROCPRIM_400000_NS6detail17trampoline_kernelINS0_14default_configENS1_25partition_config_selectorILNS1_17partition_subalgoE8ElNS0_10empty_typeEbEEZZNS1_14partition_implILS5_8ELb0ES3_jPlPS6_PKS6_NS0_5tupleIJS9_S6_EEENSD_IJSA_SA_EEENS0_18inequality_wrapperIZN2at6native12_GLOBAL__N_124unique_dim_cuda_templateIfEESt5tupleIJNSH_6TensorESM_SM_EERKSM_lbbbEUlllE0_EEPmJS6_EEE10hipError_tPvRmT3_T4_T5_T6_T7_T9_mT8_P12ihipStream_tbDpT10_ENKUlT_T0_E_clISt17integral_constantIbLb1EES1B_IbLb0EEEEDaS17_S18_EUlS17_E_NS1_11comp_targetILNS1_3genE3ELNS1_11target_archE908ELNS1_3gpuE7ELNS1_3repE0EEENS1_30default_config_static_selectorELNS0_4arch9wavefront6targetE1EEEvT1_,"axG",@progbits,_ZN7rocprim17ROCPRIM_400000_NS6detail17trampoline_kernelINS0_14default_configENS1_25partition_config_selectorILNS1_17partition_subalgoE8ElNS0_10empty_typeEbEEZZNS1_14partition_implILS5_8ELb0ES3_jPlPS6_PKS6_NS0_5tupleIJS9_S6_EEENSD_IJSA_SA_EEENS0_18inequality_wrapperIZN2at6native12_GLOBAL__N_124unique_dim_cuda_templateIfEESt5tupleIJNSH_6TensorESM_SM_EERKSM_lbbbEUlllE0_EEPmJS6_EEE10hipError_tPvRmT3_T4_T5_T6_T7_T9_mT8_P12ihipStream_tbDpT10_ENKUlT_T0_E_clISt17integral_constantIbLb1EES1B_IbLb0EEEEDaS17_S18_EUlS17_E_NS1_11comp_targetILNS1_3genE3ELNS1_11target_archE908ELNS1_3gpuE7ELNS1_3repE0EEENS1_30default_config_static_selectorELNS0_4arch9wavefront6targetE1EEEvT1_,comdat
.Lfunc_end948:
	.size	_ZN7rocprim17ROCPRIM_400000_NS6detail17trampoline_kernelINS0_14default_configENS1_25partition_config_selectorILNS1_17partition_subalgoE8ElNS0_10empty_typeEbEEZZNS1_14partition_implILS5_8ELb0ES3_jPlPS6_PKS6_NS0_5tupleIJS9_S6_EEENSD_IJSA_SA_EEENS0_18inequality_wrapperIZN2at6native12_GLOBAL__N_124unique_dim_cuda_templateIfEESt5tupleIJNSH_6TensorESM_SM_EERKSM_lbbbEUlllE0_EEPmJS6_EEE10hipError_tPvRmT3_T4_T5_T6_T7_T9_mT8_P12ihipStream_tbDpT10_ENKUlT_T0_E_clISt17integral_constantIbLb1EES1B_IbLb0EEEEDaS17_S18_EUlS17_E_NS1_11comp_targetILNS1_3genE3ELNS1_11target_archE908ELNS1_3gpuE7ELNS1_3repE0EEENS1_30default_config_static_selectorELNS0_4arch9wavefront6targetE1EEEvT1_, .Lfunc_end948-_ZN7rocprim17ROCPRIM_400000_NS6detail17trampoline_kernelINS0_14default_configENS1_25partition_config_selectorILNS1_17partition_subalgoE8ElNS0_10empty_typeEbEEZZNS1_14partition_implILS5_8ELb0ES3_jPlPS6_PKS6_NS0_5tupleIJS9_S6_EEENSD_IJSA_SA_EEENS0_18inequality_wrapperIZN2at6native12_GLOBAL__N_124unique_dim_cuda_templateIfEESt5tupleIJNSH_6TensorESM_SM_EERKSM_lbbbEUlllE0_EEPmJS6_EEE10hipError_tPvRmT3_T4_T5_T6_T7_T9_mT8_P12ihipStream_tbDpT10_ENKUlT_T0_E_clISt17integral_constantIbLb1EES1B_IbLb0EEEEDaS17_S18_EUlS17_E_NS1_11comp_targetILNS1_3genE3ELNS1_11target_archE908ELNS1_3gpuE7ELNS1_3repE0EEENS1_30default_config_static_selectorELNS0_4arch9wavefront6targetE1EEEvT1_
                                        ; -- End function
	.section	.AMDGPU.csdata,"",@progbits
; Kernel info:
; codeLenInByte = 0
; NumSgprs: 4
; NumVgprs: 0
; NumAgprs: 0
; TotalNumVgprs: 0
; ScratchSize: 0
; MemoryBound: 0
; FloatMode: 240
; IeeeMode: 1
; LDSByteSize: 0 bytes/workgroup (compile time only)
; SGPRBlocks: 0
; VGPRBlocks: 0
; NumSGPRsForWavesPerEU: 4
; NumVGPRsForWavesPerEU: 1
; AccumOffset: 4
; Occupancy: 8
; WaveLimiterHint : 0
; COMPUTE_PGM_RSRC2:SCRATCH_EN: 0
; COMPUTE_PGM_RSRC2:USER_SGPR: 6
; COMPUTE_PGM_RSRC2:TRAP_HANDLER: 0
; COMPUTE_PGM_RSRC2:TGID_X_EN: 1
; COMPUTE_PGM_RSRC2:TGID_Y_EN: 0
; COMPUTE_PGM_RSRC2:TGID_Z_EN: 0
; COMPUTE_PGM_RSRC2:TIDIG_COMP_CNT: 0
; COMPUTE_PGM_RSRC3_GFX90A:ACCUM_OFFSET: 0
; COMPUTE_PGM_RSRC3_GFX90A:TG_SPLIT: 0
	.section	.text._ZN7rocprim17ROCPRIM_400000_NS6detail17trampoline_kernelINS0_14default_configENS1_25partition_config_selectorILNS1_17partition_subalgoE8ElNS0_10empty_typeEbEEZZNS1_14partition_implILS5_8ELb0ES3_jPlPS6_PKS6_NS0_5tupleIJS9_S6_EEENSD_IJSA_SA_EEENS0_18inequality_wrapperIZN2at6native12_GLOBAL__N_124unique_dim_cuda_templateIfEESt5tupleIJNSH_6TensorESM_SM_EERKSM_lbbbEUlllE0_EEPmJS6_EEE10hipError_tPvRmT3_T4_T5_T6_T7_T9_mT8_P12ihipStream_tbDpT10_ENKUlT_T0_E_clISt17integral_constantIbLb1EES1B_IbLb0EEEEDaS17_S18_EUlS17_E_NS1_11comp_targetILNS1_3genE2ELNS1_11target_archE906ELNS1_3gpuE6ELNS1_3repE0EEENS1_30default_config_static_selectorELNS0_4arch9wavefront6targetE1EEEvT1_,"axG",@progbits,_ZN7rocprim17ROCPRIM_400000_NS6detail17trampoline_kernelINS0_14default_configENS1_25partition_config_selectorILNS1_17partition_subalgoE8ElNS0_10empty_typeEbEEZZNS1_14partition_implILS5_8ELb0ES3_jPlPS6_PKS6_NS0_5tupleIJS9_S6_EEENSD_IJSA_SA_EEENS0_18inequality_wrapperIZN2at6native12_GLOBAL__N_124unique_dim_cuda_templateIfEESt5tupleIJNSH_6TensorESM_SM_EERKSM_lbbbEUlllE0_EEPmJS6_EEE10hipError_tPvRmT3_T4_T5_T6_T7_T9_mT8_P12ihipStream_tbDpT10_ENKUlT_T0_E_clISt17integral_constantIbLb1EES1B_IbLb0EEEEDaS17_S18_EUlS17_E_NS1_11comp_targetILNS1_3genE2ELNS1_11target_archE906ELNS1_3gpuE6ELNS1_3repE0EEENS1_30default_config_static_selectorELNS0_4arch9wavefront6targetE1EEEvT1_,comdat
	.globl	_ZN7rocprim17ROCPRIM_400000_NS6detail17trampoline_kernelINS0_14default_configENS1_25partition_config_selectorILNS1_17partition_subalgoE8ElNS0_10empty_typeEbEEZZNS1_14partition_implILS5_8ELb0ES3_jPlPS6_PKS6_NS0_5tupleIJS9_S6_EEENSD_IJSA_SA_EEENS0_18inequality_wrapperIZN2at6native12_GLOBAL__N_124unique_dim_cuda_templateIfEESt5tupleIJNSH_6TensorESM_SM_EERKSM_lbbbEUlllE0_EEPmJS6_EEE10hipError_tPvRmT3_T4_T5_T6_T7_T9_mT8_P12ihipStream_tbDpT10_ENKUlT_T0_E_clISt17integral_constantIbLb1EES1B_IbLb0EEEEDaS17_S18_EUlS17_E_NS1_11comp_targetILNS1_3genE2ELNS1_11target_archE906ELNS1_3gpuE6ELNS1_3repE0EEENS1_30default_config_static_selectorELNS0_4arch9wavefront6targetE1EEEvT1_ ; -- Begin function _ZN7rocprim17ROCPRIM_400000_NS6detail17trampoline_kernelINS0_14default_configENS1_25partition_config_selectorILNS1_17partition_subalgoE8ElNS0_10empty_typeEbEEZZNS1_14partition_implILS5_8ELb0ES3_jPlPS6_PKS6_NS0_5tupleIJS9_S6_EEENSD_IJSA_SA_EEENS0_18inequality_wrapperIZN2at6native12_GLOBAL__N_124unique_dim_cuda_templateIfEESt5tupleIJNSH_6TensorESM_SM_EERKSM_lbbbEUlllE0_EEPmJS6_EEE10hipError_tPvRmT3_T4_T5_T6_T7_T9_mT8_P12ihipStream_tbDpT10_ENKUlT_T0_E_clISt17integral_constantIbLb1EES1B_IbLb0EEEEDaS17_S18_EUlS17_E_NS1_11comp_targetILNS1_3genE2ELNS1_11target_archE906ELNS1_3gpuE6ELNS1_3repE0EEENS1_30default_config_static_selectorELNS0_4arch9wavefront6targetE1EEEvT1_
	.p2align	8
	.type	_ZN7rocprim17ROCPRIM_400000_NS6detail17trampoline_kernelINS0_14default_configENS1_25partition_config_selectorILNS1_17partition_subalgoE8ElNS0_10empty_typeEbEEZZNS1_14partition_implILS5_8ELb0ES3_jPlPS6_PKS6_NS0_5tupleIJS9_S6_EEENSD_IJSA_SA_EEENS0_18inequality_wrapperIZN2at6native12_GLOBAL__N_124unique_dim_cuda_templateIfEESt5tupleIJNSH_6TensorESM_SM_EERKSM_lbbbEUlllE0_EEPmJS6_EEE10hipError_tPvRmT3_T4_T5_T6_T7_T9_mT8_P12ihipStream_tbDpT10_ENKUlT_T0_E_clISt17integral_constantIbLb1EES1B_IbLb0EEEEDaS17_S18_EUlS17_E_NS1_11comp_targetILNS1_3genE2ELNS1_11target_archE906ELNS1_3gpuE6ELNS1_3repE0EEENS1_30default_config_static_selectorELNS0_4arch9wavefront6targetE1EEEvT1_,@function
_ZN7rocprim17ROCPRIM_400000_NS6detail17trampoline_kernelINS0_14default_configENS1_25partition_config_selectorILNS1_17partition_subalgoE8ElNS0_10empty_typeEbEEZZNS1_14partition_implILS5_8ELb0ES3_jPlPS6_PKS6_NS0_5tupleIJS9_S6_EEENSD_IJSA_SA_EEENS0_18inequality_wrapperIZN2at6native12_GLOBAL__N_124unique_dim_cuda_templateIfEESt5tupleIJNSH_6TensorESM_SM_EERKSM_lbbbEUlllE0_EEPmJS6_EEE10hipError_tPvRmT3_T4_T5_T6_T7_T9_mT8_P12ihipStream_tbDpT10_ENKUlT_T0_E_clISt17integral_constantIbLb1EES1B_IbLb0EEEEDaS17_S18_EUlS17_E_NS1_11comp_targetILNS1_3genE2ELNS1_11target_archE906ELNS1_3gpuE6ELNS1_3repE0EEENS1_30default_config_static_selectorELNS0_4arch9wavefront6targetE1EEEvT1_: ; @_ZN7rocprim17ROCPRIM_400000_NS6detail17trampoline_kernelINS0_14default_configENS1_25partition_config_selectorILNS1_17partition_subalgoE8ElNS0_10empty_typeEbEEZZNS1_14partition_implILS5_8ELb0ES3_jPlPS6_PKS6_NS0_5tupleIJS9_S6_EEENSD_IJSA_SA_EEENS0_18inequality_wrapperIZN2at6native12_GLOBAL__N_124unique_dim_cuda_templateIfEESt5tupleIJNSH_6TensorESM_SM_EERKSM_lbbbEUlllE0_EEPmJS6_EEE10hipError_tPvRmT3_T4_T5_T6_T7_T9_mT8_P12ihipStream_tbDpT10_ENKUlT_T0_E_clISt17integral_constantIbLb1EES1B_IbLb0EEEEDaS17_S18_EUlS17_E_NS1_11comp_targetILNS1_3genE2ELNS1_11target_archE906ELNS1_3gpuE6ELNS1_3repE0EEENS1_30default_config_static_selectorELNS0_4arch9wavefront6targetE1EEEvT1_
; %bb.0:
	.section	.rodata,"a",@progbits
	.p2align	6, 0x0
	.amdhsa_kernel _ZN7rocprim17ROCPRIM_400000_NS6detail17trampoline_kernelINS0_14default_configENS1_25partition_config_selectorILNS1_17partition_subalgoE8ElNS0_10empty_typeEbEEZZNS1_14partition_implILS5_8ELb0ES3_jPlPS6_PKS6_NS0_5tupleIJS9_S6_EEENSD_IJSA_SA_EEENS0_18inequality_wrapperIZN2at6native12_GLOBAL__N_124unique_dim_cuda_templateIfEESt5tupleIJNSH_6TensorESM_SM_EERKSM_lbbbEUlllE0_EEPmJS6_EEE10hipError_tPvRmT3_T4_T5_T6_T7_T9_mT8_P12ihipStream_tbDpT10_ENKUlT_T0_E_clISt17integral_constantIbLb1EES1B_IbLb0EEEEDaS17_S18_EUlS17_E_NS1_11comp_targetILNS1_3genE2ELNS1_11target_archE906ELNS1_3gpuE6ELNS1_3repE0EEENS1_30default_config_static_selectorELNS0_4arch9wavefront6targetE1EEEvT1_
		.amdhsa_group_segment_fixed_size 0
		.amdhsa_private_segment_fixed_size 0
		.amdhsa_kernarg_size 120
		.amdhsa_user_sgpr_count 6
		.amdhsa_user_sgpr_private_segment_buffer 1
		.amdhsa_user_sgpr_dispatch_ptr 0
		.amdhsa_user_sgpr_queue_ptr 0
		.amdhsa_user_sgpr_kernarg_segment_ptr 1
		.amdhsa_user_sgpr_dispatch_id 0
		.amdhsa_user_sgpr_flat_scratch_init 0
		.amdhsa_user_sgpr_kernarg_preload_length 0
		.amdhsa_user_sgpr_kernarg_preload_offset 0
		.amdhsa_user_sgpr_private_segment_size 0
		.amdhsa_uses_dynamic_stack 0
		.amdhsa_system_sgpr_private_segment_wavefront_offset 0
		.amdhsa_system_sgpr_workgroup_id_x 1
		.amdhsa_system_sgpr_workgroup_id_y 0
		.amdhsa_system_sgpr_workgroup_id_z 0
		.amdhsa_system_sgpr_workgroup_info 0
		.amdhsa_system_vgpr_workitem_id 0
		.amdhsa_next_free_vgpr 1
		.amdhsa_next_free_sgpr 0
		.amdhsa_accum_offset 4
		.amdhsa_reserve_vcc 0
		.amdhsa_reserve_flat_scratch 0
		.amdhsa_float_round_mode_32 0
		.amdhsa_float_round_mode_16_64 0
		.amdhsa_float_denorm_mode_32 3
		.amdhsa_float_denorm_mode_16_64 3
		.amdhsa_dx10_clamp 1
		.amdhsa_ieee_mode 1
		.amdhsa_fp16_overflow 0
		.amdhsa_tg_split 0
		.amdhsa_exception_fp_ieee_invalid_op 0
		.amdhsa_exception_fp_denorm_src 0
		.amdhsa_exception_fp_ieee_div_zero 0
		.amdhsa_exception_fp_ieee_overflow 0
		.amdhsa_exception_fp_ieee_underflow 0
		.amdhsa_exception_fp_ieee_inexact 0
		.amdhsa_exception_int_div_zero 0
	.end_amdhsa_kernel
	.section	.text._ZN7rocprim17ROCPRIM_400000_NS6detail17trampoline_kernelINS0_14default_configENS1_25partition_config_selectorILNS1_17partition_subalgoE8ElNS0_10empty_typeEbEEZZNS1_14partition_implILS5_8ELb0ES3_jPlPS6_PKS6_NS0_5tupleIJS9_S6_EEENSD_IJSA_SA_EEENS0_18inequality_wrapperIZN2at6native12_GLOBAL__N_124unique_dim_cuda_templateIfEESt5tupleIJNSH_6TensorESM_SM_EERKSM_lbbbEUlllE0_EEPmJS6_EEE10hipError_tPvRmT3_T4_T5_T6_T7_T9_mT8_P12ihipStream_tbDpT10_ENKUlT_T0_E_clISt17integral_constantIbLb1EES1B_IbLb0EEEEDaS17_S18_EUlS17_E_NS1_11comp_targetILNS1_3genE2ELNS1_11target_archE906ELNS1_3gpuE6ELNS1_3repE0EEENS1_30default_config_static_selectorELNS0_4arch9wavefront6targetE1EEEvT1_,"axG",@progbits,_ZN7rocprim17ROCPRIM_400000_NS6detail17trampoline_kernelINS0_14default_configENS1_25partition_config_selectorILNS1_17partition_subalgoE8ElNS0_10empty_typeEbEEZZNS1_14partition_implILS5_8ELb0ES3_jPlPS6_PKS6_NS0_5tupleIJS9_S6_EEENSD_IJSA_SA_EEENS0_18inequality_wrapperIZN2at6native12_GLOBAL__N_124unique_dim_cuda_templateIfEESt5tupleIJNSH_6TensorESM_SM_EERKSM_lbbbEUlllE0_EEPmJS6_EEE10hipError_tPvRmT3_T4_T5_T6_T7_T9_mT8_P12ihipStream_tbDpT10_ENKUlT_T0_E_clISt17integral_constantIbLb1EES1B_IbLb0EEEEDaS17_S18_EUlS17_E_NS1_11comp_targetILNS1_3genE2ELNS1_11target_archE906ELNS1_3gpuE6ELNS1_3repE0EEENS1_30default_config_static_selectorELNS0_4arch9wavefront6targetE1EEEvT1_,comdat
.Lfunc_end949:
	.size	_ZN7rocprim17ROCPRIM_400000_NS6detail17trampoline_kernelINS0_14default_configENS1_25partition_config_selectorILNS1_17partition_subalgoE8ElNS0_10empty_typeEbEEZZNS1_14partition_implILS5_8ELb0ES3_jPlPS6_PKS6_NS0_5tupleIJS9_S6_EEENSD_IJSA_SA_EEENS0_18inequality_wrapperIZN2at6native12_GLOBAL__N_124unique_dim_cuda_templateIfEESt5tupleIJNSH_6TensorESM_SM_EERKSM_lbbbEUlllE0_EEPmJS6_EEE10hipError_tPvRmT3_T4_T5_T6_T7_T9_mT8_P12ihipStream_tbDpT10_ENKUlT_T0_E_clISt17integral_constantIbLb1EES1B_IbLb0EEEEDaS17_S18_EUlS17_E_NS1_11comp_targetILNS1_3genE2ELNS1_11target_archE906ELNS1_3gpuE6ELNS1_3repE0EEENS1_30default_config_static_selectorELNS0_4arch9wavefront6targetE1EEEvT1_, .Lfunc_end949-_ZN7rocprim17ROCPRIM_400000_NS6detail17trampoline_kernelINS0_14default_configENS1_25partition_config_selectorILNS1_17partition_subalgoE8ElNS0_10empty_typeEbEEZZNS1_14partition_implILS5_8ELb0ES3_jPlPS6_PKS6_NS0_5tupleIJS9_S6_EEENSD_IJSA_SA_EEENS0_18inequality_wrapperIZN2at6native12_GLOBAL__N_124unique_dim_cuda_templateIfEESt5tupleIJNSH_6TensorESM_SM_EERKSM_lbbbEUlllE0_EEPmJS6_EEE10hipError_tPvRmT3_T4_T5_T6_T7_T9_mT8_P12ihipStream_tbDpT10_ENKUlT_T0_E_clISt17integral_constantIbLb1EES1B_IbLb0EEEEDaS17_S18_EUlS17_E_NS1_11comp_targetILNS1_3genE2ELNS1_11target_archE906ELNS1_3gpuE6ELNS1_3repE0EEENS1_30default_config_static_selectorELNS0_4arch9wavefront6targetE1EEEvT1_
                                        ; -- End function
	.section	.AMDGPU.csdata,"",@progbits
; Kernel info:
; codeLenInByte = 0
; NumSgprs: 4
; NumVgprs: 0
; NumAgprs: 0
; TotalNumVgprs: 0
; ScratchSize: 0
; MemoryBound: 0
; FloatMode: 240
; IeeeMode: 1
; LDSByteSize: 0 bytes/workgroup (compile time only)
; SGPRBlocks: 0
; VGPRBlocks: 0
; NumSGPRsForWavesPerEU: 4
; NumVGPRsForWavesPerEU: 1
; AccumOffset: 4
; Occupancy: 8
; WaveLimiterHint : 0
; COMPUTE_PGM_RSRC2:SCRATCH_EN: 0
; COMPUTE_PGM_RSRC2:USER_SGPR: 6
; COMPUTE_PGM_RSRC2:TRAP_HANDLER: 0
; COMPUTE_PGM_RSRC2:TGID_X_EN: 1
; COMPUTE_PGM_RSRC2:TGID_Y_EN: 0
; COMPUTE_PGM_RSRC2:TGID_Z_EN: 0
; COMPUTE_PGM_RSRC2:TIDIG_COMP_CNT: 0
; COMPUTE_PGM_RSRC3_GFX90A:ACCUM_OFFSET: 0
; COMPUTE_PGM_RSRC3_GFX90A:TG_SPLIT: 0
	.section	.text._ZN7rocprim17ROCPRIM_400000_NS6detail17trampoline_kernelINS0_14default_configENS1_25partition_config_selectorILNS1_17partition_subalgoE8ElNS0_10empty_typeEbEEZZNS1_14partition_implILS5_8ELb0ES3_jPlPS6_PKS6_NS0_5tupleIJS9_S6_EEENSD_IJSA_SA_EEENS0_18inequality_wrapperIZN2at6native12_GLOBAL__N_124unique_dim_cuda_templateIfEESt5tupleIJNSH_6TensorESM_SM_EERKSM_lbbbEUlllE0_EEPmJS6_EEE10hipError_tPvRmT3_T4_T5_T6_T7_T9_mT8_P12ihipStream_tbDpT10_ENKUlT_T0_E_clISt17integral_constantIbLb1EES1B_IbLb0EEEEDaS17_S18_EUlS17_E_NS1_11comp_targetILNS1_3genE10ELNS1_11target_archE1200ELNS1_3gpuE4ELNS1_3repE0EEENS1_30default_config_static_selectorELNS0_4arch9wavefront6targetE1EEEvT1_,"axG",@progbits,_ZN7rocprim17ROCPRIM_400000_NS6detail17trampoline_kernelINS0_14default_configENS1_25partition_config_selectorILNS1_17partition_subalgoE8ElNS0_10empty_typeEbEEZZNS1_14partition_implILS5_8ELb0ES3_jPlPS6_PKS6_NS0_5tupleIJS9_S6_EEENSD_IJSA_SA_EEENS0_18inequality_wrapperIZN2at6native12_GLOBAL__N_124unique_dim_cuda_templateIfEESt5tupleIJNSH_6TensorESM_SM_EERKSM_lbbbEUlllE0_EEPmJS6_EEE10hipError_tPvRmT3_T4_T5_T6_T7_T9_mT8_P12ihipStream_tbDpT10_ENKUlT_T0_E_clISt17integral_constantIbLb1EES1B_IbLb0EEEEDaS17_S18_EUlS17_E_NS1_11comp_targetILNS1_3genE10ELNS1_11target_archE1200ELNS1_3gpuE4ELNS1_3repE0EEENS1_30default_config_static_selectorELNS0_4arch9wavefront6targetE1EEEvT1_,comdat
	.globl	_ZN7rocprim17ROCPRIM_400000_NS6detail17trampoline_kernelINS0_14default_configENS1_25partition_config_selectorILNS1_17partition_subalgoE8ElNS0_10empty_typeEbEEZZNS1_14partition_implILS5_8ELb0ES3_jPlPS6_PKS6_NS0_5tupleIJS9_S6_EEENSD_IJSA_SA_EEENS0_18inequality_wrapperIZN2at6native12_GLOBAL__N_124unique_dim_cuda_templateIfEESt5tupleIJNSH_6TensorESM_SM_EERKSM_lbbbEUlllE0_EEPmJS6_EEE10hipError_tPvRmT3_T4_T5_T6_T7_T9_mT8_P12ihipStream_tbDpT10_ENKUlT_T0_E_clISt17integral_constantIbLb1EES1B_IbLb0EEEEDaS17_S18_EUlS17_E_NS1_11comp_targetILNS1_3genE10ELNS1_11target_archE1200ELNS1_3gpuE4ELNS1_3repE0EEENS1_30default_config_static_selectorELNS0_4arch9wavefront6targetE1EEEvT1_ ; -- Begin function _ZN7rocprim17ROCPRIM_400000_NS6detail17trampoline_kernelINS0_14default_configENS1_25partition_config_selectorILNS1_17partition_subalgoE8ElNS0_10empty_typeEbEEZZNS1_14partition_implILS5_8ELb0ES3_jPlPS6_PKS6_NS0_5tupleIJS9_S6_EEENSD_IJSA_SA_EEENS0_18inequality_wrapperIZN2at6native12_GLOBAL__N_124unique_dim_cuda_templateIfEESt5tupleIJNSH_6TensorESM_SM_EERKSM_lbbbEUlllE0_EEPmJS6_EEE10hipError_tPvRmT3_T4_T5_T6_T7_T9_mT8_P12ihipStream_tbDpT10_ENKUlT_T0_E_clISt17integral_constantIbLb1EES1B_IbLb0EEEEDaS17_S18_EUlS17_E_NS1_11comp_targetILNS1_3genE10ELNS1_11target_archE1200ELNS1_3gpuE4ELNS1_3repE0EEENS1_30default_config_static_selectorELNS0_4arch9wavefront6targetE1EEEvT1_
	.p2align	8
	.type	_ZN7rocprim17ROCPRIM_400000_NS6detail17trampoline_kernelINS0_14default_configENS1_25partition_config_selectorILNS1_17partition_subalgoE8ElNS0_10empty_typeEbEEZZNS1_14partition_implILS5_8ELb0ES3_jPlPS6_PKS6_NS0_5tupleIJS9_S6_EEENSD_IJSA_SA_EEENS0_18inequality_wrapperIZN2at6native12_GLOBAL__N_124unique_dim_cuda_templateIfEESt5tupleIJNSH_6TensorESM_SM_EERKSM_lbbbEUlllE0_EEPmJS6_EEE10hipError_tPvRmT3_T4_T5_T6_T7_T9_mT8_P12ihipStream_tbDpT10_ENKUlT_T0_E_clISt17integral_constantIbLb1EES1B_IbLb0EEEEDaS17_S18_EUlS17_E_NS1_11comp_targetILNS1_3genE10ELNS1_11target_archE1200ELNS1_3gpuE4ELNS1_3repE0EEENS1_30default_config_static_selectorELNS0_4arch9wavefront6targetE1EEEvT1_,@function
_ZN7rocprim17ROCPRIM_400000_NS6detail17trampoline_kernelINS0_14default_configENS1_25partition_config_selectorILNS1_17partition_subalgoE8ElNS0_10empty_typeEbEEZZNS1_14partition_implILS5_8ELb0ES3_jPlPS6_PKS6_NS0_5tupleIJS9_S6_EEENSD_IJSA_SA_EEENS0_18inequality_wrapperIZN2at6native12_GLOBAL__N_124unique_dim_cuda_templateIfEESt5tupleIJNSH_6TensorESM_SM_EERKSM_lbbbEUlllE0_EEPmJS6_EEE10hipError_tPvRmT3_T4_T5_T6_T7_T9_mT8_P12ihipStream_tbDpT10_ENKUlT_T0_E_clISt17integral_constantIbLb1EES1B_IbLb0EEEEDaS17_S18_EUlS17_E_NS1_11comp_targetILNS1_3genE10ELNS1_11target_archE1200ELNS1_3gpuE4ELNS1_3repE0EEENS1_30default_config_static_selectorELNS0_4arch9wavefront6targetE1EEEvT1_: ; @_ZN7rocprim17ROCPRIM_400000_NS6detail17trampoline_kernelINS0_14default_configENS1_25partition_config_selectorILNS1_17partition_subalgoE8ElNS0_10empty_typeEbEEZZNS1_14partition_implILS5_8ELb0ES3_jPlPS6_PKS6_NS0_5tupleIJS9_S6_EEENSD_IJSA_SA_EEENS0_18inequality_wrapperIZN2at6native12_GLOBAL__N_124unique_dim_cuda_templateIfEESt5tupleIJNSH_6TensorESM_SM_EERKSM_lbbbEUlllE0_EEPmJS6_EEE10hipError_tPvRmT3_T4_T5_T6_T7_T9_mT8_P12ihipStream_tbDpT10_ENKUlT_T0_E_clISt17integral_constantIbLb1EES1B_IbLb0EEEEDaS17_S18_EUlS17_E_NS1_11comp_targetILNS1_3genE10ELNS1_11target_archE1200ELNS1_3gpuE4ELNS1_3repE0EEENS1_30default_config_static_selectorELNS0_4arch9wavefront6targetE1EEEvT1_
; %bb.0:
	.section	.rodata,"a",@progbits
	.p2align	6, 0x0
	.amdhsa_kernel _ZN7rocprim17ROCPRIM_400000_NS6detail17trampoline_kernelINS0_14default_configENS1_25partition_config_selectorILNS1_17partition_subalgoE8ElNS0_10empty_typeEbEEZZNS1_14partition_implILS5_8ELb0ES3_jPlPS6_PKS6_NS0_5tupleIJS9_S6_EEENSD_IJSA_SA_EEENS0_18inequality_wrapperIZN2at6native12_GLOBAL__N_124unique_dim_cuda_templateIfEESt5tupleIJNSH_6TensorESM_SM_EERKSM_lbbbEUlllE0_EEPmJS6_EEE10hipError_tPvRmT3_T4_T5_T6_T7_T9_mT8_P12ihipStream_tbDpT10_ENKUlT_T0_E_clISt17integral_constantIbLb1EES1B_IbLb0EEEEDaS17_S18_EUlS17_E_NS1_11comp_targetILNS1_3genE10ELNS1_11target_archE1200ELNS1_3gpuE4ELNS1_3repE0EEENS1_30default_config_static_selectorELNS0_4arch9wavefront6targetE1EEEvT1_
		.amdhsa_group_segment_fixed_size 0
		.amdhsa_private_segment_fixed_size 0
		.amdhsa_kernarg_size 120
		.amdhsa_user_sgpr_count 6
		.amdhsa_user_sgpr_private_segment_buffer 1
		.amdhsa_user_sgpr_dispatch_ptr 0
		.amdhsa_user_sgpr_queue_ptr 0
		.amdhsa_user_sgpr_kernarg_segment_ptr 1
		.amdhsa_user_sgpr_dispatch_id 0
		.amdhsa_user_sgpr_flat_scratch_init 0
		.amdhsa_user_sgpr_kernarg_preload_length 0
		.amdhsa_user_sgpr_kernarg_preload_offset 0
		.amdhsa_user_sgpr_private_segment_size 0
		.amdhsa_uses_dynamic_stack 0
		.amdhsa_system_sgpr_private_segment_wavefront_offset 0
		.amdhsa_system_sgpr_workgroup_id_x 1
		.amdhsa_system_sgpr_workgroup_id_y 0
		.amdhsa_system_sgpr_workgroup_id_z 0
		.amdhsa_system_sgpr_workgroup_info 0
		.amdhsa_system_vgpr_workitem_id 0
		.amdhsa_next_free_vgpr 1
		.amdhsa_next_free_sgpr 0
		.amdhsa_accum_offset 4
		.amdhsa_reserve_vcc 0
		.amdhsa_reserve_flat_scratch 0
		.amdhsa_float_round_mode_32 0
		.amdhsa_float_round_mode_16_64 0
		.amdhsa_float_denorm_mode_32 3
		.amdhsa_float_denorm_mode_16_64 3
		.amdhsa_dx10_clamp 1
		.amdhsa_ieee_mode 1
		.amdhsa_fp16_overflow 0
		.amdhsa_tg_split 0
		.amdhsa_exception_fp_ieee_invalid_op 0
		.amdhsa_exception_fp_denorm_src 0
		.amdhsa_exception_fp_ieee_div_zero 0
		.amdhsa_exception_fp_ieee_overflow 0
		.amdhsa_exception_fp_ieee_underflow 0
		.amdhsa_exception_fp_ieee_inexact 0
		.amdhsa_exception_int_div_zero 0
	.end_amdhsa_kernel
	.section	.text._ZN7rocprim17ROCPRIM_400000_NS6detail17trampoline_kernelINS0_14default_configENS1_25partition_config_selectorILNS1_17partition_subalgoE8ElNS0_10empty_typeEbEEZZNS1_14partition_implILS5_8ELb0ES3_jPlPS6_PKS6_NS0_5tupleIJS9_S6_EEENSD_IJSA_SA_EEENS0_18inequality_wrapperIZN2at6native12_GLOBAL__N_124unique_dim_cuda_templateIfEESt5tupleIJNSH_6TensorESM_SM_EERKSM_lbbbEUlllE0_EEPmJS6_EEE10hipError_tPvRmT3_T4_T5_T6_T7_T9_mT8_P12ihipStream_tbDpT10_ENKUlT_T0_E_clISt17integral_constantIbLb1EES1B_IbLb0EEEEDaS17_S18_EUlS17_E_NS1_11comp_targetILNS1_3genE10ELNS1_11target_archE1200ELNS1_3gpuE4ELNS1_3repE0EEENS1_30default_config_static_selectorELNS0_4arch9wavefront6targetE1EEEvT1_,"axG",@progbits,_ZN7rocprim17ROCPRIM_400000_NS6detail17trampoline_kernelINS0_14default_configENS1_25partition_config_selectorILNS1_17partition_subalgoE8ElNS0_10empty_typeEbEEZZNS1_14partition_implILS5_8ELb0ES3_jPlPS6_PKS6_NS0_5tupleIJS9_S6_EEENSD_IJSA_SA_EEENS0_18inequality_wrapperIZN2at6native12_GLOBAL__N_124unique_dim_cuda_templateIfEESt5tupleIJNSH_6TensorESM_SM_EERKSM_lbbbEUlllE0_EEPmJS6_EEE10hipError_tPvRmT3_T4_T5_T6_T7_T9_mT8_P12ihipStream_tbDpT10_ENKUlT_T0_E_clISt17integral_constantIbLb1EES1B_IbLb0EEEEDaS17_S18_EUlS17_E_NS1_11comp_targetILNS1_3genE10ELNS1_11target_archE1200ELNS1_3gpuE4ELNS1_3repE0EEENS1_30default_config_static_selectorELNS0_4arch9wavefront6targetE1EEEvT1_,comdat
.Lfunc_end950:
	.size	_ZN7rocprim17ROCPRIM_400000_NS6detail17trampoline_kernelINS0_14default_configENS1_25partition_config_selectorILNS1_17partition_subalgoE8ElNS0_10empty_typeEbEEZZNS1_14partition_implILS5_8ELb0ES3_jPlPS6_PKS6_NS0_5tupleIJS9_S6_EEENSD_IJSA_SA_EEENS0_18inequality_wrapperIZN2at6native12_GLOBAL__N_124unique_dim_cuda_templateIfEESt5tupleIJNSH_6TensorESM_SM_EERKSM_lbbbEUlllE0_EEPmJS6_EEE10hipError_tPvRmT3_T4_T5_T6_T7_T9_mT8_P12ihipStream_tbDpT10_ENKUlT_T0_E_clISt17integral_constantIbLb1EES1B_IbLb0EEEEDaS17_S18_EUlS17_E_NS1_11comp_targetILNS1_3genE10ELNS1_11target_archE1200ELNS1_3gpuE4ELNS1_3repE0EEENS1_30default_config_static_selectorELNS0_4arch9wavefront6targetE1EEEvT1_, .Lfunc_end950-_ZN7rocprim17ROCPRIM_400000_NS6detail17trampoline_kernelINS0_14default_configENS1_25partition_config_selectorILNS1_17partition_subalgoE8ElNS0_10empty_typeEbEEZZNS1_14partition_implILS5_8ELb0ES3_jPlPS6_PKS6_NS0_5tupleIJS9_S6_EEENSD_IJSA_SA_EEENS0_18inequality_wrapperIZN2at6native12_GLOBAL__N_124unique_dim_cuda_templateIfEESt5tupleIJNSH_6TensorESM_SM_EERKSM_lbbbEUlllE0_EEPmJS6_EEE10hipError_tPvRmT3_T4_T5_T6_T7_T9_mT8_P12ihipStream_tbDpT10_ENKUlT_T0_E_clISt17integral_constantIbLb1EES1B_IbLb0EEEEDaS17_S18_EUlS17_E_NS1_11comp_targetILNS1_3genE10ELNS1_11target_archE1200ELNS1_3gpuE4ELNS1_3repE0EEENS1_30default_config_static_selectorELNS0_4arch9wavefront6targetE1EEEvT1_
                                        ; -- End function
	.section	.AMDGPU.csdata,"",@progbits
; Kernel info:
; codeLenInByte = 0
; NumSgprs: 4
; NumVgprs: 0
; NumAgprs: 0
; TotalNumVgprs: 0
; ScratchSize: 0
; MemoryBound: 0
; FloatMode: 240
; IeeeMode: 1
; LDSByteSize: 0 bytes/workgroup (compile time only)
; SGPRBlocks: 0
; VGPRBlocks: 0
; NumSGPRsForWavesPerEU: 4
; NumVGPRsForWavesPerEU: 1
; AccumOffset: 4
; Occupancy: 8
; WaveLimiterHint : 0
; COMPUTE_PGM_RSRC2:SCRATCH_EN: 0
; COMPUTE_PGM_RSRC2:USER_SGPR: 6
; COMPUTE_PGM_RSRC2:TRAP_HANDLER: 0
; COMPUTE_PGM_RSRC2:TGID_X_EN: 1
; COMPUTE_PGM_RSRC2:TGID_Y_EN: 0
; COMPUTE_PGM_RSRC2:TGID_Z_EN: 0
; COMPUTE_PGM_RSRC2:TIDIG_COMP_CNT: 0
; COMPUTE_PGM_RSRC3_GFX90A:ACCUM_OFFSET: 0
; COMPUTE_PGM_RSRC3_GFX90A:TG_SPLIT: 0
	.section	.text._ZN7rocprim17ROCPRIM_400000_NS6detail17trampoline_kernelINS0_14default_configENS1_25partition_config_selectorILNS1_17partition_subalgoE8ElNS0_10empty_typeEbEEZZNS1_14partition_implILS5_8ELb0ES3_jPlPS6_PKS6_NS0_5tupleIJS9_S6_EEENSD_IJSA_SA_EEENS0_18inequality_wrapperIZN2at6native12_GLOBAL__N_124unique_dim_cuda_templateIfEESt5tupleIJNSH_6TensorESM_SM_EERKSM_lbbbEUlllE0_EEPmJS6_EEE10hipError_tPvRmT3_T4_T5_T6_T7_T9_mT8_P12ihipStream_tbDpT10_ENKUlT_T0_E_clISt17integral_constantIbLb1EES1B_IbLb0EEEEDaS17_S18_EUlS17_E_NS1_11comp_targetILNS1_3genE9ELNS1_11target_archE1100ELNS1_3gpuE3ELNS1_3repE0EEENS1_30default_config_static_selectorELNS0_4arch9wavefront6targetE1EEEvT1_,"axG",@progbits,_ZN7rocprim17ROCPRIM_400000_NS6detail17trampoline_kernelINS0_14default_configENS1_25partition_config_selectorILNS1_17partition_subalgoE8ElNS0_10empty_typeEbEEZZNS1_14partition_implILS5_8ELb0ES3_jPlPS6_PKS6_NS0_5tupleIJS9_S6_EEENSD_IJSA_SA_EEENS0_18inequality_wrapperIZN2at6native12_GLOBAL__N_124unique_dim_cuda_templateIfEESt5tupleIJNSH_6TensorESM_SM_EERKSM_lbbbEUlllE0_EEPmJS6_EEE10hipError_tPvRmT3_T4_T5_T6_T7_T9_mT8_P12ihipStream_tbDpT10_ENKUlT_T0_E_clISt17integral_constantIbLb1EES1B_IbLb0EEEEDaS17_S18_EUlS17_E_NS1_11comp_targetILNS1_3genE9ELNS1_11target_archE1100ELNS1_3gpuE3ELNS1_3repE0EEENS1_30default_config_static_selectorELNS0_4arch9wavefront6targetE1EEEvT1_,comdat
	.globl	_ZN7rocprim17ROCPRIM_400000_NS6detail17trampoline_kernelINS0_14default_configENS1_25partition_config_selectorILNS1_17partition_subalgoE8ElNS0_10empty_typeEbEEZZNS1_14partition_implILS5_8ELb0ES3_jPlPS6_PKS6_NS0_5tupleIJS9_S6_EEENSD_IJSA_SA_EEENS0_18inequality_wrapperIZN2at6native12_GLOBAL__N_124unique_dim_cuda_templateIfEESt5tupleIJNSH_6TensorESM_SM_EERKSM_lbbbEUlllE0_EEPmJS6_EEE10hipError_tPvRmT3_T4_T5_T6_T7_T9_mT8_P12ihipStream_tbDpT10_ENKUlT_T0_E_clISt17integral_constantIbLb1EES1B_IbLb0EEEEDaS17_S18_EUlS17_E_NS1_11comp_targetILNS1_3genE9ELNS1_11target_archE1100ELNS1_3gpuE3ELNS1_3repE0EEENS1_30default_config_static_selectorELNS0_4arch9wavefront6targetE1EEEvT1_ ; -- Begin function _ZN7rocprim17ROCPRIM_400000_NS6detail17trampoline_kernelINS0_14default_configENS1_25partition_config_selectorILNS1_17partition_subalgoE8ElNS0_10empty_typeEbEEZZNS1_14partition_implILS5_8ELb0ES3_jPlPS6_PKS6_NS0_5tupleIJS9_S6_EEENSD_IJSA_SA_EEENS0_18inequality_wrapperIZN2at6native12_GLOBAL__N_124unique_dim_cuda_templateIfEESt5tupleIJNSH_6TensorESM_SM_EERKSM_lbbbEUlllE0_EEPmJS6_EEE10hipError_tPvRmT3_T4_T5_T6_T7_T9_mT8_P12ihipStream_tbDpT10_ENKUlT_T0_E_clISt17integral_constantIbLb1EES1B_IbLb0EEEEDaS17_S18_EUlS17_E_NS1_11comp_targetILNS1_3genE9ELNS1_11target_archE1100ELNS1_3gpuE3ELNS1_3repE0EEENS1_30default_config_static_selectorELNS0_4arch9wavefront6targetE1EEEvT1_
	.p2align	8
	.type	_ZN7rocprim17ROCPRIM_400000_NS6detail17trampoline_kernelINS0_14default_configENS1_25partition_config_selectorILNS1_17partition_subalgoE8ElNS0_10empty_typeEbEEZZNS1_14partition_implILS5_8ELb0ES3_jPlPS6_PKS6_NS0_5tupleIJS9_S6_EEENSD_IJSA_SA_EEENS0_18inequality_wrapperIZN2at6native12_GLOBAL__N_124unique_dim_cuda_templateIfEESt5tupleIJNSH_6TensorESM_SM_EERKSM_lbbbEUlllE0_EEPmJS6_EEE10hipError_tPvRmT3_T4_T5_T6_T7_T9_mT8_P12ihipStream_tbDpT10_ENKUlT_T0_E_clISt17integral_constantIbLb1EES1B_IbLb0EEEEDaS17_S18_EUlS17_E_NS1_11comp_targetILNS1_3genE9ELNS1_11target_archE1100ELNS1_3gpuE3ELNS1_3repE0EEENS1_30default_config_static_selectorELNS0_4arch9wavefront6targetE1EEEvT1_,@function
_ZN7rocprim17ROCPRIM_400000_NS6detail17trampoline_kernelINS0_14default_configENS1_25partition_config_selectorILNS1_17partition_subalgoE8ElNS0_10empty_typeEbEEZZNS1_14partition_implILS5_8ELb0ES3_jPlPS6_PKS6_NS0_5tupleIJS9_S6_EEENSD_IJSA_SA_EEENS0_18inequality_wrapperIZN2at6native12_GLOBAL__N_124unique_dim_cuda_templateIfEESt5tupleIJNSH_6TensorESM_SM_EERKSM_lbbbEUlllE0_EEPmJS6_EEE10hipError_tPvRmT3_T4_T5_T6_T7_T9_mT8_P12ihipStream_tbDpT10_ENKUlT_T0_E_clISt17integral_constantIbLb1EES1B_IbLb0EEEEDaS17_S18_EUlS17_E_NS1_11comp_targetILNS1_3genE9ELNS1_11target_archE1100ELNS1_3gpuE3ELNS1_3repE0EEENS1_30default_config_static_selectorELNS0_4arch9wavefront6targetE1EEEvT1_: ; @_ZN7rocprim17ROCPRIM_400000_NS6detail17trampoline_kernelINS0_14default_configENS1_25partition_config_selectorILNS1_17partition_subalgoE8ElNS0_10empty_typeEbEEZZNS1_14partition_implILS5_8ELb0ES3_jPlPS6_PKS6_NS0_5tupleIJS9_S6_EEENSD_IJSA_SA_EEENS0_18inequality_wrapperIZN2at6native12_GLOBAL__N_124unique_dim_cuda_templateIfEESt5tupleIJNSH_6TensorESM_SM_EERKSM_lbbbEUlllE0_EEPmJS6_EEE10hipError_tPvRmT3_T4_T5_T6_T7_T9_mT8_P12ihipStream_tbDpT10_ENKUlT_T0_E_clISt17integral_constantIbLb1EES1B_IbLb0EEEEDaS17_S18_EUlS17_E_NS1_11comp_targetILNS1_3genE9ELNS1_11target_archE1100ELNS1_3gpuE3ELNS1_3repE0EEENS1_30default_config_static_selectorELNS0_4arch9wavefront6targetE1EEEvT1_
; %bb.0:
	.section	.rodata,"a",@progbits
	.p2align	6, 0x0
	.amdhsa_kernel _ZN7rocprim17ROCPRIM_400000_NS6detail17trampoline_kernelINS0_14default_configENS1_25partition_config_selectorILNS1_17partition_subalgoE8ElNS0_10empty_typeEbEEZZNS1_14partition_implILS5_8ELb0ES3_jPlPS6_PKS6_NS0_5tupleIJS9_S6_EEENSD_IJSA_SA_EEENS0_18inequality_wrapperIZN2at6native12_GLOBAL__N_124unique_dim_cuda_templateIfEESt5tupleIJNSH_6TensorESM_SM_EERKSM_lbbbEUlllE0_EEPmJS6_EEE10hipError_tPvRmT3_T4_T5_T6_T7_T9_mT8_P12ihipStream_tbDpT10_ENKUlT_T0_E_clISt17integral_constantIbLb1EES1B_IbLb0EEEEDaS17_S18_EUlS17_E_NS1_11comp_targetILNS1_3genE9ELNS1_11target_archE1100ELNS1_3gpuE3ELNS1_3repE0EEENS1_30default_config_static_selectorELNS0_4arch9wavefront6targetE1EEEvT1_
		.amdhsa_group_segment_fixed_size 0
		.amdhsa_private_segment_fixed_size 0
		.amdhsa_kernarg_size 120
		.amdhsa_user_sgpr_count 6
		.amdhsa_user_sgpr_private_segment_buffer 1
		.amdhsa_user_sgpr_dispatch_ptr 0
		.amdhsa_user_sgpr_queue_ptr 0
		.amdhsa_user_sgpr_kernarg_segment_ptr 1
		.amdhsa_user_sgpr_dispatch_id 0
		.amdhsa_user_sgpr_flat_scratch_init 0
		.amdhsa_user_sgpr_kernarg_preload_length 0
		.amdhsa_user_sgpr_kernarg_preload_offset 0
		.amdhsa_user_sgpr_private_segment_size 0
		.amdhsa_uses_dynamic_stack 0
		.amdhsa_system_sgpr_private_segment_wavefront_offset 0
		.amdhsa_system_sgpr_workgroup_id_x 1
		.amdhsa_system_sgpr_workgroup_id_y 0
		.amdhsa_system_sgpr_workgroup_id_z 0
		.amdhsa_system_sgpr_workgroup_info 0
		.amdhsa_system_vgpr_workitem_id 0
		.amdhsa_next_free_vgpr 1
		.amdhsa_next_free_sgpr 0
		.amdhsa_accum_offset 4
		.amdhsa_reserve_vcc 0
		.amdhsa_reserve_flat_scratch 0
		.amdhsa_float_round_mode_32 0
		.amdhsa_float_round_mode_16_64 0
		.amdhsa_float_denorm_mode_32 3
		.amdhsa_float_denorm_mode_16_64 3
		.amdhsa_dx10_clamp 1
		.amdhsa_ieee_mode 1
		.amdhsa_fp16_overflow 0
		.amdhsa_tg_split 0
		.amdhsa_exception_fp_ieee_invalid_op 0
		.amdhsa_exception_fp_denorm_src 0
		.amdhsa_exception_fp_ieee_div_zero 0
		.amdhsa_exception_fp_ieee_overflow 0
		.amdhsa_exception_fp_ieee_underflow 0
		.amdhsa_exception_fp_ieee_inexact 0
		.amdhsa_exception_int_div_zero 0
	.end_amdhsa_kernel
	.section	.text._ZN7rocprim17ROCPRIM_400000_NS6detail17trampoline_kernelINS0_14default_configENS1_25partition_config_selectorILNS1_17partition_subalgoE8ElNS0_10empty_typeEbEEZZNS1_14partition_implILS5_8ELb0ES3_jPlPS6_PKS6_NS0_5tupleIJS9_S6_EEENSD_IJSA_SA_EEENS0_18inequality_wrapperIZN2at6native12_GLOBAL__N_124unique_dim_cuda_templateIfEESt5tupleIJNSH_6TensorESM_SM_EERKSM_lbbbEUlllE0_EEPmJS6_EEE10hipError_tPvRmT3_T4_T5_T6_T7_T9_mT8_P12ihipStream_tbDpT10_ENKUlT_T0_E_clISt17integral_constantIbLb1EES1B_IbLb0EEEEDaS17_S18_EUlS17_E_NS1_11comp_targetILNS1_3genE9ELNS1_11target_archE1100ELNS1_3gpuE3ELNS1_3repE0EEENS1_30default_config_static_selectorELNS0_4arch9wavefront6targetE1EEEvT1_,"axG",@progbits,_ZN7rocprim17ROCPRIM_400000_NS6detail17trampoline_kernelINS0_14default_configENS1_25partition_config_selectorILNS1_17partition_subalgoE8ElNS0_10empty_typeEbEEZZNS1_14partition_implILS5_8ELb0ES3_jPlPS6_PKS6_NS0_5tupleIJS9_S6_EEENSD_IJSA_SA_EEENS0_18inequality_wrapperIZN2at6native12_GLOBAL__N_124unique_dim_cuda_templateIfEESt5tupleIJNSH_6TensorESM_SM_EERKSM_lbbbEUlllE0_EEPmJS6_EEE10hipError_tPvRmT3_T4_T5_T6_T7_T9_mT8_P12ihipStream_tbDpT10_ENKUlT_T0_E_clISt17integral_constantIbLb1EES1B_IbLb0EEEEDaS17_S18_EUlS17_E_NS1_11comp_targetILNS1_3genE9ELNS1_11target_archE1100ELNS1_3gpuE3ELNS1_3repE0EEENS1_30default_config_static_selectorELNS0_4arch9wavefront6targetE1EEEvT1_,comdat
.Lfunc_end951:
	.size	_ZN7rocprim17ROCPRIM_400000_NS6detail17trampoline_kernelINS0_14default_configENS1_25partition_config_selectorILNS1_17partition_subalgoE8ElNS0_10empty_typeEbEEZZNS1_14partition_implILS5_8ELb0ES3_jPlPS6_PKS6_NS0_5tupleIJS9_S6_EEENSD_IJSA_SA_EEENS0_18inequality_wrapperIZN2at6native12_GLOBAL__N_124unique_dim_cuda_templateIfEESt5tupleIJNSH_6TensorESM_SM_EERKSM_lbbbEUlllE0_EEPmJS6_EEE10hipError_tPvRmT3_T4_T5_T6_T7_T9_mT8_P12ihipStream_tbDpT10_ENKUlT_T0_E_clISt17integral_constantIbLb1EES1B_IbLb0EEEEDaS17_S18_EUlS17_E_NS1_11comp_targetILNS1_3genE9ELNS1_11target_archE1100ELNS1_3gpuE3ELNS1_3repE0EEENS1_30default_config_static_selectorELNS0_4arch9wavefront6targetE1EEEvT1_, .Lfunc_end951-_ZN7rocprim17ROCPRIM_400000_NS6detail17trampoline_kernelINS0_14default_configENS1_25partition_config_selectorILNS1_17partition_subalgoE8ElNS0_10empty_typeEbEEZZNS1_14partition_implILS5_8ELb0ES3_jPlPS6_PKS6_NS0_5tupleIJS9_S6_EEENSD_IJSA_SA_EEENS0_18inequality_wrapperIZN2at6native12_GLOBAL__N_124unique_dim_cuda_templateIfEESt5tupleIJNSH_6TensorESM_SM_EERKSM_lbbbEUlllE0_EEPmJS6_EEE10hipError_tPvRmT3_T4_T5_T6_T7_T9_mT8_P12ihipStream_tbDpT10_ENKUlT_T0_E_clISt17integral_constantIbLb1EES1B_IbLb0EEEEDaS17_S18_EUlS17_E_NS1_11comp_targetILNS1_3genE9ELNS1_11target_archE1100ELNS1_3gpuE3ELNS1_3repE0EEENS1_30default_config_static_selectorELNS0_4arch9wavefront6targetE1EEEvT1_
                                        ; -- End function
	.section	.AMDGPU.csdata,"",@progbits
; Kernel info:
; codeLenInByte = 0
; NumSgprs: 4
; NumVgprs: 0
; NumAgprs: 0
; TotalNumVgprs: 0
; ScratchSize: 0
; MemoryBound: 0
; FloatMode: 240
; IeeeMode: 1
; LDSByteSize: 0 bytes/workgroup (compile time only)
; SGPRBlocks: 0
; VGPRBlocks: 0
; NumSGPRsForWavesPerEU: 4
; NumVGPRsForWavesPerEU: 1
; AccumOffset: 4
; Occupancy: 8
; WaveLimiterHint : 0
; COMPUTE_PGM_RSRC2:SCRATCH_EN: 0
; COMPUTE_PGM_RSRC2:USER_SGPR: 6
; COMPUTE_PGM_RSRC2:TRAP_HANDLER: 0
; COMPUTE_PGM_RSRC2:TGID_X_EN: 1
; COMPUTE_PGM_RSRC2:TGID_Y_EN: 0
; COMPUTE_PGM_RSRC2:TGID_Z_EN: 0
; COMPUTE_PGM_RSRC2:TIDIG_COMP_CNT: 0
; COMPUTE_PGM_RSRC3_GFX90A:ACCUM_OFFSET: 0
; COMPUTE_PGM_RSRC3_GFX90A:TG_SPLIT: 0
	.section	.text._ZN7rocprim17ROCPRIM_400000_NS6detail17trampoline_kernelINS0_14default_configENS1_25partition_config_selectorILNS1_17partition_subalgoE8ElNS0_10empty_typeEbEEZZNS1_14partition_implILS5_8ELb0ES3_jPlPS6_PKS6_NS0_5tupleIJS9_S6_EEENSD_IJSA_SA_EEENS0_18inequality_wrapperIZN2at6native12_GLOBAL__N_124unique_dim_cuda_templateIfEESt5tupleIJNSH_6TensorESM_SM_EERKSM_lbbbEUlllE0_EEPmJS6_EEE10hipError_tPvRmT3_T4_T5_T6_T7_T9_mT8_P12ihipStream_tbDpT10_ENKUlT_T0_E_clISt17integral_constantIbLb1EES1B_IbLb0EEEEDaS17_S18_EUlS17_E_NS1_11comp_targetILNS1_3genE8ELNS1_11target_archE1030ELNS1_3gpuE2ELNS1_3repE0EEENS1_30default_config_static_selectorELNS0_4arch9wavefront6targetE1EEEvT1_,"axG",@progbits,_ZN7rocprim17ROCPRIM_400000_NS6detail17trampoline_kernelINS0_14default_configENS1_25partition_config_selectorILNS1_17partition_subalgoE8ElNS0_10empty_typeEbEEZZNS1_14partition_implILS5_8ELb0ES3_jPlPS6_PKS6_NS0_5tupleIJS9_S6_EEENSD_IJSA_SA_EEENS0_18inequality_wrapperIZN2at6native12_GLOBAL__N_124unique_dim_cuda_templateIfEESt5tupleIJNSH_6TensorESM_SM_EERKSM_lbbbEUlllE0_EEPmJS6_EEE10hipError_tPvRmT3_T4_T5_T6_T7_T9_mT8_P12ihipStream_tbDpT10_ENKUlT_T0_E_clISt17integral_constantIbLb1EES1B_IbLb0EEEEDaS17_S18_EUlS17_E_NS1_11comp_targetILNS1_3genE8ELNS1_11target_archE1030ELNS1_3gpuE2ELNS1_3repE0EEENS1_30default_config_static_selectorELNS0_4arch9wavefront6targetE1EEEvT1_,comdat
	.globl	_ZN7rocprim17ROCPRIM_400000_NS6detail17trampoline_kernelINS0_14default_configENS1_25partition_config_selectorILNS1_17partition_subalgoE8ElNS0_10empty_typeEbEEZZNS1_14partition_implILS5_8ELb0ES3_jPlPS6_PKS6_NS0_5tupleIJS9_S6_EEENSD_IJSA_SA_EEENS0_18inequality_wrapperIZN2at6native12_GLOBAL__N_124unique_dim_cuda_templateIfEESt5tupleIJNSH_6TensorESM_SM_EERKSM_lbbbEUlllE0_EEPmJS6_EEE10hipError_tPvRmT3_T4_T5_T6_T7_T9_mT8_P12ihipStream_tbDpT10_ENKUlT_T0_E_clISt17integral_constantIbLb1EES1B_IbLb0EEEEDaS17_S18_EUlS17_E_NS1_11comp_targetILNS1_3genE8ELNS1_11target_archE1030ELNS1_3gpuE2ELNS1_3repE0EEENS1_30default_config_static_selectorELNS0_4arch9wavefront6targetE1EEEvT1_ ; -- Begin function _ZN7rocprim17ROCPRIM_400000_NS6detail17trampoline_kernelINS0_14default_configENS1_25partition_config_selectorILNS1_17partition_subalgoE8ElNS0_10empty_typeEbEEZZNS1_14partition_implILS5_8ELb0ES3_jPlPS6_PKS6_NS0_5tupleIJS9_S6_EEENSD_IJSA_SA_EEENS0_18inequality_wrapperIZN2at6native12_GLOBAL__N_124unique_dim_cuda_templateIfEESt5tupleIJNSH_6TensorESM_SM_EERKSM_lbbbEUlllE0_EEPmJS6_EEE10hipError_tPvRmT3_T4_T5_T6_T7_T9_mT8_P12ihipStream_tbDpT10_ENKUlT_T0_E_clISt17integral_constantIbLb1EES1B_IbLb0EEEEDaS17_S18_EUlS17_E_NS1_11comp_targetILNS1_3genE8ELNS1_11target_archE1030ELNS1_3gpuE2ELNS1_3repE0EEENS1_30default_config_static_selectorELNS0_4arch9wavefront6targetE1EEEvT1_
	.p2align	8
	.type	_ZN7rocprim17ROCPRIM_400000_NS6detail17trampoline_kernelINS0_14default_configENS1_25partition_config_selectorILNS1_17partition_subalgoE8ElNS0_10empty_typeEbEEZZNS1_14partition_implILS5_8ELb0ES3_jPlPS6_PKS6_NS0_5tupleIJS9_S6_EEENSD_IJSA_SA_EEENS0_18inequality_wrapperIZN2at6native12_GLOBAL__N_124unique_dim_cuda_templateIfEESt5tupleIJNSH_6TensorESM_SM_EERKSM_lbbbEUlllE0_EEPmJS6_EEE10hipError_tPvRmT3_T4_T5_T6_T7_T9_mT8_P12ihipStream_tbDpT10_ENKUlT_T0_E_clISt17integral_constantIbLb1EES1B_IbLb0EEEEDaS17_S18_EUlS17_E_NS1_11comp_targetILNS1_3genE8ELNS1_11target_archE1030ELNS1_3gpuE2ELNS1_3repE0EEENS1_30default_config_static_selectorELNS0_4arch9wavefront6targetE1EEEvT1_,@function
_ZN7rocprim17ROCPRIM_400000_NS6detail17trampoline_kernelINS0_14default_configENS1_25partition_config_selectorILNS1_17partition_subalgoE8ElNS0_10empty_typeEbEEZZNS1_14partition_implILS5_8ELb0ES3_jPlPS6_PKS6_NS0_5tupleIJS9_S6_EEENSD_IJSA_SA_EEENS0_18inequality_wrapperIZN2at6native12_GLOBAL__N_124unique_dim_cuda_templateIfEESt5tupleIJNSH_6TensorESM_SM_EERKSM_lbbbEUlllE0_EEPmJS6_EEE10hipError_tPvRmT3_T4_T5_T6_T7_T9_mT8_P12ihipStream_tbDpT10_ENKUlT_T0_E_clISt17integral_constantIbLb1EES1B_IbLb0EEEEDaS17_S18_EUlS17_E_NS1_11comp_targetILNS1_3genE8ELNS1_11target_archE1030ELNS1_3gpuE2ELNS1_3repE0EEENS1_30default_config_static_selectorELNS0_4arch9wavefront6targetE1EEEvT1_: ; @_ZN7rocprim17ROCPRIM_400000_NS6detail17trampoline_kernelINS0_14default_configENS1_25partition_config_selectorILNS1_17partition_subalgoE8ElNS0_10empty_typeEbEEZZNS1_14partition_implILS5_8ELb0ES3_jPlPS6_PKS6_NS0_5tupleIJS9_S6_EEENSD_IJSA_SA_EEENS0_18inequality_wrapperIZN2at6native12_GLOBAL__N_124unique_dim_cuda_templateIfEESt5tupleIJNSH_6TensorESM_SM_EERKSM_lbbbEUlllE0_EEPmJS6_EEE10hipError_tPvRmT3_T4_T5_T6_T7_T9_mT8_P12ihipStream_tbDpT10_ENKUlT_T0_E_clISt17integral_constantIbLb1EES1B_IbLb0EEEEDaS17_S18_EUlS17_E_NS1_11comp_targetILNS1_3genE8ELNS1_11target_archE1030ELNS1_3gpuE2ELNS1_3repE0EEENS1_30default_config_static_selectorELNS0_4arch9wavefront6targetE1EEEvT1_
; %bb.0:
	.section	.rodata,"a",@progbits
	.p2align	6, 0x0
	.amdhsa_kernel _ZN7rocprim17ROCPRIM_400000_NS6detail17trampoline_kernelINS0_14default_configENS1_25partition_config_selectorILNS1_17partition_subalgoE8ElNS0_10empty_typeEbEEZZNS1_14partition_implILS5_8ELb0ES3_jPlPS6_PKS6_NS0_5tupleIJS9_S6_EEENSD_IJSA_SA_EEENS0_18inequality_wrapperIZN2at6native12_GLOBAL__N_124unique_dim_cuda_templateIfEESt5tupleIJNSH_6TensorESM_SM_EERKSM_lbbbEUlllE0_EEPmJS6_EEE10hipError_tPvRmT3_T4_T5_T6_T7_T9_mT8_P12ihipStream_tbDpT10_ENKUlT_T0_E_clISt17integral_constantIbLb1EES1B_IbLb0EEEEDaS17_S18_EUlS17_E_NS1_11comp_targetILNS1_3genE8ELNS1_11target_archE1030ELNS1_3gpuE2ELNS1_3repE0EEENS1_30default_config_static_selectorELNS0_4arch9wavefront6targetE1EEEvT1_
		.amdhsa_group_segment_fixed_size 0
		.amdhsa_private_segment_fixed_size 0
		.amdhsa_kernarg_size 120
		.amdhsa_user_sgpr_count 6
		.amdhsa_user_sgpr_private_segment_buffer 1
		.amdhsa_user_sgpr_dispatch_ptr 0
		.amdhsa_user_sgpr_queue_ptr 0
		.amdhsa_user_sgpr_kernarg_segment_ptr 1
		.amdhsa_user_sgpr_dispatch_id 0
		.amdhsa_user_sgpr_flat_scratch_init 0
		.amdhsa_user_sgpr_kernarg_preload_length 0
		.amdhsa_user_sgpr_kernarg_preload_offset 0
		.amdhsa_user_sgpr_private_segment_size 0
		.amdhsa_uses_dynamic_stack 0
		.amdhsa_system_sgpr_private_segment_wavefront_offset 0
		.amdhsa_system_sgpr_workgroup_id_x 1
		.amdhsa_system_sgpr_workgroup_id_y 0
		.amdhsa_system_sgpr_workgroup_id_z 0
		.amdhsa_system_sgpr_workgroup_info 0
		.amdhsa_system_vgpr_workitem_id 0
		.amdhsa_next_free_vgpr 1
		.amdhsa_next_free_sgpr 0
		.amdhsa_accum_offset 4
		.amdhsa_reserve_vcc 0
		.amdhsa_reserve_flat_scratch 0
		.amdhsa_float_round_mode_32 0
		.amdhsa_float_round_mode_16_64 0
		.amdhsa_float_denorm_mode_32 3
		.amdhsa_float_denorm_mode_16_64 3
		.amdhsa_dx10_clamp 1
		.amdhsa_ieee_mode 1
		.amdhsa_fp16_overflow 0
		.amdhsa_tg_split 0
		.amdhsa_exception_fp_ieee_invalid_op 0
		.amdhsa_exception_fp_denorm_src 0
		.amdhsa_exception_fp_ieee_div_zero 0
		.amdhsa_exception_fp_ieee_overflow 0
		.amdhsa_exception_fp_ieee_underflow 0
		.amdhsa_exception_fp_ieee_inexact 0
		.amdhsa_exception_int_div_zero 0
	.end_amdhsa_kernel
	.section	.text._ZN7rocprim17ROCPRIM_400000_NS6detail17trampoline_kernelINS0_14default_configENS1_25partition_config_selectorILNS1_17partition_subalgoE8ElNS0_10empty_typeEbEEZZNS1_14partition_implILS5_8ELb0ES3_jPlPS6_PKS6_NS0_5tupleIJS9_S6_EEENSD_IJSA_SA_EEENS0_18inequality_wrapperIZN2at6native12_GLOBAL__N_124unique_dim_cuda_templateIfEESt5tupleIJNSH_6TensorESM_SM_EERKSM_lbbbEUlllE0_EEPmJS6_EEE10hipError_tPvRmT3_T4_T5_T6_T7_T9_mT8_P12ihipStream_tbDpT10_ENKUlT_T0_E_clISt17integral_constantIbLb1EES1B_IbLb0EEEEDaS17_S18_EUlS17_E_NS1_11comp_targetILNS1_3genE8ELNS1_11target_archE1030ELNS1_3gpuE2ELNS1_3repE0EEENS1_30default_config_static_selectorELNS0_4arch9wavefront6targetE1EEEvT1_,"axG",@progbits,_ZN7rocprim17ROCPRIM_400000_NS6detail17trampoline_kernelINS0_14default_configENS1_25partition_config_selectorILNS1_17partition_subalgoE8ElNS0_10empty_typeEbEEZZNS1_14partition_implILS5_8ELb0ES3_jPlPS6_PKS6_NS0_5tupleIJS9_S6_EEENSD_IJSA_SA_EEENS0_18inequality_wrapperIZN2at6native12_GLOBAL__N_124unique_dim_cuda_templateIfEESt5tupleIJNSH_6TensorESM_SM_EERKSM_lbbbEUlllE0_EEPmJS6_EEE10hipError_tPvRmT3_T4_T5_T6_T7_T9_mT8_P12ihipStream_tbDpT10_ENKUlT_T0_E_clISt17integral_constantIbLb1EES1B_IbLb0EEEEDaS17_S18_EUlS17_E_NS1_11comp_targetILNS1_3genE8ELNS1_11target_archE1030ELNS1_3gpuE2ELNS1_3repE0EEENS1_30default_config_static_selectorELNS0_4arch9wavefront6targetE1EEEvT1_,comdat
.Lfunc_end952:
	.size	_ZN7rocprim17ROCPRIM_400000_NS6detail17trampoline_kernelINS0_14default_configENS1_25partition_config_selectorILNS1_17partition_subalgoE8ElNS0_10empty_typeEbEEZZNS1_14partition_implILS5_8ELb0ES3_jPlPS6_PKS6_NS0_5tupleIJS9_S6_EEENSD_IJSA_SA_EEENS0_18inequality_wrapperIZN2at6native12_GLOBAL__N_124unique_dim_cuda_templateIfEESt5tupleIJNSH_6TensorESM_SM_EERKSM_lbbbEUlllE0_EEPmJS6_EEE10hipError_tPvRmT3_T4_T5_T6_T7_T9_mT8_P12ihipStream_tbDpT10_ENKUlT_T0_E_clISt17integral_constantIbLb1EES1B_IbLb0EEEEDaS17_S18_EUlS17_E_NS1_11comp_targetILNS1_3genE8ELNS1_11target_archE1030ELNS1_3gpuE2ELNS1_3repE0EEENS1_30default_config_static_selectorELNS0_4arch9wavefront6targetE1EEEvT1_, .Lfunc_end952-_ZN7rocprim17ROCPRIM_400000_NS6detail17trampoline_kernelINS0_14default_configENS1_25partition_config_selectorILNS1_17partition_subalgoE8ElNS0_10empty_typeEbEEZZNS1_14partition_implILS5_8ELb0ES3_jPlPS6_PKS6_NS0_5tupleIJS9_S6_EEENSD_IJSA_SA_EEENS0_18inequality_wrapperIZN2at6native12_GLOBAL__N_124unique_dim_cuda_templateIfEESt5tupleIJNSH_6TensorESM_SM_EERKSM_lbbbEUlllE0_EEPmJS6_EEE10hipError_tPvRmT3_T4_T5_T6_T7_T9_mT8_P12ihipStream_tbDpT10_ENKUlT_T0_E_clISt17integral_constantIbLb1EES1B_IbLb0EEEEDaS17_S18_EUlS17_E_NS1_11comp_targetILNS1_3genE8ELNS1_11target_archE1030ELNS1_3gpuE2ELNS1_3repE0EEENS1_30default_config_static_selectorELNS0_4arch9wavefront6targetE1EEEvT1_
                                        ; -- End function
	.section	.AMDGPU.csdata,"",@progbits
; Kernel info:
; codeLenInByte = 0
; NumSgprs: 4
; NumVgprs: 0
; NumAgprs: 0
; TotalNumVgprs: 0
; ScratchSize: 0
; MemoryBound: 0
; FloatMode: 240
; IeeeMode: 1
; LDSByteSize: 0 bytes/workgroup (compile time only)
; SGPRBlocks: 0
; VGPRBlocks: 0
; NumSGPRsForWavesPerEU: 4
; NumVGPRsForWavesPerEU: 1
; AccumOffset: 4
; Occupancy: 8
; WaveLimiterHint : 0
; COMPUTE_PGM_RSRC2:SCRATCH_EN: 0
; COMPUTE_PGM_RSRC2:USER_SGPR: 6
; COMPUTE_PGM_RSRC2:TRAP_HANDLER: 0
; COMPUTE_PGM_RSRC2:TGID_X_EN: 1
; COMPUTE_PGM_RSRC2:TGID_Y_EN: 0
; COMPUTE_PGM_RSRC2:TGID_Z_EN: 0
; COMPUTE_PGM_RSRC2:TIDIG_COMP_CNT: 0
; COMPUTE_PGM_RSRC3_GFX90A:ACCUM_OFFSET: 0
; COMPUTE_PGM_RSRC3_GFX90A:TG_SPLIT: 0
	.section	.text._ZN7rocprim17ROCPRIM_400000_NS6detail17trampoline_kernelINS0_14default_configENS1_25partition_config_selectorILNS1_17partition_subalgoE8ElNS0_10empty_typeEbEEZZNS1_14partition_implILS5_8ELb0ES3_jPlPS6_PKS6_NS0_5tupleIJS9_S6_EEENSD_IJSA_SA_EEENS0_18inequality_wrapperIZN2at6native12_GLOBAL__N_124unique_dim_cuda_templateIfEESt5tupleIJNSH_6TensorESM_SM_EERKSM_lbbbEUlllE0_EEPmJS6_EEE10hipError_tPvRmT3_T4_T5_T6_T7_T9_mT8_P12ihipStream_tbDpT10_ENKUlT_T0_E_clISt17integral_constantIbLb0EES1B_IbLb1EEEEDaS17_S18_EUlS17_E_NS1_11comp_targetILNS1_3genE0ELNS1_11target_archE4294967295ELNS1_3gpuE0ELNS1_3repE0EEENS1_30default_config_static_selectorELNS0_4arch9wavefront6targetE1EEEvT1_,"axG",@progbits,_ZN7rocprim17ROCPRIM_400000_NS6detail17trampoline_kernelINS0_14default_configENS1_25partition_config_selectorILNS1_17partition_subalgoE8ElNS0_10empty_typeEbEEZZNS1_14partition_implILS5_8ELb0ES3_jPlPS6_PKS6_NS0_5tupleIJS9_S6_EEENSD_IJSA_SA_EEENS0_18inequality_wrapperIZN2at6native12_GLOBAL__N_124unique_dim_cuda_templateIfEESt5tupleIJNSH_6TensorESM_SM_EERKSM_lbbbEUlllE0_EEPmJS6_EEE10hipError_tPvRmT3_T4_T5_T6_T7_T9_mT8_P12ihipStream_tbDpT10_ENKUlT_T0_E_clISt17integral_constantIbLb0EES1B_IbLb1EEEEDaS17_S18_EUlS17_E_NS1_11comp_targetILNS1_3genE0ELNS1_11target_archE4294967295ELNS1_3gpuE0ELNS1_3repE0EEENS1_30default_config_static_selectorELNS0_4arch9wavefront6targetE1EEEvT1_,comdat
	.globl	_ZN7rocprim17ROCPRIM_400000_NS6detail17trampoline_kernelINS0_14default_configENS1_25partition_config_selectorILNS1_17partition_subalgoE8ElNS0_10empty_typeEbEEZZNS1_14partition_implILS5_8ELb0ES3_jPlPS6_PKS6_NS0_5tupleIJS9_S6_EEENSD_IJSA_SA_EEENS0_18inequality_wrapperIZN2at6native12_GLOBAL__N_124unique_dim_cuda_templateIfEESt5tupleIJNSH_6TensorESM_SM_EERKSM_lbbbEUlllE0_EEPmJS6_EEE10hipError_tPvRmT3_T4_T5_T6_T7_T9_mT8_P12ihipStream_tbDpT10_ENKUlT_T0_E_clISt17integral_constantIbLb0EES1B_IbLb1EEEEDaS17_S18_EUlS17_E_NS1_11comp_targetILNS1_3genE0ELNS1_11target_archE4294967295ELNS1_3gpuE0ELNS1_3repE0EEENS1_30default_config_static_selectorELNS0_4arch9wavefront6targetE1EEEvT1_ ; -- Begin function _ZN7rocprim17ROCPRIM_400000_NS6detail17trampoline_kernelINS0_14default_configENS1_25partition_config_selectorILNS1_17partition_subalgoE8ElNS0_10empty_typeEbEEZZNS1_14partition_implILS5_8ELb0ES3_jPlPS6_PKS6_NS0_5tupleIJS9_S6_EEENSD_IJSA_SA_EEENS0_18inequality_wrapperIZN2at6native12_GLOBAL__N_124unique_dim_cuda_templateIfEESt5tupleIJNSH_6TensorESM_SM_EERKSM_lbbbEUlllE0_EEPmJS6_EEE10hipError_tPvRmT3_T4_T5_T6_T7_T9_mT8_P12ihipStream_tbDpT10_ENKUlT_T0_E_clISt17integral_constantIbLb0EES1B_IbLb1EEEEDaS17_S18_EUlS17_E_NS1_11comp_targetILNS1_3genE0ELNS1_11target_archE4294967295ELNS1_3gpuE0ELNS1_3repE0EEENS1_30default_config_static_selectorELNS0_4arch9wavefront6targetE1EEEvT1_
	.p2align	8
	.type	_ZN7rocprim17ROCPRIM_400000_NS6detail17trampoline_kernelINS0_14default_configENS1_25partition_config_selectorILNS1_17partition_subalgoE8ElNS0_10empty_typeEbEEZZNS1_14partition_implILS5_8ELb0ES3_jPlPS6_PKS6_NS0_5tupleIJS9_S6_EEENSD_IJSA_SA_EEENS0_18inequality_wrapperIZN2at6native12_GLOBAL__N_124unique_dim_cuda_templateIfEESt5tupleIJNSH_6TensorESM_SM_EERKSM_lbbbEUlllE0_EEPmJS6_EEE10hipError_tPvRmT3_T4_T5_T6_T7_T9_mT8_P12ihipStream_tbDpT10_ENKUlT_T0_E_clISt17integral_constantIbLb0EES1B_IbLb1EEEEDaS17_S18_EUlS17_E_NS1_11comp_targetILNS1_3genE0ELNS1_11target_archE4294967295ELNS1_3gpuE0ELNS1_3repE0EEENS1_30default_config_static_selectorELNS0_4arch9wavefront6targetE1EEEvT1_,@function
_ZN7rocprim17ROCPRIM_400000_NS6detail17trampoline_kernelINS0_14default_configENS1_25partition_config_selectorILNS1_17partition_subalgoE8ElNS0_10empty_typeEbEEZZNS1_14partition_implILS5_8ELb0ES3_jPlPS6_PKS6_NS0_5tupleIJS9_S6_EEENSD_IJSA_SA_EEENS0_18inequality_wrapperIZN2at6native12_GLOBAL__N_124unique_dim_cuda_templateIfEESt5tupleIJNSH_6TensorESM_SM_EERKSM_lbbbEUlllE0_EEPmJS6_EEE10hipError_tPvRmT3_T4_T5_T6_T7_T9_mT8_P12ihipStream_tbDpT10_ENKUlT_T0_E_clISt17integral_constantIbLb0EES1B_IbLb1EEEEDaS17_S18_EUlS17_E_NS1_11comp_targetILNS1_3genE0ELNS1_11target_archE4294967295ELNS1_3gpuE0ELNS1_3repE0EEENS1_30default_config_static_selectorELNS0_4arch9wavefront6targetE1EEEvT1_: ; @_ZN7rocprim17ROCPRIM_400000_NS6detail17trampoline_kernelINS0_14default_configENS1_25partition_config_selectorILNS1_17partition_subalgoE8ElNS0_10empty_typeEbEEZZNS1_14partition_implILS5_8ELb0ES3_jPlPS6_PKS6_NS0_5tupleIJS9_S6_EEENSD_IJSA_SA_EEENS0_18inequality_wrapperIZN2at6native12_GLOBAL__N_124unique_dim_cuda_templateIfEESt5tupleIJNSH_6TensorESM_SM_EERKSM_lbbbEUlllE0_EEPmJS6_EEE10hipError_tPvRmT3_T4_T5_T6_T7_T9_mT8_P12ihipStream_tbDpT10_ENKUlT_T0_E_clISt17integral_constantIbLb0EES1B_IbLb1EEEEDaS17_S18_EUlS17_E_NS1_11comp_targetILNS1_3genE0ELNS1_11target_archE4294967295ELNS1_3gpuE0ELNS1_3repE0EEENS1_30default_config_static_selectorELNS0_4arch9wavefront6targetE1EEEvT1_
; %bb.0:
	.section	.rodata,"a",@progbits
	.p2align	6, 0x0
	.amdhsa_kernel _ZN7rocprim17ROCPRIM_400000_NS6detail17trampoline_kernelINS0_14default_configENS1_25partition_config_selectorILNS1_17partition_subalgoE8ElNS0_10empty_typeEbEEZZNS1_14partition_implILS5_8ELb0ES3_jPlPS6_PKS6_NS0_5tupleIJS9_S6_EEENSD_IJSA_SA_EEENS0_18inequality_wrapperIZN2at6native12_GLOBAL__N_124unique_dim_cuda_templateIfEESt5tupleIJNSH_6TensorESM_SM_EERKSM_lbbbEUlllE0_EEPmJS6_EEE10hipError_tPvRmT3_T4_T5_T6_T7_T9_mT8_P12ihipStream_tbDpT10_ENKUlT_T0_E_clISt17integral_constantIbLb0EES1B_IbLb1EEEEDaS17_S18_EUlS17_E_NS1_11comp_targetILNS1_3genE0ELNS1_11target_archE4294967295ELNS1_3gpuE0ELNS1_3repE0EEENS1_30default_config_static_selectorELNS0_4arch9wavefront6targetE1EEEvT1_
		.amdhsa_group_segment_fixed_size 0
		.amdhsa_private_segment_fixed_size 0
		.amdhsa_kernarg_size 136
		.amdhsa_user_sgpr_count 6
		.amdhsa_user_sgpr_private_segment_buffer 1
		.amdhsa_user_sgpr_dispatch_ptr 0
		.amdhsa_user_sgpr_queue_ptr 0
		.amdhsa_user_sgpr_kernarg_segment_ptr 1
		.amdhsa_user_sgpr_dispatch_id 0
		.amdhsa_user_sgpr_flat_scratch_init 0
		.amdhsa_user_sgpr_kernarg_preload_length 0
		.amdhsa_user_sgpr_kernarg_preload_offset 0
		.amdhsa_user_sgpr_private_segment_size 0
		.amdhsa_uses_dynamic_stack 0
		.amdhsa_system_sgpr_private_segment_wavefront_offset 0
		.amdhsa_system_sgpr_workgroup_id_x 1
		.amdhsa_system_sgpr_workgroup_id_y 0
		.amdhsa_system_sgpr_workgroup_id_z 0
		.amdhsa_system_sgpr_workgroup_info 0
		.amdhsa_system_vgpr_workitem_id 0
		.amdhsa_next_free_vgpr 1
		.amdhsa_next_free_sgpr 0
		.amdhsa_accum_offset 4
		.amdhsa_reserve_vcc 0
		.amdhsa_reserve_flat_scratch 0
		.amdhsa_float_round_mode_32 0
		.amdhsa_float_round_mode_16_64 0
		.amdhsa_float_denorm_mode_32 3
		.amdhsa_float_denorm_mode_16_64 3
		.amdhsa_dx10_clamp 1
		.amdhsa_ieee_mode 1
		.amdhsa_fp16_overflow 0
		.amdhsa_tg_split 0
		.amdhsa_exception_fp_ieee_invalid_op 0
		.amdhsa_exception_fp_denorm_src 0
		.amdhsa_exception_fp_ieee_div_zero 0
		.amdhsa_exception_fp_ieee_overflow 0
		.amdhsa_exception_fp_ieee_underflow 0
		.amdhsa_exception_fp_ieee_inexact 0
		.amdhsa_exception_int_div_zero 0
	.end_amdhsa_kernel
	.section	.text._ZN7rocprim17ROCPRIM_400000_NS6detail17trampoline_kernelINS0_14default_configENS1_25partition_config_selectorILNS1_17partition_subalgoE8ElNS0_10empty_typeEbEEZZNS1_14partition_implILS5_8ELb0ES3_jPlPS6_PKS6_NS0_5tupleIJS9_S6_EEENSD_IJSA_SA_EEENS0_18inequality_wrapperIZN2at6native12_GLOBAL__N_124unique_dim_cuda_templateIfEESt5tupleIJNSH_6TensorESM_SM_EERKSM_lbbbEUlllE0_EEPmJS6_EEE10hipError_tPvRmT3_T4_T5_T6_T7_T9_mT8_P12ihipStream_tbDpT10_ENKUlT_T0_E_clISt17integral_constantIbLb0EES1B_IbLb1EEEEDaS17_S18_EUlS17_E_NS1_11comp_targetILNS1_3genE0ELNS1_11target_archE4294967295ELNS1_3gpuE0ELNS1_3repE0EEENS1_30default_config_static_selectorELNS0_4arch9wavefront6targetE1EEEvT1_,"axG",@progbits,_ZN7rocprim17ROCPRIM_400000_NS6detail17trampoline_kernelINS0_14default_configENS1_25partition_config_selectorILNS1_17partition_subalgoE8ElNS0_10empty_typeEbEEZZNS1_14partition_implILS5_8ELb0ES3_jPlPS6_PKS6_NS0_5tupleIJS9_S6_EEENSD_IJSA_SA_EEENS0_18inequality_wrapperIZN2at6native12_GLOBAL__N_124unique_dim_cuda_templateIfEESt5tupleIJNSH_6TensorESM_SM_EERKSM_lbbbEUlllE0_EEPmJS6_EEE10hipError_tPvRmT3_T4_T5_T6_T7_T9_mT8_P12ihipStream_tbDpT10_ENKUlT_T0_E_clISt17integral_constantIbLb0EES1B_IbLb1EEEEDaS17_S18_EUlS17_E_NS1_11comp_targetILNS1_3genE0ELNS1_11target_archE4294967295ELNS1_3gpuE0ELNS1_3repE0EEENS1_30default_config_static_selectorELNS0_4arch9wavefront6targetE1EEEvT1_,comdat
.Lfunc_end953:
	.size	_ZN7rocprim17ROCPRIM_400000_NS6detail17trampoline_kernelINS0_14default_configENS1_25partition_config_selectorILNS1_17partition_subalgoE8ElNS0_10empty_typeEbEEZZNS1_14partition_implILS5_8ELb0ES3_jPlPS6_PKS6_NS0_5tupleIJS9_S6_EEENSD_IJSA_SA_EEENS0_18inequality_wrapperIZN2at6native12_GLOBAL__N_124unique_dim_cuda_templateIfEESt5tupleIJNSH_6TensorESM_SM_EERKSM_lbbbEUlllE0_EEPmJS6_EEE10hipError_tPvRmT3_T4_T5_T6_T7_T9_mT8_P12ihipStream_tbDpT10_ENKUlT_T0_E_clISt17integral_constantIbLb0EES1B_IbLb1EEEEDaS17_S18_EUlS17_E_NS1_11comp_targetILNS1_3genE0ELNS1_11target_archE4294967295ELNS1_3gpuE0ELNS1_3repE0EEENS1_30default_config_static_selectorELNS0_4arch9wavefront6targetE1EEEvT1_, .Lfunc_end953-_ZN7rocprim17ROCPRIM_400000_NS6detail17trampoline_kernelINS0_14default_configENS1_25partition_config_selectorILNS1_17partition_subalgoE8ElNS0_10empty_typeEbEEZZNS1_14partition_implILS5_8ELb0ES3_jPlPS6_PKS6_NS0_5tupleIJS9_S6_EEENSD_IJSA_SA_EEENS0_18inequality_wrapperIZN2at6native12_GLOBAL__N_124unique_dim_cuda_templateIfEESt5tupleIJNSH_6TensorESM_SM_EERKSM_lbbbEUlllE0_EEPmJS6_EEE10hipError_tPvRmT3_T4_T5_T6_T7_T9_mT8_P12ihipStream_tbDpT10_ENKUlT_T0_E_clISt17integral_constantIbLb0EES1B_IbLb1EEEEDaS17_S18_EUlS17_E_NS1_11comp_targetILNS1_3genE0ELNS1_11target_archE4294967295ELNS1_3gpuE0ELNS1_3repE0EEENS1_30default_config_static_selectorELNS0_4arch9wavefront6targetE1EEEvT1_
                                        ; -- End function
	.section	.AMDGPU.csdata,"",@progbits
; Kernel info:
; codeLenInByte = 0
; NumSgprs: 4
; NumVgprs: 0
; NumAgprs: 0
; TotalNumVgprs: 0
; ScratchSize: 0
; MemoryBound: 0
; FloatMode: 240
; IeeeMode: 1
; LDSByteSize: 0 bytes/workgroup (compile time only)
; SGPRBlocks: 0
; VGPRBlocks: 0
; NumSGPRsForWavesPerEU: 4
; NumVGPRsForWavesPerEU: 1
; AccumOffset: 4
; Occupancy: 8
; WaveLimiterHint : 0
; COMPUTE_PGM_RSRC2:SCRATCH_EN: 0
; COMPUTE_PGM_RSRC2:USER_SGPR: 6
; COMPUTE_PGM_RSRC2:TRAP_HANDLER: 0
; COMPUTE_PGM_RSRC2:TGID_X_EN: 1
; COMPUTE_PGM_RSRC2:TGID_Y_EN: 0
; COMPUTE_PGM_RSRC2:TGID_Z_EN: 0
; COMPUTE_PGM_RSRC2:TIDIG_COMP_CNT: 0
; COMPUTE_PGM_RSRC3_GFX90A:ACCUM_OFFSET: 0
; COMPUTE_PGM_RSRC3_GFX90A:TG_SPLIT: 0
	.section	.text._ZN7rocprim17ROCPRIM_400000_NS6detail17trampoline_kernelINS0_14default_configENS1_25partition_config_selectorILNS1_17partition_subalgoE8ElNS0_10empty_typeEbEEZZNS1_14partition_implILS5_8ELb0ES3_jPlPS6_PKS6_NS0_5tupleIJS9_S6_EEENSD_IJSA_SA_EEENS0_18inequality_wrapperIZN2at6native12_GLOBAL__N_124unique_dim_cuda_templateIfEESt5tupleIJNSH_6TensorESM_SM_EERKSM_lbbbEUlllE0_EEPmJS6_EEE10hipError_tPvRmT3_T4_T5_T6_T7_T9_mT8_P12ihipStream_tbDpT10_ENKUlT_T0_E_clISt17integral_constantIbLb0EES1B_IbLb1EEEEDaS17_S18_EUlS17_E_NS1_11comp_targetILNS1_3genE5ELNS1_11target_archE942ELNS1_3gpuE9ELNS1_3repE0EEENS1_30default_config_static_selectorELNS0_4arch9wavefront6targetE1EEEvT1_,"axG",@progbits,_ZN7rocprim17ROCPRIM_400000_NS6detail17trampoline_kernelINS0_14default_configENS1_25partition_config_selectorILNS1_17partition_subalgoE8ElNS0_10empty_typeEbEEZZNS1_14partition_implILS5_8ELb0ES3_jPlPS6_PKS6_NS0_5tupleIJS9_S6_EEENSD_IJSA_SA_EEENS0_18inequality_wrapperIZN2at6native12_GLOBAL__N_124unique_dim_cuda_templateIfEESt5tupleIJNSH_6TensorESM_SM_EERKSM_lbbbEUlllE0_EEPmJS6_EEE10hipError_tPvRmT3_T4_T5_T6_T7_T9_mT8_P12ihipStream_tbDpT10_ENKUlT_T0_E_clISt17integral_constantIbLb0EES1B_IbLb1EEEEDaS17_S18_EUlS17_E_NS1_11comp_targetILNS1_3genE5ELNS1_11target_archE942ELNS1_3gpuE9ELNS1_3repE0EEENS1_30default_config_static_selectorELNS0_4arch9wavefront6targetE1EEEvT1_,comdat
	.globl	_ZN7rocprim17ROCPRIM_400000_NS6detail17trampoline_kernelINS0_14default_configENS1_25partition_config_selectorILNS1_17partition_subalgoE8ElNS0_10empty_typeEbEEZZNS1_14partition_implILS5_8ELb0ES3_jPlPS6_PKS6_NS0_5tupleIJS9_S6_EEENSD_IJSA_SA_EEENS0_18inequality_wrapperIZN2at6native12_GLOBAL__N_124unique_dim_cuda_templateIfEESt5tupleIJNSH_6TensorESM_SM_EERKSM_lbbbEUlllE0_EEPmJS6_EEE10hipError_tPvRmT3_T4_T5_T6_T7_T9_mT8_P12ihipStream_tbDpT10_ENKUlT_T0_E_clISt17integral_constantIbLb0EES1B_IbLb1EEEEDaS17_S18_EUlS17_E_NS1_11comp_targetILNS1_3genE5ELNS1_11target_archE942ELNS1_3gpuE9ELNS1_3repE0EEENS1_30default_config_static_selectorELNS0_4arch9wavefront6targetE1EEEvT1_ ; -- Begin function _ZN7rocprim17ROCPRIM_400000_NS6detail17trampoline_kernelINS0_14default_configENS1_25partition_config_selectorILNS1_17partition_subalgoE8ElNS0_10empty_typeEbEEZZNS1_14partition_implILS5_8ELb0ES3_jPlPS6_PKS6_NS0_5tupleIJS9_S6_EEENSD_IJSA_SA_EEENS0_18inequality_wrapperIZN2at6native12_GLOBAL__N_124unique_dim_cuda_templateIfEESt5tupleIJNSH_6TensorESM_SM_EERKSM_lbbbEUlllE0_EEPmJS6_EEE10hipError_tPvRmT3_T4_T5_T6_T7_T9_mT8_P12ihipStream_tbDpT10_ENKUlT_T0_E_clISt17integral_constantIbLb0EES1B_IbLb1EEEEDaS17_S18_EUlS17_E_NS1_11comp_targetILNS1_3genE5ELNS1_11target_archE942ELNS1_3gpuE9ELNS1_3repE0EEENS1_30default_config_static_selectorELNS0_4arch9wavefront6targetE1EEEvT1_
	.p2align	8
	.type	_ZN7rocprim17ROCPRIM_400000_NS6detail17trampoline_kernelINS0_14default_configENS1_25partition_config_selectorILNS1_17partition_subalgoE8ElNS0_10empty_typeEbEEZZNS1_14partition_implILS5_8ELb0ES3_jPlPS6_PKS6_NS0_5tupleIJS9_S6_EEENSD_IJSA_SA_EEENS0_18inequality_wrapperIZN2at6native12_GLOBAL__N_124unique_dim_cuda_templateIfEESt5tupleIJNSH_6TensorESM_SM_EERKSM_lbbbEUlllE0_EEPmJS6_EEE10hipError_tPvRmT3_T4_T5_T6_T7_T9_mT8_P12ihipStream_tbDpT10_ENKUlT_T0_E_clISt17integral_constantIbLb0EES1B_IbLb1EEEEDaS17_S18_EUlS17_E_NS1_11comp_targetILNS1_3genE5ELNS1_11target_archE942ELNS1_3gpuE9ELNS1_3repE0EEENS1_30default_config_static_selectorELNS0_4arch9wavefront6targetE1EEEvT1_,@function
_ZN7rocprim17ROCPRIM_400000_NS6detail17trampoline_kernelINS0_14default_configENS1_25partition_config_selectorILNS1_17partition_subalgoE8ElNS0_10empty_typeEbEEZZNS1_14partition_implILS5_8ELb0ES3_jPlPS6_PKS6_NS0_5tupleIJS9_S6_EEENSD_IJSA_SA_EEENS0_18inequality_wrapperIZN2at6native12_GLOBAL__N_124unique_dim_cuda_templateIfEESt5tupleIJNSH_6TensorESM_SM_EERKSM_lbbbEUlllE0_EEPmJS6_EEE10hipError_tPvRmT3_T4_T5_T6_T7_T9_mT8_P12ihipStream_tbDpT10_ENKUlT_T0_E_clISt17integral_constantIbLb0EES1B_IbLb1EEEEDaS17_S18_EUlS17_E_NS1_11comp_targetILNS1_3genE5ELNS1_11target_archE942ELNS1_3gpuE9ELNS1_3repE0EEENS1_30default_config_static_selectorELNS0_4arch9wavefront6targetE1EEEvT1_: ; @_ZN7rocprim17ROCPRIM_400000_NS6detail17trampoline_kernelINS0_14default_configENS1_25partition_config_selectorILNS1_17partition_subalgoE8ElNS0_10empty_typeEbEEZZNS1_14partition_implILS5_8ELb0ES3_jPlPS6_PKS6_NS0_5tupleIJS9_S6_EEENSD_IJSA_SA_EEENS0_18inequality_wrapperIZN2at6native12_GLOBAL__N_124unique_dim_cuda_templateIfEESt5tupleIJNSH_6TensorESM_SM_EERKSM_lbbbEUlllE0_EEPmJS6_EEE10hipError_tPvRmT3_T4_T5_T6_T7_T9_mT8_P12ihipStream_tbDpT10_ENKUlT_T0_E_clISt17integral_constantIbLb0EES1B_IbLb1EEEEDaS17_S18_EUlS17_E_NS1_11comp_targetILNS1_3genE5ELNS1_11target_archE942ELNS1_3gpuE9ELNS1_3repE0EEENS1_30default_config_static_selectorELNS0_4arch9wavefront6targetE1EEEvT1_
; %bb.0:
	.section	.rodata,"a",@progbits
	.p2align	6, 0x0
	.amdhsa_kernel _ZN7rocprim17ROCPRIM_400000_NS6detail17trampoline_kernelINS0_14default_configENS1_25partition_config_selectorILNS1_17partition_subalgoE8ElNS0_10empty_typeEbEEZZNS1_14partition_implILS5_8ELb0ES3_jPlPS6_PKS6_NS0_5tupleIJS9_S6_EEENSD_IJSA_SA_EEENS0_18inequality_wrapperIZN2at6native12_GLOBAL__N_124unique_dim_cuda_templateIfEESt5tupleIJNSH_6TensorESM_SM_EERKSM_lbbbEUlllE0_EEPmJS6_EEE10hipError_tPvRmT3_T4_T5_T6_T7_T9_mT8_P12ihipStream_tbDpT10_ENKUlT_T0_E_clISt17integral_constantIbLb0EES1B_IbLb1EEEEDaS17_S18_EUlS17_E_NS1_11comp_targetILNS1_3genE5ELNS1_11target_archE942ELNS1_3gpuE9ELNS1_3repE0EEENS1_30default_config_static_selectorELNS0_4arch9wavefront6targetE1EEEvT1_
		.amdhsa_group_segment_fixed_size 0
		.amdhsa_private_segment_fixed_size 0
		.amdhsa_kernarg_size 136
		.amdhsa_user_sgpr_count 6
		.amdhsa_user_sgpr_private_segment_buffer 1
		.amdhsa_user_sgpr_dispatch_ptr 0
		.amdhsa_user_sgpr_queue_ptr 0
		.amdhsa_user_sgpr_kernarg_segment_ptr 1
		.amdhsa_user_sgpr_dispatch_id 0
		.amdhsa_user_sgpr_flat_scratch_init 0
		.amdhsa_user_sgpr_kernarg_preload_length 0
		.amdhsa_user_sgpr_kernarg_preload_offset 0
		.amdhsa_user_sgpr_private_segment_size 0
		.amdhsa_uses_dynamic_stack 0
		.amdhsa_system_sgpr_private_segment_wavefront_offset 0
		.amdhsa_system_sgpr_workgroup_id_x 1
		.amdhsa_system_sgpr_workgroup_id_y 0
		.amdhsa_system_sgpr_workgroup_id_z 0
		.amdhsa_system_sgpr_workgroup_info 0
		.amdhsa_system_vgpr_workitem_id 0
		.amdhsa_next_free_vgpr 1
		.amdhsa_next_free_sgpr 0
		.amdhsa_accum_offset 4
		.amdhsa_reserve_vcc 0
		.amdhsa_reserve_flat_scratch 0
		.amdhsa_float_round_mode_32 0
		.amdhsa_float_round_mode_16_64 0
		.amdhsa_float_denorm_mode_32 3
		.amdhsa_float_denorm_mode_16_64 3
		.amdhsa_dx10_clamp 1
		.amdhsa_ieee_mode 1
		.amdhsa_fp16_overflow 0
		.amdhsa_tg_split 0
		.amdhsa_exception_fp_ieee_invalid_op 0
		.amdhsa_exception_fp_denorm_src 0
		.amdhsa_exception_fp_ieee_div_zero 0
		.amdhsa_exception_fp_ieee_overflow 0
		.amdhsa_exception_fp_ieee_underflow 0
		.amdhsa_exception_fp_ieee_inexact 0
		.amdhsa_exception_int_div_zero 0
	.end_amdhsa_kernel
	.section	.text._ZN7rocprim17ROCPRIM_400000_NS6detail17trampoline_kernelINS0_14default_configENS1_25partition_config_selectorILNS1_17partition_subalgoE8ElNS0_10empty_typeEbEEZZNS1_14partition_implILS5_8ELb0ES3_jPlPS6_PKS6_NS0_5tupleIJS9_S6_EEENSD_IJSA_SA_EEENS0_18inequality_wrapperIZN2at6native12_GLOBAL__N_124unique_dim_cuda_templateIfEESt5tupleIJNSH_6TensorESM_SM_EERKSM_lbbbEUlllE0_EEPmJS6_EEE10hipError_tPvRmT3_T4_T5_T6_T7_T9_mT8_P12ihipStream_tbDpT10_ENKUlT_T0_E_clISt17integral_constantIbLb0EES1B_IbLb1EEEEDaS17_S18_EUlS17_E_NS1_11comp_targetILNS1_3genE5ELNS1_11target_archE942ELNS1_3gpuE9ELNS1_3repE0EEENS1_30default_config_static_selectorELNS0_4arch9wavefront6targetE1EEEvT1_,"axG",@progbits,_ZN7rocprim17ROCPRIM_400000_NS6detail17trampoline_kernelINS0_14default_configENS1_25partition_config_selectorILNS1_17partition_subalgoE8ElNS0_10empty_typeEbEEZZNS1_14partition_implILS5_8ELb0ES3_jPlPS6_PKS6_NS0_5tupleIJS9_S6_EEENSD_IJSA_SA_EEENS0_18inequality_wrapperIZN2at6native12_GLOBAL__N_124unique_dim_cuda_templateIfEESt5tupleIJNSH_6TensorESM_SM_EERKSM_lbbbEUlllE0_EEPmJS6_EEE10hipError_tPvRmT3_T4_T5_T6_T7_T9_mT8_P12ihipStream_tbDpT10_ENKUlT_T0_E_clISt17integral_constantIbLb0EES1B_IbLb1EEEEDaS17_S18_EUlS17_E_NS1_11comp_targetILNS1_3genE5ELNS1_11target_archE942ELNS1_3gpuE9ELNS1_3repE0EEENS1_30default_config_static_selectorELNS0_4arch9wavefront6targetE1EEEvT1_,comdat
.Lfunc_end954:
	.size	_ZN7rocprim17ROCPRIM_400000_NS6detail17trampoline_kernelINS0_14default_configENS1_25partition_config_selectorILNS1_17partition_subalgoE8ElNS0_10empty_typeEbEEZZNS1_14partition_implILS5_8ELb0ES3_jPlPS6_PKS6_NS0_5tupleIJS9_S6_EEENSD_IJSA_SA_EEENS0_18inequality_wrapperIZN2at6native12_GLOBAL__N_124unique_dim_cuda_templateIfEESt5tupleIJNSH_6TensorESM_SM_EERKSM_lbbbEUlllE0_EEPmJS6_EEE10hipError_tPvRmT3_T4_T5_T6_T7_T9_mT8_P12ihipStream_tbDpT10_ENKUlT_T0_E_clISt17integral_constantIbLb0EES1B_IbLb1EEEEDaS17_S18_EUlS17_E_NS1_11comp_targetILNS1_3genE5ELNS1_11target_archE942ELNS1_3gpuE9ELNS1_3repE0EEENS1_30default_config_static_selectorELNS0_4arch9wavefront6targetE1EEEvT1_, .Lfunc_end954-_ZN7rocprim17ROCPRIM_400000_NS6detail17trampoline_kernelINS0_14default_configENS1_25partition_config_selectorILNS1_17partition_subalgoE8ElNS0_10empty_typeEbEEZZNS1_14partition_implILS5_8ELb0ES3_jPlPS6_PKS6_NS0_5tupleIJS9_S6_EEENSD_IJSA_SA_EEENS0_18inequality_wrapperIZN2at6native12_GLOBAL__N_124unique_dim_cuda_templateIfEESt5tupleIJNSH_6TensorESM_SM_EERKSM_lbbbEUlllE0_EEPmJS6_EEE10hipError_tPvRmT3_T4_T5_T6_T7_T9_mT8_P12ihipStream_tbDpT10_ENKUlT_T0_E_clISt17integral_constantIbLb0EES1B_IbLb1EEEEDaS17_S18_EUlS17_E_NS1_11comp_targetILNS1_3genE5ELNS1_11target_archE942ELNS1_3gpuE9ELNS1_3repE0EEENS1_30default_config_static_selectorELNS0_4arch9wavefront6targetE1EEEvT1_
                                        ; -- End function
	.section	.AMDGPU.csdata,"",@progbits
; Kernel info:
; codeLenInByte = 0
; NumSgprs: 4
; NumVgprs: 0
; NumAgprs: 0
; TotalNumVgprs: 0
; ScratchSize: 0
; MemoryBound: 0
; FloatMode: 240
; IeeeMode: 1
; LDSByteSize: 0 bytes/workgroup (compile time only)
; SGPRBlocks: 0
; VGPRBlocks: 0
; NumSGPRsForWavesPerEU: 4
; NumVGPRsForWavesPerEU: 1
; AccumOffset: 4
; Occupancy: 8
; WaveLimiterHint : 0
; COMPUTE_PGM_RSRC2:SCRATCH_EN: 0
; COMPUTE_PGM_RSRC2:USER_SGPR: 6
; COMPUTE_PGM_RSRC2:TRAP_HANDLER: 0
; COMPUTE_PGM_RSRC2:TGID_X_EN: 1
; COMPUTE_PGM_RSRC2:TGID_Y_EN: 0
; COMPUTE_PGM_RSRC2:TGID_Z_EN: 0
; COMPUTE_PGM_RSRC2:TIDIG_COMP_CNT: 0
; COMPUTE_PGM_RSRC3_GFX90A:ACCUM_OFFSET: 0
; COMPUTE_PGM_RSRC3_GFX90A:TG_SPLIT: 0
	.section	.text._ZN7rocprim17ROCPRIM_400000_NS6detail17trampoline_kernelINS0_14default_configENS1_25partition_config_selectorILNS1_17partition_subalgoE8ElNS0_10empty_typeEbEEZZNS1_14partition_implILS5_8ELb0ES3_jPlPS6_PKS6_NS0_5tupleIJS9_S6_EEENSD_IJSA_SA_EEENS0_18inequality_wrapperIZN2at6native12_GLOBAL__N_124unique_dim_cuda_templateIfEESt5tupleIJNSH_6TensorESM_SM_EERKSM_lbbbEUlllE0_EEPmJS6_EEE10hipError_tPvRmT3_T4_T5_T6_T7_T9_mT8_P12ihipStream_tbDpT10_ENKUlT_T0_E_clISt17integral_constantIbLb0EES1B_IbLb1EEEEDaS17_S18_EUlS17_E_NS1_11comp_targetILNS1_3genE4ELNS1_11target_archE910ELNS1_3gpuE8ELNS1_3repE0EEENS1_30default_config_static_selectorELNS0_4arch9wavefront6targetE1EEEvT1_,"axG",@progbits,_ZN7rocprim17ROCPRIM_400000_NS6detail17trampoline_kernelINS0_14default_configENS1_25partition_config_selectorILNS1_17partition_subalgoE8ElNS0_10empty_typeEbEEZZNS1_14partition_implILS5_8ELb0ES3_jPlPS6_PKS6_NS0_5tupleIJS9_S6_EEENSD_IJSA_SA_EEENS0_18inequality_wrapperIZN2at6native12_GLOBAL__N_124unique_dim_cuda_templateIfEESt5tupleIJNSH_6TensorESM_SM_EERKSM_lbbbEUlllE0_EEPmJS6_EEE10hipError_tPvRmT3_T4_T5_T6_T7_T9_mT8_P12ihipStream_tbDpT10_ENKUlT_T0_E_clISt17integral_constantIbLb0EES1B_IbLb1EEEEDaS17_S18_EUlS17_E_NS1_11comp_targetILNS1_3genE4ELNS1_11target_archE910ELNS1_3gpuE8ELNS1_3repE0EEENS1_30default_config_static_selectorELNS0_4arch9wavefront6targetE1EEEvT1_,comdat
	.globl	_ZN7rocprim17ROCPRIM_400000_NS6detail17trampoline_kernelINS0_14default_configENS1_25partition_config_selectorILNS1_17partition_subalgoE8ElNS0_10empty_typeEbEEZZNS1_14partition_implILS5_8ELb0ES3_jPlPS6_PKS6_NS0_5tupleIJS9_S6_EEENSD_IJSA_SA_EEENS0_18inequality_wrapperIZN2at6native12_GLOBAL__N_124unique_dim_cuda_templateIfEESt5tupleIJNSH_6TensorESM_SM_EERKSM_lbbbEUlllE0_EEPmJS6_EEE10hipError_tPvRmT3_T4_T5_T6_T7_T9_mT8_P12ihipStream_tbDpT10_ENKUlT_T0_E_clISt17integral_constantIbLb0EES1B_IbLb1EEEEDaS17_S18_EUlS17_E_NS1_11comp_targetILNS1_3genE4ELNS1_11target_archE910ELNS1_3gpuE8ELNS1_3repE0EEENS1_30default_config_static_selectorELNS0_4arch9wavefront6targetE1EEEvT1_ ; -- Begin function _ZN7rocprim17ROCPRIM_400000_NS6detail17trampoline_kernelINS0_14default_configENS1_25partition_config_selectorILNS1_17partition_subalgoE8ElNS0_10empty_typeEbEEZZNS1_14partition_implILS5_8ELb0ES3_jPlPS6_PKS6_NS0_5tupleIJS9_S6_EEENSD_IJSA_SA_EEENS0_18inequality_wrapperIZN2at6native12_GLOBAL__N_124unique_dim_cuda_templateIfEESt5tupleIJNSH_6TensorESM_SM_EERKSM_lbbbEUlllE0_EEPmJS6_EEE10hipError_tPvRmT3_T4_T5_T6_T7_T9_mT8_P12ihipStream_tbDpT10_ENKUlT_T0_E_clISt17integral_constantIbLb0EES1B_IbLb1EEEEDaS17_S18_EUlS17_E_NS1_11comp_targetILNS1_3genE4ELNS1_11target_archE910ELNS1_3gpuE8ELNS1_3repE0EEENS1_30default_config_static_selectorELNS0_4arch9wavefront6targetE1EEEvT1_
	.p2align	8
	.type	_ZN7rocprim17ROCPRIM_400000_NS6detail17trampoline_kernelINS0_14default_configENS1_25partition_config_selectorILNS1_17partition_subalgoE8ElNS0_10empty_typeEbEEZZNS1_14partition_implILS5_8ELb0ES3_jPlPS6_PKS6_NS0_5tupleIJS9_S6_EEENSD_IJSA_SA_EEENS0_18inequality_wrapperIZN2at6native12_GLOBAL__N_124unique_dim_cuda_templateIfEESt5tupleIJNSH_6TensorESM_SM_EERKSM_lbbbEUlllE0_EEPmJS6_EEE10hipError_tPvRmT3_T4_T5_T6_T7_T9_mT8_P12ihipStream_tbDpT10_ENKUlT_T0_E_clISt17integral_constantIbLb0EES1B_IbLb1EEEEDaS17_S18_EUlS17_E_NS1_11comp_targetILNS1_3genE4ELNS1_11target_archE910ELNS1_3gpuE8ELNS1_3repE0EEENS1_30default_config_static_selectorELNS0_4arch9wavefront6targetE1EEEvT1_,@function
_ZN7rocprim17ROCPRIM_400000_NS6detail17trampoline_kernelINS0_14default_configENS1_25partition_config_selectorILNS1_17partition_subalgoE8ElNS0_10empty_typeEbEEZZNS1_14partition_implILS5_8ELb0ES3_jPlPS6_PKS6_NS0_5tupleIJS9_S6_EEENSD_IJSA_SA_EEENS0_18inequality_wrapperIZN2at6native12_GLOBAL__N_124unique_dim_cuda_templateIfEESt5tupleIJNSH_6TensorESM_SM_EERKSM_lbbbEUlllE0_EEPmJS6_EEE10hipError_tPvRmT3_T4_T5_T6_T7_T9_mT8_P12ihipStream_tbDpT10_ENKUlT_T0_E_clISt17integral_constantIbLb0EES1B_IbLb1EEEEDaS17_S18_EUlS17_E_NS1_11comp_targetILNS1_3genE4ELNS1_11target_archE910ELNS1_3gpuE8ELNS1_3repE0EEENS1_30default_config_static_selectorELNS0_4arch9wavefront6targetE1EEEvT1_: ; @_ZN7rocprim17ROCPRIM_400000_NS6detail17trampoline_kernelINS0_14default_configENS1_25partition_config_selectorILNS1_17partition_subalgoE8ElNS0_10empty_typeEbEEZZNS1_14partition_implILS5_8ELb0ES3_jPlPS6_PKS6_NS0_5tupleIJS9_S6_EEENSD_IJSA_SA_EEENS0_18inequality_wrapperIZN2at6native12_GLOBAL__N_124unique_dim_cuda_templateIfEESt5tupleIJNSH_6TensorESM_SM_EERKSM_lbbbEUlllE0_EEPmJS6_EEE10hipError_tPvRmT3_T4_T5_T6_T7_T9_mT8_P12ihipStream_tbDpT10_ENKUlT_T0_E_clISt17integral_constantIbLb0EES1B_IbLb1EEEEDaS17_S18_EUlS17_E_NS1_11comp_targetILNS1_3genE4ELNS1_11target_archE910ELNS1_3gpuE8ELNS1_3repE0EEENS1_30default_config_static_selectorELNS0_4arch9wavefront6targetE1EEEvT1_
; %bb.0:
	s_load_dwordx2 s[28:29], s[4:5], 0x28
	s_load_dwordx8 s[20:27], s[4:5], 0x40
	s_load_dwordx4 s[16:19], s[4:5], 0x60
	v_cmp_ne_u32_e64 s[2:3], 0, v0
	v_cmp_eq_u32_e64 s[0:1], 0, v0
	s_and_saveexec_b64 s[6:7], s[0:1]
	s_cbranch_execz .LBB955_4
; %bb.1:
	s_mov_b64 s[10:11], exec
	v_mbcnt_lo_u32_b32 v1, s10, 0
	v_mbcnt_hi_u32_b32 v1, s11, v1
	v_cmp_eq_u32_e32 vcc, 0, v1
                                        ; implicit-def: $vgpr2
	s_and_saveexec_b64 s[8:9], vcc
	s_cbranch_execz .LBB955_3
; %bb.2:
	s_load_dwordx2 s[12:13], s[4:5], 0x78
	s_bcnt1_i32_b64 s10, s[10:11]
	v_mov_b32_e32 v2, 0
	v_mov_b32_e32 v3, s10
	s_waitcnt lgkmcnt(0)
	global_atomic_add v2, v2, v3, s[12:13] glc
.LBB955_3:
	s_or_b64 exec, exec, s[8:9]
	s_waitcnt vmcnt(0)
	v_readfirstlane_b32 s8, v2
	v_add_u32_e32 v1, s8, v1
	v_mov_b32_e32 v2, 0
	ds_write_b32 v2, v1
.LBB955_4:
	s_or_b64 exec, exec, s[6:7]
	v_mov_b32_e32 v3, 0
	s_load_dwordx4 s[8:11], s[4:5], 0x8
	s_load_dword s12, s[4:5], 0x70
	s_waitcnt lgkmcnt(0)
	s_barrier
	ds_read_b32 v1, v3
	s_waitcnt lgkmcnt(0)
	s_barrier
	global_load_dwordx2 v[4:5], v3, s[22:23]
	s_lshl_b64 s[4:5], s[10:11], 3
	s_mul_i32 s14, s12, 0x500
	s_add_u32 s8, s8, s4
	s_addc_u32 s4, s9, s5
	s_add_i32 s5, s14, s10
	s_add_i32 s12, s12, -1
	s_sub_i32 s48, s24, s5
	v_mov_b32_e32 v8, s4
	s_add_u32 s4, s10, s14
	s_addc_u32 s5, s11, 0
	v_readfirstlane_b32 s33, v1
	v_mov_b32_e32 v6, s24
	v_mov_b32_e32 v7, s25
	s_movk_i32 s13, 0x500
	s_cmp_eq_u32 s33, s12
	v_mul_lo_u32 v2, v1, s13
	v_cmp_ge_u64_e32 vcc, s[4:5], v[6:7]
	s_cselect_b64 s[24:25], -1, 0
	v_lshlrev_b64 v[2:3], 3, v[2:3]
	s_and_b64 s[12:13], vcc, s[24:25]
	v_add_co_u32_e64 v18, s[4:5], s8, v2
	s_xor_b64 s[30:31], s[12:13], -1
	s_mov_b64 s[6:7], -1
	v_addc_co_u32_e64 v19, s[4:5], v8, v3, s[4:5]
	s_and_b64 vcc, exec, s[30:31]
	s_waitcnt vmcnt(0)
	v_readfirstlane_b32 s22, v4
	v_readfirstlane_b32 s23, v5
	s_cbranch_vccz .LBB955_6
; %bb.5:
	v_lshlrev_b32_e32 v1, 3, v0
	v_add_co_u32_e32 v12, vcc, v18, v1
	v_addc_co_u32_e32 v13, vcc, 0, v19, vcc
	v_add_co_u32_e32 v2, vcc, 0x1000, v12
	v_readfirstlane_b32 s4, v18
	v_readfirstlane_b32 s5, v19
	v_addc_co_u32_e32 v3, vcc, 0, v13, vcc
	s_nop 3
	global_load_dwordx2 v[4:5], v1, s[4:5]
	global_load_dwordx2 v[6:7], v1, s[4:5] offset:2048
	global_load_dwordx2 v[8:9], v[2:3], off
	global_load_dwordx2 v[10:11], v[2:3], off offset:2048
	v_add_co_u32_e32 v2, vcc, 0x2000, v12
	v_addc_co_u32_e32 v3, vcc, 0, v13, vcc
	global_load_dwordx2 v[2:3], v[2:3], off
	s_mov_b64 s[6:7], 0
	s_waitcnt vmcnt(3)
	ds_write2st64_b64 v1, v[4:5], v[6:7] offset1:4
	s_waitcnt vmcnt(1)
	ds_write2st64_b64 v1, v[8:9], v[10:11] offset0:8 offset1:12
	s_waitcnt vmcnt(0)
	ds_write_b64 v1, v[2:3] offset:8192
	s_waitcnt lgkmcnt(0)
	s_barrier
.LBB955_6:
	s_andn2_b64 vcc, exec, s[6:7]
	s_addk_i32 s48, 0x500
	s_cbranch_vccnz .LBB955_18
; %bb.7:
	v_cmp_gt_u32_e32 vcc, s48, v0
                                        ; implicit-def: $vgpr2_vgpr3_vgpr4_vgpr5_vgpr6_vgpr7_vgpr8_vgpr9_vgpr10_vgpr11_vgpr12_vgpr13_vgpr14_vgpr15_vgpr16_vgpr17
	s_and_saveexec_b64 s[4:5], vcc
	s_cbranch_execz .LBB955_9
; %bb.8:
	v_lshlrev_b32_e32 v1, 3, v0
	v_readfirstlane_b32 s6, v18
	v_readfirstlane_b32 s7, v19
	s_nop 4
	global_load_dwordx2 v[2:3], v1, s[6:7]
.LBB955_9:
	s_or_b64 exec, exec, s[4:5]
	v_or_b32_e32 v1, 0x100, v0
	v_cmp_gt_u32_e32 vcc, s48, v1
	s_and_saveexec_b64 s[4:5], vcc
	s_cbranch_execz .LBB955_11
; %bb.10:
	v_lshlrev_b32_e32 v1, 3, v0
	v_readfirstlane_b32 s6, v18
	v_readfirstlane_b32 s7, v19
	s_nop 4
	global_load_dwordx2 v[4:5], v1, s[6:7] offset:2048
.LBB955_11:
	s_or_b64 exec, exec, s[4:5]
	v_or_b32_e32 v1, 0x200, v0
	v_cmp_gt_u32_e32 vcc, s48, v1
	s_and_saveexec_b64 s[4:5], vcc
	s_cbranch_execz .LBB955_13
; %bb.12:
	v_lshlrev_b32_e32 v1, 3, v1
	v_readfirstlane_b32 s6, v18
	v_readfirstlane_b32 s7, v19
	s_nop 4
	global_load_dwordx2 v[6:7], v1, s[6:7]
.LBB955_13:
	s_or_b64 exec, exec, s[4:5]
	v_or_b32_e32 v1, 0x300, v0
	v_cmp_gt_u32_e32 vcc, s48, v1
	s_and_saveexec_b64 s[4:5], vcc
	s_cbranch_execz .LBB955_15
; %bb.14:
	v_lshlrev_b32_e32 v1, 3, v1
	v_readfirstlane_b32 s6, v18
	v_readfirstlane_b32 s7, v19
	s_nop 4
	global_load_dwordx2 v[8:9], v1, s[6:7]
.LBB955_15:
	;; [unrolled: 12-line block ×3, first 2 shown]
	s_or_b64 exec, exec, s[4:5]
	v_lshlrev_b32_e32 v1, 3, v0
	s_waitcnt vmcnt(0)
	ds_write2st64_b64 v1, v[2:3], v[4:5] offset1:4
	ds_write2st64_b64 v1, v[6:7], v[8:9] offset0:8 offset1:12
	ds_write_b64 v1, v[10:11] offset:8192
	s_waitcnt lgkmcnt(0)
	s_barrier
.LBB955_18:
	v_mul_u32_u24_e32 v1, 5, v0
	v_lshlrev_b32_e32 v26, 3, v1
	ds_read2_b64 v[6:9], v26 offset1:1
	ds_read2_b64 v[2:5], v26 offset0:2 offset1:3
	ds_read_b64 v[10:11], v26 offset:32
	s_cmp_lg_u32 s33, 0
	s_cselect_b64 s[34:35], -1, 0
	s_cmp_lg_u64 s[10:11], 0
	s_cselect_b64 s[4:5], -1, 0
	s_or_b64 s[4:5], s[4:5], s[34:35]
	v_mad_u32_u24 v24, v0, 5, 1
	v_mad_u32_u24 v22, v0, 5, 2
	;; [unrolled: 1-line block ×4, first 2 shown]
	s_mov_b64 s[14:15], 0
	s_and_b64 vcc, exec, s[4:5]
	v_cmp_gt_i64_e64 s[4:5], s[26:27], 0
	s_waitcnt lgkmcnt(0)
	s_barrier
	s_cbranch_vccz .LBB955_27
; %bb.19:
	global_load_dwordx2 v[14:15], v[18:19], off offset:-8
	v_cndmask_b32_e64 v12, 0, 1, s[4:5]
	v_lshlrev_b32_e32 v27, 3, v0
	s_mov_b64 s[10:11], 0
	s_and_b64 vcc, exec, s[30:31]
	v_cmp_ne_u32_e64 s[4:5], 1, v12
	ds_write_b64 v27, v[10:11]
	s_cbranch_vccz .LBB955_28
; %bb.20:
	v_mul_lo_u32 v16, v5, s26
	v_mul_lo_u32 v17, v4, s27
	v_mad_u64_u32 v[12:13], s[6:7], v4, s26, 0
	v_add3_u32 v13, v13, v17, v16
	s_and_b64 vcc, exec, s[4:5]
	v_lshlrev_b64 v[12:13], 2, v[12:13]
	s_cbranch_vccnz .LBB955_31
; %bb.21:
	v_mul_lo_u32 v18, v11, s26
	v_mul_lo_u32 v19, v10, s27
	v_mad_u64_u32 v[16:17], s[6:7], v10, s26, 0
	v_add3_u32 v17, v17, v19, v18
	v_mov_b32_e32 v19, s17
	v_add_co_u32_e32 v18, vcc, s16, v12
	v_addc_co_u32_e64 v19, s[6:7], v19, v13, vcc
	v_lshlrev_b64 v[16:17], 2, v[16:17]
	v_mov_b32_e32 v21, s17
	v_add_co_u32_e64 v20, s[6:7], s16, v16
	v_addc_co_u32_e64 v21, s[8:9], v21, v17, s[6:7]
	global_load_dword v16, v[18:19], off
	global_load_dword v28, v[20:21], off
	s_mov_b64 s[10:11], -1
	s_waitcnt vmcnt(0)
	v_cmp_eq_f32_e64 s[8:9], v16, v28
	s_and_saveexec_b64 s[14:15], s[8:9]
	s_cbranch_execz .LBB955_30
; %bb.22:
	v_mov_b32_e32 v16, s17
	v_addc_co_u32_e64 v17, s[6:7], v17, v16, s[6:7]
	v_add_co_u32_e64 v16, s[6:7], 4, v20
	v_mov_b32_e32 v19, s17
	v_addc_co_u32_e64 v17, s[6:7], 0, v17, s[6:7]
	v_addc_co_u32_e32 v19, vcc, v13, v19, vcc
	v_add_co_u32_e32 v18, vcc, 4, v18
	s_add_u32 s6, s26, -1
	v_addc_co_u32_e32 v19, vcc, 0, v19, vcc
	s_addc_u32 s7, s27, -1
	s_mov_b64 s[8:9], 0
	s_mov_b64 s[36:37], 0
                                        ; implicit-def: $sgpr10_sgpr11
	s_branch .LBB955_25
.LBB955_23:                             ;   in Loop: Header=BB955_25 Depth=1
	global_load_dword v20, v[18:19], off
	global_load_dword v21, v[16:17], off
	v_add_co_u32_e32 v16, vcc, 4, v16
	v_addc_co_u32_e32 v17, vcc, 0, v17, vcc
	v_add_co_u32_e32 v18, vcc, 4, v18
	v_addc_co_u32_e32 v19, vcc, 0, v19, vcc
	s_add_u32 s36, s36, 1
	s_addc_u32 s37, s37, 0
	s_andn2_b64 s[10:11], s[10:11], exec
	s_waitcnt vmcnt(0)
	v_cmp_neq_f32_e32 vcc, v20, v21
	s_and_b64 s[38:39], vcc, exec
	s_or_b64 s[10:11], s[10:11], s[38:39]
.LBB955_24:                             ;   in Loop: Header=BB955_25 Depth=1
	s_and_b64 s[38:39], exec, s[10:11]
	s_or_b64 s[8:9], s[38:39], s[8:9]
	v_pk_mov_b32 v[20:21], s[36:37], s[36:37] op_sel:[0,1]
	s_andn2_b64 exec, exec, s[8:9]
	s_cbranch_execz .LBB955_29
.LBB955_25:                             ; =>This Inner Loop Header: Depth=1
	s_or_b64 s[10:11], s[10:11], exec
	s_cmp_eq_u64 s[6:7], s[36:37]
	s_cbranch_scc0 .LBB955_23
; %bb.26:                               ;   in Loop: Header=BB955_25 Depth=1
                                        ; implicit-def: $vgpr16_vgpr17
                                        ; implicit-def: $vgpr18_vgpr19
	s_mov_b64 s[36:37], s[26:27]
	s_branch .LBB955_24
.LBB955_27:
                                        ; implicit-def: $sgpr36_sgpr37
                                        ; implicit-def: $vgpr13
                                        ; implicit-def: $vgpr16
	s_branch .LBB955_129
.LBB955_28:
                                        ; implicit-def: $sgpr36_sgpr37
                                        ; implicit-def: $vgpr13
                                        ; implicit-def: $vgpr16
	s_cbranch_execnz .LBB955_70
	s_branch .LBB955_128
.LBB955_29:
	s_or_b64 exec, exec, s[8:9]
	v_cmp_gt_i64_e32 vcc, s[26:27], v[20:21]
	s_orn2_b64 s[10:11], vcc, exec
.LBB955_30:
	s_or_b64 exec, exec, s[14:15]
.LBB955_31:
	v_mul_lo_u32 v18, v3, s26
	v_mul_lo_u32 v19, v2, s27
	v_mad_u64_u32 v[16:17], s[6:7], v2, s26, 0
	v_add3_u32 v17, v17, v19, v18
	s_mov_b64 s[14:15], 0
	s_and_b64 vcc, exec, s[4:5]
	v_lshlrev_b64 v[18:19], 2, v[16:17]
	s_mov_b64 s[36:37], 0
	s_cbranch_vccnz .LBB955_40
; %bb.32:
	v_mov_b32_e32 v17, s17
	v_add_co_u32_e32 v16, vcc, s16, v18
	v_addc_co_u32_e64 v17, s[6:7], v17, v19, vcc
	v_mov_b32_e32 v21, s17
	v_add_co_u32_e64 v20, s[6:7], s16, v12
	v_addc_co_u32_e64 v21, s[8:9], v21, v13, s[6:7]
	global_load_dword v12, v[16:17], off
	global_load_dword v28, v[20:21], off
	s_mov_b64 s[36:37], -1
	s_waitcnt vmcnt(0)
	v_cmp_eq_f32_e64 s[8:9], v12, v28
	s_and_saveexec_b64 s[38:39], s[8:9]
	s_cbranch_execz .LBB955_39
; %bb.33:
	v_mov_b32_e32 v12, s17
	v_addc_co_u32_e64 v13, s[6:7], v13, v12, s[6:7]
	v_add_co_u32_e64 v12, s[6:7], 4, v20
	v_mov_b32_e32 v17, s17
	v_addc_co_u32_e64 v13, s[6:7], 0, v13, s[6:7]
	v_addc_co_u32_e32 v17, vcc, v19, v17, vcc
	v_add_co_u32_e32 v16, vcc, 4, v16
	s_add_u32 s6, s26, -1
	v_addc_co_u32_e32 v17, vcc, 0, v17, vcc
	s_addc_u32 s7, s27, -1
	s_mov_b64 s[8:9], 0
	s_mov_b64 s[40:41], 0
                                        ; implicit-def: $sgpr36_sgpr37
	s_branch .LBB955_36
.LBB955_34:                             ;   in Loop: Header=BB955_36 Depth=1
	global_load_dword v20, v[16:17], off
	global_load_dword v21, v[12:13], off
	v_add_co_u32_e32 v12, vcc, 4, v12
	v_addc_co_u32_e32 v13, vcc, 0, v13, vcc
	v_add_co_u32_e32 v16, vcc, 4, v16
	v_addc_co_u32_e32 v17, vcc, 0, v17, vcc
	s_add_u32 s40, s40, 1
	s_addc_u32 s41, s41, 0
	s_andn2_b64 s[36:37], s[36:37], exec
	s_waitcnt vmcnt(0)
	v_cmp_neq_f32_e32 vcc, v20, v21
	s_and_b64 s[42:43], vcc, exec
	s_or_b64 s[36:37], s[36:37], s[42:43]
.LBB955_35:                             ;   in Loop: Header=BB955_36 Depth=1
	s_and_b64 s[42:43], exec, s[36:37]
	s_or_b64 s[8:9], s[42:43], s[8:9]
	v_pk_mov_b32 v[20:21], s[40:41], s[40:41] op_sel:[0,1]
	s_andn2_b64 exec, exec, s[8:9]
	s_cbranch_execz .LBB955_38
.LBB955_36:                             ; =>This Inner Loop Header: Depth=1
	s_or_b64 s[36:37], s[36:37], exec
	s_cmp_eq_u64 s[6:7], s[40:41]
	s_cbranch_scc0 .LBB955_34
; %bb.37:                               ;   in Loop: Header=BB955_36 Depth=1
                                        ; implicit-def: $vgpr12_vgpr13
                                        ; implicit-def: $vgpr16_vgpr17
	s_mov_b64 s[40:41], s[26:27]
	s_branch .LBB955_35
.LBB955_38:
	s_or_b64 exec, exec, s[8:9]
	v_cmp_gt_i64_e32 vcc, s[26:27], v[20:21]
	s_orn2_b64 s[36:37], vcc, exec
.LBB955_39:
	s_or_b64 exec, exec, s[38:39]
.LBB955_40:
	v_mul_lo_u32 v16, v9, s26
	v_mul_lo_u32 v17, v8, s27
	v_mad_u64_u32 v[12:13], s[6:7], v8, s26, 0
	v_add3_u32 v13, v13, v17, v16
	s_and_b64 vcc, exec, s[4:5]
	v_lshlrev_b64 v[16:17], 2, v[12:13]
	s_cbranch_vccnz .LBB955_49
; %bb.41:
	v_mov_b32_e32 v12, s17
	v_add_co_u32_e32 v20, vcc, s16, v16
	v_addc_co_u32_e64 v21, s[6:7], v12, v17, vcc
	v_mov_b32_e32 v13, s17
	v_add_co_u32_e64 v12, s[6:7], s16, v18
	v_addc_co_u32_e64 v13, s[8:9], v13, v19, s[6:7]
	global_load_dword v18, v[20:21], off
	global_load_dword v28, v[12:13], off
	s_mov_b64 s[14:15], -1
	s_waitcnt vmcnt(0)
	v_cmp_eq_f32_e64 s[8:9], v18, v28
	s_and_saveexec_b64 s[38:39], s[8:9]
	s_cbranch_execz .LBB955_48
; %bb.42:
	v_mov_b32_e32 v13, s17
	v_addc_co_u32_e64 v13, s[6:7], v19, v13, s[6:7]
	v_add_co_u32_e64 v12, s[6:7], 4, v12
	v_mov_b32_e32 v18, s17
	v_addc_co_u32_e64 v13, s[6:7], 0, v13, s[6:7]
	v_addc_co_u32_e32 v19, vcc, v17, v18, vcc
	v_add_co_u32_e32 v18, vcc, 4, v20
	s_add_u32 s6, s26, -1
	v_addc_co_u32_e32 v19, vcc, 0, v19, vcc
	s_addc_u32 s7, s27, -1
	s_mov_b64 s[8:9], 0
	s_mov_b64 s[40:41], 0
                                        ; implicit-def: $sgpr14_sgpr15
	s_branch .LBB955_45
.LBB955_43:                             ;   in Loop: Header=BB955_45 Depth=1
	global_load_dword v20, v[18:19], off
	global_load_dword v21, v[12:13], off
	v_add_co_u32_e32 v12, vcc, 4, v12
	v_addc_co_u32_e32 v13, vcc, 0, v13, vcc
	v_add_co_u32_e32 v18, vcc, 4, v18
	v_addc_co_u32_e32 v19, vcc, 0, v19, vcc
	s_add_u32 s40, s40, 1
	s_addc_u32 s41, s41, 0
	s_andn2_b64 s[14:15], s[14:15], exec
	s_waitcnt vmcnt(0)
	v_cmp_neq_f32_e32 vcc, v20, v21
	s_and_b64 s[42:43], vcc, exec
	s_or_b64 s[14:15], s[14:15], s[42:43]
.LBB955_44:                             ;   in Loop: Header=BB955_45 Depth=1
	s_and_b64 s[42:43], exec, s[14:15]
	s_or_b64 s[8:9], s[42:43], s[8:9]
	v_pk_mov_b32 v[20:21], s[40:41], s[40:41] op_sel:[0,1]
	s_andn2_b64 exec, exec, s[8:9]
	s_cbranch_execz .LBB955_47
.LBB955_45:                             ; =>This Inner Loop Header: Depth=1
	s_or_b64 s[14:15], s[14:15], exec
	s_cmp_eq_u64 s[6:7], s[40:41]
	s_cbranch_scc0 .LBB955_43
; %bb.46:                               ;   in Loop: Header=BB955_45 Depth=1
                                        ; implicit-def: $vgpr12_vgpr13
                                        ; implicit-def: $vgpr18_vgpr19
	s_mov_b64 s[40:41], s[26:27]
	s_branch .LBB955_44
.LBB955_47:
	s_or_b64 exec, exec, s[8:9]
	v_cmp_gt_i64_e32 vcc, s[26:27], v[20:21]
	s_orn2_b64 s[14:15], vcc, exec
.LBB955_48:
	s_or_b64 exec, exec, s[38:39]
.LBB955_49:
	v_mul_lo_u32 v18, v7, s26
	v_mul_lo_u32 v19, v6, s27
	v_mad_u64_u32 v[12:13], s[6:7], v6, s26, 0
	v_add3_u32 v13, v13, v19, v18
	s_mov_b64 s[40:41], 0
	s_and_b64 vcc, exec, s[4:5]
	v_lshlrev_b64 v[12:13], 2, v[12:13]
	s_cbranch_vccnz .LBB955_58
; %bb.50:
	v_mov_b32_e32 v19, s17
	v_add_co_u32_e32 v18, vcc, s16, v12
	v_addc_co_u32_e64 v19, s[6:7], v19, v13, vcc
	v_mov_b32_e32 v21, s17
	v_add_co_u32_e64 v20, s[6:7], s16, v16
	v_addc_co_u32_e64 v21, s[8:9], v21, v17, s[6:7]
	global_load_dword v16, v[18:19], off
	global_load_dword v28, v[20:21], off
	s_mov_b64 s[40:41], -1
	s_waitcnt vmcnt(0)
	v_cmp_eq_f32_e64 s[8:9], v16, v28
	s_and_saveexec_b64 s[38:39], s[8:9]
	s_cbranch_execz .LBB955_57
; %bb.51:
	v_mov_b32_e32 v16, s17
	v_addc_co_u32_e64 v17, s[6:7], v17, v16, s[6:7]
	v_add_co_u32_e64 v16, s[6:7], 4, v20
	v_mov_b32_e32 v19, s17
	v_addc_co_u32_e64 v17, s[6:7], 0, v17, s[6:7]
	v_addc_co_u32_e32 v19, vcc, v13, v19, vcc
	v_add_co_u32_e32 v18, vcc, 4, v18
	s_add_u32 s6, s26, -1
	v_addc_co_u32_e32 v19, vcc, 0, v19, vcc
	s_addc_u32 s7, s27, -1
	s_mov_b64 s[8:9], 0
	s_mov_b64 s[42:43], 0
                                        ; implicit-def: $sgpr40_sgpr41
	s_branch .LBB955_54
.LBB955_52:                             ;   in Loop: Header=BB955_54 Depth=1
	global_load_dword v20, v[18:19], off
	global_load_dword v21, v[16:17], off
	v_add_co_u32_e32 v16, vcc, 4, v16
	v_addc_co_u32_e32 v17, vcc, 0, v17, vcc
	v_add_co_u32_e32 v18, vcc, 4, v18
	v_addc_co_u32_e32 v19, vcc, 0, v19, vcc
	s_add_u32 s42, s42, 1
	s_addc_u32 s43, s43, 0
	s_andn2_b64 s[40:41], s[40:41], exec
	s_waitcnt vmcnt(0)
	v_cmp_neq_f32_e32 vcc, v20, v21
	s_and_b64 s[44:45], vcc, exec
	s_or_b64 s[40:41], s[40:41], s[44:45]
.LBB955_53:                             ;   in Loop: Header=BB955_54 Depth=1
	s_and_b64 s[44:45], exec, s[40:41]
	s_or_b64 s[8:9], s[44:45], s[8:9]
	v_pk_mov_b32 v[20:21], s[42:43], s[42:43] op_sel:[0,1]
	s_andn2_b64 exec, exec, s[8:9]
	s_cbranch_execz .LBB955_56
.LBB955_54:                             ; =>This Inner Loop Header: Depth=1
	s_or_b64 s[40:41], s[40:41], exec
	s_cmp_eq_u64 s[6:7], s[42:43]
	s_cbranch_scc0 .LBB955_52
; %bb.55:                               ;   in Loop: Header=BB955_54 Depth=1
                                        ; implicit-def: $vgpr16_vgpr17
                                        ; implicit-def: $vgpr18_vgpr19
	s_mov_b64 s[42:43], s[26:27]
	s_branch .LBB955_53
.LBB955_56:
	s_or_b64 exec, exec, s[8:9]
	v_cmp_gt_i64_e32 vcc, s[26:27], v[20:21]
	s_orn2_b64 s[40:41], vcc, exec
.LBB955_57:
	s_or_b64 exec, exec, s[38:39]
.LBB955_58:
	s_waitcnt vmcnt(0)
	v_pk_mov_b32 v[16:17], v[14:15], v[14:15] op_sel:[0,1]
	s_waitcnt lgkmcnt(0)
	s_barrier
	s_and_saveexec_b64 s[6:7], s[2:3]
	s_cbranch_execz .LBB955_60
; %bb.59:
	v_add_u32_e32 v16, -8, v27
	ds_read_b64 v[16:17], v16
.LBB955_60:
	s_or_b64 exec, exec, s[6:7]
	v_cndmask_b32_e64 v19, 0, 1, s[36:37]
	v_cndmask_b32_e64 v18, 0, 1, s[14:15]
	;; [unrolled: 1-line block ×3, first 2 shown]
	v_lshlrev_b16_e32 v19, 8, v19
	v_lshlrev_b16_e32 v28, 8, v20
	v_or_b32_sdwa v29, v18, v19 dst_sel:WORD_1 dst_unused:UNUSED_PAD src0_sel:DWORD src1_sel:DWORD
	s_mov_b64 s[14:15], 0
	s_and_b64 vcc, exec, s[4:5]
	s_mov_b64 s[36:37], 0
	s_cbranch_vccnz .LBB955_69
; %bb.61:
	s_waitcnt lgkmcnt(0)
	v_mul_lo_u32 v18, v17, s26
	v_mul_lo_u32 v19, v16, s27
	v_mad_u64_u32 v[16:17], s[6:7], v16, s26, 0
	v_add3_u32 v17, v17, v19, v18
	v_lshlrev_b64 v[16:17], 2, v[16:17]
	v_mov_b32_e32 v19, s17
	v_add_co_u32_e32 v18, vcc, s16, v16
	v_addc_co_u32_e64 v19, s[6:7], v19, v17, vcc
	v_mov_b32_e32 v16, s17
	v_add_co_u32_e64 v20, s[6:7], s16, v12
	v_addc_co_u32_e64 v21, s[8:9], v16, v13, s[6:7]
	global_load_dword v12, v[18:19], off
	global_load_dword v16, v[20:21], off
	s_mov_b64 s[36:37], -1
	s_waitcnt vmcnt(0)
	v_cmp_eq_f32_e64 s[8:9], v12, v16
	s_and_saveexec_b64 s[38:39], s[8:9]
	s_cbranch_execz .LBB955_68
; %bb.62:
	v_mov_b32_e32 v12, s17
	v_addc_co_u32_e64 v13, s[6:7], v13, v12, s[6:7]
	v_add_co_u32_e64 v12, s[6:7], 4, v20
	v_mov_b32_e32 v16, s17
	v_addc_co_u32_e64 v13, s[6:7], 0, v13, s[6:7]
	v_addc_co_u32_e32 v17, vcc, v17, v16, vcc
	v_add_co_u32_e32 v16, vcc, 4, v18
	s_add_u32 s6, s26, -1
	v_addc_co_u32_e32 v17, vcc, 0, v17, vcc
	s_addc_u32 s7, s27, -1
	s_mov_b64 s[8:9], 0
	s_mov_b64 s[40:41], 0
                                        ; implicit-def: $sgpr36_sgpr37
	s_branch .LBB955_65
.LBB955_63:                             ;   in Loop: Header=BB955_65 Depth=1
	global_load_dword v18, v[16:17], off
	global_load_dword v19, v[12:13], off
	v_add_co_u32_e32 v12, vcc, 4, v12
	v_addc_co_u32_e32 v13, vcc, 0, v13, vcc
	v_add_co_u32_e32 v16, vcc, 4, v16
	v_addc_co_u32_e32 v17, vcc, 0, v17, vcc
	s_add_u32 s40, s40, 1
	s_addc_u32 s41, s41, 0
	s_andn2_b64 s[36:37], s[36:37], exec
	s_waitcnt vmcnt(0)
	v_cmp_neq_f32_e32 vcc, v18, v19
	s_and_b64 s[42:43], vcc, exec
	s_or_b64 s[36:37], s[36:37], s[42:43]
.LBB955_64:                             ;   in Loop: Header=BB955_65 Depth=1
	s_and_b64 s[42:43], exec, s[36:37]
	s_or_b64 s[8:9], s[42:43], s[8:9]
	v_pk_mov_b32 v[18:19], s[40:41], s[40:41] op_sel:[0,1]
	s_andn2_b64 exec, exec, s[8:9]
	s_cbranch_execz .LBB955_67
.LBB955_65:                             ; =>This Inner Loop Header: Depth=1
	s_or_b64 s[36:37], s[36:37], exec
	s_cmp_eq_u64 s[6:7], s[40:41]
	s_cbranch_scc0 .LBB955_63
; %bb.66:                               ;   in Loop: Header=BB955_65 Depth=1
                                        ; implicit-def: $vgpr12_vgpr13
                                        ; implicit-def: $vgpr16_vgpr17
	s_mov_b64 s[40:41], s[26:27]
	s_branch .LBB955_64
.LBB955_67:
	s_or_b64 exec, exec, s[8:9]
	v_cmp_gt_i64_e32 vcc, s[26:27], v[18:19]
	s_orn2_b64 s[36:37], vcc, exec
.LBB955_68:
	s_or_b64 exec, exec, s[38:39]
.LBB955_69:
	v_cndmask_b32_e64 v13, 0, 1, s[10:11]
	s_waitcnt lgkmcnt(0)
	v_or_b32_e32 v16, v28, v29
	s_and_b64 vcc, exec, s[14:15]
	s_cbranch_vccz .LBB955_128
.LBB955_70:
	v_cmp_gt_u32_e32 vcc, s48, v23
	s_mov_b64 s[14:15], 0
	s_mov_b64 s[10:11], 0
	s_and_saveexec_b64 s[36:37], vcc
	s_cbranch_execz .LBB955_81
; %bb.71:
	s_and_b64 vcc, exec, s[4:5]
	s_mov_b64 s[38:39], 0
	s_cbranch_vccnz .LBB955_80
; %bb.72:
	v_mul_lo_u32 v16, v5, s26
	v_mul_lo_u32 v17, v4, s27
	v_mad_u64_u32 v[12:13], s[6:7], v4, s26, 0
	v_add3_u32 v13, v13, v17, v16
	v_mul_lo_u32 v16, v11, s26
	v_mul_lo_u32 v17, v10, s27
	v_mad_u64_u32 v[20:21], s[6:7], v10, s26, 0
	v_add3_u32 v21, v21, v17, v16
	v_lshlrev_b64 v[16:17], 2, v[12:13]
	v_mov_b32_e32 v12, s17
	v_add_co_u32_e32 v18, vcc, s16, v16
	v_addc_co_u32_e64 v19, s[6:7], v12, v17, vcc
	v_lshlrev_b64 v[12:13], 2, v[20:21]
	v_mov_b32_e32 v16, s17
	v_add_co_u32_e64 v20, s[6:7], s16, v12
	v_addc_co_u32_e64 v21, s[8:9], v16, v13, s[6:7]
	global_load_dword v12, v[18:19], off
	global_load_dword v16, v[20:21], off
	s_mov_b64 s[38:39], -1
	s_waitcnt vmcnt(0)
	v_cmp_eq_f32_e64 s[8:9], v12, v16
	s_and_saveexec_b64 s[10:11], s[8:9]
	s_cbranch_execz .LBB955_79
; %bb.73:
	v_mov_b32_e32 v12, s17
	v_addc_co_u32_e64 v13, s[6:7], v13, v12, s[6:7]
	v_add_co_u32_e64 v12, s[6:7], 4, v20
	v_mov_b32_e32 v16, s17
	v_addc_co_u32_e64 v13, s[6:7], 0, v13, s[6:7]
	v_addc_co_u32_e32 v17, vcc, v17, v16, vcc
	v_add_co_u32_e32 v16, vcc, 4, v18
	s_add_u32 s6, s26, -1
	v_addc_co_u32_e32 v17, vcc, 0, v17, vcc
	s_addc_u32 s7, s27, -1
	s_mov_b64 s[8:9], 0
	s_mov_b64 s[40:41], 0
                                        ; implicit-def: $sgpr38_sgpr39
	s_branch .LBB955_76
.LBB955_74:                             ;   in Loop: Header=BB955_76 Depth=1
	global_load_dword v18, v[16:17], off
	global_load_dword v19, v[12:13], off
	v_add_co_u32_e32 v12, vcc, 4, v12
	v_addc_co_u32_e32 v13, vcc, 0, v13, vcc
	v_add_co_u32_e32 v16, vcc, 4, v16
	v_addc_co_u32_e32 v17, vcc, 0, v17, vcc
	s_add_u32 s40, s40, 1
	s_addc_u32 s41, s41, 0
	s_andn2_b64 s[38:39], s[38:39], exec
	s_waitcnt vmcnt(0)
	v_cmp_neq_f32_e32 vcc, v18, v19
	s_and_b64 s[42:43], vcc, exec
	s_or_b64 s[38:39], s[38:39], s[42:43]
.LBB955_75:                             ;   in Loop: Header=BB955_76 Depth=1
	s_and_b64 s[42:43], exec, s[38:39]
	s_or_b64 s[8:9], s[42:43], s[8:9]
	v_pk_mov_b32 v[18:19], s[40:41], s[40:41] op_sel:[0,1]
	s_andn2_b64 exec, exec, s[8:9]
	s_cbranch_execz .LBB955_78
.LBB955_76:                             ; =>This Inner Loop Header: Depth=1
	s_or_b64 s[38:39], s[38:39], exec
	s_cmp_eq_u64 s[6:7], s[40:41]
	s_cbranch_scc0 .LBB955_74
; %bb.77:                               ;   in Loop: Header=BB955_76 Depth=1
                                        ; implicit-def: $vgpr12_vgpr13
                                        ; implicit-def: $vgpr16_vgpr17
	s_mov_b64 s[40:41], s[26:27]
	s_branch .LBB955_75
.LBB955_78:
	s_or_b64 exec, exec, s[8:9]
	v_cmp_gt_i64_e32 vcc, s[26:27], v[18:19]
	s_orn2_b64 s[38:39], vcc, exec
.LBB955_79:
	s_or_b64 exec, exec, s[10:11]
.LBB955_80:
	s_and_b64 s[10:11], s[38:39], exec
.LBB955_81:
	s_or_b64 exec, exec, s[36:37]
	v_cmp_gt_u32_e32 vcc, s48, v25
	s_and_saveexec_b64 s[36:37], vcc
	s_cbranch_execz .LBB955_92
; %bb.82:
	s_and_b64 vcc, exec, s[4:5]
	s_mov_b64 s[38:39], 0
	s_cbranch_vccnz .LBB955_91
; %bb.83:
	v_mul_lo_u32 v16, v3, s26
	v_mul_lo_u32 v17, v2, s27
	v_mad_u64_u32 v[12:13], s[6:7], v2, s26, 0
	v_add3_u32 v13, v13, v17, v16
	v_mul_lo_u32 v16, v5, s26
	v_mul_lo_u32 v17, v4, s27
	v_mad_u64_u32 v[20:21], s[6:7], v4, s26, 0
	v_add3_u32 v21, v21, v17, v16
	v_lshlrev_b64 v[16:17], 2, v[12:13]
	v_mov_b32_e32 v12, s17
	v_add_co_u32_e32 v18, vcc, s16, v16
	v_addc_co_u32_e64 v19, s[6:7], v12, v17, vcc
	v_lshlrev_b64 v[12:13], 2, v[20:21]
	v_mov_b32_e32 v16, s17
	v_add_co_u32_e64 v20, s[6:7], s16, v12
	v_addc_co_u32_e64 v21, s[8:9], v16, v13, s[6:7]
	global_load_dword v12, v[18:19], off
	global_load_dword v16, v[20:21], off
	s_mov_b64 s[38:39], -1
	s_waitcnt vmcnt(0)
	v_cmp_eq_f32_e64 s[8:9], v12, v16
	s_and_saveexec_b64 s[14:15], s[8:9]
	s_cbranch_execz .LBB955_90
; %bb.84:
	v_mov_b32_e32 v12, s17
	v_addc_co_u32_e64 v13, s[6:7], v13, v12, s[6:7]
	v_add_co_u32_e64 v12, s[6:7], 4, v20
	v_mov_b32_e32 v16, s17
	v_addc_co_u32_e64 v13, s[6:7], 0, v13, s[6:7]
	v_addc_co_u32_e32 v17, vcc, v17, v16, vcc
	v_add_co_u32_e32 v16, vcc, 4, v18
	s_add_u32 s6, s26, -1
	v_addc_co_u32_e32 v17, vcc, 0, v17, vcc
	s_addc_u32 s7, s27, -1
	s_mov_b64 s[8:9], 0
	s_mov_b64 s[40:41], 0
                                        ; implicit-def: $sgpr38_sgpr39
	s_branch .LBB955_87
.LBB955_85:                             ;   in Loop: Header=BB955_87 Depth=1
	global_load_dword v18, v[16:17], off
	global_load_dword v19, v[12:13], off
	v_add_co_u32_e32 v12, vcc, 4, v12
	v_addc_co_u32_e32 v13, vcc, 0, v13, vcc
	v_add_co_u32_e32 v16, vcc, 4, v16
	v_addc_co_u32_e32 v17, vcc, 0, v17, vcc
	s_add_u32 s40, s40, 1
	s_addc_u32 s41, s41, 0
	s_andn2_b64 s[38:39], s[38:39], exec
	s_waitcnt vmcnt(0)
	v_cmp_neq_f32_e32 vcc, v18, v19
	s_and_b64 s[42:43], vcc, exec
	s_or_b64 s[38:39], s[38:39], s[42:43]
.LBB955_86:                             ;   in Loop: Header=BB955_87 Depth=1
	s_and_b64 s[42:43], exec, s[38:39]
	s_or_b64 s[8:9], s[42:43], s[8:9]
	v_pk_mov_b32 v[18:19], s[40:41], s[40:41] op_sel:[0,1]
	s_andn2_b64 exec, exec, s[8:9]
	s_cbranch_execz .LBB955_89
.LBB955_87:                             ; =>This Inner Loop Header: Depth=1
	s_or_b64 s[38:39], s[38:39], exec
	s_cmp_eq_u64 s[6:7], s[40:41]
	s_cbranch_scc0 .LBB955_85
; %bb.88:                               ;   in Loop: Header=BB955_87 Depth=1
                                        ; implicit-def: $vgpr12_vgpr13
                                        ; implicit-def: $vgpr16_vgpr17
	s_mov_b64 s[40:41], s[26:27]
	s_branch .LBB955_86
.LBB955_89:
	s_or_b64 exec, exec, s[8:9]
	v_cmp_gt_i64_e32 vcc, s[26:27], v[18:19]
	s_orn2_b64 s[38:39], vcc, exec
.LBB955_90:
	s_or_b64 exec, exec, s[14:15]
.LBB955_91:
	s_and_b64 s[14:15], s[38:39], exec
.LBB955_92:
	s_or_b64 exec, exec, s[36:37]
	v_cmp_gt_u32_e32 vcc, s48, v22
	s_mov_b64 s[36:37], 0
	s_mov_b64 s[38:39], 0
	s_and_saveexec_b64 s[40:41], vcc
	s_cbranch_execz .LBB955_103
; %bb.93:
	s_and_b64 vcc, exec, s[4:5]
	s_mov_b64 s[42:43], 0
	s_cbranch_vccnz .LBB955_102
; %bb.94:
	v_mul_lo_u32 v16, v9, s26
	v_mul_lo_u32 v17, v8, s27
	v_mad_u64_u32 v[12:13], s[6:7], v8, s26, 0
	v_add3_u32 v13, v13, v17, v16
	v_mul_lo_u32 v16, v3, s26
	v_mul_lo_u32 v17, v2, s27
	v_mad_u64_u32 v[20:21], s[6:7], v2, s26, 0
	v_add3_u32 v21, v21, v17, v16
	v_lshlrev_b64 v[16:17], 2, v[12:13]
	v_mov_b32_e32 v12, s17
	v_add_co_u32_e32 v18, vcc, s16, v16
	v_addc_co_u32_e64 v19, s[6:7], v12, v17, vcc
	v_lshlrev_b64 v[12:13], 2, v[20:21]
	v_mov_b32_e32 v16, s17
	v_add_co_u32_e64 v20, s[6:7], s16, v12
	v_addc_co_u32_e64 v21, s[8:9], v16, v13, s[6:7]
	global_load_dword v12, v[18:19], off
	global_load_dword v16, v[20:21], off
	s_mov_b64 s[42:43], -1
	s_waitcnt vmcnt(0)
	v_cmp_eq_f32_e64 s[8:9], v12, v16
	s_and_saveexec_b64 s[38:39], s[8:9]
	s_cbranch_execz .LBB955_101
; %bb.95:
	v_mov_b32_e32 v12, s17
	v_addc_co_u32_e64 v13, s[6:7], v13, v12, s[6:7]
	v_add_co_u32_e64 v12, s[6:7], 4, v20
	v_mov_b32_e32 v16, s17
	v_addc_co_u32_e64 v13, s[6:7], 0, v13, s[6:7]
	v_addc_co_u32_e32 v17, vcc, v17, v16, vcc
	v_add_co_u32_e32 v16, vcc, 4, v18
	s_add_u32 s6, s26, -1
	v_addc_co_u32_e32 v17, vcc, 0, v17, vcc
	s_addc_u32 s7, s27, -1
	s_mov_b64 s[8:9], 0
	s_mov_b64 s[44:45], 0
                                        ; implicit-def: $sgpr42_sgpr43
	s_branch .LBB955_98
.LBB955_96:                             ;   in Loop: Header=BB955_98 Depth=1
	global_load_dword v18, v[16:17], off
	global_load_dword v19, v[12:13], off
	v_add_co_u32_e32 v12, vcc, 4, v12
	v_addc_co_u32_e32 v13, vcc, 0, v13, vcc
	v_add_co_u32_e32 v16, vcc, 4, v16
	v_addc_co_u32_e32 v17, vcc, 0, v17, vcc
	s_add_u32 s44, s44, 1
	s_addc_u32 s45, s45, 0
	s_andn2_b64 s[42:43], s[42:43], exec
	s_waitcnt vmcnt(0)
	v_cmp_neq_f32_e32 vcc, v18, v19
	s_and_b64 s[46:47], vcc, exec
	s_or_b64 s[42:43], s[42:43], s[46:47]
.LBB955_97:                             ;   in Loop: Header=BB955_98 Depth=1
	s_and_b64 s[46:47], exec, s[42:43]
	s_or_b64 s[8:9], s[46:47], s[8:9]
	v_pk_mov_b32 v[18:19], s[44:45], s[44:45] op_sel:[0,1]
	s_andn2_b64 exec, exec, s[8:9]
	s_cbranch_execz .LBB955_100
.LBB955_98:                             ; =>This Inner Loop Header: Depth=1
	s_or_b64 s[42:43], s[42:43], exec
	s_cmp_eq_u64 s[6:7], s[44:45]
	s_cbranch_scc0 .LBB955_96
; %bb.99:                               ;   in Loop: Header=BB955_98 Depth=1
                                        ; implicit-def: $vgpr12_vgpr13
                                        ; implicit-def: $vgpr16_vgpr17
	s_mov_b64 s[44:45], s[26:27]
	s_branch .LBB955_97
.LBB955_100:
	s_or_b64 exec, exec, s[8:9]
	v_cmp_gt_i64_e32 vcc, s[26:27], v[18:19]
	s_orn2_b64 s[42:43], vcc, exec
.LBB955_101:
	s_or_b64 exec, exec, s[38:39]
.LBB955_102:
	s_and_b64 s[38:39], s[42:43], exec
.LBB955_103:
	s_or_b64 exec, exec, s[40:41]
	v_cmp_gt_u32_e32 vcc, s48, v24
	s_and_saveexec_b64 s[40:41], vcc
	s_cbranch_execz .LBB955_114
; %bb.104:
	s_and_b64 vcc, exec, s[4:5]
	s_mov_b64 s[42:43], 0
	s_cbranch_vccnz .LBB955_113
; %bb.105:
	v_mul_lo_u32 v16, v7, s26
	v_mul_lo_u32 v17, v6, s27
	v_mad_u64_u32 v[12:13], s[6:7], v6, s26, 0
	v_add3_u32 v13, v13, v17, v16
	v_mul_lo_u32 v16, v9, s26
	v_mul_lo_u32 v17, v8, s27
	v_mad_u64_u32 v[20:21], s[6:7], v8, s26, 0
	v_add3_u32 v21, v21, v17, v16
	v_lshlrev_b64 v[16:17], 2, v[12:13]
	v_mov_b32_e32 v12, s17
	v_add_co_u32_e32 v18, vcc, s16, v16
	v_addc_co_u32_e64 v19, s[6:7], v12, v17, vcc
	v_lshlrev_b64 v[12:13], 2, v[20:21]
	v_mov_b32_e32 v16, s17
	v_add_co_u32_e64 v20, s[6:7], s16, v12
	v_addc_co_u32_e64 v21, s[8:9], v16, v13, s[6:7]
	global_load_dword v12, v[18:19], off
	global_load_dword v16, v[20:21], off
	s_mov_b64 s[42:43], -1
	s_waitcnt vmcnt(0)
	v_cmp_eq_f32_e64 s[8:9], v12, v16
	s_and_saveexec_b64 s[36:37], s[8:9]
	s_cbranch_execz .LBB955_112
; %bb.106:
	v_mov_b32_e32 v12, s17
	v_addc_co_u32_e64 v13, s[6:7], v13, v12, s[6:7]
	v_add_co_u32_e64 v12, s[6:7], 4, v20
	v_mov_b32_e32 v16, s17
	v_addc_co_u32_e64 v13, s[6:7], 0, v13, s[6:7]
	v_addc_co_u32_e32 v17, vcc, v17, v16, vcc
	v_add_co_u32_e32 v16, vcc, 4, v18
	s_add_u32 s6, s26, -1
	v_addc_co_u32_e32 v17, vcc, 0, v17, vcc
	s_addc_u32 s7, s27, -1
	s_mov_b64 s[8:9], 0
	s_mov_b64 s[44:45], 0
                                        ; implicit-def: $sgpr42_sgpr43
	s_branch .LBB955_109
.LBB955_107:                            ;   in Loop: Header=BB955_109 Depth=1
	global_load_dword v18, v[16:17], off
	global_load_dword v19, v[12:13], off
	v_add_co_u32_e32 v12, vcc, 4, v12
	v_addc_co_u32_e32 v13, vcc, 0, v13, vcc
	v_add_co_u32_e32 v16, vcc, 4, v16
	v_addc_co_u32_e32 v17, vcc, 0, v17, vcc
	s_add_u32 s44, s44, 1
	s_addc_u32 s45, s45, 0
	s_andn2_b64 s[42:43], s[42:43], exec
	s_waitcnt vmcnt(0)
	v_cmp_neq_f32_e32 vcc, v18, v19
	s_and_b64 s[46:47], vcc, exec
	s_or_b64 s[42:43], s[42:43], s[46:47]
.LBB955_108:                            ;   in Loop: Header=BB955_109 Depth=1
	s_and_b64 s[46:47], exec, s[42:43]
	s_or_b64 s[8:9], s[46:47], s[8:9]
	v_pk_mov_b32 v[18:19], s[44:45], s[44:45] op_sel:[0,1]
	s_andn2_b64 exec, exec, s[8:9]
	s_cbranch_execz .LBB955_111
.LBB955_109:                            ; =>This Inner Loop Header: Depth=1
	s_or_b64 s[42:43], s[42:43], exec
	s_cmp_eq_u64 s[6:7], s[44:45]
	s_cbranch_scc0 .LBB955_107
; %bb.110:                              ;   in Loop: Header=BB955_109 Depth=1
                                        ; implicit-def: $vgpr12_vgpr13
                                        ; implicit-def: $vgpr16_vgpr17
	s_mov_b64 s[44:45], s[26:27]
	s_branch .LBB955_108
.LBB955_111:
	s_or_b64 exec, exec, s[8:9]
	v_cmp_gt_i64_e32 vcc, s[26:27], v[18:19]
	s_orn2_b64 s[42:43], vcc, exec
.LBB955_112:
	s_or_b64 exec, exec, s[36:37]
.LBB955_113:
	s_and_b64 s[36:37], s[42:43], exec
.LBB955_114:
	s_or_b64 exec, exec, s[40:41]
	s_waitcnt lgkmcnt(0)
	s_barrier
	s_and_saveexec_b64 s[6:7], s[2:3]
	s_cbranch_execz .LBB955_116
; %bb.115:
	v_add_u32_e32 v12, -8, v27
	s_waitcnt vmcnt(0)
	ds_read_b64 v[14:15], v12
.LBB955_116:
	s_or_b64 exec, exec, s[6:7]
	v_cndmask_b32_e64 v13, 0, 1, s[14:15]
	v_cndmask_b32_e64 v12, 0, 1, s[38:39]
	v_cndmask_b32_e64 v16, 0, 1, s[36:37]
	v_lshlrev_b16_e32 v13, 8, v13
	v_cmp_gt_u32_e32 vcc, s48, v1
	v_lshlrev_b16_e32 v20, 8, v16
	v_or_b32_sdwa v21, v12, v13 dst_sel:WORD_1 dst_unused:UNUSED_PAD src0_sel:DWORD src1_sel:DWORD
	s_mov_b64 s[36:37], 0
	s_and_saveexec_b64 s[8:9], vcc
	s_cbranch_execz .LBB955_127
; %bb.117:
	s_and_b64 vcc, exec, s[4:5]
	s_cbranch_vccnz .LBB955_126
; %bb.118:
	s_waitcnt vmcnt(0) lgkmcnt(0)
	v_mul_lo_u32 v15, v15, s26
	v_mul_lo_u32 v16, v14, s27
	v_mad_u64_u32 v[12:13], s[4:5], v14, s26, 0
	v_add3_u32 v13, v13, v16, v15
	v_mul_lo_u32 v14, v7, s26
	v_mul_lo_u32 v15, v6, s27
	v_mad_u64_u32 v[18:19], s[4:5], v6, s26, 0
	v_add3_u32 v19, v19, v15, v14
	v_lshlrev_b64 v[14:15], 2, v[12:13]
	v_mov_b32_e32 v12, s17
	v_add_co_u32_e32 v16, vcc, s16, v14
	v_addc_co_u32_e64 v17, s[4:5], v12, v15, vcc
	v_lshlrev_b64 v[12:13], 2, v[18:19]
	v_mov_b32_e32 v14, s17
	v_add_co_u32_e64 v18, s[4:5], s16, v12
	v_addc_co_u32_e64 v19, s[6:7], v14, v13, s[4:5]
	global_load_dword v12, v[16:17], off
	global_load_dword v14, v[18:19], off
	s_mov_b64 s[36:37], -1
	s_waitcnt vmcnt(0)
	v_cmp_eq_f32_e64 s[6:7], v12, v14
	s_and_saveexec_b64 s[14:15], s[6:7]
	s_cbranch_execz .LBB955_125
; %bb.119:
	v_mov_b32_e32 v12, s17
	v_addc_co_u32_e64 v13, s[4:5], v13, v12, s[4:5]
	v_add_co_u32_e64 v12, s[4:5], 4, v18
	v_mov_b32_e32 v14, s17
	v_addc_co_u32_e64 v13, s[4:5], 0, v13, s[4:5]
	v_addc_co_u32_e32 v15, vcc, v15, v14, vcc
	v_add_co_u32_e32 v14, vcc, 4, v16
	s_add_u32 s4, s26, -1
	v_addc_co_u32_e32 v15, vcc, 0, v15, vcc
	s_addc_u32 s5, s27, -1
	s_mov_b64 s[6:7], 0
	s_mov_b64 s[38:39], 0
                                        ; implicit-def: $sgpr36_sgpr37
	s_branch .LBB955_122
.LBB955_120:                            ;   in Loop: Header=BB955_122 Depth=1
	global_load_dword v16, v[14:15], off
	global_load_dword v17, v[12:13], off
	v_add_co_u32_e32 v12, vcc, 4, v12
	v_addc_co_u32_e32 v13, vcc, 0, v13, vcc
	v_add_co_u32_e32 v14, vcc, 4, v14
	v_addc_co_u32_e32 v15, vcc, 0, v15, vcc
	s_add_u32 s38, s38, 1
	s_addc_u32 s39, s39, 0
	s_andn2_b64 s[36:37], s[36:37], exec
	s_waitcnt vmcnt(0)
	v_cmp_neq_f32_e32 vcc, v16, v17
	s_and_b64 s[40:41], vcc, exec
	s_or_b64 s[36:37], s[36:37], s[40:41]
.LBB955_121:                            ;   in Loop: Header=BB955_122 Depth=1
	s_and_b64 s[40:41], exec, s[36:37]
	s_or_b64 s[6:7], s[40:41], s[6:7]
	v_pk_mov_b32 v[16:17], s[38:39], s[38:39] op_sel:[0,1]
	s_andn2_b64 exec, exec, s[6:7]
	s_cbranch_execz .LBB955_124
.LBB955_122:                            ; =>This Inner Loop Header: Depth=1
	s_or_b64 s[36:37], s[36:37], exec
	s_cmp_eq_u64 s[4:5], s[38:39]
	s_cbranch_scc0 .LBB955_120
; %bb.123:                              ;   in Loop: Header=BB955_122 Depth=1
                                        ; implicit-def: $vgpr12_vgpr13
                                        ; implicit-def: $vgpr14_vgpr15
	s_mov_b64 s[38:39], s[26:27]
	s_branch .LBB955_121
.LBB955_124:
	s_or_b64 exec, exec, s[6:7]
	v_cmp_gt_i64_e32 vcc, s[26:27], v[16:17]
	s_orn2_b64 s[36:37], vcc, exec
.LBB955_125:
	s_or_b64 exec, exec, s[14:15]
.LBB955_126:
	s_and_b64 s[36:37], s[36:37], exec
.LBB955_127:
	s_or_b64 exec, exec, s[8:9]
	v_cndmask_b32_e64 v13, 0, 1, s[10:11]
	v_or_b32_e32 v16, v20, v21
.LBB955_128:
	s_mov_b64 s[14:15], -1
	s_cbranch_execnz .LBB955_237
.LBB955_129:
	v_lshlrev_b32_e32 v12, 5, v0
	v_sub_u32_e32 v26, v26, v12
	s_mov_b64 s[36:37], 0
	v_cmp_gt_i64_e64 s[10:11], s[26:27], 0
	s_and_b64 vcc, exec, s[30:31]
	ds_write_b64 v26, v[10:11]
	s_cbranch_vccz .LBB955_137
; %bb.130:
	s_waitcnt vmcnt(0) lgkmcnt(1)
	v_mul_lo_u32 v14, v5, s26
	v_mul_lo_u32 v15, v4, s27
	v_mad_u64_u32 v[12:13], s[4:5], v4, s26, 0
	v_add3_u32 v13, v13, v15, v14
	v_cndmask_b32_e64 v14, 0, 1, s[10:11]
	v_cmp_ne_u32_e64 s[4:5], 1, v14
	s_andn2_b64 vcc, exec, s[10:11]
	v_lshlrev_b64 v[12:13], 2, v[12:13]
	s_cbranch_vccnz .LBB955_140
; %bb.131:
	v_mul_lo_u32 v16, v11, s26
	v_mul_lo_u32 v17, v10, s27
	v_mad_u64_u32 v[14:15], s[6:7], v10, s26, 0
	v_add3_u32 v15, v15, v17, v16
	v_mov_b32_e32 v17, s17
	v_add_co_u32_e32 v16, vcc, s16, v12
	v_addc_co_u32_e64 v17, s[6:7], v17, v13, vcc
	v_lshlrev_b64 v[14:15], 2, v[14:15]
	v_mov_b32_e32 v19, s17
	v_add_co_u32_e64 v18, s[6:7], s16, v14
	v_addc_co_u32_e64 v19, s[8:9], v19, v15, s[6:7]
	global_load_dword v14, v[16:17], off
	global_load_dword v20, v[18:19], off
	s_mov_b64 s[36:37], -1
	s_waitcnt vmcnt(0)
	v_cmp_eq_f32_e64 s[8:9], v14, v20
	s_and_saveexec_b64 s[38:39], s[8:9]
	s_cbranch_execz .LBB955_139
; %bb.132:
	v_mov_b32_e32 v14, s17
	v_addc_co_u32_e64 v15, s[6:7], v15, v14, s[6:7]
	v_add_co_u32_e64 v14, s[6:7], 4, v18
	v_mov_b32_e32 v17, s17
	v_addc_co_u32_e64 v15, s[6:7], 0, v15, s[6:7]
	v_addc_co_u32_e32 v17, vcc, v13, v17, vcc
	v_add_co_u32_e32 v16, vcc, 4, v16
	s_add_u32 s6, s26, -1
	v_addc_co_u32_e32 v17, vcc, 0, v17, vcc
	s_addc_u32 s7, s27, -1
	s_mov_b64 s[8:9], 0
	s_mov_b64 s[40:41], 0
                                        ; implicit-def: $sgpr36_sgpr37
	s_branch .LBB955_135
.LBB955_133:                            ;   in Loop: Header=BB955_135 Depth=1
	global_load_dword v18, v[16:17], off
	global_load_dword v19, v[14:15], off
	v_add_co_u32_e32 v14, vcc, 4, v14
	v_addc_co_u32_e32 v15, vcc, 0, v15, vcc
	v_add_co_u32_e32 v16, vcc, 4, v16
	v_addc_co_u32_e32 v17, vcc, 0, v17, vcc
	s_add_u32 s40, s40, 1
	s_addc_u32 s41, s41, 0
	s_andn2_b64 s[36:37], s[36:37], exec
	s_waitcnt vmcnt(0)
	v_cmp_neq_f32_e32 vcc, v18, v19
	s_and_b64 s[42:43], vcc, exec
	s_or_b64 s[36:37], s[36:37], s[42:43]
.LBB955_134:                            ;   in Loop: Header=BB955_135 Depth=1
	s_and_b64 s[42:43], exec, s[36:37]
	s_or_b64 s[8:9], s[42:43], s[8:9]
	v_pk_mov_b32 v[18:19], s[40:41], s[40:41] op_sel:[0,1]
	s_andn2_b64 exec, exec, s[8:9]
	s_cbranch_execz .LBB955_138
.LBB955_135:                            ; =>This Inner Loop Header: Depth=1
	s_or_b64 s[36:37], s[36:37], exec
	s_cmp_eq_u64 s[6:7], s[40:41]
	s_cbranch_scc0 .LBB955_133
; %bb.136:                              ;   in Loop: Header=BB955_135 Depth=1
                                        ; implicit-def: $vgpr14_vgpr15
                                        ; implicit-def: $vgpr16_vgpr17
	s_mov_b64 s[40:41], s[26:27]
	s_branch .LBB955_134
.LBB955_137:
                                        ; implicit-def: $sgpr36_sgpr37
                                        ; implicit-def: $vgpr13
                                        ; implicit-def: $vgpr16
	s_cbranch_execnz .LBB955_179
	s_branch .LBB955_237
.LBB955_138:
	s_or_b64 exec, exec, s[8:9]
	v_cmp_gt_i64_e32 vcc, s[26:27], v[18:19]
	s_orn2_b64 s[36:37], vcc, exec
.LBB955_139:
	s_or_b64 exec, exec, s[38:39]
.LBB955_140:
	v_mul_lo_u32 v16, v3, s26
	v_mul_lo_u32 v17, v2, s27
	v_mad_u64_u32 v[14:15], s[6:7], v2, s26, 0
	v_add3_u32 v15, v15, v17, v16
	s_mov_b64 s[38:39], 0
	s_and_b64 vcc, exec, s[4:5]
	v_lshlrev_b64 v[14:15], 2, v[14:15]
	s_mov_b64 s[40:41], 0
	s_cbranch_vccnz .LBB955_149
; %bb.141:
	v_mov_b32_e32 v17, s17
	v_add_co_u32_e32 v16, vcc, s16, v14
	v_addc_co_u32_e64 v17, s[6:7], v17, v15, vcc
	v_mov_b32_e32 v19, s17
	v_add_co_u32_e64 v18, s[6:7], s16, v12
	v_addc_co_u32_e64 v19, s[8:9], v19, v13, s[6:7]
	global_load_dword v12, v[16:17], off
	global_load_dword v20, v[18:19], off
	s_mov_b64 s[40:41], -1
	s_waitcnt vmcnt(0)
	v_cmp_eq_f32_e64 s[8:9], v12, v20
	s_and_saveexec_b64 s[42:43], s[8:9]
	s_cbranch_execz .LBB955_148
; %bb.142:
	v_mov_b32_e32 v12, s17
	v_addc_co_u32_e64 v13, s[6:7], v13, v12, s[6:7]
	v_add_co_u32_e64 v12, s[6:7], 4, v18
	v_mov_b32_e32 v17, s17
	v_addc_co_u32_e64 v13, s[6:7], 0, v13, s[6:7]
	v_addc_co_u32_e32 v17, vcc, v15, v17, vcc
	v_add_co_u32_e32 v16, vcc, 4, v16
	s_add_u32 s6, s26, -1
	v_addc_co_u32_e32 v17, vcc, 0, v17, vcc
	s_addc_u32 s7, s27, -1
	s_mov_b64 s[8:9], 0
	s_mov_b64 s[44:45], 0
                                        ; implicit-def: $sgpr40_sgpr41
	s_branch .LBB955_145
.LBB955_143:                            ;   in Loop: Header=BB955_145 Depth=1
	global_load_dword v18, v[16:17], off
	global_load_dword v19, v[12:13], off
	v_add_co_u32_e32 v12, vcc, 4, v12
	v_addc_co_u32_e32 v13, vcc, 0, v13, vcc
	v_add_co_u32_e32 v16, vcc, 4, v16
	v_addc_co_u32_e32 v17, vcc, 0, v17, vcc
	s_add_u32 s44, s44, 1
	s_addc_u32 s45, s45, 0
	s_andn2_b64 s[40:41], s[40:41], exec
	s_waitcnt vmcnt(0)
	v_cmp_neq_f32_e32 vcc, v18, v19
	s_and_b64 s[46:47], vcc, exec
	s_or_b64 s[40:41], s[40:41], s[46:47]
.LBB955_144:                            ;   in Loop: Header=BB955_145 Depth=1
	s_and_b64 s[46:47], exec, s[40:41]
	s_or_b64 s[8:9], s[46:47], s[8:9]
	v_pk_mov_b32 v[18:19], s[44:45], s[44:45] op_sel:[0,1]
	s_andn2_b64 exec, exec, s[8:9]
	s_cbranch_execz .LBB955_147
.LBB955_145:                            ; =>This Inner Loop Header: Depth=1
	s_or_b64 s[40:41], s[40:41], exec
	s_cmp_eq_u64 s[6:7], s[44:45]
	s_cbranch_scc0 .LBB955_143
; %bb.146:                              ;   in Loop: Header=BB955_145 Depth=1
                                        ; implicit-def: $vgpr12_vgpr13
                                        ; implicit-def: $vgpr16_vgpr17
	s_mov_b64 s[44:45], s[26:27]
	s_branch .LBB955_144
.LBB955_147:
	s_or_b64 exec, exec, s[8:9]
	v_cmp_gt_i64_e32 vcc, s[26:27], v[18:19]
	s_orn2_b64 s[40:41], vcc, exec
.LBB955_148:
	s_or_b64 exec, exec, s[42:43]
.LBB955_149:
	v_mul_lo_u32 v16, v9, s26
	v_mul_lo_u32 v17, v8, s27
	v_mad_u64_u32 v[12:13], s[6:7], v8, s26, 0
	v_add3_u32 v13, v13, v17, v16
	s_and_b64 vcc, exec, s[4:5]
	v_lshlrev_b64 v[12:13], 2, v[12:13]
	s_cbranch_vccnz .LBB955_158
; %bb.150:
	v_mov_b32_e32 v17, s17
	v_add_co_u32_e32 v16, vcc, s16, v12
	v_addc_co_u32_e64 v17, s[6:7], v17, v13, vcc
	v_mov_b32_e32 v19, s17
	v_add_co_u32_e64 v18, s[6:7], s16, v14
	v_addc_co_u32_e64 v19, s[8:9], v19, v15, s[6:7]
	global_load_dword v14, v[16:17], off
	global_load_dword v20, v[18:19], off
	s_mov_b64 s[38:39], -1
	s_waitcnt vmcnt(0)
	v_cmp_eq_f32_e64 s[8:9], v14, v20
	s_and_saveexec_b64 s[42:43], s[8:9]
	s_cbranch_execz .LBB955_157
; %bb.151:
	v_mov_b32_e32 v14, s17
	v_addc_co_u32_e64 v15, s[6:7], v15, v14, s[6:7]
	v_add_co_u32_e64 v14, s[6:7], 4, v18
	v_mov_b32_e32 v17, s17
	v_addc_co_u32_e64 v15, s[6:7], 0, v15, s[6:7]
	v_addc_co_u32_e32 v17, vcc, v13, v17, vcc
	v_add_co_u32_e32 v16, vcc, 4, v16
	s_add_u32 s6, s26, -1
	v_addc_co_u32_e32 v17, vcc, 0, v17, vcc
	s_addc_u32 s7, s27, -1
	s_mov_b64 s[8:9], 0
	s_mov_b64 s[44:45], 0
                                        ; implicit-def: $sgpr38_sgpr39
	s_branch .LBB955_154
.LBB955_152:                            ;   in Loop: Header=BB955_154 Depth=1
	global_load_dword v18, v[16:17], off
	global_load_dword v19, v[14:15], off
	v_add_co_u32_e32 v14, vcc, 4, v14
	v_addc_co_u32_e32 v15, vcc, 0, v15, vcc
	v_add_co_u32_e32 v16, vcc, 4, v16
	v_addc_co_u32_e32 v17, vcc, 0, v17, vcc
	s_add_u32 s44, s44, 1
	s_addc_u32 s45, s45, 0
	s_andn2_b64 s[38:39], s[38:39], exec
	s_waitcnt vmcnt(0)
	v_cmp_neq_f32_e32 vcc, v18, v19
	s_and_b64 s[46:47], vcc, exec
	s_or_b64 s[38:39], s[38:39], s[46:47]
.LBB955_153:                            ;   in Loop: Header=BB955_154 Depth=1
	s_and_b64 s[46:47], exec, s[38:39]
	s_or_b64 s[8:9], s[46:47], s[8:9]
	v_pk_mov_b32 v[18:19], s[44:45], s[44:45] op_sel:[0,1]
	s_andn2_b64 exec, exec, s[8:9]
	s_cbranch_execz .LBB955_156
.LBB955_154:                            ; =>This Inner Loop Header: Depth=1
	s_or_b64 s[38:39], s[38:39], exec
	s_cmp_eq_u64 s[6:7], s[44:45]
	s_cbranch_scc0 .LBB955_152
; %bb.155:                              ;   in Loop: Header=BB955_154 Depth=1
                                        ; implicit-def: $vgpr14_vgpr15
                                        ; implicit-def: $vgpr16_vgpr17
	s_mov_b64 s[44:45], s[26:27]
	s_branch .LBB955_153
.LBB955_156:
	s_or_b64 exec, exec, s[8:9]
	v_cmp_gt_i64_e32 vcc, s[26:27], v[18:19]
	s_orn2_b64 s[38:39], vcc, exec
.LBB955_157:
	s_or_b64 exec, exec, s[42:43]
.LBB955_158:
	v_mul_lo_u32 v16, v7, s26
	v_mul_lo_u32 v17, v6, s27
	v_mad_u64_u32 v[14:15], s[6:7], v6, s26, 0
	v_add3_u32 v15, v15, v17, v16
	s_and_b64 vcc, exec, s[4:5]
	s_mov_b64 s[44:45], 0
	s_cbranch_vccnz .LBB955_167
; %bb.159:
	v_lshlrev_b64 v[16:17], 2, v[14:15]
	v_mov_b32_e32 v19, s17
	v_add_co_u32_e32 v18, vcc, s16, v16
	v_addc_co_u32_e64 v19, s[6:7], v19, v17, vcc
	v_mov_b32_e32 v16, s17
	v_add_co_u32_e64 v20, s[6:7], s16, v12
	v_addc_co_u32_e64 v21, s[8:9], v16, v13, s[6:7]
	global_load_dword v12, v[18:19], off
	global_load_dword v16, v[20:21], off
	s_mov_b64 s[44:45], -1
	s_waitcnt vmcnt(0)
	v_cmp_eq_f32_e64 s[8:9], v12, v16
	s_and_saveexec_b64 s[42:43], s[8:9]
	s_cbranch_execz .LBB955_166
; %bb.160:
	v_mov_b32_e32 v12, s17
	v_addc_co_u32_e64 v13, s[6:7], v13, v12, s[6:7]
	v_add_co_u32_e64 v12, s[6:7], 4, v20
	v_mov_b32_e32 v16, s17
	v_addc_co_u32_e64 v13, s[6:7], 0, v13, s[6:7]
	v_addc_co_u32_e32 v17, vcc, v17, v16, vcc
	v_add_co_u32_e32 v16, vcc, 4, v18
	s_add_u32 s6, s26, -1
	v_addc_co_u32_e32 v17, vcc, 0, v17, vcc
	s_addc_u32 s7, s27, -1
	s_mov_b64 s[8:9], 0
	s_mov_b64 s[46:47], 0
                                        ; implicit-def: $sgpr44_sgpr45
	s_branch .LBB955_163
.LBB955_161:                            ;   in Loop: Header=BB955_163 Depth=1
	global_load_dword v18, v[16:17], off
	global_load_dword v19, v[12:13], off
	v_add_co_u32_e32 v12, vcc, 4, v12
	v_addc_co_u32_e32 v13, vcc, 0, v13, vcc
	v_add_co_u32_e32 v16, vcc, 4, v16
	v_addc_co_u32_e32 v17, vcc, 0, v17, vcc
	s_add_u32 s46, s46, 1
	s_addc_u32 s47, s47, 0
	s_andn2_b64 s[44:45], s[44:45], exec
	s_waitcnt vmcnt(0)
	v_cmp_neq_f32_e32 vcc, v18, v19
	s_and_b64 s[50:51], vcc, exec
	s_or_b64 s[44:45], s[44:45], s[50:51]
.LBB955_162:                            ;   in Loop: Header=BB955_163 Depth=1
	s_and_b64 s[50:51], exec, s[44:45]
	s_or_b64 s[8:9], s[50:51], s[8:9]
	v_pk_mov_b32 v[18:19], s[46:47], s[46:47] op_sel:[0,1]
	s_andn2_b64 exec, exec, s[8:9]
	s_cbranch_execz .LBB955_165
.LBB955_163:                            ; =>This Inner Loop Header: Depth=1
	s_or_b64 s[44:45], s[44:45], exec
	s_cmp_eq_u64 s[6:7], s[46:47]
	s_cbranch_scc0 .LBB955_161
; %bb.164:                              ;   in Loop: Header=BB955_163 Depth=1
                                        ; implicit-def: $vgpr12_vgpr13
                                        ; implicit-def: $vgpr16_vgpr17
	s_mov_b64 s[46:47], s[26:27]
	s_branch .LBB955_162
.LBB955_165:
	s_or_b64 exec, exec, s[8:9]
	v_cmp_gt_i64_e32 vcc, s[26:27], v[18:19]
	s_orn2_b64 s[44:45], vcc, exec
.LBB955_166:
	s_or_b64 exec, exec, s[42:43]
.LBB955_167:
	v_cndmask_b32_e64 v13, 0, 1, s[40:41]
	v_cndmask_b32_e64 v16, 0, 1, s[44:45]
	;; [unrolled: 1-line block ×3, first 2 shown]
	v_lshlrev_b16_e32 v16, 8, v16
	v_lshlrev_b16_e32 v13, 8, v13
	v_or_b32_e32 v16, 1, v16
	v_or_b32_sdwa v12, v12, v13 dst_sel:WORD_1 dst_unused:UNUSED_PAD src0_sel:DWORD src1_sel:DWORD
	v_or_b32_sdwa v12, v16, v12 dst_sel:DWORD dst_unused:UNUSED_PAD src0_sel:WORD_0 src1_sel:DWORD
	v_cndmask_b32_e64 v13, 0, 1, s[36:37]
	s_waitcnt lgkmcnt(0)
	s_barrier
	s_waitcnt lgkmcnt(0)
                                        ; implicit-def: $sgpr36_sgpr37
                                        ; implicit-def: $vgpr16
	s_and_saveexec_b64 s[6:7], s[2:3]
	s_xor_b64 s[8:9], exec, s[6:7]
	s_cbranch_execz .LBB955_178
; %bb.168:
	s_mov_b32 s42, 0x3020104
	s_and_b64 vcc, exec, s[4:5]
	s_mov_b64 s[38:39], 0
	s_cbranch_vccnz .LBB955_177
; %bb.169:
	v_add_u32_e32 v16, -8, v26
	ds_read_b64 v[16:17], v16
	v_mov_b32_e32 v19, s17
	v_lshlrev_b64 v[14:15], 2, v[14:15]
	s_mov_b64 s[38:39], -1
	s_waitcnt lgkmcnt(0)
	v_mul_lo_u32 v18, v17, s26
	v_mul_lo_u32 v20, v16, s27
	v_mad_u64_u32 v[16:17], s[4:5], v16, s26, 0
	v_add3_u32 v17, v17, v20, v18
	v_lshlrev_b64 v[16:17], 2, v[16:17]
	v_add_co_u32_e32 v18, vcc, s16, v16
	v_addc_co_u32_e64 v19, s[4:5], v19, v17, vcc
	v_mov_b32_e32 v16, s17
	v_add_co_u32_e64 v20, s[4:5], s16, v14
	v_addc_co_u32_e64 v21, s[6:7], v16, v15, s[4:5]
	global_load_dword v14, v[18:19], off
	global_load_dword v16, v[20:21], off
	s_waitcnt vmcnt(0)
	v_cmp_eq_f32_e64 s[6:7], v14, v16
	s_and_saveexec_b64 s[36:37], s[6:7]
	s_cbranch_execz .LBB955_176
; %bb.170:
	v_mov_b32_e32 v14, s17
	v_addc_co_u32_e64 v15, s[4:5], v15, v14, s[4:5]
	v_add_co_u32_e64 v14, s[4:5], 4, v20
	v_mov_b32_e32 v16, s17
	v_addc_co_u32_e64 v15, s[4:5], 0, v15, s[4:5]
	v_addc_co_u32_e32 v17, vcc, v17, v16, vcc
	v_add_co_u32_e32 v16, vcc, 4, v18
	s_add_u32 s4, s26, -1
	v_addc_co_u32_e32 v17, vcc, 0, v17, vcc
	s_addc_u32 s5, s27, -1
	s_mov_b64 s[6:7], 0
	s_mov_b64 s[40:41], 0
                                        ; implicit-def: $sgpr38_sgpr39
	s_branch .LBB955_173
.LBB955_171:                            ;   in Loop: Header=BB955_173 Depth=1
	global_load_dword v18, v[16:17], off
	global_load_dword v19, v[14:15], off
	v_add_co_u32_e32 v14, vcc, 4, v14
	v_addc_co_u32_e32 v15, vcc, 0, v15, vcc
	v_add_co_u32_e32 v16, vcc, 4, v16
	v_addc_co_u32_e32 v17, vcc, 0, v17, vcc
	s_add_u32 s40, s40, 1
	s_addc_u32 s41, s41, 0
	s_andn2_b64 s[38:39], s[38:39], exec
	s_waitcnt vmcnt(0)
	v_cmp_neq_f32_e32 vcc, v18, v19
	s_and_b64 s[44:45], vcc, exec
	s_or_b64 s[38:39], s[38:39], s[44:45]
.LBB955_172:                            ;   in Loop: Header=BB955_173 Depth=1
	s_and_b64 s[44:45], exec, s[38:39]
	s_or_b64 s[6:7], s[44:45], s[6:7]
	v_pk_mov_b32 v[18:19], s[40:41], s[40:41] op_sel:[0,1]
	s_andn2_b64 exec, exec, s[6:7]
	s_cbranch_execz .LBB955_175
.LBB955_173:                            ; =>This Inner Loop Header: Depth=1
	s_or_b64 s[38:39], s[38:39], exec
	s_cmp_eq_u64 s[4:5], s[40:41]
	s_cbranch_scc0 .LBB955_171
; %bb.174:                              ;   in Loop: Header=BB955_173 Depth=1
                                        ; implicit-def: $vgpr14_vgpr15
                                        ; implicit-def: $vgpr16_vgpr17
	s_mov_b64 s[40:41], s[26:27]
	s_branch .LBB955_172
.LBB955_175:
	s_or_b64 exec, exec, s[6:7]
	v_cmp_gt_i64_e32 vcc, s[26:27], v[18:19]
	s_orn2_b64 s[38:39], vcc, exec
.LBB955_176:
	s_or_b64 exec, exec, s[36:37]
.LBB955_177:
	v_perm_b32 v16, v12, v12, s42
	s_and_b64 s[36:37], s[38:39], exec
	s_or_b64 s[14:15], s[14:15], exec
.LBB955_178:
	s_or_b64 exec, exec, s[8:9]
	s_branch .LBB955_237
.LBB955_179:
	v_cmp_gt_u32_e32 vcc, s48, v23
	s_mov_b64 s[36:37], 0
	s_mov_b64 s[8:9], 0
	s_and_saveexec_b64 s[38:39], vcc
	s_cbranch_execz .LBB955_190
; %bb.180:
	s_andn2_b64 vcc, exec, s[10:11]
	s_mov_b64 s[40:41], 0
	s_cbranch_vccnz .LBB955_189
; %bb.181:
	s_waitcnt vmcnt(0) lgkmcnt(1)
	v_mul_lo_u32 v14, v5, s26
	v_mul_lo_u32 v15, v4, s27
	v_mad_u64_u32 v[12:13], s[4:5], v4, s26, 0
	v_add3_u32 v13, v13, v15, v14
	v_mul_lo_u32 v14, v11, s26
	v_mul_lo_u32 v15, v10, s27
	v_mad_u64_u32 v[18:19], s[4:5], v10, s26, 0
	v_add3_u32 v19, v19, v15, v14
	v_lshlrev_b64 v[14:15], 2, v[12:13]
	v_mov_b32_e32 v12, s17
	v_add_co_u32_e32 v16, vcc, s16, v14
	v_addc_co_u32_e64 v17, s[4:5], v12, v15, vcc
	v_lshlrev_b64 v[12:13], 2, v[18:19]
	v_mov_b32_e32 v14, s17
	v_add_co_u32_e64 v18, s[4:5], s16, v12
	v_addc_co_u32_e64 v19, s[6:7], v14, v13, s[4:5]
	global_load_dword v12, v[16:17], off
	global_load_dword v14, v[18:19], off
	s_mov_b64 s[40:41], -1
	s_waitcnt vmcnt(0)
	v_cmp_eq_f32_e64 s[6:7], v12, v14
	s_and_saveexec_b64 s[8:9], s[6:7]
	s_cbranch_execz .LBB955_188
; %bb.182:
	v_mov_b32_e32 v12, s17
	v_addc_co_u32_e64 v13, s[4:5], v13, v12, s[4:5]
	v_add_co_u32_e64 v12, s[4:5], 4, v18
	v_mov_b32_e32 v14, s17
	v_addc_co_u32_e64 v13, s[4:5], 0, v13, s[4:5]
	v_addc_co_u32_e32 v15, vcc, v15, v14, vcc
	v_add_co_u32_e32 v14, vcc, 4, v16
	s_add_u32 s4, s26, -1
	v_addc_co_u32_e32 v15, vcc, 0, v15, vcc
	s_addc_u32 s5, s27, -1
	s_mov_b64 s[6:7], 0
	s_mov_b64 s[42:43], 0
                                        ; implicit-def: $sgpr40_sgpr41
	s_branch .LBB955_185
.LBB955_183:                            ;   in Loop: Header=BB955_185 Depth=1
	global_load_dword v16, v[14:15], off
	global_load_dword v17, v[12:13], off
	v_add_co_u32_e32 v12, vcc, 4, v12
	v_addc_co_u32_e32 v13, vcc, 0, v13, vcc
	v_add_co_u32_e32 v14, vcc, 4, v14
	v_addc_co_u32_e32 v15, vcc, 0, v15, vcc
	s_add_u32 s42, s42, 1
	s_addc_u32 s43, s43, 0
	s_andn2_b64 s[40:41], s[40:41], exec
	s_waitcnt vmcnt(0)
	v_cmp_neq_f32_e32 vcc, v16, v17
	s_and_b64 s[44:45], vcc, exec
	s_or_b64 s[40:41], s[40:41], s[44:45]
.LBB955_184:                            ;   in Loop: Header=BB955_185 Depth=1
	s_and_b64 s[44:45], exec, s[40:41]
	s_or_b64 s[6:7], s[44:45], s[6:7]
	v_pk_mov_b32 v[16:17], s[42:43], s[42:43] op_sel:[0,1]
	s_andn2_b64 exec, exec, s[6:7]
	s_cbranch_execz .LBB955_187
.LBB955_185:                            ; =>This Inner Loop Header: Depth=1
	s_or_b64 s[40:41], s[40:41], exec
	s_cmp_eq_u64 s[4:5], s[42:43]
	s_cbranch_scc0 .LBB955_183
; %bb.186:                              ;   in Loop: Header=BB955_185 Depth=1
                                        ; implicit-def: $vgpr12_vgpr13
                                        ; implicit-def: $vgpr14_vgpr15
	s_mov_b64 s[42:43], s[26:27]
	s_branch .LBB955_184
.LBB955_187:
	s_or_b64 exec, exec, s[6:7]
	v_cmp_gt_i64_e32 vcc, s[26:27], v[16:17]
	s_orn2_b64 s[40:41], vcc, exec
.LBB955_188:
	s_or_b64 exec, exec, s[8:9]
.LBB955_189:
	s_and_b64 s[8:9], s[40:41], exec
.LBB955_190:
	s_or_b64 exec, exec, s[38:39]
	v_cmp_gt_u32_e32 vcc, s48, v25
	s_and_saveexec_b64 s[38:39], vcc
	s_cbranch_execz .LBB955_201
; %bb.191:
	s_andn2_b64 vcc, exec, s[10:11]
	s_mov_b64 s[40:41], 0
	s_cbranch_vccnz .LBB955_200
; %bb.192:
	s_waitcnt vmcnt(0) lgkmcnt(1)
	v_mul_lo_u32 v14, v3, s26
	v_mul_lo_u32 v15, v2, s27
	v_mad_u64_u32 v[12:13], s[4:5], v2, s26, 0
	v_add3_u32 v13, v13, v15, v14
	v_mul_lo_u32 v14, v5, s26
	v_mul_lo_u32 v15, v4, s27
	v_mad_u64_u32 v[18:19], s[4:5], v4, s26, 0
	v_add3_u32 v19, v19, v15, v14
	v_lshlrev_b64 v[14:15], 2, v[12:13]
	v_mov_b32_e32 v12, s17
	v_add_co_u32_e32 v16, vcc, s16, v14
	v_addc_co_u32_e64 v17, s[4:5], v12, v15, vcc
	v_lshlrev_b64 v[12:13], 2, v[18:19]
	v_mov_b32_e32 v14, s17
	v_add_co_u32_e64 v18, s[4:5], s16, v12
	v_addc_co_u32_e64 v19, s[6:7], v14, v13, s[4:5]
	global_load_dword v12, v[16:17], off
	global_load_dword v14, v[18:19], off
	s_mov_b64 s[40:41], -1
	s_waitcnt vmcnt(0)
	v_cmp_eq_f32_e64 s[6:7], v12, v14
	s_and_saveexec_b64 s[36:37], s[6:7]
	s_cbranch_execz .LBB955_199
; %bb.193:
	v_mov_b32_e32 v12, s17
	v_addc_co_u32_e64 v13, s[4:5], v13, v12, s[4:5]
	v_add_co_u32_e64 v12, s[4:5], 4, v18
	v_mov_b32_e32 v14, s17
	v_addc_co_u32_e64 v13, s[4:5], 0, v13, s[4:5]
	v_addc_co_u32_e32 v15, vcc, v15, v14, vcc
	v_add_co_u32_e32 v14, vcc, 4, v16
	s_add_u32 s4, s26, -1
	v_addc_co_u32_e32 v15, vcc, 0, v15, vcc
	s_addc_u32 s5, s27, -1
	s_mov_b64 s[6:7], 0
	s_mov_b64 s[42:43], 0
                                        ; implicit-def: $sgpr40_sgpr41
	s_branch .LBB955_196
.LBB955_194:                            ;   in Loop: Header=BB955_196 Depth=1
	global_load_dword v16, v[14:15], off
	global_load_dword v17, v[12:13], off
	v_add_co_u32_e32 v12, vcc, 4, v12
	v_addc_co_u32_e32 v13, vcc, 0, v13, vcc
	v_add_co_u32_e32 v14, vcc, 4, v14
	v_addc_co_u32_e32 v15, vcc, 0, v15, vcc
	s_add_u32 s42, s42, 1
	s_addc_u32 s43, s43, 0
	s_andn2_b64 s[40:41], s[40:41], exec
	s_waitcnt vmcnt(0)
	v_cmp_neq_f32_e32 vcc, v16, v17
	s_and_b64 s[44:45], vcc, exec
	s_or_b64 s[40:41], s[40:41], s[44:45]
.LBB955_195:                            ;   in Loop: Header=BB955_196 Depth=1
	s_and_b64 s[44:45], exec, s[40:41]
	s_or_b64 s[6:7], s[44:45], s[6:7]
	v_pk_mov_b32 v[16:17], s[42:43], s[42:43] op_sel:[0,1]
	s_andn2_b64 exec, exec, s[6:7]
	s_cbranch_execz .LBB955_198
.LBB955_196:                            ; =>This Inner Loop Header: Depth=1
	s_or_b64 s[40:41], s[40:41], exec
	s_cmp_eq_u64 s[4:5], s[42:43]
	s_cbranch_scc0 .LBB955_194
; %bb.197:                              ;   in Loop: Header=BB955_196 Depth=1
                                        ; implicit-def: $vgpr12_vgpr13
                                        ; implicit-def: $vgpr14_vgpr15
	s_mov_b64 s[42:43], s[26:27]
	s_branch .LBB955_195
.LBB955_198:
	s_or_b64 exec, exec, s[6:7]
	v_cmp_gt_i64_e32 vcc, s[26:27], v[16:17]
	s_orn2_b64 s[40:41], vcc, exec
.LBB955_199:
	s_or_b64 exec, exec, s[36:37]
.LBB955_200:
	s_and_b64 s[36:37], s[40:41], exec
.LBB955_201:
	s_or_b64 exec, exec, s[38:39]
	v_cmp_gt_u32_e32 vcc, s48, v22
	s_mov_b64 s[38:39], 0
	s_mov_b64 s[40:41], 0
	s_and_saveexec_b64 s[42:43], vcc
	s_cbranch_execz .LBB955_212
; %bb.202:
	s_andn2_b64 vcc, exec, s[10:11]
	s_mov_b64 s[44:45], 0
	s_cbranch_vccnz .LBB955_211
; %bb.203:
	s_waitcnt vmcnt(0) lgkmcnt(1)
	v_mul_lo_u32 v14, v9, s26
	v_mul_lo_u32 v15, v8, s27
	v_mad_u64_u32 v[12:13], s[4:5], v8, s26, 0
	v_add3_u32 v13, v13, v15, v14
	v_mul_lo_u32 v14, v3, s26
	v_mul_lo_u32 v15, v2, s27
	v_mad_u64_u32 v[18:19], s[4:5], v2, s26, 0
	v_add3_u32 v19, v19, v15, v14
	v_lshlrev_b64 v[14:15], 2, v[12:13]
	v_mov_b32_e32 v12, s17
	v_add_co_u32_e32 v16, vcc, s16, v14
	v_addc_co_u32_e64 v17, s[4:5], v12, v15, vcc
	v_lshlrev_b64 v[12:13], 2, v[18:19]
	v_mov_b32_e32 v14, s17
	v_add_co_u32_e64 v18, s[4:5], s16, v12
	v_addc_co_u32_e64 v19, s[6:7], v14, v13, s[4:5]
	global_load_dword v12, v[16:17], off
	global_load_dword v14, v[18:19], off
	s_mov_b64 s[44:45], -1
	s_waitcnt vmcnt(0)
	v_cmp_eq_f32_e64 s[6:7], v12, v14
	s_and_saveexec_b64 s[40:41], s[6:7]
	s_cbranch_execz .LBB955_210
; %bb.204:
	v_mov_b32_e32 v12, s17
	v_addc_co_u32_e64 v13, s[4:5], v13, v12, s[4:5]
	v_add_co_u32_e64 v12, s[4:5], 4, v18
	v_mov_b32_e32 v14, s17
	v_addc_co_u32_e64 v13, s[4:5], 0, v13, s[4:5]
	v_addc_co_u32_e32 v15, vcc, v15, v14, vcc
	v_add_co_u32_e32 v14, vcc, 4, v16
	s_add_u32 s4, s26, -1
	v_addc_co_u32_e32 v15, vcc, 0, v15, vcc
	s_addc_u32 s5, s27, -1
	s_mov_b64 s[6:7], 0
	s_mov_b64 s[46:47], 0
                                        ; implicit-def: $sgpr44_sgpr45
	s_branch .LBB955_207
.LBB955_205:                            ;   in Loop: Header=BB955_207 Depth=1
	global_load_dword v16, v[14:15], off
	global_load_dword v17, v[12:13], off
	v_add_co_u32_e32 v12, vcc, 4, v12
	v_addc_co_u32_e32 v13, vcc, 0, v13, vcc
	v_add_co_u32_e32 v14, vcc, 4, v14
	v_addc_co_u32_e32 v15, vcc, 0, v15, vcc
	s_add_u32 s46, s46, 1
	s_addc_u32 s47, s47, 0
	s_andn2_b64 s[44:45], s[44:45], exec
	s_waitcnt vmcnt(0)
	v_cmp_neq_f32_e32 vcc, v16, v17
	s_and_b64 s[50:51], vcc, exec
	s_or_b64 s[44:45], s[44:45], s[50:51]
.LBB955_206:                            ;   in Loop: Header=BB955_207 Depth=1
	s_and_b64 s[50:51], exec, s[44:45]
	s_or_b64 s[6:7], s[50:51], s[6:7]
	v_pk_mov_b32 v[16:17], s[46:47], s[46:47] op_sel:[0,1]
	s_andn2_b64 exec, exec, s[6:7]
	s_cbranch_execz .LBB955_209
.LBB955_207:                            ; =>This Inner Loop Header: Depth=1
	s_or_b64 s[44:45], s[44:45], exec
	s_cmp_eq_u64 s[4:5], s[46:47]
	s_cbranch_scc0 .LBB955_205
; %bb.208:                              ;   in Loop: Header=BB955_207 Depth=1
                                        ; implicit-def: $vgpr12_vgpr13
                                        ; implicit-def: $vgpr14_vgpr15
	s_mov_b64 s[46:47], s[26:27]
	s_branch .LBB955_206
.LBB955_209:
	s_or_b64 exec, exec, s[6:7]
	v_cmp_gt_i64_e32 vcc, s[26:27], v[16:17]
	s_orn2_b64 s[44:45], vcc, exec
.LBB955_210:
	s_or_b64 exec, exec, s[40:41]
.LBB955_211:
	s_and_b64 s[40:41], s[44:45], exec
.LBB955_212:
	s_or_b64 exec, exec, s[42:43]
	v_cmp_gt_u32_e32 vcc, s48, v24
	s_and_saveexec_b64 s[42:43], vcc
	s_cbranch_execz .LBB955_223
; %bb.213:
	s_andn2_b64 vcc, exec, s[10:11]
	s_mov_b64 s[44:45], 0
	s_cbranch_vccnz .LBB955_222
; %bb.214:
	s_waitcnt vmcnt(0) lgkmcnt(1)
	v_mul_lo_u32 v14, v7, s26
	v_mul_lo_u32 v15, v6, s27
	v_mad_u64_u32 v[12:13], s[4:5], v6, s26, 0
	v_add3_u32 v13, v13, v15, v14
	v_mul_lo_u32 v14, v9, s26
	v_mul_lo_u32 v15, v8, s27
	v_mad_u64_u32 v[18:19], s[4:5], v8, s26, 0
	v_add3_u32 v19, v19, v15, v14
	v_lshlrev_b64 v[14:15], 2, v[12:13]
	v_mov_b32_e32 v12, s17
	v_add_co_u32_e32 v16, vcc, s16, v14
	v_addc_co_u32_e64 v17, s[4:5], v12, v15, vcc
	v_lshlrev_b64 v[12:13], 2, v[18:19]
	v_mov_b32_e32 v14, s17
	v_add_co_u32_e64 v18, s[4:5], s16, v12
	v_addc_co_u32_e64 v19, s[6:7], v14, v13, s[4:5]
	global_load_dword v12, v[16:17], off
	global_load_dword v14, v[18:19], off
	s_mov_b64 s[44:45], -1
	s_waitcnt vmcnt(0)
	v_cmp_eq_f32_e64 s[6:7], v12, v14
	s_and_saveexec_b64 s[38:39], s[6:7]
	s_cbranch_execz .LBB955_221
; %bb.215:
	v_mov_b32_e32 v12, s17
	v_addc_co_u32_e64 v13, s[4:5], v13, v12, s[4:5]
	v_add_co_u32_e64 v12, s[4:5], 4, v18
	v_mov_b32_e32 v14, s17
	v_addc_co_u32_e64 v13, s[4:5], 0, v13, s[4:5]
	v_addc_co_u32_e32 v15, vcc, v15, v14, vcc
	v_add_co_u32_e32 v14, vcc, 4, v16
	s_add_u32 s4, s26, -1
	v_addc_co_u32_e32 v15, vcc, 0, v15, vcc
	s_addc_u32 s5, s27, -1
	s_mov_b64 s[6:7], 0
	s_mov_b64 s[46:47], 0
                                        ; implicit-def: $sgpr44_sgpr45
	s_branch .LBB955_218
.LBB955_216:                            ;   in Loop: Header=BB955_218 Depth=1
	global_load_dword v16, v[14:15], off
	global_load_dword v17, v[12:13], off
	v_add_co_u32_e32 v12, vcc, 4, v12
	v_addc_co_u32_e32 v13, vcc, 0, v13, vcc
	v_add_co_u32_e32 v14, vcc, 4, v14
	v_addc_co_u32_e32 v15, vcc, 0, v15, vcc
	s_add_u32 s46, s46, 1
	s_addc_u32 s47, s47, 0
	s_andn2_b64 s[44:45], s[44:45], exec
	s_waitcnt vmcnt(0)
	v_cmp_neq_f32_e32 vcc, v16, v17
	s_and_b64 s[50:51], vcc, exec
	s_or_b64 s[44:45], s[44:45], s[50:51]
.LBB955_217:                            ;   in Loop: Header=BB955_218 Depth=1
	s_and_b64 s[50:51], exec, s[44:45]
	s_or_b64 s[6:7], s[50:51], s[6:7]
	v_pk_mov_b32 v[16:17], s[46:47], s[46:47] op_sel:[0,1]
	s_andn2_b64 exec, exec, s[6:7]
	s_cbranch_execz .LBB955_220
.LBB955_218:                            ; =>This Inner Loop Header: Depth=1
	s_or_b64 s[44:45], s[44:45], exec
	s_cmp_eq_u64 s[4:5], s[46:47]
	s_cbranch_scc0 .LBB955_216
; %bb.219:                              ;   in Loop: Header=BB955_218 Depth=1
                                        ; implicit-def: $vgpr12_vgpr13
                                        ; implicit-def: $vgpr14_vgpr15
	s_mov_b64 s[46:47], s[26:27]
	s_branch .LBB955_217
.LBB955_220:
	s_or_b64 exec, exec, s[6:7]
	v_cmp_gt_i64_e32 vcc, s[26:27], v[16:17]
	s_orn2_b64 s[44:45], vcc, exec
.LBB955_221:
	s_or_b64 exec, exec, s[38:39]
.LBB955_222:
	s_and_b64 s[38:39], s[44:45], exec
.LBB955_223:
	s_or_b64 exec, exec, s[42:43]
	v_cndmask_b32_e64 v13, 0, 1, s[36:37]
	s_waitcnt vmcnt(0) lgkmcnt(1)
	v_cndmask_b32_e64 v14, 0, 1, s[38:39]
	v_cndmask_b32_e64 v12, 0, 1, s[40:41]
	v_lshlrev_b16_e32 v14, 8, v14
	v_lshlrev_b16_e32 v13, 8, v13
	v_or_b32_e32 v14, 1, v14
	v_or_b32_sdwa v12, v12, v13 dst_sel:WORD_1 dst_unused:UNUSED_PAD src0_sel:DWORD src1_sel:DWORD
	v_or_b32_sdwa v12, v14, v12 dst_sel:DWORD dst_unused:UNUSED_PAD src0_sel:WORD_0 src1_sel:DWORD
	v_cndmask_b32_e64 v13, 0, 1, s[8:9]
	s_waitcnt lgkmcnt(0)
	s_barrier
	s_waitcnt lgkmcnt(0)
                                        ; implicit-def: $sgpr36_sgpr37
                                        ; implicit-def: $vgpr16
	s_and_saveexec_b64 s[6:7], s[2:3]
	s_cbranch_execz .LBB955_236
; %bb.224:
	v_cmp_gt_u32_e32 vcc, s48, v1
	s_mov_b32 s38, 0x3020104
	s_mov_b64 s[2:3], 0
	s_and_saveexec_b64 s[8:9], vcc
	s_cbranch_execz .LBB955_235
; %bb.225:
	s_andn2_b64 vcc, exec, s[10:11]
	s_mov_b64 s[36:37], 0
	s_cbranch_vccnz .LBB955_234
; %bb.226:
	v_add_u32_e32 v14, -8, v26
	ds_read_b64 v[14:15], v14
	v_mul_lo_u32 v16, v7, s26
	v_mad_u64_u32 v[20:21], s[2:3], v6, s26, 0
	s_mov_b64 s[36:37], -1
	s_waitcnt lgkmcnt(0)
	v_mul_lo_u32 v17, v15, s26
	v_mul_lo_u32 v18, v14, s27
	v_mad_u64_u32 v[14:15], s[2:3], v14, s26, 0
	v_add3_u32 v15, v15, v18, v17
	v_mul_lo_u32 v17, v6, s27
	v_add3_u32 v21, v21, v17, v16
	v_lshlrev_b64 v[16:17], 2, v[14:15]
	v_mov_b32_e32 v14, s17
	v_add_co_u32_e32 v18, vcc, s16, v16
	v_addc_co_u32_e64 v19, s[2:3], v14, v17, vcc
	v_lshlrev_b64 v[14:15], 2, v[20:21]
	v_mov_b32_e32 v16, s17
	v_add_co_u32_e64 v20, s[2:3], s16, v14
	v_addc_co_u32_e64 v21, s[4:5], v16, v15, s[2:3]
	global_load_dword v14, v[18:19], off
	global_load_dword v16, v[20:21], off
	s_waitcnt vmcnt(0)
	v_cmp_eq_f32_e64 s[4:5], v14, v16
	s_and_saveexec_b64 s[10:11], s[4:5]
	s_cbranch_execz .LBB955_233
; %bb.227:
	v_mov_b32_e32 v14, s17
	v_addc_co_u32_e64 v15, s[2:3], v15, v14, s[2:3]
	v_add_co_u32_e64 v14, s[2:3], 4, v20
	v_mov_b32_e32 v16, s17
	v_addc_co_u32_e64 v15, s[2:3], 0, v15, s[2:3]
	v_addc_co_u32_e32 v17, vcc, v17, v16, vcc
	v_add_co_u32_e32 v16, vcc, 4, v18
	s_add_u32 s2, s26, -1
	v_addc_co_u32_e32 v17, vcc, 0, v17, vcc
	s_addc_u32 s3, s27, -1
	s_mov_b64 s[4:5], 0
	s_mov_b64 s[36:37], 0
                                        ; implicit-def: $sgpr16_sgpr17
	s_branch .LBB955_230
.LBB955_228:                            ;   in Loop: Header=BB955_230 Depth=1
	global_load_dword v18, v[16:17], off
	global_load_dword v19, v[14:15], off
	v_add_co_u32_e32 v14, vcc, 4, v14
	v_addc_co_u32_e32 v15, vcc, 0, v15, vcc
	v_add_co_u32_e32 v16, vcc, 4, v16
	v_addc_co_u32_e32 v17, vcc, 0, v17, vcc
	s_add_u32 s36, s36, 1
	s_addc_u32 s37, s37, 0
	s_andn2_b64 s[16:17], s[16:17], exec
	s_waitcnt vmcnt(0)
	v_cmp_neq_f32_e32 vcc, v18, v19
	s_and_b64 s[40:41], vcc, exec
	s_or_b64 s[16:17], s[16:17], s[40:41]
.LBB955_229:                            ;   in Loop: Header=BB955_230 Depth=1
	s_and_b64 s[40:41], exec, s[16:17]
	s_or_b64 s[4:5], s[40:41], s[4:5]
	v_pk_mov_b32 v[18:19], s[36:37], s[36:37] op_sel:[0,1]
	s_andn2_b64 exec, exec, s[4:5]
	s_cbranch_execz .LBB955_232
.LBB955_230:                            ; =>This Inner Loop Header: Depth=1
	s_or_b64 s[16:17], s[16:17], exec
	s_cmp_eq_u64 s[2:3], s[36:37]
	s_cbranch_scc0 .LBB955_228
; %bb.231:                              ;   in Loop: Header=BB955_230 Depth=1
                                        ; implicit-def: $vgpr14_vgpr15
                                        ; implicit-def: $vgpr16_vgpr17
	s_mov_b64 s[36:37], s[26:27]
	s_branch .LBB955_229
.LBB955_232:
	s_or_b64 exec, exec, s[4:5]
	v_cmp_gt_i64_e32 vcc, s[26:27], v[18:19]
	s_orn2_b64 s[36:37], vcc, exec
.LBB955_233:
	s_or_b64 exec, exec, s[10:11]
.LBB955_234:
	s_and_b64 s[2:3], s[36:37], exec
.LBB955_235:
	s_or_b64 exec, exec, s[8:9]
	v_perm_b32 v16, v12, v12, s38
	s_and_b64 s[36:37], s[2:3], exec
	s_or_b64 s[14:15], s[14:15], exec
.LBB955_236:
	s_or_b64 exec, exec, s[6:7]
.LBB955_237:
	s_and_saveexec_b64 s[2:3], s[14:15]
	s_cbranch_execz .LBB955_239
; %bb.238:
	s_waitcnt vmcnt(0) lgkmcnt(0)
	v_lshrrev_b32_e32 v14, 24, v16
	s_movk_i32 s4, 0xff
	v_lshlrev_b16_e32 v14, 8, v14
	v_and_b32_sdwa v15, v16, s4 dst_sel:DWORD dst_unused:UNUSED_PAD src0_sel:WORD_1 src1_sel:DWORD
	v_or_b32_sdwa v14, v15, v14 dst_sel:WORD_1 dst_unused:UNUSED_PAD src0_sel:DWORD src1_sel:DWORD
	v_mov_b32_e32 v15, 8
	v_cndmask_b32_e64 v12, 0, 1, s[36:37]
	v_lshrrev_b32_sdwa v15, v15, v16 dst_sel:BYTE_1 dst_unused:UNUSED_PAD src0_sel:DWORD src1_sel:DWORD
	v_or_b32_e32 v12, v12, v15
	s_mov_b32 s4, 0xffff
	v_or_b32_sdwa v12, v12, v14 dst_sel:DWORD dst_unused:UNUSED_PAD src0_sel:WORD_0 src1_sel:DWORD
	v_and_b32_sdwa v13, s4, v13 dst_sel:DWORD dst_unused:UNUSED_PAD src0_sel:DWORD src1_sel:BYTE_0
.LBB955_239:
	s_or_b64 exec, exec, s[2:3]
	s_andn2_b64 vcc, exec, s[12:13]
	s_cbranch_vccnz .LBB955_241
; %bb.240:
	v_cmp_gt_u32_e32 vcc, s48, v1
	v_cndmask_b32_e32 v1, 0, v12, vcc
	v_and_b32_e32 v1, 0xffff00ff, v1
	v_cmp_gt_u32_e64 s[2:3], s48, v24
	v_cndmask_b32_e64 v1, v1, v12, s[2:3]
	s_waitcnt vmcnt(0) lgkmcnt(0)
	v_lshrrev_b32_e32 v14, 24, v1
	s_mov_b32 s4, 0x40c0100
	v_perm_b32 v1, v14, v1, s4
	v_cmp_gt_u32_e64 s[4:5], s48, v22
	v_cmp_gt_u32_e64 s[6:7], s48, v25
	v_cndmask_b32_e64 v1, v1, v12, s[4:5]
	s_or_b64 s[4:5], s[6:7], s[4:5]
	s_or_b64 s[2:3], s[4:5], s[2:3]
	s_or_b64 vcc, s[2:3], vcc
	v_and_b32_e32 v1, 0xffffff, v1
	v_cndmask_b32_e32 v14, 0, v13, vcc
	v_cndmask_b32_e64 v1, v1, v12, s[6:7]
	v_and_b32_e32 v14, 0xffffff00, v14
	v_cmp_gt_u32_e32 vcc, s48, v23
	v_cndmask_b32_e32 v1, v1, v12, vcc
	v_cndmask_b32_e32 v12, v14, v13, vcc
	s_mov_b32 s2, 0x3020104
	v_and_b32_e32 v13, 0xff, v12
	v_perm_b32 v12, v1, v1, s2
.LBB955_241:
	v_and_b32_e32 v1, 0xff, v12
	v_bfe_u32 v25, v12, 8, 8
	v_bfe_u32 v27, v12, 16, 8
	s_waitcnt vmcnt(0) lgkmcnt(0)
	v_alignbit_b32 v14, v13, v12, 24
	v_and_b32_e32 v28, 0xff, v14
	v_and_b32_e32 v14, 0xff, v13
	v_add3_u32 v15, v25, v1, v27
	v_add3_u32 v31, v15, v28, v14
	v_mbcnt_lo_u32_b32 v14, -1, 0
	v_mbcnt_hi_u32_b32 v29, -1, v14
	v_and_b32_e32 v14, 15, v29
	v_cmp_eq_u32_e64 s[14:15], 0, v14
	v_cmp_lt_u32_e64 s[12:13], 1, v14
	v_cmp_lt_u32_e64 s[10:11], 3, v14
	;; [unrolled: 1-line block ×3, first 2 shown]
	v_and_b32_e32 v14, 16, v29
	v_cmp_eq_u32_e64 s[6:7], 0, v14
	v_or_b32_e32 v14, 63, v0
	v_cmp_lt_u32_e64 s[2:3], 31, v29
	v_lshrrev_b32_e32 v30, 6, v0
	v_cmp_eq_u32_e64 s[4:5], v14, v0
	s_and_b64 vcc, exec, s[34:35]
	s_barrier
	s_cbranch_vccz .LBB955_268
; %bb.242:
	v_mov_b32_dpp v14, v31 row_shr:1 row_mask:0xf bank_mask:0xf
	v_cndmask_b32_e64 v14, v14, 0, s[14:15]
	v_add_u32_e32 v14, v14, v31
	s_nop 1
	v_mov_b32_dpp v15, v14 row_shr:2 row_mask:0xf bank_mask:0xf
	v_cndmask_b32_e64 v15, 0, v15, s[12:13]
	v_add_u32_e32 v14, v14, v15
	s_nop 1
	;; [unrolled: 4-line block ×4, first 2 shown]
	v_mov_b32_dpp v15, v14 row_bcast:15 row_mask:0xf bank_mask:0xf
	v_cndmask_b32_e64 v15, v15, 0, s[6:7]
	v_add_u32_e32 v14, v14, v15
	s_nop 1
	v_mov_b32_dpp v15, v14 row_bcast:31 row_mask:0xf bank_mask:0xf
	v_cndmask_b32_e64 v15, 0, v15, s[2:3]
	v_add_u32_e32 v14, v14, v15
	s_and_saveexec_b64 s[16:17], s[4:5]
	s_cbranch_execz .LBB955_244
; %bb.243:
	v_lshlrev_b32_e32 v15, 2, v30
	ds_write_b32 v15, v14
.LBB955_244:
	s_or_b64 exec, exec, s[16:17]
	v_cmp_gt_u32_e32 vcc, 4, v0
	s_waitcnt lgkmcnt(0)
	s_barrier
	s_and_saveexec_b64 s[16:17], vcc
	s_cbranch_execz .LBB955_246
; %bb.245:
	v_lshlrev_b32_e32 v15, 2, v0
	ds_read_b32 v16, v15
	v_and_b32_e32 v17, 3, v29
	v_cmp_ne_u32_e32 vcc, 0, v17
	s_waitcnt lgkmcnt(0)
	v_mov_b32_dpp v18, v16 row_shr:1 row_mask:0xf bank_mask:0xf
	v_cndmask_b32_e32 v18, 0, v18, vcc
	v_add_u32_e32 v16, v18, v16
	v_cmp_lt_u32_e32 vcc, 1, v17
	s_nop 0
	v_mov_b32_dpp v18, v16 row_shr:2 row_mask:0xf bank_mask:0xf
	v_cndmask_b32_e32 v17, 0, v18, vcc
	v_add_u32_e32 v16, v16, v17
	ds_write_b32 v15, v16
.LBB955_246:
	s_or_b64 exec, exec, s[16:17]
	v_cmp_gt_u32_e32 vcc, 64, v0
	v_cmp_lt_u32_e64 s[16:17], 63, v0
	s_waitcnt lgkmcnt(0)
	s_barrier
	s_waitcnt lgkmcnt(0)
                                        ; implicit-def: $vgpr24
	s_and_saveexec_b64 s[26:27], s[16:17]
	s_cbranch_execz .LBB955_248
; %bb.247:
	v_lshl_add_u32 v15, v30, 2, -4
	ds_read_b32 v24, v15
	s_waitcnt lgkmcnt(0)
	v_add_u32_e32 v14, v24, v14
.LBB955_248:
	s_or_b64 exec, exec, s[26:27]
	v_add_u32_e32 v15, -1, v29
	v_and_b32_e32 v16, 64, v29
	v_cmp_lt_i32_e64 s[16:17], v15, v16
	v_cndmask_b32_e64 v15, v15, v29, s[16:17]
	v_lshlrev_b32_e32 v15, 2, v15
	ds_bpermute_b32 v26, v15, v14
	v_cmp_eq_u32_e64 s[16:17], 0, v29
	s_and_saveexec_b64 s[26:27], vcc
	s_cbranch_execz .LBB955_267
; %bb.249:
	v_mov_b32_e32 v21, 0
	ds_read_b32 v14, v21 offset:12
	s_and_saveexec_b64 s[34:35], s[16:17]
	s_cbranch_execz .LBB955_251
; %bb.250:
	s_add_i32 s36, s33, 64
	s_mov_b32 s37, 0
	s_lshl_b64 s[36:37], s[36:37], 3
	s_add_u32 s36, s18, s36
	v_mov_b32_e32 v15, 1
	s_addc_u32 s37, s19, s37
	s_waitcnt lgkmcnt(0)
	global_store_dwordx2 v21, v[14:15], s[36:37]
.LBB955_251:
	s_or_b64 exec, exec, s[34:35]
	v_xad_u32 v16, v29, -1, s33
	v_add_u32_e32 v20, 64, v16
	v_lshlrev_b64 v[18:19], 3, v[20:21]
	v_mov_b32_e32 v15, s19
	v_add_co_u32_e32 v22, vcc, s18, v18
	v_addc_co_u32_e32 v23, vcc, v15, v19, vcc
	global_load_dwordx2 v[18:19], v[22:23], off glc
	s_waitcnt vmcnt(0)
	v_cmp_eq_u16_sdwa s[36:37], v19, v21 src0_sel:BYTE_0 src1_sel:DWORD
	s_and_saveexec_b64 s[34:35], s[36:37]
	s_cbranch_execz .LBB955_255
; %bb.252:
	s_mov_b64 s[36:37], 0
	v_mov_b32_e32 v15, 0
.LBB955_253:                            ; =>This Inner Loop Header: Depth=1
	global_load_dwordx2 v[18:19], v[22:23], off glc
	s_waitcnt vmcnt(0)
	v_cmp_ne_u16_sdwa s[38:39], v19, v15 src0_sel:BYTE_0 src1_sel:DWORD
	s_or_b64 s[36:37], s[38:39], s[36:37]
	s_andn2_b64 exec, exec, s[36:37]
	s_cbranch_execnz .LBB955_253
; %bb.254:
	s_or_b64 exec, exec, s[36:37]
.LBB955_255:
	s_or_b64 exec, exec, s[34:35]
	v_and_b32_e32 v32, 63, v29
	v_mov_b32_e32 v15, 2
	v_cmp_ne_u32_e32 vcc, 63, v32
	v_cmp_eq_u16_sdwa s[34:35], v19, v15 src0_sel:BYTE_0 src1_sel:DWORD
	v_lshlrev_b64 v[20:21], v29, -1
	v_addc_co_u32_e32 v23, vcc, 0, v29, vcc
	v_and_b32_e32 v17, s35, v21
	v_lshlrev_b32_e32 v33, 2, v23
	v_or_b32_e32 v17, 0x80000000, v17
	ds_bpermute_b32 v23, v33, v18
	v_and_b32_e32 v22, s34, v20
	v_ffbl_b32_e32 v17, v17
	v_add_u32_e32 v17, 32, v17
	v_ffbl_b32_e32 v22, v22
	v_min_u32_e32 v17, v22, v17
	v_cmp_lt_u32_e32 vcc, v32, v17
	s_waitcnt lgkmcnt(0)
	v_cndmask_b32_e32 v22, 0, v23, vcc
	v_cmp_gt_u32_e32 vcc, 62, v32
	v_add_u32_e32 v18, v22, v18
	v_cndmask_b32_e64 v22, 0, 1, vcc
	v_lshlrev_b32_e32 v22, 1, v22
	v_add_lshl_u32 v34, v22, v29, 2
	ds_bpermute_b32 v22, v34, v18
	v_add_u32_e32 v35, 2, v32
	v_cmp_le_u32_e32 vcc, v35, v17
	v_add_u32_e32 v37, 4, v32
	v_add_u32_e32 v39, 8, v32
	s_waitcnt lgkmcnt(0)
	v_cndmask_b32_e32 v22, 0, v22, vcc
	v_cmp_gt_u32_e32 vcc, 60, v32
	v_add_u32_e32 v18, v18, v22
	v_cndmask_b32_e64 v22, 0, 1, vcc
	v_lshlrev_b32_e32 v22, 2, v22
	v_add_lshl_u32 v36, v22, v29, 2
	ds_bpermute_b32 v22, v36, v18
	v_cmp_le_u32_e32 vcc, v37, v17
	v_add_u32_e32 v42, 16, v32
	v_add_u32_e32 v44, 32, v32
	s_waitcnt lgkmcnt(0)
	v_cndmask_b32_e32 v22, 0, v22, vcc
	v_cmp_gt_u32_e32 vcc, 56, v32
	v_add_u32_e32 v18, v18, v22
	v_cndmask_b32_e64 v22, 0, 1, vcc
	v_lshlrev_b32_e32 v22, 3, v22
	v_add_lshl_u32 v38, v22, v29, 2
	ds_bpermute_b32 v22, v38, v18
	v_cmp_le_u32_e32 vcc, v39, v17
	s_waitcnt lgkmcnt(0)
	v_cndmask_b32_e32 v22, 0, v22, vcc
	v_cmp_gt_u32_e32 vcc, 48, v32
	v_add_u32_e32 v18, v18, v22
	v_cndmask_b32_e64 v22, 0, 1, vcc
	v_lshlrev_b32_e32 v22, 4, v22
	v_add_lshl_u32 v41, v22, v29, 2
	ds_bpermute_b32 v22, v41, v18
	v_cmp_le_u32_e32 vcc, v42, v17
	;; [unrolled: 9-line block ×3, first 2 shown]
	s_waitcnt lgkmcnt(0)
	v_cndmask_b32_e32 v17, 0, v22, vcc
	v_add_u32_e32 v18, v18, v17
	v_mov_b32_e32 v17, 0
	s_branch .LBB955_257
.LBB955_256:                            ;   in Loop: Header=BB955_257 Depth=1
	s_or_b64 exec, exec, s[34:35]
	v_cmp_eq_u16_sdwa s[34:35], v19, v15 src0_sel:BYTE_0 src1_sel:DWORD
	v_and_b32_e32 v22, s35, v21
	v_or_b32_e32 v22, 0x80000000, v22
	ds_bpermute_b32 v45, v33, v18
	v_and_b32_e32 v23, s34, v20
	v_ffbl_b32_e32 v22, v22
	v_add_u32_e32 v22, 32, v22
	v_ffbl_b32_e32 v23, v23
	v_min_u32_e32 v22, v23, v22
	v_cmp_lt_u32_e32 vcc, v32, v22
	s_waitcnt lgkmcnt(0)
	v_cndmask_b32_e32 v23, 0, v45, vcc
	v_add_u32_e32 v18, v23, v18
	ds_bpermute_b32 v23, v34, v18
	v_cmp_le_u32_e32 vcc, v35, v22
	v_subrev_u32_e32 v16, 64, v16
	s_waitcnt lgkmcnt(0)
	v_cndmask_b32_e32 v23, 0, v23, vcc
	v_add_u32_e32 v18, v18, v23
	ds_bpermute_b32 v23, v36, v18
	v_cmp_le_u32_e32 vcc, v37, v22
	s_waitcnt lgkmcnt(0)
	v_cndmask_b32_e32 v23, 0, v23, vcc
	v_add_u32_e32 v18, v18, v23
	ds_bpermute_b32 v23, v38, v18
	v_cmp_le_u32_e32 vcc, v39, v22
	;; [unrolled: 5-line block ×4, first 2 shown]
	s_waitcnt lgkmcnt(0)
	v_cndmask_b32_e32 v22, 0, v23, vcc
	v_add3_u32 v18, v22, v40, v18
.LBB955_257:                            ; =>This Loop Header: Depth=1
                                        ;     Child Loop BB955_260 Depth 2
	v_cmp_ne_u16_sdwa s[34:35], v19, v15 src0_sel:BYTE_0 src1_sel:DWORD
	v_cndmask_b32_e64 v19, 0, 1, s[34:35]
	;;#ASMSTART
	;;#ASMEND
	v_cmp_ne_u32_e32 vcc, 0, v19
	s_cmp_lg_u64 vcc, exec
	v_mov_b32_e32 v40, v18
	s_cbranch_scc1 .LBB955_262
; %bb.258:                              ;   in Loop: Header=BB955_257 Depth=1
	v_lshlrev_b64 v[18:19], 3, v[16:17]
	v_mov_b32_e32 v23, s19
	v_add_co_u32_e32 v22, vcc, s18, v18
	v_addc_co_u32_e32 v23, vcc, v23, v19, vcc
	global_load_dwordx2 v[18:19], v[22:23], off glc
	s_waitcnt vmcnt(0)
	v_cmp_eq_u16_sdwa s[36:37], v19, v17 src0_sel:BYTE_0 src1_sel:DWORD
	s_and_saveexec_b64 s[34:35], s[36:37]
	s_cbranch_execz .LBB955_256
; %bb.259:                              ;   in Loop: Header=BB955_257 Depth=1
	s_mov_b64 s[36:37], 0
.LBB955_260:                            ;   Parent Loop BB955_257 Depth=1
                                        ; =>  This Inner Loop Header: Depth=2
	global_load_dwordx2 v[18:19], v[22:23], off glc
	s_waitcnt vmcnt(0)
	v_cmp_ne_u16_sdwa s[38:39], v19, v17 src0_sel:BYTE_0 src1_sel:DWORD
	s_or_b64 s[36:37], s[38:39], s[36:37]
	s_andn2_b64 exec, exec, s[36:37]
	s_cbranch_execnz .LBB955_260
; %bb.261:                              ;   in Loop: Header=BB955_257 Depth=1
	s_or_b64 exec, exec, s[36:37]
	s_branch .LBB955_256
.LBB955_262:                            ;   in Loop: Header=BB955_257 Depth=1
                                        ; implicit-def: $vgpr18
                                        ; implicit-def: $vgpr19
	s_cbranch_execz .LBB955_257
; %bb.263:
	s_and_saveexec_b64 s[34:35], s[16:17]
	s_cbranch_execz .LBB955_265
; %bb.264:
	s_add_i32 s36, s33, 64
	s_mov_b32 s37, 0
	s_lshl_b64 s[36:37], s[36:37], 3
	s_add_u32 s36, s18, s36
	v_add_u32_e32 v16, v40, v14
	v_mov_b32_e32 v17, 2
	s_addc_u32 s37, s19, s37
	v_mov_b32_e32 v15, 0
	s_movk_i32 s33, 0x2800
	global_store_dwordx2 v15, v[16:17], s[36:37]
	v_add_u32_e64 v15, s33, 0
	ds_write2_b32 v15, v14, v40 offset1:2
.LBB955_265:
	s_or_b64 exec, exec, s[34:35]
	s_and_b64 exec, exec, s[0:1]
	s_cbranch_execz .LBB955_267
; %bb.266:
	v_mov_b32_e32 v14, 0
	ds_write_b32 v14, v40 offset:12
.LBB955_267:
	s_or_b64 exec, exec, s[26:27]
	v_mov_b32_e32 v14, 0
	s_waitcnt lgkmcnt(0)
	s_barrier
	ds_read_b32 v14, v14 offset:12
	v_cndmask_b32_e64 v15, v26, v24, s[16:17]
	v_cndmask_b32_e64 v15, v15, 0, s[0:1]
	s_movk_i32 s16, 0x2800
	s_waitcnt lgkmcnt(0)
	v_add_u32_e32 v26, v14, v15
	v_add_u32_e64 v14, s16, 0
	s_barrier
	ds_read2_b32 v[14:15], v14 offset1:2
	v_add_u32_e32 v24, v26, v1
	v_add_u32_e32 v22, v24, v25
	;; [unrolled: 1-line block ×4, first 2 shown]
	v_lshrrev_b64 v[16:17], 24, v[12:13]
	s_branch .LBB955_278
.LBB955_268:
                                        ; implicit-def: $vgpr18
                                        ; implicit-def: $vgpr20
                                        ; implicit-def: $vgpr22
                                        ; implicit-def: $vgpr24
                                        ; implicit-def: $vgpr26
                                        ; implicit-def: $vgpr15
	v_lshrrev_b64 v[16:17], 24, v[12:13]
	s_cbranch_execz .LBB955_278
; %bb.269:
	s_waitcnt lgkmcnt(0)
	v_mov_b32_dpp v14, v31 row_shr:1 row_mask:0xf bank_mask:0xf
	v_cndmask_b32_e64 v14, v14, 0, s[14:15]
	v_add_u32_e32 v14, v14, v31
	s_nop 1
	v_mov_b32_dpp v15, v14 row_shr:2 row_mask:0xf bank_mask:0xf
	v_cndmask_b32_e64 v15, 0, v15, s[12:13]
	v_add_u32_e32 v14, v14, v15
	s_nop 1
	;; [unrolled: 4-line block ×4, first 2 shown]
	v_mov_b32_dpp v15, v14 row_bcast:15 row_mask:0xf bank_mask:0xf
	v_cndmask_b32_e64 v15, v15, 0, s[6:7]
	v_add_u32_e32 v14, v14, v15
	s_nop 1
	v_mov_b32_dpp v15, v14 row_bcast:31 row_mask:0xf bank_mask:0xf
	v_cndmask_b32_e64 v15, 0, v15, s[2:3]
	v_add_u32_e32 v14, v14, v15
	s_and_saveexec_b64 s[2:3], s[4:5]
	s_cbranch_execz .LBB955_271
; %bb.270:
	v_lshlrev_b32_e32 v15, 2, v30
	ds_write_b32 v15, v14
.LBB955_271:
	s_or_b64 exec, exec, s[2:3]
	v_cmp_gt_u32_e32 vcc, 4, v0
	s_waitcnt lgkmcnt(0)
	s_barrier
	s_and_saveexec_b64 s[2:3], vcc
	s_cbranch_execz .LBB955_273
; %bb.272:
	v_lshlrev_b32_e32 v15, 2, v0
	ds_read_b32 v17, v15
	v_and_b32_e32 v18, 3, v29
	v_cmp_ne_u32_e32 vcc, 0, v18
	s_waitcnt lgkmcnt(0)
	v_mov_b32_dpp v19, v17 row_shr:1 row_mask:0xf bank_mask:0xf
	v_cndmask_b32_e32 v19, 0, v19, vcc
	v_add_u32_e32 v17, v19, v17
	v_cmp_lt_u32_e32 vcc, 1, v18
	s_nop 0
	v_mov_b32_dpp v19, v17 row_shr:2 row_mask:0xf bank_mask:0xf
	v_cndmask_b32_e32 v18, 0, v19, vcc
	v_add_u32_e32 v17, v17, v18
	ds_write_b32 v15, v17
.LBB955_273:
	s_or_b64 exec, exec, s[2:3]
	v_cmp_lt_u32_e32 vcc, 63, v0
	v_mov_b32_e32 v15, 0
	v_mov_b32_e32 v17, 0
	s_waitcnt lgkmcnt(0)
	s_barrier
	s_and_saveexec_b64 s[2:3], vcc
	s_cbranch_execz .LBB955_275
; %bb.274:
	v_lshl_add_u32 v17, v30, 2, -4
	ds_read_b32 v17, v17
.LBB955_275:
	s_or_b64 exec, exec, s[2:3]
	v_add_u32_e32 v18, -1, v29
	v_and_b32_e32 v19, 64, v29
	v_cmp_lt_i32_e32 vcc, v18, v19
	v_cndmask_b32_e32 v18, v18, v29, vcc
	s_waitcnt lgkmcnt(0)
	v_add_u32_e32 v14, v17, v14
	v_lshlrev_b32_e32 v18, 2, v18
	ds_bpermute_b32 v18, v18, v14
	ds_read_b32 v14, v15 offset:12
	s_and_saveexec_b64 s[2:3], s[0:1]
	s_cbranch_execz .LBB955_277
; %bb.276:
	v_mov_b32_e32 v19, 0
	v_mov_b32_e32 v15, 2
	s_waitcnt lgkmcnt(0)
	global_store_dwordx2 v19, v[14:15], s[18:19] offset:512
.LBB955_277:
	s_or_b64 exec, exec, s[2:3]
	v_cmp_eq_u32_e32 vcc, 0, v29
	s_waitcnt lgkmcnt(1)
	v_cndmask_b32_e32 v17, v18, v17, vcc
	v_cndmask_b32_e64 v26, v17, 0, s[0:1]
	v_add_u32_e32 v24, v26, v1
	v_add_u32_e32 v22, v24, v25
	;; [unrolled: 1-line block ×3, first 2 shown]
	v_mov_b32_e32 v15, 0
	v_add_u32_e32 v18, v20, v28
	s_waitcnt lgkmcnt(0)
	s_barrier
.LBB955_278:
	s_movk_i32 s2, 0x101
	s_waitcnt lgkmcnt(0)
	v_cmp_gt_u32_e32 vcc, s2, v14
	v_lshrrev_b32_e32 v1, 8, v12
	s_mov_b64 s[2:3], -1
	s_cbranch_vccnz .LBB955_282
; %bb.279:
	s_and_b64 vcc, exec, s[2:3]
	s_cbranch_vccnz .LBB955_298
.LBB955_280:
	s_and_b64 s[0:1], s[0:1], s[24:25]
	s_and_saveexec_b64 s[2:3], s[0:1]
	s_cbranch_execnz .LBB955_312
.LBB955_281:
	s_endpgm
.LBB955_282:
	v_add_u32_e32 v17, v15, v14
	v_cmp_lt_u32_e32 vcc, v26, v17
	s_or_b64 s[4:5], s[30:31], vcc
	s_and_saveexec_b64 s[2:3], s[4:5]
	s_cbranch_execz .LBB955_285
; %bb.283:
	v_and_b32_e32 v19, 1, v12
	v_cmp_eq_u32_e32 vcc, 1, v19
	s_and_b64 exec, exec, vcc
	s_cbranch_execz .LBB955_285
; %bb.284:
	s_lshl_b64 s[4:5], s[22:23], 3
	s_add_u32 s4, s28, s4
	v_mov_b32_e32 v27, 0
	s_addc_u32 s5, s29, s5
	v_lshlrev_b64 v[28:29], 3, v[26:27]
	v_mov_b32_e32 v19, s5
	v_add_co_u32_e32 v28, vcc, s4, v28
	v_addc_co_u32_e32 v29, vcc, v19, v29, vcc
	global_store_dwordx2 v[28:29], v[6:7], off
.LBB955_285:
	s_or_b64 exec, exec, s[2:3]
	v_cmp_lt_u32_e32 vcc, v24, v17
	s_or_b64 s[4:5], s[30:31], vcc
	s_and_saveexec_b64 s[2:3], s[4:5]
	s_cbranch_execz .LBB955_288
; %bb.286:
	v_and_b32_e32 v19, 1, v1
	v_cmp_eq_u32_e32 vcc, 1, v19
	s_and_b64 exec, exec, vcc
	s_cbranch_execz .LBB955_288
; %bb.287:
	s_lshl_b64 s[4:5], s[22:23], 3
	s_add_u32 s4, s28, s4
	v_mov_b32_e32 v25, 0
	s_addc_u32 s5, s29, s5
	v_lshlrev_b64 v[28:29], 3, v[24:25]
	v_mov_b32_e32 v19, s5
	v_add_co_u32_e32 v28, vcc, s4, v28
	v_addc_co_u32_e32 v29, vcc, v19, v29, vcc
	global_store_dwordx2 v[28:29], v[8:9], off
.LBB955_288:
	s_or_b64 exec, exec, s[2:3]
	v_cmp_lt_u32_e32 vcc, v22, v17
	s_or_b64 s[4:5], s[30:31], vcc
	s_and_saveexec_b64 s[2:3], s[4:5]
	s_cbranch_execz .LBB955_291
; %bb.289:
	v_mov_b32_e32 v19, 1
	v_and_b32_sdwa v19, v19, v12 dst_sel:DWORD dst_unused:UNUSED_PAD src0_sel:DWORD src1_sel:WORD_1
	v_cmp_eq_u32_e32 vcc, 1, v19
	s_and_b64 exec, exec, vcc
	s_cbranch_execz .LBB955_291
; %bb.290:
	s_lshl_b64 s[4:5], s[22:23], 3
	s_add_u32 s4, s28, s4
	v_mov_b32_e32 v23, 0
	s_addc_u32 s5, s29, s5
	v_lshlrev_b64 v[28:29], 3, v[22:23]
	v_mov_b32_e32 v19, s5
	v_add_co_u32_e32 v28, vcc, s4, v28
	v_addc_co_u32_e32 v29, vcc, v19, v29, vcc
	global_store_dwordx2 v[28:29], v[2:3], off
.LBB955_291:
	s_or_b64 exec, exec, s[2:3]
	v_cmp_lt_u32_e32 vcc, v20, v17
	s_or_b64 s[4:5], s[30:31], vcc
	s_and_saveexec_b64 s[2:3], s[4:5]
	s_cbranch_execz .LBB955_294
; %bb.292:
	v_and_b32_e32 v19, 1, v16
	v_cmp_eq_u32_e32 vcc, 1, v19
	s_and_b64 exec, exec, vcc
	s_cbranch_execz .LBB955_294
; %bb.293:
	s_lshl_b64 s[4:5], s[22:23], 3
	s_add_u32 s4, s28, s4
	v_mov_b32_e32 v21, 0
	s_addc_u32 s5, s29, s5
	v_lshlrev_b64 v[28:29], 3, v[20:21]
	v_mov_b32_e32 v19, s5
	v_add_co_u32_e32 v28, vcc, s4, v28
	v_addc_co_u32_e32 v29, vcc, v19, v29, vcc
	global_store_dwordx2 v[28:29], v[4:5], off
.LBB955_294:
	s_or_b64 exec, exec, s[2:3]
	v_cmp_lt_u32_e32 vcc, v18, v17
	s_or_b64 s[4:5], s[30:31], vcc
	s_and_saveexec_b64 s[2:3], s[4:5]
	s_cbranch_execz .LBB955_297
; %bb.295:
	v_and_b32_e32 v17, 1, v13
	v_cmp_eq_u32_e32 vcc, 1, v17
	s_and_b64 exec, exec, vcc
	s_cbranch_execz .LBB955_297
; %bb.296:
	s_lshl_b64 s[4:5], s[22:23], 3
	s_add_u32 s4, s28, s4
	v_mov_b32_e32 v19, 0
	s_addc_u32 s5, s29, s5
	v_lshlrev_b64 v[28:29], 3, v[18:19]
	v_mov_b32_e32 v17, s5
	v_add_co_u32_e32 v28, vcc, s4, v28
	v_addc_co_u32_e32 v29, vcc, v17, v29, vcc
	global_store_dwordx2 v[28:29], v[10:11], off
.LBB955_297:
	s_or_b64 exec, exec, s[2:3]
	s_branch .LBB955_280
.LBB955_298:
	v_and_b32_e32 v17, 1, v12
	v_cmp_eq_u32_e32 vcc, 1, v17
	s_and_saveexec_b64 s[2:3], vcc
	s_cbranch_execz .LBB955_300
; %bb.299:
	v_sub_u32_e32 v17, v26, v15
	v_lshlrev_b32_e32 v17, 3, v17
	ds_write_b64 v17, v[6:7]
.LBB955_300:
	s_or_b64 exec, exec, s[2:3]
	v_and_b32_e32 v1, 1, v1
	v_cmp_eq_u32_e32 vcc, 1, v1
	s_and_saveexec_b64 s[2:3], vcc
	s_cbranch_execz .LBB955_302
; %bb.301:
	v_sub_u32_e32 v1, v24, v15
	v_lshlrev_b32_e32 v1, 3, v1
	ds_write_b64 v1, v[8:9]
.LBB955_302:
	s_or_b64 exec, exec, s[2:3]
	v_mov_b32_e32 v1, 1
	v_and_b32_sdwa v1, v1, v12 dst_sel:DWORD dst_unused:UNUSED_PAD src0_sel:DWORD src1_sel:WORD_1
	v_cmp_eq_u32_e32 vcc, 1, v1
	s_and_saveexec_b64 s[2:3], vcc
	s_cbranch_execz .LBB955_304
; %bb.303:
	v_sub_u32_e32 v1, v22, v15
	v_lshlrev_b32_e32 v1, 3, v1
	ds_write_b64 v1, v[2:3]
.LBB955_304:
	s_or_b64 exec, exec, s[2:3]
	v_and_b32_e32 v1, 1, v16
	v_cmp_eq_u32_e32 vcc, 1, v1
	s_and_saveexec_b64 s[2:3], vcc
	s_cbranch_execz .LBB955_306
; %bb.305:
	v_sub_u32_e32 v1, v20, v15
	v_lshlrev_b32_e32 v1, 3, v1
	ds_write_b64 v1, v[4:5]
.LBB955_306:
	s_or_b64 exec, exec, s[2:3]
	v_and_b32_e32 v1, 1, v13
	v_cmp_eq_u32_e32 vcc, 1, v1
	s_and_saveexec_b64 s[2:3], vcc
	s_cbranch_execz .LBB955_308
; %bb.307:
	v_sub_u32_e32 v1, v18, v15
	v_lshlrev_b32_e32 v1, 3, v1
	ds_write_b64 v1, v[10:11]
.LBB955_308:
	s_or_b64 exec, exec, s[2:3]
	v_cmp_lt_u32_e32 vcc, v0, v14
	s_waitcnt lgkmcnt(0)
	s_barrier
	s_and_saveexec_b64 s[2:3], vcc
	s_cbranch_execz .LBB955_311
; %bb.309:
	v_mov_b32_e32 v1, 0
	v_mov_b32_e32 v2, v15
	;; [unrolled: 1-line block ×3, first 2 shown]
	v_lshlrev_b64 v[2:3], 3, v[2:3]
	v_mov_b32_e32 v4, s29
	v_add_co_u32_e32 v2, vcc, s28, v2
	v_addc_co_u32_e32 v3, vcc, v4, v3, vcc
	s_lshl_b64 s[4:5], s[22:23], 3
	v_mov_b32_e32 v4, s5
	v_add_co_u32_e32 v2, vcc, s4, v2
	v_addc_co_u32_e32 v3, vcc, v3, v4, vcc
	v_lshlrev_b32_e32 v4, 3, v0
	s_mov_b64 s[4:5], 0
.LBB955_310:                            ; =>This Inner Loop Header: Depth=1
	ds_read_b64 v[6:7], v4
	v_lshlrev_b64 v[8:9], 3, v[0:1]
	v_add_co_u32_e32 v8, vcc, v2, v8
	v_add_u32_e32 v0, 0x100, v0
	v_addc_co_u32_e32 v9, vcc, v3, v9, vcc
	v_cmp_ge_u32_e32 vcc, v0, v14
	v_add_u32_e32 v4, 0x800, v4
	s_or_b64 s[4:5], vcc, s[4:5]
	s_waitcnt lgkmcnt(0)
	global_store_dwordx2 v[8:9], v[6:7], off
	s_andn2_b64 exec, exec, s[4:5]
	s_cbranch_execnz .LBB955_310
.LBB955_311:
	s_or_b64 exec, exec, s[2:3]
	s_and_b64 s[0:1], s[0:1], s[24:25]
	s_and_saveexec_b64 s[2:3], s[0:1]
	s_cbranch_execz .LBB955_281
.LBB955_312:
	v_mov_b32_e32 v0, s23
	v_add_co_u32_e32 v1, vcc, s22, v14
	v_addc_co_u32_e32 v3, vcc, 0, v0, vcc
	v_add_co_u32_e32 v0, vcc, v1, v15
	v_mov_b32_e32 v2, 0
	v_addc_co_u32_e32 v1, vcc, 0, v3, vcc
	global_store_dwordx2 v2, v[0:1], s[20:21]
	s_endpgm
	.section	.rodata,"a",@progbits
	.p2align	6, 0x0
	.amdhsa_kernel _ZN7rocprim17ROCPRIM_400000_NS6detail17trampoline_kernelINS0_14default_configENS1_25partition_config_selectorILNS1_17partition_subalgoE8ElNS0_10empty_typeEbEEZZNS1_14partition_implILS5_8ELb0ES3_jPlPS6_PKS6_NS0_5tupleIJS9_S6_EEENSD_IJSA_SA_EEENS0_18inequality_wrapperIZN2at6native12_GLOBAL__N_124unique_dim_cuda_templateIfEESt5tupleIJNSH_6TensorESM_SM_EERKSM_lbbbEUlllE0_EEPmJS6_EEE10hipError_tPvRmT3_T4_T5_T6_T7_T9_mT8_P12ihipStream_tbDpT10_ENKUlT_T0_E_clISt17integral_constantIbLb0EES1B_IbLb1EEEEDaS17_S18_EUlS17_E_NS1_11comp_targetILNS1_3genE4ELNS1_11target_archE910ELNS1_3gpuE8ELNS1_3repE0EEENS1_30default_config_static_selectorELNS0_4arch9wavefront6targetE1EEEvT1_
		.amdhsa_group_segment_fixed_size 10252
		.amdhsa_private_segment_fixed_size 0
		.amdhsa_kernarg_size 136
		.amdhsa_user_sgpr_count 6
		.amdhsa_user_sgpr_private_segment_buffer 1
		.amdhsa_user_sgpr_dispatch_ptr 0
		.amdhsa_user_sgpr_queue_ptr 0
		.amdhsa_user_sgpr_kernarg_segment_ptr 1
		.amdhsa_user_sgpr_dispatch_id 0
		.amdhsa_user_sgpr_flat_scratch_init 0
		.amdhsa_user_sgpr_kernarg_preload_length 0
		.amdhsa_user_sgpr_kernarg_preload_offset 0
		.amdhsa_user_sgpr_private_segment_size 0
		.amdhsa_uses_dynamic_stack 0
		.amdhsa_system_sgpr_private_segment_wavefront_offset 0
		.amdhsa_system_sgpr_workgroup_id_x 1
		.amdhsa_system_sgpr_workgroup_id_y 0
		.amdhsa_system_sgpr_workgroup_id_z 0
		.amdhsa_system_sgpr_workgroup_info 0
		.amdhsa_system_vgpr_workitem_id 0
		.amdhsa_next_free_vgpr 46
		.amdhsa_next_free_sgpr 52
		.amdhsa_accum_offset 48
		.amdhsa_reserve_vcc 1
		.amdhsa_reserve_flat_scratch 0
		.amdhsa_float_round_mode_32 0
		.amdhsa_float_round_mode_16_64 0
		.amdhsa_float_denorm_mode_32 3
		.amdhsa_float_denorm_mode_16_64 3
		.amdhsa_dx10_clamp 1
		.amdhsa_ieee_mode 1
		.amdhsa_fp16_overflow 0
		.amdhsa_tg_split 0
		.amdhsa_exception_fp_ieee_invalid_op 0
		.amdhsa_exception_fp_denorm_src 0
		.amdhsa_exception_fp_ieee_div_zero 0
		.amdhsa_exception_fp_ieee_overflow 0
		.amdhsa_exception_fp_ieee_underflow 0
		.amdhsa_exception_fp_ieee_inexact 0
		.amdhsa_exception_int_div_zero 0
	.end_amdhsa_kernel
	.section	.text._ZN7rocprim17ROCPRIM_400000_NS6detail17trampoline_kernelINS0_14default_configENS1_25partition_config_selectorILNS1_17partition_subalgoE8ElNS0_10empty_typeEbEEZZNS1_14partition_implILS5_8ELb0ES3_jPlPS6_PKS6_NS0_5tupleIJS9_S6_EEENSD_IJSA_SA_EEENS0_18inequality_wrapperIZN2at6native12_GLOBAL__N_124unique_dim_cuda_templateIfEESt5tupleIJNSH_6TensorESM_SM_EERKSM_lbbbEUlllE0_EEPmJS6_EEE10hipError_tPvRmT3_T4_T5_T6_T7_T9_mT8_P12ihipStream_tbDpT10_ENKUlT_T0_E_clISt17integral_constantIbLb0EES1B_IbLb1EEEEDaS17_S18_EUlS17_E_NS1_11comp_targetILNS1_3genE4ELNS1_11target_archE910ELNS1_3gpuE8ELNS1_3repE0EEENS1_30default_config_static_selectorELNS0_4arch9wavefront6targetE1EEEvT1_,"axG",@progbits,_ZN7rocprim17ROCPRIM_400000_NS6detail17trampoline_kernelINS0_14default_configENS1_25partition_config_selectorILNS1_17partition_subalgoE8ElNS0_10empty_typeEbEEZZNS1_14partition_implILS5_8ELb0ES3_jPlPS6_PKS6_NS0_5tupleIJS9_S6_EEENSD_IJSA_SA_EEENS0_18inequality_wrapperIZN2at6native12_GLOBAL__N_124unique_dim_cuda_templateIfEESt5tupleIJNSH_6TensorESM_SM_EERKSM_lbbbEUlllE0_EEPmJS6_EEE10hipError_tPvRmT3_T4_T5_T6_T7_T9_mT8_P12ihipStream_tbDpT10_ENKUlT_T0_E_clISt17integral_constantIbLb0EES1B_IbLb1EEEEDaS17_S18_EUlS17_E_NS1_11comp_targetILNS1_3genE4ELNS1_11target_archE910ELNS1_3gpuE8ELNS1_3repE0EEENS1_30default_config_static_selectorELNS0_4arch9wavefront6targetE1EEEvT1_,comdat
.Lfunc_end955:
	.size	_ZN7rocprim17ROCPRIM_400000_NS6detail17trampoline_kernelINS0_14default_configENS1_25partition_config_selectorILNS1_17partition_subalgoE8ElNS0_10empty_typeEbEEZZNS1_14partition_implILS5_8ELb0ES3_jPlPS6_PKS6_NS0_5tupleIJS9_S6_EEENSD_IJSA_SA_EEENS0_18inequality_wrapperIZN2at6native12_GLOBAL__N_124unique_dim_cuda_templateIfEESt5tupleIJNSH_6TensorESM_SM_EERKSM_lbbbEUlllE0_EEPmJS6_EEE10hipError_tPvRmT3_T4_T5_T6_T7_T9_mT8_P12ihipStream_tbDpT10_ENKUlT_T0_E_clISt17integral_constantIbLb0EES1B_IbLb1EEEEDaS17_S18_EUlS17_E_NS1_11comp_targetILNS1_3genE4ELNS1_11target_archE910ELNS1_3gpuE8ELNS1_3repE0EEENS1_30default_config_static_selectorELNS0_4arch9wavefront6targetE1EEEvT1_, .Lfunc_end955-_ZN7rocprim17ROCPRIM_400000_NS6detail17trampoline_kernelINS0_14default_configENS1_25partition_config_selectorILNS1_17partition_subalgoE8ElNS0_10empty_typeEbEEZZNS1_14partition_implILS5_8ELb0ES3_jPlPS6_PKS6_NS0_5tupleIJS9_S6_EEENSD_IJSA_SA_EEENS0_18inequality_wrapperIZN2at6native12_GLOBAL__N_124unique_dim_cuda_templateIfEESt5tupleIJNSH_6TensorESM_SM_EERKSM_lbbbEUlllE0_EEPmJS6_EEE10hipError_tPvRmT3_T4_T5_T6_T7_T9_mT8_P12ihipStream_tbDpT10_ENKUlT_T0_E_clISt17integral_constantIbLb0EES1B_IbLb1EEEEDaS17_S18_EUlS17_E_NS1_11comp_targetILNS1_3genE4ELNS1_11target_archE910ELNS1_3gpuE8ELNS1_3repE0EEENS1_30default_config_static_selectorELNS0_4arch9wavefront6targetE1EEEvT1_
                                        ; -- End function
	.section	.AMDGPU.csdata,"",@progbits
; Kernel info:
; codeLenInByte = 11572
; NumSgprs: 56
; NumVgprs: 46
; NumAgprs: 0
; TotalNumVgprs: 46
; ScratchSize: 0
; MemoryBound: 0
; FloatMode: 240
; IeeeMode: 1
; LDSByteSize: 10252 bytes/workgroup (compile time only)
; SGPRBlocks: 6
; VGPRBlocks: 5
; NumSGPRsForWavesPerEU: 56
; NumVGPRsForWavesPerEU: 46
; AccumOffset: 48
; Occupancy: 6
; WaveLimiterHint : 1
; COMPUTE_PGM_RSRC2:SCRATCH_EN: 0
; COMPUTE_PGM_RSRC2:USER_SGPR: 6
; COMPUTE_PGM_RSRC2:TRAP_HANDLER: 0
; COMPUTE_PGM_RSRC2:TGID_X_EN: 1
; COMPUTE_PGM_RSRC2:TGID_Y_EN: 0
; COMPUTE_PGM_RSRC2:TGID_Z_EN: 0
; COMPUTE_PGM_RSRC2:TIDIG_COMP_CNT: 0
; COMPUTE_PGM_RSRC3_GFX90A:ACCUM_OFFSET: 11
; COMPUTE_PGM_RSRC3_GFX90A:TG_SPLIT: 0
	.section	.text._ZN7rocprim17ROCPRIM_400000_NS6detail17trampoline_kernelINS0_14default_configENS1_25partition_config_selectorILNS1_17partition_subalgoE8ElNS0_10empty_typeEbEEZZNS1_14partition_implILS5_8ELb0ES3_jPlPS6_PKS6_NS0_5tupleIJS9_S6_EEENSD_IJSA_SA_EEENS0_18inequality_wrapperIZN2at6native12_GLOBAL__N_124unique_dim_cuda_templateIfEESt5tupleIJNSH_6TensorESM_SM_EERKSM_lbbbEUlllE0_EEPmJS6_EEE10hipError_tPvRmT3_T4_T5_T6_T7_T9_mT8_P12ihipStream_tbDpT10_ENKUlT_T0_E_clISt17integral_constantIbLb0EES1B_IbLb1EEEEDaS17_S18_EUlS17_E_NS1_11comp_targetILNS1_3genE3ELNS1_11target_archE908ELNS1_3gpuE7ELNS1_3repE0EEENS1_30default_config_static_selectorELNS0_4arch9wavefront6targetE1EEEvT1_,"axG",@progbits,_ZN7rocprim17ROCPRIM_400000_NS6detail17trampoline_kernelINS0_14default_configENS1_25partition_config_selectorILNS1_17partition_subalgoE8ElNS0_10empty_typeEbEEZZNS1_14partition_implILS5_8ELb0ES3_jPlPS6_PKS6_NS0_5tupleIJS9_S6_EEENSD_IJSA_SA_EEENS0_18inequality_wrapperIZN2at6native12_GLOBAL__N_124unique_dim_cuda_templateIfEESt5tupleIJNSH_6TensorESM_SM_EERKSM_lbbbEUlllE0_EEPmJS6_EEE10hipError_tPvRmT3_T4_T5_T6_T7_T9_mT8_P12ihipStream_tbDpT10_ENKUlT_T0_E_clISt17integral_constantIbLb0EES1B_IbLb1EEEEDaS17_S18_EUlS17_E_NS1_11comp_targetILNS1_3genE3ELNS1_11target_archE908ELNS1_3gpuE7ELNS1_3repE0EEENS1_30default_config_static_selectorELNS0_4arch9wavefront6targetE1EEEvT1_,comdat
	.globl	_ZN7rocprim17ROCPRIM_400000_NS6detail17trampoline_kernelINS0_14default_configENS1_25partition_config_selectorILNS1_17partition_subalgoE8ElNS0_10empty_typeEbEEZZNS1_14partition_implILS5_8ELb0ES3_jPlPS6_PKS6_NS0_5tupleIJS9_S6_EEENSD_IJSA_SA_EEENS0_18inequality_wrapperIZN2at6native12_GLOBAL__N_124unique_dim_cuda_templateIfEESt5tupleIJNSH_6TensorESM_SM_EERKSM_lbbbEUlllE0_EEPmJS6_EEE10hipError_tPvRmT3_T4_T5_T6_T7_T9_mT8_P12ihipStream_tbDpT10_ENKUlT_T0_E_clISt17integral_constantIbLb0EES1B_IbLb1EEEEDaS17_S18_EUlS17_E_NS1_11comp_targetILNS1_3genE3ELNS1_11target_archE908ELNS1_3gpuE7ELNS1_3repE0EEENS1_30default_config_static_selectorELNS0_4arch9wavefront6targetE1EEEvT1_ ; -- Begin function _ZN7rocprim17ROCPRIM_400000_NS6detail17trampoline_kernelINS0_14default_configENS1_25partition_config_selectorILNS1_17partition_subalgoE8ElNS0_10empty_typeEbEEZZNS1_14partition_implILS5_8ELb0ES3_jPlPS6_PKS6_NS0_5tupleIJS9_S6_EEENSD_IJSA_SA_EEENS0_18inequality_wrapperIZN2at6native12_GLOBAL__N_124unique_dim_cuda_templateIfEESt5tupleIJNSH_6TensorESM_SM_EERKSM_lbbbEUlllE0_EEPmJS6_EEE10hipError_tPvRmT3_T4_T5_T6_T7_T9_mT8_P12ihipStream_tbDpT10_ENKUlT_T0_E_clISt17integral_constantIbLb0EES1B_IbLb1EEEEDaS17_S18_EUlS17_E_NS1_11comp_targetILNS1_3genE3ELNS1_11target_archE908ELNS1_3gpuE7ELNS1_3repE0EEENS1_30default_config_static_selectorELNS0_4arch9wavefront6targetE1EEEvT1_
	.p2align	8
	.type	_ZN7rocprim17ROCPRIM_400000_NS6detail17trampoline_kernelINS0_14default_configENS1_25partition_config_selectorILNS1_17partition_subalgoE8ElNS0_10empty_typeEbEEZZNS1_14partition_implILS5_8ELb0ES3_jPlPS6_PKS6_NS0_5tupleIJS9_S6_EEENSD_IJSA_SA_EEENS0_18inequality_wrapperIZN2at6native12_GLOBAL__N_124unique_dim_cuda_templateIfEESt5tupleIJNSH_6TensorESM_SM_EERKSM_lbbbEUlllE0_EEPmJS6_EEE10hipError_tPvRmT3_T4_T5_T6_T7_T9_mT8_P12ihipStream_tbDpT10_ENKUlT_T0_E_clISt17integral_constantIbLb0EES1B_IbLb1EEEEDaS17_S18_EUlS17_E_NS1_11comp_targetILNS1_3genE3ELNS1_11target_archE908ELNS1_3gpuE7ELNS1_3repE0EEENS1_30default_config_static_selectorELNS0_4arch9wavefront6targetE1EEEvT1_,@function
_ZN7rocprim17ROCPRIM_400000_NS6detail17trampoline_kernelINS0_14default_configENS1_25partition_config_selectorILNS1_17partition_subalgoE8ElNS0_10empty_typeEbEEZZNS1_14partition_implILS5_8ELb0ES3_jPlPS6_PKS6_NS0_5tupleIJS9_S6_EEENSD_IJSA_SA_EEENS0_18inequality_wrapperIZN2at6native12_GLOBAL__N_124unique_dim_cuda_templateIfEESt5tupleIJNSH_6TensorESM_SM_EERKSM_lbbbEUlllE0_EEPmJS6_EEE10hipError_tPvRmT3_T4_T5_T6_T7_T9_mT8_P12ihipStream_tbDpT10_ENKUlT_T0_E_clISt17integral_constantIbLb0EES1B_IbLb1EEEEDaS17_S18_EUlS17_E_NS1_11comp_targetILNS1_3genE3ELNS1_11target_archE908ELNS1_3gpuE7ELNS1_3repE0EEENS1_30default_config_static_selectorELNS0_4arch9wavefront6targetE1EEEvT1_: ; @_ZN7rocprim17ROCPRIM_400000_NS6detail17trampoline_kernelINS0_14default_configENS1_25partition_config_selectorILNS1_17partition_subalgoE8ElNS0_10empty_typeEbEEZZNS1_14partition_implILS5_8ELb0ES3_jPlPS6_PKS6_NS0_5tupleIJS9_S6_EEENSD_IJSA_SA_EEENS0_18inequality_wrapperIZN2at6native12_GLOBAL__N_124unique_dim_cuda_templateIfEESt5tupleIJNSH_6TensorESM_SM_EERKSM_lbbbEUlllE0_EEPmJS6_EEE10hipError_tPvRmT3_T4_T5_T6_T7_T9_mT8_P12ihipStream_tbDpT10_ENKUlT_T0_E_clISt17integral_constantIbLb0EES1B_IbLb1EEEEDaS17_S18_EUlS17_E_NS1_11comp_targetILNS1_3genE3ELNS1_11target_archE908ELNS1_3gpuE7ELNS1_3repE0EEENS1_30default_config_static_selectorELNS0_4arch9wavefront6targetE1EEEvT1_
; %bb.0:
	.section	.rodata,"a",@progbits
	.p2align	6, 0x0
	.amdhsa_kernel _ZN7rocprim17ROCPRIM_400000_NS6detail17trampoline_kernelINS0_14default_configENS1_25partition_config_selectorILNS1_17partition_subalgoE8ElNS0_10empty_typeEbEEZZNS1_14partition_implILS5_8ELb0ES3_jPlPS6_PKS6_NS0_5tupleIJS9_S6_EEENSD_IJSA_SA_EEENS0_18inequality_wrapperIZN2at6native12_GLOBAL__N_124unique_dim_cuda_templateIfEESt5tupleIJNSH_6TensorESM_SM_EERKSM_lbbbEUlllE0_EEPmJS6_EEE10hipError_tPvRmT3_T4_T5_T6_T7_T9_mT8_P12ihipStream_tbDpT10_ENKUlT_T0_E_clISt17integral_constantIbLb0EES1B_IbLb1EEEEDaS17_S18_EUlS17_E_NS1_11comp_targetILNS1_3genE3ELNS1_11target_archE908ELNS1_3gpuE7ELNS1_3repE0EEENS1_30default_config_static_selectorELNS0_4arch9wavefront6targetE1EEEvT1_
		.amdhsa_group_segment_fixed_size 0
		.amdhsa_private_segment_fixed_size 0
		.amdhsa_kernarg_size 136
		.amdhsa_user_sgpr_count 6
		.amdhsa_user_sgpr_private_segment_buffer 1
		.amdhsa_user_sgpr_dispatch_ptr 0
		.amdhsa_user_sgpr_queue_ptr 0
		.amdhsa_user_sgpr_kernarg_segment_ptr 1
		.amdhsa_user_sgpr_dispatch_id 0
		.amdhsa_user_sgpr_flat_scratch_init 0
		.amdhsa_user_sgpr_kernarg_preload_length 0
		.amdhsa_user_sgpr_kernarg_preload_offset 0
		.amdhsa_user_sgpr_private_segment_size 0
		.amdhsa_uses_dynamic_stack 0
		.amdhsa_system_sgpr_private_segment_wavefront_offset 0
		.amdhsa_system_sgpr_workgroup_id_x 1
		.amdhsa_system_sgpr_workgroup_id_y 0
		.amdhsa_system_sgpr_workgroup_id_z 0
		.amdhsa_system_sgpr_workgroup_info 0
		.amdhsa_system_vgpr_workitem_id 0
		.amdhsa_next_free_vgpr 1
		.amdhsa_next_free_sgpr 0
		.amdhsa_accum_offset 4
		.amdhsa_reserve_vcc 0
		.amdhsa_reserve_flat_scratch 0
		.amdhsa_float_round_mode_32 0
		.amdhsa_float_round_mode_16_64 0
		.amdhsa_float_denorm_mode_32 3
		.amdhsa_float_denorm_mode_16_64 3
		.amdhsa_dx10_clamp 1
		.amdhsa_ieee_mode 1
		.amdhsa_fp16_overflow 0
		.amdhsa_tg_split 0
		.amdhsa_exception_fp_ieee_invalid_op 0
		.amdhsa_exception_fp_denorm_src 0
		.amdhsa_exception_fp_ieee_div_zero 0
		.amdhsa_exception_fp_ieee_overflow 0
		.amdhsa_exception_fp_ieee_underflow 0
		.amdhsa_exception_fp_ieee_inexact 0
		.amdhsa_exception_int_div_zero 0
	.end_amdhsa_kernel
	.section	.text._ZN7rocprim17ROCPRIM_400000_NS6detail17trampoline_kernelINS0_14default_configENS1_25partition_config_selectorILNS1_17partition_subalgoE8ElNS0_10empty_typeEbEEZZNS1_14partition_implILS5_8ELb0ES3_jPlPS6_PKS6_NS0_5tupleIJS9_S6_EEENSD_IJSA_SA_EEENS0_18inequality_wrapperIZN2at6native12_GLOBAL__N_124unique_dim_cuda_templateIfEESt5tupleIJNSH_6TensorESM_SM_EERKSM_lbbbEUlllE0_EEPmJS6_EEE10hipError_tPvRmT3_T4_T5_T6_T7_T9_mT8_P12ihipStream_tbDpT10_ENKUlT_T0_E_clISt17integral_constantIbLb0EES1B_IbLb1EEEEDaS17_S18_EUlS17_E_NS1_11comp_targetILNS1_3genE3ELNS1_11target_archE908ELNS1_3gpuE7ELNS1_3repE0EEENS1_30default_config_static_selectorELNS0_4arch9wavefront6targetE1EEEvT1_,"axG",@progbits,_ZN7rocprim17ROCPRIM_400000_NS6detail17trampoline_kernelINS0_14default_configENS1_25partition_config_selectorILNS1_17partition_subalgoE8ElNS0_10empty_typeEbEEZZNS1_14partition_implILS5_8ELb0ES3_jPlPS6_PKS6_NS0_5tupleIJS9_S6_EEENSD_IJSA_SA_EEENS0_18inequality_wrapperIZN2at6native12_GLOBAL__N_124unique_dim_cuda_templateIfEESt5tupleIJNSH_6TensorESM_SM_EERKSM_lbbbEUlllE0_EEPmJS6_EEE10hipError_tPvRmT3_T4_T5_T6_T7_T9_mT8_P12ihipStream_tbDpT10_ENKUlT_T0_E_clISt17integral_constantIbLb0EES1B_IbLb1EEEEDaS17_S18_EUlS17_E_NS1_11comp_targetILNS1_3genE3ELNS1_11target_archE908ELNS1_3gpuE7ELNS1_3repE0EEENS1_30default_config_static_selectorELNS0_4arch9wavefront6targetE1EEEvT1_,comdat
.Lfunc_end956:
	.size	_ZN7rocprim17ROCPRIM_400000_NS6detail17trampoline_kernelINS0_14default_configENS1_25partition_config_selectorILNS1_17partition_subalgoE8ElNS0_10empty_typeEbEEZZNS1_14partition_implILS5_8ELb0ES3_jPlPS6_PKS6_NS0_5tupleIJS9_S6_EEENSD_IJSA_SA_EEENS0_18inequality_wrapperIZN2at6native12_GLOBAL__N_124unique_dim_cuda_templateIfEESt5tupleIJNSH_6TensorESM_SM_EERKSM_lbbbEUlllE0_EEPmJS6_EEE10hipError_tPvRmT3_T4_T5_T6_T7_T9_mT8_P12ihipStream_tbDpT10_ENKUlT_T0_E_clISt17integral_constantIbLb0EES1B_IbLb1EEEEDaS17_S18_EUlS17_E_NS1_11comp_targetILNS1_3genE3ELNS1_11target_archE908ELNS1_3gpuE7ELNS1_3repE0EEENS1_30default_config_static_selectorELNS0_4arch9wavefront6targetE1EEEvT1_, .Lfunc_end956-_ZN7rocprim17ROCPRIM_400000_NS6detail17trampoline_kernelINS0_14default_configENS1_25partition_config_selectorILNS1_17partition_subalgoE8ElNS0_10empty_typeEbEEZZNS1_14partition_implILS5_8ELb0ES3_jPlPS6_PKS6_NS0_5tupleIJS9_S6_EEENSD_IJSA_SA_EEENS0_18inequality_wrapperIZN2at6native12_GLOBAL__N_124unique_dim_cuda_templateIfEESt5tupleIJNSH_6TensorESM_SM_EERKSM_lbbbEUlllE0_EEPmJS6_EEE10hipError_tPvRmT3_T4_T5_T6_T7_T9_mT8_P12ihipStream_tbDpT10_ENKUlT_T0_E_clISt17integral_constantIbLb0EES1B_IbLb1EEEEDaS17_S18_EUlS17_E_NS1_11comp_targetILNS1_3genE3ELNS1_11target_archE908ELNS1_3gpuE7ELNS1_3repE0EEENS1_30default_config_static_selectorELNS0_4arch9wavefront6targetE1EEEvT1_
                                        ; -- End function
	.section	.AMDGPU.csdata,"",@progbits
; Kernel info:
; codeLenInByte = 0
; NumSgprs: 4
; NumVgprs: 0
; NumAgprs: 0
; TotalNumVgprs: 0
; ScratchSize: 0
; MemoryBound: 0
; FloatMode: 240
; IeeeMode: 1
; LDSByteSize: 0 bytes/workgroup (compile time only)
; SGPRBlocks: 0
; VGPRBlocks: 0
; NumSGPRsForWavesPerEU: 4
; NumVGPRsForWavesPerEU: 1
; AccumOffset: 4
; Occupancy: 8
; WaveLimiterHint : 0
; COMPUTE_PGM_RSRC2:SCRATCH_EN: 0
; COMPUTE_PGM_RSRC2:USER_SGPR: 6
; COMPUTE_PGM_RSRC2:TRAP_HANDLER: 0
; COMPUTE_PGM_RSRC2:TGID_X_EN: 1
; COMPUTE_PGM_RSRC2:TGID_Y_EN: 0
; COMPUTE_PGM_RSRC2:TGID_Z_EN: 0
; COMPUTE_PGM_RSRC2:TIDIG_COMP_CNT: 0
; COMPUTE_PGM_RSRC3_GFX90A:ACCUM_OFFSET: 0
; COMPUTE_PGM_RSRC3_GFX90A:TG_SPLIT: 0
	.section	.text._ZN7rocprim17ROCPRIM_400000_NS6detail17trampoline_kernelINS0_14default_configENS1_25partition_config_selectorILNS1_17partition_subalgoE8ElNS0_10empty_typeEbEEZZNS1_14partition_implILS5_8ELb0ES3_jPlPS6_PKS6_NS0_5tupleIJS9_S6_EEENSD_IJSA_SA_EEENS0_18inequality_wrapperIZN2at6native12_GLOBAL__N_124unique_dim_cuda_templateIfEESt5tupleIJNSH_6TensorESM_SM_EERKSM_lbbbEUlllE0_EEPmJS6_EEE10hipError_tPvRmT3_T4_T5_T6_T7_T9_mT8_P12ihipStream_tbDpT10_ENKUlT_T0_E_clISt17integral_constantIbLb0EES1B_IbLb1EEEEDaS17_S18_EUlS17_E_NS1_11comp_targetILNS1_3genE2ELNS1_11target_archE906ELNS1_3gpuE6ELNS1_3repE0EEENS1_30default_config_static_selectorELNS0_4arch9wavefront6targetE1EEEvT1_,"axG",@progbits,_ZN7rocprim17ROCPRIM_400000_NS6detail17trampoline_kernelINS0_14default_configENS1_25partition_config_selectorILNS1_17partition_subalgoE8ElNS0_10empty_typeEbEEZZNS1_14partition_implILS5_8ELb0ES3_jPlPS6_PKS6_NS0_5tupleIJS9_S6_EEENSD_IJSA_SA_EEENS0_18inequality_wrapperIZN2at6native12_GLOBAL__N_124unique_dim_cuda_templateIfEESt5tupleIJNSH_6TensorESM_SM_EERKSM_lbbbEUlllE0_EEPmJS6_EEE10hipError_tPvRmT3_T4_T5_T6_T7_T9_mT8_P12ihipStream_tbDpT10_ENKUlT_T0_E_clISt17integral_constantIbLb0EES1B_IbLb1EEEEDaS17_S18_EUlS17_E_NS1_11comp_targetILNS1_3genE2ELNS1_11target_archE906ELNS1_3gpuE6ELNS1_3repE0EEENS1_30default_config_static_selectorELNS0_4arch9wavefront6targetE1EEEvT1_,comdat
	.globl	_ZN7rocprim17ROCPRIM_400000_NS6detail17trampoline_kernelINS0_14default_configENS1_25partition_config_selectorILNS1_17partition_subalgoE8ElNS0_10empty_typeEbEEZZNS1_14partition_implILS5_8ELb0ES3_jPlPS6_PKS6_NS0_5tupleIJS9_S6_EEENSD_IJSA_SA_EEENS0_18inequality_wrapperIZN2at6native12_GLOBAL__N_124unique_dim_cuda_templateIfEESt5tupleIJNSH_6TensorESM_SM_EERKSM_lbbbEUlllE0_EEPmJS6_EEE10hipError_tPvRmT3_T4_T5_T6_T7_T9_mT8_P12ihipStream_tbDpT10_ENKUlT_T0_E_clISt17integral_constantIbLb0EES1B_IbLb1EEEEDaS17_S18_EUlS17_E_NS1_11comp_targetILNS1_3genE2ELNS1_11target_archE906ELNS1_3gpuE6ELNS1_3repE0EEENS1_30default_config_static_selectorELNS0_4arch9wavefront6targetE1EEEvT1_ ; -- Begin function _ZN7rocprim17ROCPRIM_400000_NS6detail17trampoline_kernelINS0_14default_configENS1_25partition_config_selectorILNS1_17partition_subalgoE8ElNS0_10empty_typeEbEEZZNS1_14partition_implILS5_8ELb0ES3_jPlPS6_PKS6_NS0_5tupleIJS9_S6_EEENSD_IJSA_SA_EEENS0_18inequality_wrapperIZN2at6native12_GLOBAL__N_124unique_dim_cuda_templateIfEESt5tupleIJNSH_6TensorESM_SM_EERKSM_lbbbEUlllE0_EEPmJS6_EEE10hipError_tPvRmT3_T4_T5_T6_T7_T9_mT8_P12ihipStream_tbDpT10_ENKUlT_T0_E_clISt17integral_constantIbLb0EES1B_IbLb1EEEEDaS17_S18_EUlS17_E_NS1_11comp_targetILNS1_3genE2ELNS1_11target_archE906ELNS1_3gpuE6ELNS1_3repE0EEENS1_30default_config_static_selectorELNS0_4arch9wavefront6targetE1EEEvT1_
	.p2align	8
	.type	_ZN7rocprim17ROCPRIM_400000_NS6detail17trampoline_kernelINS0_14default_configENS1_25partition_config_selectorILNS1_17partition_subalgoE8ElNS0_10empty_typeEbEEZZNS1_14partition_implILS5_8ELb0ES3_jPlPS6_PKS6_NS0_5tupleIJS9_S6_EEENSD_IJSA_SA_EEENS0_18inequality_wrapperIZN2at6native12_GLOBAL__N_124unique_dim_cuda_templateIfEESt5tupleIJNSH_6TensorESM_SM_EERKSM_lbbbEUlllE0_EEPmJS6_EEE10hipError_tPvRmT3_T4_T5_T6_T7_T9_mT8_P12ihipStream_tbDpT10_ENKUlT_T0_E_clISt17integral_constantIbLb0EES1B_IbLb1EEEEDaS17_S18_EUlS17_E_NS1_11comp_targetILNS1_3genE2ELNS1_11target_archE906ELNS1_3gpuE6ELNS1_3repE0EEENS1_30default_config_static_selectorELNS0_4arch9wavefront6targetE1EEEvT1_,@function
_ZN7rocprim17ROCPRIM_400000_NS6detail17trampoline_kernelINS0_14default_configENS1_25partition_config_selectorILNS1_17partition_subalgoE8ElNS0_10empty_typeEbEEZZNS1_14partition_implILS5_8ELb0ES3_jPlPS6_PKS6_NS0_5tupleIJS9_S6_EEENSD_IJSA_SA_EEENS0_18inequality_wrapperIZN2at6native12_GLOBAL__N_124unique_dim_cuda_templateIfEESt5tupleIJNSH_6TensorESM_SM_EERKSM_lbbbEUlllE0_EEPmJS6_EEE10hipError_tPvRmT3_T4_T5_T6_T7_T9_mT8_P12ihipStream_tbDpT10_ENKUlT_T0_E_clISt17integral_constantIbLb0EES1B_IbLb1EEEEDaS17_S18_EUlS17_E_NS1_11comp_targetILNS1_3genE2ELNS1_11target_archE906ELNS1_3gpuE6ELNS1_3repE0EEENS1_30default_config_static_selectorELNS0_4arch9wavefront6targetE1EEEvT1_: ; @_ZN7rocprim17ROCPRIM_400000_NS6detail17trampoline_kernelINS0_14default_configENS1_25partition_config_selectorILNS1_17partition_subalgoE8ElNS0_10empty_typeEbEEZZNS1_14partition_implILS5_8ELb0ES3_jPlPS6_PKS6_NS0_5tupleIJS9_S6_EEENSD_IJSA_SA_EEENS0_18inequality_wrapperIZN2at6native12_GLOBAL__N_124unique_dim_cuda_templateIfEESt5tupleIJNSH_6TensorESM_SM_EERKSM_lbbbEUlllE0_EEPmJS6_EEE10hipError_tPvRmT3_T4_T5_T6_T7_T9_mT8_P12ihipStream_tbDpT10_ENKUlT_T0_E_clISt17integral_constantIbLb0EES1B_IbLb1EEEEDaS17_S18_EUlS17_E_NS1_11comp_targetILNS1_3genE2ELNS1_11target_archE906ELNS1_3gpuE6ELNS1_3repE0EEENS1_30default_config_static_selectorELNS0_4arch9wavefront6targetE1EEEvT1_
; %bb.0:
	.section	.rodata,"a",@progbits
	.p2align	6, 0x0
	.amdhsa_kernel _ZN7rocprim17ROCPRIM_400000_NS6detail17trampoline_kernelINS0_14default_configENS1_25partition_config_selectorILNS1_17partition_subalgoE8ElNS0_10empty_typeEbEEZZNS1_14partition_implILS5_8ELb0ES3_jPlPS6_PKS6_NS0_5tupleIJS9_S6_EEENSD_IJSA_SA_EEENS0_18inequality_wrapperIZN2at6native12_GLOBAL__N_124unique_dim_cuda_templateIfEESt5tupleIJNSH_6TensorESM_SM_EERKSM_lbbbEUlllE0_EEPmJS6_EEE10hipError_tPvRmT3_T4_T5_T6_T7_T9_mT8_P12ihipStream_tbDpT10_ENKUlT_T0_E_clISt17integral_constantIbLb0EES1B_IbLb1EEEEDaS17_S18_EUlS17_E_NS1_11comp_targetILNS1_3genE2ELNS1_11target_archE906ELNS1_3gpuE6ELNS1_3repE0EEENS1_30default_config_static_selectorELNS0_4arch9wavefront6targetE1EEEvT1_
		.amdhsa_group_segment_fixed_size 0
		.amdhsa_private_segment_fixed_size 0
		.amdhsa_kernarg_size 136
		.amdhsa_user_sgpr_count 6
		.amdhsa_user_sgpr_private_segment_buffer 1
		.amdhsa_user_sgpr_dispatch_ptr 0
		.amdhsa_user_sgpr_queue_ptr 0
		.amdhsa_user_sgpr_kernarg_segment_ptr 1
		.amdhsa_user_sgpr_dispatch_id 0
		.amdhsa_user_sgpr_flat_scratch_init 0
		.amdhsa_user_sgpr_kernarg_preload_length 0
		.amdhsa_user_sgpr_kernarg_preload_offset 0
		.amdhsa_user_sgpr_private_segment_size 0
		.amdhsa_uses_dynamic_stack 0
		.amdhsa_system_sgpr_private_segment_wavefront_offset 0
		.amdhsa_system_sgpr_workgroup_id_x 1
		.amdhsa_system_sgpr_workgroup_id_y 0
		.amdhsa_system_sgpr_workgroup_id_z 0
		.amdhsa_system_sgpr_workgroup_info 0
		.amdhsa_system_vgpr_workitem_id 0
		.amdhsa_next_free_vgpr 1
		.amdhsa_next_free_sgpr 0
		.amdhsa_accum_offset 4
		.amdhsa_reserve_vcc 0
		.amdhsa_reserve_flat_scratch 0
		.amdhsa_float_round_mode_32 0
		.amdhsa_float_round_mode_16_64 0
		.amdhsa_float_denorm_mode_32 3
		.amdhsa_float_denorm_mode_16_64 3
		.amdhsa_dx10_clamp 1
		.amdhsa_ieee_mode 1
		.amdhsa_fp16_overflow 0
		.amdhsa_tg_split 0
		.amdhsa_exception_fp_ieee_invalid_op 0
		.amdhsa_exception_fp_denorm_src 0
		.amdhsa_exception_fp_ieee_div_zero 0
		.amdhsa_exception_fp_ieee_overflow 0
		.amdhsa_exception_fp_ieee_underflow 0
		.amdhsa_exception_fp_ieee_inexact 0
		.amdhsa_exception_int_div_zero 0
	.end_amdhsa_kernel
	.section	.text._ZN7rocprim17ROCPRIM_400000_NS6detail17trampoline_kernelINS0_14default_configENS1_25partition_config_selectorILNS1_17partition_subalgoE8ElNS0_10empty_typeEbEEZZNS1_14partition_implILS5_8ELb0ES3_jPlPS6_PKS6_NS0_5tupleIJS9_S6_EEENSD_IJSA_SA_EEENS0_18inequality_wrapperIZN2at6native12_GLOBAL__N_124unique_dim_cuda_templateIfEESt5tupleIJNSH_6TensorESM_SM_EERKSM_lbbbEUlllE0_EEPmJS6_EEE10hipError_tPvRmT3_T4_T5_T6_T7_T9_mT8_P12ihipStream_tbDpT10_ENKUlT_T0_E_clISt17integral_constantIbLb0EES1B_IbLb1EEEEDaS17_S18_EUlS17_E_NS1_11comp_targetILNS1_3genE2ELNS1_11target_archE906ELNS1_3gpuE6ELNS1_3repE0EEENS1_30default_config_static_selectorELNS0_4arch9wavefront6targetE1EEEvT1_,"axG",@progbits,_ZN7rocprim17ROCPRIM_400000_NS6detail17trampoline_kernelINS0_14default_configENS1_25partition_config_selectorILNS1_17partition_subalgoE8ElNS0_10empty_typeEbEEZZNS1_14partition_implILS5_8ELb0ES3_jPlPS6_PKS6_NS0_5tupleIJS9_S6_EEENSD_IJSA_SA_EEENS0_18inequality_wrapperIZN2at6native12_GLOBAL__N_124unique_dim_cuda_templateIfEESt5tupleIJNSH_6TensorESM_SM_EERKSM_lbbbEUlllE0_EEPmJS6_EEE10hipError_tPvRmT3_T4_T5_T6_T7_T9_mT8_P12ihipStream_tbDpT10_ENKUlT_T0_E_clISt17integral_constantIbLb0EES1B_IbLb1EEEEDaS17_S18_EUlS17_E_NS1_11comp_targetILNS1_3genE2ELNS1_11target_archE906ELNS1_3gpuE6ELNS1_3repE0EEENS1_30default_config_static_selectorELNS0_4arch9wavefront6targetE1EEEvT1_,comdat
.Lfunc_end957:
	.size	_ZN7rocprim17ROCPRIM_400000_NS6detail17trampoline_kernelINS0_14default_configENS1_25partition_config_selectorILNS1_17partition_subalgoE8ElNS0_10empty_typeEbEEZZNS1_14partition_implILS5_8ELb0ES3_jPlPS6_PKS6_NS0_5tupleIJS9_S6_EEENSD_IJSA_SA_EEENS0_18inequality_wrapperIZN2at6native12_GLOBAL__N_124unique_dim_cuda_templateIfEESt5tupleIJNSH_6TensorESM_SM_EERKSM_lbbbEUlllE0_EEPmJS6_EEE10hipError_tPvRmT3_T4_T5_T6_T7_T9_mT8_P12ihipStream_tbDpT10_ENKUlT_T0_E_clISt17integral_constantIbLb0EES1B_IbLb1EEEEDaS17_S18_EUlS17_E_NS1_11comp_targetILNS1_3genE2ELNS1_11target_archE906ELNS1_3gpuE6ELNS1_3repE0EEENS1_30default_config_static_selectorELNS0_4arch9wavefront6targetE1EEEvT1_, .Lfunc_end957-_ZN7rocprim17ROCPRIM_400000_NS6detail17trampoline_kernelINS0_14default_configENS1_25partition_config_selectorILNS1_17partition_subalgoE8ElNS0_10empty_typeEbEEZZNS1_14partition_implILS5_8ELb0ES3_jPlPS6_PKS6_NS0_5tupleIJS9_S6_EEENSD_IJSA_SA_EEENS0_18inequality_wrapperIZN2at6native12_GLOBAL__N_124unique_dim_cuda_templateIfEESt5tupleIJNSH_6TensorESM_SM_EERKSM_lbbbEUlllE0_EEPmJS6_EEE10hipError_tPvRmT3_T4_T5_T6_T7_T9_mT8_P12ihipStream_tbDpT10_ENKUlT_T0_E_clISt17integral_constantIbLb0EES1B_IbLb1EEEEDaS17_S18_EUlS17_E_NS1_11comp_targetILNS1_3genE2ELNS1_11target_archE906ELNS1_3gpuE6ELNS1_3repE0EEENS1_30default_config_static_selectorELNS0_4arch9wavefront6targetE1EEEvT1_
                                        ; -- End function
	.section	.AMDGPU.csdata,"",@progbits
; Kernel info:
; codeLenInByte = 0
; NumSgprs: 4
; NumVgprs: 0
; NumAgprs: 0
; TotalNumVgprs: 0
; ScratchSize: 0
; MemoryBound: 0
; FloatMode: 240
; IeeeMode: 1
; LDSByteSize: 0 bytes/workgroup (compile time only)
; SGPRBlocks: 0
; VGPRBlocks: 0
; NumSGPRsForWavesPerEU: 4
; NumVGPRsForWavesPerEU: 1
; AccumOffset: 4
; Occupancy: 8
; WaveLimiterHint : 0
; COMPUTE_PGM_RSRC2:SCRATCH_EN: 0
; COMPUTE_PGM_RSRC2:USER_SGPR: 6
; COMPUTE_PGM_RSRC2:TRAP_HANDLER: 0
; COMPUTE_PGM_RSRC2:TGID_X_EN: 1
; COMPUTE_PGM_RSRC2:TGID_Y_EN: 0
; COMPUTE_PGM_RSRC2:TGID_Z_EN: 0
; COMPUTE_PGM_RSRC2:TIDIG_COMP_CNT: 0
; COMPUTE_PGM_RSRC3_GFX90A:ACCUM_OFFSET: 0
; COMPUTE_PGM_RSRC3_GFX90A:TG_SPLIT: 0
	.section	.text._ZN7rocprim17ROCPRIM_400000_NS6detail17trampoline_kernelINS0_14default_configENS1_25partition_config_selectorILNS1_17partition_subalgoE8ElNS0_10empty_typeEbEEZZNS1_14partition_implILS5_8ELb0ES3_jPlPS6_PKS6_NS0_5tupleIJS9_S6_EEENSD_IJSA_SA_EEENS0_18inequality_wrapperIZN2at6native12_GLOBAL__N_124unique_dim_cuda_templateIfEESt5tupleIJNSH_6TensorESM_SM_EERKSM_lbbbEUlllE0_EEPmJS6_EEE10hipError_tPvRmT3_T4_T5_T6_T7_T9_mT8_P12ihipStream_tbDpT10_ENKUlT_T0_E_clISt17integral_constantIbLb0EES1B_IbLb1EEEEDaS17_S18_EUlS17_E_NS1_11comp_targetILNS1_3genE10ELNS1_11target_archE1200ELNS1_3gpuE4ELNS1_3repE0EEENS1_30default_config_static_selectorELNS0_4arch9wavefront6targetE1EEEvT1_,"axG",@progbits,_ZN7rocprim17ROCPRIM_400000_NS6detail17trampoline_kernelINS0_14default_configENS1_25partition_config_selectorILNS1_17partition_subalgoE8ElNS0_10empty_typeEbEEZZNS1_14partition_implILS5_8ELb0ES3_jPlPS6_PKS6_NS0_5tupleIJS9_S6_EEENSD_IJSA_SA_EEENS0_18inequality_wrapperIZN2at6native12_GLOBAL__N_124unique_dim_cuda_templateIfEESt5tupleIJNSH_6TensorESM_SM_EERKSM_lbbbEUlllE0_EEPmJS6_EEE10hipError_tPvRmT3_T4_T5_T6_T7_T9_mT8_P12ihipStream_tbDpT10_ENKUlT_T0_E_clISt17integral_constantIbLb0EES1B_IbLb1EEEEDaS17_S18_EUlS17_E_NS1_11comp_targetILNS1_3genE10ELNS1_11target_archE1200ELNS1_3gpuE4ELNS1_3repE0EEENS1_30default_config_static_selectorELNS0_4arch9wavefront6targetE1EEEvT1_,comdat
	.globl	_ZN7rocprim17ROCPRIM_400000_NS6detail17trampoline_kernelINS0_14default_configENS1_25partition_config_selectorILNS1_17partition_subalgoE8ElNS0_10empty_typeEbEEZZNS1_14partition_implILS5_8ELb0ES3_jPlPS6_PKS6_NS0_5tupleIJS9_S6_EEENSD_IJSA_SA_EEENS0_18inequality_wrapperIZN2at6native12_GLOBAL__N_124unique_dim_cuda_templateIfEESt5tupleIJNSH_6TensorESM_SM_EERKSM_lbbbEUlllE0_EEPmJS6_EEE10hipError_tPvRmT3_T4_T5_T6_T7_T9_mT8_P12ihipStream_tbDpT10_ENKUlT_T0_E_clISt17integral_constantIbLb0EES1B_IbLb1EEEEDaS17_S18_EUlS17_E_NS1_11comp_targetILNS1_3genE10ELNS1_11target_archE1200ELNS1_3gpuE4ELNS1_3repE0EEENS1_30default_config_static_selectorELNS0_4arch9wavefront6targetE1EEEvT1_ ; -- Begin function _ZN7rocprim17ROCPRIM_400000_NS6detail17trampoline_kernelINS0_14default_configENS1_25partition_config_selectorILNS1_17partition_subalgoE8ElNS0_10empty_typeEbEEZZNS1_14partition_implILS5_8ELb0ES3_jPlPS6_PKS6_NS0_5tupleIJS9_S6_EEENSD_IJSA_SA_EEENS0_18inequality_wrapperIZN2at6native12_GLOBAL__N_124unique_dim_cuda_templateIfEESt5tupleIJNSH_6TensorESM_SM_EERKSM_lbbbEUlllE0_EEPmJS6_EEE10hipError_tPvRmT3_T4_T5_T6_T7_T9_mT8_P12ihipStream_tbDpT10_ENKUlT_T0_E_clISt17integral_constantIbLb0EES1B_IbLb1EEEEDaS17_S18_EUlS17_E_NS1_11comp_targetILNS1_3genE10ELNS1_11target_archE1200ELNS1_3gpuE4ELNS1_3repE0EEENS1_30default_config_static_selectorELNS0_4arch9wavefront6targetE1EEEvT1_
	.p2align	8
	.type	_ZN7rocprim17ROCPRIM_400000_NS6detail17trampoline_kernelINS0_14default_configENS1_25partition_config_selectorILNS1_17partition_subalgoE8ElNS0_10empty_typeEbEEZZNS1_14partition_implILS5_8ELb0ES3_jPlPS6_PKS6_NS0_5tupleIJS9_S6_EEENSD_IJSA_SA_EEENS0_18inequality_wrapperIZN2at6native12_GLOBAL__N_124unique_dim_cuda_templateIfEESt5tupleIJNSH_6TensorESM_SM_EERKSM_lbbbEUlllE0_EEPmJS6_EEE10hipError_tPvRmT3_T4_T5_T6_T7_T9_mT8_P12ihipStream_tbDpT10_ENKUlT_T0_E_clISt17integral_constantIbLb0EES1B_IbLb1EEEEDaS17_S18_EUlS17_E_NS1_11comp_targetILNS1_3genE10ELNS1_11target_archE1200ELNS1_3gpuE4ELNS1_3repE0EEENS1_30default_config_static_selectorELNS0_4arch9wavefront6targetE1EEEvT1_,@function
_ZN7rocprim17ROCPRIM_400000_NS6detail17trampoline_kernelINS0_14default_configENS1_25partition_config_selectorILNS1_17partition_subalgoE8ElNS0_10empty_typeEbEEZZNS1_14partition_implILS5_8ELb0ES3_jPlPS6_PKS6_NS0_5tupleIJS9_S6_EEENSD_IJSA_SA_EEENS0_18inequality_wrapperIZN2at6native12_GLOBAL__N_124unique_dim_cuda_templateIfEESt5tupleIJNSH_6TensorESM_SM_EERKSM_lbbbEUlllE0_EEPmJS6_EEE10hipError_tPvRmT3_T4_T5_T6_T7_T9_mT8_P12ihipStream_tbDpT10_ENKUlT_T0_E_clISt17integral_constantIbLb0EES1B_IbLb1EEEEDaS17_S18_EUlS17_E_NS1_11comp_targetILNS1_3genE10ELNS1_11target_archE1200ELNS1_3gpuE4ELNS1_3repE0EEENS1_30default_config_static_selectorELNS0_4arch9wavefront6targetE1EEEvT1_: ; @_ZN7rocprim17ROCPRIM_400000_NS6detail17trampoline_kernelINS0_14default_configENS1_25partition_config_selectorILNS1_17partition_subalgoE8ElNS0_10empty_typeEbEEZZNS1_14partition_implILS5_8ELb0ES3_jPlPS6_PKS6_NS0_5tupleIJS9_S6_EEENSD_IJSA_SA_EEENS0_18inequality_wrapperIZN2at6native12_GLOBAL__N_124unique_dim_cuda_templateIfEESt5tupleIJNSH_6TensorESM_SM_EERKSM_lbbbEUlllE0_EEPmJS6_EEE10hipError_tPvRmT3_T4_T5_T6_T7_T9_mT8_P12ihipStream_tbDpT10_ENKUlT_T0_E_clISt17integral_constantIbLb0EES1B_IbLb1EEEEDaS17_S18_EUlS17_E_NS1_11comp_targetILNS1_3genE10ELNS1_11target_archE1200ELNS1_3gpuE4ELNS1_3repE0EEENS1_30default_config_static_selectorELNS0_4arch9wavefront6targetE1EEEvT1_
; %bb.0:
	.section	.rodata,"a",@progbits
	.p2align	6, 0x0
	.amdhsa_kernel _ZN7rocprim17ROCPRIM_400000_NS6detail17trampoline_kernelINS0_14default_configENS1_25partition_config_selectorILNS1_17partition_subalgoE8ElNS0_10empty_typeEbEEZZNS1_14partition_implILS5_8ELb0ES3_jPlPS6_PKS6_NS0_5tupleIJS9_S6_EEENSD_IJSA_SA_EEENS0_18inequality_wrapperIZN2at6native12_GLOBAL__N_124unique_dim_cuda_templateIfEESt5tupleIJNSH_6TensorESM_SM_EERKSM_lbbbEUlllE0_EEPmJS6_EEE10hipError_tPvRmT3_T4_T5_T6_T7_T9_mT8_P12ihipStream_tbDpT10_ENKUlT_T0_E_clISt17integral_constantIbLb0EES1B_IbLb1EEEEDaS17_S18_EUlS17_E_NS1_11comp_targetILNS1_3genE10ELNS1_11target_archE1200ELNS1_3gpuE4ELNS1_3repE0EEENS1_30default_config_static_selectorELNS0_4arch9wavefront6targetE1EEEvT1_
		.amdhsa_group_segment_fixed_size 0
		.amdhsa_private_segment_fixed_size 0
		.amdhsa_kernarg_size 136
		.amdhsa_user_sgpr_count 6
		.amdhsa_user_sgpr_private_segment_buffer 1
		.amdhsa_user_sgpr_dispatch_ptr 0
		.amdhsa_user_sgpr_queue_ptr 0
		.amdhsa_user_sgpr_kernarg_segment_ptr 1
		.amdhsa_user_sgpr_dispatch_id 0
		.amdhsa_user_sgpr_flat_scratch_init 0
		.amdhsa_user_sgpr_kernarg_preload_length 0
		.amdhsa_user_sgpr_kernarg_preload_offset 0
		.amdhsa_user_sgpr_private_segment_size 0
		.amdhsa_uses_dynamic_stack 0
		.amdhsa_system_sgpr_private_segment_wavefront_offset 0
		.amdhsa_system_sgpr_workgroup_id_x 1
		.amdhsa_system_sgpr_workgroup_id_y 0
		.amdhsa_system_sgpr_workgroup_id_z 0
		.amdhsa_system_sgpr_workgroup_info 0
		.amdhsa_system_vgpr_workitem_id 0
		.amdhsa_next_free_vgpr 1
		.amdhsa_next_free_sgpr 0
		.amdhsa_accum_offset 4
		.amdhsa_reserve_vcc 0
		.amdhsa_reserve_flat_scratch 0
		.amdhsa_float_round_mode_32 0
		.amdhsa_float_round_mode_16_64 0
		.amdhsa_float_denorm_mode_32 3
		.amdhsa_float_denorm_mode_16_64 3
		.amdhsa_dx10_clamp 1
		.amdhsa_ieee_mode 1
		.amdhsa_fp16_overflow 0
		.amdhsa_tg_split 0
		.amdhsa_exception_fp_ieee_invalid_op 0
		.amdhsa_exception_fp_denorm_src 0
		.amdhsa_exception_fp_ieee_div_zero 0
		.amdhsa_exception_fp_ieee_overflow 0
		.amdhsa_exception_fp_ieee_underflow 0
		.amdhsa_exception_fp_ieee_inexact 0
		.amdhsa_exception_int_div_zero 0
	.end_amdhsa_kernel
	.section	.text._ZN7rocprim17ROCPRIM_400000_NS6detail17trampoline_kernelINS0_14default_configENS1_25partition_config_selectorILNS1_17partition_subalgoE8ElNS0_10empty_typeEbEEZZNS1_14partition_implILS5_8ELb0ES3_jPlPS6_PKS6_NS0_5tupleIJS9_S6_EEENSD_IJSA_SA_EEENS0_18inequality_wrapperIZN2at6native12_GLOBAL__N_124unique_dim_cuda_templateIfEESt5tupleIJNSH_6TensorESM_SM_EERKSM_lbbbEUlllE0_EEPmJS6_EEE10hipError_tPvRmT3_T4_T5_T6_T7_T9_mT8_P12ihipStream_tbDpT10_ENKUlT_T0_E_clISt17integral_constantIbLb0EES1B_IbLb1EEEEDaS17_S18_EUlS17_E_NS1_11comp_targetILNS1_3genE10ELNS1_11target_archE1200ELNS1_3gpuE4ELNS1_3repE0EEENS1_30default_config_static_selectorELNS0_4arch9wavefront6targetE1EEEvT1_,"axG",@progbits,_ZN7rocprim17ROCPRIM_400000_NS6detail17trampoline_kernelINS0_14default_configENS1_25partition_config_selectorILNS1_17partition_subalgoE8ElNS0_10empty_typeEbEEZZNS1_14partition_implILS5_8ELb0ES3_jPlPS6_PKS6_NS0_5tupleIJS9_S6_EEENSD_IJSA_SA_EEENS0_18inequality_wrapperIZN2at6native12_GLOBAL__N_124unique_dim_cuda_templateIfEESt5tupleIJNSH_6TensorESM_SM_EERKSM_lbbbEUlllE0_EEPmJS6_EEE10hipError_tPvRmT3_T4_T5_T6_T7_T9_mT8_P12ihipStream_tbDpT10_ENKUlT_T0_E_clISt17integral_constantIbLb0EES1B_IbLb1EEEEDaS17_S18_EUlS17_E_NS1_11comp_targetILNS1_3genE10ELNS1_11target_archE1200ELNS1_3gpuE4ELNS1_3repE0EEENS1_30default_config_static_selectorELNS0_4arch9wavefront6targetE1EEEvT1_,comdat
.Lfunc_end958:
	.size	_ZN7rocprim17ROCPRIM_400000_NS6detail17trampoline_kernelINS0_14default_configENS1_25partition_config_selectorILNS1_17partition_subalgoE8ElNS0_10empty_typeEbEEZZNS1_14partition_implILS5_8ELb0ES3_jPlPS6_PKS6_NS0_5tupleIJS9_S6_EEENSD_IJSA_SA_EEENS0_18inequality_wrapperIZN2at6native12_GLOBAL__N_124unique_dim_cuda_templateIfEESt5tupleIJNSH_6TensorESM_SM_EERKSM_lbbbEUlllE0_EEPmJS6_EEE10hipError_tPvRmT3_T4_T5_T6_T7_T9_mT8_P12ihipStream_tbDpT10_ENKUlT_T0_E_clISt17integral_constantIbLb0EES1B_IbLb1EEEEDaS17_S18_EUlS17_E_NS1_11comp_targetILNS1_3genE10ELNS1_11target_archE1200ELNS1_3gpuE4ELNS1_3repE0EEENS1_30default_config_static_selectorELNS0_4arch9wavefront6targetE1EEEvT1_, .Lfunc_end958-_ZN7rocprim17ROCPRIM_400000_NS6detail17trampoline_kernelINS0_14default_configENS1_25partition_config_selectorILNS1_17partition_subalgoE8ElNS0_10empty_typeEbEEZZNS1_14partition_implILS5_8ELb0ES3_jPlPS6_PKS6_NS0_5tupleIJS9_S6_EEENSD_IJSA_SA_EEENS0_18inequality_wrapperIZN2at6native12_GLOBAL__N_124unique_dim_cuda_templateIfEESt5tupleIJNSH_6TensorESM_SM_EERKSM_lbbbEUlllE0_EEPmJS6_EEE10hipError_tPvRmT3_T4_T5_T6_T7_T9_mT8_P12ihipStream_tbDpT10_ENKUlT_T0_E_clISt17integral_constantIbLb0EES1B_IbLb1EEEEDaS17_S18_EUlS17_E_NS1_11comp_targetILNS1_3genE10ELNS1_11target_archE1200ELNS1_3gpuE4ELNS1_3repE0EEENS1_30default_config_static_selectorELNS0_4arch9wavefront6targetE1EEEvT1_
                                        ; -- End function
	.section	.AMDGPU.csdata,"",@progbits
; Kernel info:
; codeLenInByte = 0
; NumSgprs: 4
; NumVgprs: 0
; NumAgprs: 0
; TotalNumVgprs: 0
; ScratchSize: 0
; MemoryBound: 0
; FloatMode: 240
; IeeeMode: 1
; LDSByteSize: 0 bytes/workgroup (compile time only)
; SGPRBlocks: 0
; VGPRBlocks: 0
; NumSGPRsForWavesPerEU: 4
; NumVGPRsForWavesPerEU: 1
; AccumOffset: 4
; Occupancy: 8
; WaveLimiterHint : 0
; COMPUTE_PGM_RSRC2:SCRATCH_EN: 0
; COMPUTE_PGM_RSRC2:USER_SGPR: 6
; COMPUTE_PGM_RSRC2:TRAP_HANDLER: 0
; COMPUTE_PGM_RSRC2:TGID_X_EN: 1
; COMPUTE_PGM_RSRC2:TGID_Y_EN: 0
; COMPUTE_PGM_RSRC2:TGID_Z_EN: 0
; COMPUTE_PGM_RSRC2:TIDIG_COMP_CNT: 0
; COMPUTE_PGM_RSRC3_GFX90A:ACCUM_OFFSET: 0
; COMPUTE_PGM_RSRC3_GFX90A:TG_SPLIT: 0
	.section	.text._ZN7rocprim17ROCPRIM_400000_NS6detail17trampoline_kernelINS0_14default_configENS1_25partition_config_selectorILNS1_17partition_subalgoE8ElNS0_10empty_typeEbEEZZNS1_14partition_implILS5_8ELb0ES3_jPlPS6_PKS6_NS0_5tupleIJS9_S6_EEENSD_IJSA_SA_EEENS0_18inequality_wrapperIZN2at6native12_GLOBAL__N_124unique_dim_cuda_templateIfEESt5tupleIJNSH_6TensorESM_SM_EERKSM_lbbbEUlllE0_EEPmJS6_EEE10hipError_tPvRmT3_T4_T5_T6_T7_T9_mT8_P12ihipStream_tbDpT10_ENKUlT_T0_E_clISt17integral_constantIbLb0EES1B_IbLb1EEEEDaS17_S18_EUlS17_E_NS1_11comp_targetILNS1_3genE9ELNS1_11target_archE1100ELNS1_3gpuE3ELNS1_3repE0EEENS1_30default_config_static_selectorELNS0_4arch9wavefront6targetE1EEEvT1_,"axG",@progbits,_ZN7rocprim17ROCPRIM_400000_NS6detail17trampoline_kernelINS0_14default_configENS1_25partition_config_selectorILNS1_17partition_subalgoE8ElNS0_10empty_typeEbEEZZNS1_14partition_implILS5_8ELb0ES3_jPlPS6_PKS6_NS0_5tupleIJS9_S6_EEENSD_IJSA_SA_EEENS0_18inequality_wrapperIZN2at6native12_GLOBAL__N_124unique_dim_cuda_templateIfEESt5tupleIJNSH_6TensorESM_SM_EERKSM_lbbbEUlllE0_EEPmJS6_EEE10hipError_tPvRmT3_T4_T5_T6_T7_T9_mT8_P12ihipStream_tbDpT10_ENKUlT_T0_E_clISt17integral_constantIbLb0EES1B_IbLb1EEEEDaS17_S18_EUlS17_E_NS1_11comp_targetILNS1_3genE9ELNS1_11target_archE1100ELNS1_3gpuE3ELNS1_3repE0EEENS1_30default_config_static_selectorELNS0_4arch9wavefront6targetE1EEEvT1_,comdat
	.globl	_ZN7rocprim17ROCPRIM_400000_NS6detail17trampoline_kernelINS0_14default_configENS1_25partition_config_selectorILNS1_17partition_subalgoE8ElNS0_10empty_typeEbEEZZNS1_14partition_implILS5_8ELb0ES3_jPlPS6_PKS6_NS0_5tupleIJS9_S6_EEENSD_IJSA_SA_EEENS0_18inequality_wrapperIZN2at6native12_GLOBAL__N_124unique_dim_cuda_templateIfEESt5tupleIJNSH_6TensorESM_SM_EERKSM_lbbbEUlllE0_EEPmJS6_EEE10hipError_tPvRmT3_T4_T5_T6_T7_T9_mT8_P12ihipStream_tbDpT10_ENKUlT_T0_E_clISt17integral_constantIbLb0EES1B_IbLb1EEEEDaS17_S18_EUlS17_E_NS1_11comp_targetILNS1_3genE9ELNS1_11target_archE1100ELNS1_3gpuE3ELNS1_3repE0EEENS1_30default_config_static_selectorELNS0_4arch9wavefront6targetE1EEEvT1_ ; -- Begin function _ZN7rocprim17ROCPRIM_400000_NS6detail17trampoline_kernelINS0_14default_configENS1_25partition_config_selectorILNS1_17partition_subalgoE8ElNS0_10empty_typeEbEEZZNS1_14partition_implILS5_8ELb0ES3_jPlPS6_PKS6_NS0_5tupleIJS9_S6_EEENSD_IJSA_SA_EEENS0_18inequality_wrapperIZN2at6native12_GLOBAL__N_124unique_dim_cuda_templateIfEESt5tupleIJNSH_6TensorESM_SM_EERKSM_lbbbEUlllE0_EEPmJS6_EEE10hipError_tPvRmT3_T4_T5_T6_T7_T9_mT8_P12ihipStream_tbDpT10_ENKUlT_T0_E_clISt17integral_constantIbLb0EES1B_IbLb1EEEEDaS17_S18_EUlS17_E_NS1_11comp_targetILNS1_3genE9ELNS1_11target_archE1100ELNS1_3gpuE3ELNS1_3repE0EEENS1_30default_config_static_selectorELNS0_4arch9wavefront6targetE1EEEvT1_
	.p2align	8
	.type	_ZN7rocprim17ROCPRIM_400000_NS6detail17trampoline_kernelINS0_14default_configENS1_25partition_config_selectorILNS1_17partition_subalgoE8ElNS0_10empty_typeEbEEZZNS1_14partition_implILS5_8ELb0ES3_jPlPS6_PKS6_NS0_5tupleIJS9_S6_EEENSD_IJSA_SA_EEENS0_18inequality_wrapperIZN2at6native12_GLOBAL__N_124unique_dim_cuda_templateIfEESt5tupleIJNSH_6TensorESM_SM_EERKSM_lbbbEUlllE0_EEPmJS6_EEE10hipError_tPvRmT3_T4_T5_T6_T7_T9_mT8_P12ihipStream_tbDpT10_ENKUlT_T0_E_clISt17integral_constantIbLb0EES1B_IbLb1EEEEDaS17_S18_EUlS17_E_NS1_11comp_targetILNS1_3genE9ELNS1_11target_archE1100ELNS1_3gpuE3ELNS1_3repE0EEENS1_30default_config_static_selectorELNS0_4arch9wavefront6targetE1EEEvT1_,@function
_ZN7rocprim17ROCPRIM_400000_NS6detail17trampoline_kernelINS0_14default_configENS1_25partition_config_selectorILNS1_17partition_subalgoE8ElNS0_10empty_typeEbEEZZNS1_14partition_implILS5_8ELb0ES3_jPlPS6_PKS6_NS0_5tupleIJS9_S6_EEENSD_IJSA_SA_EEENS0_18inequality_wrapperIZN2at6native12_GLOBAL__N_124unique_dim_cuda_templateIfEESt5tupleIJNSH_6TensorESM_SM_EERKSM_lbbbEUlllE0_EEPmJS6_EEE10hipError_tPvRmT3_T4_T5_T6_T7_T9_mT8_P12ihipStream_tbDpT10_ENKUlT_T0_E_clISt17integral_constantIbLb0EES1B_IbLb1EEEEDaS17_S18_EUlS17_E_NS1_11comp_targetILNS1_3genE9ELNS1_11target_archE1100ELNS1_3gpuE3ELNS1_3repE0EEENS1_30default_config_static_selectorELNS0_4arch9wavefront6targetE1EEEvT1_: ; @_ZN7rocprim17ROCPRIM_400000_NS6detail17trampoline_kernelINS0_14default_configENS1_25partition_config_selectorILNS1_17partition_subalgoE8ElNS0_10empty_typeEbEEZZNS1_14partition_implILS5_8ELb0ES3_jPlPS6_PKS6_NS0_5tupleIJS9_S6_EEENSD_IJSA_SA_EEENS0_18inequality_wrapperIZN2at6native12_GLOBAL__N_124unique_dim_cuda_templateIfEESt5tupleIJNSH_6TensorESM_SM_EERKSM_lbbbEUlllE0_EEPmJS6_EEE10hipError_tPvRmT3_T4_T5_T6_T7_T9_mT8_P12ihipStream_tbDpT10_ENKUlT_T0_E_clISt17integral_constantIbLb0EES1B_IbLb1EEEEDaS17_S18_EUlS17_E_NS1_11comp_targetILNS1_3genE9ELNS1_11target_archE1100ELNS1_3gpuE3ELNS1_3repE0EEENS1_30default_config_static_selectorELNS0_4arch9wavefront6targetE1EEEvT1_
; %bb.0:
	.section	.rodata,"a",@progbits
	.p2align	6, 0x0
	.amdhsa_kernel _ZN7rocprim17ROCPRIM_400000_NS6detail17trampoline_kernelINS0_14default_configENS1_25partition_config_selectorILNS1_17partition_subalgoE8ElNS0_10empty_typeEbEEZZNS1_14partition_implILS5_8ELb0ES3_jPlPS6_PKS6_NS0_5tupleIJS9_S6_EEENSD_IJSA_SA_EEENS0_18inequality_wrapperIZN2at6native12_GLOBAL__N_124unique_dim_cuda_templateIfEESt5tupleIJNSH_6TensorESM_SM_EERKSM_lbbbEUlllE0_EEPmJS6_EEE10hipError_tPvRmT3_T4_T5_T6_T7_T9_mT8_P12ihipStream_tbDpT10_ENKUlT_T0_E_clISt17integral_constantIbLb0EES1B_IbLb1EEEEDaS17_S18_EUlS17_E_NS1_11comp_targetILNS1_3genE9ELNS1_11target_archE1100ELNS1_3gpuE3ELNS1_3repE0EEENS1_30default_config_static_selectorELNS0_4arch9wavefront6targetE1EEEvT1_
		.amdhsa_group_segment_fixed_size 0
		.amdhsa_private_segment_fixed_size 0
		.amdhsa_kernarg_size 136
		.amdhsa_user_sgpr_count 6
		.amdhsa_user_sgpr_private_segment_buffer 1
		.amdhsa_user_sgpr_dispatch_ptr 0
		.amdhsa_user_sgpr_queue_ptr 0
		.amdhsa_user_sgpr_kernarg_segment_ptr 1
		.amdhsa_user_sgpr_dispatch_id 0
		.amdhsa_user_sgpr_flat_scratch_init 0
		.amdhsa_user_sgpr_kernarg_preload_length 0
		.amdhsa_user_sgpr_kernarg_preload_offset 0
		.amdhsa_user_sgpr_private_segment_size 0
		.amdhsa_uses_dynamic_stack 0
		.amdhsa_system_sgpr_private_segment_wavefront_offset 0
		.amdhsa_system_sgpr_workgroup_id_x 1
		.amdhsa_system_sgpr_workgroup_id_y 0
		.amdhsa_system_sgpr_workgroup_id_z 0
		.amdhsa_system_sgpr_workgroup_info 0
		.amdhsa_system_vgpr_workitem_id 0
		.amdhsa_next_free_vgpr 1
		.amdhsa_next_free_sgpr 0
		.amdhsa_accum_offset 4
		.amdhsa_reserve_vcc 0
		.amdhsa_reserve_flat_scratch 0
		.amdhsa_float_round_mode_32 0
		.amdhsa_float_round_mode_16_64 0
		.amdhsa_float_denorm_mode_32 3
		.amdhsa_float_denorm_mode_16_64 3
		.amdhsa_dx10_clamp 1
		.amdhsa_ieee_mode 1
		.amdhsa_fp16_overflow 0
		.amdhsa_tg_split 0
		.amdhsa_exception_fp_ieee_invalid_op 0
		.amdhsa_exception_fp_denorm_src 0
		.amdhsa_exception_fp_ieee_div_zero 0
		.amdhsa_exception_fp_ieee_overflow 0
		.amdhsa_exception_fp_ieee_underflow 0
		.amdhsa_exception_fp_ieee_inexact 0
		.amdhsa_exception_int_div_zero 0
	.end_amdhsa_kernel
	.section	.text._ZN7rocprim17ROCPRIM_400000_NS6detail17trampoline_kernelINS0_14default_configENS1_25partition_config_selectorILNS1_17partition_subalgoE8ElNS0_10empty_typeEbEEZZNS1_14partition_implILS5_8ELb0ES3_jPlPS6_PKS6_NS0_5tupleIJS9_S6_EEENSD_IJSA_SA_EEENS0_18inequality_wrapperIZN2at6native12_GLOBAL__N_124unique_dim_cuda_templateIfEESt5tupleIJNSH_6TensorESM_SM_EERKSM_lbbbEUlllE0_EEPmJS6_EEE10hipError_tPvRmT3_T4_T5_T6_T7_T9_mT8_P12ihipStream_tbDpT10_ENKUlT_T0_E_clISt17integral_constantIbLb0EES1B_IbLb1EEEEDaS17_S18_EUlS17_E_NS1_11comp_targetILNS1_3genE9ELNS1_11target_archE1100ELNS1_3gpuE3ELNS1_3repE0EEENS1_30default_config_static_selectorELNS0_4arch9wavefront6targetE1EEEvT1_,"axG",@progbits,_ZN7rocprim17ROCPRIM_400000_NS6detail17trampoline_kernelINS0_14default_configENS1_25partition_config_selectorILNS1_17partition_subalgoE8ElNS0_10empty_typeEbEEZZNS1_14partition_implILS5_8ELb0ES3_jPlPS6_PKS6_NS0_5tupleIJS9_S6_EEENSD_IJSA_SA_EEENS0_18inequality_wrapperIZN2at6native12_GLOBAL__N_124unique_dim_cuda_templateIfEESt5tupleIJNSH_6TensorESM_SM_EERKSM_lbbbEUlllE0_EEPmJS6_EEE10hipError_tPvRmT3_T4_T5_T6_T7_T9_mT8_P12ihipStream_tbDpT10_ENKUlT_T0_E_clISt17integral_constantIbLb0EES1B_IbLb1EEEEDaS17_S18_EUlS17_E_NS1_11comp_targetILNS1_3genE9ELNS1_11target_archE1100ELNS1_3gpuE3ELNS1_3repE0EEENS1_30default_config_static_selectorELNS0_4arch9wavefront6targetE1EEEvT1_,comdat
.Lfunc_end959:
	.size	_ZN7rocprim17ROCPRIM_400000_NS6detail17trampoline_kernelINS0_14default_configENS1_25partition_config_selectorILNS1_17partition_subalgoE8ElNS0_10empty_typeEbEEZZNS1_14partition_implILS5_8ELb0ES3_jPlPS6_PKS6_NS0_5tupleIJS9_S6_EEENSD_IJSA_SA_EEENS0_18inequality_wrapperIZN2at6native12_GLOBAL__N_124unique_dim_cuda_templateIfEESt5tupleIJNSH_6TensorESM_SM_EERKSM_lbbbEUlllE0_EEPmJS6_EEE10hipError_tPvRmT3_T4_T5_T6_T7_T9_mT8_P12ihipStream_tbDpT10_ENKUlT_T0_E_clISt17integral_constantIbLb0EES1B_IbLb1EEEEDaS17_S18_EUlS17_E_NS1_11comp_targetILNS1_3genE9ELNS1_11target_archE1100ELNS1_3gpuE3ELNS1_3repE0EEENS1_30default_config_static_selectorELNS0_4arch9wavefront6targetE1EEEvT1_, .Lfunc_end959-_ZN7rocprim17ROCPRIM_400000_NS6detail17trampoline_kernelINS0_14default_configENS1_25partition_config_selectorILNS1_17partition_subalgoE8ElNS0_10empty_typeEbEEZZNS1_14partition_implILS5_8ELb0ES3_jPlPS6_PKS6_NS0_5tupleIJS9_S6_EEENSD_IJSA_SA_EEENS0_18inequality_wrapperIZN2at6native12_GLOBAL__N_124unique_dim_cuda_templateIfEESt5tupleIJNSH_6TensorESM_SM_EERKSM_lbbbEUlllE0_EEPmJS6_EEE10hipError_tPvRmT3_T4_T5_T6_T7_T9_mT8_P12ihipStream_tbDpT10_ENKUlT_T0_E_clISt17integral_constantIbLb0EES1B_IbLb1EEEEDaS17_S18_EUlS17_E_NS1_11comp_targetILNS1_3genE9ELNS1_11target_archE1100ELNS1_3gpuE3ELNS1_3repE0EEENS1_30default_config_static_selectorELNS0_4arch9wavefront6targetE1EEEvT1_
                                        ; -- End function
	.section	.AMDGPU.csdata,"",@progbits
; Kernel info:
; codeLenInByte = 0
; NumSgprs: 4
; NumVgprs: 0
; NumAgprs: 0
; TotalNumVgprs: 0
; ScratchSize: 0
; MemoryBound: 0
; FloatMode: 240
; IeeeMode: 1
; LDSByteSize: 0 bytes/workgroup (compile time only)
; SGPRBlocks: 0
; VGPRBlocks: 0
; NumSGPRsForWavesPerEU: 4
; NumVGPRsForWavesPerEU: 1
; AccumOffset: 4
; Occupancy: 8
; WaveLimiterHint : 0
; COMPUTE_PGM_RSRC2:SCRATCH_EN: 0
; COMPUTE_PGM_RSRC2:USER_SGPR: 6
; COMPUTE_PGM_RSRC2:TRAP_HANDLER: 0
; COMPUTE_PGM_RSRC2:TGID_X_EN: 1
; COMPUTE_PGM_RSRC2:TGID_Y_EN: 0
; COMPUTE_PGM_RSRC2:TGID_Z_EN: 0
; COMPUTE_PGM_RSRC2:TIDIG_COMP_CNT: 0
; COMPUTE_PGM_RSRC3_GFX90A:ACCUM_OFFSET: 0
; COMPUTE_PGM_RSRC3_GFX90A:TG_SPLIT: 0
	.section	.text._ZN7rocprim17ROCPRIM_400000_NS6detail17trampoline_kernelINS0_14default_configENS1_25partition_config_selectorILNS1_17partition_subalgoE8ElNS0_10empty_typeEbEEZZNS1_14partition_implILS5_8ELb0ES3_jPlPS6_PKS6_NS0_5tupleIJS9_S6_EEENSD_IJSA_SA_EEENS0_18inequality_wrapperIZN2at6native12_GLOBAL__N_124unique_dim_cuda_templateIfEESt5tupleIJNSH_6TensorESM_SM_EERKSM_lbbbEUlllE0_EEPmJS6_EEE10hipError_tPvRmT3_T4_T5_T6_T7_T9_mT8_P12ihipStream_tbDpT10_ENKUlT_T0_E_clISt17integral_constantIbLb0EES1B_IbLb1EEEEDaS17_S18_EUlS17_E_NS1_11comp_targetILNS1_3genE8ELNS1_11target_archE1030ELNS1_3gpuE2ELNS1_3repE0EEENS1_30default_config_static_selectorELNS0_4arch9wavefront6targetE1EEEvT1_,"axG",@progbits,_ZN7rocprim17ROCPRIM_400000_NS6detail17trampoline_kernelINS0_14default_configENS1_25partition_config_selectorILNS1_17partition_subalgoE8ElNS0_10empty_typeEbEEZZNS1_14partition_implILS5_8ELb0ES3_jPlPS6_PKS6_NS0_5tupleIJS9_S6_EEENSD_IJSA_SA_EEENS0_18inequality_wrapperIZN2at6native12_GLOBAL__N_124unique_dim_cuda_templateIfEESt5tupleIJNSH_6TensorESM_SM_EERKSM_lbbbEUlllE0_EEPmJS6_EEE10hipError_tPvRmT3_T4_T5_T6_T7_T9_mT8_P12ihipStream_tbDpT10_ENKUlT_T0_E_clISt17integral_constantIbLb0EES1B_IbLb1EEEEDaS17_S18_EUlS17_E_NS1_11comp_targetILNS1_3genE8ELNS1_11target_archE1030ELNS1_3gpuE2ELNS1_3repE0EEENS1_30default_config_static_selectorELNS0_4arch9wavefront6targetE1EEEvT1_,comdat
	.globl	_ZN7rocprim17ROCPRIM_400000_NS6detail17trampoline_kernelINS0_14default_configENS1_25partition_config_selectorILNS1_17partition_subalgoE8ElNS0_10empty_typeEbEEZZNS1_14partition_implILS5_8ELb0ES3_jPlPS6_PKS6_NS0_5tupleIJS9_S6_EEENSD_IJSA_SA_EEENS0_18inequality_wrapperIZN2at6native12_GLOBAL__N_124unique_dim_cuda_templateIfEESt5tupleIJNSH_6TensorESM_SM_EERKSM_lbbbEUlllE0_EEPmJS6_EEE10hipError_tPvRmT3_T4_T5_T6_T7_T9_mT8_P12ihipStream_tbDpT10_ENKUlT_T0_E_clISt17integral_constantIbLb0EES1B_IbLb1EEEEDaS17_S18_EUlS17_E_NS1_11comp_targetILNS1_3genE8ELNS1_11target_archE1030ELNS1_3gpuE2ELNS1_3repE0EEENS1_30default_config_static_selectorELNS0_4arch9wavefront6targetE1EEEvT1_ ; -- Begin function _ZN7rocprim17ROCPRIM_400000_NS6detail17trampoline_kernelINS0_14default_configENS1_25partition_config_selectorILNS1_17partition_subalgoE8ElNS0_10empty_typeEbEEZZNS1_14partition_implILS5_8ELb0ES3_jPlPS6_PKS6_NS0_5tupleIJS9_S6_EEENSD_IJSA_SA_EEENS0_18inequality_wrapperIZN2at6native12_GLOBAL__N_124unique_dim_cuda_templateIfEESt5tupleIJNSH_6TensorESM_SM_EERKSM_lbbbEUlllE0_EEPmJS6_EEE10hipError_tPvRmT3_T4_T5_T6_T7_T9_mT8_P12ihipStream_tbDpT10_ENKUlT_T0_E_clISt17integral_constantIbLb0EES1B_IbLb1EEEEDaS17_S18_EUlS17_E_NS1_11comp_targetILNS1_3genE8ELNS1_11target_archE1030ELNS1_3gpuE2ELNS1_3repE0EEENS1_30default_config_static_selectorELNS0_4arch9wavefront6targetE1EEEvT1_
	.p2align	8
	.type	_ZN7rocprim17ROCPRIM_400000_NS6detail17trampoline_kernelINS0_14default_configENS1_25partition_config_selectorILNS1_17partition_subalgoE8ElNS0_10empty_typeEbEEZZNS1_14partition_implILS5_8ELb0ES3_jPlPS6_PKS6_NS0_5tupleIJS9_S6_EEENSD_IJSA_SA_EEENS0_18inequality_wrapperIZN2at6native12_GLOBAL__N_124unique_dim_cuda_templateIfEESt5tupleIJNSH_6TensorESM_SM_EERKSM_lbbbEUlllE0_EEPmJS6_EEE10hipError_tPvRmT3_T4_T5_T6_T7_T9_mT8_P12ihipStream_tbDpT10_ENKUlT_T0_E_clISt17integral_constantIbLb0EES1B_IbLb1EEEEDaS17_S18_EUlS17_E_NS1_11comp_targetILNS1_3genE8ELNS1_11target_archE1030ELNS1_3gpuE2ELNS1_3repE0EEENS1_30default_config_static_selectorELNS0_4arch9wavefront6targetE1EEEvT1_,@function
_ZN7rocprim17ROCPRIM_400000_NS6detail17trampoline_kernelINS0_14default_configENS1_25partition_config_selectorILNS1_17partition_subalgoE8ElNS0_10empty_typeEbEEZZNS1_14partition_implILS5_8ELb0ES3_jPlPS6_PKS6_NS0_5tupleIJS9_S6_EEENSD_IJSA_SA_EEENS0_18inequality_wrapperIZN2at6native12_GLOBAL__N_124unique_dim_cuda_templateIfEESt5tupleIJNSH_6TensorESM_SM_EERKSM_lbbbEUlllE0_EEPmJS6_EEE10hipError_tPvRmT3_T4_T5_T6_T7_T9_mT8_P12ihipStream_tbDpT10_ENKUlT_T0_E_clISt17integral_constantIbLb0EES1B_IbLb1EEEEDaS17_S18_EUlS17_E_NS1_11comp_targetILNS1_3genE8ELNS1_11target_archE1030ELNS1_3gpuE2ELNS1_3repE0EEENS1_30default_config_static_selectorELNS0_4arch9wavefront6targetE1EEEvT1_: ; @_ZN7rocprim17ROCPRIM_400000_NS6detail17trampoline_kernelINS0_14default_configENS1_25partition_config_selectorILNS1_17partition_subalgoE8ElNS0_10empty_typeEbEEZZNS1_14partition_implILS5_8ELb0ES3_jPlPS6_PKS6_NS0_5tupleIJS9_S6_EEENSD_IJSA_SA_EEENS0_18inequality_wrapperIZN2at6native12_GLOBAL__N_124unique_dim_cuda_templateIfEESt5tupleIJNSH_6TensorESM_SM_EERKSM_lbbbEUlllE0_EEPmJS6_EEE10hipError_tPvRmT3_T4_T5_T6_T7_T9_mT8_P12ihipStream_tbDpT10_ENKUlT_T0_E_clISt17integral_constantIbLb0EES1B_IbLb1EEEEDaS17_S18_EUlS17_E_NS1_11comp_targetILNS1_3genE8ELNS1_11target_archE1030ELNS1_3gpuE2ELNS1_3repE0EEENS1_30default_config_static_selectorELNS0_4arch9wavefront6targetE1EEEvT1_
; %bb.0:
	.section	.rodata,"a",@progbits
	.p2align	6, 0x0
	.amdhsa_kernel _ZN7rocprim17ROCPRIM_400000_NS6detail17trampoline_kernelINS0_14default_configENS1_25partition_config_selectorILNS1_17partition_subalgoE8ElNS0_10empty_typeEbEEZZNS1_14partition_implILS5_8ELb0ES3_jPlPS6_PKS6_NS0_5tupleIJS9_S6_EEENSD_IJSA_SA_EEENS0_18inequality_wrapperIZN2at6native12_GLOBAL__N_124unique_dim_cuda_templateIfEESt5tupleIJNSH_6TensorESM_SM_EERKSM_lbbbEUlllE0_EEPmJS6_EEE10hipError_tPvRmT3_T4_T5_T6_T7_T9_mT8_P12ihipStream_tbDpT10_ENKUlT_T0_E_clISt17integral_constantIbLb0EES1B_IbLb1EEEEDaS17_S18_EUlS17_E_NS1_11comp_targetILNS1_3genE8ELNS1_11target_archE1030ELNS1_3gpuE2ELNS1_3repE0EEENS1_30default_config_static_selectorELNS0_4arch9wavefront6targetE1EEEvT1_
		.amdhsa_group_segment_fixed_size 0
		.amdhsa_private_segment_fixed_size 0
		.amdhsa_kernarg_size 136
		.amdhsa_user_sgpr_count 6
		.amdhsa_user_sgpr_private_segment_buffer 1
		.amdhsa_user_sgpr_dispatch_ptr 0
		.amdhsa_user_sgpr_queue_ptr 0
		.amdhsa_user_sgpr_kernarg_segment_ptr 1
		.amdhsa_user_sgpr_dispatch_id 0
		.amdhsa_user_sgpr_flat_scratch_init 0
		.amdhsa_user_sgpr_kernarg_preload_length 0
		.amdhsa_user_sgpr_kernarg_preload_offset 0
		.amdhsa_user_sgpr_private_segment_size 0
		.amdhsa_uses_dynamic_stack 0
		.amdhsa_system_sgpr_private_segment_wavefront_offset 0
		.amdhsa_system_sgpr_workgroup_id_x 1
		.amdhsa_system_sgpr_workgroup_id_y 0
		.amdhsa_system_sgpr_workgroup_id_z 0
		.amdhsa_system_sgpr_workgroup_info 0
		.amdhsa_system_vgpr_workitem_id 0
		.amdhsa_next_free_vgpr 1
		.amdhsa_next_free_sgpr 0
		.amdhsa_accum_offset 4
		.amdhsa_reserve_vcc 0
		.amdhsa_reserve_flat_scratch 0
		.amdhsa_float_round_mode_32 0
		.amdhsa_float_round_mode_16_64 0
		.amdhsa_float_denorm_mode_32 3
		.amdhsa_float_denorm_mode_16_64 3
		.amdhsa_dx10_clamp 1
		.amdhsa_ieee_mode 1
		.amdhsa_fp16_overflow 0
		.amdhsa_tg_split 0
		.amdhsa_exception_fp_ieee_invalid_op 0
		.amdhsa_exception_fp_denorm_src 0
		.amdhsa_exception_fp_ieee_div_zero 0
		.amdhsa_exception_fp_ieee_overflow 0
		.amdhsa_exception_fp_ieee_underflow 0
		.amdhsa_exception_fp_ieee_inexact 0
		.amdhsa_exception_int_div_zero 0
	.end_amdhsa_kernel
	.section	.text._ZN7rocprim17ROCPRIM_400000_NS6detail17trampoline_kernelINS0_14default_configENS1_25partition_config_selectorILNS1_17partition_subalgoE8ElNS0_10empty_typeEbEEZZNS1_14partition_implILS5_8ELb0ES3_jPlPS6_PKS6_NS0_5tupleIJS9_S6_EEENSD_IJSA_SA_EEENS0_18inequality_wrapperIZN2at6native12_GLOBAL__N_124unique_dim_cuda_templateIfEESt5tupleIJNSH_6TensorESM_SM_EERKSM_lbbbEUlllE0_EEPmJS6_EEE10hipError_tPvRmT3_T4_T5_T6_T7_T9_mT8_P12ihipStream_tbDpT10_ENKUlT_T0_E_clISt17integral_constantIbLb0EES1B_IbLb1EEEEDaS17_S18_EUlS17_E_NS1_11comp_targetILNS1_3genE8ELNS1_11target_archE1030ELNS1_3gpuE2ELNS1_3repE0EEENS1_30default_config_static_selectorELNS0_4arch9wavefront6targetE1EEEvT1_,"axG",@progbits,_ZN7rocprim17ROCPRIM_400000_NS6detail17trampoline_kernelINS0_14default_configENS1_25partition_config_selectorILNS1_17partition_subalgoE8ElNS0_10empty_typeEbEEZZNS1_14partition_implILS5_8ELb0ES3_jPlPS6_PKS6_NS0_5tupleIJS9_S6_EEENSD_IJSA_SA_EEENS0_18inequality_wrapperIZN2at6native12_GLOBAL__N_124unique_dim_cuda_templateIfEESt5tupleIJNSH_6TensorESM_SM_EERKSM_lbbbEUlllE0_EEPmJS6_EEE10hipError_tPvRmT3_T4_T5_T6_T7_T9_mT8_P12ihipStream_tbDpT10_ENKUlT_T0_E_clISt17integral_constantIbLb0EES1B_IbLb1EEEEDaS17_S18_EUlS17_E_NS1_11comp_targetILNS1_3genE8ELNS1_11target_archE1030ELNS1_3gpuE2ELNS1_3repE0EEENS1_30default_config_static_selectorELNS0_4arch9wavefront6targetE1EEEvT1_,comdat
.Lfunc_end960:
	.size	_ZN7rocprim17ROCPRIM_400000_NS6detail17trampoline_kernelINS0_14default_configENS1_25partition_config_selectorILNS1_17partition_subalgoE8ElNS0_10empty_typeEbEEZZNS1_14partition_implILS5_8ELb0ES3_jPlPS6_PKS6_NS0_5tupleIJS9_S6_EEENSD_IJSA_SA_EEENS0_18inequality_wrapperIZN2at6native12_GLOBAL__N_124unique_dim_cuda_templateIfEESt5tupleIJNSH_6TensorESM_SM_EERKSM_lbbbEUlllE0_EEPmJS6_EEE10hipError_tPvRmT3_T4_T5_T6_T7_T9_mT8_P12ihipStream_tbDpT10_ENKUlT_T0_E_clISt17integral_constantIbLb0EES1B_IbLb1EEEEDaS17_S18_EUlS17_E_NS1_11comp_targetILNS1_3genE8ELNS1_11target_archE1030ELNS1_3gpuE2ELNS1_3repE0EEENS1_30default_config_static_selectorELNS0_4arch9wavefront6targetE1EEEvT1_, .Lfunc_end960-_ZN7rocprim17ROCPRIM_400000_NS6detail17trampoline_kernelINS0_14default_configENS1_25partition_config_selectorILNS1_17partition_subalgoE8ElNS0_10empty_typeEbEEZZNS1_14partition_implILS5_8ELb0ES3_jPlPS6_PKS6_NS0_5tupleIJS9_S6_EEENSD_IJSA_SA_EEENS0_18inequality_wrapperIZN2at6native12_GLOBAL__N_124unique_dim_cuda_templateIfEESt5tupleIJNSH_6TensorESM_SM_EERKSM_lbbbEUlllE0_EEPmJS6_EEE10hipError_tPvRmT3_T4_T5_T6_T7_T9_mT8_P12ihipStream_tbDpT10_ENKUlT_T0_E_clISt17integral_constantIbLb0EES1B_IbLb1EEEEDaS17_S18_EUlS17_E_NS1_11comp_targetILNS1_3genE8ELNS1_11target_archE1030ELNS1_3gpuE2ELNS1_3repE0EEENS1_30default_config_static_selectorELNS0_4arch9wavefront6targetE1EEEvT1_
                                        ; -- End function
	.section	.AMDGPU.csdata,"",@progbits
; Kernel info:
; codeLenInByte = 0
; NumSgprs: 4
; NumVgprs: 0
; NumAgprs: 0
; TotalNumVgprs: 0
; ScratchSize: 0
; MemoryBound: 0
; FloatMode: 240
; IeeeMode: 1
; LDSByteSize: 0 bytes/workgroup (compile time only)
; SGPRBlocks: 0
; VGPRBlocks: 0
; NumSGPRsForWavesPerEU: 4
; NumVGPRsForWavesPerEU: 1
; AccumOffset: 4
; Occupancy: 8
; WaveLimiterHint : 0
; COMPUTE_PGM_RSRC2:SCRATCH_EN: 0
; COMPUTE_PGM_RSRC2:USER_SGPR: 6
; COMPUTE_PGM_RSRC2:TRAP_HANDLER: 0
; COMPUTE_PGM_RSRC2:TGID_X_EN: 1
; COMPUTE_PGM_RSRC2:TGID_Y_EN: 0
; COMPUTE_PGM_RSRC2:TGID_Z_EN: 0
; COMPUTE_PGM_RSRC2:TIDIG_COMP_CNT: 0
; COMPUTE_PGM_RSRC3_GFX90A:ACCUM_OFFSET: 0
; COMPUTE_PGM_RSRC3_GFX90A:TG_SPLIT: 0
	.section	.text._ZN7rocprim17ROCPRIM_400000_NS6detail17trampoline_kernelINS0_14default_configENS1_25partition_config_selectorILNS1_17partition_subalgoE9EllbEEZZNS1_14partition_implILS5_9ELb0ES3_jPlS8_PNS0_10empty_typeENS0_5tupleIJS8_S9_EEENSB_IJS8_SA_EEENS0_18inequality_wrapperIZN2at6native12_GLOBAL__N_124unique_dim_cuda_templateIfEESt5tupleIJNSF_6TensorESK_SK_EERKSK_lbbbEUlllE0_EEPmJS9_EEE10hipError_tPvRmT3_T4_T5_T6_T7_T9_mT8_P12ihipStream_tbDpT10_ENKUlT_T0_E_clISt17integral_constantIbLb0EES1A_EEDaS15_S16_EUlS15_E_NS1_11comp_targetILNS1_3genE0ELNS1_11target_archE4294967295ELNS1_3gpuE0ELNS1_3repE0EEENS1_30default_config_static_selectorELNS0_4arch9wavefront6targetE1EEEvT1_,"axG",@progbits,_ZN7rocprim17ROCPRIM_400000_NS6detail17trampoline_kernelINS0_14default_configENS1_25partition_config_selectorILNS1_17partition_subalgoE9EllbEEZZNS1_14partition_implILS5_9ELb0ES3_jPlS8_PNS0_10empty_typeENS0_5tupleIJS8_S9_EEENSB_IJS8_SA_EEENS0_18inequality_wrapperIZN2at6native12_GLOBAL__N_124unique_dim_cuda_templateIfEESt5tupleIJNSF_6TensorESK_SK_EERKSK_lbbbEUlllE0_EEPmJS9_EEE10hipError_tPvRmT3_T4_T5_T6_T7_T9_mT8_P12ihipStream_tbDpT10_ENKUlT_T0_E_clISt17integral_constantIbLb0EES1A_EEDaS15_S16_EUlS15_E_NS1_11comp_targetILNS1_3genE0ELNS1_11target_archE4294967295ELNS1_3gpuE0ELNS1_3repE0EEENS1_30default_config_static_selectorELNS0_4arch9wavefront6targetE1EEEvT1_,comdat
	.globl	_ZN7rocprim17ROCPRIM_400000_NS6detail17trampoline_kernelINS0_14default_configENS1_25partition_config_selectorILNS1_17partition_subalgoE9EllbEEZZNS1_14partition_implILS5_9ELb0ES3_jPlS8_PNS0_10empty_typeENS0_5tupleIJS8_S9_EEENSB_IJS8_SA_EEENS0_18inequality_wrapperIZN2at6native12_GLOBAL__N_124unique_dim_cuda_templateIfEESt5tupleIJNSF_6TensorESK_SK_EERKSK_lbbbEUlllE0_EEPmJS9_EEE10hipError_tPvRmT3_T4_T5_T6_T7_T9_mT8_P12ihipStream_tbDpT10_ENKUlT_T0_E_clISt17integral_constantIbLb0EES1A_EEDaS15_S16_EUlS15_E_NS1_11comp_targetILNS1_3genE0ELNS1_11target_archE4294967295ELNS1_3gpuE0ELNS1_3repE0EEENS1_30default_config_static_selectorELNS0_4arch9wavefront6targetE1EEEvT1_ ; -- Begin function _ZN7rocprim17ROCPRIM_400000_NS6detail17trampoline_kernelINS0_14default_configENS1_25partition_config_selectorILNS1_17partition_subalgoE9EllbEEZZNS1_14partition_implILS5_9ELb0ES3_jPlS8_PNS0_10empty_typeENS0_5tupleIJS8_S9_EEENSB_IJS8_SA_EEENS0_18inequality_wrapperIZN2at6native12_GLOBAL__N_124unique_dim_cuda_templateIfEESt5tupleIJNSF_6TensorESK_SK_EERKSK_lbbbEUlllE0_EEPmJS9_EEE10hipError_tPvRmT3_T4_T5_T6_T7_T9_mT8_P12ihipStream_tbDpT10_ENKUlT_T0_E_clISt17integral_constantIbLb0EES1A_EEDaS15_S16_EUlS15_E_NS1_11comp_targetILNS1_3genE0ELNS1_11target_archE4294967295ELNS1_3gpuE0ELNS1_3repE0EEENS1_30default_config_static_selectorELNS0_4arch9wavefront6targetE1EEEvT1_
	.p2align	8
	.type	_ZN7rocprim17ROCPRIM_400000_NS6detail17trampoline_kernelINS0_14default_configENS1_25partition_config_selectorILNS1_17partition_subalgoE9EllbEEZZNS1_14partition_implILS5_9ELb0ES3_jPlS8_PNS0_10empty_typeENS0_5tupleIJS8_S9_EEENSB_IJS8_SA_EEENS0_18inequality_wrapperIZN2at6native12_GLOBAL__N_124unique_dim_cuda_templateIfEESt5tupleIJNSF_6TensorESK_SK_EERKSK_lbbbEUlllE0_EEPmJS9_EEE10hipError_tPvRmT3_T4_T5_T6_T7_T9_mT8_P12ihipStream_tbDpT10_ENKUlT_T0_E_clISt17integral_constantIbLb0EES1A_EEDaS15_S16_EUlS15_E_NS1_11comp_targetILNS1_3genE0ELNS1_11target_archE4294967295ELNS1_3gpuE0ELNS1_3repE0EEENS1_30default_config_static_selectorELNS0_4arch9wavefront6targetE1EEEvT1_,@function
_ZN7rocprim17ROCPRIM_400000_NS6detail17trampoline_kernelINS0_14default_configENS1_25partition_config_selectorILNS1_17partition_subalgoE9EllbEEZZNS1_14partition_implILS5_9ELb0ES3_jPlS8_PNS0_10empty_typeENS0_5tupleIJS8_S9_EEENSB_IJS8_SA_EEENS0_18inequality_wrapperIZN2at6native12_GLOBAL__N_124unique_dim_cuda_templateIfEESt5tupleIJNSF_6TensorESK_SK_EERKSK_lbbbEUlllE0_EEPmJS9_EEE10hipError_tPvRmT3_T4_T5_T6_T7_T9_mT8_P12ihipStream_tbDpT10_ENKUlT_T0_E_clISt17integral_constantIbLb0EES1A_EEDaS15_S16_EUlS15_E_NS1_11comp_targetILNS1_3genE0ELNS1_11target_archE4294967295ELNS1_3gpuE0ELNS1_3repE0EEENS1_30default_config_static_selectorELNS0_4arch9wavefront6targetE1EEEvT1_: ; @_ZN7rocprim17ROCPRIM_400000_NS6detail17trampoline_kernelINS0_14default_configENS1_25partition_config_selectorILNS1_17partition_subalgoE9EllbEEZZNS1_14partition_implILS5_9ELb0ES3_jPlS8_PNS0_10empty_typeENS0_5tupleIJS8_S9_EEENSB_IJS8_SA_EEENS0_18inequality_wrapperIZN2at6native12_GLOBAL__N_124unique_dim_cuda_templateIfEESt5tupleIJNSF_6TensorESK_SK_EERKSK_lbbbEUlllE0_EEPmJS9_EEE10hipError_tPvRmT3_T4_T5_T6_T7_T9_mT8_P12ihipStream_tbDpT10_ENKUlT_T0_E_clISt17integral_constantIbLb0EES1A_EEDaS15_S16_EUlS15_E_NS1_11comp_targetILNS1_3genE0ELNS1_11target_archE4294967295ELNS1_3gpuE0ELNS1_3repE0EEENS1_30default_config_static_selectorELNS0_4arch9wavefront6targetE1EEEvT1_
; %bb.0:
	.section	.rodata,"a",@progbits
	.p2align	6, 0x0
	.amdhsa_kernel _ZN7rocprim17ROCPRIM_400000_NS6detail17trampoline_kernelINS0_14default_configENS1_25partition_config_selectorILNS1_17partition_subalgoE9EllbEEZZNS1_14partition_implILS5_9ELb0ES3_jPlS8_PNS0_10empty_typeENS0_5tupleIJS8_S9_EEENSB_IJS8_SA_EEENS0_18inequality_wrapperIZN2at6native12_GLOBAL__N_124unique_dim_cuda_templateIfEESt5tupleIJNSF_6TensorESK_SK_EERKSK_lbbbEUlllE0_EEPmJS9_EEE10hipError_tPvRmT3_T4_T5_T6_T7_T9_mT8_P12ihipStream_tbDpT10_ENKUlT_T0_E_clISt17integral_constantIbLb0EES1A_EEDaS15_S16_EUlS15_E_NS1_11comp_targetILNS1_3genE0ELNS1_11target_archE4294967295ELNS1_3gpuE0ELNS1_3repE0EEENS1_30default_config_static_selectorELNS0_4arch9wavefront6targetE1EEEvT1_
		.amdhsa_group_segment_fixed_size 0
		.amdhsa_private_segment_fixed_size 0
		.amdhsa_kernarg_size 120
		.amdhsa_user_sgpr_count 6
		.amdhsa_user_sgpr_private_segment_buffer 1
		.amdhsa_user_sgpr_dispatch_ptr 0
		.amdhsa_user_sgpr_queue_ptr 0
		.amdhsa_user_sgpr_kernarg_segment_ptr 1
		.amdhsa_user_sgpr_dispatch_id 0
		.amdhsa_user_sgpr_flat_scratch_init 0
		.amdhsa_user_sgpr_kernarg_preload_length 0
		.amdhsa_user_sgpr_kernarg_preload_offset 0
		.amdhsa_user_sgpr_private_segment_size 0
		.amdhsa_uses_dynamic_stack 0
		.amdhsa_system_sgpr_private_segment_wavefront_offset 0
		.amdhsa_system_sgpr_workgroup_id_x 1
		.amdhsa_system_sgpr_workgroup_id_y 0
		.amdhsa_system_sgpr_workgroup_id_z 0
		.amdhsa_system_sgpr_workgroup_info 0
		.amdhsa_system_vgpr_workitem_id 0
		.amdhsa_next_free_vgpr 1
		.amdhsa_next_free_sgpr 0
		.amdhsa_accum_offset 4
		.amdhsa_reserve_vcc 0
		.amdhsa_reserve_flat_scratch 0
		.amdhsa_float_round_mode_32 0
		.amdhsa_float_round_mode_16_64 0
		.amdhsa_float_denorm_mode_32 3
		.amdhsa_float_denorm_mode_16_64 3
		.amdhsa_dx10_clamp 1
		.amdhsa_ieee_mode 1
		.amdhsa_fp16_overflow 0
		.amdhsa_tg_split 0
		.amdhsa_exception_fp_ieee_invalid_op 0
		.amdhsa_exception_fp_denorm_src 0
		.amdhsa_exception_fp_ieee_div_zero 0
		.amdhsa_exception_fp_ieee_overflow 0
		.amdhsa_exception_fp_ieee_underflow 0
		.amdhsa_exception_fp_ieee_inexact 0
		.amdhsa_exception_int_div_zero 0
	.end_amdhsa_kernel
	.section	.text._ZN7rocprim17ROCPRIM_400000_NS6detail17trampoline_kernelINS0_14default_configENS1_25partition_config_selectorILNS1_17partition_subalgoE9EllbEEZZNS1_14partition_implILS5_9ELb0ES3_jPlS8_PNS0_10empty_typeENS0_5tupleIJS8_S9_EEENSB_IJS8_SA_EEENS0_18inequality_wrapperIZN2at6native12_GLOBAL__N_124unique_dim_cuda_templateIfEESt5tupleIJNSF_6TensorESK_SK_EERKSK_lbbbEUlllE0_EEPmJS9_EEE10hipError_tPvRmT3_T4_T5_T6_T7_T9_mT8_P12ihipStream_tbDpT10_ENKUlT_T0_E_clISt17integral_constantIbLb0EES1A_EEDaS15_S16_EUlS15_E_NS1_11comp_targetILNS1_3genE0ELNS1_11target_archE4294967295ELNS1_3gpuE0ELNS1_3repE0EEENS1_30default_config_static_selectorELNS0_4arch9wavefront6targetE1EEEvT1_,"axG",@progbits,_ZN7rocprim17ROCPRIM_400000_NS6detail17trampoline_kernelINS0_14default_configENS1_25partition_config_selectorILNS1_17partition_subalgoE9EllbEEZZNS1_14partition_implILS5_9ELb0ES3_jPlS8_PNS0_10empty_typeENS0_5tupleIJS8_S9_EEENSB_IJS8_SA_EEENS0_18inequality_wrapperIZN2at6native12_GLOBAL__N_124unique_dim_cuda_templateIfEESt5tupleIJNSF_6TensorESK_SK_EERKSK_lbbbEUlllE0_EEPmJS9_EEE10hipError_tPvRmT3_T4_T5_T6_T7_T9_mT8_P12ihipStream_tbDpT10_ENKUlT_T0_E_clISt17integral_constantIbLb0EES1A_EEDaS15_S16_EUlS15_E_NS1_11comp_targetILNS1_3genE0ELNS1_11target_archE4294967295ELNS1_3gpuE0ELNS1_3repE0EEENS1_30default_config_static_selectorELNS0_4arch9wavefront6targetE1EEEvT1_,comdat
.Lfunc_end961:
	.size	_ZN7rocprim17ROCPRIM_400000_NS6detail17trampoline_kernelINS0_14default_configENS1_25partition_config_selectorILNS1_17partition_subalgoE9EllbEEZZNS1_14partition_implILS5_9ELb0ES3_jPlS8_PNS0_10empty_typeENS0_5tupleIJS8_S9_EEENSB_IJS8_SA_EEENS0_18inequality_wrapperIZN2at6native12_GLOBAL__N_124unique_dim_cuda_templateIfEESt5tupleIJNSF_6TensorESK_SK_EERKSK_lbbbEUlllE0_EEPmJS9_EEE10hipError_tPvRmT3_T4_T5_T6_T7_T9_mT8_P12ihipStream_tbDpT10_ENKUlT_T0_E_clISt17integral_constantIbLb0EES1A_EEDaS15_S16_EUlS15_E_NS1_11comp_targetILNS1_3genE0ELNS1_11target_archE4294967295ELNS1_3gpuE0ELNS1_3repE0EEENS1_30default_config_static_selectorELNS0_4arch9wavefront6targetE1EEEvT1_, .Lfunc_end961-_ZN7rocprim17ROCPRIM_400000_NS6detail17trampoline_kernelINS0_14default_configENS1_25partition_config_selectorILNS1_17partition_subalgoE9EllbEEZZNS1_14partition_implILS5_9ELb0ES3_jPlS8_PNS0_10empty_typeENS0_5tupleIJS8_S9_EEENSB_IJS8_SA_EEENS0_18inequality_wrapperIZN2at6native12_GLOBAL__N_124unique_dim_cuda_templateIfEESt5tupleIJNSF_6TensorESK_SK_EERKSK_lbbbEUlllE0_EEPmJS9_EEE10hipError_tPvRmT3_T4_T5_T6_T7_T9_mT8_P12ihipStream_tbDpT10_ENKUlT_T0_E_clISt17integral_constantIbLb0EES1A_EEDaS15_S16_EUlS15_E_NS1_11comp_targetILNS1_3genE0ELNS1_11target_archE4294967295ELNS1_3gpuE0ELNS1_3repE0EEENS1_30default_config_static_selectorELNS0_4arch9wavefront6targetE1EEEvT1_
                                        ; -- End function
	.section	.AMDGPU.csdata,"",@progbits
; Kernel info:
; codeLenInByte = 0
; NumSgprs: 4
; NumVgprs: 0
; NumAgprs: 0
; TotalNumVgprs: 0
; ScratchSize: 0
; MemoryBound: 0
; FloatMode: 240
; IeeeMode: 1
; LDSByteSize: 0 bytes/workgroup (compile time only)
; SGPRBlocks: 0
; VGPRBlocks: 0
; NumSGPRsForWavesPerEU: 4
; NumVGPRsForWavesPerEU: 1
; AccumOffset: 4
; Occupancy: 8
; WaveLimiterHint : 0
; COMPUTE_PGM_RSRC2:SCRATCH_EN: 0
; COMPUTE_PGM_RSRC2:USER_SGPR: 6
; COMPUTE_PGM_RSRC2:TRAP_HANDLER: 0
; COMPUTE_PGM_RSRC2:TGID_X_EN: 1
; COMPUTE_PGM_RSRC2:TGID_Y_EN: 0
; COMPUTE_PGM_RSRC2:TGID_Z_EN: 0
; COMPUTE_PGM_RSRC2:TIDIG_COMP_CNT: 0
; COMPUTE_PGM_RSRC3_GFX90A:ACCUM_OFFSET: 0
; COMPUTE_PGM_RSRC3_GFX90A:TG_SPLIT: 0
	.section	.text._ZN7rocprim17ROCPRIM_400000_NS6detail17trampoline_kernelINS0_14default_configENS1_25partition_config_selectorILNS1_17partition_subalgoE9EllbEEZZNS1_14partition_implILS5_9ELb0ES3_jPlS8_PNS0_10empty_typeENS0_5tupleIJS8_S9_EEENSB_IJS8_SA_EEENS0_18inequality_wrapperIZN2at6native12_GLOBAL__N_124unique_dim_cuda_templateIfEESt5tupleIJNSF_6TensorESK_SK_EERKSK_lbbbEUlllE0_EEPmJS9_EEE10hipError_tPvRmT3_T4_T5_T6_T7_T9_mT8_P12ihipStream_tbDpT10_ENKUlT_T0_E_clISt17integral_constantIbLb0EES1A_EEDaS15_S16_EUlS15_E_NS1_11comp_targetILNS1_3genE5ELNS1_11target_archE942ELNS1_3gpuE9ELNS1_3repE0EEENS1_30default_config_static_selectorELNS0_4arch9wavefront6targetE1EEEvT1_,"axG",@progbits,_ZN7rocprim17ROCPRIM_400000_NS6detail17trampoline_kernelINS0_14default_configENS1_25partition_config_selectorILNS1_17partition_subalgoE9EllbEEZZNS1_14partition_implILS5_9ELb0ES3_jPlS8_PNS0_10empty_typeENS0_5tupleIJS8_S9_EEENSB_IJS8_SA_EEENS0_18inequality_wrapperIZN2at6native12_GLOBAL__N_124unique_dim_cuda_templateIfEESt5tupleIJNSF_6TensorESK_SK_EERKSK_lbbbEUlllE0_EEPmJS9_EEE10hipError_tPvRmT3_T4_T5_T6_T7_T9_mT8_P12ihipStream_tbDpT10_ENKUlT_T0_E_clISt17integral_constantIbLb0EES1A_EEDaS15_S16_EUlS15_E_NS1_11comp_targetILNS1_3genE5ELNS1_11target_archE942ELNS1_3gpuE9ELNS1_3repE0EEENS1_30default_config_static_selectorELNS0_4arch9wavefront6targetE1EEEvT1_,comdat
	.globl	_ZN7rocprim17ROCPRIM_400000_NS6detail17trampoline_kernelINS0_14default_configENS1_25partition_config_selectorILNS1_17partition_subalgoE9EllbEEZZNS1_14partition_implILS5_9ELb0ES3_jPlS8_PNS0_10empty_typeENS0_5tupleIJS8_S9_EEENSB_IJS8_SA_EEENS0_18inequality_wrapperIZN2at6native12_GLOBAL__N_124unique_dim_cuda_templateIfEESt5tupleIJNSF_6TensorESK_SK_EERKSK_lbbbEUlllE0_EEPmJS9_EEE10hipError_tPvRmT3_T4_T5_T6_T7_T9_mT8_P12ihipStream_tbDpT10_ENKUlT_T0_E_clISt17integral_constantIbLb0EES1A_EEDaS15_S16_EUlS15_E_NS1_11comp_targetILNS1_3genE5ELNS1_11target_archE942ELNS1_3gpuE9ELNS1_3repE0EEENS1_30default_config_static_selectorELNS0_4arch9wavefront6targetE1EEEvT1_ ; -- Begin function _ZN7rocprim17ROCPRIM_400000_NS6detail17trampoline_kernelINS0_14default_configENS1_25partition_config_selectorILNS1_17partition_subalgoE9EllbEEZZNS1_14partition_implILS5_9ELb0ES3_jPlS8_PNS0_10empty_typeENS0_5tupleIJS8_S9_EEENSB_IJS8_SA_EEENS0_18inequality_wrapperIZN2at6native12_GLOBAL__N_124unique_dim_cuda_templateIfEESt5tupleIJNSF_6TensorESK_SK_EERKSK_lbbbEUlllE0_EEPmJS9_EEE10hipError_tPvRmT3_T4_T5_T6_T7_T9_mT8_P12ihipStream_tbDpT10_ENKUlT_T0_E_clISt17integral_constantIbLb0EES1A_EEDaS15_S16_EUlS15_E_NS1_11comp_targetILNS1_3genE5ELNS1_11target_archE942ELNS1_3gpuE9ELNS1_3repE0EEENS1_30default_config_static_selectorELNS0_4arch9wavefront6targetE1EEEvT1_
	.p2align	8
	.type	_ZN7rocprim17ROCPRIM_400000_NS6detail17trampoline_kernelINS0_14default_configENS1_25partition_config_selectorILNS1_17partition_subalgoE9EllbEEZZNS1_14partition_implILS5_9ELb0ES3_jPlS8_PNS0_10empty_typeENS0_5tupleIJS8_S9_EEENSB_IJS8_SA_EEENS0_18inequality_wrapperIZN2at6native12_GLOBAL__N_124unique_dim_cuda_templateIfEESt5tupleIJNSF_6TensorESK_SK_EERKSK_lbbbEUlllE0_EEPmJS9_EEE10hipError_tPvRmT3_T4_T5_T6_T7_T9_mT8_P12ihipStream_tbDpT10_ENKUlT_T0_E_clISt17integral_constantIbLb0EES1A_EEDaS15_S16_EUlS15_E_NS1_11comp_targetILNS1_3genE5ELNS1_11target_archE942ELNS1_3gpuE9ELNS1_3repE0EEENS1_30default_config_static_selectorELNS0_4arch9wavefront6targetE1EEEvT1_,@function
_ZN7rocprim17ROCPRIM_400000_NS6detail17trampoline_kernelINS0_14default_configENS1_25partition_config_selectorILNS1_17partition_subalgoE9EllbEEZZNS1_14partition_implILS5_9ELb0ES3_jPlS8_PNS0_10empty_typeENS0_5tupleIJS8_S9_EEENSB_IJS8_SA_EEENS0_18inequality_wrapperIZN2at6native12_GLOBAL__N_124unique_dim_cuda_templateIfEESt5tupleIJNSF_6TensorESK_SK_EERKSK_lbbbEUlllE0_EEPmJS9_EEE10hipError_tPvRmT3_T4_T5_T6_T7_T9_mT8_P12ihipStream_tbDpT10_ENKUlT_T0_E_clISt17integral_constantIbLb0EES1A_EEDaS15_S16_EUlS15_E_NS1_11comp_targetILNS1_3genE5ELNS1_11target_archE942ELNS1_3gpuE9ELNS1_3repE0EEENS1_30default_config_static_selectorELNS0_4arch9wavefront6targetE1EEEvT1_: ; @_ZN7rocprim17ROCPRIM_400000_NS6detail17trampoline_kernelINS0_14default_configENS1_25partition_config_selectorILNS1_17partition_subalgoE9EllbEEZZNS1_14partition_implILS5_9ELb0ES3_jPlS8_PNS0_10empty_typeENS0_5tupleIJS8_S9_EEENSB_IJS8_SA_EEENS0_18inequality_wrapperIZN2at6native12_GLOBAL__N_124unique_dim_cuda_templateIfEESt5tupleIJNSF_6TensorESK_SK_EERKSK_lbbbEUlllE0_EEPmJS9_EEE10hipError_tPvRmT3_T4_T5_T6_T7_T9_mT8_P12ihipStream_tbDpT10_ENKUlT_T0_E_clISt17integral_constantIbLb0EES1A_EEDaS15_S16_EUlS15_E_NS1_11comp_targetILNS1_3genE5ELNS1_11target_archE942ELNS1_3gpuE9ELNS1_3repE0EEENS1_30default_config_static_selectorELNS0_4arch9wavefront6targetE1EEEvT1_
; %bb.0:
	.section	.rodata,"a",@progbits
	.p2align	6, 0x0
	.amdhsa_kernel _ZN7rocprim17ROCPRIM_400000_NS6detail17trampoline_kernelINS0_14default_configENS1_25partition_config_selectorILNS1_17partition_subalgoE9EllbEEZZNS1_14partition_implILS5_9ELb0ES3_jPlS8_PNS0_10empty_typeENS0_5tupleIJS8_S9_EEENSB_IJS8_SA_EEENS0_18inequality_wrapperIZN2at6native12_GLOBAL__N_124unique_dim_cuda_templateIfEESt5tupleIJNSF_6TensorESK_SK_EERKSK_lbbbEUlllE0_EEPmJS9_EEE10hipError_tPvRmT3_T4_T5_T6_T7_T9_mT8_P12ihipStream_tbDpT10_ENKUlT_T0_E_clISt17integral_constantIbLb0EES1A_EEDaS15_S16_EUlS15_E_NS1_11comp_targetILNS1_3genE5ELNS1_11target_archE942ELNS1_3gpuE9ELNS1_3repE0EEENS1_30default_config_static_selectorELNS0_4arch9wavefront6targetE1EEEvT1_
		.amdhsa_group_segment_fixed_size 0
		.amdhsa_private_segment_fixed_size 0
		.amdhsa_kernarg_size 120
		.amdhsa_user_sgpr_count 6
		.amdhsa_user_sgpr_private_segment_buffer 1
		.amdhsa_user_sgpr_dispatch_ptr 0
		.amdhsa_user_sgpr_queue_ptr 0
		.amdhsa_user_sgpr_kernarg_segment_ptr 1
		.amdhsa_user_sgpr_dispatch_id 0
		.amdhsa_user_sgpr_flat_scratch_init 0
		.amdhsa_user_sgpr_kernarg_preload_length 0
		.amdhsa_user_sgpr_kernarg_preload_offset 0
		.amdhsa_user_sgpr_private_segment_size 0
		.amdhsa_uses_dynamic_stack 0
		.amdhsa_system_sgpr_private_segment_wavefront_offset 0
		.amdhsa_system_sgpr_workgroup_id_x 1
		.amdhsa_system_sgpr_workgroup_id_y 0
		.amdhsa_system_sgpr_workgroup_id_z 0
		.amdhsa_system_sgpr_workgroup_info 0
		.amdhsa_system_vgpr_workitem_id 0
		.amdhsa_next_free_vgpr 1
		.amdhsa_next_free_sgpr 0
		.amdhsa_accum_offset 4
		.amdhsa_reserve_vcc 0
		.amdhsa_reserve_flat_scratch 0
		.amdhsa_float_round_mode_32 0
		.amdhsa_float_round_mode_16_64 0
		.amdhsa_float_denorm_mode_32 3
		.amdhsa_float_denorm_mode_16_64 3
		.amdhsa_dx10_clamp 1
		.amdhsa_ieee_mode 1
		.amdhsa_fp16_overflow 0
		.amdhsa_tg_split 0
		.amdhsa_exception_fp_ieee_invalid_op 0
		.amdhsa_exception_fp_denorm_src 0
		.amdhsa_exception_fp_ieee_div_zero 0
		.amdhsa_exception_fp_ieee_overflow 0
		.amdhsa_exception_fp_ieee_underflow 0
		.amdhsa_exception_fp_ieee_inexact 0
		.amdhsa_exception_int_div_zero 0
	.end_amdhsa_kernel
	.section	.text._ZN7rocprim17ROCPRIM_400000_NS6detail17trampoline_kernelINS0_14default_configENS1_25partition_config_selectorILNS1_17partition_subalgoE9EllbEEZZNS1_14partition_implILS5_9ELb0ES3_jPlS8_PNS0_10empty_typeENS0_5tupleIJS8_S9_EEENSB_IJS8_SA_EEENS0_18inequality_wrapperIZN2at6native12_GLOBAL__N_124unique_dim_cuda_templateIfEESt5tupleIJNSF_6TensorESK_SK_EERKSK_lbbbEUlllE0_EEPmJS9_EEE10hipError_tPvRmT3_T4_T5_T6_T7_T9_mT8_P12ihipStream_tbDpT10_ENKUlT_T0_E_clISt17integral_constantIbLb0EES1A_EEDaS15_S16_EUlS15_E_NS1_11comp_targetILNS1_3genE5ELNS1_11target_archE942ELNS1_3gpuE9ELNS1_3repE0EEENS1_30default_config_static_selectorELNS0_4arch9wavefront6targetE1EEEvT1_,"axG",@progbits,_ZN7rocprim17ROCPRIM_400000_NS6detail17trampoline_kernelINS0_14default_configENS1_25partition_config_selectorILNS1_17partition_subalgoE9EllbEEZZNS1_14partition_implILS5_9ELb0ES3_jPlS8_PNS0_10empty_typeENS0_5tupleIJS8_S9_EEENSB_IJS8_SA_EEENS0_18inequality_wrapperIZN2at6native12_GLOBAL__N_124unique_dim_cuda_templateIfEESt5tupleIJNSF_6TensorESK_SK_EERKSK_lbbbEUlllE0_EEPmJS9_EEE10hipError_tPvRmT3_T4_T5_T6_T7_T9_mT8_P12ihipStream_tbDpT10_ENKUlT_T0_E_clISt17integral_constantIbLb0EES1A_EEDaS15_S16_EUlS15_E_NS1_11comp_targetILNS1_3genE5ELNS1_11target_archE942ELNS1_3gpuE9ELNS1_3repE0EEENS1_30default_config_static_selectorELNS0_4arch9wavefront6targetE1EEEvT1_,comdat
.Lfunc_end962:
	.size	_ZN7rocprim17ROCPRIM_400000_NS6detail17trampoline_kernelINS0_14default_configENS1_25partition_config_selectorILNS1_17partition_subalgoE9EllbEEZZNS1_14partition_implILS5_9ELb0ES3_jPlS8_PNS0_10empty_typeENS0_5tupleIJS8_S9_EEENSB_IJS8_SA_EEENS0_18inequality_wrapperIZN2at6native12_GLOBAL__N_124unique_dim_cuda_templateIfEESt5tupleIJNSF_6TensorESK_SK_EERKSK_lbbbEUlllE0_EEPmJS9_EEE10hipError_tPvRmT3_T4_T5_T6_T7_T9_mT8_P12ihipStream_tbDpT10_ENKUlT_T0_E_clISt17integral_constantIbLb0EES1A_EEDaS15_S16_EUlS15_E_NS1_11comp_targetILNS1_3genE5ELNS1_11target_archE942ELNS1_3gpuE9ELNS1_3repE0EEENS1_30default_config_static_selectorELNS0_4arch9wavefront6targetE1EEEvT1_, .Lfunc_end962-_ZN7rocprim17ROCPRIM_400000_NS6detail17trampoline_kernelINS0_14default_configENS1_25partition_config_selectorILNS1_17partition_subalgoE9EllbEEZZNS1_14partition_implILS5_9ELb0ES3_jPlS8_PNS0_10empty_typeENS0_5tupleIJS8_S9_EEENSB_IJS8_SA_EEENS0_18inequality_wrapperIZN2at6native12_GLOBAL__N_124unique_dim_cuda_templateIfEESt5tupleIJNSF_6TensorESK_SK_EERKSK_lbbbEUlllE0_EEPmJS9_EEE10hipError_tPvRmT3_T4_T5_T6_T7_T9_mT8_P12ihipStream_tbDpT10_ENKUlT_T0_E_clISt17integral_constantIbLb0EES1A_EEDaS15_S16_EUlS15_E_NS1_11comp_targetILNS1_3genE5ELNS1_11target_archE942ELNS1_3gpuE9ELNS1_3repE0EEENS1_30default_config_static_selectorELNS0_4arch9wavefront6targetE1EEEvT1_
                                        ; -- End function
	.section	.AMDGPU.csdata,"",@progbits
; Kernel info:
; codeLenInByte = 0
; NumSgprs: 4
; NumVgprs: 0
; NumAgprs: 0
; TotalNumVgprs: 0
; ScratchSize: 0
; MemoryBound: 0
; FloatMode: 240
; IeeeMode: 1
; LDSByteSize: 0 bytes/workgroup (compile time only)
; SGPRBlocks: 0
; VGPRBlocks: 0
; NumSGPRsForWavesPerEU: 4
; NumVGPRsForWavesPerEU: 1
; AccumOffset: 4
; Occupancy: 8
; WaveLimiterHint : 0
; COMPUTE_PGM_RSRC2:SCRATCH_EN: 0
; COMPUTE_PGM_RSRC2:USER_SGPR: 6
; COMPUTE_PGM_RSRC2:TRAP_HANDLER: 0
; COMPUTE_PGM_RSRC2:TGID_X_EN: 1
; COMPUTE_PGM_RSRC2:TGID_Y_EN: 0
; COMPUTE_PGM_RSRC2:TGID_Z_EN: 0
; COMPUTE_PGM_RSRC2:TIDIG_COMP_CNT: 0
; COMPUTE_PGM_RSRC3_GFX90A:ACCUM_OFFSET: 0
; COMPUTE_PGM_RSRC3_GFX90A:TG_SPLIT: 0
	.section	.text._ZN7rocprim17ROCPRIM_400000_NS6detail17trampoline_kernelINS0_14default_configENS1_25partition_config_selectorILNS1_17partition_subalgoE9EllbEEZZNS1_14partition_implILS5_9ELb0ES3_jPlS8_PNS0_10empty_typeENS0_5tupleIJS8_S9_EEENSB_IJS8_SA_EEENS0_18inequality_wrapperIZN2at6native12_GLOBAL__N_124unique_dim_cuda_templateIfEESt5tupleIJNSF_6TensorESK_SK_EERKSK_lbbbEUlllE0_EEPmJS9_EEE10hipError_tPvRmT3_T4_T5_T6_T7_T9_mT8_P12ihipStream_tbDpT10_ENKUlT_T0_E_clISt17integral_constantIbLb0EES1A_EEDaS15_S16_EUlS15_E_NS1_11comp_targetILNS1_3genE4ELNS1_11target_archE910ELNS1_3gpuE8ELNS1_3repE0EEENS1_30default_config_static_selectorELNS0_4arch9wavefront6targetE1EEEvT1_,"axG",@progbits,_ZN7rocprim17ROCPRIM_400000_NS6detail17trampoline_kernelINS0_14default_configENS1_25partition_config_selectorILNS1_17partition_subalgoE9EllbEEZZNS1_14partition_implILS5_9ELb0ES3_jPlS8_PNS0_10empty_typeENS0_5tupleIJS8_S9_EEENSB_IJS8_SA_EEENS0_18inequality_wrapperIZN2at6native12_GLOBAL__N_124unique_dim_cuda_templateIfEESt5tupleIJNSF_6TensorESK_SK_EERKSK_lbbbEUlllE0_EEPmJS9_EEE10hipError_tPvRmT3_T4_T5_T6_T7_T9_mT8_P12ihipStream_tbDpT10_ENKUlT_T0_E_clISt17integral_constantIbLb0EES1A_EEDaS15_S16_EUlS15_E_NS1_11comp_targetILNS1_3genE4ELNS1_11target_archE910ELNS1_3gpuE8ELNS1_3repE0EEENS1_30default_config_static_selectorELNS0_4arch9wavefront6targetE1EEEvT1_,comdat
	.globl	_ZN7rocprim17ROCPRIM_400000_NS6detail17trampoline_kernelINS0_14default_configENS1_25partition_config_selectorILNS1_17partition_subalgoE9EllbEEZZNS1_14partition_implILS5_9ELb0ES3_jPlS8_PNS0_10empty_typeENS0_5tupleIJS8_S9_EEENSB_IJS8_SA_EEENS0_18inequality_wrapperIZN2at6native12_GLOBAL__N_124unique_dim_cuda_templateIfEESt5tupleIJNSF_6TensorESK_SK_EERKSK_lbbbEUlllE0_EEPmJS9_EEE10hipError_tPvRmT3_T4_T5_T6_T7_T9_mT8_P12ihipStream_tbDpT10_ENKUlT_T0_E_clISt17integral_constantIbLb0EES1A_EEDaS15_S16_EUlS15_E_NS1_11comp_targetILNS1_3genE4ELNS1_11target_archE910ELNS1_3gpuE8ELNS1_3repE0EEENS1_30default_config_static_selectorELNS0_4arch9wavefront6targetE1EEEvT1_ ; -- Begin function _ZN7rocprim17ROCPRIM_400000_NS6detail17trampoline_kernelINS0_14default_configENS1_25partition_config_selectorILNS1_17partition_subalgoE9EllbEEZZNS1_14partition_implILS5_9ELb0ES3_jPlS8_PNS0_10empty_typeENS0_5tupleIJS8_S9_EEENSB_IJS8_SA_EEENS0_18inequality_wrapperIZN2at6native12_GLOBAL__N_124unique_dim_cuda_templateIfEESt5tupleIJNSF_6TensorESK_SK_EERKSK_lbbbEUlllE0_EEPmJS9_EEE10hipError_tPvRmT3_T4_T5_T6_T7_T9_mT8_P12ihipStream_tbDpT10_ENKUlT_T0_E_clISt17integral_constantIbLb0EES1A_EEDaS15_S16_EUlS15_E_NS1_11comp_targetILNS1_3genE4ELNS1_11target_archE910ELNS1_3gpuE8ELNS1_3repE0EEENS1_30default_config_static_selectorELNS0_4arch9wavefront6targetE1EEEvT1_
	.p2align	8
	.type	_ZN7rocprim17ROCPRIM_400000_NS6detail17trampoline_kernelINS0_14default_configENS1_25partition_config_selectorILNS1_17partition_subalgoE9EllbEEZZNS1_14partition_implILS5_9ELb0ES3_jPlS8_PNS0_10empty_typeENS0_5tupleIJS8_S9_EEENSB_IJS8_SA_EEENS0_18inequality_wrapperIZN2at6native12_GLOBAL__N_124unique_dim_cuda_templateIfEESt5tupleIJNSF_6TensorESK_SK_EERKSK_lbbbEUlllE0_EEPmJS9_EEE10hipError_tPvRmT3_T4_T5_T6_T7_T9_mT8_P12ihipStream_tbDpT10_ENKUlT_T0_E_clISt17integral_constantIbLb0EES1A_EEDaS15_S16_EUlS15_E_NS1_11comp_targetILNS1_3genE4ELNS1_11target_archE910ELNS1_3gpuE8ELNS1_3repE0EEENS1_30default_config_static_selectorELNS0_4arch9wavefront6targetE1EEEvT1_,@function
_ZN7rocprim17ROCPRIM_400000_NS6detail17trampoline_kernelINS0_14default_configENS1_25partition_config_selectorILNS1_17partition_subalgoE9EllbEEZZNS1_14partition_implILS5_9ELb0ES3_jPlS8_PNS0_10empty_typeENS0_5tupleIJS8_S9_EEENSB_IJS8_SA_EEENS0_18inequality_wrapperIZN2at6native12_GLOBAL__N_124unique_dim_cuda_templateIfEESt5tupleIJNSF_6TensorESK_SK_EERKSK_lbbbEUlllE0_EEPmJS9_EEE10hipError_tPvRmT3_T4_T5_T6_T7_T9_mT8_P12ihipStream_tbDpT10_ENKUlT_T0_E_clISt17integral_constantIbLb0EES1A_EEDaS15_S16_EUlS15_E_NS1_11comp_targetILNS1_3genE4ELNS1_11target_archE910ELNS1_3gpuE8ELNS1_3repE0EEENS1_30default_config_static_selectorELNS0_4arch9wavefront6targetE1EEEvT1_: ; @_ZN7rocprim17ROCPRIM_400000_NS6detail17trampoline_kernelINS0_14default_configENS1_25partition_config_selectorILNS1_17partition_subalgoE9EllbEEZZNS1_14partition_implILS5_9ELb0ES3_jPlS8_PNS0_10empty_typeENS0_5tupleIJS8_S9_EEENSB_IJS8_SA_EEENS0_18inequality_wrapperIZN2at6native12_GLOBAL__N_124unique_dim_cuda_templateIfEESt5tupleIJNSF_6TensorESK_SK_EERKSK_lbbbEUlllE0_EEPmJS9_EEE10hipError_tPvRmT3_T4_T5_T6_T7_T9_mT8_P12ihipStream_tbDpT10_ENKUlT_T0_E_clISt17integral_constantIbLb0EES1A_EEDaS15_S16_EUlS15_E_NS1_11comp_targetILNS1_3genE4ELNS1_11target_archE910ELNS1_3gpuE8ELNS1_3repE0EEENS1_30default_config_static_selectorELNS0_4arch9wavefront6targetE1EEEvT1_
; %bb.0:
	s_load_dwordx8 s[20:27], s[4:5], 0x40
	s_load_dwordx4 s[0:3], s[4:5], 0x8
	s_load_dwordx2 s[12:13], s[4:5], 0x18
	s_load_dword s9, s[4:5], 0x70
	v_lshrrev_b32_e32 v18, 2, v0
	s_waitcnt lgkmcnt(0)
	v_mov_b32_e32 v2, s24
	s_lshl_b64 s[14:15], s[2:3], 3
	s_add_u32 s18, s0, s14
	s_addc_u32 s19, s1, s15
	s_add_i32 s10, s9, -1
	s_lshl_b32 s0, s10, 9
	s_add_i32 s0, s2, s0
	s_lshl_b32 s8, s6, 9
	s_sub_i32 s7, s24, s0
	s_lshl_b32 s0, s9, 9
	s_add_u32 s0, s2, s0
	s_addc_u32 s1, s3, 0
	v_mov_b32_e32 v3, s25
	s_cmp_eq_u32 s6, s10
	s_load_dwordx2 s[22:23], s[22:23], 0x0
	v_cmp_ge_u64_e32 vcc, s[0:1], v[2:3]
	s_cselect_b64 s[24:25], -1, 0
	s_mov_b32 s9, 0
	s_and_b64 s[10:11], s[24:25], vcc
	s_xor_b64 s[34:35], s[10:11], -1
	s_lshl_b64 s[16:17], s[8:9], 3
	s_add_u32 s8, s18, s16
	s_mov_b64 s[0:1], -1
	s_addc_u32 s9, s19, s17
	s_and_b64 vcc, exec, s[34:35]
	s_cbranch_vccz .LBB963_2
; %bb.1:
	v_lshlrev_b32_e32 v1, 3, v0
	global_load_dwordx2 v[2:3], v1, s[8:9]
	global_load_dwordx2 v[4:5], v1, s[8:9] offset:1024
	global_load_dwordx2 v[6:7], v1, s[8:9] offset:2048
	;; [unrolled: 1-line block ×3, first 2 shown]
	v_or_b32_e32 v11, 0x80, v0
	v_or_b32_e32 v12, 0x100, v0
	;; [unrolled: 1-line block ×3, first 2 shown]
	v_and_b32_e32 v10, 24, v18
	v_lshrrev_b32_e32 v11, 2, v11
	v_lshrrev_b32_e32 v12, 2, v12
	;; [unrolled: 1-line block ×3, first 2 shown]
	v_add_u32_e32 v10, v10, v1
	v_and_b32_e32 v11, 56, v11
	v_and_b32_e32 v12, 0x58, v12
	;; [unrolled: 1-line block ×3, first 2 shown]
	v_add_u32_e32 v11, v11, v1
	v_add_u32_e32 v12, v12, v1
	;; [unrolled: 1-line block ×3, first 2 shown]
	s_mov_b64 s[0:1], 0
	s_waitcnt vmcnt(3)
	ds_write_b64 v10, v[2:3]
	s_waitcnt vmcnt(2)
	ds_write_b64 v11, v[4:5] offset:1024
	s_waitcnt vmcnt(1)
	ds_write_b64 v12, v[6:7] offset:2048
	;; [unrolled: 2-line block ×3, first 2 shown]
	s_waitcnt lgkmcnt(0)
	s_barrier
.LBB963_2:
	s_load_dwordx4 s[28:31], s[4:5], 0x60
	s_andn2_b64 vcc, exec, s[0:1]
	v_cmp_gt_u32_e64 s[0:1], s7, v0
	s_cbranch_vccnz .LBB963_12
; %bb.3:
                                        ; implicit-def: $vgpr2_vgpr3_vgpr4_vgpr5_vgpr6_vgpr7_vgpr8_vgpr9
	s_and_saveexec_b64 s[18:19], s[0:1]
	s_cbranch_execz .LBB963_5
; %bb.4:
	v_lshlrev_b32_e32 v1, 3, v0
	global_load_dwordx2 v[2:3], v1, s[8:9]
.LBB963_5:
	s_or_b64 exec, exec, s[18:19]
	v_or_b32_e32 v1, 0x80, v0
	v_cmp_gt_u32_e32 vcc, s7, v1
	s_and_saveexec_b64 s[0:1], vcc
	s_cbranch_execz .LBB963_7
; %bb.6:
	v_lshlrev_b32_e32 v4, 3, v0
	global_load_dwordx2 v[4:5], v4, s[8:9] offset:1024
.LBB963_7:
	s_or_b64 exec, exec, s[0:1]
	v_or_b32_e32 v10, 0x100, v0
	v_cmp_gt_u32_e32 vcc, s7, v10
	s_and_saveexec_b64 s[0:1], vcc
	s_cbranch_execz .LBB963_9
; %bb.8:
	v_lshlrev_b32_e32 v6, 3, v0
	global_load_dwordx2 v[6:7], v6, s[8:9] offset:2048
.LBB963_9:
	;; [unrolled: 9-line block ×3, first 2 shown]
	s_or_b64 exec, exec, s[0:1]
	v_lshrrev_b32_e32 v1, 2, v1
	v_lshlrev_b32_e32 v13, 3, v0
	v_and_b32_e32 v1, 56, v1
	v_add_u32_e32 v1, v1, v13
	s_waitcnt vmcnt(0)
	ds_write_b64 v1, v[4:5] offset:1024
	v_lshrrev_b32_e32 v1, 2, v10
	v_and_b32_e32 v1, 0x78, v1
	v_add_u32_e32 v1, v1, v13
	ds_write_b64 v1, v[6:7] offset:2048
	v_lshrrev_b32_e32 v1, 2, v11
	v_and_b32_e32 v12, 24, v18
	v_and_b32_e32 v1, 0x78, v1
	v_add_u32_e32 v12, v12, v13
	v_add_u32_e32 v1, v1, v13
	ds_write_b64 v12, v[2:3]
	ds_write_b64 v1, v[8:9] offset:3072
	s_waitcnt lgkmcnt(0)
	s_barrier
.LBB963_12:
	v_lshlrev_b32_e32 v1, 2, v0
	v_lshrrev_b32_e32 v2, 3, v0
	v_add_lshl_u32 v19, v2, v1, 3
	s_waitcnt lgkmcnt(0)
	ds_read2_b64 v[14:17], v19 offset1:1
	ds_read2_b64 v[10:13], v19 offset0:2 offset1:3
	s_add_u32 s0, s12, s14
	s_addc_u32 s1, s13, s15
	s_add_u32 s0, s0, s16
	s_addc_u32 s1, s1, s17
	s_mov_b64 s[12:13], -1
	s_and_b64 vcc, exec, s[34:35]
	s_waitcnt lgkmcnt(0)
	s_barrier
	s_cbranch_vccz .LBB963_14
; %bb.13:
	v_lshlrev_b32_e32 v20, 3, v0
	global_load_dwordx2 v[2:3], v20, s[0:1]
	global_load_dwordx2 v[4:5], v20, s[0:1] offset:1024
	global_load_dwordx2 v[6:7], v20, s[0:1] offset:2048
	;; [unrolled: 1-line block ×3, first 2 shown]
	v_or_b32_e32 v22, 0x80, v0
	v_or_b32_e32 v23, 0x100, v0
	;; [unrolled: 1-line block ×3, first 2 shown]
	v_and_b32_e32 v21, 24, v18
	v_lshrrev_b32_e32 v22, 2, v22
	v_lshrrev_b32_e32 v23, 2, v23
	;; [unrolled: 1-line block ×3, first 2 shown]
	v_add_u32_e32 v21, v21, v20
	v_and_b32_e32 v22, 56, v22
	v_and_b32_e32 v23, 0x58, v23
	;; [unrolled: 1-line block ×3, first 2 shown]
	v_add_u32_e32 v22, v22, v20
	v_add_u32_e32 v23, v23, v20
	;; [unrolled: 1-line block ×3, first 2 shown]
	s_mov_b64 s[12:13], 0
	s_waitcnt vmcnt(3)
	ds_write_b64 v21, v[2:3]
	s_waitcnt vmcnt(2)
	ds_write_b64 v22, v[4:5] offset:1024
	s_waitcnt vmcnt(1)
	ds_write_b64 v23, v[6:7] offset:2048
	;; [unrolled: 2-line block ×3, first 2 shown]
	s_waitcnt lgkmcnt(0)
	s_barrier
.LBB963_14:
	s_andn2_b64 vcc, exec, s[12:13]
	s_cbranch_vccnz .LBB963_24
; %bb.15:
	v_cmp_gt_u32_e32 vcc, s7, v0
                                        ; implicit-def: $vgpr2_vgpr3
	s_and_saveexec_b64 s[12:13], vcc
	s_cbranch_execz .LBB963_17
; %bb.16:
	v_lshlrev_b32_e32 v2, 3, v0
	global_load_dwordx2 v[2:3], v2, s[0:1]
.LBB963_17:
	s_or_b64 exec, exec, s[12:13]
	v_or_b32_e32 v20, 0x80, v0
	v_cmp_gt_u32_e32 vcc, s7, v20
                                        ; implicit-def: $vgpr4_vgpr5
	s_and_saveexec_b64 s[12:13], vcc
	s_cbranch_execz .LBB963_19
; %bb.18:
	v_lshlrev_b32_e32 v4, 3, v0
	global_load_dwordx2 v[4:5], v4, s[0:1] offset:1024
.LBB963_19:
	s_or_b64 exec, exec, s[12:13]
	v_or_b32_e32 v21, 0x100, v0
	v_cmp_gt_u32_e32 vcc, s7, v21
                                        ; implicit-def: $vgpr6_vgpr7
	s_and_saveexec_b64 s[12:13], vcc
	s_cbranch_execz .LBB963_21
; %bb.20:
	v_lshlrev_b32_e32 v6, 3, v0
	global_load_dwordx2 v[6:7], v6, s[0:1] offset:2048
.LBB963_21:
	s_or_b64 exec, exec, s[12:13]
	v_or_b32_e32 v22, 0x180, v0
	v_cmp_gt_u32_e32 vcc, s7, v22
                                        ; implicit-def: $vgpr8_vgpr9
	s_and_saveexec_b64 s[12:13], vcc
	s_cbranch_execz .LBB963_23
; %bb.22:
	v_lshlrev_b32_e32 v8, 3, v0
	global_load_dwordx2 v[8:9], v8, s[0:1] offset:3072
.LBB963_23:
	s_or_b64 exec, exec, s[12:13]
	v_and_b32_e32 v18, 24, v18
	v_lshlrev_b32_e32 v23, 3, v0
	v_add_u32_e32 v18, v18, v23
	s_waitcnt vmcnt(0)
	ds_write_b64 v18, v[2:3]
	v_lshrrev_b32_e32 v2, 2, v20
	v_and_b32_e32 v2, 56, v2
	v_add_u32_e32 v2, v2, v23
	ds_write_b64 v2, v[4:5] offset:1024
	v_lshrrev_b32_e32 v2, 2, v21
	v_and_b32_e32 v2, 0x78, v2
	v_add_u32_e32 v2, v2, v23
	ds_write_b64 v2, v[6:7] offset:2048
	;; [unrolled: 4-line block ×3, first 2 shown]
	s_waitcnt lgkmcnt(0)
	s_barrier
.LBB963_24:
	ds_read2_b64 v[6:9], v19 offset1:1
	ds_read2_b64 v[2:5], v19 offset0:2 offset1:3
	s_cmp_lg_u32 s6, 0
	s_cselect_b64 s[16:17], -1, 0
	s_cmp_lg_u64 s[2:3], 0
	s_cselect_b64 s[0:1], -1, 0
	s_or_b64 s[0:1], s[16:17], s[0:1]
	s_mov_b64 s[12:13], 0
	s_and_b64 vcc, exec, s[0:1]
	v_cmp_gt_i64_e64 s[0:1], s[26:27], 0
	s_waitcnt lgkmcnt(0)
	s_barrier
	s_cbranch_vccz .LBB963_33
; %bb.25:
	s_add_u32 s2, s8, -8
	s_addc_u32 s3, s9, -1
	s_load_dwordx2 s[12:13], s[2:3], 0x0
	v_cndmask_b32_e64 v18, 0, 1, s[0:1]
	v_lshlrev_b32_e32 v26, 3, v0
	s_mov_b64 s[14:15], 0
	s_and_b64 vcc, exec, s[34:35]
	v_cmp_ne_u32_e64 s[0:1], 1, v18
	ds_write_b64 v26, v[12:13]
	s_cbranch_vccz .LBB963_34
; %bb.26:
	v_mul_lo_u32 v20, v11, s26
	v_mul_lo_u32 v21, v10, s27
	v_mad_u64_u32 v[18:19], s[2:3], v10, s26, 0
	v_add3_u32 v19, v19, v21, v20
	s_and_b64 vcc, exec, s[0:1]
	v_lshlrev_b64 v[18:19], 2, v[18:19]
	s_cbranch_vccnz .LBB963_37
; %bb.27:
	v_mul_lo_u32 v22, v13, s26
	v_mul_lo_u32 v23, v12, s27
	v_mad_u64_u32 v[20:21], s[2:3], v12, s26, 0
	v_add3_u32 v21, v21, v23, v22
	v_mov_b32_e32 v23, s29
	v_add_co_u32_e32 v22, vcc, s28, v18
	v_addc_co_u32_e64 v23, s[2:3], v23, v19, vcc
	v_lshlrev_b64 v[20:21], 2, v[20:21]
	v_mov_b32_e32 v25, s29
	v_add_co_u32_e64 v24, s[2:3], s28, v20
	v_addc_co_u32_e64 v25, s[8:9], v25, v21, s[2:3]
	global_load_dword v20, v[22:23], off
	global_load_dword v27, v[24:25], off
	s_mov_b64 s[14:15], -1
	s_waitcnt vmcnt(0)
	v_cmp_eq_f32_e64 s[8:9], v20, v27
	s_and_saveexec_b64 s[18:19], s[8:9]
	s_cbranch_execz .LBB963_36
; %bb.28:
	v_mov_b32_e32 v20, s29
	v_addc_co_u32_e64 v21, s[2:3], v21, v20, s[2:3]
	v_add_co_u32_e64 v20, s[2:3], 4, v24
	v_mov_b32_e32 v23, s29
	v_addc_co_u32_e64 v21, s[2:3], 0, v21, s[2:3]
	v_addc_co_u32_e32 v23, vcc, v19, v23, vcc
	v_add_co_u32_e32 v22, vcc, 4, v22
	s_add_u32 s2, s26, -1
	v_addc_co_u32_e32 v23, vcc, 0, v23, vcc
	s_addc_u32 s3, s27, -1
	s_mov_b64 s[8:9], 0
	s_mov_b64 s[36:37], 0
                                        ; implicit-def: $sgpr14_sgpr15
	s_branch .LBB963_31
.LBB963_29:                             ;   in Loop: Header=BB963_31 Depth=1
	global_load_dword v24, v[22:23], off
	global_load_dword v25, v[20:21], off
	v_add_co_u32_e32 v20, vcc, 4, v20
	v_addc_co_u32_e32 v21, vcc, 0, v21, vcc
	v_add_co_u32_e32 v22, vcc, 4, v22
	v_addc_co_u32_e32 v23, vcc, 0, v23, vcc
	s_add_u32 s36, s36, 1
	s_addc_u32 s37, s37, 0
	s_andn2_b64 s[14:15], s[14:15], exec
	s_waitcnt vmcnt(0)
	v_cmp_neq_f32_e32 vcc, v24, v25
	s_and_b64 s[38:39], vcc, exec
	s_or_b64 s[14:15], s[14:15], s[38:39]
.LBB963_30:                             ;   in Loop: Header=BB963_31 Depth=1
	s_and_b64 s[38:39], exec, s[14:15]
	s_or_b64 s[8:9], s[38:39], s[8:9]
	v_pk_mov_b32 v[24:25], s[36:37], s[36:37] op_sel:[0,1]
	s_andn2_b64 exec, exec, s[8:9]
	s_cbranch_execz .LBB963_35
.LBB963_31:                             ; =>This Inner Loop Header: Depth=1
	s_or_b64 s[14:15], s[14:15], exec
	s_cmp_eq_u64 s[2:3], s[36:37]
	s_cbranch_scc0 .LBB963_29
; %bb.32:                               ;   in Loop: Header=BB963_31 Depth=1
                                        ; implicit-def: $vgpr20_vgpr21
                                        ; implicit-def: $vgpr22_vgpr23
	s_mov_b64 s[36:37], s[26:27]
	s_branch .LBB963_30
.LBB963_33:
                                        ; implicit-def: $sgpr18_sgpr19
                                        ; implicit-def: $vgpr28
	s_branch .LBB963_115
.LBB963_34:
                                        ; implicit-def: $sgpr18_sgpr19
                                        ; implicit-def: $vgpr28
	s_cbranch_execnz .LBB963_67
	s_branch .LBB963_114
.LBB963_35:
	s_or_b64 exec, exec, s[8:9]
	v_cmp_gt_i64_e32 vcc, s[26:27], v[24:25]
	s_orn2_b64 s[14:15], vcc, exec
.LBB963_36:
	s_or_b64 exec, exec, s[18:19]
.LBB963_37:
	v_mul_lo_u32 v22, v17, s26
	v_mul_lo_u32 v23, v16, s27
	v_mad_u64_u32 v[20:21], s[2:3], v16, s26, 0
	v_add3_u32 v21, v21, v23, v22
	s_mov_b64 s[18:19], 0
	s_and_b64 vcc, exec, s[0:1]
	v_lshlrev_b64 v[20:21], 2, v[20:21]
	s_mov_b64 s[36:37], 0
	s_cbranch_vccnz .LBB963_46
; %bb.38:
	v_mov_b32_e32 v23, s29
	v_add_co_u32_e32 v22, vcc, s28, v20
	v_addc_co_u32_e64 v23, s[2:3], v23, v21, vcc
	v_mov_b32_e32 v25, s29
	v_add_co_u32_e64 v24, s[2:3], s28, v18
	v_addc_co_u32_e64 v25, s[8:9], v25, v19, s[2:3]
	global_load_dword v18, v[22:23], off
	global_load_dword v27, v[24:25], off
	s_mov_b64 s[36:37], -1
	s_waitcnt vmcnt(0)
	v_cmp_eq_f32_e64 s[8:9], v18, v27
	s_and_saveexec_b64 s[38:39], s[8:9]
	s_cbranch_execz .LBB963_45
; %bb.39:
	v_mov_b32_e32 v18, s29
	v_addc_co_u32_e64 v19, s[2:3], v19, v18, s[2:3]
	v_add_co_u32_e64 v18, s[2:3], 4, v24
	v_mov_b32_e32 v23, s29
	v_addc_co_u32_e64 v19, s[2:3], 0, v19, s[2:3]
	v_addc_co_u32_e32 v23, vcc, v21, v23, vcc
	v_add_co_u32_e32 v22, vcc, 4, v22
	s_add_u32 s2, s26, -1
	v_addc_co_u32_e32 v23, vcc, 0, v23, vcc
	s_addc_u32 s3, s27, -1
	s_mov_b64 s[8:9], 0
	s_mov_b64 s[40:41], 0
                                        ; implicit-def: $sgpr36_sgpr37
	s_branch .LBB963_42
.LBB963_40:                             ;   in Loop: Header=BB963_42 Depth=1
	global_load_dword v24, v[22:23], off
	global_load_dword v25, v[18:19], off
	v_add_co_u32_e32 v18, vcc, 4, v18
	v_addc_co_u32_e32 v19, vcc, 0, v19, vcc
	v_add_co_u32_e32 v22, vcc, 4, v22
	v_addc_co_u32_e32 v23, vcc, 0, v23, vcc
	s_add_u32 s40, s40, 1
	s_addc_u32 s41, s41, 0
	s_andn2_b64 s[36:37], s[36:37], exec
	s_waitcnt vmcnt(0)
	v_cmp_neq_f32_e32 vcc, v24, v25
	s_and_b64 s[42:43], vcc, exec
	s_or_b64 s[36:37], s[36:37], s[42:43]
.LBB963_41:                             ;   in Loop: Header=BB963_42 Depth=1
	s_and_b64 s[42:43], exec, s[36:37]
	s_or_b64 s[8:9], s[42:43], s[8:9]
	v_pk_mov_b32 v[24:25], s[40:41], s[40:41] op_sel:[0,1]
	s_andn2_b64 exec, exec, s[8:9]
	s_cbranch_execz .LBB963_44
.LBB963_42:                             ; =>This Inner Loop Header: Depth=1
	s_or_b64 s[36:37], s[36:37], exec
	s_cmp_eq_u64 s[2:3], s[40:41]
	s_cbranch_scc0 .LBB963_40
; %bb.43:                               ;   in Loop: Header=BB963_42 Depth=1
                                        ; implicit-def: $vgpr18_vgpr19
                                        ; implicit-def: $vgpr22_vgpr23
	s_mov_b64 s[40:41], s[26:27]
	s_branch .LBB963_41
.LBB963_44:
	s_or_b64 exec, exec, s[8:9]
	v_cmp_gt_i64_e32 vcc, s[26:27], v[24:25]
	s_orn2_b64 s[36:37], vcc, exec
.LBB963_45:
	s_or_b64 exec, exec, s[38:39]
.LBB963_46:
	v_mul_lo_u32 v22, v15, s26
	v_mul_lo_u32 v23, v14, s27
	v_mad_u64_u32 v[18:19], s[2:3], v14, s26, 0
	v_add3_u32 v19, v19, v23, v22
	s_and_b64 vcc, exec, s[0:1]
	v_lshlrev_b64 v[18:19], 2, v[18:19]
	s_cbranch_vccnz .LBB963_55
; %bb.47:
	v_mov_b32_e32 v23, s29
	v_add_co_u32_e32 v22, vcc, s28, v18
	v_addc_co_u32_e64 v23, s[2:3], v23, v19, vcc
	v_mov_b32_e32 v25, s29
	v_add_co_u32_e64 v24, s[2:3], s28, v20
	v_addc_co_u32_e64 v25, s[8:9], v25, v21, s[2:3]
	global_load_dword v20, v[22:23], off
	global_load_dword v27, v[24:25], off
	s_mov_b64 s[18:19], -1
	s_waitcnt vmcnt(0)
	v_cmp_eq_f32_e64 s[8:9], v20, v27
	s_and_saveexec_b64 s[38:39], s[8:9]
	s_cbranch_execz .LBB963_54
; %bb.48:
	v_mov_b32_e32 v20, s29
	v_addc_co_u32_e64 v21, s[2:3], v21, v20, s[2:3]
	v_add_co_u32_e64 v20, s[2:3], 4, v24
	v_mov_b32_e32 v23, s29
	v_addc_co_u32_e64 v21, s[2:3], 0, v21, s[2:3]
	v_addc_co_u32_e32 v23, vcc, v19, v23, vcc
	v_add_co_u32_e32 v22, vcc, 4, v22
	s_add_u32 s2, s26, -1
	v_addc_co_u32_e32 v23, vcc, 0, v23, vcc
	s_addc_u32 s3, s27, -1
	s_mov_b64 s[8:9], 0
	s_mov_b64 s[40:41], 0
                                        ; implicit-def: $sgpr18_sgpr19
	s_branch .LBB963_51
.LBB963_49:                             ;   in Loop: Header=BB963_51 Depth=1
	global_load_dword v24, v[22:23], off
	global_load_dword v25, v[20:21], off
	v_add_co_u32_e32 v20, vcc, 4, v20
	v_addc_co_u32_e32 v21, vcc, 0, v21, vcc
	v_add_co_u32_e32 v22, vcc, 4, v22
	v_addc_co_u32_e32 v23, vcc, 0, v23, vcc
	s_add_u32 s40, s40, 1
	s_addc_u32 s41, s41, 0
	s_andn2_b64 s[18:19], s[18:19], exec
	s_waitcnt vmcnt(0)
	v_cmp_neq_f32_e32 vcc, v24, v25
	s_and_b64 s[42:43], vcc, exec
	s_or_b64 s[18:19], s[18:19], s[42:43]
.LBB963_50:                             ;   in Loop: Header=BB963_51 Depth=1
	s_and_b64 s[42:43], exec, s[18:19]
	s_or_b64 s[8:9], s[42:43], s[8:9]
	v_pk_mov_b32 v[24:25], s[40:41], s[40:41] op_sel:[0,1]
	s_andn2_b64 exec, exec, s[8:9]
	s_cbranch_execz .LBB963_53
.LBB963_51:                             ; =>This Inner Loop Header: Depth=1
	s_or_b64 s[18:19], s[18:19], exec
	s_cmp_eq_u64 s[2:3], s[40:41]
	s_cbranch_scc0 .LBB963_49
; %bb.52:                               ;   in Loop: Header=BB963_51 Depth=1
                                        ; implicit-def: $vgpr20_vgpr21
                                        ; implicit-def: $vgpr22_vgpr23
	s_mov_b64 s[40:41], s[26:27]
	s_branch .LBB963_50
.LBB963_53:
	s_or_b64 exec, exec, s[8:9]
	v_cmp_gt_i64_e32 vcc, s[26:27], v[24:25]
	s_orn2_b64 s[18:19], vcc, exec
.LBB963_54:
	s_or_b64 exec, exec, s[38:39]
.LBB963_55:
	v_cmp_ne_u32_e32 vcc, 0, v0
	s_waitcnt lgkmcnt(0)
	v_pk_mov_b32 v[20:21], s[12:13], s[12:13] op_sel:[0,1]
	s_barrier
	s_and_saveexec_b64 s[2:3], vcc
	s_cbranch_execz .LBB963_57
; %bb.56:
	v_add_u32_e32 v20, -8, v26
	ds_read_b64 v[20:21], v20
.LBB963_57:
	s_or_b64 exec, exec, s[2:3]
	v_cndmask_b32_e64 v23, 0, 1, s[14:15]
	v_cndmask_b32_e64 v22, 0, 1, s[36:37]
	;; [unrolled: 1-line block ×3, first 2 shown]
	v_lshlrev_b16_e32 v23, 8, v23
	v_lshlrev_b16_e32 v27, 8, v24
	v_or_b32_sdwa v28, v22, v23 dst_sel:WORD_1 dst_unused:UNUSED_PAD src0_sel:DWORD src1_sel:DWORD
	s_mov_b64 s[14:15], 0
	s_and_b64 vcc, exec, s[0:1]
	s_mov_b64 s[18:19], 0
	s_cbranch_vccnz .LBB963_66
; %bb.58:
	s_waitcnt lgkmcnt(0)
	v_mul_lo_u32 v22, v21, s26
	v_mul_lo_u32 v23, v20, s27
	v_mad_u64_u32 v[20:21], s[2:3], v20, s26, 0
	v_add3_u32 v21, v21, v23, v22
	v_lshlrev_b64 v[20:21], 2, v[20:21]
	v_mov_b32_e32 v23, s29
	v_add_co_u32_e32 v22, vcc, s28, v20
	v_addc_co_u32_e64 v23, s[2:3], v23, v21, vcc
	v_mov_b32_e32 v20, s29
	v_add_co_u32_e64 v24, s[2:3], s28, v18
	v_addc_co_u32_e64 v25, s[8:9], v20, v19, s[2:3]
	global_load_dword v18, v[22:23], off
	global_load_dword v20, v[24:25], off
	s_mov_b64 s[18:19], -1
	s_waitcnt vmcnt(0)
	v_cmp_eq_f32_e64 s[8:9], v18, v20
	s_and_saveexec_b64 s[36:37], s[8:9]
	s_cbranch_execz .LBB963_65
; %bb.59:
	v_mov_b32_e32 v18, s29
	v_addc_co_u32_e64 v19, s[2:3], v19, v18, s[2:3]
	v_add_co_u32_e64 v18, s[2:3], 4, v24
	v_mov_b32_e32 v20, s29
	v_addc_co_u32_e64 v19, s[2:3], 0, v19, s[2:3]
	v_addc_co_u32_e32 v21, vcc, v21, v20, vcc
	v_add_co_u32_e32 v20, vcc, 4, v22
	s_add_u32 s2, s26, -1
	v_addc_co_u32_e32 v21, vcc, 0, v21, vcc
	s_addc_u32 s3, s27, -1
	s_mov_b64 s[8:9], 0
	s_mov_b64 s[38:39], 0
                                        ; implicit-def: $sgpr18_sgpr19
	s_branch .LBB963_62
.LBB963_60:                             ;   in Loop: Header=BB963_62 Depth=1
	global_load_dword v22, v[20:21], off
	global_load_dword v23, v[18:19], off
	v_add_co_u32_e32 v18, vcc, 4, v18
	v_addc_co_u32_e32 v19, vcc, 0, v19, vcc
	v_add_co_u32_e32 v20, vcc, 4, v20
	v_addc_co_u32_e32 v21, vcc, 0, v21, vcc
	s_add_u32 s38, s38, 1
	s_addc_u32 s39, s39, 0
	s_andn2_b64 s[18:19], s[18:19], exec
	s_waitcnt vmcnt(0)
	v_cmp_neq_f32_e32 vcc, v22, v23
	s_and_b64 s[40:41], vcc, exec
	s_or_b64 s[18:19], s[18:19], s[40:41]
.LBB963_61:                             ;   in Loop: Header=BB963_62 Depth=1
	s_and_b64 s[40:41], exec, s[18:19]
	s_or_b64 s[8:9], s[40:41], s[8:9]
	v_pk_mov_b32 v[22:23], s[38:39], s[38:39] op_sel:[0,1]
	s_andn2_b64 exec, exec, s[8:9]
	s_cbranch_execz .LBB963_64
.LBB963_62:                             ; =>This Inner Loop Header: Depth=1
	s_or_b64 s[18:19], s[18:19], exec
	s_cmp_eq_u64 s[2:3], s[38:39]
	s_cbranch_scc0 .LBB963_60
; %bb.63:                               ;   in Loop: Header=BB963_62 Depth=1
                                        ; implicit-def: $vgpr18_vgpr19
                                        ; implicit-def: $vgpr20_vgpr21
	s_mov_b64 s[38:39], s[26:27]
	s_branch .LBB963_61
.LBB963_64:
	s_or_b64 exec, exec, s[8:9]
	v_cmp_gt_i64_e32 vcc, s[26:27], v[22:23]
	s_orn2_b64 s[18:19], vcc, exec
.LBB963_65:
	s_or_b64 exec, exec, s[36:37]
.LBB963_66:
	v_or_b32_e32 v28, v27, v28
	s_and_b64 vcc, exec, s[14:15]
	s_cbranch_vccz .LBB963_114
.LBB963_67:
	v_or_b32_e32 v18, 3, v1
	v_cmp_gt_u32_e32 vcc, s7, v18
	s_mov_b64 s[18:19], 0
	s_mov_b64 s[14:15], 0
	s_and_saveexec_b64 s[36:37], vcc
	s_cbranch_execz .LBB963_78
; %bb.68:
	s_and_b64 vcc, exec, s[0:1]
	s_mov_b64 s[38:39], 0
	s_cbranch_vccnz .LBB963_77
; %bb.69:
	s_waitcnt lgkmcnt(0)
	v_mul_lo_u32 v20, v11, s26
	v_mul_lo_u32 v21, v10, s27
	v_mad_u64_u32 v[18:19], s[2:3], v10, s26, 0
	v_add3_u32 v19, v19, v21, v20
	v_mul_lo_u32 v20, v13, s26
	v_mul_lo_u32 v21, v12, s27
	v_mad_u64_u32 v[24:25], s[2:3], v12, s26, 0
	v_add3_u32 v25, v25, v21, v20
	v_lshlrev_b64 v[20:21], 2, v[18:19]
	v_mov_b32_e32 v18, s29
	v_add_co_u32_e32 v22, vcc, s28, v20
	v_addc_co_u32_e64 v23, s[2:3], v18, v21, vcc
	v_lshlrev_b64 v[18:19], 2, v[24:25]
	v_mov_b32_e32 v20, s29
	v_add_co_u32_e64 v24, s[2:3], s28, v18
	v_addc_co_u32_e64 v25, s[8:9], v20, v19, s[2:3]
	global_load_dword v18, v[22:23], off
	global_load_dword v20, v[24:25], off
	s_mov_b64 s[38:39], -1
	s_waitcnt vmcnt(0)
	v_cmp_eq_f32_e64 s[8:9], v18, v20
	s_and_saveexec_b64 s[14:15], s[8:9]
	s_cbranch_execz .LBB963_76
; %bb.70:
	v_mov_b32_e32 v18, s29
	v_addc_co_u32_e64 v19, s[2:3], v19, v18, s[2:3]
	v_add_co_u32_e64 v18, s[2:3], 4, v24
	v_mov_b32_e32 v20, s29
	v_addc_co_u32_e64 v19, s[2:3], 0, v19, s[2:3]
	v_addc_co_u32_e32 v21, vcc, v21, v20, vcc
	v_add_co_u32_e32 v20, vcc, 4, v22
	s_add_u32 s2, s26, -1
	v_addc_co_u32_e32 v21, vcc, 0, v21, vcc
	s_addc_u32 s3, s27, -1
	s_mov_b64 s[8:9], 0
	s_mov_b64 s[40:41], 0
                                        ; implicit-def: $sgpr38_sgpr39
	s_branch .LBB963_73
.LBB963_71:                             ;   in Loop: Header=BB963_73 Depth=1
	global_load_dword v22, v[20:21], off
	global_load_dword v23, v[18:19], off
	v_add_co_u32_e32 v18, vcc, 4, v18
	v_addc_co_u32_e32 v19, vcc, 0, v19, vcc
	v_add_co_u32_e32 v20, vcc, 4, v20
	v_addc_co_u32_e32 v21, vcc, 0, v21, vcc
	s_add_u32 s40, s40, 1
	s_addc_u32 s41, s41, 0
	s_andn2_b64 s[38:39], s[38:39], exec
	s_waitcnt vmcnt(0)
	v_cmp_neq_f32_e32 vcc, v22, v23
	s_and_b64 s[42:43], vcc, exec
	s_or_b64 s[38:39], s[38:39], s[42:43]
.LBB963_72:                             ;   in Loop: Header=BB963_73 Depth=1
	s_and_b64 s[42:43], exec, s[38:39]
	s_or_b64 s[8:9], s[42:43], s[8:9]
	v_pk_mov_b32 v[22:23], s[40:41], s[40:41] op_sel:[0,1]
	s_andn2_b64 exec, exec, s[8:9]
	s_cbranch_execz .LBB963_75
.LBB963_73:                             ; =>This Inner Loop Header: Depth=1
	s_or_b64 s[38:39], s[38:39], exec
	s_cmp_eq_u64 s[2:3], s[40:41]
	s_cbranch_scc0 .LBB963_71
; %bb.74:                               ;   in Loop: Header=BB963_73 Depth=1
                                        ; implicit-def: $vgpr18_vgpr19
                                        ; implicit-def: $vgpr20_vgpr21
	s_mov_b64 s[40:41], s[26:27]
	s_branch .LBB963_72
.LBB963_75:
	s_or_b64 exec, exec, s[8:9]
	v_cmp_gt_i64_e32 vcc, s[26:27], v[22:23]
	s_orn2_b64 s[38:39], vcc, exec
.LBB963_76:
	s_or_b64 exec, exec, s[14:15]
.LBB963_77:
	s_and_b64 s[14:15], s[38:39], exec
.LBB963_78:
	s_or_b64 exec, exec, s[36:37]
	v_or_b32_e32 v18, 2, v1
	v_cmp_gt_u32_e32 vcc, s7, v18
	s_and_saveexec_b64 s[36:37], vcc
	s_cbranch_execz .LBB963_89
; %bb.79:
	s_and_b64 vcc, exec, s[0:1]
	s_mov_b64 s[38:39], 0
	s_cbranch_vccnz .LBB963_88
; %bb.80:
	s_waitcnt lgkmcnt(0)
	v_mul_lo_u32 v20, v17, s26
	v_mul_lo_u32 v21, v16, s27
	v_mad_u64_u32 v[18:19], s[2:3], v16, s26, 0
	v_add3_u32 v19, v19, v21, v20
	v_mul_lo_u32 v20, v11, s26
	v_mul_lo_u32 v21, v10, s27
	v_mad_u64_u32 v[24:25], s[2:3], v10, s26, 0
	v_add3_u32 v25, v25, v21, v20
	v_lshlrev_b64 v[20:21], 2, v[18:19]
	v_mov_b32_e32 v18, s29
	v_add_co_u32_e32 v22, vcc, s28, v20
	v_addc_co_u32_e64 v23, s[2:3], v18, v21, vcc
	v_lshlrev_b64 v[18:19], 2, v[24:25]
	v_mov_b32_e32 v20, s29
	v_add_co_u32_e64 v24, s[2:3], s28, v18
	v_addc_co_u32_e64 v25, s[8:9], v20, v19, s[2:3]
	global_load_dword v18, v[22:23], off
	global_load_dword v20, v[24:25], off
	s_mov_b64 s[38:39], -1
	s_waitcnt vmcnt(0)
	v_cmp_eq_f32_e64 s[8:9], v18, v20
	s_and_saveexec_b64 s[18:19], s[8:9]
	s_cbranch_execz .LBB963_87
; %bb.81:
	v_mov_b32_e32 v18, s29
	v_addc_co_u32_e64 v19, s[2:3], v19, v18, s[2:3]
	v_add_co_u32_e64 v18, s[2:3], 4, v24
	v_mov_b32_e32 v20, s29
	v_addc_co_u32_e64 v19, s[2:3], 0, v19, s[2:3]
	v_addc_co_u32_e32 v21, vcc, v21, v20, vcc
	v_add_co_u32_e32 v20, vcc, 4, v22
	s_add_u32 s2, s26, -1
	v_addc_co_u32_e32 v21, vcc, 0, v21, vcc
	s_addc_u32 s3, s27, -1
	s_mov_b64 s[8:9], 0
	s_mov_b64 s[40:41], 0
                                        ; implicit-def: $sgpr38_sgpr39
	s_branch .LBB963_84
.LBB963_82:                             ;   in Loop: Header=BB963_84 Depth=1
	global_load_dword v22, v[20:21], off
	global_load_dword v23, v[18:19], off
	v_add_co_u32_e32 v18, vcc, 4, v18
	v_addc_co_u32_e32 v19, vcc, 0, v19, vcc
	v_add_co_u32_e32 v20, vcc, 4, v20
	v_addc_co_u32_e32 v21, vcc, 0, v21, vcc
	s_add_u32 s40, s40, 1
	s_addc_u32 s41, s41, 0
	s_andn2_b64 s[38:39], s[38:39], exec
	s_waitcnt vmcnt(0)
	v_cmp_neq_f32_e32 vcc, v22, v23
	s_and_b64 s[42:43], vcc, exec
	s_or_b64 s[38:39], s[38:39], s[42:43]
.LBB963_83:                             ;   in Loop: Header=BB963_84 Depth=1
	s_and_b64 s[42:43], exec, s[38:39]
	s_or_b64 s[8:9], s[42:43], s[8:9]
	v_pk_mov_b32 v[22:23], s[40:41], s[40:41] op_sel:[0,1]
	s_andn2_b64 exec, exec, s[8:9]
	s_cbranch_execz .LBB963_86
.LBB963_84:                             ; =>This Inner Loop Header: Depth=1
	s_or_b64 s[38:39], s[38:39], exec
	s_cmp_eq_u64 s[2:3], s[40:41]
	s_cbranch_scc0 .LBB963_82
; %bb.85:                               ;   in Loop: Header=BB963_84 Depth=1
                                        ; implicit-def: $vgpr18_vgpr19
                                        ; implicit-def: $vgpr20_vgpr21
	s_mov_b64 s[40:41], s[26:27]
	s_branch .LBB963_83
.LBB963_86:
	s_or_b64 exec, exec, s[8:9]
	v_cmp_gt_i64_e32 vcc, s[26:27], v[22:23]
	s_orn2_b64 s[38:39], vcc, exec
.LBB963_87:
	s_or_b64 exec, exec, s[18:19]
.LBB963_88:
	s_and_b64 s[18:19], s[38:39], exec
.LBB963_89:
	s_or_b64 exec, exec, s[36:37]
	v_or_b32_e32 v18, 1, v1
	v_cmp_gt_u32_e32 vcc, s7, v18
	s_mov_b64 s[2:3], 0
	s_and_saveexec_b64 s[36:37], vcc
	s_cbranch_execz .LBB963_100
; %bb.90:
	s_and_b64 vcc, exec, s[0:1]
	s_mov_b64 s[40:41], 0
	s_cbranch_vccnz .LBB963_99
; %bb.91:
	s_waitcnt lgkmcnt(0)
	v_mul_lo_u32 v20, v15, s26
	v_mul_lo_u32 v21, v14, s27
	v_mad_u64_u32 v[18:19], s[2:3], v14, s26, 0
	v_add3_u32 v19, v19, v21, v20
	v_mul_lo_u32 v20, v17, s26
	v_mul_lo_u32 v21, v16, s27
	v_mad_u64_u32 v[24:25], s[2:3], v16, s26, 0
	v_add3_u32 v25, v25, v21, v20
	v_lshlrev_b64 v[20:21], 2, v[18:19]
	v_mov_b32_e32 v18, s29
	v_add_co_u32_e32 v22, vcc, s28, v20
	v_addc_co_u32_e64 v23, s[2:3], v18, v21, vcc
	v_lshlrev_b64 v[18:19], 2, v[24:25]
	v_mov_b32_e32 v20, s29
	v_add_co_u32_e64 v24, s[2:3], s28, v18
	v_addc_co_u32_e64 v25, s[8:9], v20, v19, s[2:3]
	global_load_dword v18, v[22:23], off
	global_load_dword v20, v[24:25], off
	s_mov_b64 s[40:41], -1
	s_waitcnt vmcnt(0)
	v_cmp_eq_f32_e64 s[8:9], v18, v20
	s_and_saveexec_b64 s[38:39], s[8:9]
	s_cbranch_execz .LBB963_98
; %bb.92:
	v_mov_b32_e32 v18, s29
	v_addc_co_u32_e64 v19, s[2:3], v19, v18, s[2:3]
	v_add_co_u32_e64 v18, s[2:3], 4, v24
	v_mov_b32_e32 v20, s29
	v_addc_co_u32_e64 v19, s[2:3], 0, v19, s[2:3]
	v_addc_co_u32_e32 v21, vcc, v21, v20, vcc
	v_add_co_u32_e32 v20, vcc, 4, v22
	s_add_u32 s2, s26, -1
	v_addc_co_u32_e32 v21, vcc, 0, v21, vcc
	s_addc_u32 s3, s27, -1
	s_mov_b64 s[8:9], 0
	s_mov_b64 s[42:43], 0
                                        ; implicit-def: $sgpr40_sgpr41
	s_branch .LBB963_95
.LBB963_93:                             ;   in Loop: Header=BB963_95 Depth=1
	global_load_dword v22, v[20:21], off
	global_load_dword v23, v[18:19], off
	v_add_co_u32_e32 v18, vcc, 4, v18
	v_addc_co_u32_e32 v19, vcc, 0, v19, vcc
	v_add_co_u32_e32 v20, vcc, 4, v20
	v_addc_co_u32_e32 v21, vcc, 0, v21, vcc
	s_add_u32 s42, s42, 1
	s_addc_u32 s43, s43, 0
	s_andn2_b64 s[40:41], s[40:41], exec
	s_waitcnt vmcnt(0)
	v_cmp_neq_f32_e32 vcc, v22, v23
	s_and_b64 s[44:45], vcc, exec
	s_or_b64 s[40:41], s[40:41], s[44:45]
.LBB963_94:                             ;   in Loop: Header=BB963_95 Depth=1
	s_and_b64 s[44:45], exec, s[40:41]
	s_or_b64 s[8:9], s[44:45], s[8:9]
	v_pk_mov_b32 v[22:23], s[42:43], s[42:43] op_sel:[0,1]
	s_andn2_b64 exec, exec, s[8:9]
	s_cbranch_execz .LBB963_97
.LBB963_95:                             ; =>This Inner Loop Header: Depth=1
	s_or_b64 s[40:41], s[40:41], exec
	s_cmp_eq_u64 s[2:3], s[42:43]
	s_cbranch_scc0 .LBB963_93
; %bb.96:                               ;   in Loop: Header=BB963_95 Depth=1
                                        ; implicit-def: $vgpr18_vgpr19
                                        ; implicit-def: $vgpr20_vgpr21
	s_mov_b64 s[42:43], s[26:27]
	s_branch .LBB963_94
.LBB963_97:
	s_or_b64 exec, exec, s[8:9]
	v_cmp_gt_i64_e32 vcc, s[26:27], v[22:23]
	s_orn2_b64 s[40:41], vcc, exec
.LBB963_98:
	s_or_b64 exec, exec, s[38:39]
.LBB963_99:
	s_and_b64 s[2:3], s[40:41], exec
.LBB963_100:
	s_or_b64 exec, exec, s[36:37]
	v_cmp_ne_u32_e32 vcc, 0, v0
	s_waitcnt lgkmcnt(0)
	v_pk_mov_b32 v[18:19], s[12:13], s[12:13] op_sel:[0,1]
	s_barrier
	s_and_saveexec_b64 s[8:9], vcc
	s_cbranch_execz .LBB963_102
; %bb.101:
	v_add_u32_e32 v18, -8, v26
	ds_read_b64 v[18:19], v18
.LBB963_102:
	s_or_b64 exec, exec, s[8:9]
	v_cndmask_b32_e64 v21, 0, 1, s[14:15]
	v_cndmask_b32_e64 v20, 0, 1, s[18:19]
	;; [unrolled: 1-line block ×3, first 2 shown]
	v_lshlrev_b16_e32 v21, 8, v21
	v_lshlrev_b16_e32 v26, 8, v22
	v_or_b32_sdwa v27, v20, v21 dst_sel:WORD_1 dst_unused:UNUSED_PAD src0_sel:DWORD src1_sel:DWORD
	v_cmp_gt_u32_e32 vcc, s7, v1
	s_mov_b64 s[18:19], 0
	s_and_saveexec_b64 s[8:9], vcc
	s_cbranch_execz .LBB963_113
; %bb.103:
	s_and_b64 vcc, exec, s[0:1]
	s_mov_b64 s[14:15], 0
	s_cbranch_vccnz .LBB963_112
; %bb.104:
	s_waitcnt lgkmcnt(0)
	v_mul_lo_u32 v20, v19, s26
	v_mul_lo_u32 v21, v18, s27
	v_mad_u64_u32 v[18:19], s[0:1], v18, s26, 0
	v_add3_u32 v19, v19, v21, v20
	v_mul_lo_u32 v20, v15, s26
	v_mul_lo_u32 v21, v14, s27
	v_mad_u64_u32 v[24:25], s[0:1], v14, s26, 0
	v_add3_u32 v25, v25, v21, v20
	v_lshlrev_b64 v[20:21], 2, v[18:19]
	v_mov_b32_e32 v18, s29
	v_add_co_u32_e32 v22, vcc, s28, v20
	v_addc_co_u32_e64 v23, s[0:1], v18, v21, vcc
	v_lshlrev_b64 v[18:19], 2, v[24:25]
	v_mov_b32_e32 v20, s29
	v_add_co_u32_e64 v24, s[0:1], s28, v18
	v_addc_co_u32_e64 v25, s[2:3], v20, v19, s[0:1]
	global_load_dword v18, v[22:23], off
	global_load_dword v20, v[24:25], off
	s_mov_b64 s[14:15], -1
	s_waitcnt vmcnt(0)
	v_cmp_eq_f32_e64 s[2:3], v18, v20
	s_and_saveexec_b64 s[12:13], s[2:3]
	s_cbranch_execz .LBB963_111
; %bb.105:
	v_mov_b32_e32 v18, s29
	v_addc_co_u32_e64 v19, s[0:1], v19, v18, s[0:1]
	v_add_co_u32_e64 v18, s[0:1], 4, v24
	v_mov_b32_e32 v20, s29
	v_addc_co_u32_e64 v19, s[0:1], 0, v19, s[0:1]
	v_addc_co_u32_e32 v21, vcc, v21, v20, vcc
	v_add_co_u32_e32 v20, vcc, 4, v22
	s_add_u32 s0, s26, -1
	v_addc_co_u32_e32 v21, vcc, 0, v21, vcc
	s_addc_u32 s1, s27, -1
	s_mov_b64 s[2:3], 0
                                        ; implicit-def: $sgpr14_sgpr15
	s_branch .LBB963_108
.LBB963_106:                            ;   in Loop: Header=BB963_108 Depth=1
	global_load_dword v22, v[20:21], off
	global_load_dword v23, v[18:19], off
	v_add_co_u32_e32 v18, vcc, 4, v18
	v_addc_co_u32_e32 v19, vcc, 0, v19, vcc
	v_add_co_u32_e32 v20, vcc, 4, v20
	v_addc_co_u32_e32 v21, vcc, 0, v21, vcc
	s_add_u32 s18, s18, 1
	s_addc_u32 s19, s19, 0
	s_andn2_b64 s[14:15], s[14:15], exec
	s_waitcnt vmcnt(0)
	v_cmp_neq_f32_e32 vcc, v22, v23
	s_and_b64 s[36:37], vcc, exec
	s_or_b64 s[14:15], s[14:15], s[36:37]
.LBB963_107:                            ;   in Loop: Header=BB963_108 Depth=1
	s_and_b64 s[36:37], exec, s[14:15]
	s_or_b64 s[2:3], s[36:37], s[2:3]
	v_pk_mov_b32 v[22:23], s[18:19], s[18:19] op_sel:[0,1]
	s_andn2_b64 exec, exec, s[2:3]
	s_cbranch_execz .LBB963_110
.LBB963_108:                            ; =>This Inner Loop Header: Depth=1
	s_or_b64 s[14:15], s[14:15], exec
	s_cmp_eq_u64 s[0:1], s[18:19]
	s_cbranch_scc0 .LBB963_106
; %bb.109:                              ;   in Loop: Header=BB963_108 Depth=1
                                        ; implicit-def: $vgpr18_vgpr19
                                        ; implicit-def: $vgpr20_vgpr21
	s_mov_b64 s[18:19], s[26:27]
	s_branch .LBB963_107
.LBB963_110:
	s_or_b64 exec, exec, s[2:3]
	v_cmp_gt_i64_e32 vcc, s[26:27], v[22:23]
	s_orn2_b64 s[14:15], vcc, exec
.LBB963_111:
	s_or_b64 exec, exec, s[12:13]
.LBB963_112:
	s_and_b64 s[18:19], s[14:15], exec
.LBB963_113:
	s_or_b64 exec, exec, s[8:9]
	v_or_b32_e32 v28, v26, v27
.LBB963_114:
	s_waitcnt lgkmcnt(0)
	s_mov_b64 s[12:13], -1
	s_cbranch_execnz .LBB963_203
.LBB963_115:
	v_lshlrev_b32_e32 v29, 3, v0
	s_mov_b64 s[18:19], 0
	v_cmp_gt_i64_e64 s[14:15], s[26:27], 0
	s_and_b64 vcc, exec, s[34:35]
	ds_write_b64 v29, v[12:13]
	s_cbranch_vccz .LBB963_123
; %bb.116:
	v_mul_lo_u32 v20, v11, s26
	v_mul_lo_u32 v21, v10, s27
	v_mad_u64_u32 v[18:19], s[0:1], v10, s26, 0
	v_add3_u32 v19, v19, v21, v20
	v_cndmask_b32_e64 v20, 0, 1, s[14:15]
	v_cmp_ne_u32_e64 s[0:1], 1, v20
	s_andn2_b64 vcc, exec, s[14:15]
	v_lshlrev_b64 v[18:19], 2, v[18:19]
	s_cbranch_vccnz .LBB963_126
; %bb.117:
	v_mul_lo_u32 v22, v13, s26
	v_mul_lo_u32 v23, v12, s27
	v_mad_u64_u32 v[20:21], s[2:3], v12, s26, 0
	v_add3_u32 v21, v21, v23, v22
	v_mov_b32_e32 v23, s29
	v_add_co_u32_e32 v22, vcc, s28, v18
	v_addc_co_u32_e64 v23, s[2:3], v23, v19, vcc
	v_lshlrev_b64 v[20:21], 2, v[20:21]
	v_mov_b32_e32 v25, s29
	v_add_co_u32_e64 v24, s[2:3], s28, v20
	v_addc_co_u32_e64 v25, s[8:9], v25, v21, s[2:3]
	global_load_dword v20, v[22:23], off
	global_load_dword v26, v[24:25], off
	s_mov_b64 s[18:19], -1
	s_waitcnt vmcnt(0)
	v_cmp_eq_f32_e64 s[8:9], v20, v26
	s_and_saveexec_b64 s[36:37], s[8:9]
	s_cbranch_execz .LBB963_125
; %bb.118:
	v_mov_b32_e32 v20, s29
	v_addc_co_u32_e64 v21, s[2:3], v21, v20, s[2:3]
	v_add_co_u32_e64 v20, s[2:3], 4, v24
	v_mov_b32_e32 v23, s29
	v_addc_co_u32_e64 v21, s[2:3], 0, v21, s[2:3]
	v_addc_co_u32_e32 v23, vcc, v19, v23, vcc
	v_add_co_u32_e32 v22, vcc, 4, v22
	s_add_u32 s2, s26, -1
	v_addc_co_u32_e32 v23, vcc, 0, v23, vcc
	s_addc_u32 s3, s27, -1
	s_mov_b64 s[8:9], 0
	s_mov_b64 s[38:39], 0
                                        ; implicit-def: $sgpr18_sgpr19
	s_branch .LBB963_121
.LBB963_119:                            ;   in Loop: Header=BB963_121 Depth=1
	global_load_dword v24, v[22:23], off
	global_load_dword v25, v[20:21], off
	v_add_co_u32_e32 v20, vcc, 4, v20
	v_addc_co_u32_e32 v21, vcc, 0, v21, vcc
	v_add_co_u32_e32 v22, vcc, 4, v22
	v_addc_co_u32_e32 v23, vcc, 0, v23, vcc
	s_add_u32 s38, s38, 1
	s_addc_u32 s39, s39, 0
	s_andn2_b64 s[18:19], s[18:19], exec
	s_waitcnt vmcnt(0)
	v_cmp_neq_f32_e32 vcc, v24, v25
	s_and_b64 s[40:41], vcc, exec
	s_or_b64 s[18:19], s[18:19], s[40:41]
.LBB963_120:                            ;   in Loop: Header=BB963_121 Depth=1
	s_and_b64 s[40:41], exec, s[18:19]
	s_or_b64 s[8:9], s[40:41], s[8:9]
	v_pk_mov_b32 v[24:25], s[38:39], s[38:39] op_sel:[0,1]
	s_andn2_b64 exec, exec, s[8:9]
	s_cbranch_execz .LBB963_124
.LBB963_121:                            ; =>This Inner Loop Header: Depth=1
	s_or_b64 s[18:19], s[18:19], exec
	s_cmp_eq_u64 s[2:3], s[38:39]
	s_cbranch_scc0 .LBB963_119
; %bb.122:                              ;   in Loop: Header=BB963_121 Depth=1
                                        ; implicit-def: $vgpr20_vgpr21
                                        ; implicit-def: $vgpr22_vgpr23
	s_mov_b64 s[38:39], s[26:27]
	s_branch .LBB963_120
.LBB963_123:
                                        ; implicit-def: $sgpr18_sgpr19
                                        ; implicit-def: $vgpr28
	s_cbranch_execnz .LBB963_156
	s_branch .LBB963_203
.LBB963_124:
	s_or_b64 exec, exec, s[8:9]
	v_cmp_gt_i64_e32 vcc, s[26:27], v[24:25]
	s_orn2_b64 s[18:19], vcc, exec
.LBB963_125:
	s_or_b64 exec, exec, s[36:37]
.LBB963_126:
	v_mul_lo_u32 v22, v17, s26
	v_mul_lo_u32 v23, v16, s27
	v_mad_u64_u32 v[20:21], s[2:3], v16, s26, 0
	v_add3_u32 v21, v21, v23, v22
	s_mov_b64 s[36:37], 0
	s_and_b64 vcc, exec, s[0:1]
	v_lshlrev_b64 v[20:21], 2, v[20:21]
	s_mov_b64 s[38:39], 0
	s_cbranch_vccnz .LBB963_135
; %bb.127:
	v_mov_b32_e32 v23, s29
	v_add_co_u32_e32 v22, vcc, s28, v20
	v_addc_co_u32_e64 v23, s[2:3], v23, v21, vcc
	v_mov_b32_e32 v25, s29
	v_add_co_u32_e64 v24, s[2:3], s28, v18
	v_addc_co_u32_e64 v25, s[8:9], v25, v19, s[2:3]
	global_load_dword v18, v[22:23], off
	global_load_dword v26, v[24:25], off
	s_mov_b64 s[38:39], -1
	s_waitcnt vmcnt(0)
	v_cmp_eq_f32_e64 s[8:9], v18, v26
	s_and_saveexec_b64 s[40:41], s[8:9]
	s_cbranch_execz .LBB963_134
; %bb.128:
	v_mov_b32_e32 v18, s29
	v_addc_co_u32_e64 v19, s[2:3], v19, v18, s[2:3]
	v_add_co_u32_e64 v18, s[2:3], 4, v24
	v_mov_b32_e32 v23, s29
	v_addc_co_u32_e64 v19, s[2:3], 0, v19, s[2:3]
	v_addc_co_u32_e32 v23, vcc, v21, v23, vcc
	v_add_co_u32_e32 v22, vcc, 4, v22
	s_add_u32 s2, s26, -1
	v_addc_co_u32_e32 v23, vcc, 0, v23, vcc
	s_addc_u32 s3, s27, -1
	s_mov_b64 s[8:9], 0
	s_mov_b64 s[42:43], 0
                                        ; implicit-def: $sgpr38_sgpr39
	s_branch .LBB963_131
.LBB963_129:                            ;   in Loop: Header=BB963_131 Depth=1
	global_load_dword v24, v[22:23], off
	global_load_dword v25, v[18:19], off
	v_add_co_u32_e32 v18, vcc, 4, v18
	v_addc_co_u32_e32 v19, vcc, 0, v19, vcc
	v_add_co_u32_e32 v22, vcc, 4, v22
	v_addc_co_u32_e32 v23, vcc, 0, v23, vcc
	s_add_u32 s42, s42, 1
	s_addc_u32 s43, s43, 0
	s_andn2_b64 s[38:39], s[38:39], exec
	s_waitcnt vmcnt(0)
	v_cmp_neq_f32_e32 vcc, v24, v25
	s_and_b64 s[44:45], vcc, exec
	s_or_b64 s[38:39], s[38:39], s[44:45]
.LBB963_130:                            ;   in Loop: Header=BB963_131 Depth=1
	s_and_b64 s[44:45], exec, s[38:39]
	s_or_b64 s[8:9], s[44:45], s[8:9]
	v_pk_mov_b32 v[24:25], s[42:43], s[42:43] op_sel:[0,1]
	s_andn2_b64 exec, exec, s[8:9]
	s_cbranch_execz .LBB963_133
.LBB963_131:                            ; =>This Inner Loop Header: Depth=1
	s_or_b64 s[38:39], s[38:39], exec
	s_cmp_eq_u64 s[2:3], s[42:43]
	s_cbranch_scc0 .LBB963_129
; %bb.132:                              ;   in Loop: Header=BB963_131 Depth=1
                                        ; implicit-def: $vgpr18_vgpr19
                                        ; implicit-def: $vgpr22_vgpr23
	s_mov_b64 s[42:43], s[26:27]
	s_branch .LBB963_130
.LBB963_133:
	s_or_b64 exec, exec, s[8:9]
	v_cmp_gt_i64_e32 vcc, s[26:27], v[24:25]
	s_orn2_b64 s[38:39], vcc, exec
.LBB963_134:
	s_or_b64 exec, exec, s[40:41]
.LBB963_135:
	v_mul_lo_u32 v22, v15, s26
	v_mul_lo_u32 v23, v14, s27
	v_mad_u64_u32 v[18:19], s[2:3], v14, s26, 0
	s_and_b64 vcc, exec, s[0:1]
	v_add3_u32 v19, v19, v23, v22
	s_cbranch_vccnz .LBB963_144
; %bb.136:
	v_lshlrev_b64 v[22:23], 2, v[18:19]
	v_mov_b32_e32 v25, s29
	v_add_co_u32_e32 v24, vcc, s28, v22
	v_addc_co_u32_e64 v25, s[2:3], v25, v23, vcc
	v_mov_b32_e32 v22, s29
	v_add_co_u32_e64 v26, s[2:3], s28, v20
	v_addc_co_u32_e64 v27, s[8:9], v22, v21, s[2:3]
	global_load_dword v20, v[24:25], off
	global_load_dword v22, v[26:27], off
	s_mov_b64 s[36:37], -1
	s_waitcnt vmcnt(0)
	v_cmp_eq_f32_e64 s[8:9], v20, v22
	s_and_saveexec_b64 s[40:41], s[8:9]
	s_cbranch_execz .LBB963_143
; %bb.137:
	v_mov_b32_e32 v20, s29
	v_addc_co_u32_e64 v21, s[2:3], v21, v20, s[2:3]
	v_add_co_u32_e64 v20, s[2:3], 4, v26
	v_mov_b32_e32 v22, s29
	v_addc_co_u32_e64 v21, s[2:3], 0, v21, s[2:3]
	v_addc_co_u32_e32 v23, vcc, v23, v22, vcc
	v_add_co_u32_e32 v22, vcc, 4, v24
	s_add_u32 s2, s26, -1
	v_addc_co_u32_e32 v23, vcc, 0, v23, vcc
	s_addc_u32 s3, s27, -1
	s_mov_b64 s[8:9], 0
	s_mov_b64 s[42:43], 0
                                        ; implicit-def: $sgpr36_sgpr37
	s_branch .LBB963_140
.LBB963_138:                            ;   in Loop: Header=BB963_140 Depth=1
	global_load_dword v24, v[22:23], off
	global_load_dword v25, v[20:21], off
	v_add_co_u32_e32 v20, vcc, 4, v20
	v_addc_co_u32_e32 v21, vcc, 0, v21, vcc
	v_add_co_u32_e32 v22, vcc, 4, v22
	v_addc_co_u32_e32 v23, vcc, 0, v23, vcc
	s_add_u32 s42, s42, 1
	s_addc_u32 s43, s43, 0
	s_andn2_b64 s[36:37], s[36:37], exec
	s_waitcnt vmcnt(0)
	v_cmp_neq_f32_e32 vcc, v24, v25
	s_and_b64 s[44:45], vcc, exec
	s_or_b64 s[36:37], s[36:37], s[44:45]
.LBB963_139:                            ;   in Loop: Header=BB963_140 Depth=1
	s_and_b64 s[44:45], exec, s[36:37]
	s_or_b64 s[8:9], s[44:45], s[8:9]
	v_pk_mov_b32 v[24:25], s[42:43], s[42:43] op_sel:[0,1]
	s_andn2_b64 exec, exec, s[8:9]
	s_cbranch_execz .LBB963_142
.LBB963_140:                            ; =>This Inner Loop Header: Depth=1
	s_or_b64 s[36:37], s[36:37], exec
	s_cmp_eq_u64 s[2:3], s[42:43]
	s_cbranch_scc0 .LBB963_138
; %bb.141:                              ;   in Loop: Header=BB963_140 Depth=1
                                        ; implicit-def: $vgpr20_vgpr21
                                        ; implicit-def: $vgpr22_vgpr23
	s_mov_b64 s[42:43], s[26:27]
	s_branch .LBB963_139
.LBB963_142:
	s_or_b64 exec, exec, s[8:9]
	v_cmp_gt_i64_e32 vcc, s[26:27], v[24:25]
	s_orn2_b64 s[36:37], vcc, exec
.LBB963_143:
	s_or_b64 exec, exec, s[40:41]
.LBB963_144:
	v_cndmask_b32_e64 v21, 0, 1, s[18:19]
	v_cndmask_b32_e64 v22, 0, 1, s[36:37]
	v_cndmask_b32_e64 v20, 0, 1, s[38:39]
	v_lshlrev_b16_e32 v22, 8, v22
	v_lshlrev_b16_e32 v21, 8, v21
	v_or_b32_e32 v22, 1, v22
	v_or_b32_sdwa v20, v20, v21 dst_sel:WORD_1 dst_unused:UNUSED_PAD src0_sel:DWORD src1_sel:DWORD
	v_or_b32_sdwa v28, v22, v20 dst_sel:DWORD dst_unused:UNUSED_PAD src0_sel:WORD_0 src1_sel:DWORD
	v_cmp_ne_u32_e32 vcc, 0, v0
	s_waitcnt lgkmcnt(0)
	s_barrier
	s_waitcnt lgkmcnt(0)
                                        ; implicit-def: $sgpr18_sgpr19
	s_and_saveexec_b64 s[2:3], vcc
	s_xor_b64 s[8:9], exec, s[2:3]
	s_cbranch_execz .LBB963_155
; %bb.145:
	s_and_b64 vcc, exec, s[0:1]
	s_mov_b64 s[36:37], 0
	s_cbranch_vccnz .LBB963_154
; %bb.146:
	v_add_u32_e32 v20, -8, v29
	ds_read_b64 v[20:21], v20
	v_mov_b32_e32 v23, s29
	v_lshlrev_b64 v[18:19], 2, v[18:19]
	s_mov_b64 s[36:37], -1
	s_waitcnt lgkmcnt(0)
	v_mul_lo_u32 v22, v21, s26
	v_mul_lo_u32 v24, v20, s27
	v_mad_u64_u32 v[20:21], s[0:1], v20, s26, 0
	v_add3_u32 v21, v21, v24, v22
	v_lshlrev_b64 v[20:21], 2, v[20:21]
	v_add_co_u32_e32 v22, vcc, s28, v20
	v_addc_co_u32_e64 v23, s[0:1], v23, v21, vcc
	v_mov_b32_e32 v20, s29
	v_add_co_u32_e64 v24, s[0:1], s28, v18
	v_addc_co_u32_e64 v25, s[2:3], v20, v19, s[0:1]
	global_load_dword v18, v[22:23], off
	global_load_dword v20, v[24:25], off
	s_waitcnt vmcnt(0)
	v_cmp_eq_f32_e64 s[2:3], v18, v20
	s_and_saveexec_b64 s[18:19], s[2:3]
	s_cbranch_execz .LBB963_153
; %bb.147:
	v_mov_b32_e32 v18, s29
	v_addc_co_u32_e64 v19, s[0:1], v19, v18, s[0:1]
	v_add_co_u32_e64 v18, s[0:1], 4, v24
	v_mov_b32_e32 v20, s29
	v_addc_co_u32_e64 v19, s[0:1], 0, v19, s[0:1]
	v_addc_co_u32_e32 v21, vcc, v21, v20, vcc
	v_add_co_u32_e32 v20, vcc, 4, v22
	s_add_u32 s0, s26, -1
	v_addc_co_u32_e32 v21, vcc, 0, v21, vcc
	s_addc_u32 s1, s27, -1
	s_mov_b64 s[2:3], 0
	s_mov_b64 s[38:39], 0
                                        ; implicit-def: $sgpr36_sgpr37
	s_branch .LBB963_150
.LBB963_148:                            ;   in Loop: Header=BB963_150 Depth=1
	global_load_dword v22, v[20:21], off
	global_load_dword v23, v[18:19], off
	v_add_co_u32_e32 v18, vcc, 4, v18
	v_addc_co_u32_e32 v19, vcc, 0, v19, vcc
	v_add_co_u32_e32 v20, vcc, 4, v20
	v_addc_co_u32_e32 v21, vcc, 0, v21, vcc
	s_add_u32 s38, s38, 1
	s_addc_u32 s39, s39, 0
	s_andn2_b64 s[36:37], s[36:37], exec
	s_waitcnt vmcnt(0)
	v_cmp_neq_f32_e32 vcc, v22, v23
	s_and_b64 s[40:41], vcc, exec
	s_or_b64 s[36:37], s[36:37], s[40:41]
.LBB963_149:                            ;   in Loop: Header=BB963_150 Depth=1
	s_and_b64 s[40:41], exec, s[36:37]
	s_or_b64 s[2:3], s[40:41], s[2:3]
	v_pk_mov_b32 v[22:23], s[38:39], s[38:39] op_sel:[0,1]
	s_andn2_b64 exec, exec, s[2:3]
	s_cbranch_execz .LBB963_152
.LBB963_150:                            ; =>This Inner Loop Header: Depth=1
	s_or_b64 s[36:37], s[36:37], exec
	s_cmp_eq_u64 s[0:1], s[38:39]
	s_cbranch_scc0 .LBB963_148
; %bb.151:                              ;   in Loop: Header=BB963_150 Depth=1
                                        ; implicit-def: $vgpr18_vgpr19
                                        ; implicit-def: $vgpr20_vgpr21
	s_mov_b64 s[38:39], s[26:27]
	s_branch .LBB963_149
.LBB963_152:
	s_or_b64 exec, exec, s[2:3]
	v_cmp_gt_i64_e32 vcc, s[26:27], v[22:23]
	s_orn2_b64 s[36:37], vcc, exec
.LBB963_153:
	s_or_b64 exec, exec, s[18:19]
.LBB963_154:
	s_and_b64 s[18:19], s[36:37], exec
	s_or_b64 s[12:13], s[12:13], exec
.LBB963_155:
	s_or_b64 exec, exec, s[8:9]
	s_branch .LBB963_203
.LBB963_156:
	v_or_b32_e32 v18, 3, v1
	v_cmp_gt_u32_e32 vcc, s7, v18
	s_mov_b64 s[18:19], 0
	s_mov_b64 s[8:9], 0
	s_and_saveexec_b64 s[36:37], vcc
	s_cbranch_execz .LBB963_167
; %bb.157:
	s_andn2_b64 vcc, exec, s[14:15]
	s_mov_b64 s[38:39], 0
	s_cbranch_vccnz .LBB963_166
; %bb.158:
	v_mul_lo_u32 v20, v11, s26
	v_mul_lo_u32 v21, v10, s27
	v_mad_u64_u32 v[18:19], s[0:1], v10, s26, 0
	v_add3_u32 v19, v19, v21, v20
	v_mul_lo_u32 v20, v13, s26
	v_mul_lo_u32 v21, v12, s27
	v_mad_u64_u32 v[24:25], s[0:1], v12, s26, 0
	v_add3_u32 v25, v25, v21, v20
	v_lshlrev_b64 v[20:21], 2, v[18:19]
	v_mov_b32_e32 v18, s29
	v_add_co_u32_e32 v22, vcc, s28, v20
	v_addc_co_u32_e64 v23, s[0:1], v18, v21, vcc
	v_lshlrev_b64 v[18:19], 2, v[24:25]
	v_mov_b32_e32 v20, s29
	v_add_co_u32_e64 v24, s[0:1], s28, v18
	v_addc_co_u32_e64 v25, s[2:3], v20, v19, s[0:1]
	global_load_dword v18, v[22:23], off
	global_load_dword v20, v[24:25], off
	s_mov_b64 s[38:39], -1
	s_waitcnt vmcnt(0)
	v_cmp_eq_f32_e64 s[2:3], v18, v20
	s_and_saveexec_b64 s[8:9], s[2:3]
	s_cbranch_execz .LBB963_165
; %bb.159:
	v_mov_b32_e32 v18, s29
	v_addc_co_u32_e64 v19, s[0:1], v19, v18, s[0:1]
	v_add_co_u32_e64 v18, s[0:1], 4, v24
	v_mov_b32_e32 v20, s29
	v_addc_co_u32_e64 v19, s[0:1], 0, v19, s[0:1]
	v_addc_co_u32_e32 v21, vcc, v21, v20, vcc
	v_add_co_u32_e32 v20, vcc, 4, v22
	s_add_u32 s0, s26, -1
	v_addc_co_u32_e32 v21, vcc, 0, v21, vcc
	s_addc_u32 s1, s27, -1
	s_mov_b64 s[2:3], 0
	s_mov_b64 s[40:41], 0
                                        ; implicit-def: $sgpr38_sgpr39
	s_branch .LBB963_162
.LBB963_160:                            ;   in Loop: Header=BB963_162 Depth=1
	global_load_dword v22, v[20:21], off
	global_load_dword v23, v[18:19], off
	v_add_co_u32_e32 v18, vcc, 4, v18
	v_addc_co_u32_e32 v19, vcc, 0, v19, vcc
	v_add_co_u32_e32 v20, vcc, 4, v20
	v_addc_co_u32_e32 v21, vcc, 0, v21, vcc
	s_add_u32 s40, s40, 1
	s_addc_u32 s41, s41, 0
	s_andn2_b64 s[38:39], s[38:39], exec
	s_waitcnt vmcnt(0)
	v_cmp_neq_f32_e32 vcc, v22, v23
	s_and_b64 s[42:43], vcc, exec
	s_or_b64 s[38:39], s[38:39], s[42:43]
.LBB963_161:                            ;   in Loop: Header=BB963_162 Depth=1
	s_and_b64 s[42:43], exec, s[38:39]
	s_or_b64 s[2:3], s[42:43], s[2:3]
	v_pk_mov_b32 v[22:23], s[40:41], s[40:41] op_sel:[0,1]
	s_andn2_b64 exec, exec, s[2:3]
	s_cbranch_execz .LBB963_164
.LBB963_162:                            ; =>This Inner Loop Header: Depth=1
	s_or_b64 s[38:39], s[38:39], exec
	s_cmp_eq_u64 s[0:1], s[40:41]
	s_cbranch_scc0 .LBB963_160
; %bb.163:                              ;   in Loop: Header=BB963_162 Depth=1
                                        ; implicit-def: $vgpr18_vgpr19
                                        ; implicit-def: $vgpr20_vgpr21
	s_mov_b64 s[40:41], s[26:27]
	s_branch .LBB963_161
.LBB963_164:
	s_or_b64 exec, exec, s[2:3]
	v_cmp_gt_i64_e32 vcc, s[26:27], v[22:23]
	s_orn2_b64 s[38:39], vcc, exec
.LBB963_165:
	s_or_b64 exec, exec, s[8:9]
.LBB963_166:
	s_and_b64 s[8:9], s[38:39], exec
.LBB963_167:
	s_or_b64 exec, exec, s[36:37]
	v_or_b32_e32 v18, 2, v1
	v_cmp_gt_u32_e32 vcc, s7, v18
	s_and_saveexec_b64 s[36:37], vcc
	s_cbranch_execz .LBB963_178
; %bb.168:
	s_andn2_b64 vcc, exec, s[14:15]
	s_mov_b64 s[38:39], 0
	s_cbranch_vccnz .LBB963_177
; %bb.169:
	v_mul_lo_u32 v20, v17, s26
	v_mul_lo_u32 v21, v16, s27
	v_mad_u64_u32 v[18:19], s[0:1], v16, s26, 0
	v_add3_u32 v19, v19, v21, v20
	v_mul_lo_u32 v20, v11, s26
	v_mul_lo_u32 v21, v10, s27
	v_mad_u64_u32 v[24:25], s[0:1], v10, s26, 0
	v_add3_u32 v25, v25, v21, v20
	v_lshlrev_b64 v[20:21], 2, v[18:19]
	v_mov_b32_e32 v18, s29
	v_add_co_u32_e32 v22, vcc, s28, v20
	v_addc_co_u32_e64 v23, s[0:1], v18, v21, vcc
	v_lshlrev_b64 v[18:19], 2, v[24:25]
	v_mov_b32_e32 v20, s29
	v_add_co_u32_e64 v24, s[0:1], s28, v18
	v_addc_co_u32_e64 v25, s[2:3], v20, v19, s[0:1]
	global_load_dword v18, v[22:23], off
	global_load_dword v20, v[24:25], off
	s_mov_b64 s[38:39], -1
	s_waitcnt vmcnt(0)
	v_cmp_eq_f32_e64 s[2:3], v18, v20
	s_and_saveexec_b64 s[18:19], s[2:3]
	s_cbranch_execz .LBB963_176
; %bb.170:
	v_mov_b32_e32 v18, s29
	v_addc_co_u32_e64 v19, s[0:1], v19, v18, s[0:1]
	v_add_co_u32_e64 v18, s[0:1], 4, v24
	v_mov_b32_e32 v20, s29
	v_addc_co_u32_e64 v19, s[0:1], 0, v19, s[0:1]
	v_addc_co_u32_e32 v21, vcc, v21, v20, vcc
	v_add_co_u32_e32 v20, vcc, 4, v22
	s_add_u32 s0, s26, -1
	v_addc_co_u32_e32 v21, vcc, 0, v21, vcc
	s_addc_u32 s1, s27, -1
	s_mov_b64 s[2:3], 0
	s_mov_b64 s[40:41], 0
                                        ; implicit-def: $sgpr38_sgpr39
	s_branch .LBB963_173
.LBB963_171:                            ;   in Loop: Header=BB963_173 Depth=1
	global_load_dword v22, v[20:21], off
	global_load_dword v23, v[18:19], off
	v_add_co_u32_e32 v18, vcc, 4, v18
	v_addc_co_u32_e32 v19, vcc, 0, v19, vcc
	v_add_co_u32_e32 v20, vcc, 4, v20
	v_addc_co_u32_e32 v21, vcc, 0, v21, vcc
	s_add_u32 s40, s40, 1
	s_addc_u32 s41, s41, 0
	s_andn2_b64 s[38:39], s[38:39], exec
	s_waitcnt vmcnt(0)
	v_cmp_neq_f32_e32 vcc, v22, v23
	s_and_b64 s[42:43], vcc, exec
	s_or_b64 s[38:39], s[38:39], s[42:43]
.LBB963_172:                            ;   in Loop: Header=BB963_173 Depth=1
	s_and_b64 s[42:43], exec, s[38:39]
	s_or_b64 s[2:3], s[42:43], s[2:3]
	v_pk_mov_b32 v[22:23], s[40:41], s[40:41] op_sel:[0,1]
	s_andn2_b64 exec, exec, s[2:3]
	s_cbranch_execz .LBB963_175
.LBB963_173:                            ; =>This Inner Loop Header: Depth=1
	s_or_b64 s[38:39], s[38:39], exec
	s_cmp_eq_u64 s[0:1], s[40:41]
	s_cbranch_scc0 .LBB963_171
; %bb.174:                              ;   in Loop: Header=BB963_173 Depth=1
                                        ; implicit-def: $vgpr18_vgpr19
                                        ; implicit-def: $vgpr20_vgpr21
	s_mov_b64 s[40:41], s[26:27]
	s_branch .LBB963_172
.LBB963_175:
	s_or_b64 exec, exec, s[2:3]
	v_cmp_gt_i64_e32 vcc, s[26:27], v[22:23]
	s_orn2_b64 s[38:39], vcc, exec
.LBB963_176:
	s_or_b64 exec, exec, s[18:19]
.LBB963_177:
	s_and_b64 s[18:19], s[38:39], exec
.LBB963_178:
	s_or_b64 exec, exec, s[36:37]
	v_or_b32_e32 v18, 1, v1
	v_cmp_gt_u32_e32 vcc, s7, v18
	s_mov_b64 s[0:1], 0
	s_and_saveexec_b64 s[36:37], vcc
	s_cbranch_execz .LBB963_189
; %bb.179:
	s_andn2_b64 vcc, exec, s[14:15]
	s_mov_b64 s[40:41], 0
	s_cbranch_vccnz .LBB963_188
; %bb.180:
	v_mul_lo_u32 v20, v15, s26
	v_mul_lo_u32 v21, v14, s27
	v_mad_u64_u32 v[18:19], s[0:1], v14, s26, 0
	v_add3_u32 v19, v19, v21, v20
	v_mul_lo_u32 v20, v17, s26
	v_mul_lo_u32 v21, v16, s27
	v_mad_u64_u32 v[24:25], s[0:1], v16, s26, 0
	v_add3_u32 v25, v25, v21, v20
	v_lshlrev_b64 v[20:21], 2, v[18:19]
	v_mov_b32_e32 v18, s29
	v_add_co_u32_e32 v22, vcc, s28, v20
	v_addc_co_u32_e64 v23, s[0:1], v18, v21, vcc
	v_lshlrev_b64 v[18:19], 2, v[24:25]
	v_mov_b32_e32 v20, s29
	v_add_co_u32_e64 v24, s[0:1], s28, v18
	v_addc_co_u32_e64 v25, s[2:3], v20, v19, s[0:1]
	global_load_dword v18, v[22:23], off
	global_load_dword v20, v[24:25], off
	s_mov_b64 s[40:41], -1
	s_waitcnt vmcnt(0)
	v_cmp_eq_f32_e64 s[2:3], v18, v20
	s_and_saveexec_b64 s[38:39], s[2:3]
	s_cbranch_execz .LBB963_187
; %bb.181:
	v_mov_b32_e32 v18, s29
	v_addc_co_u32_e64 v19, s[0:1], v19, v18, s[0:1]
	v_add_co_u32_e64 v18, s[0:1], 4, v24
	v_mov_b32_e32 v20, s29
	v_addc_co_u32_e64 v19, s[0:1], 0, v19, s[0:1]
	v_addc_co_u32_e32 v21, vcc, v21, v20, vcc
	v_add_co_u32_e32 v20, vcc, 4, v22
	s_add_u32 s0, s26, -1
	v_addc_co_u32_e32 v21, vcc, 0, v21, vcc
	s_addc_u32 s1, s27, -1
	s_mov_b64 s[2:3], 0
	s_mov_b64 s[42:43], 0
                                        ; implicit-def: $sgpr40_sgpr41
	s_branch .LBB963_184
.LBB963_182:                            ;   in Loop: Header=BB963_184 Depth=1
	global_load_dword v22, v[20:21], off
	global_load_dword v23, v[18:19], off
	v_add_co_u32_e32 v18, vcc, 4, v18
	v_addc_co_u32_e32 v19, vcc, 0, v19, vcc
	v_add_co_u32_e32 v20, vcc, 4, v20
	v_addc_co_u32_e32 v21, vcc, 0, v21, vcc
	s_add_u32 s42, s42, 1
	s_addc_u32 s43, s43, 0
	s_andn2_b64 s[40:41], s[40:41], exec
	s_waitcnt vmcnt(0)
	v_cmp_neq_f32_e32 vcc, v22, v23
	s_and_b64 s[44:45], vcc, exec
	s_or_b64 s[40:41], s[40:41], s[44:45]
.LBB963_183:                            ;   in Loop: Header=BB963_184 Depth=1
	s_and_b64 s[44:45], exec, s[40:41]
	s_or_b64 s[2:3], s[44:45], s[2:3]
	v_pk_mov_b32 v[22:23], s[42:43], s[42:43] op_sel:[0,1]
	s_andn2_b64 exec, exec, s[2:3]
	s_cbranch_execz .LBB963_186
.LBB963_184:                            ; =>This Inner Loop Header: Depth=1
	s_or_b64 s[40:41], s[40:41], exec
	s_cmp_eq_u64 s[0:1], s[42:43]
	s_cbranch_scc0 .LBB963_182
; %bb.185:                              ;   in Loop: Header=BB963_184 Depth=1
                                        ; implicit-def: $vgpr18_vgpr19
                                        ; implicit-def: $vgpr20_vgpr21
	s_mov_b64 s[42:43], s[26:27]
	s_branch .LBB963_183
.LBB963_186:
	s_or_b64 exec, exec, s[2:3]
	v_cmp_gt_i64_e32 vcc, s[26:27], v[22:23]
	s_orn2_b64 s[40:41], vcc, exec
.LBB963_187:
	s_or_b64 exec, exec, s[38:39]
.LBB963_188:
	s_and_b64 s[0:1], s[40:41], exec
.LBB963_189:
	s_or_b64 exec, exec, s[36:37]
	v_cndmask_b32_e64 v19, 0, 1, s[8:9]
	v_cndmask_b32_e64 v20, 0, 1, s[0:1]
	;; [unrolled: 1-line block ×3, first 2 shown]
	v_lshlrev_b16_e32 v20, 8, v20
	v_lshlrev_b16_e32 v19, 8, v19
	v_or_b32_e32 v20, 1, v20
	v_or_b32_sdwa v18, v18, v19 dst_sel:WORD_1 dst_unused:UNUSED_PAD src0_sel:DWORD src1_sel:DWORD
	v_or_b32_sdwa v28, v20, v18 dst_sel:DWORD dst_unused:UNUSED_PAD src0_sel:WORD_0 src1_sel:DWORD
	v_cmp_ne_u32_e32 vcc, 0, v0
	s_waitcnt lgkmcnt(0)
	s_barrier
	s_waitcnt lgkmcnt(0)
                                        ; implicit-def: $sgpr18_sgpr19
	s_and_saveexec_b64 s[8:9], vcc
	s_cbranch_execz .LBB963_202
; %bb.190:
	v_cmp_gt_u32_e32 vcc, s7, v1
	s_mov_b64 s[0:1], 0
	s_and_saveexec_b64 s[18:19], vcc
	s_cbranch_execz .LBB963_201
; %bb.191:
	s_andn2_b64 vcc, exec, s[14:15]
	s_mov_b64 s[36:37], 0
	s_cbranch_vccnz .LBB963_200
; %bb.192:
	v_add_u32_e32 v18, -8, v29
	ds_read_b64 v[18:19], v18
	v_mul_lo_u32 v20, v15, s26
	v_mad_u64_u32 v[24:25], s[0:1], v14, s26, 0
	s_mov_b64 s[36:37], -1
	s_waitcnt lgkmcnt(0)
	v_mul_lo_u32 v21, v19, s26
	v_mul_lo_u32 v22, v18, s27
	v_mad_u64_u32 v[18:19], s[0:1], v18, s26, 0
	v_add3_u32 v19, v19, v22, v21
	v_mul_lo_u32 v21, v14, s27
	v_add3_u32 v25, v25, v21, v20
	v_lshlrev_b64 v[20:21], 2, v[18:19]
	v_mov_b32_e32 v18, s29
	v_add_co_u32_e32 v22, vcc, s28, v20
	v_addc_co_u32_e64 v23, s[0:1], v18, v21, vcc
	v_lshlrev_b64 v[18:19], 2, v[24:25]
	v_mov_b32_e32 v20, s29
	v_add_co_u32_e64 v24, s[0:1], s28, v18
	v_addc_co_u32_e64 v25, s[2:3], v20, v19, s[0:1]
	global_load_dword v18, v[22:23], off
	global_load_dword v20, v[24:25], off
	s_waitcnt vmcnt(0)
	v_cmp_eq_f32_e64 s[2:3], v18, v20
	s_and_saveexec_b64 s[14:15], s[2:3]
	s_cbranch_execz .LBB963_199
; %bb.193:
	v_mov_b32_e32 v18, s29
	v_addc_co_u32_e64 v19, s[0:1], v19, v18, s[0:1]
	v_add_co_u32_e64 v18, s[0:1], 4, v24
	v_mov_b32_e32 v20, s29
	v_addc_co_u32_e64 v19, s[0:1], 0, v19, s[0:1]
	v_addc_co_u32_e32 v21, vcc, v21, v20, vcc
	v_add_co_u32_e32 v20, vcc, 4, v22
	s_add_u32 s0, s26, -1
	v_addc_co_u32_e32 v21, vcc, 0, v21, vcc
	s_addc_u32 s1, s27, -1
	s_mov_b64 s[2:3], 0
	s_mov_b64 s[36:37], 0
                                        ; implicit-def: $sgpr28_sgpr29
	s_branch .LBB963_196
.LBB963_194:                            ;   in Loop: Header=BB963_196 Depth=1
	global_load_dword v22, v[20:21], off
	global_load_dword v23, v[18:19], off
	v_add_co_u32_e32 v18, vcc, 4, v18
	v_addc_co_u32_e32 v19, vcc, 0, v19, vcc
	v_add_co_u32_e32 v20, vcc, 4, v20
	v_addc_co_u32_e32 v21, vcc, 0, v21, vcc
	s_add_u32 s36, s36, 1
	s_addc_u32 s37, s37, 0
	s_andn2_b64 s[28:29], s[28:29], exec
	s_waitcnt vmcnt(0)
	v_cmp_neq_f32_e32 vcc, v22, v23
	s_and_b64 s[38:39], vcc, exec
	s_or_b64 s[28:29], s[28:29], s[38:39]
.LBB963_195:                            ;   in Loop: Header=BB963_196 Depth=1
	s_and_b64 s[38:39], exec, s[28:29]
	s_or_b64 s[2:3], s[38:39], s[2:3]
	v_pk_mov_b32 v[22:23], s[36:37], s[36:37] op_sel:[0,1]
	s_andn2_b64 exec, exec, s[2:3]
	s_cbranch_execz .LBB963_198
.LBB963_196:                            ; =>This Inner Loop Header: Depth=1
	s_or_b64 s[28:29], s[28:29], exec
	s_cmp_eq_u64 s[0:1], s[36:37]
	s_cbranch_scc0 .LBB963_194
; %bb.197:                              ;   in Loop: Header=BB963_196 Depth=1
                                        ; implicit-def: $vgpr18_vgpr19
                                        ; implicit-def: $vgpr20_vgpr21
	s_mov_b64 s[36:37], s[26:27]
	s_branch .LBB963_195
.LBB963_198:
	s_or_b64 exec, exec, s[2:3]
	v_cmp_gt_i64_e32 vcc, s[26:27], v[22:23]
	s_orn2_b64 s[36:37], vcc, exec
.LBB963_199:
	s_or_b64 exec, exec, s[14:15]
.LBB963_200:
	s_and_b64 s[0:1], s[36:37], exec
.LBB963_201:
	s_or_b64 exec, exec, s[18:19]
	s_and_b64 s[18:19], s[0:1], exec
	s_or_b64 s[12:13], s[12:13], exec
.LBB963_202:
	s_or_b64 exec, exec, s[8:9]
.LBB963_203:
	s_and_saveexec_b64 s[0:1], s[12:13]
; %bb.204:
	v_and_b32_e32 v18, 0xffffff00, v28
	v_cndmask_b32_e64 v19, 0, 1, s[18:19]
	v_or_b32_e32 v18, v19, v18
	v_and_b32_e32 v18, 0xffff, v18
	s_mov_b32 s2, 0xffff0000
	v_and_or_b32 v28, v28, s2, v18
; %bb.205:
	s_or_b64 exec, exec, s[0:1]
	s_andn2_b64 vcc, exec, s[10:11]
	s_cbranch_vccnz .LBB963_207
; %bb.206:
	v_cmp_gt_u32_e32 vcc, s7, v1
	v_cndmask_b32_e32 v18, 0, v28, vcc
	v_or_b32_e32 v19, 1, v1
	v_and_b32_e32 v18, 0xff, v18
	v_cmp_gt_u32_e32 vcc, s7, v19
	v_cndmask_b32_e32 v18, v18, v28, vcc
	v_or_b32_e32 v19, 2, v1
	v_and_b32_e32 v18, 0xffff, v18
	;; [unrolled: 4-line block ×3, first 2 shown]
	v_cmp_gt_u32_e32 vcc, s7, v19
	v_cndmask_b32_e32 v28, v18, v28, vcc
.LBB963_207:
	v_bfe_u32 v30, v28, 16, 8
	v_lshrrev_b32_e32 v29, 24, v28
	v_add_u32_sdwa v18, v28, v28 dst_sel:DWORD dst_unused:UNUSED_PAD src0_sel:BYTE_1 src1_sel:BYTE_0
	v_add3_u32 v33, v18, v30, v29
	v_mbcnt_lo_u32_b32 v18, -1, 0
	v_mbcnt_hi_u32_b32 v31, -1, v18
	v_and_b32_e32 v18, 15, v31
	v_cmp_eq_u32_e64 s[14:15], 0, v18
	v_cmp_lt_u32_e64 s[12:13], 1, v18
	v_cmp_lt_u32_e64 s[10:11], 3, v18
	;; [unrolled: 1-line block ×3, first 2 shown]
	v_and_b32_e32 v18, 16, v31
	v_cmp_eq_u32_e64 s[18:19], 0, v18
	v_or_b32_e32 v18, 63, v0
	v_cmp_lt_u32_e64 s[0:1], 31, v31
	v_lshrrev_b32_e32 v32, 6, v0
	v_cmp_eq_u32_e64 s[2:3], v18, v0
	s_and_b64 vcc, exec, s[16:17]
	s_waitcnt lgkmcnt(0)
	s_barrier
	s_cbranch_vccz .LBB963_234
; %bb.208:
	v_mov_b32_dpp v18, v33 row_shr:1 row_mask:0xf bank_mask:0xf
	v_cndmask_b32_e64 v18, v18, 0, s[14:15]
	v_add_u32_e32 v18, v18, v33
	s_nop 1
	v_mov_b32_dpp v19, v18 row_shr:2 row_mask:0xf bank_mask:0xf
	v_cndmask_b32_e64 v19, 0, v19, s[12:13]
	v_add_u32_e32 v18, v18, v19
	s_nop 1
	;; [unrolled: 4-line block ×4, first 2 shown]
	v_mov_b32_dpp v19, v18 row_bcast:15 row_mask:0xf bank_mask:0xf
	v_cndmask_b32_e64 v19, v19, 0, s[18:19]
	v_add_u32_e32 v18, v18, v19
	s_nop 1
	v_mov_b32_dpp v19, v18 row_bcast:31 row_mask:0xf bank_mask:0xf
	v_cndmask_b32_e64 v19, 0, v19, s[0:1]
	v_add_u32_e32 v18, v18, v19
	s_and_saveexec_b64 s[16:17], s[2:3]
	s_cbranch_execz .LBB963_210
; %bb.209:
	v_lshlrev_b32_e32 v19, 2, v32
	ds_write_b32 v19, v18
.LBB963_210:
	s_or_b64 exec, exec, s[16:17]
	v_cmp_gt_u32_e32 vcc, 2, v0
	s_waitcnt lgkmcnt(0)
	s_barrier
	s_and_saveexec_b64 s[16:17], vcc
	s_cbranch_execz .LBB963_212
; %bb.211:
	ds_read_b32 v19, v1
	v_bfe_i32 v20, v31, 0, 1
	s_waitcnt lgkmcnt(0)
	v_mov_b32_dpp v21, v19 row_shr:1 row_mask:0xf bank_mask:0xf
	v_and_b32_e32 v20, v20, v21
	v_add_u32_e32 v19, v20, v19
	ds_write_b32 v1, v19
.LBB963_212:
	s_or_b64 exec, exec, s[16:17]
	v_cmp_gt_u32_e32 vcc, 64, v0
	v_cmp_lt_u32_e64 s[16:17], 63, v0
	s_waitcnt lgkmcnt(0)
	s_barrier
	s_waitcnt lgkmcnt(0)
                                        ; implicit-def: $vgpr34
	s_and_saveexec_b64 s[26:27], s[16:17]
	s_cbranch_execz .LBB963_214
; %bb.213:
	v_lshl_add_u32 v19, v32, 2, -4
	ds_read_b32 v34, v19
	s_waitcnt lgkmcnt(0)
	v_add_u32_e32 v18, v34, v18
.LBB963_214:
	s_or_b64 exec, exec, s[26:27]
	v_add_u32_e32 v19, -1, v31
	v_and_b32_e32 v20, 64, v31
	v_cmp_lt_i32_e64 s[16:17], v19, v20
	v_cndmask_b32_e64 v19, v19, v31, s[16:17]
	v_lshlrev_b32_e32 v19, 2, v19
	ds_bpermute_b32 v35, v19, v18
	v_cmp_eq_u32_e64 s[16:17], 0, v31
	s_and_saveexec_b64 s[26:27], vcc
	s_cbranch_execz .LBB963_233
; %bb.215:
	v_mov_b32_e32 v25, 0
	ds_read_b32 v18, v25 offset:4
	s_and_saveexec_b64 s[28:29], s[16:17]
	s_cbranch_execz .LBB963_217
; %bb.216:
	s_add_i32 s36, s6, 64
	s_mov_b32 s37, 0
	s_lshl_b64 s[36:37], s[36:37], 3
	s_add_u32 s36, s30, s36
	v_mov_b32_e32 v19, 1
	s_addc_u32 s37, s31, s37
	s_waitcnt lgkmcnt(0)
	global_store_dwordx2 v25, v[18:19], s[36:37]
.LBB963_217:
	s_or_b64 exec, exec, s[28:29]
	v_xad_u32 v20, v31, -1, s6
	v_add_u32_e32 v24, 64, v20
	v_lshlrev_b64 v[22:23], 3, v[24:25]
	v_mov_b32_e32 v19, s31
	v_add_co_u32_e32 v26, vcc, s30, v22
	v_addc_co_u32_e32 v27, vcc, v19, v23, vcc
	global_load_dwordx2 v[22:23], v[26:27], off glc
	s_waitcnt vmcnt(0)
	v_cmp_eq_u16_sdwa s[36:37], v23, v25 src0_sel:BYTE_0 src1_sel:DWORD
	s_and_saveexec_b64 s[28:29], s[36:37]
	s_cbranch_execz .LBB963_221
; %bb.218:
	s_mov_b64 s[36:37], 0
	v_mov_b32_e32 v19, 0
.LBB963_219:                            ; =>This Inner Loop Header: Depth=1
	global_load_dwordx2 v[22:23], v[26:27], off glc
	s_waitcnt vmcnt(0)
	v_cmp_ne_u16_sdwa s[38:39], v23, v19 src0_sel:BYTE_0 src1_sel:DWORD
	s_or_b64 s[36:37], s[38:39], s[36:37]
	s_andn2_b64 exec, exec, s[36:37]
	s_cbranch_execnz .LBB963_219
; %bb.220:
	s_or_b64 exec, exec, s[36:37]
.LBB963_221:
	s_or_b64 exec, exec, s[28:29]
	v_and_b32_e32 v36, 63, v31
	v_mov_b32_e32 v19, 2
	v_cmp_ne_u32_e32 vcc, 63, v36
	v_cmp_eq_u16_sdwa s[28:29], v23, v19 src0_sel:BYTE_0 src1_sel:DWORD
	v_lshlrev_b64 v[24:25], v31, -1
	v_addc_co_u32_e32 v27, vcc, 0, v31, vcc
	v_and_b32_e32 v21, s29, v25
	v_lshlrev_b32_e32 v37, 2, v27
	v_or_b32_e32 v21, 0x80000000, v21
	ds_bpermute_b32 v27, v37, v22
	v_and_b32_e32 v26, s28, v24
	v_ffbl_b32_e32 v21, v21
	v_add_u32_e32 v21, 32, v21
	v_ffbl_b32_e32 v26, v26
	v_min_u32_e32 v21, v26, v21
	v_cmp_lt_u32_e32 vcc, v36, v21
	s_waitcnt lgkmcnt(0)
	v_cndmask_b32_e32 v26, 0, v27, vcc
	v_cmp_gt_u32_e32 vcc, 62, v36
	v_add_u32_e32 v22, v26, v22
	v_cndmask_b32_e64 v26, 0, 1, vcc
	v_lshlrev_b32_e32 v26, 1, v26
	v_add_lshl_u32 v38, v26, v31, 2
	ds_bpermute_b32 v26, v38, v22
	v_add_u32_e32 v39, 2, v36
	v_cmp_le_u32_e32 vcc, v39, v21
	v_add_u32_e32 v41, 4, v36
	v_add_u32_e32 v43, 8, v36
	s_waitcnt lgkmcnt(0)
	v_cndmask_b32_e32 v26, 0, v26, vcc
	v_cmp_gt_u32_e32 vcc, 60, v36
	v_add_u32_e32 v22, v22, v26
	v_cndmask_b32_e64 v26, 0, 1, vcc
	v_lshlrev_b32_e32 v26, 2, v26
	v_add_lshl_u32 v40, v26, v31, 2
	ds_bpermute_b32 v26, v40, v22
	v_cmp_le_u32_e32 vcc, v41, v21
	v_add_u32_e32 v46, 16, v36
	v_add_u32_e32 v48, 32, v36
	s_waitcnt lgkmcnt(0)
	v_cndmask_b32_e32 v26, 0, v26, vcc
	v_cmp_gt_u32_e32 vcc, 56, v36
	v_add_u32_e32 v22, v22, v26
	v_cndmask_b32_e64 v26, 0, 1, vcc
	v_lshlrev_b32_e32 v26, 3, v26
	v_add_lshl_u32 v42, v26, v31, 2
	ds_bpermute_b32 v26, v42, v22
	v_cmp_le_u32_e32 vcc, v43, v21
	s_waitcnt lgkmcnt(0)
	v_cndmask_b32_e32 v26, 0, v26, vcc
	v_cmp_gt_u32_e32 vcc, 48, v36
	v_add_u32_e32 v22, v22, v26
	v_cndmask_b32_e64 v26, 0, 1, vcc
	v_lshlrev_b32_e32 v26, 4, v26
	v_add_lshl_u32 v45, v26, v31, 2
	ds_bpermute_b32 v26, v45, v22
	v_cmp_le_u32_e32 vcc, v46, v21
	;; [unrolled: 9-line block ×3, first 2 shown]
	s_waitcnt lgkmcnt(0)
	v_cndmask_b32_e32 v21, 0, v26, vcc
	v_add_u32_e32 v22, v22, v21
	v_mov_b32_e32 v21, 0
	s_branch .LBB963_223
.LBB963_222:                            ;   in Loop: Header=BB963_223 Depth=1
	s_or_b64 exec, exec, s[28:29]
	v_cmp_eq_u16_sdwa s[28:29], v23, v19 src0_sel:BYTE_0 src1_sel:DWORD
	v_and_b32_e32 v26, s29, v25
	v_or_b32_e32 v26, 0x80000000, v26
	ds_bpermute_b32 v49, v37, v22
	v_and_b32_e32 v27, s28, v24
	v_ffbl_b32_e32 v26, v26
	v_add_u32_e32 v26, 32, v26
	v_ffbl_b32_e32 v27, v27
	v_min_u32_e32 v26, v27, v26
	v_cmp_lt_u32_e32 vcc, v36, v26
	s_waitcnt lgkmcnt(0)
	v_cndmask_b32_e32 v27, 0, v49, vcc
	v_add_u32_e32 v22, v27, v22
	ds_bpermute_b32 v27, v38, v22
	v_cmp_le_u32_e32 vcc, v39, v26
	v_subrev_u32_e32 v20, 64, v20
	s_waitcnt lgkmcnt(0)
	v_cndmask_b32_e32 v27, 0, v27, vcc
	v_add_u32_e32 v22, v22, v27
	ds_bpermute_b32 v27, v40, v22
	v_cmp_le_u32_e32 vcc, v41, v26
	s_waitcnt lgkmcnt(0)
	v_cndmask_b32_e32 v27, 0, v27, vcc
	v_add_u32_e32 v22, v22, v27
	ds_bpermute_b32 v27, v42, v22
	v_cmp_le_u32_e32 vcc, v43, v26
	;; [unrolled: 5-line block ×4, first 2 shown]
	s_waitcnt lgkmcnt(0)
	v_cndmask_b32_e32 v26, 0, v27, vcc
	v_add3_u32 v22, v26, v44, v22
.LBB963_223:                            ; =>This Loop Header: Depth=1
                                        ;     Child Loop BB963_226 Depth 2
	v_cmp_ne_u16_sdwa s[28:29], v23, v19 src0_sel:BYTE_0 src1_sel:DWORD
	v_cndmask_b32_e64 v23, 0, 1, s[28:29]
	;;#ASMSTART
	;;#ASMEND
	v_cmp_ne_u32_e32 vcc, 0, v23
	s_cmp_lg_u64 vcc, exec
	v_mov_b32_e32 v44, v22
	s_cbranch_scc1 .LBB963_228
; %bb.224:                              ;   in Loop: Header=BB963_223 Depth=1
	v_lshlrev_b64 v[22:23], 3, v[20:21]
	v_mov_b32_e32 v27, s31
	v_add_co_u32_e32 v26, vcc, s30, v22
	v_addc_co_u32_e32 v27, vcc, v27, v23, vcc
	global_load_dwordx2 v[22:23], v[26:27], off glc
	s_waitcnt vmcnt(0)
	v_cmp_eq_u16_sdwa s[36:37], v23, v21 src0_sel:BYTE_0 src1_sel:DWORD
	s_and_saveexec_b64 s[28:29], s[36:37]
	s_cbranch_execz .LBB963_222
; %bb.225:                              ;   in Loop: Header=BB963_223 Depth=1
	s_mov_b64 s[36:37], 0
.LBB963_226:                            ;   Parent Loop BB963_223 Depth=1
                                        ; =>  This Inner Loop Header: Depth=2
	global_load_dwordx2 v[22:23], v[26:27], off glc
	s_waitcnt vmcnt(0)
	v_cmp_ne_u16_sdwa s[38:39], v23, v21 src0_sel:BYTE_0 src1_sel:DWORD
	s_or_b64 s[36:37], s[38:39], s[36:37]
	s_andn2_b64 exec, exec, s[36:37]
	s_cbranch_execnz .LBB963_226
; %bb.227:                              ;   in Loop: Header=BB963_223 Depth=1
	s_or_b64 exec, exec, s[36:37]
	s_branch .LBB963_222
.LBB963_228:                            ;   in Loop: Header=BB963_223 Depth=1
                                        ; implicit-def: $vgpr22
                                        ; implicit-def: $vgpr23
	s_cbranch_execz .LBB963_223
; %bb.229:
	s_and_saveexec_b64 s[28:29], s[16:17]
	s_cbranch_execz .LBB963_231
; %bb.230:
	s_add_i32 s6, s6, 64
	s_mov_b32 s7, 0
	s_lshl_b64 s[6:7], s[6:7], 3
	s_add_u32 s6, s30, s6
	v_add_u32_e32 v20, v44, v18
	v_mov_b32_e32 v21, 2
	s_addc_u32 s7, s31, s7
	v_mov_b32_e32 v19, 0
	global_store_dwordx2 v19, v[20:21], s[6:7]
	s_movk_i32 s6, 0x1000
	v_add_u32_e64 v19, s6, 0
	ds_write2_b32 v19, v18, v44 offset0:32 offset1:34
.LBB963_231:
	s_or_b64 exec, exec, s[28:29]
	v_cmp_eq_u32_e32 vcc, 0, v0
	s_and_b64 exec, exec, vcc
	s_cbranch_execz .LBB963_233
; %bb.232:
	v_mov_b32_e32 v18, 0
	ds_write_b32 v18, v44 offset:4
.LBB963_233:
	s_or_b64 exec, exec, s[26:27]
	v_mov_b32_e32 v19, 0
	s_waitcnt lgkmcnt(0)
	s_barrier
	ds_read_b32 v19, v19 offset:4
	s_movk_i32 s6, 0x1000
	v_add_u32_e64 v20, s6, 0
	v_cndmask_b32_e64 v18, v35, v34, s[16:17]
	v_cmp_ne_u32_e32 vcc, 0, v0
	s_waitcnt lgkmcnt(0)
	s_barrier
	ds_read2_b32 v[26:27], v20 offset0:32 offset1:34
	v_cndmask_b32_e32 v18, 0, v18, vcc
	v_add_u32_e32 v24, v19, v18
	v_add_u32_sdwa v22, v24, v28 dst_sel:DWORD dst_unused:UNUSED_PAD src0_sel:DWORD src1_sel:BYTE_0
	v_add_u32_sdwa v20, v22, v28 dst_sel:DWORD dst_unused:UNUSED_PAD src0_sel:DWORD src1_sel:BYTE_1
	v_add_u32_e32 v18, v20, v30
	s_waitcnt lgkmcnt(0)
	v_readfirstlane_b32 s26, v26
	v_readfirstlane_b32 s16, v27
	s_branch .LBB963_244
.LBB963_234:
                                        ; implicit-def: $vgpr18
                                        ; implicit-def: $vgpr20
                                        ; implicit-def: $vgpr22
                                        ; implicit-def: $vgpr24
                                        ; implicit-def: $sgpr16
                                        ; implicit-def: $sgpr26
	s_cbranch_execz .LBB963_244
; %bb.235:
	s_nop 0
	v_mov_b32_dpp v18, v33 row_shr:1 row_mask:0xf bank_mask:0xf
	v_cndmask_b32_e64 v18, v18, 0, s[14:15]
	v_add_u32_e32 v18, v18, v33
	s_nop 1
	v_mov_b32_dpp v19, v18 row_shr:2 row_mask:0xf bank_mask:0xf
	v_cndmask_b32_e64 v19, 0, v19, s[12:13]
	v_add_u32_e32 v18, v18, v19
	;; [unrolled: 4-line block ×4, first 2 shown]
	s_nop 1
	v_mov_b32_dpp v19, v18 row_bcast:15 row_mask:0xf bank_mask:0xf
	v_cndmask_b32_e64 v19, v19, 0, s[18:19]
	v_add_u32_e32 v18, v18, v19
	s_nop 1
	v_mov_b32_dpp v19, v18 row_bcast:31 row_mask:0xf bank_mask:0xf
	v_cndmask_b32_e64 v19, 0, v19, s[0:1]
	v_add_u32_e32 v18, v18, v19
	s_and_saveexec_b64 s[0:1], s[2:3]
	s_cbranch_execz .LBB963_237
; %bb.236:
	v_lshlrev_b32_e32 v19, 2, v32
	ds_write_b32 v19, v18
.LBB963_237:
	s_or_b64 exec, exec, s[0:1]
	v_cmp_gt_u32_e32 vcc, 2, v0
	s_waitcnt lgkmcnt(0)
	s_barrier
	s_and_saveexec_b64 s[0:1], vcc
	s_cbranch_execz .LBB963_239
; %bb.238:
	ds_read_b32 v19, v1
	v_bfe_i32 v20, v31, 0, 1
	s_waitcnt lgkmcnt(0)
	v_mov_b32_dpp v21, v19 row_shr:1 row_mask:0xf bank_mask:0xf
	v_and_b32_e32 v20, v20, v21
	v_add_u32_e32 v19, v20, v19
	ds_write_b32 v1, v19
.LBB963_239:
	s_or_b64 exec, exec, s[0:1]
	v_cmp_lt_u32_e32 vcc, 63, v0
	v_mov_b32_e32 v19, 0
	v_mov_b32_e32 v1, 0
	s_waitcnt lgkmcnt(0)
	s_barrier
	s_and_saveexec_b64 s[0:1], vcc
	s_cbranch_execz .LBB963_241
; %bb.240:
	v_lshl_add_u32 v1, v32, 2, -4
	ds_read_b32 v1, v1
.LBB963_241:
	s_or_b64 exec, exec, s[0:1]
	v_add_u32_e32 v20, -1, v31
	v_and_b32_e32 v21, 64, v31
	v_cmp_lt_i32_e32 vcc, v20, v21
	v_cndmask_b32_e32 v20, v20, v31, vcc
	s_waitcnt lgkmcnt(0)
	v_add_u32_e32 v18, v1, v18
	v_lshlrev_b32_e32 v20, 2, v20
	ds_read_b32 v19, v19 offset:4
	ds_bpermute_b32 v18, v20, v18
	s_mov_b32 s16, 0
	v_cmp_eq_u32_e32 vcc, 0, v0
	s_waitcnt lgkmcnt(1)
	v_readfirstlane_b32 s26, v19
	s_and_saveexec_b64 s[0:1], vcc
	s_cbranch_execz .LBB963_243
; %bb.242:
	v_mov_b32_e32 v19, 0
	v_mov_b32_e32 v20, s26
	;; [unrolled: 1-line block ×3, first 2 shown]
	global_store_dwordx2 v19, v[20:21], s[30:31] offset:512
.LBB963_243:
	s_or_b64 exec, exec, s[0:1]
	v_cmp_eq_u32_e64 s[0:1], 0, v31
	s_waitcnt lgkmcnt(0)
	v_cndmask_b32_e64 v1, v18, v1, s[0:1]
	v_cndmask_b32_e64 v24, v1, 0, vcc
	v_add_u32_sdwa v22, v24, v28 dst_sel:DWORD dst_unused:UNUSED_PAD src0_sel:DWORD src1_sel:BYTE_0
	v_add_u32_sdwa v20, v22, v28 dst_sel:DWORD dst_unused:UNUSED_PAD src0_sel:DWORD src1_sel:BYTE_1
	v_add_u32_e32 v18, v20, v30
	s_barrier
.LBB963_244:
	s_load_dwordx4 s[4:7], s[4:5], 0x28
	s_cmpk_lt_u32 s26, 0x81
	s_cselect_b64 s[2:3], -1, 0
	v_lshrrev_b32_e32 v1, 8, v28
	s_mov_b64 s[0:1], -1
	s_and_b64 vcc, exec, s[2:3]
	s_cbranch_vccz .LBB963_258
; %bb.245:
	s_add_i32 s8, s16, s26
	v_cmp_gt_u32_e32 vcc, s8, v24
	s_or_b64 s[10:11], s[34:35], vcc
	s_and_saveexec_b64 s[0:1], s[10:11]
	s_cbranch_execz .LBB963_248
; %bb.246:
	v_and_b32_e32 v19, 1, v28
	v_cmp_eq_u32_e32 vcc, 1, v19
	s_and_b64 exec, exec, vcc
	s_cbranch_execz .LBB963_248
; %bb.247:
	s_lshl_b64 s[10:11], s[22:23], 3
	s_waitcnt lgkmcnt(0)
	s_add_u32 s9, s4, s10
	v_mov_b32_e32 v25, 0
	s_addc_u32 s10, s5, s11
	v_lshlrev_b64 v[26:27], 3, v[24:25]
	v_mov_b32_e32 v19, s10
	v_add_co_u32_e32 v26, vcc, s9, v26
	v_addc_co_u32_e32 v27, vcc, v19, v27, vcc
	global_store_dwordx2 v[26:27], v[14:15], off
.LBB963_248:
	s_or_b64 exec, exec, s[0:1]
	v_cmp_gt_u32_e32 vcc, s8, v22
	s_or_b64 s[10:11], s[34:35], vcc
	s_and_saveexec_b64 s[0:1], s[10:11]
	s_cbranch_execz .LBB963_251
; %bb.249:
	v_and_b32_e32 v19, 1, v1
	v_cmp_eq_u32_e32 vcc, 1, v19
	s_and_b64 exec, exec, vcc
	s_cbranch_execz .LBB963_251
; %bb.250:
	s_lshl_b64 s[10:11], s[22:23], 3
	s_waitcnt lgkmcnt(0)
	s_add_u32 s9, s4, s10
	v_mov_b32_e32 v23, 0
	s_addc_u32 s10, s5, s11
	v_lshlrev_b64 v[26:27], 3, v[22:23]
	v_mov_b32_e32 v19, s10
	v_add_co_u32_e32 v26, vcc, s9, v26
	v_addc_co_u32_e32 v27, vcc, v19, v27, vcc
	global_store_dwordx2 v[26:27], v[16:17], off
.LBB963_251:
	s_or_b64 exec, exec, s[0:1]
	v_cmp_gt_u32_e32 vcc, s8, v20
	s_or_b64 s[10:11], s[34:35], vcc
	s_and_saveexec_b64 s[0:1], s[10:11]
	s_cbranch_execz .LBB963_254
; %bb.252:
	v_mov_b32_e32 v19, 1
	v_and_b32_sdwa v19, v19, v28 dst_sel:DWORD dst_unused:UNUSED_PAD src0_sel:DWORD src1_sel:WORD_1
	v_cmp_eq_u32_e32 vcc, 1, v19
	s_and_b64 exec, exec, vcc
	s_cbranch_execz .LBB963_254
; %bb.253:
	s_lshl_b64 s[10:11], s[22:23], 3
	s_waitcnt lgkmcnt(0)
	s_add_u32 s9, s4, s10
	v_mov_b32_e32 v21, 0
	s_addc_u32 s10, s5, s11
	v_lshlrev_b64 v[26:27], 3, v[20:21]
	v_mov_b32_e32 v19, s10
	v_add_co_u32_e32 v26, vcc, s9, v26
	v_addc_co_u32_e32 v27, vcc, v19, v27, vcc
	global_store_dwordx2 v[26:27], v[10:11], off
.LBB963_254:
	s_or_b64 exec, exec, s[0:1]
	v_cmp_gt_u32_e32 vcc, s8, v18
	s_or_b64 s[8:9], s[34:35], vcc
	s_and_saveexec_b64 s[0:1], s[8:9]
	s_cbranch_execz .LBB963_257
; %bb.255:
	v_and_b32_e32 v19, 1, v29
	v_cmp_eq_u32_e32 vcc, 1, v19
	s_and_b64 exec, exec, vcc
	s_cbranch_execz .LBB963_257
; %bb.256:
	s_lshl_b64 s[8:9], s[22:23], 3
	s_waitcnt lgkmcnt(0)
	s_add_u32 s8, s4, s8
	v_mov_b32_e32 v19, 0
	s_addc_u32 s9, s5, s9
	v_lshlrev_b64 v[26:27], 3, v[18:19]
	v_mov_b32_e32 v19, s9
	v_add_co_u32_e32 v26, vcc, s8, v26
	v_addc_co_u32_e32 v27, vcc, v19, v27, vcc
	global_store_dwordx2 v[26:27], v[12:13], off
.LBB963_257:
	s_or_b64 exec, exec, s[0:1]
	s_mov_b64 s[0:1], 0
.LBB963_258:
	v_and_b32_e32 v26, 1, v28
	s_and_b64 vcc, exec, s[0:1]
	v_cmp_eq_u32_e64 s[0:1], 1, v26
	s_cbranch_vccz .LBB963_271
; %bb.259:
	s_and_saveexec_b64 s[8:9], s[0:1]
	s_cbranch_execz .LBB963_261
; %bb.260:
	v_subrev_u32_e32 v19, s16, v24
	v_lshlrev_b32_e32 v19, 3, v19
	ds_write_b64 v19, v[14:15]
.LBB963_261:
	s_or_b64 exec, exec, s[8:9]
	v_and_b32_e32 v14, 1, v1
	v_cmp_eq_u32_e32 vcc, 1, v14
	s_and_saveexec_b64 s[0:1], vcc
	s_cbranch_execz .LBB963_263
; %bb.262:
	v_subrev_u32_e32 v14, s16, v22
	v_lshlrev_b32_e32 v14, 3, v14
	ds_write_b64 v14, v[16:17]
.LBB963_263:
	s_or_b64 exec, exec, s[0:1]
	v_mov_b32_e32 v14, 1
	v_and_b32_sdwa v14, v14, v28 dst_sel:DWORD dst_unused:UNUSED_PAD src0_sel:DWORD src1_sel:WORD_1
	v_cmp_eq_u32_e32 vcc, 1, v14
	s_and_saveexec_b64 s[0:1], vcc
	s_cbranch_execz .LBB963_265
; %bb.264:
	v_subrev_u32_e32 v14, s16, v20
	v_lshlrev_b32_e32 v14, 3, v14
	ds_write_b64 v14, v[10:11]
.LBB963_265:
	s_or_b64 exec, exec, s[0:1]
	v_and_b32_e32 v10, 1, v29
	v_cmp_eq_u32_e32 vcc, 1, v10
	s_and_saveexec_b64 s[0:1], vcc
	s_cbranch_execz .LBB963_267
; %bb.266:
	v_subrev_u32_e32 v10, s16, v18
	v_lshlrev_b32_e32 v10, 3, v10
	ds_write_b64 v10, v[12:13]
.LBB963_267:
	s_or_b64 exec, exec, s[0:1]
	v_cmp_gt_u32_e32 vcc, s26, v0
	s_waitcnt lgkmcnt(0)
	s_barrier
	s_and_saveexec_b64 s[0:1], vcc
	s_cbranch_execz .LBB963_270
; %bb.268:
	s_mov_b32 s17, 0
	s_lshl_b64 s[8:9], s[16:17], 3
	s_add_u32 s8, s4, s8
	s_addc_u32 s9, s5, s9
	s_lshl_b64 s[4:5], s[22:23], 3
	s_add_u32 s8, s8, s4
	s_addc_u32 s9, s9, s5
	v_lshlrev_b32_e32 v12, 3, v0
	s_mov_b64 s[4:5], 0
	v_mov_b32_e32 v11, 0
	v_mov_b32_e32 v13, s9
	;; [unrolled: 1-line block ×3, first 2 shown]
.LBB963_269:                            ; =>This Inner Loop Header: Depth=1
	ds_read_b64 v[14:15], v12
	v_lshlrev_b64 v[16:17], 3, v[10:11]
	v_add_co_u32_e32 v16, vcc, s8, v16
	v_add_u32_e32 v10, 0x80, v10
	v_addc_co_u32_e32 v17, vcc, v13, v17, vcc
	v_cmp_le_u32_e32 vcc, s26, v10
	v_add_u32_e32 v12, 0x400, v12
	s_or_b64 s[4:5], vcc, s[4:5]
	s_waitcnt lgkmcnt(0)
	global_store_dwordx2 v[16:17], v[14:15], off
	s_andn2_b64 exec, exec, s[4:5]
	s_cbranch_execnz .LBB963_269
.LBB963_270:
	s_or_b64 exec, exec, s[0:1]
.LBB963_271:
	s_mov_b64 s[0:1], -1
	s_and_b64 vcc, exec, s[2:3]
	s_waitcnt lgkmcnt(0)
	s_barrier
	s_cbranch_vccnz .LBB963_275
; %bb.272:
	s_and_b64 vcc, exec, s[0:1]
	s_cbranch_vccnz .LBB963_288
.LBB963_273:
	v_cmp_eq_u32_e32 vcc, 0, v0
	s_and_b64 s[0:1], vcc, s[24:25]
	s_and_saveexec_b64 s[2:3], s[0:1]
	s_cbranch_execnz .LBB963_300
.LBB963_274:
	s_endpgm
.LBB963_275:
	s_add_i32 s2, s16, s26
	v_cmp_gt_u32_e32 vcc, s2, v24
	s_or_b64 s[4:5], s[34:35], vcc
	s_and_saveexec_b64 s[0:1], s[4:5]
	s_cbranch_execz .LBB963_278
; %bb.276:
	v_cmp_eq_u32_e32 vcc, 1, v26
	s_and_b64 exec, exec, vcc
	s_cbranch_execz .LBB963_278
; %bb.277:
	s_lshl_b64 s[4:5], s[22:23], 3
	s_add_u32 s3, s6, s4
	v_mov_b32_e32 v25, 0
	s_addc_u32 s4, s7, s5
	v_lshlrev_b64 v[10:11], 3, v[24:25]
	v_mov_b32_e32 v12, s4
	v_add_co_u32_e32 v10, vcc, s3, v10
	v_addc_co_u32_e32 v11, vcc, v12, v11, vcc
	global_store_dwordx2 v[10:11], v[6:7], off
.LBB963_278:
	s_or_b64 exec, exec, s[0:1]
	v_cmp_gt_u32_e32 vcc, s2, v22
	s_or_b64 s[4:5], s[34:35], vcc
	s_and_saveexec_b64 s[0:1], s[4:5]
	s_cbranch_execz .LBB963_281
; %bb.279:
	v_and_b32_e32 v10, 1, v1
	v_cmp_eq_u32_e32 vcc, 1, v10
	s_and_b64 exec, exec, vcc
	s_cbranch_execz .LBB963_281
; %bb.280:
	s_lshl_b64 s[4:5], s[22:23], 3
	s_add_u32 s3, s6, s4
	v_mov_b32_e32 v23, 0
	s_addc_u32 s4, s7, s5
	v_lshlrev_b64 v[10:11], 3, v[22:23]
	v_mov_b32_e32 v12, s4
	v_add_co_u32_e32 v10, vcc, s3, v10
	v_addc_co_u32_e32 v11, vcc, v12, v11, vcc
	global_store_dwordx2 v[10:11], v[8:9], off
.LBB963_281:
	s_or_b64 exec, exec, s[0:1]
	v_cmp_gt_u32_e32 vcc, s2, v20
	s_or_b64 s[4:5], s[34:35], vcc
	s_and_saveexec_b64 s[0:1], s[4:5]
	s_cbranch_execz .LBB963_284
; %bb.282:
	v_mov_b32_e32 v10, 1
	v_and_b32_sdwa v10, v10, v28 dst_sel:DWORD dst_unused:UNUSED_PAD src0_sel:DWORD src1_sel:WORD_1
	v_cmp_eq_u32_e32 vcc, 1, v10
	s_and_b64 exec, exec, vcc
	s_cbranch_execz .LBB963_284
; %bb.283:
	s_lshl_b64 s[4:5], s[22:23], 3
	s_add_u32 s3, s6, s4
	v_mov_b32_e32 v21, 0
	s_addc_u32 s4, s7, s5
	v_lshlrev_b64 v[10:11], 3, v[20:21]
	v_mov_b32_e32 v12, s4
	v_add_co_u32_e32 v10, vcc, s3, v10
	v_addc_co_u32_e32 v11, vcc, v12, v11, vcc
	global_store_dwordx2 v[10:11], v[2:3], off
.LBB963_284:
	s_or_b64 exec, exec, s[0:1]
	v_cmp_gt_u32_e32 vcc, s2, v18
	s_or_b64 s[2:3], s[34:35], vcc
	s_and_saveexec_b64 s[0:1], s[2:3]
	s_cbranch_execz .LBB963_287
; %bb.285:
	v_and_b32_e32 v10, 1, v29
	v_cmp_eq_u32_e32 vcc, 1, v10
	s_and_b64 exec, exec, vcc
	s_cbranch_execz .LBB963_287
; %bb.286:
	s_lshl_b64 s[2:3], s[22:23], 3
	s_add_u32 s2, s6, s2
	v_mov_b32_e32 v19, 0
	s_addc_u32 s3, s7, s3
	v_lshlrev_b64 v[10:11], 3, v[18:19]
	v_mov_b32_e32 v12, s3
	v_add_co_u32_e32 v10, vcc, s2, v10
	v_addc_co_u32_e32 v11, vcc, v12, v11, vcc
	global_store_dwordx2 v[10:11], v[4:5], off
.LBB963_287:
	s_or_b64 exec, exec, s[0:1]
	s_branch .LBB963_273
.LBB963_288:
	v_cmp_eq_u32_e32 vcc, 1, v26
	s_and_saveexec_b64 s[0:1], vcc
	s_cbranch_execz .LBB963_290
; %bb.289:
	v_subrev_u32_e32 v10, s16, v24
	v_lshlrev_b32_e32 v10, 3, v10
	ds_write_b64 v10, v[6:7]
.LBB963_290:
	s_or_b64 exec, exec, s[0:1]
	v_and_b32_e32 v1, 1, v1
	v_cmp_eq_u32_e32 vcc, 1, v1
	s_and_saveexec_b64 s[0:1], vcc
	s_cbranch_execz .LBB963_292
; %bb.291:
	v_subrev_u32_e32 v1, s16, v22
	v_lshlrev_b32_e32 v1, 3, v1
	ds_write_b64 v1, v[8:9]
.LBB963_292:
	s_or_b64 exec, exec, s[0:1]
	v_mov_b32_e32 v1, 1
	v_and_b32_sdwa v1, v1, v28 dst_sel:DWORD dst_unused:UNUSED_PAD src0_sel:DWORD src1_sel:WORD_1
	v_cmp_eq_u32_e32 vcc, 1, v1
	s_and_saveexec_b64 s[0:1], vcc
	s_cbranch_execz .LBB963_294
; %bb.293:
	v_subrev_u32_e32 v1, s16, v20
	v_lshlrev_b32_e32 v1, 3, v1
	ds_write_b64 v1, v[2:3]
.LBB963_294:
	s_or_b64 exec, exec, s[0:1]
	v_and_b32_e32 v1, 1, v29
	v_cmp_eq_u32_e32 vcc, 1, v1
	s_and_saveexec_b64 s[0:1], vcc
	s_cbranch_execz .LBB963_296
; %bb.295:
	v_subrev_u32_e32 v1, s16, v18
	v_lshlrev_b32_e32 v1, 3, v1
	ds_write_b64 v1, v[4:5]
.LBB963_296:
	s_or_b64 exec, exec, s[0:1]
	v_cmp_gt_u32_e32 vcc, s26, v0
	s_waitcnt lgkmcnt(0)
	s_barrier
	s_and_saveexec_b64 s[0:1], vcc
	s_cbranch_execz .LBB963_299
; %bb.297:
	s_mov_b32 s17, 0
	s_lshl_b64 s[2:3], s[16:17], 3
	s_add_u32 s4, s6, s2
	s_addc_u32 s5, s7, s3
	s_lshl_b64 s[2:3], s[22:23], 3
	s_add_u32 s4, s4, s2
	s_addc_u32 s5, s5, s3
	v_lshlrev_b32_e32 v1, 3, v0
	s_mov_b64 s[2:3], 0
	v_mov_b32_e32 v3, 0
	v_mov_b32_e32 v4, s5
	;; [unrolled: 1-line block ×3, first 2 shown]
.LBB963_298:                            ; =>This Inner Loop Header: Depth=1
	ds_read_b64 v[6:7], v1
	v_lshlrev_b64 v[8:9], 3, v[2:3]
	v_add_co_u32_e32 v8, vcc, s4, v8
	v_add_u32_e32 v2, 0x80, v2
	v_addc_co_u32_e32 v9, vcc, v4, v9, vcc
	v_cmp_le_u32_e32 vcc, s26, v2
	v_add_u32_e32 v1, 0x400, v1
	s_or_b64 s[2:3], vcc, s[2:3]
	s_waitcnt lgkmcnt(0)
	global_store_dwordx2 v[8:9], v[6:7], off
	s_andn2_b64 exec, exec, s[2:3]
	s_cbranch_execnz .LBB963_298
.LBB963_299:
	s_or_b64 exec, exec, s[0:1]
	v_cmp_eq_u32_e32 vcc, 0, v0
	s_and_b64 s[0:1], vcc, s[24:25]
	s_and_saveexec_b64 s[2:3], s[0:1]
	s_cbranch_execz .LBB963_274
.LBB963_300:
	s_add_u32 s0, s22, s26
	s_addc_u32 s1, s23, 0
	s_add_u32 s0, s0, s16
	s_addc_u32 s1, s1, 0
	v_mov_b32_e32 v2, 0
	v_pk_mov_b32 v[0:1], s[0:1], s[0:1] op_sel:[0,1]
	global_store_dwordx2 v2, v[0:1], s[20:21]
	s_endpgm
	.section	.rodata,"a",@progbits
	.p2align	6, 0x0
	.amdhsa_kernel _ZN7rocprim17ROCPRIM_400000_NS6detail17trampoline_kernelINS0_14default_configENS1_25partition_config_selectorILNS1_17partition_subalgoE9EllbEEZZNS1_14partition_implILS5_9ELb0ES3_jPlS8_PNS0_10empty_typeENS0_5tupleIJS8_S9_EEENSB_IJS8_SA_EEENS0_18inequality_wrapperIZN2at6native12_GLOBAL__N_124unique_dim_cuda_templateIfEESt5tupleIJNSF_6TensorESK_SK_EERKSK_lbbbEUlllE0_EEPmJS9_EEE10hipError_tPvRmT3_T4_T5_T6_T7_T9_mT8_P12ihipStream_tbDpT10_ENKUlT_T0_E_clISt17integral_constantIbLb0EES1A_EEDaS15_S16_EUlS15_E_NS1_11comp_targetILNS1_3genE4ELNS1_11target_archE910ELNS1_3gpuE8ELNS1_3repE0EEENS1_30default_config_static_selectorELNS0_4arch9wavefront6targetE1EEEvT1_
		.amdhsa_group_segment_fixed_size 4236
		.amdhsa_private_segment_fixed_size 0
		.amdhsa_kernarg_size 120
		.amdhsa_user_sgpr_count 6
		.amdhsa_user_sgpr_private_segment_buffer 1
		.amdhsa_user_sgpr_dispatch_ptr 0
		.amdhsa_user_sgpr_queue_ptr 0
		.amdhsa_user_sgpr_kernarg_segment_ptr 1
		.amdhsa_user_sgpr_dispatch_id 0
		.amdhsa_user_sgpr_flat_scratch_init 0
		.amdhsa_user_sgpr_kernarg_preload_length 0
		.amdhsa_user_sgpr_kernarg_preload_offset 0
		.amdhsa_user_sgpr_private_segment_size 0
		.amdhsa_uses_dynamic_stack 0
		.amdhsa_system_sgpr_private_segment_wavefront_offset 0
		.amdhsa_system_sgpr_workgroup_id_x 1
		.amdhsa_system_sgpr_workgroup_id_y 0
		.amdhsa_system_sgpr_workgroup_id_z 0
		.amdhsa_system_sgpr_workgroup_info 0
		.amdhsa_system_vgpr_workitem_id 0
		.amdhsa_next_free_vgpr 50
		.amdhsa_next_free_sgpr 46
		.amdhsa_accum_offset 52
		.amdhsa_reserve_vcc 1
		.amdhsa_reserve_flat_scratch 0
		.amdhsa_float_round_mode_32 0
		.amdhsa_float_round_mode_16_64 0
		.amdhsa_float_denorm_mode_32 3
		.amdhsa_float_denorm_mode_16_64 3
		.amdhsa_dx10_clamp 1
		.amdhsa_ieee_mode 1
		.amdhsa_fp16_overflow 0
		.amdhsa_tg_split 0
		.amdhsa_exception_fp_ieee_invalid_op 0
		.amdhsa_exception_fp_denorm_src 0
		.amdhsa_exception_fp_ieee_div_zero 0
		.amdhsa_exception_fp_ieee_overflow 0
		.amdhsa_exception_fp_ieee_underflow 0
		.amdhsa_exception_fp_ieee_inexact 0
		.amdhsa_exception_int_div_zero 0
	.end_amdhsa_kernel
	.section	.text._ZN7rocprim17ROCPRIM_400000_NS6detail17trampoline_kernelINS0_14default_configENS1_25partition_config_selectorILNS1_17partition_subalgoE9EllbEEZZNS1_14partition_implILS5_9ELb0ES3_jPlS8_PNS0_10empty_typeENS0_5tupleIJS8_S9_EEENSB_IJS8_SA_EEENS0_18inequality_wrapperIZN2at6native12_GLOBAL__N_124unique_dim_cuda_templateIfEESt5tupleIJNSF_6TensorESK_SK_EERKSK_lbbbEUlllE0_EEPmJS9_EEE10hipError_tPvRmT3_T4_T5_T6_T7_T9_mT8_P12ihipStream_tbDpT10_ENKUlT_T0_E_clISt17integral_constantIbLb0EES1A_EEDaS15_S16_EUlS15_E_NS1_11comp_targetILNS1_3genE4ELNS1_11target_archE910ELNS1_3gpuE8ELNS1_3repE0EEENS1_30default_config_static_selectorELNS0_4arch9wavefront6targetE1EEEvT1_,"axG",@progbits,_ZN7rocprim17ROCPRIM_400000_NS6detail17trampoline_kernelINS0_14default_configENS1_25partition_config_selectorILNS1_17partition_subalgoE9EllbEEZZNS1_14partition_implILS5_9ELb0ES3_jPlS8_PNS0_10empty_typeENS0_5tupleIJS8_S9_EEENSB_IJS8_SA_EEENS0_18inequality_wrapperIZN2at6native12_GLOBAL__N_124unique_dim_cuda_templateIfEESt5tupleIJNSF_6TensorESK_SK_EERKSK_lbbbEUlllE0_EEPmJS9_EEE10hipError_tPvRmT3_T4_T5_T6_T7_T9_mT8_P12ihipStream_tbDpT10_ENKUlT_T0_E_clISt17integral_constantIbLb0EES1A_EEDaS15_S16_EUlS15_E_NS1_11comp_targetILNS1_3genE4ELNS1_11target_archE910ELNS1_3gpuE8ELNS1_3repE0EEENS1_30default_config_static_selectorELNS0_4arch9wavefront6targetE1EEEvT1_,comdat
.Lfunc_end963:
	.size	_ZN7rocprim17ROCPRIM_400000_NS6detail17trampoline_kernelINS0_14default_configENS1_25partition_config_selectorILNS1_17partition_subalgoE9EllbEEZZNS1_14partition_implILS5_9ELb0ES3_jPlS8_PNS0_10empty_typeENS0_5tupleIJS8_S9_EEENSB_IJS8_SA_EEENS0_18inequality_wrapperIZN2at6native12_GLOBAL__N_124unique_dim_cuda_templateIfEESt5tupleIJNSF_6TensorESK_SK_EERKSK_lbbbEUlllE0_EEPmJS9_EEE10hipError_tPvRmT3_T4_T5_T6_T7_T9_mT8_P12ihipStream_tbDpT10_ENKUlT_T0_E_clISt17integral_constantIbLb0EES1A_EEDaS15_S16_EUlS15_E_NS1_11comp_targetILNS1_3genE4ELNS1_11target_archE910ELNS1_3gpuE8ELNS1_3repE0EEENS1_30default_config_static_selectorELNS0_4arch9wavefront6targetE1EEEvT1_, .Lfunc_end963-_ZN7rocprim17ROCPRIM_400000_NS6detail17trampoline_kernelINS0_14default_configENS1_25partition_config_selectorILNS1_17partition_subalgoE9EllbEEZZNS1_14partition_implILS5_9ELb0ES3_jPlS8_PNS0_10empty_typeENS0_5tupleIJS8_S9_EEENSB_IJS8_SA_EEENS0_18inequality_wrapperIZN2at6native12_GLOBAL__N_124unique_dim_cuda_templateIfEESt5tupleIJNSF_6TensorESK_SK_EERKSK_lbbbEUlllE0_EEPmJS9_EEE10hipError_tPvRmT3_T4_T5_T6_T7_T9_mT8_P12ihipStream_tbDpT10_ENKUlT_T0_E_clISt17integral_constantIbLb0EES1A_EEDaS15_S16_EUlS15_E_NS1_11comp_targetILNS1_3genE4ELNS1_11target_archE910ELNS1_3gpuE8ELNS1_3repE0EEENS1_30default_config_static_selectorELNS0_4arch9wavefront6targetE1EEEvT1_
                                        ; -- End function
	.section	.AMDGPU.csdata,"",@progbits
; Kernel info:
; codeLenInByte = 10796
; NumSgprs: 50
; NumVgprs: 50
; NumAgprs: 0
; TotalNumVgprs: 50
; ScratchSize: 0
; MemoryBound: 0
; FloatMode: 240
; IeeeMode: 1
; LDSByteSize: 4236 bytes/workgroup (compile time only)
; SGPRBlocks: 6
; VGPRBlocks: 6
; NumSGPRsForWavesPerEU: 50
; NumVGPRsForWavesPerEU: 50
; AccumOffset: 52
; Occupancy: 8
; WaveLimiterHint : 1
; COMPUTE_PGM_RSRC2:SCRATCH_EN: 0
; COMPUTE_PGM_RSRC2:USER_SGPR: 6
; COMPUTE_PGM_RSRC2:TRAP_HANDLER: 0
; COMPUTE_PGM_RSRC2:TGID_X_EN: 1
; COMPUTE_PGM_RSRC2:TGID_Y_EN: 0
; COMPUTE_PGM_RSRC2:TGID_Z_EN: 0
; COMPUTE_PGM_RSRC2:TIDIG_COMP_CNT: 0
; COMPUTE_PGM_RSRC3_GFX90A:ACCUM_OFFSET: 12
; COMPUTE_PGM_RSRC3_GFX90A:TG_SPLIT: 0
	.section	.text._ZN7rocprim17ROCPRIM_400000_NS6detail17trampoline_kernelINS0_14default_configENS1_25partition_config_selectorILNS1_17partition_subalgoE9EllbEEZZNS1_14partition_implILS5_9ELb0ES3_jPlS8_PNS0_10empty_typeENS0_5tupleIJS8_S9_EEENSB_IJS8_SA_EEENS0_18inequality_wrapperIZN2at6native12_GLOBAL__N_124unique_dim_cuda_templateIfEESt5tupleIJNSF_6TensorESK_SK_EERKSK_lbbbEUlllE0_EEPmJS9_EEE10hipError_tPvRmT3_T4_T5_T6_T7_T9_mT8_P12ihipStream_tbDpT10_ENKUlT_T0_E_clISt17integral_constantIbLb0EES1A_EEDaS15_S16_EUlS15_E_NS1_11comp_targetILNS1_3genE3ELNS1_11target_archE908ELNS1_3gpuE7ELNS1_3repE0EEENS1_30default_config_static_selectorELNS0_4arch9wavefront6targetE1EEEvT1_,"axG",@progbits,_ZN7rocprim17ROCPRIM_400000_NS6detail17trampoline_kernelINS0_14default_configENS1_25partition_config_selectorILNS1_17partition_subalgoE9EllbEEZZNS1_14partition_implILS5_9ELb0ES3_jPlS8_PNS0_10empty_typeENS0_5tupleIJS8_S9_EEENSB_IJS8_SA_EEENS0_18inequality_wrapperIZN2at6native12_GLOBAL__N_124unique_dim_cuda_templateIfEESt5tupleIJNSF_6TensorESK_SK_EERKSK_lbbbEUlllE0_EEPmJS9_EEE10hipError_tPvRmT3_T4_T5_T6_T7_T9_mT8_P12ihipStream_tbDpT10_ENKUlT_T0_E_clISt17integral_constantIbLb0EES1A_EEDaS15_S16_EUlS15_E_NS1_11comp_targetILNS1_3genE3ELNS1_11target_archE908ELNS1_3gpuE7ELNS1_3repE0EEENS1_30default_config_static_selectorELNS0_4arch9wavefront6targetE1EEEvT1_,comdat
	.globl	_ZN7rocprim17ROCPRIM_400000_NS6detail17trampoline_kernelINS0_14default_configENS1_25partition_config_selectorILNS1_17partition_subalgoE9EllbEEZZNS1_14partition_implILS5_9ELb0ES3_jPlS8_PNS0_10empty_typeENS0_5tupleIJS8_S9_EEENSB_IJS8_SA_EEENS0_18inequality_wrapperIZN2at6native12_GLOBAL__N_124unique_dim_cuda_templateIfEESt5tupleIJNSF_6TensorESK_SK_EERKSK_lbbbEUlllE0_EEPmJS9_EEE10hipError_tPvRmT3_T4_T5_T6_T7_T9_mT8_P12ihipStream_tbDpT10_ENKUlT_T0_E_clISt17integral_constantIbLb0EES1A_EEDaS15_S16_EUlS15_E_NS1_11comp_targetILNS1_3genE3ELNS1_11target_archE908ELNS1_3gpuE7ELNS1_3repE0EEENS1_30default_config_static_selectorELNS0_4arch9wavefront6targetE1EEEvT1_ ; -- Begin function _ZN7rocprim17ROCPRIM_400000_NS6detail17trampoline_kernelINS0_14default_configENS1_25partition_config_selectorILNS1_17partition_subalgoE9EllbEEZZNS1_14partition_implILS5_9ELb0ES3_jPlS8_PNS0_10empty_typeENS0_5tupleIJS8_S9_EEENSB_IJS8_SA_EEENS0_18inequality_wrapperIZN2at6native12_GLOBAL__N_124unique_dim_cuda_templateIfEESt5tupleIJNSF_6TensorESK_SK_EERKSK_lbbbEUlllE0_EEPmJS9_EEE10hipError_tPvRmT3_T4_T5_T6_T7_T9_mT8_P12ihipStream_tbDpT10_ENKUlT_T0_E_clISt17integral_constantIbLb0EES1A_EEDaS15_S16_EUlS15_E_NS1_11comp_targetILNS1_3genE3ELNS1_11target_archE908ELNS1_3gpuE7ELNS1_3repE0EEENS1_30default_config_static_selectorELNS0_4arch9wavefront6targetE1EEEvT1_
	.p2align	8
	.type	_ZN7rocprim17ROCPRIM_400000_NS6detail17trampoline_kernelINS0_14default_configENS1_25partition_config_selectorILNS1_17partition_subalgoE9EllbEEZZNS1_14partition_implILS5_9ELb0ES3_jPlS8_PNS0_10empty_typeENS0_5tupleIJS8_S9_EEENSB_IJS8_SA_EEENS0_18inequality_wrapperIZN2at6native12_GLOBAL__N_124unique_dim_cuda_templateIfEESt5tupleIJNSF_6TensorESK_SK_EERKSK_lbbbEUlllE0_EEPmJS9_EEE10hipError_tPvRmT3_T4_T5_T6_T7_T9_mT8_P12ihipStream_tbDpT10_ENKUlT_T0_E_clISt17integral_constantIbLb0EES1A_EEDaS15_S16_EUlS15_E_NS1_11comp_targetILNS1_3genE3ELNS1_11target_archE908ELNS1_3gpuE7ELNS1_3repE0EEENS1_30default_config_static_selectorELNS0_4arch9wavefront6targetE1EEEvT1_,@function
_ZN7rocprim17ROCPRIM_400000_NS6detail17trampoline_kernelINS0_14default_configENS1_25partition_config_selectorILNS1_17partition_subalgoE9EllbEEZZNS1_14partition_implILS5_9ELb0ES3_jPlS8_PNS0_10empty_typeENS0_5tupleIJS8_S9_EEENSB_IJS8_SA_EEENS0_18inequality_wrapperIZN2at6native12_GLOBAL__N_124unique_dim_cuda_templateIfEESt5tupleIJNSF_6TensorESK_SK_EERKSK_lbbbEUlllE0_EEPmJS9_EEE10hipError_tPvRmT3_T4_T5_T6_T7_T9_mT8_P12ihipStream_tbDpT10_ENKUlT_T0_E_clISt17integral_constantIbLb0EES1A_EEDaS15_S16_EUlS15_E_NS1_11comp_targetILNS1_3genE3ELNS1_11target_archE908ELNS1_3gpuE7ELNS1_3repE0EEENS1_30default_config_static_selectorELNS0_4arch9wavefront6targetE1EEEvT1_: ; @_ZN7rocprim17ROCPRIM_400000_NS6detail17trampoline_kernelINS0_14default_configENS1_25partition_config_selectorILNS1_17partition_subalgoE9EllbEEZZNS1_14partition_implILS5_9ELb0ES3_jPlS8_PNS0_10empty_typeENS0_5tupleIJS8_S9_EEENSB_IJS8_SA_EEENS0_18inequality_wrapperIZN2at6native12_GLOBAL__N_124unique_dim_cuda_templateIfEESt5tupleIJNSF_6TensorESK_SK_EERKSK_lbbbEUlllE0_EEPmJS9_EEE10hipError_tPvRmT3_T4_T5_T6_T7_T9_mT8_P12ihipStream_tbDpT10_ENKUlT_T0_E_clISt17integral_constantIbLb0EES1A_EEDaS15_S16_EUlS15_E_NS1_11comp_targetILNS1_3genE3ELNS1_11target_archE908ELNS1_3gpuE7ELNS1_3repE0EEENS1_30default_config_static_selectorELNS0_4arch9wavefront6targetE1EEEvT1_
; %bb.0:
	.section	.rodata,"a",@progbits
	.p2align	6, 0x0
	.amdhsa_kernel _ZN7rocprim17ROCPRIM_400000_NS6detail17trampoline_kernelINS0_14default_configENS1_25partition_config_selectorILNS1_17partition_subalgoE9EllbEEZZNS1_14partition_implILS5_9ELb0ES3_jPlS8_PNS0_10empty_typeENS0_5tupleIJS8_S9_EEENSB_IJS8_SA_EEENS0_18inequality_wrapperIZN2at6native12_GLOBAL__N_124unique_dim_cuda_templateIfEESt5tupleIJNSF_6TensorESK_SK_EERKSK_lbbbEUlllE0_EEPmJS9_EEE10hipError_tPvRmT3_T4_T5_T6_T7_T9_mT8_P12ihipStream_tbDpT10_ENKUlT_T0_E_clISt17integral_constantIbLb0EES1A_EEDaS15_S16_EUlS15_E_NS1_11comp_targetILNS1_3genE3ELNS1_11target_archE908ELNS1_3gpuE7ELNS1_3repE0EEENS1_30default_config_static_selectorELNS0_4arch9wavefront6targetE1EEEvT1_
		.amdhsa_group_segment_fixed_size 0
		.amdhsa_private_segment_fixed_size 0
		.amdhsa_kernarg_size 120
		.amdhsa_user_sgpr_count 6
		.amdhsa_user_sgpr_private_segment_buffer 1
		.amdhsa_user_sgpr_dispatch_ptr 0
		.amdhsa_user_sgpr_queue_ptr 0
		.amdhsa_user_sgpr_kernarg_segment_ptr 1
		.amdhsa_user_sgpr_dispatch_id 0
		.amdhsa_user_sgpr_flat_scratch_init 0
		.amdhsa_user_sgpr_kernarg_preload_length 0
		.amdhsa_user_sgpr_kernarg_preload_offset 0
		.amdhsa_user_sgpr_private_segment_size 0
		.amdhsa_uses_dynamic_stack 0
		.amdhsa_system_sgpr_private_segment_wavefront_offset 0
		.amdhsa_system_sgpr_workgroup_id_x 1
		.amdhsa_system_sgpr_workgroup_id_y 0
		.amdhsa_system_sgpr_workgroup_id_z 0
		.amdhsa_system_sgpr_workgroup_info 0
		.amdhsa_system_vgpr_workitem_id 0
		.amdhsa_next_free_vgpr 1
		.amdhsa_next_free_sgpr 0
		.amdhsa_accum_offset 4
		.amdhsa_reserve_vcc 0
		.amdhsa_reserve_flat_scratch 0
		.amdhsa_float_round_mode_32 0
		.amdhsa_float_round_mode_16_64 0
		.amdhsa_float_denorm_mode_32 3
		.amdhsa_float_denorm_mode_16_64 3
		.amdhsa_dx10_clamp 1
		.amdhsa_ieee_mode 1
		.amdhsa_fp16_overflow 0
		.amdhsa_tg_split 0
		.amdhsa_exception_fp_ieee_invalid_op 0
		.amdhsa_exception_fp_denorm_src 0
		.amdhsa_exception_fp_ieee_div_zero 0
		.amdhsa_exception_fp_ieee_overflow 0
		.amdhsa_exception_fp_ieee_underflow 0
		.amdhsa_exception_fp_ieee_inexact 0
		.amdhsa_exception_int_div_zero 0
	.end_amdhsa_kernel
	.section	.text._ZN7rocprim17ROCPRIM_400000_NS6detail17trampoline_kernelINS0_14default_configENS1_25partition_config_selectorILNS1_17partition_subalgoE9EllbEEZZNS1_14partition_implILS5_9ELb0ES3_jPlS8_PNS0_10empty_typeENS0_5tupleIJS8_S9_EEENSB_IJS8_SA_EEENS0_18inequality_wrapperIZN2at6native12_GLOBAL__N_124unique_dim_cuda_templateIfEESt5tupleIJNSF_6TensorESK_SK_EERKSK_lbbbEUlllE0_EEPmJS9_EEE10hipError_tPvRmT3_T4_T5_T6_T7_T9_mT8_P12ihipStream_tbDpT10_ENKUlT_T0_E_clISt17integral_constantIbLb0EES1A_EEDaS15_S16_EUlS15_E_NS1_11comp_targetILNS1_3genE3ELNS1_11target_archE908ELNS1_3gpuE7ELNS1_3repE0EEENS1_30default_config_static_selectorELNS0_4arch9wavefront6targetE1EEEvT1_,"axG",@progbits,_ZN7rocprim17ROCPRIM_400000_NS6detail17trampoline_kernelINS0_14default_configENS1_25partition_config_selectorILNS1_17partition_subalgoE9EllbEEZZNS1_14partition_implILS5_9ELb0ES3_jPlS8_PNS0_10empty_typeENS0_5tupleIJS8_S9_EEENSB_IJS8_SA_EEENS0_18inequality_wrapperIZN2at6native12_GLOBAL__N_124unique_dim_cuda_templateIfEESt5tupleIJNSF_6TensorESK_SK_EERKSK_lbbbEUlllE0_EEPmJS9_EEE10hipError_tPvRmT3_T4_T5_T6_T7_T9_mT8_P12ihipStream_tbDpT10_ENKUlT_T0_E_clISt17integral_constantIbLb0EES1A_EEDaS15_S16_EUlS15_E_NS1_11comp_targetILNS1_3genE3ELNS1_11target_archE908ELNS1_3gpuE7ELNS1_3repE0EEENS1_30default_config_static_selectorELNS0_4arch9wavefront6targetE1EEEvT1_,comdat
.Lfunc_end964:
	.size	_ZN7rocprim17ROCPRIM_400000_NS6detail17trampoline_kernelINS0_14default_configENS1_25partition_config_selectorILNS1_17partition_subalgoE9EllbEEZZNS1_14partition_implILS5_9ELb0ES3_jPlS8_PNS0_10empty_typeENS0_5tupleIJS8_S9_EEENSB_IJS8_SA_EEENS0_18inequality_wrapperIZN2at6native12_GLOBAL__N_124unique_dim_cuda_templateIfEESt5tupleIJNSF_6TensorESK_SK_EERKSK_lbbbEUlllE0_EEPmJS9_EEE10hipError_tPvRmT3_T4_T5_T6_T7_T9_mT8_P12ihipStream_tbDpT10_ENKUlT_T0_E_clISt17integral_constantIbLb0EES1A_EEDaS15_S16_EUlS15_E_NS1_11comp_targetILNS1_3genE3ELNS1_11target_archE908ELNS1_3gpuE7ELNS1_3repE0EEENS1_30default_config_static_selectorELNS0_4arch9wavefront6targetE1EEEvT1_, .Lfunc_end964-_ZN7rocprim17ROCPRIM_400000_NS6detail17trampoline_kernelINS0_14default_configENS1_25partition_config_selectorILNS1_17partition_subalgoE9EllbEEZZNS1_14partition_implILS5_9ELb0ES3_jPlS8_PNS0_10empty_typeENS0_5tupleIJS8_S9_EEENSB_IJS8_SA_EEENS0_18inequality_wrapperIZN2at6native12_GLOBAL__N_124unique_dim_cuda_templateIfEESt5tupleIJNSF_6TensorESK_SK_EERKSK_lbbbEUlllE0_EEPmJS9_EEE10hipError_tPvRmT3_T4_T5_T6_T7_T9_mT8_P12ihipStream_tbDpT10_ENKUlT_T0_E_clISt17integral_constantIbLb0EES1A_EEDaS15_S16_EUlS15_E_NS1_11comp_targetILNS1_3genE3ELNS1_11target_archE908ELNS1_3gpuE7ELNS1_3repE0EEENS1_30default_config_static_selectorELNS0_4arch9wavefront6targetE1EEEvT1_
                                        ; -- End function
	.section	.AMDGPU.csdata,"",@progbits
; Kernel info:
; codeLenInByte = 0
; NumSgprs: 4
; NumVgprs: 0
; NumAgprs: 0
; TotalNumVgprs: 0
; ScratchSize: 0
; MemoryBound: 0
; FloatMode: 240
; IeeeMode: 1
; LDSByteSize: 0 bytes/workgroup (compile time only)
; SGPRBlocks: 0
; VGPRBlocks: 0
; NumSGPRsForWavesPerEU: 4
; NumVGPRsForWavesPerEU: 1
; AccumOffset: 4
; Occupancy: 8
; WaveLimiterHint : 0
; COMPUTE_PGM_RSRC2:SCRATCH_EN: 0
; COMPUTE_PGM_RSRC2:USER_SGPR: 6
; COMPUTE_PGM_RSRC2:TRAP_HANDLER: 0
; COMPUTE_PGM_RSRC2:TGID_X_EN: 1
; COMPUTE_PGM_RSRC2:TGID_Y_EN: 0
; COMPUTE_PGM_RSRC2:TGID_Z_EN: 0
; COMPUTE_PGM_RSRC2:TIDIG_COMP_CNT: 0
; COMPUTE_PGM_RSRC3_GFX90A:ACCUM_OFFSET: 0
; COMPUTE_PGM_RSRC3_GFX90A:TG_SPLIT: 0
	.section	.text._ZN7rocprim17ROCPRIM_400000_NS6detail17trampoline_kernelINS0_14default_configENS1_25partition_config_selectorILNS1_17partition_subalgoE9EllbEEZZNS1_14partition_implILS5_9ELb0ES3_jPlS8_PNS0_10empty_typeENS0_5tupleIJS8_S9_EEENSB_IJS8_SA_EEENS0_18inequality_wrapperIZN2at6native12_GLOBAL__N_124unique_dim_cuda_templateIfEESt5tupleIJNSF_6TensorESK_SK_EERKSK_lbbbEUlllE0_EEPmJS9_EEE10hipError_tPvRmT3_T4_T5_T6_T7_T9_mT8_P12ihipStream_tbDpT10_ENKUlT_T0_E_clISt17integral_constantIbLb0EES1A_EEDaS15_S16_EUlS15_E_NS1_11comp_targetILNS1_3genE2ELNS1_11target_archE906ELNS1_3gpuE6ELNS1_3repE0EEENS1_30default_config_static_selectorELNS0_4arch9wavefront6targetE1EEEvT1_,"axG",@progbits,_ZN7rocprim17ROCPRIM_400000_NS6detail17trampoline_kernelINS0_14default_configENS1_25partition_config_selectorILNS1_17partition_subalgoE9EllbEEZZNS1_14partition_implILS5_9ELb0ES3_jPlS8_PNS0_10empty_typeENS0_5tupleIJS8_S9_EEENSB_IJS8_SA_EEENS0_18inequality_wrapperIZN2at6native12_GLOBAL__N_124unique_dim_cuda_templateIfEESt5tupleIJNSF_6TensorESK_SK_EERKSK_lbbbEUlllE0_EEPmJS9_EEE10hipError_tPvRmT3_T4_T5_T6_T7_T9_mT8_P12ihipStream_tbDpT10_ENKUlT_T0_E_clISt17integral_constantIbLb0EES1A_EEDaS15_S16_EUlS15_E_NS1_11comp_targetILNS1_3genE2ELNS1_11target_archE906ELNS1_3gpuE6ELNS1_3repE0EEENS1_30default_config_static_selectorELNS0_4arch9wavefront6targetE1EEEvT1_,comdat
	.globl	_ZN7rocprim17ROCPRIM_400000_NS6detail17trampoline_kernelINS0_14default_configENS1_25partition_config_selectorILNS1_17partition_subalgoE9EllbEEZZNS1_14partition_implILS5_9ELb0ES3_jPlS8_PNS0_10empty_typeENS0_5tupleIJS8_S9_EEENSB_IJS8_SA_EEENS0_18inequality_wrapperIZN2at6native12_GLOBAL__N_124unique_dim_cuda_templateIfEESt5tupleIJNSF_6TensorESK_SK_EERKSK_lbbbEUlllE0_EEPmJS9_EEE10hipError_tPvRmT3_T4_T5_T6_T7_T9_mT8_P12ihipStream_tbDpT10_ENKUlT_T0_E_clISt17integral_constantIbLb0EES1A_EEDaS15_S16_EUlS15_E_NS1_11comp_targetILNS1_3genE2ELNS1_11target_archE906ELNS1_3gpuE6ELNS1_3repE0EEENS1_30default_config_static_selectorELNS0_4arch9wavefront6targetE1EEEvT1_ ; -- Begin function _ZN7rocprim17ROCPRIM_400000_NS6detail17trampoline_kernelINS0_14default_configENS1_25partition_config_selectorILNS1_17partition_subalgoE9EllbEEZZNS1_14partition_implILS5_9ELb0ES3_jPlS8_PNS0_10empty_typeENS0_5tupleIJS8_S9_EEENSB_IJS8_SA_EEENS0_18inequality_wrapperIZN2at6native12_GLOBAL__N_124unique_dim_cuda_templateIfEESt5tupleIJNSF_6TensorESK_SK_EERKSK_lbbbEUlllE0_EEPmJS9_EEE10hipError_tPvRmT3_T4_T5_T6_T7_T9_mT8_P12ihipStream_tbDpT10_ENKUlT_T0_E_clISt17integral_constantIbLb0EES1A_EEDaS15_S16_EUlS15_E_NS1_11comp_targetILNS1_3genE2ELNS1_11target_archE906ELNS1_3gpuE6ELNS1_3repE0EEENS1_30default_config_static_selectorELNS0_4arch9wavefront6targetE1EEEvT1_
	.p2align	8
	.type	_ZN7rocprim17ROCPRIM_400000_NS6detail17trampoline_kernelINS0_14default_configENS1_25partition_config_selectorILNS1_17partition_subalgoE9EllbEEZZNS1_14partition_implILS5_9ELb0ES3_jPlS8_PNS0_10empty_typeENS0_5tupleIJS8_S9_EEENSB_IJS8_SA_EEENS0_18inequality_wrapperIZN2at6native12_GLOBAL__N_124unique_dim_cuda_templateIfEESt5tupleIJNSF_6TensorESK_SK_EERKSK_lbbbEUlllE0_EEPmJS9_EEE10hipError_tPvRmT3_T4_T5_T6_T7_T9_mT8_P12ihipStream_tbDpT10_ENKUlT_T0_E_clISt17integral_constantIbLb0EES1A_EEDaS15_S16_EUlS15_E_NS1_11comp_targetILNS1_3genE2ELNS1_11target_archE906ELNS1_3gpuE6ELNS1_3repE0EEENS1_30default_config_static_selectorELNS0_4arch9wavefront6targetE1EEEvT1_,@function
_ZN7rocprim17ROCPRIM_400000_NS6detail17trampoline_kernelINS0_14default_configENS1_25partition_config_selectorILNS1_17partition_subalgoE9EllbEEZZNS1_14partition_implILS5_9ELb0ES3_jPlS8_PNS0_10empty_typeENS0_5tupleIJS8_S9_EEENSB_IJS8_SA_EEENS0_18inequality_wrapperIZN2at6native12_GLOBAL__N_124unique_dim_cuda_templateIfEESt5tupleIJNSF_6TensorESK_SK_EERKSK_lbbbEUlllE0_EEPmJS9_EEE10hipError_tPvRmT3_T4_T5_T6_T7_T9_mT8_P12ihipStream_tbDpT10_ENKUlT_T0_E_clISt17integral_constantIbLb0EES1A_EEDaS15_S16_EUlS15_E_NS1_11comp_targetILNS1_3genE2ELNS1_11target_archE906ELNS1_3gpuE6ELNS1_3repE0EEENS1_30default_config_static_selectorELNS0_4arch9wavefront6targetE1EEEvT1_: ; @_ZN7rocprim17ROCPRIM_400000_NS6detail17trampoline_kernelINS0_14default_configENS1_25partition_config_selectorILNS1_17partition_subalgoE9EllbEEZZNS1_14partition_implILS5_9ELb0ES3_jPlS8_PNS0_10empty_typeENS0_5tupleIJS8_S9_EEENSB_IJS8_SA_EEENS0_18inequality_wrapperIZN2at6native12_GLOBAL__N_124unique_dim_cuda_templateIfEESt5tupleIJNSF_6TensorESK_SK_EERKSK_lbbbEUlllE0_EEPmJS9_EEE10hipError_tPvRmT3_T4_T5_T6_T7_T9_mT8_P12ihipStream_tbDpT10_ENKUlT_T0_E_clISt17integral_constantIbLb0EES1A_EEDaS15_S16_EUlS15_E_NS1_11comp_targetILNS1_3genE2ELNS1_11target_archE906ELNS1_3gpuE6ELNS1_3repE0EEENS1_30default_config_static_selectorELNS0_4arch9wavefront6targetE1EEEvT1_
; %bb.0:
	.section	.rodata,"a",@progbits
	.p2align	6, 0x0
	.amdhsa_kernel _ZN7rocprim17ROCPRIM_400000_NS6detail17trampoline_kernelINS0_14default_configENS1_25partition_config_selectorILNS1_17partition_subalgoE9EllbEEZZNS1_14partition_implILS5_9ELb0ES3_jPlS8_PNS0_10empty_typeENS0_5tupleIJS8_S9_EEENSB_IJS8_SA_EEENS0_18inequality_wrapperIZN2at6native12_GLOBAL__N_124unique_dim_cuda_templateIfEESt5tupleIJNSF_6TensorESK_SK_EERKSK_lbbbEUlllE0_EEPmJS9_EEE10hipError_tPvRmT3_T4_T5_T6_T7_T9_mT8_P12ihipStream_tbDpT10_ENKUlT_T0_E_clISt17integral_constantIbLb0EES1A_EEDaS15_S16_EUlS15_E_NS1_11comp_targetILNS1_3genE2ELNS1_11target_archE906ELNS1_3gpuE6ELNS1_3repE0EEENS1_30default_config_static_selectorELNS0_4arch9wavefront6targetE1EEEvT1_
		.amdhsa_group_segment_fixed_size 0
		.amdhsa_private_segment_fixed_size 0
		.amdhsa_kernarg_size 120
		.amdhsa_user_sgpr_count 6
		.amdhsa_user_sgpr_private_segment_buffer 1
		.amdhsa_user_sgpr_dispatch_ptr 0
		.amdhsa_user_sgpr_queue_ptr 0
		.amdhsa_user_sgpr_kernarg_segment_ptr 1
		.amdhsa_user_sgpr_dispatch_id 0
		.amdhsa_user_sgpr_flat_scratch_init 0
		.amdhsa_user_sgpr_kernarg_preload_length 0
		.amdhsa_user_sgpr_kernarg_preload_offset 0
		.amdhsa_user_sgpr_private_segment_size 0
		.amdhsa_uses_dynamic_stack 0
		.amdhsa_system_sgpr_private_segment_wavefront_offset 0
		.amdhsa_system_sgpr_workgroup_id_x 1
		.amdhsa_system_sgpr_workgroup_id_y 0
		.amdhsa_system_sgpr_workgroup_id_z 0
		.amdhsa_system_sgpr_workgroup_info 0
		.amdhsa_system_vgpr_workitem_id 0
		.amdhsa_next_free_vgpr 1
		.amdhsa_next_free_sgpr 0
		.amdhsa_accum_offset 4
		.amdhsa_reserve_vcc 0
		.amdhsa_reserve_flat_scratch 0
		.amdhsa_float_round_mode_32 0
		.amdhsa_float_round_mode_16_64 0
		.amdhsa_float_denorm_mode_32 3
		.amdhsa_float_denorm_mode_16_64 3
		.amdhsa_dx10_clamp 1
		.amdhsa_ieee_mode 1
		.amdhsa_fp16_overflow 0
		.amdhsa_tg_split 0
		.amdhsa_exception_fp_ieee_invalid_op 0
		.amdhsa_exception_fp_denorm_src 0
		.amdhsa_exception_fp_ieee_div_zero 0
		.amdhsa_exception_fp_ieee_overflow 0
		.amdhsa_exception_fp_ieee_underflow 0
		.amdhsa_exception_fp_ieee_inexact 0
		.amdhsa_exception_int_div_zero 0
	.end_amdhsa_kernel
	.section	.text._ZN7rocprim17ROCPRIM_400000_NS6detail17trampoline_kernelINS0_14default_configENS1_25partition_config_selectorILNS1_17partition_subalgoE9EllbEEZZNS1_14partition_implILS5_9ELb0ES3_jPlS8_PNS0_10empty_typeENS0_5tupleIJS8_S9_EEENSB_IJS8_SA_EEENS0_18inequality_wrapperIZN2at6native12_GLOBAL__N_124unique_dim_cuda_templateIfEESt5tupleIJNSF_6TensorESK_SK_EERKSK_lbbbEUlllE0_EEPmJS9_EEE10hipError_tPvRmT3_T4_T5_T6_T7_T9_mT8_P12ihipStream_tbDpT10_ENKUlT_T0_E_clISt17integral_constantIbLb0EES1A_EEDaS15_S16_EUlS15_E_NS1_11comp_targetILNS1_3genE2ELNS1_11target_archE906ELNS1_3gpuE6ELNS1_3repE0EEENS1_30default_config_static_selectorELNS0_4arch9wavefront6targetE1EEEvT1_,"axG",@progbits,_ZN7rocprim17ROCPRIM_400000_NS6detail17trampoline_kernelINS0_14default_configENS1_25partition_config_selectorILNS1_17partition_subalgoE9EllbEEZZNS1_14partition_implILS5_9ELb0ES3_jPlS8_PNS0_10empty_typeENS0_5tupleIJS8_S9_EEENSB_IJS8_SA_EEENS0_18inequality_wrapperIZN2at6native12_GLOBAL__N_124unique_dim_cuda_templateIfEESt5tupleIJNSF_6TensorESK_SK_EERKSK_lbbbEUlllE0_EEPmJS9_EEE10hipError_tPvRmT3_T4_T5_T6_T7_T9_mT8_P12ihipStream_tbDpT10_ENKUlT_T0_E_clISt17integral_constantIbLb0EES1A_EEDaS15_S16_EUlS15_E_NS1_11comp_targetILNS1_3genE2ELNS1_11target_archE906ELNS1_3gpuE6ELNS1_3repE0EEENS1_30default_config_static_selectorELNS0_4arch9wavefront6targetE1EEEvT1_,comdat
.Lfunc_end965:
	.size	_ZN7rocprim17ROCPRIM_400000_NS6detail17trampoline_kernelINS0_14default_configENS1_25partition_config_selectorILNS1_17partition_subalgoE9EllbEEZZNS1_14partition_implILS5_9ELb0ES3_jPlS8_PNS0_10empty_typeENS0_5tupleIJS8_S9_EEENSB_IJS8_SA_EEENS0_18inequality_wrapperIZN2at6native12_GLOBAL__N_124unique_dim_cuda_templateIfEESt5tupleIJNSF_6TensorESK_SK_EERKSK_lbbbEUlllE0_EEPmJS9_EEE10hipError_tPvRmT3_T4_T5_T6_T7_T9_mT8_P12ihipStream_tbDpT10_ENKUlT_T0_E_clISt17integral_constantIbLb0EES1A_EEDaS15_S16_EUlS15_E_NS1_11comp_targetILNS1_3genE2ELNS1_11target_archE906ELNS1_3gpuE6ELNS1_3repE0EEENS1_30default_config_static_selectorELNS0_4arch9wavefront6targetE1EEEvT1_, .Lfunc_end965-_ZN7rocprim17ROCPRIM_400000_NS6detail17trampoline_kernelINS0_14default_configENS1_25partition_config_selectorILNS1_17partition_subalgoE9EllbEEZZNS1_14partition_implILS5_9ELb0ES3_jPlS8_PNS0_10empty_typeENS0_5tupleIJS8_S9_EEENSB_IJS8_SA_EEENS0_18inequality_wrapperIZN2at6native12_GLOBAL__N_124unique_dim_cuda_templateIfEESt5tupleIJNSF_6TensorESK_SK_EERKSK_lbbbEUlllE0_EEPmJS9_EEE10hipError_tPvRmT3_T4_T5_T6_T7_T9_mT8_P12ihipStream_tbDpT10_ENKUlT_T0_E_clISt17integral_constantIbLb0EES1A_EEDaS15_S16_EUlS15_E_NS1_11comp_targetILNS1_3genE2ELNS1_11target_archE906ELNS1_3gpuE6ELNS1_3repE0EEENS1_30default_config_static_selectorELNS0_4arch9wavefront6targetE1EEEvT1_
                                        ; -- End function
	.section	.AMDGPU.csdata,"",@progbits
; Kernel info:
; codeLenInByte = 0
; NumSgprs: 4
; NumVgprs: 0
; NumAgprs: 0
; TotalNumVgprs: 0
; ScratchSize: 0
; MemoryBound: 0
; FloatMode: 240
; IeeeMode: 1
; LDSByteSize: 0 bytes/workgroup (compile time only)
; SGPRBlocks: 0
; VGPRBlocks: 0
; NumSGPRsForWavesPerEU: 4
; NumVGPRsForWavesPerEU: 1
; AccumOffset: 4
; Occupancy: 8
; WaveLimiterHint : 0
; COMPUTE_PGM_RSRC2:SCRATCH_EN: 0
; COMPUTE_PGM_RSRC2:USER_SGPR: 6
; COMPUTE_PGM_RSRC2:TRAP_HANDLER: 0
; COMPUTE_PGM_RSRC2:TGID_X_EN: 1
; COMPUTE_PGM_RSRC2:TGID_Y_EN: 0
; COMPUTE_PGM_RSRC2:TGID_Z_EN: 0
; COMPUTE_PGM_RSRC2:TIDIG_COMP_CNT: 0
; COMPUTE_PGM_RSRC3_GFX90A:ACCUM_OFFSET: 0
; COMPUTE_PGM_RSRC3_GFX90A:TG_SPLIT: 0
	.section	.text._ZN7rocprim17ROCPRIM_400000_NS6detail17trampoline_kernelINS0_14default_configENS1_25partition_config_selectorILNS1_17partition_subalgoE9EllbEEZZNS1_14partition_implILS5_9ELb0ES3_jPlS8_PNS0_10empty_typeENS0_5tupleIJS8_S9_EEENSB_IJS8_SA_EEENS0_18inequality_wrapperIZN2at6native12_GLOBAL__N_124unique_dim_cuda_templateIfEESt5tupleIJNSF_6TensorESK_SK_EERKSK_lbbbEUlllE0_EEPmJS9_EEE10hipError_tPvRmT3_T4_T5_T6_T7_T9_mT8_P12ihipStream_tbDpT10_ENKUlT_T0_E_clISt17integral_constantIbLb0EES1A_EEDaS15_S16_EUlS15_E_NS1_11comp_targetILNS1_3genE10ELNS1_11target_archE1200ELNS1_3gpuE4ELNS1_3repE0EEENS1_30default_config_static_selectorELNS0_4arch9wavefront6targetE1EEEvT1_,"axG",@progbits,_ZN7rocprim17ROCPRIM_400000_NS6detail17trampoline_kernelINS0_14default_configENS1_25partition_config_selectorILNS1_17partition_subalgoE9EllbEEZZNS1_14partition_implILS5_9ELb0ES3_jPlS8_PNS0_10empty_typeENS0_5tupleIJS8_S9_EEENSB_IJS8_SA_EEENS0_18inequality_wrapperIZN2at6native12_GLOBAL__N_124unique_dim_cuda_templateIfEESt5tupleIJNSF_6TensorESK_SK_EERKSK_lbbbEUlllE0_EEPmJS9_EEE10hipError_tPvRmT3_T4_T5_T6_T7_T9_mT8_P12ihipStream_tbDpT10_ENKUlT_T0_E_clISt17integral_constantIbLb0EES1A_EEDaS15_S16_EUlS15_E_NS1_11comp_targetILNS1_3genE10ELNS1_11target_archE1200ELNS1_3gpuE4ELNS1_3repE0EEENS1_30default_config_static_selectorELNS0_4arch9wavefront6targetE1EEEvT1_,comdat
	.globl	_ZN7rocprim17ROCPRIM_400000_NS6detail17trampoline_kernelINS0_14default_configENS1_25partition_config_selectorILNS1_17partition_subalgoE9EllbEEZZNS1_14partition_implILS5_9ELb0ES3_jPlS8_PNS0_10empty_typeENS0_5tupleIJS8_S9_EEENSB_IJS8_SA_EEENS0_18inequality_wrapperIZN2at6native12_GLOBAL__N_124unique_dim_cuda_templateIfEESt5tupleIJNSF_6TensorESK_SK_EERKSK_lbbbEUlllE0_EEPmJS9_EEE10hipError_tPvRmT3_T4_T5_T6_T7_T9_mT8_P12ihipStream_tbDpT10_ENKUlT_T0_E_clISt17integral_constantIbLb0EES1A_EEDaS15_S16_EUlS15_E_NS1_11comp_targetILNS1_3genE10ELNS1_11target_archE1200ELNS1_3gpuE4ELNS1_3repE0EEENS1_30default_config_static_selectorELNS0_4arch9wavefront6targetE1EEEvT1_ ; -- Begin function _ZN7rocprim17ROCPRIM_400000_NS6detail17trampoline_kernelINS0_14default_configENS1_25partition_config_selectorILNS1_17partition_subalgoE9EllbEEZZNS1_14partition_implILS5_9ELb0ES3_jPlS8_PNS0_10empty_typeENS0_5tupleIJS8_S9_EEENSB_IJS8_SA_EEENS0_18inequality_wrapperIZN2at6native12_GLOBAL__N_124unique_dim_cuda_templateIfEESt5tupleIJNSF_6TensorESK_SK_EERKSK_lbbbEUlllE0_EEPmJS9_EEE10hipError_tPvRmT3_T4_T5_T6_T7_T9_mT8_P12ihipStream_tbDpT10_ENKUlT_T0_E_clISt17integral_constantIbLb0EES1A_EEDaS15_S16_EUlS15_E_NS1_11comp_targetILNS1_3genE10ELNS1_11target_archE1200ELNS1_3gpuE4ELNS1_3repE0EEENS1_30default_config_static_selectorELNS0_4arch9wavefront6targetE1EEEvT1_
	.p2align	8
	.type	_ZN7rocprim17ROCPRIM_400000_NS6detail17trampoline_kernelINS0_14default_configENS1_25partition_config_selectorILNS1_17partition_subalgoE9EllbEEZZNS1_14partition_implILS5_9ELb0ES3_jPlS8_PNS0_10empty_typeENS0_5tupleIJS8_S9_EEENSB_IJS8_SA_EEENS0_18inequality_wrapperIZN2at6native12_GLOBAL__N_124unique_dim_cuda_templateIfEESt5tupleIJNSF_6TensorESK_SK_EERKSK_lbbbEUlllE0_EEPmJS9_EEE10hipError_tPvRmT3_T4_T5_T6_T7_T9_mT8_P12ihipStream_tbDpT10_ENKUlT_T0_E_clISt17integral_constantIbLb0EES1A_EEDaS15_S16_EUlS15_E_NS1_11comp_targetILNS1_3genE10ELNS1_11target_archE1200ELNS1_3gpuE4ELNS1_3repE0EEENS1_30default_config_static_selectorELNS0_4arch9wavefront6targetE1EEEvT1_,@function
_ZN7rocprim17ROCPRIM_400000_NS6detail17trampoline_kernelINS0_14default_configENS1_25partition_config_selectorILNS1_17partition_subalgoE9EllbEEZZNS1_14partition_implILS5_9ELb0ES3_jPlS8_PNS0_10empty_typeENS0_5tupleIJS8_S9_EEENSB_IJS8_SA_EEENS0_18inequality_wrapperIZN2at6native12_GLOBAL__N_124unique_dim_cuda_templateIfEESt5tupleIJNSF_6TensorESK_SK_EERKSK_lbbbEUlllE0_EEPmJS9_EEE10hipError_tPvRmT3_T4_T5_T6_T7_T9_mT8_P12ihipStream_tbDpT10_ENKUlT_T0_E_clISt17integral_constantIbLb0EES1A_EEDaS15_S16_EUlS15_E_NS1_11comp_targetILNS1_3genE10ELNS1_11target_archE1200ELNS1_3gpuE4ELNS1_3repE0EEENS1_30default_config_static_selectorELNS0_4arch9wavefront6targetE1EEEvT1_: ; @_ZN7rocprim17ROCPRIM_400000_NS6detail17trampoline_kernelINS0_14default_configENS1_25partition_config_selectorILNS1_17partition_subalgoE9EllbEEZZNS1_14partition_implILS5_9ELb0ES3_jPlS8_PNS0_10empty_typeENS0_5tupleIJS8_S9_EEENSB_IJS8_SA_EEENS0_18inequality_wrapperIZN2at6native12_GLOBAL__N_124unique_dim_cuda_templateIfEESt5tupleIJNSF_6TensorESK_SK_EERKSK_lbbbEUlllE0_EEPmJS9_EEE10hipError_tPvRmT3_T4_T5_T6_T7_T9_mT8_P12ihipStream_tbDpT10_ENKUlT_T0_E_clISt17integral_constantIbLb0EES1A_EEDaS15_S16_EUlS15_E_NS1_11comp_targetILNS1_3genE10ELNS1_11target_archE1200ELNS1_3gpuE4ELNS1_3repE0EEENS1_30default_config_static_selectorELNS0_4arch9wavefront6targetE1EEEvT1_
; %bb.0:
	.section	.rodata,"a",@progbits
	.p2align	6, 0x0
	.amdhsa_kernel _ZN7rocprim17ROCPRIM_400000_NS6detail17trampoline_kernelINS0_14default_configENS1_25partition_config_selectorILNS1_17partition_subalgoE9EllbEEZZNS1_14partition_implILS5_9ELb0ES3_jPlS8_PNS0_10empty_typeENS0_5tupleIJS8_S9_EEENSB_IJS8_SA_EEENS0_18inequality_wrapperIZN2at6native12_GLOBAL__N_124unique_dim_cuda_templateIfEESt5tupleIJNSF_6TensorESK_SK_EERKSK_lbbbEUlllE0_EEPmJS9_EEE10hipError_tPvRmT3_T4_T5_T6_T7_T9_mT8_P12ihipStream_tbDpT10_ENKUlT_T0_E_clISt17integral_constantIbLb0EES1A_EEDaS15_S16_EUlS15_E_NS1_11comp_targetILNS1_3genE10ELNS1_11target_archE1200ELNS1_3gpuE4ELNS1_3repE0EEENS1_30default_config_static_selectorELNS0_4arch9wavefront6targetE1EEEvT1_
		.amdhsa_group_segment_fixed_size 0
		.amdhsa_private_segment_fixed_size 0
		.amdhsa_kernarg_size 120
		.amdhsa_user_sgpr_count 6
		.amdhsa_user_sgpr_private_segment_buffer 1
		.amdhsa_user_sgpr_dispatch_ptr 0
		.amdhsa_user_sgpr_queue_ptr 0
		.amdhsa_user_sgpr_kernarg_segment_ptr 1
		.amdhsa_user_sgpr_dispatch_id 0
		.amdhsa_user_sgpr_flat_scratch_init 0
		.amdhsa_user_sgpr_kernarg_preload_length 0
		.amdhsa_user_sgpr_kernarg_preload_offset 0
		.amdhsa_user_sgpr_private_segment_size 0
		.amdhsa_uses_dynamic_stack 0
		.amdhsa_system_sgpr_private_segment_wavefront_offset 0
		.amdhsa_system_sgpr_workgroup_id_x 1
		.amdhsa_system_sgpr_workgroup_id_y 0
		.amdhsa_system_sgpr_workgroup_id_z 0
		.amdhsa_system_sgpr_workgroup_info 0
		.amdhsa_system_vgpr_workitem_id 0
		.amdhsa_next_free_vgpr 1
		.amdhsa_next_free_sgpr 0
		.amdhsa_accum_offset 4
		.amdhsa_reserve_vcc 0
		.amdhsa_reserve_flat_scratch 0
		.amdhsa_float_round_mode_32 0
		.amdhsa_float_round_mode_16_64 0
		.amdhsa_float_denorm_mode_32 3
		.amdhsa_float_denorm_mode_16_64 3
		.amdhsa_dx10_clamp 1
		.amdhsa_ieee_mode 1
		.amdhsa_fp16_overflow 0
		.amdhsa_tg_split 0
		.amdhsa_exception_fp_ieee_invalid_op 0
		.amdhsa_exception_fp_denorm_src 0
		.amdhsa_exception_fp_ieee_div_zero 0
		.amdhsa_exception_fp_ieee_overflow 0
		.amdhsa_exception_fp_ieee_underflow 0
		.amdhsa_exception_fp_ieee_inexact 0
		.amdhsa_exception_int_div_zero 0
	.end_amdhsa_kernel
	.section	.text._ZN7rocprim17ROCPRIM_400000_NS6detail17trampoline_kernelINS0_14default_configENS1_25partition_config_selectorILNS1_17partition_subalgoE9EllbEEZZNS1_14partition_implILS5_9ELb0ES3_jPlS8_PNS0_10empty_typeENS0_5tupleIJS8_S9_EEENSB_IJS8_SA_EEENS0_18inequality_wrapperIZN2at6native12_GLOBAL__N_124unique_dim_cuda_templateIfEESt5tupleIJNSF_6TensorESK_SK_EERKSK_lbbbEUlllE0_EEPmJS9_EEE10hipError_tPvRmT3_T4_T5_T6_T7_T9_mT8_P12ihipStream_tbDpT10_ENKUlT_T0_E_clISt17integral_constantIbLb0EES1A_EEDaS15_S16_EUlS15_E_NS1_11comp_targetILNS1_3genE10ELNS1_11target_archE1200ELNS1_3gpuE4ELNS1_3repE0EEENS1_30default_config_static_selectorELNS0_4arch9wavefront6targetE1EEEvT1_,"axG",@progbits,_ZN7rocprim17ROCPRIM_400000_NS6detail17trampoline_kernelINS0_14default_configENS1_25partition_config_selectorILNS1_17partition_subalgoE9EllbEEZZNS1_14partition_implILS5_9ELb0ES3_jPlS8_PNS0_10empty_typeENS0_5tupleIJS8_S9_EEENSB_IJS8_SA_EEENS0_18inequality_wrapperIZN2at6native12_GLOBAL__N_124unique_dim_cuda_templateIfEESt5tupleIJNSF_6TensorESK_SK_EERKSK_lbbbEUlllE0_EEPmJS9_EEE10hipError_tPvRmT3_T4_T5_T6_T7_T9_mT8_P12ihipStream_tbDpT10_ENKUlT_T0_E_clISt17integral_constantIbLb0EES1A_EEDaS15_S16_EUlS15_E_NS1_11comp_targetILNS1_3genE10ELNS1_11target_archE1200ELNS1_3gpuE4ELNS1_3repE0EEENS1_30default_config_static_selectorELNS0_4arch9wavefront6targetE1EEEvT1_,comdat
.Lfunc_end966:
	.size	_ZN7rocprim17ROCPRIM_400000_NS6detail17trampoline_kernelINS0_14default_configENS1_25partition_config_selectorILNS1_17partition_subalgoE9EllbEEZZNS1_14partition_implILS5_9ELb0ES3_jPlS8_PNS0_10empty_typeENS0_5tupleIJS8_S9_EEENSB_IJS8_SA_EEENS0_18inequality_wrapperIZN2at6native12_GLOBAL__N_124unique_dim_cuda_templateIfEESt5tupleIJNSF_6TensorESK_SK_EERKSK_lbbbEUlllE0_EEPmJS9_EEE10hipError_tPvRmT3_T4_T5_T6_T7_T9_mT8_P12ihipStream_tbDpT10_ENKUlT_T0_E_clISt17integral_constantIbLb0EES1A_EEDaS15_S16_EUlS15_E_NS1_11comp_targetILNS1_3genE10ELNS1_11target_archE1200ELNS1_3gpuE4ELNS1_3repE0EEENS1_30default_config_static_selectorELNS0_4arch9wavefront6targetE1EEEvT1_, .Lfunc_end966-_ZN7rocprim17ROCPRIM_400000_NS6detail17trampoline_kernelINS0_14default_configENS1_25partition_config_selectorILNS1_17partition_subalgoE9EllbEEZZNS1_14partition_implILS5_9ELb0ES3_jPlS8_PNS0_10empty_typeENS0_5tupleIJS8_S9_EEENSB_IJS8_SA_EEENS0_18inequality_wrapperIZN2at6native12_GLOBAL__N_124unique_dim_cuda_templateIfEESt5tupleIJNSF_6TensorESK_SK_EERKSK_lbbbEUlllE0_EEPmJS9_EEE10hipError_tPvRmT3_T4_T5_T6_T7_T9_mT8_P12ihipStream_tbDpT10_ENKUlT_T0_E_clISt17integral_constantIbLb0EES1A_EEDaS15_S16_EUlS15_E_NS1_11comp_targetILNS1_3genE10ELNS1_11target_archE1200ELNS1_3gpuE4ELNS1_3repE0EEENS1_30default_config_static_selectorELNS0_4arch9wavefront6targetE1EEEvT1_
                                        ; -- End function
	.section	.AMDGPU.csdata,"",@progbits
; Kernel info:
; codeLenInByte = 0
; NumSgprs: 4
; NumVgprs: 0
; NumAgprs: 0
; TotalNumVgprs: 0
; ScratchSize: 0
; MemoryBound: 0
; FloatMode: 240
; IeeeMode: 1
; LDSByteSize: 0 bytes/workgroup (compile time only)
; SGPRBlocks: 0
; VGPRBlocks: 0
; NumSGPRsForWavesPerEU: 4
; NumVGPRsForWavesPerEU: 1
; AccumOffset: 4
; Occupancy: 8
; WaveLimiterHint : 0
; COMPUTE_PGM_RSRC2:SCRATCH_EN: 0
; COMPUTE_PGM_RSRC2:USER_SGPR: 6
; COMPUTE_PGM_RSRC2:TRAP_HANDLER: 0
; COMPUTE_PGM_RSRC2:TGID_X_EN: 1
; COMPUTE_PGM_RSRC2:TGID_Y_EN: 0
; COMPUTE_PGM_RSRC2:TGID_Z_EN: 0
; COMPUTE_PGM_RSRC2:TIDIG_COMP_CNT: 0
; COMPUTE_PGM_RSRC3_GFX90A:ACCUM_OFFSET: 0
; COMPUTE_PGM_RSRC3_GFX90A:TG_SPLIT: 0
	.section	.text._ZN7rocprim17ROCPRIM_400000_NS6detail17trampoline_kernelINS0_14default_configENS1_25partition_config_selectorILNS1_17partition_subalgoE9EllbEEZZNS1_14partition_implILS5_9ELb0ES3_jPlS8_PNS0_10empty_typeENS0_5tupleIJS8_S9_EEENSB_IJS8_SA_EEENS0_18inequality_wrapperIZN2at6native12_GLOBAL__N_124unique_dim_cuda_templateIfEESt5tupleIJNSF_6TensorESK_SK_EERKSK_lbbbEUlllE0_EEPmJS9_EEE10hipError_tPvRmT3_T4_T5_T6_T7_T9_mT8_P12ihipStream_tbDpT10_ENKUlT_T0_E_clISt17integral_constantIbLb0EES1A_EEDaS15_S16_EUlS15_E_NS1_11comp_targetILNS1_3genE9ELNS1_11target_archE1100ELNS1_3gpuE3ELNS1_3repE0EEENS1_30default_config_static_selectorELNS0_4arch9wavefront6targetE1EEEvT1_,"axG",@progbits,_ZN7rocprim17ROCPRIM_400000_NS6detail17trampoline_kernelINS0_14default_configENS1_25partition_config_selectorILNS1_17partition_subalgoE9EllbEEZZNS1_14partition_implILS5_9ELb0ES3_jPlS8_PNS0_10empty_typeENS0_5tupleIJS8_S9_EEENSB_IJS8_SA_EEENS0_18inequality_wrapperIZN2at6native12_GLOBAL__N_124unique_dim_cuda_templateIfEESt5tupleIJNSF_6TensorESK_SK_EERKSK_lbbbEUlllE0_EEPmJS9_EEE10hipError_tPvRmT3_T4_T5_T6_T7_T9_mT8_P12ihipStream_tbDpT10_ENKUlT_T0_E_clISt17integral_constantIbLb0EES1A_EEDaS15_S16_EUlS15_E_NS1_11comp_targetILNS1_3genE9ELNS1_11target_archE1100ELNS1_3gpuE3ELNS1_3repE0EEENS1_30default_config_static_selectorELNS0_4arch9wavefront6targetE1EEEvT1_,comdat
	.globl	_ZN7rocprim17ROCPRIM_400000_NS6detail17trampoline_kernelINS0_14default_configENS1_25partition_config_selectorILNS1_17partition_subalgoE9EllbEEZZNS1_14partition_implILS5_9ELb0ES3_jPlS8_PNS0_10empty_typeENS0_5tupleIJS8_S9_EEENSB_IJS8_SA_EEENS0_18inequality_wrapperIZN2at6native12_GLOBAL__N_124unique_dim_cuda_templateIfEESt5tupleIJNSF_6TensorESK_SK_EERKSK_lbbbEUlllE0_EEPmJS9_EEE10hipError_tPvRmT3_T4_T5_T6_T7_T9_mT8_P12ihipStream_tbDpT10_ENKUlT_T0_E_clISt17integral_constantIbLb0EES1A_EEDaS15_S16_EUlS15_E_NS1_11comp_targetILNS1_3genE9ELNS1_11target_archE1100ELNS1_3gpuE3ELNS1_3repE0EEENS1_30default_config_static_selectorELNS0_4arch9wavefront6targetE1EEEvT1_ ; -- Begin function _ZN7rocprim17ROCPRIM_400000_NS6detail17trampoline_kernelINS0_14default_configENS1_25partition_config_selectorILNS1_17partition_subalgoE9EllbEEZZNS1_14partition_implILS5_9ELb0ES3_jPlS8_PNS0_10empty_typeENS0_5tupleIJS8_S9_EEENSB_IJS8_SA_EEENS0_18inequality_wrapperIZN2at6native12_GLOBAL__N_124unique_dim_cuda_templateIfEESt5tupleIJNSF_6TensorESK_SK_EERKSK_lbbbEUlllE0_EEPmJS9_EEE10hipError_tPvRmT3_T4_T5_T6_T7_T9_mT8_P12ihipStream_tbDpT10_ENKUlT_T0_E_clISt17integral_constantIbLb0EES1A_EEDaS15_S16_EUlS15_E_NS1_11comp_targetILNS1_3genE9ELNS1_11target_archE1100ELNS1_3gpuE3ELNS1_3repE0EEENS1_30default_config_static_selectorELNS0_4arch9wavefront6targetE1EEEvT1_
	.p2align	8
	.type	_ZN7rocprim17ROCPRIM_400000_NS6detail17trampoline_kernelINS0_14default_configENS1_25partition_config_selectorILNS1_17partition_subalgoE9EllbEEZZNS1_14partition_implILS5_9ELb0ES3_jPlS8_PNS0_10empty_typeENS0_5tupleIJS8_S9_EEENSB_IJS8_SA_EEENS0_18inequality_wrapperIZN2at6native12_GLOBAL__N_124unique_dim_cuda_templateIfEESt5tupleIJNSF_6TensorESK_SK_EERKSK_lbbbEUlllE0_EEPmJS9_EEE10hipError_tPvRmT3_T4_T5_T6_T7_T9_mT8_P12ihipStream_tbDpT10_ENKUlT_T0_E_clISt17integral_constantIbLb0EES1A_EEDaS15_S16_EUlS15_E_NS1_11comp_targetILNS1_3genE9ELNS1_11target_archE1100ELNS1_3gpuE3ELNS1_3repE0EEENS1_30default_config_static_selectorELNS0_4arch9wavefront6targetE1EEEvT1_,@function
_ZN7rocprim17ROCPRIM_400000_NS6detail17trampoline_kernelINS0_14default_configENS1_25partition_config_selectorILNS1_17partition_subalgoE9EllbEEZZNS1_14partition_implILS5_9ELb0ES3_jPlS8_PNS0_10empty_typeENS0_5tupleIJS8_S9_EEENSB_IJS8_SA_EEENS0_18inequality_wrapperIZN2at6native12_GLOBAL__N_124unique_dim_cuda_templateIfEESt5tupleIJNSF_6TensorESK_SK_EERKSK_lbbbEUlllE0_EEPmJS9_EEE10hipError_tPvRmT3_T4_T5_T6_T7_T9_mT8_P12ihipStream_tbDpT10_ENKUlT_T0_E_clISt17integral_constantIbLb0EES1A_EEDaS15_S16_EUlS15_E_NS1_11comp_targetILNS1_3genE9ELNS1_11target_archE1100ELNS1_3gpuE3ELNS1_3repE0EEENS1_30default_config_static_selectorELNS0_4arch9wavefront6targetE1EEEvT1_: ; @_ZN7rocprim17ROCPRIM_400000_NS6detail17trampoline_kernelINS0_14default_configENS1_25partition_config_selectorILNS1_17partition_subalgoE9EllbEEZZNS1_14partition_implILS5_9ELb0ES3_jPlS8_PNS0_10empty_typeENS0_5tupleIJS8_S9_EEENSB_IJS8_SA_EEENS0_18inequality_wrapperIZN2at6native12_GLOBAL__N_124unique_dim_cuda_templateIfEESt5tupleIJNSF_6TensorESK_SK_EERKSK_lbbbEUlllE0_EEPmJS9_EEE10hipError_tPvRmT3_T4_T5_T6_T7_T9_mT8_P12ihipStream_tbDpT10_ENKUlT_T0_E_clISt17integral_constantIbLb0EES1A_EEDaS15_S16_EUlS15_E_NS1_11comp_targetILNS1_3genE9ELNS1_11target_archE1100ELNS1_3gpuE3ELNS1_3repE0EEENS1_30default_config_static_selectorELNS0_4arch9wavefront6targetE1EEEvT1_
; %bb.0:
	.section	.rodata,"a",@progbits
	.p2align	6, 0x0
	.amdhsa_kernel _ZN7rocprim17ROCPRIM_400000_NS6detail17trampoline_kernelINS0_14default_configENS1_25partition_config_selectorILNS1_17partition_subalgoE9EllbEEZZNS1_14partition_implILS5_9ELb0ES3_jPlS8_PNS0_10empty_typeENS0_5tupleIJS8_S9_EEENSB_IJS8_SA_EEENS0_18inequality_wrapperIZN2at6native12_GLOBAL__N_124unique_dim_cuda_templateIfEESt5tupleIJNSF_6TensorESK_SK_EERKSK_lbbbEUlllE0_EEPmJS9_EEE10hipError_tPvRmT3_T4_T5_T6_T7_T9_mT8_P12ihipStream_tbDpT10_ENKUlT_T0_E_clISt17integral_constantIbLb0EES1A_EEDaS15_S16_EUlS15_E_NS1_11comp_targetILNS1_3genE9ELNS1_11target_archE1100ELNS1_3gpuE3ELNS1_3repE0EEENS1_30default_config_static_selectorELNS0_4arch9wavefront6targetE1EEEvT1_
		.amdhsa_group_segment_fixed_size 0
		.amdhsa_private_segment_fixed_size 0
		.amdhsa_kernarg_size 120
		.amdhsa_user_sgpr_count 6
		.amdhsa_user_sgpr_private_segment_buffer 1
		.amdhsa_user_sgpr_dispatch_ptr 0
		.amdhsa_user_sgpr_queue_ptr 0
		.amdhsa_user_sgpr_kernarg_segment_ptr 1
		.amdhsa_user_sgpr_dispatch_id 0
		.amdhsa_user_sgpr_flat_scratch_init 0
		.amdhsa_user_sgpr_kernarg_preload_length 0
		.amdhsa_user_sgpr_kernarg_preload_offset 0
		.amdhsa_user_sgpr_private_segment_size 0
		.amdhsa_uses_dynamic_stack 0
		.amdhsa_system_sgpr_private_segment_wavefront_offset 0
		.amdhsa_system_sgpr_workgroup_id_x 1
		.amdhsa_system_sgpr_workgroup_id_y 0
		.amdhsa_system_sgpr_workgroup_id_z 0
		.amdhsa_system_sgpr_workgroup_info 0
		.amdhsa_system_vgpr_workitem_id 0
		.amdhsa_next_free_vgpr 1
		.amdhsa_next_free_sgpr 0
		.amdhsa_accum_offset 4
		.amdhsa_reserve_vcc 0
		.amdhsa_reserve_flat_scratch 0
		.amdhsa_float_round_mode_32 0
		.amdhsa_float_round_mode_16_64 0
		.amdhsa_float_denorm_mode_32 3
		.amdhsa_float_denorm_mode_16_64 3
		.amdhsa_dx10_clamp 1
		.amdhsa_ieee_mode 1
		.amdhsa_fp16_overflow 0
		.amdhsa_tg_split 0
		.amdhsa_exception_fp_ieee_invalid_op 0
		.amdhsa_exception_fp_denorm_src 0
		.amdhsa_exception_fp_ieee_div_zero 0
		.amdhsa_exception_fp_ieee_overflow 0
		.amdhsa_exception_fp_ieee_underflow 0
		.amdhsa_exception_fp_ieee_inexact 0
		.amdhsa_exception_int_div_zero 0
	.end_amdhsa_kernel
	.section	.text._ZN7rocprim17ROCPRIM_400000_NS6detail17trampoline_kernelINS0_14default_configENS1_25partition_config_selectorILNS1_17partition_subalgoE9EllbEEZZNS1_14partition_implILS5_9ELb0ES3_jPlS8_PNS0_10empty_typeENS0_5tupleIJS8_S9_EEENSB_IJS8_SA_EEENS0_18inequality_wrapperIZN2at6native12_GLOBAL__N_124unique_dim_cuda_templateIfEESt5tupleIJNSF_6TensorESK_SK_EERKSK_lbbbEUlllE0_EEPmJS9_EEE10hipError_tPvRmT3_T4_T5_T6_T7_T9_mT8_P12ihipStream_tbDpT10_ENKUlT_T0_E_clISt17integral_constantIbLb0EES1A_EEDaS15_S16_EUlS15_E_NS1_11comp_targetILNS1_3genE9ELNS1_11target_archE1100ELNS1_3gpuE3ELNS1_3repE0EEENS1_30default_config_static_selectorELNS0_4arch9wavefront6targetE1EEEvT1_,"axG",@progbits,_ZN7rocprim17ROCPRIM_400000_NS6detail17trampoline_kernelINS0_14default_configENS1_25partition_config_selectorILNS1_17partition_subalgoE9EllbEEZZNS1_14partition_implILS5_9ELb0ES3_jPlS8_PNS0_10empty_typeENS0_5tupleIJS8_S9_EEENSB_IJS8_SA_EEENS0_18inequality_wrapperIZN2at6native12_GLOBAL__N_124unique_dim_cuda_templateIfEESt5tupleIJNSF_6TensorESK_SK_EERKSK_lbbbEUlllE0_EEPmJS9_EEE10hipError_tPvRmT3_T4_T5_T6_T7_T9_mT8_P12ihipStream_tbDpT10_ENKUlT_T0_E_clISt17integral_constantIbLb0EES1A_EEDaS15_S16_EUlS15_E_NS1_11comp_targetILNS1_3genE9ELNS1_11target_archE1100ELNS1_3gpuE3ELNS1_3repE0EEENS1_30default_config_static_selectorELNS0_4arch9wavefront6targetE1EEEvT1_,comdat
.Lfunc_end967:
	.size	_ZN7rocprim17ROCPRIM_400000_NS6detail17trampoline_kernelINS0_14default_configENS1_25partition_config_selectorILNS1_17partition_subalgoE9EllbEEZZNS1_14partition_implILS5_9ELb0ES3_jPlS8_PNS0_10empty_typeENS0_5tupleIJS8_S9_EEENSB_IJS8_SA_EEENS0_18inequality_wrapperIZN2at6native12_GLOBAL__N_124unique_dim_cuda_templateIfEESt5tupleIJNSF_6TensorESK_SK_EERKSK_lbbbEUlllE0_EEPmJS9_EEE10hipError_tPvRmT3_T4_T5_T6_T7_T9_mT8_P12ihipStream_tbDpT10_ENKUlT_T0_E_clISt17integral_constantIbLb0EES1A_EEDaS15_S16_EUlS15_E_NS1_11comp_targetILNS1_3genE9ELNS1_11target_archE1100ELNS1_3gpuE3ELNS1_3repE0EEENS1_30default_config_static_selectorELNS0_4arch9wavefront6targetE1EEEvT1_, .Lfunc_end967-_ZN7rocprim17ROCPRIM_400000_NS6detail17trampoline_kernelINS0_14default_configENS1_25partition_config_selectorILNS1_17partition_subalgoE9EllbEEZZNS1_14partition_implILS5_9ELb0ES3_jPlS8_PNS0_10empty_typeENS0_5tupleIJS8_S9_EEENSB_IJS8_SA_EEENS0_18inequality_wrapperIZN2at6native12_GLOBAL__N_124unique_dim_cuda_templateIfEESt5tupleIJNSF_6TensorESK_SK_EERKSK_lbbbEUlllE0_EEPmJS9_EEE10hipError_tPvRmT3_T4_T5_T6_T7_T9_mT8_P12ihipStream_tbDpT10_ENKUlT_T0_E_clISt17integral_constantIbLb0EES1A_EEDaS15_S16_EUlS15_E_NS1_11comp_targetILNS1_3genE9ELNS1_11target_archE1100ELNS1_3gpuE3ELNS1_3repE0EEENS1_30default_config_static_selectorELNS0_4arch9wavefront6targetE1EEEvT1_
                                        ; -- End function
	.section	.AMDGPU.csdata,"",@progbits
; Kernel info:
; codeLenInByte = 0
; NumSgprs: 4
; NumVgprs: 0
; NumAgprs: 0
; TotalNumVgprs: 0
; ScratchSize: 0
; MemoryBound: 0
; FloatMode: 240
; IeeeMode: 1
; LDSByteSize: 0 bytes/workgroup (compile time only)
; SGPRBlocks: 0
; VGPRBlocks: 0
; NumSGPRsForWavesPerEU: 4
; NumVGPRsForWavesPerEU: 1
; AccumOffset: 4
; Occupancy: 8
; WaveLimiterHint : 0
; COMPUTE_PGM_RSRC2:SCRATCH_EN: 0
; COMPUTE_PGM_RSRC2:USER_SGPR: 6
; COMPUTE_PGM_RSRC2:TRAP_HANDLER: 0
; COMPUTE_PGM_RSRC2:TGID_X_EN: 1
; COMPUTE_PGM_RSRC2:TGID_Y_EN: 0
; COMPUTE_PGM_RSRC2:TGID_Z_EN: 0
; COMPUTE_PGM_RSRC2:TIDIG_COMP_CNT: 0
; COMPUTE_PGM_RSRC3_GFX90A:ACCUM_OFFSET: 0
; COMPUTE_PGM_RSRC3_GFX90A:TG_SPLIT: 0
	.section	.text._ZN7rocprim17ROCPRIM_400000_NS6detail17trampoline_kernelINS0_14default_configENS1_25partition_config_selectorILNS1_17partition_subalgoE9EllbEEZZNS1_14partition_implILS5_9ELb0ES3_jPlS8_PNS0_10empty_typeENS0_5tupleIJS8_S9_EEENSB_IJS8_SA_EEENS0_18inequality_wrapperIZN2at6native12_GLOBAL__N_124unique_dim_cuda_templateIfEESt5tupleIJNSF_6TensorESK_SK_EERKSK_lbbbEUlllE0_EEPmJS9_EEE10hipError_tPvRmT3_T4_T5_T6_T7_T9_mT8_P12ihipStream_tbDpT10_ENKUlT_T0_E_clISt17integral_constantIbLb0EES1A_EEDaS15_S16_EUlS15_E_NS1_11comp_targetILNS1_3genE8ELNS1_11target_archE1030ELNS1_3gpuE2ELNS1_3repE0EEENS1_30default_config_static_selectorELNS0_4arch9wavefront6targetE1EEEvT1_,"axG",@progbits,_ZN7rocprim17ROCPRIM_400000_NS6detail17trampoline_kernelINS0_14default_configENS1_25partition_config_selectorILNS1_17partition_subalgoE9EllbEEZZNS1_14partition_implILS5_9ELb0ES3_jPlS8_PNS0_10empty_typeENS0_5tupleIJS8_S9_EEENSB_IJS8_SA_EEENS0_18inequality_wrapperIZN2at6native12_GLOBAL__N_124unique_dim_cuda_templateIfEESt5tupleIJNSF_6TensorESK_SK_EERKSK_lbbbEUlllE0_EEPmJS9_EEE10hipError_tPvRmT3_T4_T5_T6_T7_T9_mT8_P12ihipStream_tbDpT10_ENKUlT_T0_E_clISt17integral_constantIbLb0EES1A_EEDaS15_S16_EUlS15_E_NS1_11comp_targetILNS1_3genE8ELNS1_11target_archE1030ELNS1_3gpuE2ELNS1_3repE0EEENS1_30default_config_static_selectorELNS0_4arch9wavefront6targetE1EEEvT1_,comdat
	.globl	_ZN7rocprim17ROCPRIM_400000_NS6detail17trampoline_kernelINS0_14default_configENS1_25partition_config_selectorILNS1_17partition_subalgoE9EllbEEZZNS1_14partition_implILS5_9ELb0ES3_jPlS8_PNS0_10empty_typeENS0_5tupleIJS8_S9_EEENSB_IJS8_SA_EEENS0_18inequality_wrapperIZN2at6native12_GLOBAL__N_124unique_dim_cuda_templateIfEESt5tupleIJNSF_6TensorESK_SK_EERKSK_lbbbEUlllE0_EEPmJS9_EEE10hipError_tPvRmT3_T4_T5_T6_T7_T9_mT8_P12ihipStream_tbDpT10_ENKUlT_T0_E_clISt17integral_constantIbLb0EES1A_EEDaS15_S16_EUlS15_E_NS1_11comp_targetILNS1_3genE8ELNS1_11target_archE1030ELNS1_3gpuE2ELNS1_3repE0EEENS1_30default_config_static_selectorELNS0_4arch9wavefront6targetE1EEEvT1_ ; -- Begin function _ZN7rocprim17ROCPRIM_400000_NS6detail17trampoline_kernelINS0_14default_configENS1_25partition_config_selectorILNS1_17partition_subalgoE9EllbEEZZNS1_14partition_implILS5_9ELb0ES3_jPlS8_PNS0_10empty_typeENS0_5tupleIJS8_S9_EEENSB_IJS8_SA_EEENS0_18inequality_wrapperIZN2at6native12_GLOBAL__N_124unique_dim_cuda_templateIfEESt5tupleIJNSF_6TensorESK_SK_EERKSK_lbbbEUlllE0_EEPmJS9_EEE10hipError_tPvRmT3_T4_T5_T6_T7_T9_mT8_P12ihipStream_tbDpT10_ENKUlT_T0_E_clISt17integral_constantIbLb0EES1A_EEDaS15_S16_EUlS15_E_NS1_11comp_targetILNS1_3genE8ELNS1_11target_archE1030ELNS1_3gpuE2ELNS1_3repE0EEENS1_30default_config_static_selectorELNS0_4arch9wavefront6targetE1EEEvT1_
	.p2align	8
	.type	_ZN7rocprim17ROCPRIM_400000_NS6detail17trampoline_kernelINS0_14default_configENS1_25partition_config_selectorILNS1_17partition_subalgoE9EllbEEZZNS1_14partition_implILS5_9ELb0ES3_jPlS8_PNS0_10empty_typeENS0_5tupleIJS8_S9_EEENSB_IJS8_SA_EEENS0_18inequality_wrapperIZN2at6native12_GLOBAL__N_124unique_dim_cuda_templateIfEESt5tupleIJNSF_6TensorESK_SK_EERKSK_lbbbEUlllE0_EEPmJS9_EEE10hipError_tPvRmT3_T4_T5_T6_T7_T9_mT8_P12ihipStream_tbDpT10_ENKUlT_T0_E_clISt17integral_constantIbLb0EES1A_EEDaS15_S16_EUlS15_E_NS1_11comp_targetILNS1_3genE8ELNS1_11target_archE1030ELNS1_3gpuE2ELNS1_3repE0EEENS1_30default_config_static_selectorELNS0_4arch9wavefront6targetE1EEEvT1_,@function
_ZN7rocprim17ROCPRIM_400000_NS6detail17trampoline_kernelINS0_14default_configENS1_25partition_config_selectorILNS1_17partition_subalgoE9EllbEEZZNS1_14partition_implILS5_9ELb0ES3_jPlS8_PNS0_10empty_typeENS0_5tupleIJS8_S9_EEENSB_IJS8_SA_EEENS0_18inequality_wrapperIZN2at6native12_GLOBAL__N_124unique_dim_cuda_templateIfEESt5tupleIJNSF_6TensorESK_SK_EERKSK_lbbbEUlllE0_EEPmJS9_EEE10hipError_tPvRmT3_T4_T5_T6_T7_T9_mT8_P12ihipStream_tbDpT10_ENKUlT_T0_E_clISt17integral_constantIbLb0EES1A_EEDaS15_S16_EUlS15_E_NS1_11comp_targetILNS1_3genE8ELNS1_11target_archE1030ELNS1_3gpuE2ELNS1_3repE0EEENS1_30default_config_static_selectorELNS0_4arch9wavefront6targetE1EEEvT1_: ; @_ZN7rocprim17ROCPRIM_400000_NS6detail17trampoline_kernelINS0_14default_configENS1_25partition_config_selectorILNS1_17partition_subalgoE9EllbEEZZNS1_14partition_implILS5_9ELb0ES3_jPlS8_PNS0_10empty_typeENS0_5tupleIJS8_S9_EEENSB_IJS8_SA_EEENS0_18inequality_wrapperIZN2at6native12_GLOBAL__N_124unique_dim_cuda_templateIfEESt5tupleIJNSF_6TensorESK_SK_EERKSK_lbbbEUlllE0_EEPmJS9_EEE10hipError_tPvRmT3_T4_T5_T6_T7_T9_mT8_P12ihipStream_tbDpT10_ENKUlT_T0_E_clISt17integral_constantIbLb0EES1A_EEDaS15_S16_EUlS15_E_NS1_11comp_targetILNS1_3genE8ELNS1_11target_archE1030ELNS1_3gpuE2ELNS1_3repE0EEENS1_30default_config_static_selectorELNS0_4arch9wavefront6targetE1EEEvT1_
; %bb.0:
	.section	.rodata,"a",@progbits
	.p2align	6, 0x0
	.amdhsa_kernel _ZN7rocprim17ROCPRIM_400000_NS6detail17trampoline_kernelINS0_14default_configENS1_25partition_config_selectorILNS1_17partition_subalgoE9EllbEEZZNS1_14partition_implILS5_9ELb0ES3_jPlS8_PNS0_10empty_typeENS0_5tupleIJS8_S9_EEENSB_IJS8_SA_EEENS0_18inequality_wrapperIZN2at6native12_GLOBAL__N_124unique_dim_cuda_templateIfEESt5tupleIJNSF_6TensorESK_SK_EERKSK_lbbbEUlllE0_EEPmJS9_EEE10hipError_tPvRmT3_T4_T5_T6_T7_T9_mT8_P12ihipStream_tbDpT10_ENKUlT_T0_E_clISt17integral_constantIbLb0EES1A_EEDaS15_S16_EUlS15_E_NS1_11comp_targetILNS1_3genE8ELNS1_11target_archE1030ELNS1_3gpuE2ELNS1_3repE0EEENS1_30default_config_static_selectorELNS0_4arch9wavefront6targetE1EEEvT1_
		.amdhsa_group_segment_fixed_size 0
		.amdhsa_private_segment_fixed_size 0
		.amdhsa_kernarg_size 120
		.amdhsa_user_sgpr_count 6
		.amdhsa_user_sgpr_private_segment_buffer 1
		.amdhsa_user_sgpr_dispatch_ptr 0
		.amdhsa_user_sgpr_queue_ptr 0
		.amdhsa_user_sgpr_kernarg_segment_ptr 1
		.amdhsa_user_sgpr_dispatch_id 0
		.amdhsa_user_sgpr_flat_scratch_init 0
		.amdhsa_user_sgpr_kernarg_preload_length 0
		.amdhsa_user_sgpr_kernarg_preload_offset 0
		.amdhsa_user_sgpr_private_segment_size 0
		.amdhsa_uses_dynamic_stack 0
		.amdhsa_system_sgpr_private_segment_wavefront_offset 0
		.amdhsa_system_sgpr_workgroup_id_x 1
		.amdhsa_system_sgpr_workgroup_id_y 0
		.amdhsa_system_sgpr_workgroup_id_z 0
		.amdhsa_system_sgpr_workgroup_info 0
		.amdhsa_system_vgpr_workitem_id 0
		.amdhsa_next_free_vgpr 1
		.amdhsa_next_free_sgpr 0
		.amdhsa_accum_offset 4
		.amdhsa_reserve_vcc 0
		.amdhsa_reserve_flat_scratch 0
		.amdhsa_float_round_mode_32 0
		.amdhsa_float_round_mode_16_64 0
		.amdhsa_float_denorm_mode_32 3
		.amdhsa_float_denorm_mode_16_64 3
		.amdhsa_dx10_clamp 1
		.amdhsa_ieee_mode 1
		.amdhsa_fp16_overflow 0
		.amdhsa_tg_split 0
		.amdhsa_exception_fp_ieee_invalid_op 0
		.amdhsa_exception_fp_denorm_src 0
		.amdhsa_exception_fp_ieee_div_zero 0
		.amdhsa_exception_fp_ieee_overflow 0
		.amdhsa_exception_fp_ieee_underflow 0
		.amdhsa_exception_fp_ieee_inexact 0
		.amdhsa_exception_int_div_zero 0
	.end_amdhsa_kernel
	.section	.text._ZN7rocprim17ROCPRIM_400000_NS6detail17trampoline_kernelINS0_14default_configENS1_25partition_config_selectorILNS1_17partition_subalgoE9EllbEEZZNS1_14partition_implILS5_9ELb0ES3_jPlS8_PNS0_10empty_typeENS0_5tupleIJS8_S9_EEENSB_IJS8_SA_EEENS0_18inequality_wrapperIZN2at6native12_GLOBAL__N_124unique_dim_cuda_templateIfEESt5tupleIJNSF_6TensorESK_SK_EERKSK_lbbbEUlllE0_EEPmJS9_EEE10hipError_tPvRmT3_T4_T5_T6_T7_T9_mT8_P12ihipStream_tbDpT10_ENKUlT_T0_E_clISt17integral_constantIbLb0EES1A_EEDaS15_S16_EUlS15_E_NS1_11comp_targetILNS1_3genE8ELNS1_11target_archE1030ELNS1_3gpuE2ELNS1_3repE0EEENS1_30default_config_static_selectorELNS0_4arch9wavefront6targetE1EEEvT1_,"axG",@progbits,_ZN7rocprim17ROCPRIM_400000_NS6detail17trampoline_kernelINS0_14default_configENS1_25partition_config_selectorILNS1_17partition_subalgoE9EllbEEZZNS1_14partition_implILS5_9ELb0ES3_jPlS8_PNS0_10empty_typeENS0_5tupleIJS8_S9_EEENSB_IJS8_SA_EEENS0_18inequality_wrapperIZN2at6native12_GLOBAL__N_124unique_dim_cuda_templateIfEESt5tupleIJNSF_6TensorESK_SK_EERKSK_lbbbEUlllE0_EEPmJS9_EEE10hipError_tPvRmT3_T4_T5_T6_T7_T9_mT8_P12ihipStream_tbDpT10_ENKUlT_T0_E_clISt17integral_constantIbLb0EES1A_EEDaS15_S16_EUlS15_E_NS1_11comp_targetILNS1_3genE8ELNS1_11target_archE1030ELNS1_3gpuE2ELNS1_3repE0EEENS1_30default_config_static_selectorELNS0_4arch9wavefront6targetE1EEEvT1_,comdat
.Lfunc_end968:
	.size	_ZN7rocprim17ROCPRIM_400000_NS6detail17trampoline_kernelINS0_14default_configENS1_25partition_config_selectorILNS1_17partition_subalgoE9EllbEEZZNS1_14partition_implILS5_9ELb0ES3_jPlS8_PNS0_10empty_typeENS0_5tupleIJS8_S9_EEENSB_IJS8_SA_EEENS0_18inequality_wrapperIZN2at6native12_GLOBAL__N_124unique_dim_cuda_templateIfEESt5tupleIJNSF_6TensorESK_SK_EERKSK_lbbbEUlllE0_EEPmJS9_EEE10hipError_tPvRmT3_T4_T5_T6_T7_T9_mT8_P12ihipStream_tbDpT10_ENKUlT_T0_E_clISt17integral_constantIbLb0EES1A_EEDaS15_S16_EUlS15_E_NS1_11comp_targetILNS1_3genE8ELNS1_11target_archE1030ELNS1_3gpuE2ELNS1_3repE0EEENS1_30default_config_static_selectorELNS0_4arch9wavefront6targetE1EEEvT1_, .Lfunc_end968-_ZN7rocprim17ROCPRIM_400000_NS6detail17trampoline_kernelINS0_14default_configENS1_25partition_config_selectorILNS1_17partition_subalgoE9EllbEEZZNS1_14partition_implILS5_9ELb0ES3_jPlS8_PNS0_10empty_typeENS0_5tupleIJS8_S9_EEENSB_IJS8_SA_EEENS0_18inequality_wrapperIZN2at6native12_GLOBAL__N_124unique_dim_cuda_templateIfEESt5tupleIJNSF_6TensorESK_SK_EERKSK_lbbbEUlllE0_EEPmJS9_EEE10hipError_tPvRmT3_T4_T5_T6_T7_T9_mT8_P12ihipStream_tbDpT10_ENKUlT_T0_E_clISt17integral_constantIbLb0EES1A_EEDaS15_S16_EUlS15_E_NS1_11comp_targetILNS1_3genE8ELNS1_11target_archE1030ELNS1_3gpuE2ELNS1_3repE0EEENS1_30default_config_static_selectorELNS0_4arch9wavefront6targetE1EEEvT1_
                                        ; -- End function
	.section	.AMDGPU.csdata,"",@progbits
; Kernel info:
; codeLenInByte = 0
; NumSgprs: 4
; NumVgprs: 0
; NumAgprs: 0
; TotalNumVgprs: 0
; ScratchSize: 0
; MemoryBound: 0
; FloatMode: 240
; IeeeMode: 1
; LDSByteSize: 0 bytes/workgroup (compile time only)
; SGPRBlocks: 0
; VGPRBlocks: 0
; NumSGPRsForWavesPerEU: 4
; NumVGPRsForWavesPerEU: 1
; AccumOffset: 4
; Occupancy: 8
; WaveLimiterHint : 0
; COMPUTE_PGM_RSRC2:SCRATCH_EN: 0
; COMPUTE_PGM_RSRC2:USER_SGPR: 6
; COMPUTE_PGM_RSRC2:TRAP_HANDLER: 0
; COMPUTE_PGM_RSRC2:TGID_X_EN: 1
; COMPUTE_PGM_RSRC2:TGID_Y_EN: 0
; COMPUTE_PGM_RSRC2:TGID_Z_EN: 0
; COMPUTE_PGM_RSRC2:TIDIG_COMP_CNT: 0
; COMPUTE_PGM_RSRC3_GFX90A:ACCUM_OFFSET: 0
; COMPUTE_PGM_RSRC3_GFX90A:TG_SPLIT: 0
	.section	.text._ZN7rocprim17ROCPRIM_400000_NS6detail17trampoline_kernelINS0_14default_configENS1_25partition_config_selectorILNS1_17partition_subalgoE9EllbEEZZNS1_14partition_implILS5_9ELb0ES3_jPlS8_PNS0_10empty_typeENS0_5tupleIJS8_S9_EEENSB_IJS8_SA_EEENS0_18inequality_wrapperIZN2at6native12_GLOBAL__N_124unique_dim_cuda_templateIfEESt5tupleIJNSF_6TensorESK_SK_EERKSK_lbbbEUlllE0_EEPmJS9_EEE10hipError_tPvRmT3_T4_T5_T6_T7_T9_mT8_P12ihipStream_tbDpT10_ENKUlT_T0_E_clISt17integral_constantIbLb1EES1A_EEDaS15_S16_EUlS15_E_NS1_11comp_targetILNS1_3genE0ELNS1_11target_archE4294967295ELNS1_3gpuE0ELNS1_3repE0EEENS1_30default_config_static_selectorELNS0_4arch9wavefront6targetE1EEEvT1_,"axG",@progbits,_ZN7rocprim17ROCPRIM_400000_NS6detail17trampoline_kernelINS0_14default_configENS1_25partition_config_selectorILNS1_17partition_subalgoE9EllbEEZZNS1_14partition_implILS5_9ELb0ES3_jPlS8_PNS0_10empty_typeENS0_5tupleIJS8_S9_EEENSB_IJS8_SA_EEENS0_18inequality_wrapperIZN2at6native12_GLOBAL__N_124unique_dim_cuda_templateIfEESt5tupleIJNSF_6TensorESK_SK_EERKSK_lbbbEUlllE0_EEPmJS9_EEE10hipError_tPvRmT3_T4_T5_T6_T7_T9_mT8_P12ihipStream_tbDpT10_ENKUlT_T0_E_clISt17integral_constantIbLb1EES1A_EEDaS15_S16_EUlS15_E_NS1_11comp_targetILNS1_3genE0ELNS1_11target_archE4294967295ELNS1_3gpuE0ELNS1_3repE0EEENS1_30default_config_static_selectorELNS0_4arch9wavefront6targetE1EEEvT1_,comdat
	.globl	_ZN7rocprim17ROCPRIM_400000_NS6detail17trampoline_kernelINS0_14default_configENS1_25partition_config_selectorILNS1_17partition_subalgoE9EllbEEZZNS1_14partition_implILS5_9ELb0ES3_jPlS8_PNS0_10empty_typeENS0_5tupleIJS8_S9_EEENSB_IJS8_SA_EEENS0_18inequality_wrapperIZN2at6native12_GLOBAL__N_124unique_dim_cuda_templateIfEESt5tupleIJNSF_6TensorESK_SK_EERKSK_lbbbEUlllE0_EEPmJS9_EEE10hipError_tPvRmT3_T4_T5_T6_T7_T9_mT8_P12ihipStream_tbDpT10_ENKUlT_T0_E_clISt17integral_constantIbLb1EES1A_EEDaS15_S16_EUlS15_E_NS1_11comp_targetILNS1_3genE0ELNS1_11target_archE4294967295ELNS1_3gpuE0ELNS1_3repE0EEENS1_30default_config_static_selectorELNS0_4arch9wavefront6targetE1EEEvT1_ ; -- Begin function _ZN7rocprim17ROCPRIM_400000_NS6detail17trampoline_kernelINS0_14default_configENS1_25partition_config_selectorILNS1_17partition_subalgoE9EllbEEZZNS1_14partition_implILS5_9ELb0ES3_jPlS8_PNS0_10empty_typeENS0_5tupleIJS8_S9_EEENSB_IJS8_SA_EEENS0_18inequality_wrapperIZN2at6native12_GLOBAL__N_124unique_dim_cuda_templateIfEESt5tupleIJNSF_6TensorESK_SK_EERKSK_lbbbEUlllE0_EEPmJS9_EEE10hipError_tPvRmT3_T4_T5_T6_T7_T9_mT8_P12ihipStream_tbDpT10_ENKUlT_T0_E_clISt17integral_constantIbLb1EES1A_EEDaS15_S16_EUlS15_E_NS1_11comp_targetILNS1_3genE0ELNS1_11target_archE4294967295ELNS1_3gpuE0ELNS1_3repE0EEENS1_30default_config_static_selectorELNS0_4arch9wavefront6targetE1EEEvT1_
	.p2align	8
	.type	_ZN7rocprim17ROCPRIM_400000_NS6detail17trampoline_kernelINS0_14default_configENS1_25partition_config_selectorILNS1_17partition_subalgoE9EllbEEZZNS1_14partition_implILS5_9ELb0ES3_jPlS8_PNS0_10empty_typeENS0_5tupleIJS8_S9_EEENSB_IJS8_SA_EEENS0_18inequality_wrapperIZN2at6native12_GLOBAL__N_124unique_dim_cuda_templateIfEESt5tupleIJNSF_6TensorESK_SK_EERKSK_lbbbEUlllE0_EEPmJS9_EEE10hipError_tPvRmT3_T4_T5_T6_T7_T9_mT8_P12ihipStream_tbDpT10_ENKUlT_T0_E_clISt17integral_constantIbLb1EES1A_EEDaS15_S16_EUlS15_E_NS1_11comp_targetILNS1_3genE0ELNS1_11target_archE4294967295ELNS1_3gpuE0ELNS1_3repE0EEENS1_30default_config_static_selectorELNS0_4arch9wavefront6targetE1EEEvT1_,@function
_ZN7rocprim17ROCPRIM_400000_NS6detail17trampoline_kernelINS0_14default_configENS1_25partition_config_selectorILNS1_17partition_subalgoE9EllbEEZZNS1_14partition_implILS5_9ELb0ES3_jPlS8_PNS0_10empty_typeENS0_5tupleIJS8_S9_EEENSB_IJS8_SA_EEENS0_18inequality_wrapperIZN2at6native12_GLOBAL__N_124unique_dim_cuda_templateIfEESt5tupleIJNSF_6TensorESK_SK_EERKSK_lbbbEUlllE0_EEPmJS9_EEE10hipError_tPvRmT3_T4_T5_T6_T7_T9_mT8_P12ihipStream_tbDpT10_ENKUlT_T0_E_clISt17integral_constantIbLb1EES1A_EEDaS15_S16_EUlS15_E_NS1_11comp_targetILNS1_3genE0ELNS1_11target_archE4294967295ELNS1_3gpuE0ELNS1_3repE0EEENS1_30default_config_static_selectorELNS0_4arch9wavefront6targetE1EEEvT1_: ; @_ZN7rocprim17ROCPRIM_400000_NS6detail17trampoline_kernelINS0_14default_configENS1_25partition_config_selectorILNS1_17partition_subalgoE9EllbEEZZNS1_14partition_implILS5_9ELb0ES3_jPlS8_PNS0_10empty_typeENS0_5tupleIJS8_S9_EEENSB_IJS8_SA_EEENS0_18inequality_wrapperIZN2at6native12_GLOBAL__N_124unique_dim_cuda_templateIfEESt5tupleIJNSF_6TensorESK_SK_EERKSK_lbbbEUlllE0_EEPmJS9_EEE10hipError_tPvRmT3_T4_T5_T6_T7_T9_mT8_P12ihipStream_tbDpT10_ENKUlT_T0_E_clISt17integral_constantIbLb1EES1A_EEDaS15_S16_EUlS15_E_NS1_11comp_targetILNS1_3genE0ELNS1_11target_archE4294967295ELNS1_3gpuE0ELNS1_3repE0EEENS1_30default_config_static_selectorELNS0_4arch9wavefront6targetE1EEEvT1_
; %bb.0:
	.section	.rodata,"a",@progbits
	.p2align	6, 0x0
	.amdhsa_kernel _ZN7rocprim17ROCPRIM_400000_NS6detail17trampoline_kernelINS0_14default_configENS1_25partition_config_selectorILNS1_17partition_subalgoE9EllbEEZZNS1_14partition_implILS5_9ELb0ES3_jPlS8_PNS0_10empty_typeENS0_5tupleIJS8_S9_EEENSB_IJS8_SA_EEENS0_18inequality_wrapperIZN2at6native12_GLOBAL__N_124unique_dim_cuda_templateIfEESt5tupleIJNSF_6TensorESK_SK_EERKSK_lbbbEUlllE0_EEPmJS9_EEE10hipError_tPvRmT3_T4_T5_T6_T7_T9_mT8_P12ihipStream_tbDpT10_ENKUlT_T0_E_clISt17integral_constantIbLb1EES1A_EEDaS15_S16_EUlS15_E_NS1_11comp_targetILNS1_3genE0ELNS1_11target_archE4294967295ELNS1_3gpuE0ELNS1_3repE0EEENS1_30default_config_static_selectorELNS0_4arch9wavefront6targetE1EEEvT1_
		.amdhsa_group_segment_fixed_size 0
		.amdhsa_private_segment_fixed_size 0
		.amdhsa_kernarg_size 136
		.amdhsa_user_sgpr_count 6
		.amdhsa_user_sgpr_private_segment_buffer 1
		.amdhsa_user_sgpr_dispatch_ptr 0
		.amdhsa_user_sgpr_queue_ptr 0
		.amdhsa_user_sgpr_kernarg_segment_ptr 1
		.amdhsa_user_sgpr_dispatch_id 0
		.amdhsa_user_sgpr_flat_scratch_init 0
		.amdhsa_user_sgpr_kernarg_preload_length 0
		.amdhsa_user_sgpr_kernarg_preload_offset 0
		.amdhsa_user_sgpr_private_segment_size 0
		.amdhsa_uses_dynamic_stack 0
		.amdhsa_system_sgpr_private_segment_wavefront_offset 0
		.amdhsa_system_sgpr_workgroup_id_x 1
		.amdhsa_system_sgpr_workgroup_id_y 0
		.amdhsa_system_sgpr_workgroup_id_z 0
		.amdhsa_system_sgpr_workgroup_info 0
		.amdhsa_system_vgpr_workitem_id 0
		.amdhsa_next_free_vgpr 1
		.amdhsa_next_free_sgpr 0
		.amdhsa_accum_offset 4
		.amdhsa_reserve_vcc 0
		.amdhsa_reserve_flat_scratch 0
		.amdhsa_float_round_mode_32 0
		.amdhsa_float_round_mode_16_64 0
		.amdhsa_float_denorm_mode_32 3
		.amdhsa_float_denorm_mode_16_64 3
		.amdhsa_dx10_clamp 1
		.amdhsa_ieee_mode 1
		.amdhsa_fp16_overflow 0
		.amdhsa_tg_split 0
		.amdhsa_exception_fp_ieee_invalid_op 0
		.amdhsa_exception_fp_denorm_src 0
		.amdhsa_exception_fp_ieee_div_zero 0
		.amdhsa_exception_fp_ieee_overflow 0
		.amdhsa_exception_fp_ieee_underflow 0
		.amdhsa_exception_fp_ieee_inexact 0
		.amdhsa_exception_int_div_zero 0
	.end_amdhsa_kernel
	.section	.text._ZN7rocprim17ROCPRIM_400000_NS6detail17trampoline_kernelINS0_14default_configENS1_25partition_config_selectorILNS1_17partition_subalgoE9EllbEEZZNS1_14partition_implILS5_9ELb0ES3_jPlS8_PNS0_10empty_typeENS0_5tupleIJS8_S9_EEENSB_IJS8_SA_EEENS0_18inequality_wrapperIZN2at6native12_GLOBAL__N_124unique_dim_cuda_templateIfEESt5tupleIJNSF_6TensorESK_SK_EERKSK_lbbbEUlllE0_EEPmJS9_EEE10hipError_tPvRmT3_T4_T5_T6_T7_T9_mT8_P12ihipStream_tbDpT10_ENKUlT_T0_E_clISt17integral_constantIbLb1EES1A_EEDaS15_S16_EUlS15_E_NS1_11comp_targetILNS1_3genE0ELNS1_11target_archE4294967295ELNS1_3gpuE0ELNS1_3repE0EEENS1_30default_config_static_selectorELNS0_4arch9wavefront6targetE1EEEvT1_,"axG",@progbits,_ZN7rocprim17ROCPRIM_400000_NS6detail17trampoline_kernelINS0_14default_configENS1_25partition_config_selectorILNS1_17partition_subalgoE9EllbEEZZNS1_14partition_implILS5_9ELb0ES3_jPlS8_PNS0_10empty_typeENS0_5tupleIJS8_S9_EEENSB_IJS8_SA_EEENS0_18inequality_wrapperIZN2at6native12_GLOBAL__N_124unique_dim_cuda_templateIfEESt5tupleIJNSF_6TensorESK_SK_EERKSK_lbbbEUlllE0_EEPmJS9_EEE10hipError_tPvRmT3_T4_T5_T6_T7_T9_mT8_P12ihipStream_tbDpT10_ENKUlT_T0_E_clISt17integral_constantIbLb1EES1A_EEDaS15_S16_EUlS15_E_NS1_11comp_targetILNS1_3genE0ELNS1_11target_archE4294967295ELNS1_3gpuE0ELNS1_3repE0EEENS1_30default_config_static_selectorELNS0_4arch9wavefront6targetE1EEEvT1_,comdat
.Lfunc_end969:
	.size	_ZN7rocprim17ROCPRIM_400000_NS6detail17trampoline_kernelINS0_14default_configENS1_25partition_config_selectorILNS1_17partition_subalgoE9EllbEEZZNS1_14partition_implILS5_9ELb0ES3_jPlS8_PNS0_10empty_typeENS0_5tupleIJS8_S9_EEENSB_IJS8_SA_EEENS0_18inequality_wrapperIZN2at6native12_GLOBAL__N_124unique_dim_cuda_templateIfEESt5tupleIJNSF_6TensorESK_SK_EERKSK_lbbbEUlllE0_EEPmJS9_EEE10hipError_tPvRmT3_T4_T5_T6_T7_T9_mT8_P12ihipStream_tbDpT10_ENKUlT_T0_E_clISt17integral_constantIbLb1EES1A_EEDaS15_S16_EUlS15_E_NS1_11comp_targetILNS1_3genE0ELNS1_11target_archE4294967295ELNS1_3gpuE0ELNS1_3repE0EEENS1_30default_config_static_selectorELNS0_4arch9wavefront6targetE1EEEvT1_, .Lfunc_end969-_ZN7rocprim17ROCPRIM_400000_NS6detail17trampoline_kernelINS0_14default_configENS1_25partition_config_selectorILNS1_17partition_subalgoE9EllbEEZZNS1_14partition_implILS5_9ELb0ES3_jPlS8_PNS0_10empty_typeENS0_5tupleIJS8_S9_EEENSB_IJS8_SA_EEENS0_18inequality_wrapperIZN2at6native12_GLOBAL__N_124unique_dim_cuda_templateIfEESt5tupleIJNSF_6TensorESK_SK_EERKSK_lbbbEUlllE0_EEPmJS9_EEE10hipError_tPvRmT3_T4_T5_T6_T7_T9_mT8_P12ihipStream_tbDpT10_ENKUlT_T0_E_clISt17integral_constantIbLb1EES1A_EEDaS15_S16_EUlS15_E_NS1_11comp_targetILNS1_3genE0ELNS1_11target_archE4294967295ELNS1_3gpuE0ELNS1_3repE0EEENS1_30default_config_static_selectorELNS0_4arch9wavefront6targetE1EEEvT1_
                                        ; -- End function
	.section	.AMDGPU.csdata,"",@progbits
; Kernel info:
; codeLenInByte = 0
; NumSgprs: 4
; NumVgprs: 0
; NumAgprs: 0
; TotalNumVgprs: 0
; ScratchSize: 0
; MemoryBound: 0
; FloatMode: 240
; IeeeMode: 1
; LDSByteSize: 0 bytes/workgroup (compile time only)
; SGPRBlocks: 0
; VGPRBlocks: 0
; NumSGPRsForWavesPerEU: 4
; NumVGPRsForWavesPerEU: 1
; AccumOffset: 4
; Occupancy: 8
; WaveLimiterHint : 0
; COMPUTE_PGM_RSRC2:SCRATCH_EN: 0
; COMPUTE_PGM_RSRC2:USER_SGPR: 6
; COMPUTE_PGM_RSRC2:TRAP_HANDLER: 0
; COMPUTE_PGM_RSRC2:TGID_X_EN: 1
; COMPUTE_PGM_RSRC2:TGID_Y_EN: 0
; COMPUTE_PGM_RSRC2:TGID_Z_EN: 0
; COMPUTE_PGM_RSRC2:TIDIG_COMP_CNT: 0
; COMPUTE_PGM_RSRC3_GFX90A:ACCUM_OFFSET: 0
; COMPUTE_PGM_RSRC3_GFX90A:TG_SPLIT: 0
	.section	.text._ZN7rocprim17ROCPRIM_400000_NS6detail17trampoline_kernelINS0_14default_configENS1_25partition_config_selectorILNS1_17partition_subalgoE9EllbEEZZNS1_14partition_implILS5_9ELb0ES3_jPlS8_PNS0_10empty_typeENS0_5tupleIJS8_S9_EEENSB_IJS8_SA_EEENS0_18inequality_wrapperIZN2at6native12_GLOBAL__N_124unique_dim_cuda_templateIfEESt5tupleIJNSF_6TensorESK_SK_EERKSK_lbbbEUlllE0_EEPmJS9_EEE10hipError_tPvRmT3_T4_T5_T6_T7_T9_mT8_P12ihipStream_tbDpT10_ENKUlT_T0_E_clISt17integral_constantIbLb1EES1A_EEDaS15_S16_EUlS15_E_NS1_11comp_targetILNS1_3genE5ELNS1_11target_archE942ELNS1_3gpuE9ELNS1_3repE0EEENS1_30default_config_static_selectorELNS0_4arch9wavefront6targetE1EEEvT1_,"axG",@progbits,_ZN7rocprim17ROCPRIM_400000_NS6detail17trampoline_kernelINS0_14default_configENS1_25partition_config_selectorILNS1_17partition_subalgoE9EllbEEZZNS1_14partition_implILS5_9ELb0ES3_jPlS8_PNS0_10empty_typeENS0_5tupleIJS8_S9_EEENSB_IJS8_SA_EEENS0_18inequality_wrapperIZN2at6native12_GLOBAL__N_124unique_dim_cuda_templateIfEESt5tupleIJNSF_6TensorESK_SK_EERKSK_lbbbEUlllE0_EEPmJS9_EEE10hipError_tPvRmT3_T4_T5_T6_T7_T9_mT8_P12ihipStream_tbDpT10_ENKUlT_T0_E_clISt17integral_constantIbLb1EES1A_EEDaS15_S16_EUlS15_E_NS1_11comp_targetILNS1_3genE5ELNS1_11target_archE942ELNS1_3gpuE9ELNS1_3repE0EEENS1_30default_config_static_selectorELNS0_4arch9wavefront6targetE1EEEvT1_,comdat
	.globl	_ZN7rocprim17ROCPRIM_400000_NS6detail17trampoline_kernelINS0_14default_configENS1_25partition_config_selectorILNS1_17partition_subalgoE9EllbEEZZNS1_14partition_implILS5_9ELb0ES3_jPlS8_PNS0_10empty_typeENS0_5tupleIJS8_S9_EEENSB_IJS8_SA_EEENS0_18inequality_wrapperIZN2at6native12_GLOBAL__N_124unique_dim_cuda_templateIfEESt5tupleIJNSF_6TensorESK_SK_EERKSK_lbbbEUlllE0_EEPmJS9_EEE10hipError_tPvRmT3_T4_T5_T6_T7_T9_mT8_P12ihipStream_tbDpT10_ENKUlT_T0_E_clISt17integral_constantIbLb1EES1A_EEDaS15_S16_EUlS15_E_NS1_11comp_targetILNS1_3genE5ELNS1_11target_archE942ELNS1_3gpuE9ELNS1_3repE0EEENS1_30default_config_static_selectorELNS0_4arch9wavefront6targetE1EEEvT1_ ; -- Begin function _ZN7rocprim17ROCPRIM_400000_NS6detail17trampoline_kernelINS0_14default_configENS1_25partition_config_selectorILNS1_17partition_subalgoE9EllbEEZZNS1_14partition_implILS5_9ELb0ES3_jPlS8_PNS0_10empty_typeENS0_5tupleIJS8_S9_EEENSB_IJS8_SA_EEENS0_18inequality_wrapperIZN2at6native12_GLOBAL__N_124unique_dim_cuda_templateIfEESt5tupleIJNSF_6TensorESK_SK_EERKSK_lbbbEUlllE0_EEPmJS9_EEE10hipError_tPvRmT3_T4_T5_T6_T7_T9_mT8_P12ihipStream_tbDpT10_ENKUlT_T0_E_clISt17integral_constantIbLb1EES1A_EEDaS15_S16_EUlS15_E_NS1_11comp_targetILNS1_3genE5ELNS1_11target_archE942ELNS1_3gpuE9ELNS1_3repE0EEENS1_30default_config_static_selectorELNS0_4arch9wavefront6targetE1EEEvT1_
	.p2align	8
	.type	_ZN7rocprim17ROCPRIM_400000_NS6detail17trampoline_kernelINS0_14default_configENS1_25partition_config_selectorILNS1_17partition_subalgoE9EllbEEZZNS1_14partition_implILS5_9ELb0ES3_jPlS8_PNS0_10empty_typeENS0_5tupleIJS8_S9_EEENSB_IJS8_SA_EEENS0_18inequality_wrapperIZN2at6native12_GLOBAL__N_124unique_dim_cuda_templateIfEESt5tupleIJNSF_6TensorESK_SK_EERKSK_lbbbEUlllE0_EEPmJS9_EEE10hipError_tPvRmT3_T4_T5_T6_T7_T9_mT8_P12ihipStream_tbDpT10_ENKUlT_T0_E_clISt17integral_constantIbLb1EES1A_EEDaS15_S16_EUlS15_E_NS1_11comp_targetILNS1_3genE5ELNS1_11target_archE942ELNS1_3gpuE9ELNS1_3repE0EEENS1_30default_config_static_selectorELNS0_4arch9wavefront6targetE1EEEvT1_,@function
_ZN7rocprim17ROCPRIM_400000_NS6detail17trampoline_kernelINS0_14default_configENS1_25partition_config_selectorILNS1_17partition_subalgoE9EllbEEZZNS1_14partition_implILS5_9ELb0ES3_jPlS8_PNS0_10empty_typeENS0_5tupleIJS8_S9_EEENSB_IJS8_SA_EEENS0_18inequality_wrapperIZN2at6native12_GLOBAL__N_124unique_dim_cuda_templateIfEESt5tupleIJNSF_6TensorESK_SK_EERKSK_lbbbEUlllE0_EEPmJS9_EEE10hipError_tPvRmT3_T4_T5_T6_T7_T9_mT8_P12ihipStream_tbDpT10_ENKUlT_T0_E_clISt17integral_constantIbLb1EES1A_EEDaS15_S16_EUlS15_E_NS1_11comp_targetILNS1_3genE5ELNS1_11target_archE942ELNS1_3gpuE9ELNS1_3repE0EEENS1_30default_config_static_selectorELNS0_4arch9wavefront6targetE1EEEvT1_: ; @_ZN7rocprim17ROCPRIM_400000_NS6detail17trampoline_kernelINS0_14default_configENS1_25partition_config_selectorILNS1_17partition_subalgoE9EllbEEZZNS1_14partition_implILS5_9ELb0ES3_jPlS8_PNS0_10empty_typeENS0_5tupleIJS8_S9_EEENSB_IJS8_SA_EEENS0_18inequality_wrapperIZN2at6native12_GLOBAL__N_124unique_dim_cuda_templateIfEESt5tupleIJNSF_6TensorESK_SK_EERKSK_lbbbEUlllE0_EEPmJS9_EEE10hipError_tPvRmT3_T4_T5_T6_T7_T9_mT8_P12ihipStream_tbDpT10_ENKUlT_T0_E_clISt17integral_constantIbLb1EES1A_EEDaS15_S16_EUlS15_E_NS1_11comp_targetILNS1_3genE5ELNS1_11target_archE942ELNS1_3gpuE9ELNS1_3repE0EEENS1_30default_config_static_selectorELNS0_4arch9wavefront6targetE1EEEvT1_
; %bb.0:
	.section	.rodata,"a",@progbits
	.p2align	6, 0x0
	.amdhsa_kernel _ZN7rocprim17ROCPRIM_400000_NS6detail17trampoline_kernelINS0_14default_configENS1_25partition_config_selectorILNS1_17partition_subalgoE9EllbEEZZNS1_14partition_implILS5_9ELb0ES3_jPlS8_PNS0_10empty_typeENS0_5tupleIJS8_S9_EEENSB_IJS8_SA_EEENS0_18inequality_wrapperIZN2at6native12_GLOBAL__N_124unique_dim_cuda_templateIfEESt5tupleIJNSF_6TensorESK_SK_EERKSK_lbbbEUlllE0_EEPmJS9_EEE10hipError_tPvRmT3_T4_T5_T6_T7_T9_mT8_P12ihipStream_tbDpT10_ENKUlT_T0_E_clISt17integral_constantIbLb1EES1A_EEDaS15_S16_EUlS15_E_NS1_11comp_targetILNS1_3genE5ELNS1_11target_archE942ELNS1_3gpuE9ELNS1_3repE0EEENS1_30default_config_static_selectorELNS0_4arch9wavefront6targetE1EEEvT1_
		.amdhsa_group_segment_fixed_size 0
		.amdhsa_private_segment_fixed_size 0
		.amdhsa_kernarg_size 136
		.amdhsa_user_sgpr_count 6
		.amdhsa_user_sgpr_private_segment_buffer 1
		.amdhsa_user_sgpr_dispatch_ptr 0
		.amdhsa_user_sgpr_queue_ptr 0
		.amdhsa_user_sgpr_kernarg_segment_ptr 1
		.amdhsa_user_sgpr_dispatch_id 0
		.amdhsa_user_sgpr_flat_scratch_init 0
		.amdhsa_user_sgpr_kernarg_preload_length 0
		.amdhsa_user_sgpr_kernarg_preload_offset 0
		.amdhsa_user_sgpr_private_segment_size 0
		.amdhsa_uses_dynamic_stack 0
		.amdhsa_system_sgpr_private_segment_wavefront_offset 0
		.amdhsa_system_sgpr_workgroup_id_x 1
		.amdhsa_system_sgpr_workgroup_id_y 0
		.amdhsa_system_sgpr_workgroup_id_z 0
		.amdhsa_system_sgpr_workgroup_info 0
		.amdhsa_system_vgpr_workitem_id 0
		.amdhsa_next_free_vgpr 1
		.amdhsa_next_free_sgpr 0
		.amdhsa_accum_offset 4
		.amdhsa_reserve_vcc 0
		.amdhsa_reserve_flat_scratch 0
		.amdhsa_float_round_mode_32 0
		.amdhsa_float_round_mode_16_64 0
		.amdhsa_float_denorm_mode_32 3
		.amdhsa_float_denorm_mode_16_64 3
		.amdhsa_dx10_clamp 1
		.amdhsa_ieee_mode 1
		.amdhsa_fp16_overflow 0
		.amdhsa_tg_split 0
		.amdhsa_exception_fp_ieee_invalid_op 0
		.amdhsa_exception_fp_denorm_src 0
		.amdhsa_exception_fp_ieee_div_zero 0
		.amdhsa_exception_fp_ieee_overflow 0
		.amdhsa_exception_fp_ieee_underflow 0
		.amdhsa_exception_fp_ieee_inexact 0
		.amdhsa_exception_int_div_zero 0
	.end_amdhsa_kernel
	.section	.text._ZN7rocprim17ROCPRIM_400000_NS6detail17trampoline_kernelINS0_14default_configENS1_25partition_config_selectorILNS1_17partition_subalgoE9EllbEEZZNS1_14partition_implILS5_9ELb0ES3_jPlS8_PNS0_10empty_typeENS0_5tupleIJS8_S9_EEENSB_IJS8_SA_EEENS0_18inequality_wrapperIZN2at6native12_GLOBAL__N_124unique_dim_cuda_templateIfEESt5tupleIJNSF_6TensorESK_SK_EERKSK_lbbbEUlllE0_EEPmJS9_EEE10hipError_tPvRmT3_T4_T5_T6_T7_T9_mT8_P12ihipStream_tbDpT10_ENKUlT_T0_E_clISt17integral_constantIbLb1EES1A_EEDaS15_S16_EUlS15_E_NS1_11comp_targetILNS1_3genE5ELNS1_11target_archE942ELNS1_3gpuE9ELNS1_3repE0EEENS1_30default_config_static_selectorELNS0_4arch9wavefront6targetE1EEEvT1_,"axG",@progbits,_ZN7rocprim17ROCPRIM_400000_NS6detail17trampoline_kernelINS0_14default_configENS1_25partition_config_selectorILNS1_17partition_subalgoE9EllbEEZZNS1_14partition_implILS5_9ELb0ES3_jPlS8_PNS0_10empty_typeENS0_5tupleIJS8_S9_EEENSB_IJS8_SA_EEENS0_18inequality_wrapperIZN2at6native12_GLOBAL__N_124unique_dim_cuda_templateIfEESt5tupleIJNSF_6TensorESK_SK_EERKSK_lbbbEUlllE0_EEPmJS9_EEE10hipError_tPvRmT3_T4_T5_T6_T7_T9_mT8_P12ihipStream_tbDpT10_ENKUlT_T0_E_clISt17integral_constantIbLb1EES1A_EEDaS15_S16_EUlS15_E_NS1_11comp_targetILNS1_3genE5ELNS1_11target_archE942ELNS1_3gpuE9ELNS1_3repE0EEENS1_30default_config_static_selectorELNS0_4arch9wavefront6targetE1EEEvT1_,comdat
.Lfunc_end970:
	.size	_ZN7rocprim17ROCPRIM_400000_NS6detail17trampoline_kernelINS0_14default_configENS1_25partition_config_selectorILNS1_17partition_subalgoE9EllbEEZZNS1_14partition_implILS5_9ELb0ES3_jPlS8_PNS0_10empty_typeENS0_5tupleIJS8_S9_EEENSB_IJS8_SA_EEENS0_18inequality_wrapperIZN2at6native12_GLOBAL__N_124unique_dim_cuda_templateIfEESt5tupleIJNSF_6TensorESK_SK_EERKSK_lbbbEUlllE0_EEPmJS9_EEE10hipError_tPvRmT3_T4_T5_T6_T7_T9_mT8_P12ihipStream_tbDpT10_ENKUlT_T0_E_clISt17integral_constantIbLb1EES1A_EEDaS15_S16_EUlS15_E_NS1_11comp_targetILNS1_3genE5ELNS1_11target_archE942ELNS1_3gpuE9ELNS1_3repE0EEENS1_30default_config_static_selectorELNS0_4arch9wavefront6targetE1EEEvT1_, .Lfunc_end970-_ZN7rocprim17ROCPRIM_400000_NS6detail17trampoline_kernelINS0_14default_configENS1_25partition_config_selectorILNS1_17partition_subalgoE9EllbEEZZNS1_14partition_implILS5_9ELb0ES3_jPlS8_PNS0_10empty_typeENS0_5tupleIJS8_S9_EEENSB_IJS8_SA_EEENS0_18inequality_wrapperIZN2at6native12_GLOBAL__N_124unique_dim_cuda_templateIfEESt5tupleIJNSF_6TensorESK_SK_EERKSK_lbbbEUlllE0_EEPmJS9_EEE10hipError_tPvRmT3_T4_T5_T6_T7_T9_mT8_P12ihipStream_tbDpT10_ENKUlT_T0_E_clISt17integral_constantIbLb1EES1A_EEDaS15_S16_EUlS15_E_NS1_11comp_targetILNS1_3genE5ELNS1_11target_archE942ELNS1_3gpuE9ELNS1_3repE0EEENS1_30default_config_static_selectorELNS0_4arch9wavefront6targetE1EEEvT1_
                                        ; -- End function
	.section	.AMDGPU.csdata,"",@progbits
; Kernel info:
; codeLenInByte = 0
; NumSgprs: 4
; NumVgprs: 0
; NumAgprs: 0
; TotalNumVgprs: 0
; ScratchSize: 0
; MemoryBound: 0
; FloatMode: 240
; IeeeMode: 1
; LDSByteSize: 0 bytes/workgroup (compile time only)
; SGPRBlocks: 0
; VGPRBlocks: 0
; NumSGPRsForWavesPerEU: 4
; NumVGPRsForWavesPerEU: 1
; AccumOffset: 4
; Occupancy: 8
; WaveLimiterHint : 0
; COMPUTE_PGM_RSRC2:SCRATCH_EN: 0
; COMPUTE_PGM_RSRC2:USER_SGPR: 6
; COMPUTE_PGM_RSRC2:TRAP_HANDLER: 0
; COMPUTE_PGM_RSRC2:TGID_X_EN: 1
; COMPUTE_PGM_RSRC2:TGID_Y_EN: 0
; COMPUTE_PGM_RSRC2:TGID_Z_EN: 0
; COMPUTE_PGM_RSRC2:TIDIG_COMP_CNT: 0
; COMPUTE_PGM_RSRC3_GFX90A:ACCUM_OFFSET: 0
; COMPUTE_PGM_RSRC3_GFX90A:TG_SPLIT: 0
	.section	.text._ZN7rocprim17ROCPRIM_400000_NS6detail17trampoline_kernelINS0_14default_configENS1_25partition_config_selectorILNS1_17partition_subalgoE9EllbEEZZNS1_14partition_implILS5_9ELb0ES3_jPlS8_PNS0_10empty_typeENS0_5tupleIJS8_S9_EEENSB_IJS8_SA_EEENS0_18inequality_wrapperIZN2at6native12_GLOBAL__N_124unique_dim_cuda_templateIfEESt5tupleIJNSF_6TensorESK_SK_EERKSK_lbbbEUlllE0_EEPmJS9_EEE10hipError_tPvRmT3_T4_T5_T6_T7_T9_mT8_P12ihipStream_tbDpT10_ENKUlT_T0_E_clISt17integral_constantIbLb1EES1A_EEDaS15_S16_EUlS15_E_NS1_11comp_targetILNS1_3genE4ELNS1_11target_archE910ELNS1_3gpuE8ELNS1_3repE0EEENS1_30default_config_static_selectorELNS0_4arch9wavefront6targetE1EEEvT1_,"axG",@progbits,_ZN7rocprim17ROCPRIM_400000_NS6detail17trampoline_kernelINS0_14default_configENS1_25partition_config_selectorILNS1_17partition_subalgoE9EllbEEZZNS1_14partition_implILS5_9ELb0ES3_jPlS8_PNS0_10empty_typeENS0_5tupleIJS8_S9_EEENSB_IJS8_SA_EEENS0_18inequality_wrapperIZN2at6native12_GLOBAL__N_124unique_dim_cuda_templateIfEESt5tupleIJNSF_6TensorESK_SK_EERKSK_lbbbEUlllE0_EEPmJS9_EEE10hipError_tPvRmT3_T4_T5_T6_T7_T9_mT8_P12ihipStream_tbDpT10_ENKUlT_T0_E_clISt17integral_constantIbLb1EES1A_EEDaS15_S16_EUlS15_E_NS1_11comp_targetILNS1_3genE4ELNS1_11target_archE910ELNS1_3gpuE8ELNS1_3repE0EEENS1_30default_config_static_selectorELNS0_4arch9wavefront6targetE1EEEvT1_,comdat
	.globl	_ZN7rocprim17ROCPRIM_400000_NS6detail17trampoline_kernelINS0_14default_configENS1_25partition_config_selectorILNS1_17partition_subalgoE9EllbEEZZNS1_14partition_implILS5_9ELb0ES3_jPlS8_PNS0_10empty_typeENS0_5tupleIJS8_S9_EEENSB_IJS8_SA_EEENS0_18inequality_wrapperIZN2at6native12_GLOBAL__N_124unique_dim_cuda_templateIfEESt5tupleIJNSF_6TensorESK_SK_EERKSK_lbbbEUlllE0_EEPmJS9_EEE10hipError_tPvRmT3_T4_T5_T6_T7_T9_mT8_P12ihipStream_tbDpT10_ENKUlT_T0_E_clISt17integral_constantIbLb1EES1A_EEDaS15_S16_EUlS15_E_NS1_11comp_targetILNS1_3genE4ELNS1_11target_archE910ELNS1_3gpuE8ELNS1_3repE0EEENS1_30default_config_static_selectorELNS0_4arch9wavefront6targetE1EEEvT1_ ; -- Begin function _ZN7rocprim17ROCPRIM_400000_NS6detail17trampoline_kernelINS0_14default_configENS1_25partition_config_selectorILNS1_17partition_subalgoE9EllbEEZZNS1_14partition_implILS5_9ELb0ES3_jPlS8_PNS0_10empty_typeENS0_5tupleIJS8_S9_EEENSB_IJS8_SA_EEENS0_18inequality_wrapperIZN2at6native12_GLOBAL__N_124unique_dim_cuda_templateIfEESt5tupleIJNSF_6TensorESK_SK_EERKSK_lbbbEUlllE0_EEPmJS9_EEE10hipError_tPvRmT3_T4_T5_T6_T7_T9_mT8_P12ihipStream_tbDpT10_ENKUlT_T0_E_clISt17integral_constantIbLb1EES1A_EEDaS15_S16_EUlS15_E_NS1_11comp_targetILNS1_3genE4ELNS1_11target_archE910ELNS1_3gpuE8ELNS1_3repE0EEENS1_30default_config_static_selectorELNS0_4arch9wavefront6targetE1EEEvT1_
	.p2align	8
	.type	_ZN7rocprim17ROCPRIM_400000_NS6detail17trampoline_kernelINS0_14default_configENS1_25partition_config_selectorILNS1_17partition_subalgoE9EllbEEZZNS1_14partition_implILS5_9ELb0ES3_jPlS8_PNS0_10empty_typeENS0_5tupleIJS8_S9_EEENSB_IJS8_SA_EEENS0_18inequality_wrapperIZN2at6native12_GLOBAL__N_124unique_dim_cuda_templateIfEESt5tupleIJNSF_6TensorESK_SK_EERKSK_lbbbEUlllE0_EEPmJS9_EEE10hipError_tPvRmT3_T4_T5_T6_T7_T9_mT8_P12ihipStream_tbDpT10_ENKUlT_T0_E_clISt17integral_constantIbLb1EES1A_EEDaS15_S16_EUlS15_E_NS1_11comp_targetILNS1_3genE4ELNS1_11target_archE910ELNS1_3gpuE8ELNS1_3repE0EEENS1_30default_config_static_selectorELNS0_4arch9wavefront6targetE1EEEvT1_,@function
_ZN7rocprim17ROCPRIM_400000_NS6detail17trampoline_kernelINS0_14default_configENS1_25partition_config_selectorILNS1_17partition_subalgoE9EllbEEZZNS1_14partition_implILS5_9ELb0ES3_jPlS8_PNS0_10empty_typeENS0_5tupleIJS8_S9_EEENSB_IJS8_SA_EEENS0_18inequality_wrapperIZN2at6native12_GLOBAL__N_124unique_dim_cuda_templateIfEESt5tupleIJNSF_6TensorESK_SK_EERKSK_lbbbEUlllE0_EEPmJS9_EEE10hipError_tPvRmT3_T4_T5_T6_T7_T9_mT8_P12ihipStream_tbDpT10_ENKUlT_T0_E_clISt17integral_constantIbLb1EES1A_EEDaS15_S16_EUlS15_E_NS1_11comp_targetILNS1_3genE4ELNS1_11target_archE910ELNS1_3gpuE8ELNS1_3repE0EEENS1_30default_config_static_selectorELNS0_4arch9wavefront6targetE1EEEvT1_: ; @_ZN7rocprim17ROCPRIM_400000_NS6detail17trampoline_kernelINS0_14default_configENS1_25partition_config_selectorILNS1_17partition_subalgoE9EllbEEZZNS1_14partition_implILS5_9ELb0ES3_jPlS8_PNS0_10empty_typeENS0_5tupleIJS8_S9_EEENSB_IJS8_SA_EEENS0_18inequality_wrapperIZN2at6native12_GLOBAL__N_124unique_dim_cuda_templateIfEESt5tupleIJNSF_6TensorESK_SK_EERKSK_lbbbEUlllE0_EEPmJS9_EEE10hipError_tPvRmT3_T4_T5_T6_T7_T9_mT8_P12ihipStream_tbDpT10_ENKUlT_T0_E_clISt17integral_constantIbLb1EES1A_EEDaS15_S16_EUlS15_E_NS1_11comp_targetILNS1_3genE4ELNS1_11target_archE910ELNS1_3gpuE8ELNS1_3repE0EEENS1_30default_config_static_selectorELNS0_4arch9wavefront6targetE1EEEvT1_
; %bb.0:
	s_load_dwordx4 s[8:11], s[4:5], 0x8
	s_load_dwordx2 s[14:15], s[4:5], 0x18
	s_load_dwordx8 s[20:27], s[4:5], 0x40
	s_load_dwordx4 s[16:19], s[4:5], 0x60
	v_cmp_ne_u32_e64 s[2:3], 0, v0
	v_cmp_eq_u32_e64 s[0:1], 0, v0
	s_and_saveexec_b64 s[6:7], s[0:1]
	s_cbranch_execz .LBB971_4
; %bb.1:
	s_mov_b64 s[28:29], exec
	v_mbcnt_lo_u32_b32 v1, s28, 0
	v_mbcnt_hi_u32_b32 v1, s29, v1
	v_cmp_eq_u32_e32 vcc, 0, v1
                                        ; implicit-def: $vgpr2
	s_and_saveexec_b64 s[12:13], vcc
	s_cbranch_execz .LBB971_3
; %bb.2:
	s_load_dwordx2 s[30:31], s[4:5], 0x78
	s_bcnt1_i32_b64 s28, s[28:29]
	v_mov_b32_e32 v2, 0
	v_mov_b32_e32 v3, s28
	s_waitcnt lgkmcnt(0)
	global_atomic_add v2, v2, v3, s[30:31] glc
.LBB971_3:
	s_or_b64 exec, exec, s[12:13]
	s_waitcnt vmcnt(0)
	v_readfirstlane_b32 s12, v2
	v_add_u32_e32 v1, s12, v1
	v_mov_b32_e32 v2, 0
	ds_write_b32 v2, v1
.LBB971_4:
	s_or_b64 exec, exec, s[6:7]
	v_mov_b32_e32 v1, 0
	s_load_dwordx4 s[28:31], s[4:5], 0x28
	s_load_dword s6, s[4:5], 0x70
	s_waitcnt lgkmcnt(0)
	s_barrier
	ds_read_b32 v6, v1
	s_waitcnt lgkmcnt(0)
	s_barrier
	global_load_dwordx2 v[2:3], v1, s[22:23]
	s_lshl_b64 s[36:37], s[10:11], 3
	s_add_u32 s22, s8, s36
	s_addc_u32 s23, s9, s37
	s_add_i32 s12, s6, -1
	s_lshl_b32 s8, s6, 9
	s_lshl_b32 s6, s12, 9
	s_add_i32 s6, s10, s6
	v_readfirstlane_b32 s33, v6
	s_sub_i32 s48, s24, s6
	s_lshl_b32 s6, s33, 9
	s_add_u32 s8, s10, s8
	s_addc_u32 s9, s11, 0
	v_mov_b32_e32 v4, s24
	v_mov_b32_e32 v5, s25
	s_cmp_eq_u32 s33, s12
	v_cmp_ge_u64_e32 vcc, s[8:9], v[4:5]
	s_cselect_b64 s[24:25], -1, 0
	s_mov_b32 s7, 0
	s_and_b64 s[12:13], vcc, s[24:25]
	s_lshl_b64 s[8:9], s[6:7], 3
	s_xor_b64 s[34:35], s[12:13], -1
	s_add_u32 s6, s22, s8
	s_mov_b64 s[4:5], -1
	v_lshrrev_b32_e32 v18, 2, v0
	s_addc_u32 s7, s23, s9
	s_and_b64 vcc, exec, s[34:35]
	s_waitcnt vmcnt(0)
	v_readfirstlane_b32 s22, v2
	v_readfirstlane_b32 s23, v3
	s_cbranch_vccz .LBB971_6
; %bb.5:
	v_lshlrev_b32_e32 v1, 3, v0
	global_load_dwordx2 v[2:3], v1, s[6:7]
	global_load_dwordx2 v[4:5], v1, s[6:7] offset:1024
	global_load_dwordx2 v[6:7], v1, s[6:7] offset:2048
	global_load_dwordx2 v[8:9], v1, s[6:7] offset:3072
	v_or_b32_e32 v11, 0x80, v0
	v_or_b32_e32 v12, 0x100, v0
	;; [unrolled: 1-line block ×3, first 2 shown]
	v_and_b32_e32 v10, 24, v18
	v_lshrrev_b32_e32 v11, 2, v11
	v_lshrrev_b32_e32 v12, 2, v12
	;; [unrolled: 1-line block ×3, first 2 shown]
	v_add_u32_e32 v10, v10, v1
	v_and_b32_e32 v11, 56, v11
	v_and_b32_e32 v12, 0x58, v12
	;; [unrolled: 1-line block ×3, first 2 shown]
	v_add_u32_e32 v11, v11, v1
	v_add_u32_e32 v12, v12, v1
	;; [unrolled: 1-line block ×3, first 2 shown]
	s_mov_b64 s[4:5], 0
	s_waitcnt vmcnt(3)
	ds_write_b64 v10, v[2:3]
	s_waitcnt vmcnt(2)
	ds_write_b64 v11, v[4:5] offset:1024
	s_waitcnt vmcnt(1)
	ds_write_b64 v12, v[6:7] offset:2048
	;; [unrolled: 2-line block ×3, first 2 shown]
	s_waitcnt lgkmcnt(0)
	s_barrier
.LBB971_6:
	s_andn2_b64 vcc, exec, s[4:5]
	v_cmp_gt_u32_e64 s[4:5], s48, v0
	s_cbranch_vccnz .LBB971_16
; %bb.7:
                                        ; implicit-def: $vgpr2_vgpr3_vgpr4_vgpr5_vgpr6_vgpr7_vgpr8_vgpr9
	s_and_saveexec_b64 s[38:39], s[4:5]
	s_cbranch_execz .LBB971_9
; %bb.8:
	v_lshlrev_b32_e32 v1, 3, v0
	global_load_dwordx2 v[2:3], v1, s[6:7]
.LBB971_9:
	s_or_b64 exec, exec, s[38:39]
	v_or_b32_e32 v1, 0x80, v0
	v_cmp_gt_u32_e32 vcc, s48, v1
	s_and_saveexec_b64 s[4:5], vcc
	s_cbranch_execz .LBB971_11
; %bb.10:
	v_lshlrev_b32_e32 v4, 3, v0
	global_load_dwordx2 v[4:5], v4, s[6:7] offset:1024
.LBB971_11:
	s_or_b64 exec, exec, s[4:5]
	v_or_b32_e32 v10, 0x100, v0
	v_cmp_gt_u32_e32 vcc, s48, v10
	s_and_saveexec_b64 s[4:5], vcc
	s_cbranch_execz .LBB971_13
; %bb.12:
	v_lshlrev_b32_e32 v6, 3, v0
	global_load_dwordx2 v[6:7], v6, s[6:7] offset:2048
.LBB971_13:
	;; [unrolled: 9-line block ×3, first 2 shown]
	s_or_b64 exec, exec, s[4:5]
	v_lshrrev_b32_e32 v1, 2, v1
	v_lshlrev_b32_e32 v13, 3, v0
	v_and_b32_e32 v1, 56, v1
	v_add_u32_e32 v1, v1, v13
	s_waitcnt vmcnt(0)
	ds_write_b64 v1, v[4:5] offset:1024
	v_lshrrev_b32_e32 v1, 2, v10
	v_and_b32_e32 v1, 0x78, v1
	v_add_u32_e32 v1, v1, v13
	ds_write_b64 v1, v[6:7] offset:2048
	v_lshrrev_b32_e32 v1, 2, v11
	v_and_b32_e32 v12, 24, v18
	v_and_b32_e32 v1, 0x78, v1
	v_add_u32_e32 v12, v12, v13
	v_add_u32_e32 v1, v1, v13
	ds_write_b64 v12, v[2:3]
	ds_write_b64 v1, v[8:9] offset:3072
	s_waitcnt lgkmcnt(0)
	s_barrier
.LBB971_16:
	v_lshlrev_b32_e32 v1, 2, v0
	v_lshrrev_b32_e32 v2, 3, v0
	v_add_lshl_u32 v19, v2, v1, 3
	ds_read2_b64 v[14:17], v19 offset1:1
	ds_read2_b64 v[10:13], v19 offset0:2 offset1:3
	s_add_u32 s4, s14, s36
	s_addc_u32 s5, s15, s37
	s_add_u32 s4, s4, s8
	s_addc_u32 s5, s5, s9
	s_mov_b64 s[8:9], -1
	s_and_b64 vcc, exec, s[34:35]
	s_waitcnt lgkmcnt(0)
	s_barrier
	s_cbranch_vccz .LBB971_18
; %bb.17:
	v_lshlrev_b32_e32 v20, 3, v0
	global_load_dwordx2 v[2:3], v20, s[4:5]
	global_load_dwordx2 v[4:5], v20, s[4:5] offset:1024
	global_load_dwordx2 v[6:7], v20, s[4:5] offset:2048
	;; [unrolled: 1-line block ×3, first 2 shown]
	v_or_b32_e32 v22, 0x80, v0
	v_or_b32_e32 v23, 0x100, v0
	;; [unrolled: 1-line block ×3, first 2 shown]
	v_and_b32_e32 v21, 24, v18
	v_lshrrev_b32_e32 v22, 2, v22
	v_lshrrev_b32_e32 v23, 2, v23
	v_lshrrev_b32_e32 v24, 2, v24
	v_add_u32_e32 v21, v21, v20
	v_and_b32_e32 v22, 56, v22
	v_and_b32_e32 v23, 0x58, v23
	;; [unrolled: 1-line block ×3, first 2 shown]
	v_add_u32_e32 v22, v22, v20
	v_add_u32_e32 v23, v23, v20
	;; [unrolled: 1-line block ×3, first 2 shown]
	s_mov_b64 s[8:9], 0
	s_waitcnt vmcnt(3)
	ds_write_b64 v21, v[2:3]
	s_waitcnt vmcnt(2)
	ds_write_b64 v22, v[4:5] offset:1024
	s_waitcnt vmcnt(1)
	ds_write_b64 v23, v[6:7] offset:2048
	;; [unrolled: 2-line block ×3, first 2 shown]
	s_waitcnt lgkmcnt(0)
	s_barrier
.LBB971_18:
	s_andn2_b64 vcc, exec, s[8:9]
	s_cbranch_vccnz .LBB971_28
; %bb.19:
	v_cmp_gt_u32_e32 vcc, s48, v0
                                        ; implicit-def: $vgpr2_vgpr3
	s_and_saveexec_b64 s[8:9], vcc
	s_cbranch_execz .LBB971_21
; %bb.20:
	v_lshlrev_b32_e32 v2, 3, v0
	global_load_dwordx2 v[2:3], v2, s[4:5]
.LBB971_21:
	s_or_b64 exec, exec, s[8:9]
	v_or_b32_e32 v20, 0x80, v0
	v_cmp_gt_u32_e32 vcc, s48, v20
                                        ; implicit-def: $vgpr4_vgpr5
	s_and_saveexec_b64 s[8:9], vcc
	s_cbranch_execz .LBB971_23
; %bb.22:
	v_lshlrev_b32_e32 v4, 3, v0
	global_load_dwordx2 v[4:5], v4, s[4:5] offset:1024
.LBB971_23:
	s_or_b64 exec, exec, s[8:9]
	v_or_b32_e32 v21, 0x100, v0
	v_cmp_gt_u32_e32 vcc, s48, v21
                                        ; implicit-def: $vgpr6_vgpr7
	s_and_saveexec_b64 s[8:9], vcc
	s_cbranch_execz .LBB971_25
; %bb.24:
	v_lshlrev_b32_e32 v6, 3, v0
	global_load_dwordx2 v[6:7], v6, s[4:5] offset:2048
.LBB971_25:
	s_or_b64 exec, exec, s[8:9]
	v_or_b32_e32 v22, 0x180, v0
	v_cmp_gt_u32_e32 vcc, s48, v22
                                        ; implicit-def: $vgpr8_vgpr9
	s_and_saveexec_b64 s[8:9], vcc
	s_cbranch_execz .LBB971_27
; %bb.26:
	v_lshlrev_b32_e32 v8, 3, v0
	global_load_dwordx2 v[8:9], v8, s[4:5] offset:3072
.LBB971_27:
	s_or_b64 exec, exec, s[8:9]
	v_and_b32_e32 v18, 24, v18
	v_lshlrev_b32_e32 v23, 3, v0
	v_add_u32_e32 v18, v18, v23
	s_waitcnt vmcnt(0)
	ds_write_b64 v18, v[2:3]
	v_lshrrev_b32_e32 v2, 2, v20
	v_and_b32_e32 v2, 56, v2
	v_add_u32_e32 v2, v2, v23
	ds_write_b64 v2, v[4:5] offset:1024
	v_lshrrev_b32_e32 v2, 2, v21
	v_and_b32_e32 v2, 0x78, v2
	v_add_u32_e32 v2, v2, v23
	ds_write_b64 v2, v[6:7] offset:2048
	;; [unrolled: 4-line block ×3, first 2 shown]
	s_waitcnt lgkmcnt(0)
	s_barrier
.LBB971_28:
	ds_read2_b64 v[6:9], v19 offset1:1
	ds_read2_b64 v[2:5], v19 offset0:2 offset1:3
	s_cmp_lg_u32 s33, 0
	s_cselect_b64 s[36:37], -1, 0
	s_cmp_lg_u64 s[10:11], 0
	s_cselect_b64 s[4:5], -1, 0
	s_or_b64 s[4:5], s[4:5], s[36:37]
	s_mov_b64 s[14:15], 0
	s_and_b64 vcc, exec, s[4:5]
	v_cmp_gt_i64_e64 s[4:5], s[26:27], 0
	s_waitcnt lgkmcnt(0)
	s_barrier
	s_cbranch_vccz .LBB971_37
; %bb.29:
	v_mov_b32_e32 v18, 0
	global_load_dwordx2 v[18:19], v18, s[6:7] offset:-8
	v_cndmask_b32_e64 v20, 0, 1, s[4:5]
	v_lshlrev_b32_e32 v29, 3, v0
	s_mov_b64 s[10:11], 0
	s_and_b64 vcc, exec, s[34:35]
	v_cmp_ne_u32_e64 s[4:5], 1, v20
	ds_write_b64 v29, v[12:13]
	s_cbranch_vccz .LBB971_38
; %bb.30:
	v_mul_lo_u32 v22, v11, s26
	v_mul_lo_u32 v23, v10, s27
	v_mad_u64_u32 v[20:21], s[6:7], v10, s26, 0
	v_add3_u32 v21, v21, v23, v22
	s_and_b64 vcc, exec, s[4:5]
	v_lshlrev_b64 v[20:21], 2, v[20:21]
	s_cbranch_vccnz .LBB971_41
; %bb.31:
	v_mul_lo_u32 v24, v13, s26
	v_mul_lo_u32 v25, v12, s27
	v_mad_u64_u32 v[22:23], s[6:7], v12, s26, 0
	v_add3_u32 v23, v23, v25, v24
	v_mov_b32_e32 v25, s17
	v_add_co_u32_e32 v24, vcc, s16, v20
	v_addc_co_u32_e64 v25, s[6:7], v25, v21, vcc
	v_lshlrev_b64 v[22:23], 2, v[22:23]
	v_mov_b32_e32 v27, s17
	v_add_co_u32_e64 v26, s[6:7], s16, v22
	v_addc_co_u32_e64 v27, s[8:9], v27, v23, s[6:7]
	global_load_dword v22, v[24:25], off
	global_load_dword v28, v[26:27], off
	s_mov_b64 s[10:11], -1
	s_waitcnt vmcnt(0)
	v_cmp_eq_f32_e64 s[8:9], v22, v28
	s_and_saveexec_b64 s[14:15], s[8:9]
	s_cbranch_execz .LBB971_40
; %bb.32:
	v_mov_b32_e32 v22, s17
	v_addc_co_u32_e64 v23, s[6:7], v23, v22, s[6:7]
	v_add_co_u32_e64 v22, s[6:7], 4, v26
	v_mov_b32_e32 v25, s17
	v_addc_co_u32_e64 v23, s[6:7], 0, v23, s[6:7]
	v_addc_co_u32_e32 v25, vcc, v21, v25, vcc
	v_add_co_u32_e32 v24, vcc, 4, v24
	s_add_u32 s6, s26, -1
	v_addc_co_u32_e32 v25, vcc, 0, v25, vcc
	s_addc_u32 s7, s27, -1
	s_mov_b64 s[8:9], 0
	s_mov_b64 s[38:39], 0
                                        ; implicit-def: $sgpr10_sgpr11
	s_branch .LBB971_35
.LBB971_33:                             ;   in Loop: Header=BB971_35 Depth=1
	global_load_dword v26, v[24:25], off
	global_load_dword v27, v[22:23], off
	v_add_co_u32_e32 v22, vcc, 4, v22
	v_addc_co_u32_e32 v23, vcc, 0, v23, vcc
	v_add_co_u32_e32 v24, vcc, 4, v24
	v_addc_co_u32_e32 v25, vcc, 0, v25, vcc
	s_add_u32 s38, s38, 1
	s_addc_u32 s39, s39, 0
	s_andn2_b64 s[10:11], s[10:11], exec
	s_waitcnt vmcnt(0)
	v_cmp_neq_f32_e32 vcc, v26, v27
	s_and_b64 s[40:41], vcc, exec
	s_or_b64 s[10:11], s[10:11], s[40:41]
.LBB971_34:                             ;   in Loop: Header=BB971_35 Depth=1
	s_and_b64 s[40:41], exec, s[10:11]
	s_or_b64 s[8:9], s[40:41], s[8:9]
	v_pk_mov_b32 v[26:27], s[38:39], s[38:39] op_sel:[0,1]
	s_andn2_b64 exec, exec, s[8:9]
	s_cbranch_execz .LBB971_39
.LBB971_35:                             ; =>This Inner Loop Header: Depth=1
	s_or_b64 s[10:11], s[10:11], exec
	s_cmp_eq_u64 s[6:7], s[38:39]
	s_cbranch_scc0 .LBB971_33
; %bb.36:                               ;   in Loop: Header=BB971_35 Depth=1
                                        ; implicit-def: $vgpr22_vgpr23
                                        ; implicit-def: $vgpr24_vgpr25
	s_mov_b64 s[38:39], s[26:27]
	s_branch .LBB971_34
.LBB971_37:
                                        ; implicit-def: $sgpr38_sgpr39
                                        ; implicit-def: $vgpr28
	s_branch .LBB971_119
.LBB971_38:
                                        ; implicit-def: $sgpr38_sgpr39
                                        ; implicit-def: $vgpr28
	s_cbranch_execnz .LBB971_71
	s_branch .LBB971_118
.LBB971_39:
	s_or_b64 exec, exec, s[8:9]
	v_cmp_gt_i64_e32 vcc, s[26:27], v[26:27]
	s_orn2_b64 s[10:11], vcc, exec
.LBB971_40:
	s_or_b64 exec, exec, s[14:15]
.LBB971_41:
	v_mul_lo_u32 v24, v17, s26
	v_mul_lo_u32 v25, v16, s27
	v_mad_u64_u32 v[22:23], s[6:7], v16, s26, 0
	v_add3_u32 v23, v23, v25, v24
	s_mov_b64 s[14:15], 0
	s_and_b64 vcc, exec, s[4:5]
	v_lshlrev_b64 v[22:23], 2, v[22:23]
	s_mov_b64 s[38:39], 0
	s_cbranch_vccnz .LBB971_50
; %bb.42:
	v_mov_b32_e32 v25, s17
	v_add_co_u32_e32 v24, vcc, s16, v22
	v_addc_co_u32_e64 v25, s[6:7], v25, v23, vcc
	v_mov_b32_e32 v27, s17
	v_add_co_u32_e64 v26, s[6:7], s16, v20
	v_addc_co_u32_e64 v27, s[8:9], v27, v21, s[6:7]
	global_load_dword v20, v[24:25], off
	global_load_dword v28, v[26:27], off
	s_mov_b64 s[38:39], -1
	s_waitcnt vmcnt(0)
	v_cmp_eq_f32_e64 s[8:9], v20, v28
	s_and_saveexec_b64 s[40:41], s[8:9]
	s_cbranch_execz .LBB971_49
; %bb.43:
	v_mov_b32_e32 v20, s17
	v_addc_co_u32_e64 v21, s[6:7], v21, v20, s[6:7]
	v_add_co_u32_e64 v20, s[6:7], 4, v26
	v_mov_b32_e32 v25, s17
	v_addc_co_u32_e64 v21, s[6:7], 0, v21, s[6:7]
	v_addc_co_u32_e32 v25, vcc, v23, v25, vcc
	v_add_co_u32_e32 v24, vcc, 4, v24
	s_add_u32 s6, s26, -1
	v_addc_co_u32_e32 v25, vcc, 0, v25, vcc
	s_addc_u32 s7, s27, -1
	s_mov_b64 s[8:9], 0
	s_mov_b64 s[42:43], 0
                                        ; implicit-def: $sgpr38_sgpr39
	s_branch .LBB971_46
.LBB971_44:                             ;   in Loop: Header=BB971_46 Depth=1
	global_load_dword v26, v[24:25], off
	global_load_dword v27, v[20:21], off
	v_add_co_u32_e32 v20, vcc, 4, v20
	v_addc_co_u32_e32 v21, vcc, 0, v21, vcc
	v_add_co_u32_e32 v24, vcc, 4, v24
	v_addc_co_u32_e32 v25, vcc, 0, v25, vcc
	s_add_u32 s42, s42, 1
	s_addc_u32 s43, s43, 0
	s_andn2_b64 s[38:39], s[38:39], exec
	s_waitcnt vmcnt(0)
	v_cmp_neq_f32_e32 vcc, v26, v27
	s_and_b64 s[44:45], vcc, exec
	s_or_b64 s[38:39], s[38:39], s[44:45]
.LBB971_45:                             ;   in Loop: Header=BB971_46 Depth=1
	s_and_b64 s[44:45], exec, s[38:39]
	s_or_b64 s[8:9], s[44:45], s[8:9]
	v_pk_mov_b32 v[26:27], s[42:43], s[42:43] op_sel:[0,1]
	s_andn2_b64 exec, exec, s[8:9]
	s_cbranch_execz .LBB971_48
.LBB971_46:                             ; =>This Inner Loop Header: Depth=1
	s_or_b64 s[38:39], s[38:39], exec
	s_cmp_eq_u64 s[6:7], s[42:43]
	s_cbranch_scc0 .LBB971_44
; %bb.47:                               ;   in Loop: Header=BB971_46 Depth=1
                                        ; implicit-def: $vgpr20_vgpr21
                                        ; implicit-def: $vgpr24_vgpr25
	s_mov_b64 s[42:43], s[26:27]
	s_branch .LBB971_45
.LBB971_48:
	s_or_b64 exec, exec, s[8:9]
	v_cmp_gt_i64_e32 vcc, s[26:27], v[26:27]
	s_orn2_b64 s[38:39], vcc, exec
.LBB971_49:
	s_or_b64 exec, exec, s[40:41]
.LBB971_50:
	v_mul_lo_u32 v24, v15, s26
	v_mul_lo_u32 v25, v14, s27
	v_mad_u64_u32 v[20:21], s[6:7], v14, s26, 0
	v_add3_u32 v21, v21, v25, v24
	s_and_b64 vcc, exec, s[4:5]
	v_lshlrev_b64 v[20:21], 2, v[20:21]
	s_cbranch_vccnz .LBB971_59
; %bb.51:
	v_mov_b32_e32 v25, s17
	v_add_co_u32_e32 v24, vcc, s16, v20
	v_addc_co_u32_e64 v25, s[6:7], v25, v21, vcc
	v_mov_b32_e32 v27, s17
	v_add_co_u32_e64 v26, s[6:7], s16, v22
	v_addc_co_u32_e64 v27, s[8:9], v27, v23, s[6:7]
	global_load_dword v22, v[24:25], off
	global_load_dword v28, v[26:27], off
	s_mov_b64 s[14:15], -1
	s_waitcnt vmcnt(0)
	v_cmp_eq_f32_e64 s[8:9], v22, v28
	s_and_saveexec_b64 s[40:41], s[8:9]
	s_cbranch_execz .LBB971_58
; %bb.52:
	v_mov_b32_e32 v22, s17
	v_addc_co_u32_e64 v23, s[6:7], v23, v22, s[6:7]
	v_add_co_u32_e64 v22, s[6:7], 4, v26
	v_mov_b32_e32 v25, s17
	v_addc_co_u32_e64 v23, s[6:7], 0, v23, s[6:7]
	v_addc_co_u32_e32 v25, vcc, v21, v25, vcc
	v_add_co_u32_e32 v24, vcc, 4, v24
	s_add_u32 s6, s26, -1
	v_addc_co_u32_e32 v25, vcc, 0, v25, vcc
	s_addc_u32 s7, s27, -1
	s_mov_b64 s[8:9], 0
	s_mov_b64 s[42:43], 0
                                        ; implicit-def: $sgpr14_sgpr15
	s_branch .LBB971_55
.LBB971_53:                             ;   in Loop: Header=BB971_55 Depth=1
	global_load_dword v26, v[24:25], off
	global_load_dword v27, v[22:23], off
	v_add_co_u32_e32 v22, vcc, 4, v22
	v_addc_co_u32_e32 v23, vcc, 0, v23, vcc
	v_add_co_u32_e32 v24, vcc, 4, v24
	v_addc_co_u32_e32 v25, vcc, 0, v25, vcc
	s_add_u32 s42, s42, 1
	s_addc_u32 s43, s43, 0
	s_andn2_b64 s[14:15], s[14:15], exec
	s_waitcnt vmcnt(0)
	v_cmp_neq_f32_e32 vcc, v26, v27
	s_and_b64 s[44:45], vcc, exec
	s_or_b64 s[14:15], s[14:15], s[44:45]
.LBB971_54:                             ;   in Loop: Header=BB971_55 Depth=1
	s_and_b64 s[44:45], exec, s[14:15]
	s_or_b64 s[8:9], s[44:45], s[8:9]
	v_pk_mov_b32 v[26:27], s[42:43], s[42:43] op_sel:[0,1]
	s_andn2_b64 exec, exec, s[8:9]
	s_cbranch_execz .LBB971_57
.LBB971_55:                             ; =>This Inner Loop Header: Depth=1
	s_or_b64 s[14:15], s[14:15], exec
	s_cmp_eq_u64 s[6:7], s[42:43]
	s_cbranch_scc0 .LBB971_53
; %bb.56:                               ;   in Loop: Header=BB971_55 Depth=1
                                        ; implicit-def: $vgpr22_vgpr23
                                        ; implicit-def: $vgpr24_vgpr25
	s_mov_b64 s[42:43], s[26:27]
	s_branch .LBB971_54
.LBB971_57:
	s_or_b64 exec, exec, s[8:9]
	v_cmp_gt_i64_e32 vcc, s[26:27], v[26:27]
	s_orn2_b64 s[14:15], vcc, exec
.LBB971_58:
	s_or_b64 exec, exec, s[40:41]
.LBB971_59:
	s_waitcnt vmcnt(0)
	v_pk_mov_b32 v[22:23], v[18:19], v[18:19] op_sel:[0,1]
	s_waitcnt lgkmcnt(0)
	s_barrier
	s_and_saveexec_b64 s[6:7], s[2:3]
	s_cbranch_execz .LBB971_61
; %bb.60:
	v_add_u32_e32 v22, -8, v29
	ds_read_b64 v[22:23], v22
.LBB971_61:
	s_or_b64 exec, exec, s[6:7]
	v_cndmask_b32_e64 v25, 0, 1, s[10:11]
	v_cndmask_b32_e64 v24, 0, 1, s[38:39]
	;; [unrolled: 1-line block ×3, first 2 shown]
	v_lshlrev_b16_e32 v25, 8, v25
	v_lshlrev_b16_e32 v28, 8, v26
	v_or_b32_sdwa v30, v24, v25 dst_sel:WORD_1 dst_unused:UNUSED_PAD src0_sel:DWORD src1_sel:DWORD
	s_mov_b64 s[10:11], 0
	s_and_b64 vcc, exec, s[4:5]
	s_mov_b64 s[38:39], 0
	s_cbranch_vccnz .LBB971_70
; %bb.62:
	s_waitcnt lgkmcnt(0)
	v_mul_lo_u32 v24, v23, s26
	v_mul_lo_u32 v25, v22, s27
	v_mad_u64_u32 v[22:23], s[6:7], v22, s26, 0
	v_add3_u32 v23, v23, v25, v24
	v_lshlrev_b64 v[22:23], 2, v[22:23]
	v_mov_b32_e32 v25, s17
	v_add_co_u32_e32 v24, vcc, s16, v22
	v_addc_co_u32_e64 v25, s[6:7], v25, v23, vcc
	v_mov_b32_e32 v22, s17
	v_add_co_u32_e64 v26, s[6:7], s16, v20
	v_addc_co_u32_e64 v27, s[8:9], v22, v21, s[6:7]
	global_load_dword v20, v[24:25], off
	global_load_dword v22, v[26:27], off
	s_mov_b64 s[38:39], -1
	s_waitcnt vmcnt(0)
	v_cmp_eq_f32_e64 s[8:9], v20, v22
	s_and_saveexec_b64 s[14:15], s[8:9]
	s_cbranch_execz .LBB971_69
; %bb.63:
	v_mov_b32_e32 v20, s17
	v_addc_co_u32_e64 v21, s[6:7], v21, v20, s[6:7]
	v_add_co_u32_e64 v20, s[6:7], 4, v26
	v_mov_b32_e32 v22, s17
	v_addc_co_u32_e64 v21, s[6:7], 0, v21, s[6:7]
	v_addc_co_u32_e32 v23, vcc, v23, v22, vcc
	v_add_co_u32_e32 v22, vcc, 4, v24
	s_add_u32 s6, s26, -1
	v_addc_co_u32_e32 v23, vcc, 0, v23, vcc
	s_addc_u32 s7, s27, -1
	s_mov_b64 s[8:9], 0
	s_mov_b64 s[40:41], 0
                                        ; implicit-def: $sgpr38_sgpr39
	s_branch .LBB971_66
.LBB971_64:                             ;   in Loop: Header=BB971_66 Depth=1
	global_load_dword v24, v[22:23], off
	global_load_dword v25, v[20:21], off
	v_add_co_u32_e32 v20, vcc, 4, v20
	v_addc_co_u32_e32 v21, vcc, 0, v21, vcc
	v_add_co_u32_e32 v22, vcc, 4, v22
	v_addc_co_u32_e32 v23, vcc, 0, v23, vcc
	s_add_u32 s40, s40, 1
	s_addc_u32 s41, s41, 0
	s_andn2_b64 s[38:39], s[38:39], exec
	s_waitcnt vmcnt(0)
	v_cmp_neq_f32_e32 vcc, v24, v25
	s_and_b64 s[42:43], vcc, exec
	s_or_b64 s[38:39], s[38:39], s[42:43]
.LBB971_65:                             ;   in Loop: Header=BB971_66 Depth=1
	s_and_b64 s[42:43], exec, s[38:39]
	s_or_b64 s[8:9], s[42:43], s[8:9]
	v_pk_mov_b32 v[24:25], s[40:41], s[40:41] op_sel:[0,1]
	s_andn2_b64 exec, exec, s[8:9]
	s_cbranch_execz .LBB971_68
.LBB971_66:                             ; =>This Inner Loop Header: Depth=1
	s_or_b64 s[38:39], s[38:39], exec
	s_cmp_eq_u64 s[6:7], s[40:41]
	s_cbranch_scc0 .LBB971_64
; %bb.67:                               ;   in Loop: Header=BB971_66 Depth=1
                                        ; implicit-def: $vgpr20_vgpr21
                                        ; implicit-def: $vgpr22_vgpr23
	s_mov_b64 s[40:41], s[26:27]
	s_branch .LBB971_65
.LBB971_68:
	s_or_b64 exec, exec, s[8:9]
	v_cmp_gt_i64_e32 vcc, s[26:27], v[24:25]
	s_orn2_b64 s[38:39], vcc, exec
.LBB971_69:
	s_or_b64 exec, exec, s[14:15]
.LBB971_70:
	v_or_b32_e32 v28, v28, v30
	s_and_b64 vcc, exec, s[10:11]
	s_cbranch_vccz .LBB971_118
.LBB971_71:
	v_or_b32_e32 v20, 3, v1
	v_cmp_gt_u32_e32 vcc, s48, v20
	s_mov_b64 s[14:15], 0
	s_mov_b64 s[10:11], 0
	s_and_saveexec_b64 s[38:39], vcc
	s_cbranch_execz .LBB971_82
; %bb.72:
	s_and_b64 vcc, exec, s[4:5]
	s_mov_b64 s[40:41], 0
	s_cbranch_vccnz .LBB971_81
; %bb.73:
	s_waitcnt lgkmcnt(0)
	v_mul_lo_u32 v22, v11, s26
	v_mul_lo_u32 v23, v10, s27
	v_mad_u64_u32 v[20:21], s[6:7], v10, s26, 0
	v_add3_u32 v21, v21, v23, v22
	v_mul_lo_u32 v22, v13, s26
	v_mul_lo_u32 v23, v12, s27
	v_mad_u64_u32 v[26:27], s[6:7], v12, s26, 0
	v_add3_u32 v27, v27, v23, v22
	v_lshlrev_b64 v[22:23], 2, v[20:21]
	v_mov_b32_e32 v20, s17
	v_add_co_u32_e32 v24, vcc, s16, v22
	v_addc_co_u32_e64 v25, s[6:7], v20, v23, vcc
	v_lshlrev_b64 v[20:21], 2, v[26:27]
	v_mov_b32_e32 v22, s17
	v_add_co_u32_e64 v26, s[6:7], s16, v20
	v_addc_co_u32_e64 v27, s[8:9], v22, v21, s[6:7]
	global_load_dword v20, v[24:25], off
	global_load_dword v22, v[26:27], off
	s_mov_b64 s[40:41], -1
	s_waitcnt vmcnt(0)
	v_cmp_eq_f32_e64 s[8:9], v20, v22
	s_and_saveexec_b64 s[10:11], s[8:9]
	s_cbranch_execz .LBB971_80
; %bb.74:
	v_mov_b32_e32 v20, s17
	v_addc_co_u32_e64 v21, s[6:7], v21, v20, s[6:7]
	v_add_co_u32_e64 v20, s[6:7], 4, v26
	v_mov_b32_e32 v22, s17
	v_addc_co_u32_e64 v21, s[6:7], 0, v21, s[6:7]
	v_addc_co_u32_e32 v23, vcc, v23, v22, vcc
	v_add_co_u32_e32 v22, vcc, 4, v24
	s_add_u32 s6, s26, -1
	v_addc_co_u32_e32 v23, vcc, 0, v23, vcc
	s_addc_u32 s7, s27, -1
	s_mov_b64 s[8:9], 0
	s_mov_b64 s[42:43], 0
                                        ; implicit-def: $sgpr40_sgpr41
	s_branch .LBB971_77
.LBB971_75:                             ;   in Loop: Header=BB971_77 Depth=1
	global_load_dword v24, v[22:23], off
	global_load_dword v25, v[20:21], off
	v_add_co_u32_e32 v20, vcc, 4, v20
	v_addc_co_u32_e32 v21, vcc, 0, v21, vcc
	v_add_co_u32_e32 v22, vcc, 4, v22
	v_addc_co_u32_e32 v23, vcc, 0, v23, vcc
	s_add_u32 s42, s42, 1
	s_addc_u32 s43, s43, 0
	s_andn2_b64 s[40:41], s[40:41], exec
	s_waitcnt vmcnt(0)
	v_cmp_neq_f32_e32 vcc, v24, v25
	s_and_b64 s[44:45], vcc, exec
	s_or_b64 s[40:41], s[40:41], s[44:45]
.LBB971_76:                             ;   in Loop: Header=BB971_77 Depth=1
	s_and_b64 s[44:45], exec, s[40:41]
	s_or_b64 s[8:9], s[44:45], s[8:9]
	v_pk_mov_b32 v[24:25], s[42:43], s[42:43] op_sel:[0,1]
	s_andn2_b64 exec, exec, s[8:9]
	s_cbranch_execz .LBB971_79
.LBB971_77:                             ; =>This Inner Loop Header: Depth=1
	s_or_b64 s[40:41], s[40:41], exec
	s_cmp_eq_u64 s[6:7], s[42:43]
	s_cbranch_scc0 .LBB971_75
; %bb.78:                               ;   in Loop: Header=BB971_77 Depth=1
                                        ; implicit-def: $vgpr20_vgpr21
                                        ; implicit-def: $vgpr22_vgpr23
	s_mov_b64 s[42:43], s[26:27]
	s_branch .LBB971_76
.LBB971_79:
	s_or_b64 exec, exec, s[8:9]
	v_cmp_gt_i64_e32 vcc, s[26:27], v[24:25]
	s_orn2_b64 s[40:41], vcc, exec
.LBB971_80:
	s_or_b64 exec, exec, s[10:11]
.LBB971_81:
	s_and_b64 s[10:11], s[40:41], exec
.LBB971_82:
	s_or_b64 exec, exec, s[38:39]
	v_or_b32_e32 v20, 2, v1
	v_cmp_gt_u32_e32 vcc, s48, v20
	s_and_saveexec_b64 s[38:39], vcc
	s_cbranch_execz .LBB971_93
; %bb.83:
	s_and_b64 vcc, exec, s[4:5]
	s_mov_b64 s[40:41], 0
	s_cbranch_vccnz .LBB971_92
; %bb.84:
	s_waitcnt lgkmcnt(0)
	v_mul_lo_u32 v22, v17, s26
	v_mul_lo_u32 v23, v16, s27
	v_mad_u64_u32 v[20:21], s[6:7], v16, s26, 0
	v_add3_u32 v21, v21, v23, v22
	v_mul_lo_u32 v22, v11, s26
	v_mul_lo_u32 v23, v10, s27
	v_mad_u64_u32 v[26:27], s[6:7], v10, s26, 0
	v_add3_u32 v27, v27, v23, v22
	v_lshlrev_b64 v[22:23], 2, v[20:21]
	v_mov_b32_e32 v20, s17
	v_add_co_u32_e32 v24, vcc, s16, v22
	v_addc_co_u32_e64 v25, s[6:7], v20, v23, vcc
	v_lshlrev_b64 v[20:21], 2, v[26:27]
	v_mov_b32_e32 v22, s17
	v_add_co_u32_e64 v26, s[6:7], s16, v20
	v_addc_co_u32_e64 v27, s[8:9], v22, v21, s[6:7]
	global_load_dword v20, v[24:25], off
	global_load_dword v22, v[26:27], off
	s_mov_b64 s[40:41], -1
	s_waitcnt vmcnt(0)
	v_cmp_eq_f32_e64 s[8:9], v20, v22
	s_and_saveexec_b64 s[14:15], s[8:9]
	s_cbranch_execz .LBB971_91
; %bb.85:
	v_mov_b32_e32 v20, s17
	v_addc_co_u32_e64 v21, s[6:7], v21, v20, s[6:7]
	v_add_co_u32_e64 v20, s[6:7], 4, v26
	v_mov_b32_e32 v22, s17
	v_addc_co_u32_e64 v21, s[6:7], 0, v21, s[6:7]
	v_addc_co_u32_e32 v23, vcc, v23, v22, vcc
	v_add_co_u32_e32 v22, vcc, 4, v24
	s_add_u32 s6, s26, -1
	v_addc_co_u32_e32 v23, vcc, 0, v23, vcc
	s_addc_u32 s7, s27, -1
	s_mov_b64 s[8:9], 0
	s_mov_b64 s[42:43], 0
                                        ; implicit-def: $sgpr40_sgpr41
	s_branch .LBB971_88
.LBB971_86:                             ;   in Loop: Header=BB971_88 Depth=1
	global_load_dword v24, v[22:23], off
	global_load_dword v25, v[20:21], off
	v_add_co_u32_e32 v20, vcc, 4, v20
	v_addc_co_u32_e32 v21, vcc, 0, v21, vcc
	v_add_co_u32_e32 v22, vcc, 4, v22
	v_addc_co_u32_e32 v23, vcc, 0, v23, vcc
	s_add_u32 s42, s42, 1
	s_addc_u32 s43, s43, 0
	s_andn2_b64 s[40:41], s[40:41], exec
	s_waitcnt vmcnt(0)
	v_cmp_neq_f32_e32 vcc, v24, v25
	s_and_b64 s[44:45], vcc, exec
	s_or_b64 s[40:41], s[40:41], s[44:45]
.LBB971_87:                             ;   in Loop: Header=BB971_88 Depth=1
	s_and_b64 s[44:45], exec, s[40:41]
	s_or_b64 s[8:9], s[44:45], s[8:9]
	v_pk_mov_b32 v[24:25], s[42:43], s[42:43] op_sel:[0,1]
	s_andn2_b64 exec, exec, s[8:9]
	s_cbranch_execz .LBB971_90
.LBB971_88:                             ; =>This Inner Loop Header: Depth=1
	s_or_b64 s[40:41], s[40:41], exec
	s_cmp_eq_u64 s[6:7], s[42:43]
	s_cbranch_scc0 .LBB971_86
; %bb.89:                               ;   in Loop: Header=BB971_88 Depth=1
                                        ; implicit-def: $vgpr20_vgpr21
                                        ; implicit-def: $vgpr22_vgpr23
	s_mov_b64 s[42:43], s[26:27]
	s_branch .LBB971_87
.LBB971_90:
	s_or_b64 exec, exec, s[8:9]
	v_cmp_gt_i64_e32 vcc, s[26:27], v[24:25]
	s_orn2_b64 s[40:41], vcc, exec
.LBB971_91:
	s_or_b64 exec, exec, s[14:15]
.LBB971_92:
	s_and_b64 s[14:15], s[40:41], exec
.LBB971_93:
	s_or_b64 exec, exec, s[38:39]
	v_or_b32_e32 v20, 1, v1
	v_cmp_gt_u32_e32 vcc, s48, v20
	s_mov_b64 s[6:7], 0
	s_and_saveexec_b64 s[38:39], vcc
	s_cbranch_execz .LBB971_104
; %bb.94:
	s_and_b64 vcc, exec, s[4:5]
	s_mov_b64 s[42:43], 0
	s_cbranch_vccnz .LBB971_103
; %bb.95:
	s_waitcnt lgkmcnt(0)
	v_mul_lo_u32 v22, v15, s26
	v_mul_lo_u32 v23, v14, s27
	v_mad_u64_u32 v[20:21], s[6:7], v14, s26, 0
	v_add3_u32 v21, v21, v23, v22
	v_mul_lo_u32 v22, v17, s26
	v_mul_lo_u32 v23, v16, s27
	v_mad_u64_u32 v[26:27], s[6:7], v16, s26, 0
	v_add3_u32 v27, v27, v23, v22
	v_lshlrev_b64 v[22:23], 2, v[20:21]
	v_mov_b32_e32 v20, s17
	v_add_co_u32_e32 v24, vcc, s16, v22
	v_addc_co_u32_e64 v25, s[6:7], v20, v23, vcc
	v_lshlrev_b64 v[20:21], 2, v[26:27]
	v_mov_b32_e32 v22, s17
	v_add_co_u32_e64 v26, s[6:7], s16, v20
	v_addc_co_u32_e64 v27, s[8:9], v22, v21, s[6:7]
	global_load_dword v20, v[24:25], off
	global_load_dword v22, v[26:27], off
	s_mov_b64 s[42:43], -1
	s_waitcnt vmcnt(0)
	v_cmp_eq_f32_e64 s[8:9], v20, v22
	s_and_saveexec_b64 s[40:41], s[8:9]
	s_cbranch_execz .LBB971_102
; %bb.96:
	v_mov_b32_e32 v20, s17
	v_addc_co_u32_e64 v21, s[6:7], v21, v20, s[6:7]
	v_add_co_u32_e64 v20, s[6:7], 4, v26
	v_mov_b32_e32 v22, s17
	v_addc_co_u32_e64 v21, s[6:7], 0, v21, s[6:7]
	v_addc_co_u32_e32 v23, vcc, v23, v22, vcc
	v_add_co_u32_e32 v22, vcc, 4, v24
	s_add_u32 s6, s26, -1
	v_addc_co_u32_e32 v23, vcc, 0, v23, vcc
	s_addc_u32 s7, s27, -1
	s_mov_b64 s[8:9], 0
	s_mov_b64 s[44:45], 0
                                        ; implicit-def: $sgpr42_sgpr43
	s_branch .LBB971_99
.LBB971_97:                             ;   in Loop: Header=BB971_99 Depth=1
	global_load_dword v24, v[22:23], off
	global_load_dword v25, v[20:21], off
	v_add_co_u32_e32 v20, vcc, 4, v20
	v_addc_co_u32_e32 v21, vcc, 0, v21, vcc
	v_add_co_u32_e32 v22, vcc, 4, v22
	v_addc_co_u32_e32 v23, vcc, 0, v23, vcc
	s_add_u32 s44, s44, 1
	s_addc_u32 s45, s45, 0
	s_andn2_b64 s[42:43], s[42:43], exec
	s_waitcnt vmcnt(0)
	v_cmp_neq_f32_e32 vcc, v24, v25
	s_and_b64 s[46:47], vcc, exec
	s_or_b64 s[42:43], s[42:43], s[46:47]
.LBB971_98:                             ;   in Loop: Header=BB971_99 Depth=1
	s_and_b64 s[46:47], exec, s[42:43]
	s_or_b64 s[8:9], s[46:47], s[8:9]
	v_pk_mov_b32 v[24:25], s[44:45], s[44:45] op_sel:[0,1]
	s_andn2_b64 exec, exec, s[8:9]
	s_cbranch_execz .LBB971_101
.LBB971_99:                             ; =>This Inner Loop Header: Depth=1
	s_or_b64 s[42:43], s[42:43], exec
	s_cmp_eq_u64 s[6:7], s[44:45]
	s_cbranch_scc0 .LBB971_97
; %bb.100:                              ;   in Loop: Header=BB971_99 Depth=1
                                        ; implicit-def: $vgpr20_vgpr21
                                        ; implicit-def: $vgpr22_vgpr23
	s_mov_b64 s[44:45], s[26:27]
	s_branch .LBB971_98
.LBB971_101:
	s_or_b64 exec, exec, s[8:9]
	v_cmp_gt_i64_e32 vcc, s[26:27], v[24:25]
	s_orn2_b64 s[42:43], vcc, exec
.LBB971_102:
	s_or_b64 exec, exec, s[40:41]
.LBB971_103:
	s_and_b64 s[6:7], s[42:43], exec
.LBB971_104:
	s_or_b64 exec, exec, s[38:39]
	s_waitcnt lgkmcnt(0)
	s_barrier
	s_and_saveexec_b64 s[8:9], s[2:3]
	s_cbranch_execz .LBB971_106
; %bb.105:
	s_waitcnt vmcnt(0)
	v_add_u32_e32 v18, -8, v29
	ds_read_b64 v[18:19], v18
.LBB971_106:
	s_or_b64 exec, exec, s[8:9]
	v_cndmask_b32_e64 v21, 0, 1, s[10:11]
	v_cndmask_b32_e64 v20, 0, 1, s[14:15]
	;; [unrolled: 1-line block ×3, first 2 shown]
	v_lshlrev_b16_e32 v21, 8, v21
	v_lshlrev_b16_e32 v26, 8, v22
	v_or_b32_sdwa v27, v20, v21 dst_sel:WORD_1 dst_unused:UNUSED_PAD src0_sel:DWORD src1_sel:DWORD
	v_cmp_gt_u32_e32 vcc, s48, v1
	s_mov_b64 s[38:39], 0
	s_and_saveexec_b64 s[8:9], vcc
	s_cbranch_execz .LBB971_117
; %bb.107:
	s_and_b64 vcc, exec, s[4:5]
	s_mov_b64 s[14:15], 0
	s_cbranch_vccnz .LBB971_116
; %bb.108:
	s_waitcnt vmcnt(0) lgkmcnt(0)
	v_mul_lo_u32 v20, v19, s26
	v_mul_lo_u32 v21, v18, s27
	v_mad_u64_u32 v[18:19], s[4:5], v18, s26, 0
	v_add3_u32 v19, v19, v21, v20
	v_mul_lo_u32 v20, v15, s26
	v_mul_lo_u32 v21, v14, s27
	v_mad_u64_u32 v[24:25], s[4:5], v14, s26, 0
	v_add3_u32 v25, v25, v21, v20
	v_lshlrev_b64 v[20:21], 2, v[18:19]
	v_mov_b32_e32 v18, s17
	v_add_co_u32_e32 v22, vcc, s16, v20
	v_addc_co_u32_e64 v23, s[4:5], v18, v21, vcc
	v_lshlrev_b64 v[18:19], 2, v[24:25]
	v_mov_b32_e32 v20, s17
	v_add_co_u32_e64 v24, s[4:5], s16, v18
	v_addc_co_u32_e64 v25, s[6:7], v20, v19, s[4:5]
	global_load_dword v18, v[22:23], off
	global_load_dword v20, v[24:25], off
	s_mov_b64 s[14:15], -1
	s_waitcnt vmcnt(0)
	v_cmp_eq_f32_e64 s[6:7], v18, v20
	s_and_saveexec_b64 s[10:11], s[6:7]
	s_cbranch_execz .LBB971_115
; %bb.109:
	v_mov_b32_e32 v18, s17
	v_addc_co_u32_e64 v19, s[4:5], v19, v18, s[4:5]
	v_add_co_u32_e64 v18, s[4:5], 4, v24
	v_mov_b32_e32 v20, s17
	v_addc_co_u32_e64 v19, s[4:5], 0, v19, s[4:5]
	v_addc_co_u32_e32 v21, vcc, v21, v20, vcc
	v_add_co_u32_e32 v20, vcc, 4, v22
	s_add_u32 s4, s26, -1
	v_addc_co_u32_e32 v21, vcc, 0, v21, vcc
	s_addc_u32 s5, s27, -1
	s_mov_b64 s[6:7], 0
                                        ; implicit-def: $sgpr14_sgpr15
	s_branch .LBB971_112
.LBB971_110:                            ;   in Loop: Header=BB971_112 Depth=1
	global_load_dword v22, v[20:21], off
	global_load_dword v23, v[18:19], off
	v_add_co_u32_e32 v18, vcc, 4, v18
	v_addc_co_u32_e32 v19, vcc, 0, v19, vcc
	v_add_co_u32_e32 v20, vcc, 4, v20
	v_addc_co_u32_e32 v21, vcc, 0, v21, vcc
	s_add_u32 s38, s38, 1
	s_addc_u32 s39, s39, 0
	s_andn2_b64 s[14:15], s[14:15], exec
	s_waitcnt vmcnt(0)
	v_cmp_neq_f32_e32 vcc, v22, v23
	s_and_b64 s[40:41], vcc, exec
	s_or_b64 s[14:15], s[14:15], s[40:41]
.LBB971_111:                            ;   in Loop: Header=BB971_112 Depth=1
	s_and_b64 s[40:41], exec, s[14:15]
	s_or_b64 s[6:7], s[40:41], s[6:7]
	v_pk_mov_b32 v[22:23], s[38:39], s[38:39] op_sel:[0,1]
	s_andn2_b64 exec, exec, s[6:7]
	s_cbranch_execz .LBB971_114
.LBB971_112:                            ; =>This Inner Loop Header: Depth=1
	s_or_b64 s[14:15], s[14:15], exec
	s_cmp_eq_u64 s[4:5], s[38:39]
	s_cbranch_scc0 .LBB971_110
; %bb.113:                              ;   in Loop: Header=BB971_112 Depth=1
                                        ; implicit-def: $vgpr18_vgpr19
                                        ; implicit-def: $vgpr20_vgpr21
	s_mov_b64 s[38:39], s[26:27]
	s_branch .LBB971_111
.LBB971_114:
	s_or_b64 exec, exec, s[6:7]
	v_cmp_gt_i64_e32 vcc, s[26:27], v[22:23]
	s_orn2_b64 s[14:15], vcc, exec
.LBB971_115:
	s_or_b64 exec, exec, s[10:11]
.LBB971_116:
	s_and_b64 s[38:39], s[14:15], exec
.LBB971_117:
	s_or_b64 exec, exec, s[8:9]
	v_or_b32_e32 v28, v26, v27
.LBB971_118:
	s_mov_b64 s[14:15], -1
	s_cbranch_execnz .LBB971_207
.LBB971_119:
	v_lshlrev_b32_e32 v29, 3, v0
	s_mov_b64 s[38:39], 0
	v_cmp_gt_i64_e64 s[10:11], s[26:27], 0
	s_and_b64 vcc, exec, s[34:35]
	ds_write_b64 v29, v[12:13]
	s_cbranch_vccz .LBB971_127
; %bb.120:
	v_mul_lo_u32 v20, v11, s26
	v_mul_lo_u32 v21, v10, s27
	s_waitcnt vmcnt(0) lgkmcnt(1)
	v_mad_u64_u32 v[18:19], s[4:5], v10, s26, 0
	v_add3_u32 v19, v19, v21, v20
	v_cndmask_b32_e64 v20, 0, 1, s[10:11]
	v_cmp_ne_u32_e64 s[4:5], 1, v20
	s_andn2_b64 vcc, exec, s[10:11]
	v_lshlrev_b64 v[18:19], 2, v[18:19]
	s_cbranch_vccnz .LBB971_130
; %bb.121:
	v_mul_lo_u32 v22, v13, s26
	v_mul_lo_u32 v23, v12, s27
	v_mad_u64_u32 v[20:21], s[6:7], v12, s26, 0
	v_add3_u32 v21, v21, v23, v22
	v_mov_b32_e32 v23, s17
	v_add_co_u32_e32 v22, vcc, s16, v18
	v_addc_co_u32_e64 v23, s[6:7], v23, v19, vcc
	v_lshlrev_b64 v[20:21], 2, v[20:21]
	v_mov_b32_e32 v25, s17
	v_add_co_u32_e64 v24, s[6:7], s16, v20
	v_addc_co_u32_e64 v25, s[8:9], v25, v21, s[6:7]
	global_load_dword v20, v[22:23], off
	global_load_dword v26, v[24:25], off
	s_mov_b64 s[38:39], -1
	s_waitcnt vmcnt(0)
	v_cmp_eq_f32_e64 s[8:9], v20, v26
	s_and_saveexec_b64 s[40:41], s[8:9]
	s_cbranch_execz .LBB971_129
; %bb.122:
	v_mov_b32_e32 v20, s17
	v_addc_co_u32_e64 v21, s[6:7], v21, v20, s[6:7]
	v_add_co_u32_e64 v20, s[6:7], 4, v24
	v_mov_b32_e32 v23, s17
	v_addc_co_u32_e64 v21, s[6:7], 0, v21, s[6:7]
	v_addc_co_u32_e32 v23, vcc, v19, v23, vcc
	v_add_co_u32_e32 v22, vcc, 4, v22
	s_add_u32 s6, s26, -1
	v_addc_co_u32_e32 v23, vcc, 0, v23, vcc
	s_addc_u32 s7, s27, -1
	s_mov_b64 s[8:9], 0
	s_mov_b64 s[42:43], 0
                                        ; implicit-def: $sgpr38_sgpr39
	s_branch .LBB971_125
.LBB971_123:                            ;   in Loop: Header=BB971_125 Depth=1
	global_load_dword v24, v[22:23], off
	global_load_dword v25, v[20:21], off
	v_add_co_u32_e32 v20, vcc, 4, v20
	v_addc_co_u32_e32 v21, vcc, 0, v21, vcc
	v_add_co_u32_e32 v22, vcc, 4, v22
	v_addc_co_u32_e32 v23, vcc, 0, v23, vcc
	s_add_u32 s42, s42, 1
	s_addc_u32 s43, s43, 0
	s_andn2_b64 s[38:39], s[38:39], exec
	s_waitcnt vmcnt(0)
	v_cmp_neq_f32_e32 vcc, v24, v25
	s_and_b64 s[44:45], vcc, exec
	s_or_b64 s[38:39], s[38:39], s[44:45]
.LBB971_124:                            ;   in Loop: Header=BB971_125 Depth=1
	s_and_b64 s[44:45], exec, s[38:39]
	s_or_b64 s[8:9], s[44:45], s[8:9]
	v_pk_mov_b32 v[24:25], s[42:43], s[42:43] op_sel:[0,1]
	s_andn2_b64 exec, exec, s[8:9]
	s_cbranch_execz .LBB971_128
.LBB971_125:                            ; =>This Inner Loop Header: Depth=1
	s_or_b64 s[38:39], s[38:39], exec
	s_cmp_eq_u64 s[6:7], s[42:43]
	s_cbranch_scc0 .LBB971_123
; %bb.126:                              ;   in Loop: Header=BB971_125 Depth=1
                                        ; implicit-def: $vgpr20_vgpr21
                                        ; implicit-def: $vgpr22_vgpr23
	s_mov_b64 s[42:43], s[26:27]
	s_branch .LBB971_124
.LBB971_127:
                                        ; implicit-def: $sgpr38_sgpr39
                                        ; implicit-def: $vgpr28
	s_cbranch_execnz .LBB971_160
	s_branch .LBB971_207
.LBB971_128:
	s_or_b64 exec, exec, s[8:9]
	v_cmp_gt_i64_e32 vcc, s[26:27], v[24:25]
	s_orn2_b64 s[38:39], vcc, exec
.LBB971_129:
	s_or_b64 exec, exec, s[40:41]
.LBB971_130:
	v_mul_lo_u32 v22, v17, s26
	v_mul_lo_u32 v23, v16, s27
	v_mad_u64_u32 v[20:21], s[6:7], v16, s26, 0
	v_add3_u32 v21, v21, v23, v22
	s_mov_b64 s[40:41], 0
	s_and_b64 vcc, exec, s[4:5]
	v_lshlrev_b64 v[20:21], 2, v[20:21]
	s_mov_b64 s[42:43], 0
	s_cbranch_vccnz .LBB971_139
; %bb.131:
	v_mov_b32_e32 v23, s17
	v_add_co_u32_e32 v22, vcc, s16, v20
	v_addc_co_u32_e64 v23, s[6:7], v23, v21, vcc
	v_mov_b32_e32 v25, s17
	v_add_co_u32_e64 v24, s[6:7], s16, v18
	v_addc_co_u32_e64 v25, s[8:9], v25, v19, s[6:7]
	global_load_dword v18, v[22:23], off
	global_load_dword v26, v[24:25], off
	s_mov_b64 s[42:43], -1
	s_waitcnt vmcnt(0)
	v_cmp_eq_f32_e64 s[8:9], v18, v26
	s_and_saveexec_b64 s[44:45], s[8:9]
	s_cbranch_execz .LBB971_138
; %bb.132:
	v_mov_b32_e32 v18, s17
	v_addc_co_u32_e64 v19, s[6:7], v19, v18, s[6:7]
	v_add_co_u32_e64 v18, s[6:7], 4, v24
	v_mov_b32_e32 v23, s17
	v_addc_co_u32_e64 v19, s[6:7], 0, v19, s[6:7]
	v_addc_co_u32_e32 v23, vcc, v21, v23, vcc
	v_add_co_u32_e32 v22, vcc, 4, v22
	s_add_u32 s6, s26, -1
	v_addc_co_u32_e32 v23, vcc, 0, v23, vcc
	s_addc_u32 s7, s27, -1
	s_mov_b64 s[8:9], 0
	s_mov_b64 s[46:47], 0
                                        ; implicit-def: $sgpr42_sgpr43
	s_branch .LBB971_135
.LBB971_133:                            ;   in Loop: Header=BB971_135 Depth=1
	global_load_dword v24, v[22:23], off
	global_load_dword v25, v[18:19], off
	v_add_co_u32_e32 v18, vcc, 4, v18
	v_addc_co_u32_e32 v19, vcc, 0, v19, vcc
	v_add_co_u32_e32 v22, vcc, 4, v22
	v_addc_co_u32_e32 v23, vcc, 0, v23, vcc
	s_add_u32 s46, s46, 1
	s_addc_u32 s47, s47, 0
	s_andn2_b64 s[42:43], s[42:43], exec
	s_waitcnt vmcnt(0)
	v_cmp_neq_f32_e32 vcc, v24, v25
	s_and_b64 s[50:51], vcc, exec
	s_or_b64 s[42:43], s[42:43], s[50:51]
.LBB971_134:                            ;   in Loop: Header=BB971_135 Depth=1
	s_and_b64 s[50:51], exec, s[42:43]
	s_or_b64 s[8:9], s[50:51], s[8:9]
	v_pk_mov_b32 v[24:25], s[46:47], s[46:47] op_sel:[0,1]
	s_andn2_b64 exec, exec, s[8:9]
	s_cbranch_execz .LBB971_137
.LBB971_135:                            ; =>This Inner Loop Header: Depth=1
	s_or_b64 s[42:43], s[42:43], exec
	s_cmp_eq_u64 s[6:7], s[46:47]
	s_cbranch_scc0 .LBB971_133
; %bb.136:                              ;   in Loop: Header=BB971_135 Depth=1
                                        ; implicit-def: $vgpr18_vgpr19
                                        ; implicit-def: $vgpr22_vgpr23
	s_mov_b64 s[46:47], s[26:27]
	s_branch .LBB971_134
.LBB971_137:
	s_or_b64 exec, exec, s[8:9]
	v_cmp_gt_i64_e32 vcc, s[26:27], v[24:25]
	s_orn2_b64 s[42:43], vcc, exec
.LBB971_138:
	s_or_b64 exec, exec, s[44:45]
.LBB971_139:
	v_mul_lo_u32 v22, v15, s26
	v_mul_lo_u32 v23, v14, s27
	v_mad_u64_u32 v[18:19], s[6:7], v14, s26, 0
	s_and_b64 vcc, exec, s[4:5]
	v_add3_u32 v19, v19, v23, v22
	s_cbranch_vccnz .LBB971_148
; %bb.140:
	v_lshlrev_b64 v[22:23], 2, v[18:19]
	v_mov_b32_e32 v25, s17
	v_add_co_u32_e32 v24, vcc, s16, v22
	v_addc_co_u32_e64 v25, s[6:7], v25, v23, vcc
	v_mov_b32_e32 v22, s17
	v_add_co_u32_e64 v26, s[6:7], s16, v20
	v_addc_co_u32_e64 v27, s[8:9], v22, v21, s[6:7]
	global_load_dword v20, v[24:25], off
	global_load_dword v22, v[26:27], off
	s_mov_b64 s[40:41], -1
	s_waitcnt vmcnt(0)
	v_cmp_eq_f32_e64 s[8:9], v20, v22
	s_and_saveexec_b64 s[44:45], s[8:9]
	s_cbranch_execz .LBB971_147
; %bb.141:
	v_mov_b32_e32 v20, s17
	v_addc_co_u32_e64 v21, s[6:7], v21, v20, s[6:7]
	v_add_co_u32_e64 v20, s[6:7], 4, v26
	v_mov_b32_e32 v22, s17
	v_addc_co_u32_e64 v21, s[6:7], 0, v21, s[6:7]
	v_addc_co_u32_e32 v23, vcc, v23, v22, vcc
	v_add_co_u32_e32 v22, vcc, 4, v24
	s_add_u32 s6, s26, -1
	v_addc_co_u32_e32 v23, vcc, 0, v23, vcc
	s_addc_u32 s7, s27, -1
	s_mov_b64 s[8:9], 0
	s_mov_b64 s[46:47], 0
                                        ; implicit-def: $sgpr40_sgpr41
	s_branch .LBB971_144
.LBB971_142:                            ;   in Loop: Header=BB971_144 Depth=1
	global_load_dword v24, v[22:23], off
	global_load_dword v25, v[20:21], off
	v_add_co_u32_e32 v20, vcc, 4, v20
	v_addc_co_u32_e32 v21, vcc, 0, v21, vcc
	v_add_co_u32_e32 v22, vcc, 4, v22
	v_addc_co_u32_e32 v23, vcc, 0, v23, vcc
	s_add_u32 s46, s46, 1
	s_addc_u32 s47, s47, 0
	s_andn2_b64 s[40:41], s[40:41], exec
	s_waitcnt vmcnt(0)
	v_cmp_neq_f32_e32 vcc, v24, v25
	s_and_b64 s[50:51], vcc, exec
	s_or_b64 s[40:41], s[40:41], s[50:51]
.LBB971_143:                            ;   in Loop: Header=BB971_144 Depth=1
	s_and_b64 s[50:51], exec, s[40:41]
	s_or_b64 s[8:9], s[50:51], s[8:9]
	v_pk_mov_b32 v[24:25], s[46:47], s[46:47] op_sel:[0,1]
	s_andn2_b64 exec, exec, s[8:9]
	s_cbranch_execz .LBB971_146
.LBB971_144:                            ; =>This Inner Loop Header: Depth=1
	s_or_b64 s[40:41], s[40:41], exec
	s_cmp_eq_u64 s[6:7], s[46:47]
	s_cbranch_scc0 .LBB971_142
; %bb.145:                              ;   in Loop: Header=BB971_144 Depth=1
                                        ; implicit-def: $vgpr20_vgpr21
                                        ; implicit-def: $vgpr22_vgpr23
	s_mov_b64 s[46:47], s[26:27]
	s_branch .LBB971_143
.LBB971_146:
	s_or_b64 exec, exec, s[8:9]
	v_cmp_gt_i64_e32 vcc, s[26:27], v[24:25]
	s_orn2_b64 s[40:41], vcc, exec
.LBB971_147:
	s_or_b64 exec, exec, s[44:45]
.LBB971_148:
	v_cndmask_b32_e64 v21, 0, 1, s[38:39]
	v_cndmask_b32_e64 v22, 0, 1, s[40:41]
	;; [unrolled: 1-line block ×3, first 2 shown]
	v_lshlrev_b16_e32 v22, 8, v22
	v_lshlrev_b16_e32 v21, 8, v21
	v_or_b32_e32 v22, 1, v22
	v_or_b32_sdwa v20, v20, v21 dst_sel:WORD_1 dst_unused:UNUSED_PAD src0_sel:DWORD src1_sel:DWORD
	v_or_b32_sdwa v28, v22, v20 dst_sel:DWORD dst_unused:UNUSED_PAD src0_sel:WORD_0 src1_sel:DWORD
	s_waitcnt lgkmcnt(0)
	s_barrier
	s_waitcnt lgkmcnt(0)
                                        ; implicit-def: $sgpr38_sgpr39
	s_and_saveexec_b64 s[6:7], s[2:3]
	s_xor_b64 s[8:9], exec, s[6:7]
	s_cbranch_execz .LBB971_159
; %bb.149:
	s_and_b64 vcc, exec, s[4:5]
	s_mov_b64 s[40:41], 0
	s_cbranch_vccnz .LBB971_158
; %bb.150:
	v_add_u32_e32 v20, -8, v29
	ds_read_b64 v[20:21], v20
	v_mov_b32_e32 v23, s17
	v_lshlrev_b64 v[18:19], 2, v[18:19]
	s_mov_b64 s[40:41], -1
	s_waitcnt lgkmcnt(0)
	v_mul_lo_u32 v22, v21, s26
	v_mul_lo_u32 v24, v20, s27
	v_mad_u64_u32 v[20:21], s[4:5], v20, s26, 0
	v_add3_u32 v21, v21, v24, v22
	v_lshlrev_b64 v[20:21], 2, v[20:21]
	v_add_co_u32_e32 v22, vcc, s16, v20
	v_addc_co_u32_e64 v23, s[4:5], v23, v21, vcc
	v_mov_b32_e32 v20, s17
	v_add_co_u32_e64 v24, s[4:5], s16, v18
	v_addc_co_u32_e64 v25, s[6:7], v20, v19, s[4:5]
	global_load_dword v18, v[22:23], off
	global_load_dword v20, v[24:25], off
	s_waitcnt vmcnt(0)
	v_cmp_eq_f32_e64 s[6:7], v18, v20
	s_and_saveexec_b64 s[38:39], s[6:7]
	s_cbranch_execz .LBB971_157
; %bb.151:
	v_mov_b32_e32 v18, s17
	v_addc_co_u32_e64 v19, s[4:5], v19, v18, s[4:5]
	v_add_co_u32_e64 v18, s[4:5], 4, v24
	v_mov_b32_e32 v20, s17
	v_addc_co_u32_e64 v19, s[4:5], 0, v19, s[4:5]
	v_addc_co_u32_e32 v21, vcc, v21, v20, vcc
	v_add_co_u32_e32 v20, vcc, 4, v22
	s_add_u32 s4, s26, -1
	v_addc_co_u32_e32 v21, vcc, 0, v21, vcc
	s_addc_u32 s5, s27, -1
	s_mov_b64 s[6:7], 0
	s_mov_b64 s[42:43], 0
                                        ; implicit-def: $sgpr40_sgpr41
	s_branch .LBB971_154
.LBB971_152:                            ;   in Loop: Header=BB971_154 Depth=1
	global_load_dword v22, v[20:21], off
	global_load_dword v23, v[18:19], off
	v_add_co_u32_e32 v18, vcc, 4, v18
	v_addc_co_u32_e32 v19, vcc, 0, v19, vcc
	v_add_co_u32_e32 v20, vcc, 4, v20
	v_addc_co_u32_e32 v21, vcc, 0, v21, vcc
	s_add_u32 s42, s42, 1
	s_addc_u32 s43, s43, 0
	s_andn2_b64 s[40:41], s[40:41], exec
	s_waitcnt vmcnt(0)
	v_cmp_neq_f32_e32 vcc, v22, v23
	s_and_b64 s[44:45], vcc, exec
	s_or_b64 s[40:41], s[40:41], s[44:45]
.LBB971_153:                            ;   in Loop: Header=BB971_154 Depth=1
	s_and_b64 s[44:45], exec, s[40:41]
	s_or_b64 s[6:7], s[44:45], s[6:7]
	v_pk_mov_b32 v[22:23], s[42:43], s[42:43] op_sel:[0,1]
	s_andn2_b64 exec, exec, s[6:7]
	s_cbranch_execz .LBB971_156
.LBB971_154:                            ; =>This Inner Loop Header: Depth=1
	s_or_b64 s[40:41], s[40:41], exec
	s_cmp_eq_u64 s[4:5], s[42:43]
	s_cbranch_scc0 .LBB971_152
; %bb.155:                              ;   in Loop: Header=BB971_154 Depth=1
                                        ; implicit-def: $vgpr18_vgpr19
                                        ; implicit-def: $vgpr20_vgpr21
	s_mov_b64 s[42:43], s[26:27]
	s_branch .LBB971_153
.LBB971_156:
	s_or_b64 exec, exec, s[6:7]
	v_cmp_gt_i64_e32 vcc, s[26:27], v[22:23]
	s_orn2_b64 s[40:41], vcc, exec
.LBB971_157:
	s_or_b64 exec, exec, s[38:39]
.LBB971_158:
	s_and_b64 s[38:39], s[40:41], exec
	s_or_b64 s[14:15], s[14:15], exec
.LBB971_159:
	s_or_b64 exec, exec, s[8:9]
	s_branch .LBB971_207
.LBB971_160:
	s_waitcnt vmcnt(0) lgkmcnt(1)
	v_or_b32_e32 v18, 3, v1
	v_cmp_gt_u32_e32 vcc, s48, v18
	s_mov_b64 s[38:39], 0
	s_mov_b64 s[8:9], 0
	s_and_saveexec_b64 s[40:41], vcc
	s_cbranch_execz .LBB971_171
; %bb.161:
	s_andn2_b64 vcc, exec, s[10:11]
	s_mov_b64 s[42:43], 0
	s_cbranch_vccnz .LBB971_170
; %bb.162:
	v_mul_lo_u32 v20, v11, s26
	v_mul_lo_u32 v21, v10, s27
	v_mad_u64_u32 v[18:19], s[4:5], v10, s26, 0
	v_add3_u32 v19, v19, v21, v20
	v_mul_lo_u32 v20, v13, s26
	v_mul_lo_u32 v21, v12, s27
	v_mad_u64_u32 v[24:25], s[4:5], v12, s26, 0
	v_add3_u32 v25, v25, v21, v20
	v_lshlrev_b64 v[20:21], 2, v[18:19]
	v_mov_b32_e32 v18, s17
	v_add_co_u32_e32 v22, vcc, s16, v20
	v_addc_co_u32_e64 v23, s[4:5], v18, v21, vcc
	v_lshlrev_b64 v[18:19], 2, v[24:25]
	v_mov_b32_e32 v20, s17
	v_add_co_u32_e64 v24, s[4:5], s16, v18
	v_addc_co_u32_e64 v25, s[6:7], v20, v19, s[4:5]
	global_load_dword v18, v[22:23], off
	global_load_dword v20, v[24:25], off
	s_mov_b64 s[42:43], -1
	s_waitcnt vmcnt(0)
	v_cmp_eq_f32_e64 s[6:7], v18, v20
	s_and_saveexec_b64 s[8:9], s[6:7]
	s_cbranch_execz .LBB971_169
; %bb.163:
	v_mov_b32_e32 v18, s17
	v_addc_co_u32_e64 v19, s[4:5], v19, v18, s[4:5]
	v_add_co_u32_e64 v18, s[4:5], 4, v24
	v_mov_b32_e32 v20, s17
	v_addc_co_u32_e64 v19, s[4:5], 0, v19, s[4:5]
	v_addc_co_u32_e32 v21, vcc, v21, v20, vcc
	v_add_co_u32_e32 v20, vcc, 4, v22
	s_add_u32 s4, s26, -1
	v_addc_co_u32_e32 v21, vcc, 0, v21, vcc
	s_addc_u32 s5, s27, -1
	s_mov_b64 s[6:7], 0
	s_mov_b64 s[44:45], 0
                                        ; implicit-def: $sgpr42_sgpr43
	s_branch .LBB971_166
.LBB971_164:                            ;   in Loop: Header=BB971_166 Depth=1
	global_load_dword v22, v[20:21], off
	global_load_dword v23, v[18:19], off
	v_add_co_u32_e32 v18, vcc, 4, v18
	v_addc_co_u32_e32 v19, vcc, 0, v19, vcc
	v_add_co_u32_e32 v20, vcc, 4, v20
	v_addc_co_u32_e32 v21, vcc, 0, v21, vcc
	s_add_u32 s44, s44, 1
	s_addc_u32 s45, s45, 0
	s_andn2_b64 s[42:43], s[42:43], exec
	s_waitcnt vmcnt(0)
	v_cmp_neq_f32_e32 vcc, v22, v23
	s_and_b64 s[46:47], vcc, exec
	s_or_b64 s[42:43], s[42:43], s[46:47]
.LBB971_165:                            ;   in Loop: Header=BB971_166 Depth=1
	s_and_b64 s[46:47], exec, s[42:43]
	s_or_b64 s[6:7], s[46:47], s[6:7]
	v_pk_mov_b32 v[22:23], s[44:45], s[44:45] op_sel:[0,1]
	s_andn2_b64 exec, exec, s[6:7]
	s_cbranch_execz .LBB971_168
.LBB971_166:                            ; =>This Inner Loop Header: Depth=1
	s_or_b64 s[42:43], s[42:43], exec
	s_cmp_eq_u64 s[4:5], s[44:45]
	s_cbranch_scc0 .LBB971_164
; %bb.167:                              ;   in Loop: Header=BB971_166 Depth=1
                                        ; implicit-def: $vgpr18_vgpr19
                                        ; implicit-def: $vgpr20_vgpr21
	s_mov_b64 s[44:45], s[26:27]
	s_branch .LBB971_165
.LBB971_168:
	s_or_b64 exec, exec, s[6:7]
	v_cmp_gt_i64_e32 vcc, s[26:27], v[22:23]
	s_orn2_b64 s[42:43], vcc, exec
.LBB971_169:
	s_or_b64 exec, exec, s[8:9]
.LBB971_170:
	s_and_b64 s[8:9], s[42:43], exec
.LBB971_171:
	s_or_b64 exec, exec, s[40:41]
	v_or_b32_e32 v18, 2, v1
	v_cmp_gt_u32_e32 vcc, s48, v18
	s_and_saveexec_b64 s[40:41], vcc
	s_cbranch_execz .LBB971_182
; %bb.172:
	s_andn2_b64 vcc, exec, s[10:11]
	s_mov_b64 s[42:43], 0
	s_cbranch_vccnz .LBB971_181
; %bb.173:
	v_mul_lo_u32 v20, v17, s26
	v_mul_lo_u32 v21, v16, s27
	v_mad_u64_u32 v[18:19], s[4:5], v16, s26, 0
	v_add3_u32 v19, v19, v21, v20
	v_mul_lo_u32 v20, v11, s26
	v_mul_lo_u32 v21, v10, s27
	v_mad_u64_u32 v[24:25], s[4:5], v10, s26, 0
	v_add3_u32 v25, v25, v21, v20
	v_lshlrev_b64 v[20:21], 2, v[18:19]
	v_mov_b32_e32 v18, s17
	v_add_co_u32_e32 v22, vcc, s16, v20
	v_addc_co_u32_e64 v23, s[4:5], v18, v21, vcc
	v_lshlrev_b64 v[18:19], 2, v[24:25]
	v_mov_b32_e32 v20, s17
	v_add_co_u32_e64 v24, s[4:5], s16, v18
	v_addc_co_u32_e64 v25, s[6:7], v20, v19, s[4:5]
	global_load_dword v18, v[22:23], off
	global_load_dword v20, v[24:25], off
	s_mov_b64 s[42:43], -1
	s_waitcnt vmcnt(0)
	v_cmp_eq_f32_e64 s[6:7], v18, v20
	s_and_saveexec_b64 s[38:39], s[6:7]
	s_cbranch_execz .LBB971_180
; %bb.174:
	v_mov_b32_e32 v18, s17
	v_addc_co_u32_e64 v19, s[4:5], v19, v18, s[4:5]
	v_add_co_u32_e64 v18, s[4:5], 4, v24
	v_mov_b32_e32 v20, s17
	v_addc_co_u32_e64 v19, s[4:5], 0, v19, s[4:5]
	v_addc_co_u32_e32 v21, vcc, v21, v20, vcc
	v_add_co_u32_e32 v20, vcc, 4, v22
	s_add_u32 s4, s26, -1
	v_addc_co_u32_e32 v21, vcc, 0, v21, vcc
	s_addc_u32 s5, s27, -1
	s_mov_b64 s[6:7], 0
	s_mov_b64 s[44:45], 0
                                        ; implicit-def: $sgpr42_sgpr43
	s_branch .LBB971_177
.LBB971_175:                            ;   in Loop: Header=BB971_177 Depth=1
	global_load_dword v22, v[20:21], off
	global_load_dword v23, v[18:19], off
	v_add_co_u32_e32 v18, vcc, 4, v18
	v_addc_co_u32_e32 v19, vcc, 0, v19, vcc
	v_add_co_u32_e32 v20, vcc, 4, v20
	v_addc_co_u32_e32 v21, vcc, 0, v21, vcc
	s_add_u32 s44, s44, 1
	s_addc_u32 s45, s45, 0
	s_andn2_b64 s[42:43], s[42:43], exec
	s_waitcnt vmcnt(0)
	v_cmp_neq_f32_e32 vcc, v22, v23
	s_and_b64 s[46:47], vcc, exec
	s_or_b64 s[42:43], s[42:43], s[46:47]
.LBB971_176:                            ;   in Loop: Header=BB971_177 Depth=1
	s_and_b64 s[46:47], exec, s[42:43]
	s_or_b64 s[6:7], s[46:47], s[6:7]
	v_pk_mov_b32 v[22:23], s[44:45], s[44:45] op_sel:[0,1]
	s_andn2_b64 exec, exec, s[6:7]
	s_cbranch_execz .LBB971_179
.LBB971_177:                            ; =>This Inner Loop Header: Depth=1
	s_or_b64 s[42:43], s[42:43], exec
	s_cmp_eq_u64 s[4:5], s[44:45]
	s_cbranch_scc0 .LBB971_175
; %bb.178:                              ;   in Loop: Header=BB971_177 Depth=1
                                        ; implicit-def: $vgpr18_vgpr19
                                        ; implicit-def: $vgpr20_vgpr21
	s_mov_b64 s[44:45], s[26:27]
	s_branch .LBB971_176
.LBB971_179:
	s_or_b64 exec, exec, s[6:7]
	v_cmp_gt_i64_e32 vcc, s[26:27], v[22:23]
	s_orn2_b64 s[42:43], vcc, exec
.LBB971_180:
	s_or_b64 exec, exec, s[38:39]
.LBB971_181:
	s_and_b64 s[38:39], s[42:43], exec
.LBB971_182:
	s_or_b64 exec, exec, s[40:41]
	v_or_b32_e32 v18, 1, v1
	v_cmp_gt_u32_e32 vcc, s48, v18
	s_mov_b64 s[4:5], 0
	s_and_saveexec_b64 s[40:41], vcc
	s_cbranch_execz .LBB971_193
; %bb.183:
	s_andn2_b64 vcc, exec, s[10:11]
	s_mov_b64 s[44:45], 0
	s_cbranch_vccnz .LBB971_192
; %bb.184:
	v_mul_lo_u32 v20, v15, s26
	v_mul_lo_u32 v21, v14, s27
	v_mad_u64_u32 v[18:19], s[4:5], v14, s26, 0
	v_add3_u32 v19, v19, v21, v20
	v_mul_lo_u32 v20, v17, s26
	v_mul_lo_u32 v21, v16, s27
	v_mad_u64_u32 v[24:25], s[4:5], v16, s26, 0
	v_add3_u32 v25, v25, v21, v20
	v_lshlrev_b64 v[20:21], 2, v[18:19]
	v_mov_b32_e32 v18, s17
	v_add_co_u32_e32 v22, vcc, s16, v20
	v_addc_co_u32_e64 v23, s[4:5], v18, v21, vcc
	v_lshlrev_b64 v[18:19], 2, v[24:25]
	v_mov_b32_e32 v20, s17
	v_add_co_u32_e64 v24, s[4:5], s16, v18
	v_addc_co_u32_e64 v25, s[6:7], v20, v19, s[4:5]
	global_load_dword v18, v[22:23], off
	global_load_dword v20, v[24:25], off
	s_mov_b64 s[44:45], -1
	s_waitcnt vmcnt(0)
	v_cmp_eq_f32_e64 s[6:7], v18, v20
	s_and_saveexec_b64 s[42:43], s[6:7]
	s_cbranch_execz .LBB971_191
; %bb.185:
	v_mov_b32_e32 v18, s17
	v_addc_co_u32_e64 v19, s[4:5], v19, v18, s[4:5]
	v_add_co_u32_e64 v18, s[4:5], 4, v24
	v_mov_b32_e32 v20, s17
	v_addc_co_u32_e64 v19, s[4:5], 0, v19, s[4:5]
	v_addc_co_u32_e32 v21, vcc, v21, v20, vcc
	v_add_co_u32_e32 v20, vcc, 4, v22
	s_add_u32 s4, s26, -1
	v_addc_co_u32_e32 v21, vcc, 0, v21, vcc
	s_addc_u32 s5, s27, -1
	s_mov_b64 s[6:7], 0
	s_mov_b64 s[46:47], 0
                                        ; implicit-def: $sgpr44_sgpr45
	s_branch .LBB971_188
.LBB971_186:                            ;   in Loop: Header=BB971_188 Depth=1
	global_load_dword v22, v[20:21], off
	global_load_dword v23, v[18:19], off
	v_add_co_u32_e32 v18, vcc, 4, v18
	v_addc_co_u32_e32 v19, vcc, 0, v19, vcc
	v_add_co_u32_e32 v20, vcc, 4, v20
	v_addc_co_u32_e32 v21, vcc, 0, v21, vcc
	s_add_u32 s46, s46, 1
	s_addc_u32 s47, s47, 0
	s_andn2_b64 s[44:45], s[44:45], exec
	s_waitcnt vmcnt(0)
	v_cmp_neq_f32_e32 vcc, v22, v23
	s_and_b64 s[50:51], vcc, exec
	s_or_b64 s[44:45], s[44:45], s[50:51]
.LBB971_187:                            ;   in Loop: Header=BB971_188 Depth=1
	s_and_b64 s[50:51], exec, s[44:45]
	s_or_b64 s[6:7], s[50:51], s[6:7]
	v_pk_mov_b32 v[22:23], s[46:47], s[46:47] op_sel:[0,1]
	s_andn2_b64 exec, exec, s[6:7]
	s_cbranch_execz .LBB971_190
.LBB971_188:                            ; =>This Inner Loop Header: Depth=1
	s_or_b64 s[44:45], s[44:45], exec
	s_cmp_eq_u64 s[4:5], s[46:47]
	s_cbranch_scc0 .LBB971_186
; %bb.189:                              ;   in Loop: Header=BB971_188 Depth=1
                                        ; implicit-def: $vgpr18_vgpr19
                                        ; implicit-def: $vgpr20_vgpr21
	s_mov_b64 s[46:47], s[26:27]
	s_branch .LBB971_187
.LBB971_190:
	s_or_b64 exec, exec, s[6:7]
	v_cmp_gt_i64_e32 vcc, s[26:27], v[22:23]
	s_orn2_b64 s[44:45], vcc, exec
.LBB971_191:
	s_or_b64 exec, exec, s[42:43]
.LBB971_192:
	s_and_b64 s[4:5], s[44:45], exec
.LBB971_193:
	s_or_b64 exec, exec, s[40:41]
	v_cndmask_b32_e64 v19, 0, 1, s[8:9]
	v_cndmask_b32_e64 v20, 0, 1, s[4:5]
	;; [unrolled: 1-line block ×3, first 2 shown]
	v_lshlrev_b16_e32 v20, 8, v20
	v_lshlrev_b16_e32 v19, 8, v19
	v_or_b32_e32 v20, 1, v20
	v_or_b32_sdwa v18, v18, v19 dst_sel:WORD_1 dst_unused:UNUSED_PAD src0_sel:DWORD src1_sel:DWORD
	v_or_b32_sdwa v28, v20, v18 dst_sel:DWORD dst_unused:UNUSED_PAD src0_sel:WORD_0 src1_sel:DWORD
	s_waitcnt lgkmcnt(0)
	s_barrier
	s_waitcnt lgkmcnt(0)
                                        ; implicit-def: $sgpr38_sgpr39
	s_and_saveexec_b64 s[6:7], s[2:3]
	s_cbranch_execz .LBB971_206
; %bb.194:
	v_cmp_gt_u32_e32 vcc, s48, v1
	s_mov_b64 s[2:3], 0
	s_and_saveexec_b64 s[8:9], vcc
	s_cbranch_execz .LBB971_205
; %bb.195:
	s_andn2_b64 vcc, exec, s[10:11]
	s_mov_b64 s[38:39], 0
	s_cbranch_vccnz .LBB971_204
; %bb.196:
	v_add_u32_e32 v18, -8, v29
	ds_read_b64 v[18:19], v18
	v_mul_lo_u32 v20, v15, s26
	v_mad_u64_u32 v[24:25], s[2:3], v14, s26, 0
	s_mov_b64 s[38:39], -1
	s_waitcnt lgkmcnt(0)
	v_mul_lo_u32 v21, v19, s26
	v_mul_lo_u32 v22, v18, s27
	v_mad_u64_u32 v[18:19], s[2:3], v18, s26, 0
	v_add3_u32 v19, v19, v22, v21
	v_mul_lo_u32 v21, v14, s27
	v_add3_u32 v25, v25, v21, v20
	v_lshlrev_b64 v[20:21], 2, v[18:19]
	v_mov_b32_e32 v18, s17
	v_add_co_u32_e32 v22, vcc, s16, v20
	v_addc_co_u32_e64 v23, s[2:3], v18, v21, vcc
	v_lshlrev_b64 v[18:19], 2, v[24:25]
	v_mov_b32_e32 v20, s17
	v_add_co_u32_e64 v24, s[2:3], s16, v18
	v_addc_co_u32_e64 v25, s[4:5], v20, v19, s[2:3]
	global_load_dword v18, v[22:23], off
	global_load_dword v20, v[24:25], off
	s_waitcnt vmcnt(0)
	v_cmp_eq_f32_e64 s[4:5], v18, v20
	s_and_saveexec_b64 s[10:11], s[4:5]
	s_cbranch_execz .LBB971_203
; %bb.197:
	v_mov_b32_e32 v18, s17
	v_addc_co_u32_e64 v19, s[2:3], v19, v18, s[2:3]
	v_add_co_u32_e64 v18, s[2:3], 4, v24
	v_mov_b32_e32 v20, s17
	v_addc_co_u32_e64 v19, s[2:3], 0, v19, s[2:3]
	v_addc_co_u32_e32 v21, vcc, v21, v20, vcc
	v_add_co_u32_e32 v20, vcc, 4, v22
	s_add_u32 s2, s26, -1
	v_addc_co_u32_e32 v21, vcc, 0, v21, vcc
	s_addc_u32 s3, s27, -1
	s_mov_b64 s[4:5], 0
	s_mov_b64 s[38:39], 0
                                        ; implicit-def: $sgpr16_sgpr17
	s_branch .LBB971_200
.LBB971_198:                            ;   in Loop: Header=BB971_200 Depth=1
	global_load_dword v22, v[20:21], off
	global_load_dword v23, v[18:19], off
	v_add_co_u32_e32 v18, vcc, 4, v18
	v_addc_co_u32_e32 v19, vcc, 0, v19, vcc
	v_add_co_u32_e32 v20, vcc, 4, v20
	v_addc_co_u32_e32 v21, vcc, 0, v21, vcc
	s_add_u32 s38, s38, 1
	s_addc_u32 s39, s39, 0
	s_andn2_b64 s[16:17], s[16:17], exec
	s_waitcnt vmcnt(0)
	v_cmp_neq_f32_e32 vcc, v22, v23
	s_and_b64 s[40:41], vcc, exec
	s_or_b64 s[16:17], s[16:17], s[40:41]
.LBB971_199:                            ;   in Loop: Header=BB971_200 Depth=1
	s_and_b64 s[40:41], exec, s[16:17]
	s_or_b64 s[4:5], s[40:41], s[4:5]
	v_pk_mov_b32 v[22:23], s[38:39], s[38:39] op_sel:[0,1]
	s_andn2_b64 exec, exec, s[4:5]
	s_cbranch_execz .LBB971_202
.LBB971_200:                            ; =>This Inner Loop Header: Depth=1
	s_or_b64 s[16:17], s[16:17], exec
	s_cmp_eq_u64 s[2:3], s[38:39]
	s_cbranch_scc0 .LBB971_198
; %bb.201:                              ;   in Loop: Header=BB971_200 Depth=1
                                        ; implicit-def: $vgpr18_vgpr19
                                        ; implicit-def: $vgpr20_vgpr21
	s_mov_b64 s[38:39], s[26:27]
	s_branch .LBB971_199
.LBB971_202:
	s_or_b64 exec, exec, s[4:5]
	v_cmp_gt_i64_e32 vcc, s[26:27], v[22:23]
	s_orn2_b64 s[38:39], vcc, exec
.LBB971_203:
	s_or_b64 exec, exec, s[10:11]
.LBB971_204:
	s_and_b64 s[2:3], s[38:39], exec
.LBB971_205:
	s_or_b64 exec, exec, s[8:9]
	s_and_b64 s[38:39], s[2:3], exec
	s_or_b64 s[14:15], s[14:15], exec
.LBB971_206:
	s_or_b64 exec, exec, s[6:7]
.LBB971_207:
	s_and_saveexec_b64 s[2:3], s[14:15]
	s_cbranch_execz .LBB971_209
; %bb.208:
	s_waitcnt vmcnt(0) lgkmcnt(0)
	v_and_b32_e32 v18, 0xffffff00, v28
	v_cndmask_b32_e64 v19, 0, 1, s[38:39]
	v_or_b32_e32 v18, v19, v18
	v_and_b32_e32 v18, 0xffff, v18
	s_mov_b32 s4, 0xffff0000
	v_and_or_b32 v28, v28, s4, v18
.LBB971_209:
	s_or_b64 exec, exec, s[2:3]
	s_andn2_b64 vcc, exec, s[12:13]
	s_cbranch_vccnz .LBB971_211
; %bb.210:
	v_cmp_gt_u32_e32 vcc, s48, v1
	s_waitcnt vmcnt(0) lgkmcnt(0)
	v_cndmask_b32_e32 v18, 0, v28, vcc
	v_or_b32_e32 v19, 1, v1
	v_and_b32_e32 v18, 0xff, v18
	v_cmp_gt_u32_e32 vcc, s48, v19
	v_cndmask_b32_e32 v18, v18, v28, vcc
	v_or_b32_e32 v19, 2, v1
	v_and_b32_e32 v18, 0xffff, v18
	v_cmp_gt_u32_e32 vcc, s48, v19
	;; [unrolled: 4-line block ×3, first 2 shown]
	v_cndmask_b32_e32 v28, v18, v28, vcc
.LBB971_211:
	v_bfe_u32 v30, v28, 16, 8
	v_lshrrev_b32_e32 v29, 24, v28
	s_waitcnt vmcnt(0) lgkmcnt(0)
	v_add_u32_sdwa v18, v28, v28 dst_sel:DWORD dst_unused:UNUSED_PAD src0_sel:BYTE_1 src1_sel:BYTE_0
	v_add3_u32 v33, v18, v30, v29
	v_mbcnt_lo_u32_b32 v18, -1, 0
	v_mbcnt_hi_u32_b32 v31, -1, v18
	v_and_b32_e32 v18, 15, v31
	v_cmp_eq_u32_e64 s[14:15], 0, v18
	v_cmp_lt_u32_e64 s[12:13], 1, v18
	v_cmp_lt_u32_e64 s[10:11], 3, v18
	v_cmp_lt_u32_e64 s[8:9], 7, v18
	v_and_b32_e32 v18, 16, v31
	v_cmp_eq_u32_e64 s[6:7], 0, v18
	v_or_b32_e32 v18, 63, v0
	v_cmp_lt_u32_e64 s[2:3], 31, v31
	v_lshrrev_b32_e32 v32, 6, v0
	v_cmp_eq_u32_e64 s[4:5], v18, v0
	s_and_b64 vcc, exec, s[36:37]
	s_barrier
	s_cbranch_vccz .LBB971_242
; %bb.212:
	v_mov_b32_dpp v18, v33 row_shr:1 row_mask:0xf bank_mask:0xf
	v_cndmask_b32_e64 v18, v18, 0, s[14:15]
	v_add_u32_e32 v18, v18, v33
	s_nop 1
	v_mov_b32_dpp v19, v18 row_shr:2 row_mask:0xf bank_mask:0xf
	v_cndmask_b32_e64 v19, 0, v19, s[12:13]
	v_add_u32_e32 v18, v18, v19
	s_nop 1
	;; [unrolled: 4-line block ×4, first 2 shown]
	v_mov_b32_dpp v19, v18 row_bcast:15 row_mask:0xf bank_mask:0xf
	v_cndmask_b32_e64 v19, v19, 0, s[6:7]
	v_add_u32_e32 v18, v18, v19
	s_nop 1
	v_mov_b32_dpp v19, v18 row_bcast:31 row_mask:0xf bank_mask:0xf
	v_cndmask_b32_e64 v19, 0, v19, s[2:3]
	v_add_u32_e32 v18, v18, v19
	s_and_saveexec_b64 s[16:17], s[4:5]
	s_cbranch_execz .LBB971_214
; %bb.213:
	v_lshlrev_b32_e32 v19, 2, v32
	ds_write_b32 v19, v18
.LBB971_214:
	s_or_b64 exec, exec, s[16:17]
	v_cmp_gt_u32_e32 vcc, 2, v0
	s_waitcnt lgkmcnt(0)
	s_barrier
	s_and_saveexec_b64 s[16:17], vcc
	s_cbranch_execz .LBB971_216
; %bb.215:
	ds_read_b32 v19, v1
	v_bfe_i32 v20, v31, 0, 1
	s_waitcnt lgkmcnt(0)
	v_mov_b32_dpp v21, v19 row_shr:1 row_mask:0xf bank_mask:0xf
	v_and_b32_e32 v20, v20, v21
	v_add_u32_e32 v19, v20, v19
	ds_write_b32 v1, v19
.LBB971_216:
	s_or_b64 exec, exec, s[16:17]
	v_cmp_gt_u32_e32 vcc, 64, v0
	v_cmp_lt_u32_e64 s[16:17], 63, v0
	s_waitcnt lgkmcnt(0)
	s_barrier
	s_waitcnt lgkmcnt(0)
                                        ; implicit-def: $vgpr34
	s_and_saveexec_b64 s[26:27], s[16:17]
	s_cbranch_execz .LBB971_218
; %bb.217:
	v_lshl_add_u32 v19, v32, 2, -4
	ds_read_b32 v34, v19
	s_waitcnt lgkmcnt(0)
	v_add_u32_e32 v18, v34, v18
.LBB971_218:
	s_or_b64 exec, exec, s[26:27]
	v_add_u32_e32 v19, -1, v31
	v_and_b32_e32 v20, 64, v31
	v_cmp_lt_i32_e64 s[16:17], v19, v20
	v_cndmask_b32_e64 v19, v19, v31, s[16:17]
	v_lshlrev_b32_e32 v19, 2, v19
	ds_bpermute_b32 v35, v19, v18
	v_cmp_eq_u32_e64 s[16:17], 0, v31
	s_and_saveexec_b64 s[26:27], vcc
	s_cbranch_execz .LBB971_241
; %bb.219:
	v_mov_b32_e32 v27, 0
	ds_read_b32 v18, v27 offset:4
	s_and_saveexec_b64 s[36:37], s[16:17]
	s_cbranch_execz .LBB971_221
; %bb.220:
	s_add_i32 s38, s33, 64
	s_mov_b32 s39, 0
	s_lshl_b64 s[38:39], s[38:39], 3
	s_add_u32 s38, s18, s38
	v_mov_b32_e32 v19, 1
	s_addc_u32 s39, s19, s39
	s_waitcnt lgkmcnt(0)
	global_store_dwordx2 v27, v[18:19], s[38:39]
.LBB971_221:
	s_or_b64 exec, exec, s[36:37]
	v_xad_u32 v20, v31, -1, s33
	v_add_u32_e32 v26, 64, v20
	v_lshlrev_b64 v[22:23], 3, v[26:27]
	v_mov_b32_e32 v19, s19
	v_add_co_u32_e32 v22, vcc, s18, v22
	v_addc_co_u32_e32 v23, vcc, v19, v23, vcc
	global_load_dwordx2 v[24:25], v[22:23], off glc
	s_waitcnt vmcnt(0)
	v_cmp_eq_u16_sdwa s[38:39], v25, v27 src0_sel:BYTE_0 src1_sel:DWORD
	s_and_saveexec_b64 s[36:37], s[38:39]
	s_cbranch_execz .LBB971_227
; %bb.222:
	s_mov_b32 s40, 1
	s_mov_b64 s[38:39], 0
	v_mov_b32_e32 v19, 0
.LBB971_223:                            ; =>This Loop Header: Depth=1
                                        ;     Child Loop BB971_224 Depth 2
	s_max_u32 s41, s40, 1
.LBB971_224:                            ;   Parent Loop BB971_223 Depth=1
                                        ; =>  This Inner Loop Header: Depth=2
	s_add_i32 s41, s41, -1
	s_cmp_eq_u32 s41, 0
	s_sleep 1
	s_cbranch_scc0 .LBB971_224
; %bb.225:                              ;   in Loop: Header=BB971_223 Depth=1
	global_load_dwordx2 v[24:25], v[22:23], off glc
	s_cmp_lt_u32 s40, 32
	s_cselect_b64 s[42:43], -1, 0
	s_cmp_lg_u64 s[42:43], 0
	s_addc_u32 s40, s40, 0
	s_waitcnt vmcnt(0)
	v_cmp_ne_u16_sdwa s[42:43], v25, v19 src0_sel:BYTE_0 src1_sel:DWORD
	s_or_b64 s[38:39], s[42:43], s[38:39]
	s_andn2_b64 exec, exec, s[38:39]
	s_cbranch_execnz .LBB971_223
; %bb.226:
	s_or_b64 exec, exec, s[38:39]
.LBB971_227:
	s_or_b64 exec, exec, s[36:37]
	v_and_b32_e32 v36, 63, v31
	v_mov_b32_e32 v19, 2
	v_cmp_ne_u32_e32 vcc, 63, v36
	v_cmp_eq_u16_sdwa s[36:37], v25, v19 src0_sel:BYTE_0 src1_sel:DWORD
	v_lshlrev_b64 v[22:23], v31, -1
	v_addc_co_u32_e32 v27, vcc, 0, v31, vcc
	v_and_b32_e32 v21, s37, v23
	v_lshlrev_b32_e32 v37, 2, v27
	v_or_b32_e32 v21, 0x80000000, v21
	ds_bpermute_b32 v27, v37, v24
	v_and_b32_e32 v26, s36, v22
	v_ffbl_b32_e32 v21, v21
	v_add_u32_e32 v21, 32, v21
	v_ffbl_b32_e32 v26, v26
	v_min_u32_e32 v21, v26, v21
	v_cmp_lt_u32_e32 vcc, v36, v21
	s_waitcnt lgkmcnt(0)
	v_cndmask_b32_e32 v26, 0, v27, vcc
	v_cmp_gt_u32_e32 vcc, 62, v36
	v_add_u32_e32 v24, v26, v24
	v_cndmask_b32_e64 v26, 0, 1, vcc
	v_lshlrev_b32_e32 v26, 1, v26
	v_add_lshl_u32 v38, v26, v31, 2
	ds_bpermute_b32 v26, v38, v24
	v_add_u32_e32 v39, 2, v36
	v_cmp_le_u32_e32 vcc, v39, v21
	v_add_u32_e32 v41, 4, v36
	v_add_u32_e32 v43, 8, v36
	s_waitcnt lgkmcnt(0)
	v_cndmask_b32_e32 v26, 0, v26, vcc
	v_cmp_gt_u32_e32 vcc, 60, v36
	v_add_u32_e32 v24, v24, v26
	v_cndmask_b32_e64 v26, 0, 1, vcc
	v_lshlrev_b32_e32 v26, 2, v26
	v_add_lshl_u32 v40, v26, v31, 2
	ds_bpermute_b32 v26, v40, v24
	v_cmp_le_u32_e32 vcc, v41, v21
	v_add_u32_e32 v46, 16, v36
	v_add_u32_e32 v48, 32, v36
	s_waitcnt lgkmcnt(0)
	v_cndmask_b32_e32 v26, 0, v26, vcc
	v_cmp_gt_u32_e32 vcc, 56, v36
	v_add_u32_e32 v24, v24, v26
	v_cndmask_b32_e64 v26, 0, 1, vcc
	v_lshlrev_b32_e32 v26, 3, v26
	v_add_lshl_u32 v42, v26, v31, 2
	ds_bpermute_b32 v26, v42, v24
	v_cmp_le_u32_e32 vcc, v43, v21
	s_waitcnt lgkmcnt(0)
	v_cndmask_b32_e32 v26, 0, v26, vcc
	v_cmp_gt_u32_e32 vcc, 48, v36
	v_add_u32_e32 v24, v24, v26
	v_cndmask_b32_e64 v26, 0, 1, vcc
	v_lshlrev_b32_e32 v26, 4, v26
	v_add_lshl_u32 v45, v26, v31, 2
	ds_bpermute_b32 v26, v45, v24
	v_cmp_le_u32_e32 vcc, v46, v21
	s_waitcnt lgkmcnt(0)
	v_cndmask_b32_e32 v26, 0, v26, vcc
	v_cmp_gt_u32_e32 vcc, 32, v36
	v_add_u32_e32 v24, v24, v26
	v_cndmask_b32_e64 v26, 0, 1, vcc
	v_lshlrev_b32_e32 v26, 5, v26
	v_add_lshl_u32 v47, v26, v31, 2
	ds_bpermute_b32 v26, v47, v24
	v_cmp_le_u32_e32 vcc, v48, v21
	s_waitcnt lgkmcnt(0)
	v_cndmask_b32_e32 v21, 0, v26, vcc
	v_add_u32_e32 v24, v24, v21
	v_mov_b32_e32 v21, 0
	s_branch .LBB971_229
.LBB971_228:                            ;   in Loop: Header=BB971_229 Depth=1
	s_or_b64 exec, exec, s[36:37]
	v_cmp_eq_u16_sdwa s[36:37], v25, v19 src0_sel:BYTE_0 src1_sel:DWORD
	v_and_b32_e32 v26, s37, v23
	v_or_b32_e32 v26, 0x80000000, v26
	ds_bpermute_b32 v49, v37, v24
	v_and_b32_e32 v27, s36, v22
	v_ffbl_b32_e32 v26, v26
	v_add_u32_e32 v26, 32, v26
	v_ffbl_b32_e32 v27, v27
	v_min_u32_e32 v26, v27, v26
	v_cmp_lt_u32_e32 vcc, v36, v26
	s_waitcnt lgkmcnt(0)
	v_cndmask_b32_e32 v27, 0, v49, vcc
	v_add_u32_e32 v24, v27, v24
	ds_bpermute_b32 v27, v38, v24
	v_cmp_le_u32_e32 vcc, v39, v26
	v_subrev_u32_e32 v20, 64, v20
	s_waitcnt lgkmcnt(0)
	v_cndmask_b32_e32 v27, 0, v27, vcc
	v_add_u32_e32 v24, v24, v27
	ds_bpermute_b32 v27, v40, v24
	v_cmp_le_u32_e32 vcc, v41, v26
	s_waitcnt lgkmcnt(0)
	v_cndmask_b32_e32 v27, 0, v27, vcc
	v_add_u32_e32 v24, v24, v27
	ds_bpermute_b32 v27, v42, v24
	v_cmp_le_u32_e32 vcc, v43, v26
	;; [unrolled: 5-line block ×4, first 2 shown]
	s_waitcnt lgkmcnt(0)
	v_cndmask_b32_e32 v26, 0, v27, vcc
	v_add3_u32 v24, v26, v44, v24
.LBB971_229:                            ; =>This Loop Header: Depth=1
                                        ;     Child Loop BB971_232 Depth 2
                                        ;       Child Loop BB971_233 Depth 3
	v_cmp_ne_u16_sdwa s[36:37], v25, v19 src0_sel:BYTE_0 src1_sel:DWORD
	v_cndmask_b32_e64 v25, 0, 1, s[36:37]
	;;#ASMSTART
	;;#ASMEND
	v_cmp_ne_u32_e32 vcc, 0, v25
	s_cmp_lg_u64 vcc, exec
	v_mov_b32_e32 v44, v24
	s_cbranch_scc1 .LBB971_236
; %bb.230:                              ;   in Loop: Header=BB971_229 Depth=1
	v_lshlrev_b64 v[24:25], 3, v[20:21]
	v_mov_b32_e32 v27, s19
	v_add_co_u32_e32 v26, vcc, s18, v24
	v_addc_co_u32_e32 v27, vcc, v27, v25, vcc
	global_load_dwordx2 v[24:25], v[26:27], off glc
	s_waitcnt vmcnt(0)
	v_cmp_eq_u16_sdwa s[38:39], v25, v21 src0_sel:BYTE_0 src1_sel:DWORD
	s_and_saveexec_b64 s[36:37], s[38:39]
	s_cbranch_execz .LBB971_228
; %bb.231:                              ;   in Loop: Header=BB971_229 Depth=1
	s_mov_b32 s40, 1
	s_mov_b64 s[38:39], 0
.LBB971_232:                            ;   Parent Loop BB971_229 Depth=1
                                        ; =>  This Loop Header: Depth=2
                                        ;       Child Loop BB971_233 Depth 3
	s_max_u32 s41, s40, 1
.LBB971_233:                            ;   Parent Loop BB971_229 Depth=1
                                        ;     Parent Loop BB971_232 Depth=2
                                        ; =>    This Inner Loop Header: Depth=3
	s_add_i32 s41, s41, -1
	s_cmp_eq_u32 s41, 0
	s_sleep 1
	s_cbranch_scc0 .LBB971_233
; %bb.234:                              ;   in Loop: Header=BB971_232 Depth=2
	global_load_dwordx2 v[24:25], v[26:27], off glc
	s_cmp_lt_u32 s40, 32
	s_cselect_b64 s[42:43], -1, 0
	s_cmp_lg_u64 s[42:43], 0
	s_addc_u32 s40, s40, 0
	s_waitcnt vmcnt(0)
	v_cmp_ne_u16_sdwa s[42:43], v25, v21 src0_sel:BYTE_0 src1_sel:DWORD
	s_or_b64 s[38:39], s[42:43], s[38:39]
	s_andn2_b64 exec, exec, s[38:39]
	s_cbranch_execnz .LBB971_232
; %bb.235:                              ;   in Loop: Header=BB971_229 Depth=1
	s_or_b64 exec, exec, s[38:39]
	s_branch .LBB971_228
.LBB971_236:                            ;   in Loop: Header=BB971_229 Depth=1
                                        ; implicit-def: $vgpr24
                                        ; implicit-def: $vgpr25
	s_cbranch_execz .LBB971_229
; %bb.237:
	s_and_saveexec_b64 s[36:37], s[16:17]
	s_cbranch_execz .LBB971_239
; %bb.238:
	s_add_i32 s38, s33, 64
	s_mov_b32 s39, 0
	s_lshl_b64 s[38:39], s[38:39], 3
	s_add_u32 s38, s18, s38
	v_add_u32_e32 v20, v44, v18
	v_mov_b32_e32 v21, 2
	s_addc_u32 s39, s19, s39
	v_mov_b32_e32 v19, 0
	s_movk_i32 s33, 0x1000
	global_store_dwordx2 v19, v[20:21], s[38:39]
	v_add_u32_e64 v19, s33, 0
	ds_write2_b32 v19, v18, v44 offset0:32 offset1:34
.LBB971_239:
	s_or_b64 exec, exec, s[36:37]
	s_and_b64 exec, exec, s[0:1]
	s_cbranch_execz .LBB971_241
; %bb.240:
	v_mov_b32_e32 v18, 0
	ds_write_b32 v18, v44 offset:4
.LBB971_241:
	s_or_b64 exec, exec, s[26:27]
	v_mov_b32_e32 v19, 0
	s_waitcnt lgkmcnt(0)
	s_barrier
	ds_read_b32 v19, v19 offset:4
	v_cndmask_b32_e64 v18, v35, v34, s[16:17]
	s_movk_i32 s16, 0x1000
	v_add_u32_e64 v20, s16, 0
	s_waitcnt lgkmcnt(0)
	s_barrier
	ds_read2_b32 v[26:27], v20 offset0:32 offset1:34
	v_cndmask_b32_e64 v18, v18, 0, s[0:1]
	v_add_u32_e32 v24, v19, v18
	v_add_u32_sdwa v22, v24, v28 dst_sel:DWORD dst_unused:UNUSED_PAD src0_sel:DWORD src1_sel:BYTE_0
	v_add_u32_sdwa v20, v22, v28 dst_sel:DWORD dst_unused:UNUSED_PAD src0_sel:DWORD src1_sel:BYTE_1
	v_add_u32_e32 v18, v20, v30
	s_waitcnt lgkmcnt(0)
	v_readfirstlane_b32 s33, v26
	v_readfirstlane_b32 s16, v27
	s_branch .LBB971_252
.LBB971_242:
                                        ; implicit-def: $vgpr18
                                        ; implicit-def: $vgpr20
                                        ; implicit-def: $vgpr22
                                        ; implicit-def: $vgpr24
                                        ; implicit-def: $sgpr16
                                        ; implicit-def: $sgpr33
	s_cbranch_execz .LBB971_252
; %bb.243:
	s_nop 0
	v_mov_b32_dpp v18, v33 row_shr:1 row_mask:0xf bank_mask:0xf
	v_cndmask_b32_e64 v18, v18, 0, s[14:15]
	v_add_u32_e32 v18, v18, v33
	s_nop 1
	v_mov_b32_dpp v19, v18 row_shr:2 row_mask:0xf bank_mask:0xf
	v_cndmask_b32_e64 v19, 0, v19, s[12:13]
	v_add_u32_e32 v18, v18, v19
	;; [unrolled: 4-line block ×4, first 2 shown]
	s_nop 1
	v_mov_b32_dpp v19, v18 row_bcast:15 row_mask:0xf bank_mask:0xf
	v_cndmask_b32_e64 v19, v19, 0, s[6:7]
	v_add_u32_e32 v18, v18, v19
	s_nop 1
	v_mov_b32_dpp v19, v18 row_bcast:31 row_mask:0xf bank_mask:0xf
	v_cndmask_b32_e64 v19, 0, v19, s[2:3]
	v_add_u32_e32 v18, v18, v19
	s_and_saveexec_b64 s[2:3], s[4:5]
	s_cbranch_execz .LBB971_245
; %bb.244:
	v_lshlrev_b32_e32 v19, 2, v32
	ds_write_b32 v19, v18
.LBB971_245:
	s_or_b64 exec, exec, s[2:3]
	v_cmp_gt_u32_e32 vcc, 2, v0
	s_waitcnt lgkmcnt(0)
	s_barrier
	s_and_saveexec_b64 s[2:3], vcc
	s_cbranch_execz .LBB971_247
; %bb.246:
	ds_read_b32 v19, v1
	v_bfe_i32 v20, v31, 0, 1
	s_waitcnt lgkmcnt(0)
	v_mov_b32_dpp v21, v19 row_shr:1 row_mask:0xf bank_mask:0xf
	v_and_b32_e32 v20, v20, v21
	v_add_u32_e32 v19, v20, v19
	ds_write_b32 v1, v19
.LBB971_247:
	s_or_b64 exec, exec, s[2:3]
	v_cmp_lt_u32_e32 vcc, 63, v0
	v_mov_b32_e32 v19, 0
	v_mov_b32_e32 v1, 0
	s_waitcnt lgkmcnt(0)
	s_barrier
	s_and_saveexec_b64 s[2:3], vcc
	s_cbranch_execz .LBB971_249
; %bb.248:
	v_lshl_add_u32 v1, v32, 2, -4
	ds_read_b32 v1, v1
.LBB971_249:
	s_or_b64 exec, exec, s[2:3]
	v_add_u32_e32 v20, -1, v31
	v_and_b32_e32 v21, 64, v31
	v_cmp_lt_i32_e32 vcc, v20, v21
	v_cndmask_b32_e32 v20, v20, v31, vcc
	s_waitcnt lgkmcnt(0)
	v_add_u32_e32 v18, v1, v18
	v_lshlrev_b32_e32 v20, 2, v20
	ds_read_b32 v19, v19 offset:4
	ds_bpermute_b32 v18, v20, v18
	s_waitcnt lgkmcnt(1)
	v_readfirstlane_b32 s33, v19
	s_and_saveexec_b64 s[2:3], s[0:1]
	s_cbranch_execz .LBB971_251
; %bb.250:
	v_mov_b32_e32 v19, 0
	v_mov_b32_e32 v20, s33
	;; [unrolled: 1-line block ×3, first 2 shown]
	global_store_dwordx2 v19, v[20:21], s[18:19] offset:512
.LBB971_251:
	s_or_b64 exec, exec, s[2:3]
	v_cmp_eq_u32_e32 vcc, 0, v31
	s_waitcnt lgkmcnt(0)
	v_cndmask_b32_e32 v1, v18, v1, vcc
	v_cndmask_b32_e64 v24, v1, 0, s[0:1]
	v_add_u32_sdwa v22, v24, v28 dst_sel:DWORD dst_unused:UNUSED_PAD src0_sel:DWORD src1_sel:BYTE_0
	v_add_u32_sdwa v20, v22, v28 dst_sel:DWORD dst_unused:UNUSED_PAD src0_sel:DWORD src1_sel:BYTE_1
	s_mov_b32 s16, 0
	v_add_u32_e32 v18, v20, v30
	s_barrier
.LBB971_252:
	s_cmpk_lt_u32 s33, 0x81
	s_cselect_b64 s[4:5], -1, 0
	v_lshrrev_b32_e32 v1, 8, v28
	s_mov_b64 s[2:3], -1
	s_and_b64 vcc, exec, s[4:5]
	s_cbranch_vccz .LBB971_266
; %bb.253:
	s_add_i32 s6, s16, s33
	v_cmp_gt_u32_e32 vcc, s6, v24
	s_or_b64 s[8:9], s[34:35], vcc
	s_and_saveexec_b64 s[2:3], s[8:9]
	s_cbranch_execz .LBB971_256
; %bb.254:
	v_and_b32_e32 v19, 1, v28
	v_cmp_eq_u32_e32 vcc, 1, v19
	s_and_b64 exec, exec, vcc
	s_cbranch_execz .LBB971_256
; %bb.255:
	s_lshl_b64 s[8:9], s[22:23], 3
	s_add_u32 s7, s28, s8
	v_mov_b32_e32 v25, 0
	s_addc_u32 s8, s29, s9
	v_lshlrev_b64 v[26:27], 3, v[24:25]
	v_mov_b32_e32 v19, s8
	v_add_co_u32_e32 v26, vcc, s7, v26
	v_addc_co_u32_e32 v27, vcc, v19, v27, vcc
	global_store_dwordx2 v[26:27], v[14:15], off
.LBB971_256:
	s_or_b64 exec, exec, s[2:3]
	v_cmp_gt_u32_e32 vcc, s6, v22
	s_or_b64 s[8:9], s[34:35], vcc
	s_and_saveexec_b64 s[2:3], s[8:9]
	s_cbranch_execz .LBB971_259
; %bb.257:
	v_and_b32_e32 v19, 1, v1
	v_cmp_eq_u32_e32 vcc, 1, v19
	s_and_b64 exec, exec, vcc
	s_cbranch_execz .LBB971_259
; %bb.258:
	s_lshl_b64 s[8:9], s[22:23], 3
	s_add_u32 s7, s28, s8
	v_mov_b32_e32 v23, 0
	s_addc_u32 s8, s29, s9
	v_lshlrev_b64 v[26:27], 3, v[22:23]
	v_mov_b32_e32 v19, s8
	v_add_co_u32_e32 v26, vcc, s7, v26
	v_addc_co_u32_e32 v27, vcc, v19, v27, vcc
	global_store_dwordx2 v[26:27], v[16:17], off
.LBB971_259:
	s_or_b64 exec, exec, s[2:3]
	v_cmp_gt_u32_e32 vcc, s6, v20
	s_or_b64 s[8:9], s[34:35], vcc
	s_and_saveexec_b64 s[2:3], s[8:9]
	s_cbranch_execz .LBB971_262
; %bb.260:
	v_mov_b32_e32 v19, 1
	v_and_b32_sdwa v19, v19, v28 dst_sel:DWORD dst_unused:UNUSED_PAD src0_sel:DWORD src1_sel:WORD_1
	v_cmp_eq_u32_e32 vcc, 1, v19
	s_and_b64 exec, exec, vcc
	s_cbranch_execz .LBB971_262
; %bb.261:
	s_lshl_b64 s[8:9], s[22:23], 3
	s_add_u32 s7, s28, s8
	v_mov_b32_e32 v21, 0
	s_addc_u32 s8, s29, s9
	v_lshlrev_b64 v[26:27], 3, v[20:21]
	v_mov_b32_e32 v19, s8
	v_add_co_u32_e32 v26, vcc, s7, v26
	v_addc_co_u32_e32 v27, vcc, v19, v27, vcc
	global_store_dwordx2 v[26:27], v[10:11], off
.LBB971_262:
	s_or_b64 exec, exec, s[2:3]
	v_cmp_gt_u32_e32 vcc, s6, v18
	s_or_b64 s[6:7], s[34:35], vcc
	s_and_saveexec_b64 s[2:3], s[6:7]
	s_cbranch_execz .LBB971_265
; %bb.263:
	v_and_b32_e32 v19, 1, v29
	v_cmp_eq_u32_e32 vcc, 1, v19
	s_and_b64 exec, exec, vcc
	s_cbranch_execz .LBB971_265
; %bb.264:
	s_lshl_b64 s[6:7], s[22:23], 3
	s_add_u32 s6, s28, s6
	v_mov_b32_e32 v19, 0
	s_addc_u32 s7, s29, s7
	v_lshlrev_b64 v[26:27], 3, v[18:19]
	v_mov_b32_e32 v19, s7
	v_add_co_u32_e32 v26, vcc, s6, v26
	v_addc_co_u32_e32 v27, vcc, v19, v27, vcc
	global_store_dwordx2 v[26:27], v[12:13], off
.LBB971_265:
	s_or_b64 exec, exec, s[2:3]
	s_mov_b64 s[2:3], 0
.LBB971_266:
	v_and_b32_e32 v26, 1, v28
	s_and_b64 vcc, exec, s[2:3]
	v_cmp_eq_u32_e64 s[2:3], 1, v26
	s_cbranch_vccz .LBB971_279
; %bb.267:
	s_and_saveexec_b64 s[6:7], s[2:3]
	s_cbranch_execz .LBB971_269
; %bb.268:
	v_subrev_u32_e32 v19, s16, v24
	v_lshlrev_b32_e32 v19, 3, v19
	ds_write_b64 v19, v[14:15]
.LBB971_269:
	s_or_b64 exec, exec, s[6:7]
	v_and_b32_e32 v14, 1, v1
	v_cmp_eq_u32_e32 vcc, 1, v14
	s_and_saveexec_b64 s[2:3], vcc
	s_cbranch_execz .LBB971_271
; %bb.270:
	v_subrev_u32_e32 v14, s16, v22
	v_lshlrev_b32_e32 v14, 3, v14
	ds_write_b64 v14, v[16:17]
.LBB971_271:
	s_or_b64 exec, exec, s[2:3]
	v_mov_b32_e32 v14, 1
	v_and_b32_sdwa v14, v14, v28 dst_sel:DWORD dst_unused:UNUSED_PAD src0_sel:DWORD src1_sel:WORD_1
	v_cmp_eq_u32_e32 vcc, 1, v14
	s_and_saveexec_b64 s[2:3], vcc
	s_cbranch_execz .LBB971_273
; %bb.272:
	v_subrev_u32_e32 v14, s16, v20
	v_lshlrev_b32_e32 v14, 3, v14
	ds_write_b64 v14, v[10:11]
.LBB971_273:
	s_or_b64 exec, exec, s[2:3]
	v_and_b32_e32 v10, 1, v29
	v_cmp_eq_u32_e32 vcc, 1, v10
	s_and_saveexec_b64 s[2:3], vcc
	s_cbranch_execz .LBB971_275
; %bb.274:
	v_subrev_u32_e32 v10, s16, v18
	v_lshlrev_b32_e32 v10, 3, v10
	ds_write_b64 v10, v[12:13]
.LBB971_275:
	s_or_b64 exec, exec, s[2:3]
	v_cmp_gt_u32_e32 vcc, s33, v0
	s_waitcnt lgkmcnt(0)
	s_barrier
	s_and_saveexec_b64 s[2:3], vcc
	s_cbranch_execz .LBB971_278
; %bb.276:
	s_mov_b32 s17, 0
	s_lshl_b64 s[6:7], s[16:17], 3
	s_add_u32 s8, s28, s6
	s_addc_u32 s9, s29, s7
	s_lshl_b64 s[6:7], s[22:23], 3
	s_add_u32 s8, s8, s6
	s_addc_u32 s9, s9, s7
	v_lshlrev_b32_e32 v12, 3, v0
	s_mov_b64 s[6:7], 0
	v_mov_b32_e32 v11, 0
	v_mov_b32_e32 v13, s9
	;; [unrolled: 1-line block ×3, first 2 shown]
.LBB971_277:                            ; =>This Inner Loop Header: Depth=1
	ds_read_b64 v[14:15], v12
	v_lshlrev_b64 v[16:17], 3, v[10:11]
	v_add_co_u32_e32 v16, vcc, s8, v16
	v_add_u32_e32 v10, 0x80, v10
	v_addc_co_u32_e32 v17, vcc, v13, v17, vcc
	v_cmp_le_u32_e32 vcc, s33, v10
	v_add_u32_e32 v12, 0x400, v12
	s_or_b64 s[6:7], vcc, s[6:7]
	s_waitcnt lgkmcnt(0)
	global_store_dwordx2 v[16:17], v[14:15], off
	s_andn2_b64 exec, exec, s[6:7]
	s_cbranch_execnz .LBB971_277
.LBB971_278:
	s_or_b64 exec, exec, s[2:3]
.LBB971_279:
	s_mov_b64 s[2:3], -1
	s_and_b64 vcc, exec, s[4:5]
	s_barrier
	s_cbranch_vccnz .LBB971_283
; %bb.280:
	s_and_b64 vcc, exec, s[2:3]
	s_cbranch_vccnz .LBB971_296
.LBB971_281:
	s_and_b64 s[0:1], s[0:1], s[24:25]
	s_and_saveexec_b64 s[2:3], s[0:1]
	s_cbranch_execnz .LBB971_308
.LBB971_282:
	s_endpgm
.LBB971_283:
	s_add_i32 s4, s16, s33
	v_cmp_gt_u32_e32 vcc, s4, v24
	s_or_b64 s[6:7], s[34:35], vcc
	s_and_saveexec_b64 s[2:3], s[6:7]
	s_cbranch_execz .LBB971_286
; %bb.284:
	v_cmp_eq_u32_e32 vcc, 1, v26
	s_and_b64 exec, exec, vcc
	s_cbranch_execz .LBB971_286
; %bb.285:
	s_lshl_b64 s[6:7], s[22:23], 3
	s_add_u32 s5, s30, s6
	v_mov_b32_e32 v25, 0
	s_addc_u32 s6, s31, s7
	v_lshlrev_b64 v[10:11], 3, v[24:25]
	v_mov_b32_e32 v12, s6
	v_add_co_u32_e32 v10, vcc, s5, v10
	v_addc_co_u32_e32 v11, vcc, v12, v11, vcc
	global_store_dwordx2 v[10:11], v[6:7], off
.LBB971_286:
	s_or_b64 exec, exec, s[2:3]
	v_cmp_gt_u32_e32 vcc, s4, v22
	s_or_b64 s[6:7], s[34:35], vcc
	s_and_saveexec_b64 s[2:3], s[6:7]
	s_cbranch_execz .LBB971_289
; %bb.287:
	v_and_b32_e32 v10, 1, v1
	v_cmp_eq_u32_e32 vcc, 1, v10
	s_and_b64 exec, exec, vcc
	s_cbranch_execz .LBB971_289
; %bb.288:
	s_lshl_b64 s[6:7], s[22:23], 3
	s_add_u32 s5, s30, s6
	v_mov_b32_e32 v23, 0
	s_addc_u32 s6, s31, s7
	v_lshlrev_b64 v[10:11], 3, v[22:23]
	v_mov_b32_e32 v12, s6
	v_add_co_u32_e32 v10, vcc, s5, v10
	v_addc_co_u32_e32 v11, vcc, v12, v11, vcc
	global_store_dwordx2 v[10:11], v[8:9], off
.LBB971_289:
	s_or_b64 exec, exec, s[2:3]
	v_cmp_gt_u32_e32 vcc, s4, v20
	s_or_b64 s[6:7], s[34:35], vcc
	s_and_saveexec_b64 s[2:3], s[6:7]
	s_cbranch_execz .LBB971_292
; %bb.290:
	v_mov_b32_e32 v10, 1
	v_and_b32_sdwa v10, v10, v28 dst_sel:DWORD dst_unused:UNUSED_PAD src0_sel:DWORD src1_sel:WORD_1
	v_cmp_eq_u32_e32 vcc, 1, v10
	s_and_b64 exec, exec, vcc
	s_cbranch_execz .LBB971_292
; %bb.291:
	s_lshl_b64 s[6:7], s[22:23], 3
	s_add_u32 s5, s30, s6
	v_mov_b32_e32 v21, 0
	s_addc_u32 s6, s31, s7
	v_lshlrev_b64 v[10:11], 3, v[20:21]
	v_mov_b32_e32 v12, s6
	v_add_co_u32_e32 v10, vcc, s5, v10
	v_addc_co_u32_e32 v11, vcc, v12, v11, vcc
	global_store_dwordx2 v[10:11], v[2:3], off
.LBB971_292:
	s_or_b64 exec, exec, s[2:3]
	v_cmp_gt_u32_e32 vcc, s4, v18
	s_or_b64 s[4:5], s[34:35], vcc
	s_and_saveexec_b64 s[2:3], s[4:5]
	s_cbranch_execz .LBB971_295
; %bb.293:
	v_and_b32_e32 v10, 1, v29
	v_cmp_eq_u32_e32 vcc, 1, v10
	s_and_b64 exec, exec, vcc
	s_cbranch_execz .LBB971_295
; %bb.294:
	s_lshl_b64 s[4:5], s[22:23], 3
	s_add_u32 s4, s30, s4
	v_mov_b32_e32 v19, 0
	s_addc_u32 s5, s31, s5
	v_lshlrev_b64 v[10:11], 3, v[18:19]
	v_mov_b32_e32 v12, s5
	v_add_co_u32_e32 v10, vcc, s4, v10
	v_addc_co_u32_e32 v11, vcc, v12, v11, vcc
	global_store_dwordx2 v[10:11], v[4:5], off
.LBB971_295:
	s_or_b64 exec, exec, s[2:3]
	s_branch .LBB971_281
.LBB971_296:
	v_cmp_eq_u32_e32 vcc, 1, v26
	s_and_saveexec_b64 s[2:3], vcc
	s_cbranch_execz .LBB971_298
; %bb.297:
	v_subrev_u32_e32 v10, s16, v24
	v_lshlrev_b32_e32 v10, 3, v10
	ds_write_b64 v10, v[6:7]
.LBB971_298:
	s_or_b64 exec, exec, s[2:3]
	v_and_b32_e32 v1, 1, v1
	v_cmp_eq_u32_e32 vcc, 1, v1
	s_and_saveexec_b64 s[2:3], vcc
	s_cbranch_execz .LBB971_300
; %bb.299:
	v_subrev_u32_e32 v1, s16, v22
	v_lshlrev_b32_e32 v1, 3, v1
	ds_write_b64 v1, v[8:9]
.LBB971_300:
	s_or_b64 exec, exec, s[2:3]
	v_mov_b32_e32 v1, 1
	v_and_b32_sdwa v1, v1, v28 dst_sel:DWORD dst_unused:UNUSED_PAD src0_sel:DWORD src1_sel:WORD_1
	v_cmp_eq_u32_e32 vcc, 1, v1
	s_and_saveexec_b64 s[2:3], vcc
	s_cbranch_execz .LBB971_302
; %bb.301:
	v_subrev_u32_e32 v1, s16, v20
	v_lshlrev_b32_e32 v1, 3, v1
	ds_write_b64 v1, v[2:3]
.LBB971_302:
	s_or_b64 exec, exec, s[2:3]
	v_and_b32_e32 v1, 1, v29
	v_cmp_eq_u32_e32 vcc, 1, v1
	s_and_saveexec_b64 s[2:3], vcc
	s_cbranch_execz .LBB971_304
; %bb.303:
	v_subrev_u32_e32 v1, s16, v18
	v_lshlrev_b32_e32 v1, 3, v1
	ds_write_b64 v1, v[4:5]
.LBB971_304:
	s_or_b64 exec, exec, s[2:3]
	v_cmp_gt_u32_e32 vcc, s33, v0
	s_waitcnt lgkmcnt(0)
	s_barrier
	s_and_saveexec_b64 s[2:3], vcc
	s_cbranch_execz .LBB971_307
; %bb.305:
	s_mov_b32 s17, 0
	s_lshl_b64 s[4:5], s[16:17], 3
	s_add_u32 s6, s30, s4
	s_addc_u32 s7, s31, s5
	s_lshl_b64 s[4:5], s[22:23], 3
	s_add_u32 s6, s6, s4
	s_addc_u32 s7, s7, s5
	v_lshlrev_b32_e32 v2, 3, v0
	s_mov_b64 s[4:5], 0
	v_mov_b32_e32 v1, 0
	v_mov_b32_e32 v3, s7
.LBB971_306:                            ; =>This Inner Loop Header: Depth=1
	ds_read_b64 v[4:5], v2
	v_lshlrev_b64 v[6:7], 3, v[0:1]
	v_add_co_u32_e32 v6, vcc, s6, v6
	v_add_u32_e32 v0, 0x80, v0
	v_addc_co_u32_e32 v7, vcc, v3, v7, vcc
	v_cmp_le_u32_e32 vcc, s33, v0
	v_add_u32_e32 v2, 0x400, v2
	s_or_b64 s[4:5], vcc, s[4:5]
	s_waitcnt lgkmcnt(0)
	global_store_dwordx2 v[6:7], v[4:5], off
	s_andn2_b64 exec, exec, s[4:5]
	s_cbranch_execnz .LBB971_306
.LBB971_307:
	s_or_b64 exec, exec, s[2:3]
	s_and_b64 s[0:1], s[0:1], s[24:25]
	s_and_saveexec_b64 s[2:3], s[0:1]
	s_cbranch_execz .LBB971_282
.LBB971_308:
	s_add_u32 s0, s22, s33
	s_addc_u32 s1, s23, 0
	s_add_u32 s0, s0, s16
	s_addc_u32 s1, s1, 0
	v_mov_b32_e32 v2, 0
	v_pk_mov_b32 v[0:1], s[0:1], s[0:1] op_sel:[0,1]
	global_store_dwordx2 v2, v[0:1], s[20:21]
	s_endpgm
	.section	.rodata,"a",@progbits
	.p2align	6, 0x0
	.amdhsa_kernel _ZN7rocprim17ROCPRIM_400000_NS6detail17trampoline_kernelINS0_14default_configENS1_25partition_config_selectorILNS1_17partition_subalgoE9EllbEEZZNS1_14partition_implILS5_9ELb0ES3_jPlS8_PNS0_10empty_typeENS0_5tupleIJS8_S9_EEENSB_IJS8_SA_EEENS0_18inequality_wrapperIZN2at6native12_GLOBAL__N_124unique_dim_cuda_templateIfEESt5tupleIJNSF_6TensorESK_SK_EERKSK_lbbbEUlllE0_EEPmJS9_EEE10hipError_tPvRmT3_T4_T5_T6_T7_T9_mT8_P12ihipStream_tbDpT10_ENKUlT_T0_E_clISt17integral_constantIbLb1EES1A_EEDaS15_S16_EUlS15_E_NS1_11comp_targetILNS1_3genE4ELNS1_11target_archE910ELNS1_3gpuE8ELNS1_3repE0EEENS1_30default_config_static_selectorELNS0_4arch9wavefront6targetE1EEEvT1_
		.amdhsa_group_segment_fixed_size 4236
		.amdhsa_private_segment_fixed_size 0
		.amdhsa_kernarg_size 136
		.amdhsa_user_sgpr_count 6
		.amdhsa_user_sgpr_private_segment_buffer 1
		.amdhsa_user_sgpr_dispatch_ptr 0
		.amdhsa_user_sgpr_queue_ptr 0
		.amdhsa_user_sgpr_kernarg_segment_ptr 1
		.amdhsa_user_sgpr_dispatch_id 0
		.amdhsa_user_sgpr_flat_scratch_init 0
		.amdhsa_user_sgpr_kernarg_preload_length 0
		.amdhsa_user_sgpr_kernarg_preload_offset 0
		.amdhsa_user_sgpr_private_segment_size 0
		.amdhsa_uses_dynamic_stack 0
		.amdhsa_system_sgpr_private_segment_wavefront_offset 0
		.amdhsa_system_sgpr_workgroup_id_x 1
		.amdhsa_system_sgpr_workgroup_id_y 0
		.amdhsa_system_sgpr_workgroup_id_z 0
		.amdhsa_system_sgpr_workgroup_info 0
		.amdhsa_system_vgpr_workitem_id 0
		.amdhsa_next_free_vgpr 50
		.amdhsa_next_free_sgpr 52
		.amdhsa_accum_offset 52
		.amdhsa_reserve_vcc 1
		.amdhsa_reserve_flat_scratch 0
		.amdhsa_float_round_mode_32 0
		.amdhsa_float_round_mode_16_64 0
		.amdhsa_float_denorm_mode_32 3
		.amdhsa_float_denorm_mode_16_64 3
		.amdhsa_dx10_clamp 1
		.amdhsa_ieee_mode 1
		.amdhsa_fp16_overflow 0
		.amdhsa_tg_split 0
		.amdhsa_exception_fp_ieee_invalid_op 0
		.amdhsa_exception_fp_denorm_src 0
		.amdhsa_exception_fp_ieee_div_zero 0
		.amdhsa_exception_fp_ieee_overflow 0
		.amdhsa_exception_fp_ieee_underflow 0
		.amdhsa_exception_fp_ieee_inexact 0
		.amdhsa_exception_int_div_zero 0
	.end_amdhsa_kernel
	.section	.text._ZN7rocprim17ROCPRIM_400000_NS6detail17trampoline_kernelINS0_14default_configENS1_25partition_config_selectorILNS1_17partition_subalgoE9EllbEEZZNS1_14partition_implILS5_9ELb0ES3_jPlS8_PNS0_10empty_typeENS0_5tupleIJS8_S9_EEENSB_IJS8_SA_EEENS0_18inequality_wrapperIZN2at6native12_GLOBAL__N_124unique_dim_cuda_templateIfEESt5tupleIJNSF_6TensorESK_SK_EERKSK_lbbbEUlllE0_EEPmJS9_EEE10hipError_tPvRmT3_T4_T5_T6_T7_T9_mT8_P12ihipStream_tbDpT10_ENKUlT_T0_E_clISt17integral_constantIbLb1EES1A_EEDaS15_S16_EUlS15_E_NS1_11comp_targetILNS1_3genE4ELNS1_11target_archE910ELNS1_3gpuE8ELNS1_3repE0EEENS1_30default_config_static_selectorELNS0_4arch9wavefront6targetE1EEEvT1_,"axG",@progbits,_ZN7rocprim17ROCPRIM_400000_NS6detail17trampoline_kernelINS0_14default_configENS1_25partition_config_selectorILNS1_17partition_subalgoE9EllbEEZZNS1_14partition_implILS5_9ELb0ES3_jPlS8_PNS0_10empty_typeENS0_5tupleIJS8_S9_EEENSB_IJS8_SA_EEENS0_18inequality_wrapperIZN2at6native12_GLOBAL__N_124unique_dim_cuda_templateIfEESt5tupleIJNSF_6TensorESK_SK_EERKSK_lbbbEUlllE0_EEPmJS9_EEE10hipError_tPvRmT3_T4_T5_T6_T7_T9_mT8_P12ihipStream_tbDpT10_ENKUlT_T0_E_clISt17integral_constantIbLb1EES1A_EEDaS15_S16_EUlS15_E_NS1_11comp_targetILNS1_3genE4ELNS1_11target_archE910ELNS1_3gpuE8ELNS1_3repE0EEENS1_30default_config_static_selectorELNS0_4arch9wavefront6targetE1EEEvT1_,comdat
.Lfunc_end971:
	.size	_ZN7rocprim17ROCPRIM_400000_NS6detail17trampoline_kernelINS0_14default_configENS1_25partition_config_selectorILNS1_17partition_subalgoE9EllbEEZZNS1_14partition_implILS5_9ELb0ES3_jPlS8_PNS0_10empty_typeENS0_5tupleIJS8_S9_EEENSB_IJS8_SA_EEENS0_18inequality_wrapperIZN2at6native12_GLOBAL__N_124unique_dim_cuda_templateIfEESt5tupleIJNSF_6TensorESK_SK_EERKSK_lbbbEUlllE0_EEPmJS9_EEE10hipError_tPvRmT3_T4_T5_T6_T7_T9_mT8_P12ihipStream_tbDpT10_ENKUlT_T0_E_clISt17integral_constantIbLb1EES1A_EEDaS15_S16_EUlS15_E_NS1_11comp_targetILNS1_3genE4ELNS1_11target_archE910ELNS1_3gpuE8ELNS1_3repE0EEENS1_30default_config_static_selectorELNS0_4arch9wavefront6targetE1EEEvT1_, .Lfunc_end971-_ZN7rocprim17ROCPRIM_400000_NS6detail17trampoline_kernelINS0_14default_configENS1_25partition_config_selectorILNS1_17partition_subalgoE9EllbEEZZNS1_14partition_implILS5_9ELb0ES3_jPlS8_PNS0_10empty_typeENS0_5tupleIJS8_S9_EEENSB_IJS8_SA_EEENS0_18inequality_wrapperIZN2at6native12_GLOBAL__N_124unique_dim_cuda_templateIfEESt5tupleIJNSF_6TensorESK_SK_EERKSK_lbbbEUlllE0_EEPmJS9_EEE10hipError_tPvRmT3_T4_T5_T6_T7_T9_mT8_P12ihipStream_tbDpT10_ENKUlT_T0_E_clISt17integral_constantIbLb1EES1A_EEDaS15_S16_EUlS15_E_NS1_11comp_targetILNS1_3genE4ELNS1_11target_archE910ELNS1_3gpuE8ELNS1_3repE0EEENS1_30default_config_static_selectorELNS0_4arch9wavefront6targetE1EEEvT1_
                                        ; -- End function
	.section	.AMDGPU.csdata,"",@progbits
; Kernel info:
; codeLenInByte = 10980
; NumSgprs: 56
; NumVgprs: 50
; NumAgprs: 0
; TotalNumVgprs: 50
; ScratchSize: 0
; MemoryBound: 0
; FloatMode: 240
; IeeeMode: 1
; LDSByteSize: 4236 bytes/workgroup (compile time only)
; SGPRBlocks: 6
; VGPRBlocks: 6
; NumSGPRsForWavesPerEU: 56
; NumVGPRsForWavesPerEU: 50
; AccumOffset: 52
; Occupancy: 8
; WaveLimiterHint : 1
; COMPUTE_PGM_RSRC2:SCRATCH_EN: 0
; COMPUTE_PGM_RSRC2:USER_SGPR: 6
; COMPUTE_PGM_RSRC2:TRAP_HANDLER: 0
; COMPUTE_PGM_RSRC2:TGID_X_EN: 1
; COMPUTE_PGM_RSRC2:TGID_Y_EN: 0
; COMPUTE_PGM_RSRC2:TGID_Z_EN: 0
; COMPUTE_PGM_RSRC2:TIDIG_COMP_CNT: 0
; COMPUTE_PGM_RSRC3_GFX90A:ACCUM_OFFSET: 12
; COMPUTE_PGM_RSRC3_GFX90A:TG_SPLIT: 0
	.section	.text._ZN7rocprim17ROCPRIM_400000_NS6detail17trampoline_kernelINS0_14default_configENS1_25partition_config_selectorILNS1_17partition_subalgoE9EllbEEZZNS1_14partition_implILS5_9ELb0ES3_jPlS8_PNS0_10empty_typeENS0_5tupleIJS8_S9_EEENSB_IJS8_SA_EEENS0_18inequality_wrapperIZN2at6native12_GLOBAL__N_124unique_dim_cuda_templateIfEESt5tupleIJNSF_6TensorESK_SK_EERKSK_lbbbEUlllE0_EEPmJS9_EEE10hipError_tPvRmT3_T4_T5_T6_T7_T9_mT8_P12ihipStream_tbDpT10_ENKUlT_T0_E_clISt17integral_constantIbLb1EES1A_EEDaS15_S16_EUlS15_E_NS1_11comp_targetILNS1_3genE3ELNS1_11target_archE908ELNS1_3gpuE7ELNS1_3repE0EEENS1_30default_config_static_selectorELNS0_4arch9wavefront6targetE1EEEvT1_,"axG",@progbits,_ZN7rocprim17ROCPRIM_400000_NS6detail17trampoline_kernelINS0_14default_configENS1_25partition_config_selectorILNS1_17partition_subalgoE9EllbEEZZNS1_14partition_implILS5_9ELb0ES3_jPlS8_PNS0_10empty_typeENS0_5tupleIJS8_S9_EEENSB_IJS8_SA_EEENS0_18inequality_wrapperIZN2at6native12_GLOBAL__N_124unique_dim_cuda_templateIfEESt5tupleIJNSF_6TensorESK_SK_EERKSK_lbbbEUlllE0_EEPmJS9_EEE10hipError_tPvRmT3_T4_T5_T6_T7_T9_mT8_P12ihipStream_tbDpT10_ENKUlT_T0_E_clISt17integral_constantIbLb1EES1A_EEDaS15_S16_EUlS15_E_NS1_11comp_targetILNS1_3genE3ELNS1_11target_archE908ELNS1_3gpuE7ELNS1_3repE0EEENS1_30default_config_static_selectorELNS0_4arch9wavefront6targetE1EEEvT1_,comdat
	.globl	_ZN7rocprim17ROCPRIM_400000_NS6detail17trampoline_kernelINS0_14default_configENS1_25partition_config_selectorILNS1_17partition_subalgoE9EllbEEZZNS1_14partition_implILS5_9ELb0ES3_jPlS8_PNS0_10empty_typeENS0_5tupleIJS8_S9_EEENSB_IJS8_SA_EEENS0_18inequality_wrapperIZN2at6native12_GLOBAL__N_124unique_dim_cuda_templateIfEESt5tupleIJNSF_6TensorESK_SK_EERKSK_lbbbEUlllE0_EEPmJS9_EEE10hipError_tPvRmT3_T4_T5_T6_T7_T9_mT8_P12ihipStream_tbDpT10_ENKUlT_T0_E_clISt17integral_constantIbLb1EES1A_EEDaS15_S16_EUlS15_E_NS1_11comp_targetILNS1_3genE3ELNS1_11target_archE908ELNS1_3gpuE7ELNS1_3repE0EEENS1_30default_config_static_selectorELNS0_4arch9wavefront6targetE1EEEvT1_ ; -- Begin function _ZN7rocprim17ROCPRIM_400000_NS6detail17trampoline_kernelINS0_14default_configENS1_25partition_config_selectorILNS1_17partition_subalgoE9EllbEEZZNS1_14partition_implILS5_9ELb0ES3_jPlS8_PNS0_10empty_typeENS0_5tupleIJS8_S9_EEENSB_IJS8_SA_EEENS0_18inequality_wrapperIZN2at6native12_GLOBAL__N_124unique_dim_cuda_templateIfEESt5tupleIJNSF_6TensorESK_SK_EERKSK_lbbbEUlllE0_EEPmJS9_EEE10hipError_tPvRmT3_T4_T5_T6_T7_T9_mT8_P12ihipStream_tbDpT10_ENKUlT_T0_E_clISt17integral_constantIbLb1EES1A_EEDaS15_S16_EUlS15_E_NS1_11comp_targetILNS1_3genE3ELNS1_11target_archE908ELNS1_3gpuE7ELNS1_3repE0EEENS1_30default_config_static_selectorELNS0_4arch9wavefront6targetE1EEEvT1_
	.p2align	8
	.type	_ZN7rocprim17ROCPRIM_400000_NS6detail17trampoline_kernelINS0_14default_configENS1_25partition_config_selectorILNS1_17partition_subalgoE9EllbEEZZNS1_14partition_implILS5_9ELb0ES3_jPlS8_PNS0_10empty_typeENS0_5tupleIJS8_S9_EEENSB_IJS8_SA_EEENS0_18inequality_wrapperIZN2at6native12_GLOBAL__N_124unique_dim_cuda_templateIfEESt5tupleIJNSF_6TensorESK_SK_EERKSK_lbbbEUlllE0_EEPmJS9_EEE10hipError_tPvRmT3_T4_T5_T6_T7_T9_mT8_P12ihipStream_tbDpT10_ENKUlT_T0_E_clISt17integral_constantIbLb1EES1A_EEDaS15_S16_EUlS15_E_NS1_11comp_targetILNS1_3genE3ELNS1_11target_archE908ELNS1_3gpuE7ELNS1_3repE0EEENS1_30default_config_static_selectorELNS0_4arch9wavefront6targetE1EEEvT1_,@function
_ZN7rocprim17ROCPRIM_400000_NS6detail17trampoline_kernelINS0_14default_configENS1_25partition_config_selectorILNS1_17partition_subalgoE9EllbEEZZNS1_14partition_implILS5_9ELb0ES3_jPlS8_PNS0_10empty_typeENS0_5tupleIJS8_S9_EEENSB_IJS8_SA_EEENS0_18inequality_wrapperIZN2at6native12_GLOBAL__N_124unique_dim_cuda_templateIfEESt5tupleIJNSF_6TensorESK_SK_EERKSK_lbbbEUlllE0_EEPmJS9_EEE10hipError_tPvRmT3_T4_T5_T6_T7_T9_mT8_P12ihipStream_tbDpT10_ENKUlT_T0_E_clISt17integral_constantIbLb1EES1A_EEDaS15_S16_EUlS15_E_NS1_11comp_targetILNS1_3genE3ELNS1_11target_archE908ELNS1_3gpuE7ELNS1_3repE0EEENS1_30default_config_static_selectorELNS0_4arch9wavefront6targetE1EEEvT1_: ; @_ZN7rocprim17ROCPRIM_400000_NS6detail17trampoline_kernelINS0_14default_configENS1_25partition_config_selectorILNS1_17partition_subalgoE9EllbEEZZNS1_14partition_implILS5_9ELb0ES3_jPlS8_PNS0_10empty_typeENS0_5tupleIJS8_S9_EEENSB_IJS8_SA_EEENS0_18inequality_wrapperIZN2at6native12_GLOBAL__N_124unique_dim_cuda_templateIfEESt5tupleIJNSF_6TensorESK_SK_EERKSK_lbbbEUlllE0_EEPmJS9_EEE10hipError_tPvRmT3_T4_T5_T6_T7_T9_mT8_P12ihipStream_tbDpT10_ENKUlT_T0_E_clISt17integral_constantIbLb1EES1A_EEDaS15_S16_EUlS15_E_NS1_11comp_targetILNS1_3genE3ELNS1_11target_archE908ELNS1_3gpuE7ELNS1_3repE0EEENS1_30default_config_static_selectorELNS0_4arch9wavefront6targetE1EEEvT1_
; %bb.0:
	.section	.rodata,"a",@progbits
	.p2align	6, 0x0
	.amdhsa_kernel _ZN7rocprim17ROCPRIM_400000_NS6detail17trampoline_kernelINS0_14default_configENS1_25partition_config_selectorILNS1_17partition_subalgoE9EllbEEZZNS1_14partition_implILS5_9ELb0ES3_jPlS8_PNS0_10empty_typeENS0_5tupleIJS8_S9_EEENSB_IJS8_SA_EEENS0_18inequality_wrapperIZN2at6native12_GLOBAL__N_124unique_dim_cuda_templateIfEESt5tupleIJNSF_6TensorESK_SK_EERKSK_lbbbEUlllE0_EEPmJS9_EEE10hipError_tPvRmT3_T4_T5_T6_T7_T9_mT8_P12ihipStream_tbDpT10_ENKUlT_T0_E_clISt17integral_constantIbLb1EES1A_EEDaS15_S16_EUlS15_E_NS1_11comp_targetILNS1_3genE3ELNS1_11target_archE908ELNS1_3gpuE7ELNS1_3repE0EEENS1_30default_config_static_selectorELNS0_4arch9wavefront6targetE1EEEvT1_
		.amdhsa_group_segment_fixed_size 0
		.amdhsa_private_segment_fixed_size 0
		.amdhsa_kernarg_size 136
		.amdhsa_user_sgpr_count 6
		.amdhsa_user_sgpr_private_segment_buffer 1
		.amdhsa_user_sgpr_dispatch_ptr 0
		.amdhsa_user_sgpr_queue_ptr 0
		.amdhsa_user_sgpr_kernarg_segment_ptr 1
		.amdhsa_user_sgpr_dispatch_id 0
		.amdhsa_user_sgpr_flat_scratch_init 0
		.amdhsa_user_sgpr_kernarg_preload_length 0
		.amdhsa_user_sgpr_kernarg_preload_offset 0
		.amdhsa_user_sgpr_private_segment_size 0
		.amdhsa_uses_dynamic_stack 0
		.amdhsa_system_sgpr_private_segment_wavefront_offset 0
		.amdhsa_system_sgpr_workgroup_id_x 1
		.amdhsa_system_sgpr_workgroup_id_y 0
		.amdhsa_system_sgpr_workgroup_id_z 0
		.amdhsa_system_sgpr_workgroup_info 0
		.amdhsa_system_vgpr_workitem_id 0
		.amdhsa_next_free_vgpr 1
		.amdhsa_next_free_sgpr 0
		.amdhsa_accum_offset 4
		.amdhsa_reserve_vcc 0
		.amdhsa_reserve_flat_scratch 0
		.amdhsa_float_round_mode_32 0
		.amdhsa_float_round_mode_16_64 0
		.amdhsa_float_denorm_mode_32 3
		.amdhsa_float_denorm_mode_16_64 3
		.amdhsa_dx10_clamp 1
		.amdhsa_ieee_mode 1
		.amdhsa_fp16_overflow 0
		.amdhsa_tg_split 0
		.amdhsa_exception_fp_ieee_invalid_op 0
		.amdhsa_exception_fp_denorm_src 0
		.amdhsa_exception_fp_ieee_div_zero 0
		.amdhsa_exception_fp_ieee_overflow 0
		.amdhsa_exception_fp_ieee_underflow 0
		.amdhsa_exception_fp_ieee_inexact 0
		.amdhsa_exception_int_div_zero 0
	.end_amdhsa_kernel
	.section	.text._ZN7rocprim17ROCPRIM_400000_NS6detail17trampoline_kernelINS0_14default_configENS1_25partition_config_selectorILNS1_17partition_subalgoE9EllbEEZZNS1_14partition_implILS5_9ELb0ES3_jPlS8_PNS0_10empty_typeENS0_5tupleIJS8_S9_EEENSB_IJS8_SA_EEENS0_18inequality_wrapperIZN2at6native12_GLOBAL__N_124unique_dim_cuda_templateIfEESt5tupleIJNSF_6TensorESK_SK_EERKSK_lbbbEUlllE0_EEPmJS9_EEE10hipError_tPvRmT3_T4_T5_T6_T7_T9_mT8_P12ihipStream_tbDpT10_ENKUlT_T0_E_clISt17integral_constantIbLb1EES1A_EEDaS15_S16_EUlS15_E_NS1_11comp_targetILNS1_3genE3ELNS1_11target_archE908ELNS1_3gpuE7ELNS1_3repE0EEENS1_30default_config_static_selectorELNS0_4arch9wavefront6targetE1EEEvT1_,"axG",@progbits,_ZN7rocprim17ROCPRIM_400000_NS6detail17trampoline_kernelINS0_14default_configENS1_25partition_config_selectorILNS1_17partition_subalgoE9EllbEEZZNS1_14partition_implILS5_9ELb0ES3_jPlS8_PNS0_10empty_typeENS0_5tupleIJS8_S9_EEENSB_IJS8_SA_EEENS0_18inequality_wrapperIZN2at6native12_GLOBAL__N_124unique_dim_cuda_templateIfEESt5tupleIJNSF_6TensorESK_SK_EERKSK_lbbbEUlllE0_EEPmJS9_EEE10hipError_tPvRmT3_T4_T5_T6_T7_T9_mT8_P12ihipStream_tbDpT10_ENKUlT_T0_E_clISt17integral_constantIbLb1EES1A_EEDaS15_S16_EUlS15_E_NS1_11comp_targetILNS1_3genE3ELNS1_11target_archE908ELNS1_3gpuE7ELNS1_3repE0EEENS1_30default_config_static_selectorELNS0_4arch9wavefront6targetE1EEEvT1_,comdat
.Lfunc_end972:
	.size	_ZN7rocprim17ROCPRIM_400000_NS6detail17trampoline_kernelINS0_14default_configENS1_25partition_config_selectorILNS1_17partition_subalgoE9EllbEEZZNS1_14partition_implILS5_9ELb0ES3_jPlS8_PNS0_10empty_typeENS0_5tupleIJS8_S9_EEENSB_IJS8_SA_EEENS0_18inequality_wrapperIZN2at6native12_GLOBAL__N_124unique_dim_cuda_templateIfEESt5tupleIJNSF_6TensorESK_SK_EERKSK_lbbbEUlllE0_EEPmJS9_EEE10hipError_tPvRmT3_T4_T5_T6_T7_T9_mT8_P12ihipStream_tbDpT10_ENKUlT_T0_E_clISt17integral_constantIbLb1EES1A_EEDaS15_S16_EUlS15_E_NS1_11comp_targetILNS1_3genE3ELNS1_11target_archE908ELNS1_3gpuE7ELNS1_3repE0EEENS1_30default_config_static_selectorELNS0_4arch9wavefront6targetE1EEEvT1_, .Lfunc_end972-_ZN7rocprim17ROCPRIM_400000_NS6detail17trampoline_kernelINS0_14default_configENS1_25partition_config_selectorILNS1_17partition_subalgoE9EllbEEZZNS1_14partition_implILS5_9ELb0ES3_jPlS8_PNS0_10empty_typeENS0_5tupleIJS8_S9_EEENSB_IJS8_SA_EEENS0_18inequality_wrapperIZN2at6native12_GLOBAL__N_124unique_dim_cuda_templateIfEESt5tupleIJNSF_6TensorESK_SK_EERKSK_lbbbEUlllE0_EEPmJS9_EEE10hipError_tPvRmT3_T4_T5_T6_T7_T9_mT8_P12ihipStream_tbDpT10_ENKUlT_T0_E_clISt17integral_constantIbLb1EES1A_EEDaS15_S16_EUlS15_E_NS1_11comp_targetILNS1_3genE3ELNS1_11target_archE908ELNS1_3gpuE7ELNS1_3repE0EEENS1_30default_config_static_selectorELNS0_4arch9wavefront6targetE1EEEvT1_
                                        ; -- End function
	.section	.AMDGPU.csdata,"",@progbits
; Kernel info:
; codeLenInByte = 0
; NumSgprs: 4
; NumVgprs: 0
; NumAgprs: 0
; TotalNumVgprs: 0
; ScratchSize: 0
; MemoryBound: 0
; FloatMode: 240
; IeeeMode: 1
; LDSByteSize: 0 bytes/workgroup (compile time only)
; SGPRBlocks: 0
; VGPRBlocks: 0
; NumSGPRsForWavesPerEU: 4
; NumVGPRsForWavesPerEU: 1
; AccumOffset: 4
; Occupancy: 8
; WaveLimiterHint : 0
; COMPUTE_PGM_RSRC2:SCRATCH_EN: 0
; COMPUTE_PGM_RSRC2:USER_SGPR: 6
; COMPUTE_PGM_RSRC2:TRAP_HANDLER: 0
; COMPUTE_PGM_RSRC2:TGID_X_EN: 1
; COMPUTE_PGM_RSRC2:TGID_Y_EN: 0
; COMPUTE_PGM_RSRC2:TGID_Z_EN: 0
; COMPUTE_PGM_RSRC2:TIDIG_COMP_CNT: 0
; COMPUTE_PGM_RSRC3_GFX90A:ACCUM_OFFSET: 0
; COMPUTE_PGM_RSRC3_GFX90A:TG_SPLIT: 0
	.section	.text._ZN7rocprim17ROCPRIM_400000_NS6detail17trampoline_kernelINS0_14default_configENS1_25partition_config_selectorILNS1_17partition_subalgoE9EllbEEZZNS1_14partition_implILS5_9ELb0ES3_jPlS8_PNS0_10empty_typeENS0_5tupleIJS8_S9_EEENSB_IJS8_SA_EEENS0_18inequality_wrapperIZN2at6native12_GLOBAL__N_124unique_dim_cuda_templateIfEESt5tupleIJNSF_6TensorESK_SK_EERKSK_lbbbEUlllE0_EEPmJS9_EEE10hipError_tPvRmT3_T4_T5_T6_T7_T9_mT8_P12ihipStream_tbDpT10_ENKUlT_T0_E_clISt17integral_constantIbLb1EES1A_EEDaS15_S16_EUlS15_E_NS1_11comp_targetILNS1_3genE2ELNS1_11target_archE906ELNS1_3gpuE6ELNS1_3repE0EEENS1_30default_config_static_selectorELNS0_4arch9wavefront6targetE1EEEvT1_,"axG",@progbits,_ZN7rocprim17ROCPRIM_400000_NS6detail17trampoline_kernelINS0_14default_configENS1_25partition_config_selectorILNS1_17partition_subalgoE9EllbEEZZNS1_14partition_implILS5_9ELb0ES3_jPlS8_PNS0_10empty_typeENS0_5tupleIJS8_S9_EEENSB_IJS8_SA_EEENS0_18inequality_wrapperIZN2at6native12_GLOBAL__N_124unique_dim_cuda_templateIfEESt5tupleIJNSF_6TensorESK_SK_EERKSK_lbbbEUlllE0_EEPmJS9_EEE10hipError_tPvRmT3_T4_T5_T6_T7_T9_mT8_P12ihipStream_tbDpT10_ENKUlT_T0_E_clISt17integral_constantIbLb1EES1A_EEDaS15_S16_EUlS15_E_NS1_11comp_targetILNS1_3genE2ELNS1_11target_archE906ELNS1_3gpuE6ELNS1_3repE0EEENS1_30default_config_static_selectorELNS0_4arch9wavefront6targetE1EEEvT1_,comdat
	.globl	_ZN7rocprim17ROCPRIM_400000_NS6detail17trampoline_kernelINS0_14default_configENS1_25partition_config_selectorILNS1_17partition_subalgoE9EllbEEZZNS1_14partition_implILS5_9ELb0ES3_jPlS8_PNS0_10empty_typeENS0_5tupleIJS8_S9_EEENSB_IJS8_SA_EEENS0_18inequality_wrapperIZN2at6native12_GLOBAL__N_124unique_dim_cuda_templateIfEESt5tupleIJNSF_6TensorESK_SK_EERKSK_lbbbEUlllE0_EEPmJS9_EEE10hipError_tPvRmT3_T4_T5_T6_T7_T9_mT8_P12ihipStream_tbDpT10_ENKUlT_T0_E_clISt17integral_constantIbLb1EES1A_EEDaS15_S16_EUlS15_E_NS1_11comp_targetILNS1_3genE2ELNS1_11target_archE906ELNS1_3gpuE6ELNS1_3repE0EEENS1_30default_config_static_selectorELNS0_4arch9wavefront6targetE1EEEvT1_ ; -- Begin function _ZN7rocprim17ROCPRIM_400000_NS6detail17trampoline_kernelINS0_14default_configENS1_25partition_config_selectorILNS1_17partition_subalgoE9EllbEEZZNS1_14partition_implILS5_9ELb0ES3_jPlS8_PNS0_10empty_typeENS0_5tupleIJS8_S9_EEENSB_IJS8_SA_EEENS0_18inequality_wrapperIZN2at6native12_GLOBAL__N_124unique_dim_cuda_templateIfEESt5tupleIJNSF_6TensorESK_SK_EERKSK_lbbbEUlllE0_EEPmJS9_EEE10hipError_tPvRmT3_T4_T5_T6_T7_T9_mT8_P12ihipStream_tbDpT10_ENKUlT_T0_E_clISt17integral_constantIbLb1EES1A_EEDaS15_S16_EUlS15_E_NS1_11comp_targetILNS1_3genE2ELNS1_11target_archE906ELNS1_3gpuE6ELNS1_3repE0EEENS1_30default_config_static_selectorELNS0_4arch9wavefront6targetE1EEEvT1_
	.p2align	8
	.type	_ZN7rocprim17ROCPRIM_400000_NS6detail17trampoline_kernelINS0_14default_configENS1_25partition_config_selectorILNS1_17partition_subalgoE9EllbEEZZNS1_14partition_implILS5_9ELb0ES3_jPlS8_PNS0_10empty_typeENS0_5tupleIJS8_S9_EEENSB_IJS8_SA_EEENS0_18inequality_wrapperIZN2at6native12_GLOBAL__N_124unique_dim_cuda_templateIfEESt5tupleIJNSF_6TensorESK_SK_EERKSK_lbbbEUlllE0_EEPmJS9_EEE10hipError_tPvRmT3_T4_T5_T6_T7_T9_mT8_P12ihipStream_tbDpT10_ENKUlT_T0_E_clISt17integral_constantIbLb1EES1A_EEDaS15_S16_EUlS15_E_NS1_11comp_targetILNS1_3genE2ELNS1_11target_archE906ELNS1_3gpuE6ELNS1_3repE0EEENS1_30default_config_static_selectorELNS0_4arch9wavefront6targetE1EEEvT1_,@function
_ZN7rocprim17ROCPRIM_400000_NS6detail17trampoline_kernelINS0_14default_configENS1_25partition_config_selectorILNS1_17partition_subalgoE9EllbEEZZNS1_14partition_implILS5_9ELb0ES3_jPlS8_PNS0_10empty_typeENS0_5tupleIJS8_S9_EEENSB_IJS8_SA_EEENS0_18inequality_wrapperIZN2at6native12_GLOBAL__N_124unique_dim_cuda_templateIfEESt5tupleIJNSF_6TensorESK_SK_EERKSK_lbbbEUlllE0_EEPmJS9_EEE10hipError_tPvRmT3_T4_T5_T6_T7_T9_mT8_P12ihipStream_tbDpT10_ENKUlT_T0_E_clISt17integral_constantIbLb1EES1A_EEDaS15_S16_EUlS15_E_NS1_11comp_targetILNS1_3genE2ELNS1_11target_archE906ELNS1_3gpuE6ELNS1_3repE0EEENS1_30default_config_static_selectorELNS0_4arch9wavefront6targetE1EEEvT1_: ; @_ZN7rocprim17ROCPRIM_400000_NS6detail17trampoline_kernelINS0_14default_configENS1_25partition_config_selectorILNS1_17partition_subalgoE9EllbEEZZNS1_14partition_implILS5_9ELb0ES3_jPlS8_PNS0_10empty_typeENS0_5tupleIJS8_S9_EEENSB_IJS8_SA_EEENS0_18inequality_wrapperIZN2at6native12_GLOBAL__N_124unique_dim_cuda_templateIfEESt5tupleIJNSF_6TensorESK_SK_EERKSK_lbbbEUlllE0_EEPmJS9_EEE10hipError_tPvRmT3_T4_T5_T6_T7_T9_mT8_P12ihipStream_tbDpT10_ENKUlT_T0_E_clISt17integral_constantIbLb1EES1A_EEDaS15_S16_EUlS15_E_NS1_11comp_targetILNS1_3genE2ELNS1_11target_archE906ELNS1_3gpuE6ELNS1_3repE0EEENS1_30default_config_static_selectorELNS0_4arch9wavefront6targetE1EEEvT1_
; %bb.0:
	.section	.rodata,"a",@progbits
	.p2align	6, 0x0
	.amdhsa_kernel _ZN7rocprim17ROCPRIM_400000_NS6detail17trampoline_kernelINS0_14default_configENS1_25partition_config_selectorILNS1_17partition_subalgoE9EllbEEZZNS1_14partition_implILS5_9ELb0ES3_jPlS8_PNS0_10empty_typeENS0_5tupleIJS8_S9_EEENSB_IJS8_SA_EEENS0_18inequality_wrapperIZN2at6native12_GLOBAL__N_124unique_dim_cuda_templateIfEESt5tupleIJNSF_6TensorESK_SK_EERKSK_lbbbEUlllE0_EEPmJS9_EEE10hipError_tPvRmT3_T4_T5_T6_T7_T9_mT8_P12ihipStream_tbDpT10_ENKUlT_T0_E_clISt17integral_constantIbLb1EES1A_EEDaS15_S16_EUlS15_E_NS1_11comp_targetILNS1_3genE2ELNS1_11target_archE906ELNS1_3gpuE6ELNS1_3repE0EEENS1_30default_config_static_selectorELNS0_4arch9wavefront6targetE1EEEvT1_
		.amdhsa_group_segment_fixed_size 0
		.amdhsa_private_segment_fixed_size 0
		.amdhsa_kernarg_size 136
		.amdhsa_user_sgpr_count 6
		.amdhsa_user_sgpr_private_segment_buffer 1
		.amdhsa_user_sgpr_dispatch_ptr 0
		.amdhsa_user_sgpr_queue_ptr 0
		.amdhsa_user_sgpr_kernarg_segment_ptr 1
		.amdhsa_user_sgpr_dispatch_id 0
		.amdhsa_user_sgpr_flat_scratch_init 0
		.amdhsa_user_sgpr_kernarg_preload_length 0
		.amdhsa_user_sgpr_kernarg_preload_offset 0
		.amdhsa_user_sgpr_private_segment_size 0
		.amdhsa_uses_dynamic_stack 0
		.amdhsa_system_sgpr_private_segment_wavefront_offset 0
		.amdhsa_system_sgpr_workgroup_id_x 1
		.amdhsa_system_sgpr_workgroup_id_y 0
		.amdhsa_system_sgpr_workgroup_id_z 0
		.amdhsa_system_sgpr_workgroup_info 0
		.amdhsa_system_vgpr_workitem_id 0
		.amdhsa_next_free_vgpr 1
		.amdhsa_next_free_sgpr 0
		.amdhsa_accum_offset 4
		.amdhsa_reserve_vcc 0
		.amdhsa_reserve_flat_scratch 0
		.amdhsa_float_round_mode_32 0
		.amdhsa_float_round_mode_16_64 0
		.amdhsa_float_denorm_mode_32 3
		.amdhsa_float_denorm_mode_16_64 3
		.amdhsa_dx10_clamp 1
		.amdhsa_ieee_mode 1
		.amdhsa_fp16_overflow 0
		.amdhsa_tg_split 0
		.amdhsa_exception_fp_ieee_invalid_op 0
		.amdhsa_exception_fp_denorm_src 0
		.amdhsa_exception_fp_ieee_div_zero 0
		.amdhsa_exception_fp_ieee_overflow 0
		.amdhsa_exception_fp_ieee_underflow 0
		.amdhsa_exception_fp_ieee_inexact 0
		.amdhsa_exception_int_div_zero 0
	.end_amdhsa_kernel
	.section	.text._ZN7rocprim17ROCPRIM_400000_NS6detail17trampoline_kernelINS0_14default_configENS1_25partition_config_selectorILNS1_17partition_subalgoE9EllbEEZZNS1_14partition_implILS5_9ELb0ES3_jPlS8_PNS0_10empty_typeENS0_5tupleIJS8_S9_EEENSB_IJS8_SA_EEENS0_18inequality_wrapperIZN2at6native12_GLOBAL__N_124unique_dim_cuda_templateIfEESt5tupleIJNSF_6TensorESK_SK_EERKSK_lbbbEUlllE0_EEPmJS9_EEE10hipError_tPvRmT3_T4_T5_T6_T7_T9_mT8_P12ihipStream_tbDpT10_ENKUlT_T0_E_clISt17integral_constantIbLb1EES1A_EEDaS15_S16_EUlS15_E_NS1_11comp_targetILNS1_3genE2ELNS1_11target_archE906ELNS1_3gpuE6ELNS1_3repE0EEENS1_30default_config_static_selectorELNS0_4arch9wavefront6targetE1EEEvT1_,"axG",@progbits,_ZN7rocprim17ROCPRIM_400000_NS6detail17trampoline_kernelINS0_14default_configENS1_25partition_config_selectorILNS1_17partition_subalgoE9EllbEEZZNS1_14partition_implILS5_9ELb0ES3_jPlS8_PNS0_10empty_typeENS0_5tupleIJS8_S9_EEENSB_IJS8_SA_EEENS0_18inequality_wrapperIZN2at6native12_GLOBAL__N_124unique_dim_cuda_templateIfEESt5tupleIJNSF_6TensorESK_SK_EERKSK_lbbbEUlllE0_EEPmJS9_EEE10hipError_tPvRmT3_T4_T5_T6_T7_T9_mT8_P12ihipStream_tbDpT10_ENKUlT_T0_E_clISt17integral_constantIbLb1EES1A_EEDaS15_S16_EUlS15_E_NS1_11comp_targetILNS1_3genE2ELNS1_11target_archE906ELNS1_3gpuE6ELNS1_3repE0EEENS1_30default_config_static_selectorELNS0_4arch9wavefront6targetE1EEEvT1_,comdat
.Lfunc_end973:
	.size	_ZN7rocprim17ROCPRIM_400000_NS6detail17trampoline_kernelINS0_14default_configENS1_25partition_config_selectorILNS1_17partition_subalgoE9EllbEEZZNS1_14partition_implILS5_9ELb0ES3_jPlS8_PNS0_10empty_typeENS0_5tupleIJS8_S9_EEENSB_IJS8_SA_EEENS0_18inequality_wrapperIZN2at6native12_GLOBAL__N_124unique_dim_cuda_templateIfEESt5tupleIJNSF_6TensorESK_SK_EERKSK_lbbbEUlllE0_EEPmJS9_EEE10hipError_tPvRmT3_T4_T5_T6_T7_T9_mT8_P12ihipStream_tbDpT10_ENKUlT_T0_E_clISt17integral_constantIbLb1EES1A_EEDaS15_S16_EUlS15_E_NS1_11comp_targetILNS1_3genE2ELNS1_11target_archE906ELNS1_3gpuE6ELNS1_3repE0EEENS1_30default_config_static_selectorELNS0_4arch9wavefront6targetE1EEEvT1_, .Lfunc_end973-_ZN7rocprim17ROCPRIM_400000_NS6detail17trampoline_kernelINS0_14default_configENS1_25partition_config_selectorILNS1_17partition_subalgoE9EllbEEZZNS1_14partition_implILS5_9ELb0ES3_jPlS8_PNS0_10empty_typeENS0_5tupleIJS8_S9_EEENSB_IJS8_SA_EEENS0_18inequality_wrapperIZN2at6native12_GLOBAL__N_124unique_dim_cuda_templateIfEESt5tupleIJNSF_6TensorESK_SK_EERKSK_lbbbEUlllE0_EEPmJS9_EEE10hipError_tPvRmT3_T4_T5_T6_T7_T9_mT8_P12ihipStream_tbDpT10_ENKUlT_T0_E_clISt17integral_constantIbLb1EES1A_EEDaS15_S16_EUlS15_E_NS1_11comp_targetILNS1_3genE2ELNS1_11target_archE906ELNS1_3gpuE6ELNS1_3repE0EEENS1_30default_config_static_selectorELNS0_4arch9wavefront6targetE1EEEvT1_
                                        ; -- End function
	.section	.AMDGPU.csdata,"",@progbits
; Kernel info:
; codeLenInByte = 0
; NumSgprs: 4
; NumVgprs: 0
; NumAgprs: 0
; TotalNumVgprs: 0
; ScratchSize: 0
; MemoryBound: 0
; FloatMode: 240
; IeeeMode: 1
; LDSByteSize: 0 bytes/workgroup (compile time only)
; SGPRBlocks: 0
; VGPRBlocks: 0
; NumSGPRsForWavesPerEU: 4
; NumVGPRsForWavesPerEU: 1
; AccumOffset: 4
; Occupancy: 8
; WaveLimiterHint : 0
; COMPUTE_PGM_RSRC2:SCRATCH_EN: 0
; COMPUTE_PGM_RSRC2:USER_SGPR: 6
; COMPUTE_PGM_RSRC2:TRAP_HANDLER: 0
; COMPUTE_PGM_RSRC2:TGID_X_EN: 1
; COMPUTE_PGM_RSRC2:TGID_Y_EN: 0
; COMPUTE_PGM_RSRC2:TGID_Z_EN: 0
; COMPUTE_PGM_RSRC2:TIDIG_COMP_CNT: 0
; COMPUTE_PGM_RSRC3_GFX90A:ACCUM_OFFSET: 0
; COMPUTE_PGM_RSRC3_GFX90A:TG_SPLIT: 0
	.section	.text._ZN7rocprim17ROCPRIM_400000_NS6detail17trampoline_kernelINS0_14default_configENS1_25partition_config_selectorILNS1_17partition_subalgoE9EllbEEZZNS1_14partition_implILS5_9ELb0ES3_jPlS8_PNS0_10empty_typeENS0_5tupleIJS8_S9_EEENSB_IJS8_SA_EEENS0_18inequality_wrapperIZN2at6native12_GLOBAL__N_124unique_dim_cuda_templateIfEESt5tupleIJNSF_6TensorESK_SK_EERKSK_lbbbEUlllE0_EEPmJS9_EEE10hipError_tPvRmT3_T4_T5_T6_T7_T9_mT8_P12ihipStream_tbDpT10_ENKUlT_T0_E_clISt17integral_constantIbLb1EES1A_EEDaS15_S16_EUlS15_E_NS1_11comp_targetILNS1_3genE10ELNS1_11target_archE1200ELNS1_3gpuE4ELNS1_3repE0EEENS1_30default_config_static_selectorELNS0_4arch9wavefront6targetE1EEEvT1_,"axG",@progbits,_ZN7rocprim17ROCPRIM_400000_NS6detail17trampoline_kernelINS0_14default_configENS1_25partition_config_selectorILNS1_17partition_subalgoE9EllbEEZZNS1_14partition_implILS5_9ELb0ES3_jPlS8_PNS0_10empty_typeENS0_5tupleIJS8_S9_EEENSB_IJS8_SA_EEENS0_18inequality_wrapperIZN2at6native12_GLOBAL__N_124unique_dim_cuda_templateIfEESt5tupleIJNSF_6TensorESK_SK_EERKSK_lbbbEUlllE0_EEPmJS9_EEE10hipError_tPvRmT3_T4_T5_T6_T7_T9_mT8_P12ihipStream_tbDpT10_ENKUlT_T0_E_clISt17integral_constantIbLb1EES1A_EEDaS15_S16_EUlS15_E_NS1_11comp_targetILNS1_3genE10ELNS1_11target_archE1200ELNS1_3gpuE4ELNS1_3repE0EEENS1_30default_config_static_selectorELNS0_4arch9wavefront6targetE1EEEvT1_,comdat
	.globl	_ZN7rocprim17ROCPRIM_400000_NS6detail17trampoline_kernelINS0_14default_configENS1_25partition_config_selectorILNS1_17partition_subalgoE9EllbEEZZNS1_14partition_implILS5_9ELb0ES3_jPlS8_PNS0_10empty_typeENS0_5tupleIJS8_S9_EEENSB_IJS8_SA_EEENS0_18inequality_wrapperIZN2at6native12_GLOBAL__N_124unique_dim_cuda_templateIfEESt5tupleIJNSF_6TensorESK_SK_EERKSK_lbbbEUlllE0_EEPmJS9_EEE10hipError_tPvRmT3_T4_T5_T6_T7_T9_mT8_P12ihipStream_tbDpT10_ENKUlT_T0_E_clISt17integral_constantIbLb1EES1A_EEDaS15_S16_EUlS15_E_NS1_11comp_targetILNS1_3genE10ELNS1_11target_archE1200ELNS1_3gpuE4ELNS1_3repE0EEENS1_30default_config_static_selectorELNS0_4arch9wavefront6targetE1EEEvT1_ ; -- Begin function _ZN7rocprim17ROCPRIM_400000_NS6detail17trampoline_kernelINS0_14default_configENS1_25partition_config_selectorILNS1_17partition_subalgoE9EllbEEZZNS1_14partition_implILS5_9ELb0ES3_jPlS8_PNS0_10empty_typeENS0_5tupleIJS8_S9_EEENSB_IJS8_SA_EEENS0_18inequality_wrapperIZN2at6native12_GLOBAL__N_124unique_dim_cuda_templateIfEESt5tupleIJNSF_6TensorESK_SK_EERKSK_lbbbEUlllE0_EEPmJS9_EEE10hipError_tPvRmT3_T4_T5_T6_T7_T9_mT8_P12ihipStream_tbDpT10_ENKUlT_T0_E_clISt17integral_constantIbLb1EES1A_EEDaS15_S16_EUlS15_E_NS1_11comp_targetILNS1_3genE10ELNS1_11target_archE1200ELNS1_3gpuE4ELNS1_3repE0EEENS1_30default_config_static_selectorELNS0_4arch9wavefront6targetE1EEEvT1_
	.p2align	8
	.type	_ZN7rocprim17ROCPRIM_400000_NS6detail17trampoline_kernelINS0_14default_configENS1_25partition_config_selectorILNS1_17partition_subalgoE9EllbEEZZNS1_14partition_implILS5_9ELb0ES3_jPlS8_PNS0_10empty_typeENS0_5tupleIJS8_S9_EEENSB_IJS8_SA_EEENS0_18inequality_wrapperIZN2at6native12_GLOBAL__N_124unique_dim_cuda_templateIfEESt5tupleIJNSF_6TensorESK_SK_EERKSK_lbbbEUlllE0_EEPmJS9_EEE10hipError_tPvRmT3_T4_T5_T6_T7_T9_mT8_P12ihipStream_tbDpT10_ENKUlT_T0_E_clISt17integral_constantIbLb1EES1A_EEDaS15_S16_EUlS15_E_NS1_11comp_targetILNS1_3genE10ELNS1_11target_archE1200ELNS1_3gpuE4ELNS1_3repE0EEENS1_30default_config_static_selectorELNS0_4arch9wavefront6targetE1EEEvT1_,@function
_ZN7rocprim17ROCPRIM_400000_NS6detail17trampoline_kernelINS0_14default_configENS1_25partition_config_selectorILNS1_17partition_subalgoE9EllbEEZZNS1_14partition_implILS5_9ELb0ES3_jPlS8_PNS0_10empty_typeENS0_5tupleIJS8_S9_EEENSB_IJS8_SA_EEENS0_18inequality_wrapperIZN2at6native12_GLOBAL__N_124unique_dim_cuda_templateIfEESt5tupleIJNSF_6TensorESK_SK_EERKSK_lbbbEUlllE0_EEPmJS9_EEE10hipError_tPvRmT3_T4_T5_T6_T7_T9_mT8_P12ihipStream_tbDpT10_ENKUlT_T0_E_clISt17integral_constantIbLb1EES1A_EEDaS15_S16_EUlS15_E_NS1_11comp_targetILNS1_3genE10ELNS1_11target_archE1200ELNS1_3gpuE4ELNS1_3repE0EEENS1_30default_config_static_selectorELNS0_4arch9wavefront6targetE1EEEvT1_: ; @_ZN7rocprim17ROCPRIM_400000_NS6detail17trampoline_kernelINS0_14default_configENS1_25partition_config_selectorILNS1_17partition_subalgoE9EllbEEZZNS1_14partition_implILS5_9ELb0ES3_jPlS8_PNS0_10empty_typeENS0_5tupleIJS8_S9_EEENSB_IJS8_SA_EEENS0_18inequality_wrapperIZN2at6native12_GLOBAL__N_124unique_dim_cuda_templateIfEESt5tupleIJNSF_6TensorESK_SK_EERKSK_lbbbEUlllE0_EEPmJS9_EEE10hipError_tPvRmT3_T4_T5_T6_T7_T9_mT8_P12ihipStream_tbDpT10_ENKUlT_T0_E_clISt17integral_constantIbLb1EES1A_EEDaS15_S16_EUlS15_E_NS1_11comp_targetILNS1_3genE10ELNS1_11target_archE1200ELNS1_3gpuE4ELNS1_3repE0EEENS1_30default_config_static_selectorELNS0_4arch9wavefront6targetE1EEEvT1_
; %bb.0:
	.section	.rodata,"a",@progbits
	.p2align	6, 0x0
	.amdhsa_kernel _ZN7rocprim17ROCPRIM_400000_NS6detail17trampoline_kernelINS0_14default_configENS1_25partition_config_selectorILNS1_17partition_subalgoE9EllbEEZZNS1_14partition_implILS5_9ELb0ES3_jPlS8_PNS0_10empty_typeENS0_5tupleIJS8_S9_EEENSB_IJS8_SA_EEENS0_18inequality_wrapperIZN2at6native12_GLOBAL__N_124unique_dim_cuda_templateIfEESt5tupleIJNSF_6TensorESK_SK_EERKSK_lbbbEUlllE0_EEPmJS9_EEE10hipError_tPvRmT3_T4_T5_T6_T7_T9_mT8_P12ihipStream_tbDpT10_ENKUlT_T0_E_clISt17integral_constantIbLb1EES1A_EEDaS15_S16_EUlS15_E_NS1_11comp_targetILNS1_3genE10ELNS1_11target_archE1200ELNS1_3gpuE4ELNS1_3repE0EEENS1_30default_config_static_selectorELNS0_4arch9wavefront6targetE1EEEvT1_
		.amdhsa_group_segment_fixed_size 0
		.amdhsa_private_segment_fixed_size 0
		.amdhsa_kernarg_size 136
		.amdhsa_user_sgpr_count 6
		.amdhsa_user_sgpr_private_segment_buffer 1
		.amdhsa_user_sgpr_dispatch_ptr 0
		.amdhsa_user_sgpr_queue_ptr 0
		.amdhsa_user_sgpr_kernarg_segment_ptr 1
		.amdhsa_user_sgpr_dispatch_id 0
		.amdhsa_user_sgpr_flat_scratch_init 0
		.amdhsa_user_sgpr_kernarg_preload_length 0
		.amdhsa_user_sgpr_kernarg_preload_offset 0
		.amdhsa_user_sgpr_private_segment_size 0
		.amdhsa_uses_dynamic_stack 0
		.amdhsa_system_sgpr_private_segment_wavefront_offset 0
		.amdhsa_system_sgpr_workgroup_id_x 1
		.amdhsa_system_sgpr_workgroup_id_y 0
		.amdhsa_system_sgpr_workgroup_id_z 0
		.amdhsa_system_sgpr_workgroup_info 0
		.amdhsa_system_vgpr_workitem_id 0
		.amdhsa_next_free_vgpr 1
		.amdhsa_next_free_sgpr 0
		.amdhsa_accum_offset 4
		.amdhsa_reserve_vcc 0
		.amdhsa_reserve_flat_scratch 0
		.amdhsa_float_round_mode_32 0
		.amdhsa_float_round_mode_16_64 0
		.amdhsa_float_denorm_mode_32 3
		.amdhsa_float_denorm_mode_16_64 3
		.amdhsa_dx10_clamp 1
		.amdhsa_ieee_mode 1
		.amdhsa_fp16_overflow 0
		.amdhsa_tg_split 0
		.amdhsa_exception_fp_ieee_invalid_op 0
		.amdhsa_exception_fp_denorm_src 0
		.amdhsa_exception_fp_ieee_div_zero 0
		.amdhsa_exception_fp_ieee_overflow 0
		.amdhsa_exception_fp_ieee_underflow 0
		.amdhsa_exception_fp_ieee_inexact 0
		.amdhsa_exception_int_div_zero 0
	.end_amdhsa_kernel
	.section	.text._ZN7rocprim17ROCPRIM_400000_NS6detail17trampoline_kernelINS0_14default_configENS1_25partition_config_selectorILNS1_17partition_subalgoE9EllbEEZZNS1_14partition_implILS5_9ELb0ES3_jPlS8_PNS0_10empty_typeENS0_5tupleIJS8_S9_EEENSB_IJS8_SA_EEENS0_18inequality_wrapperIZN2at6native12_GLOBAL__N_124unique_dim_cuda_templateIfEESt5tupleIJNSF_6TensorESK_SK_EERKSK_lbbbEUlllE0_EEPmJS9_EEE10hipError_tPvRmT3_T4_T5_T6_T7_T9_mT8_P12ihipStream_tbDpT10_ENKUlT_T0_E_clISt17integral_constantIbLb1EES1A_EEDaS15_S16_EUlS15_E_NS1_11comp_targetILNS1_3genE10ELNS1_11target_archE1200ELNS1_3gpuE4ELNS1_3repE0EEENS1_30default_config_static_selectorELNS0_4arch9wavefront6targetE1EEEvT1_,"axG",@progbits,_ZN7rocprim17ROCPRIM_400000_NS6detail17trampoline_kernelINS0_14default_configENS1_25partition_config_selectorILNS1_17partition_subalgoE9EllbEEZZNS1_14partition_implILS5_9ELb0ES3_jPlS8_PNS0_10empty_typeENS0_5tupleIJS8_S9_EEENSB_IJS8_SA_EEENS0_18inequality_wrapperIZN2at6native12_GLOBAL__N_124unique_dim_cuda_templateIfEESt5tupleIJNSF_6TensorESK_SK_EERKSK_lbbbEUlllE0_EEPmJS9_EEE10hipError_tPvRmT3_T4_T5_T6_T7_T9_mT8_P12ihipStream_tbDpT10_ENKUlT_T0_E_clISt17integral_constantIbLb1EES1A_EEDaS15_S16_EUlS15_E_NS1_11comp_targetILNS1_3genE10ELNS1_11target_archE1200ELNS1_3gpuE4ELNS1_3repE0EEENS1_30default_config_static_selectorELNS0_4arch9wavefront6targetE1EEEvT1_,comdat
.Lfunc_end974:
	.size	_ZN7rocprim17ROCPRIM_400000_NS6detail17trampoline_kernelINS0_14default_configENS1_25partition_config_selectorILNS1_17partition_subalgoE9EllbEEZZNS1_14partition_implILS5_9ELb0ES3_jPlS8_PNS0_10empty_typeENS0_5tupleIJS8_S9_EEENSB_IJS8_SA_EEENS0_18inequality_wrapperIZN2at6native12_GLOBAL__N_124unique_dim_cuda_templateIfEESt5tupleIJNSF_6TensorESK_SK_EERKSK_lbbbEUlllE0_EEPmJS9_EEE10hipError_tPvRmT3_T4_T5_T6_T7_T9_mT8_P12ihipStream_tbDpT10_ENKUlT_T0_E_clISt17integral_constantIbLb1EES1A_EEDaS15_S16_EUlS15_E_NS1_11comp_targetILNS1_3genE10ELNS1_11target_archE1200ELNS1_3gpuE4ELNS1_3repE0EEENS1_30default_config_static_selectorELNS0_4arch9wavefront6targetE1EEEvT1_, .Lfunc_end974-_ZN7rocprim17ROCPRIM_400000_NS6detail17trampoline_kernelINS0_14default_configENS1_25partition_config_selectorILNS1_17partition_subalgoE9EllbEEZZNS1_14partition_implILS5_9ELb0ES3_jPlS8_PNS0_10empty_typeENS0_5tupleIJS8_S9_EEENSB_IJS8_SA_EEENS0_18inequality_wrapperIZN2at6native12_GLOBAL__N_124unique_dim_cuda_templateIfEESt5tupleIJNSF_6TensorESK_SK_EERKSK_lbbbEUlllE0_EEPmJS9_EEE10hipError_tPvRmT3_T4_T5_T6_T7_T9_mT8_P12ihipStream_tbDpT10_ENKUlT_T0_E_clISt17integral_constantIbLb1EES1A_EEDaS15_S16_EUlS15_E_NS1_11comp_targetILNS1_3genE10ELNS1_11target_archE1200ELNS1_3gpuE4ELNS1_3repE0EEENS1_30default_config_static_selectorELNS0_4arch9wavefront6targetE1EEEvT1_
                                        ; -- End function
	.section	.AMDGPU.csdata,"",@progbits
; Kernel info:
; codeLenInByte = 0
; NumSgprs: 4
; NumVgprs: 0
; NumAgprs: 0
; TotalNumVgprs: 0
; ScratchSize: 0
; MemoryBound: 0
; FloatMode: 240
; IeeeMode: 1
; LDSByteSize: 0 bytes/workgroup (compile time only)
; SGPRBlocks: 0
; VGPRBlocks: 0
; NumSGPRsForWavesPerEU: 4
; NumVGPRsForWavesPerEU: 1
; AccumOffset: 4
; Occupancy: 8
; WaveLimiterHint : 0
; COMPUTE_PGM_RSRC2:SCRATCH_EN: 0
; COMPUTE_PGM_RSRC2:USER_SGPR: 6
; COMPUTE_PGM_RSRC2:TRAP_HANDLER: 0
; COMPUTE_PGM_RSRC2:TGID_X_EN: 1
; COMPUTE_PGM_RSRC2:TGID_Y_EN: 0
; COMPUTE_PGM_RSRC2:TGID_Z_EN: 0
; COMPUTE_PGM_RSRC2:TIDIG_COMP_CNT: 0
; COMPUTE_PGM_RSRC3_GFX90A:ACCUM_OFFSET: 0
; COMPUTE_PGM_RSRC3_GFX90A:TG_SPLIT: 0
	.section	.text._ZN7rocprim17ROCPRIM_400000_NS6detail17trampoline_kernelINS0_14default_configENS1_25partition_config_selectorILNS1_17partition_subalgoE9EllbEEZZNS1_14partition_implILS5_9ELb0ES3_jPlS8_PNS0_10empty_typeENS0_5tupleIJS8_S9_EEENSB_IJS8_SA_EEENS0_18inequality_wrapperIZN2at6native12_GLOBAL__N_124unique_dim_cuda_templateIfEESt5tupleIJNSF_6TensorESK_SK_EERKSK_lbbbEUlllE0_EEPmJS9_EEE10hipError_tPvRmT3_T4_T5_T6_T7_T9_mT8_P12ihipStream_tbDpT10_ENKUlT_T0_E_clISt17integral_constantIbLb1EES1A_EEDaS15_S16_EUlS15_E_NS1_11comp_targetILNS1_3genE9ELNS1_11target_archE1100ELNS1_3gpuE3ELNS1_3repE0EEENS1_30default_config_static_selectorELNS0_4arch9wavefront6targetE1EEEvT1_,"axG",@progbits,_ZN7rocprim17ROCPRIM_400000_NS6detail17trampoline_kernelINS0_14default_configENS1_25partition_config_selectorILNS1_17partition_subalgoE9EllbEEZZNS1_14partition_implILS5_9ELb0ES3_jPlS8_PNS0_10empty_typeENS0_5tupleIJS8_S9_EEENSB_IJS8_SA_EEENS0_18inequality_wrapperIZN2at6native12_GLOBAL__N_124unique_dim_cuda_templateIfEESt5tupleIJNSF_6TensorESK_SK_EERKSK_lbbbEUlllE0_EEPmJS9_EEE10hipError_tPvRmT3_T4_T5_T6_T7_T9_mT8_P12ihipStream_tbDpT10_ENKUlT_T0_E_clISt17integral_constantIbLb1EES1A_EEDaS15_S16_EUlS15_E_NS1_11comp_targetILNS1_3genE9ELNS1_11target_archE1100ELNS1_3gpuE3ELNS1_3repE0EEENS1_30default_config_static_selectorELNS0_4arch9wavefront6targetE1EEEvT1_,comdat
	.globl	_ZN7rocprim17ROCPRIM_400000_NS6detail17trampoline_kernelINS0_14default_configENS1_25partition_config_selectorILNS1_17partition_subalgoE9EllbEEZZNS1_14partition_implILS5_9ELb0ES3_jPlS8_PNS0_10empty_typeENS0_5tupleIJS8_S9_EEENSB_IJS8_SA_EEENS0_18inequality_wrapperIZN2at6native12_GLOBAL__N_124unique_dim_cuda_templateIfEESt5tupleIJNSF_6TensorESK_SK_EERKSK_lbbbEUlllE0_EEPmJS9_EEE10hipError_tPvRmT3_T4_T5_T6_T7_T9_mT8_P12ihipStream_tbDpT10_ENKUlT_T0_E_clISt17integral_constantIbLb1EES1A_EEDaS15_S16_EUlS15_E_NS1_11comp_targetILNS1_3genE9ELNS1_11target_archE1100ELNS1_3gpuE3ELNS1_3repE0EEENS1_30default_config_static_selectorELNS0_4arch9wavefront6targetE1EEEvT1_ ; -- Begin function _ZN7rocprim17ROCPRIM_400000_NS6detail17trampoline_kernelINS0_14default_configENS1_25partition_config_selectorILNS1_17partition_subalgoE9EllbEEZZNS1_14partition_implILS5_9ELb0ES3_jPlS8_PNS0_10empty_typeENS0_5tupleIJS8_S9_EEENSB_IJS8_SA_EEENS0_18inequality_wrapperIZN2at6native12_GLOBAL__N_124unique_dim_cuda_templateIfEESt5tupleIJNSF_6TensorESK_SK_EERKSK_lbbbEUlllE0_EEPmJS9_EEE10hipError_tPvRmT3_T4_T5_T6_T7_T9_mT8_P12ihipStream_tbDpT10_ENKUlT_T0_E_clISt17integral_constantIbLb1EES1A_EEDaS15_S16_EUlS15_E_NS1_11comp_targetILNS1_3genE9ELNS1_11target_archE1100ELNS1_3gpuE3ELNS1_3repE0EEENS1_30default_config_static_selectorELNS0_4arch9wavefront6targetE1EEEvT1_
	.p2align	8
	.type	_ZN7rocprim17ROCPRIM_400000_NS6detail17trampoline_kernelINS0_14default_configENS1_25partition_config_selectorILNS1_17partition_subalgoE9EllbEEZZNS1_14partition_implILS5_9ELb0ES3_jPlS8_PNS0_10empty_typeENS0_5tupleIJS8_S9_EEENSB_IJS8_SA_EEENS0_18inequality_wrapperIZN2at6native12_GLOBAL__N_124unique_dim_cuda_templateIfEESt5tupleIJNSF_6TensorESK_SK_EERKSK_lbbbEUlllE0_EEPmJS9_EEE10hipError_tPvRmT3_T4_T5_T6_T7_T9_mT8_P12ihipStream_tbDpT10_ENKUlT_T0_E_clISt17integral_constantIbLb1EES1A_EEDaS15_S16_EUlS15_E_NS1_11comp_targetILNS1_3genE9ELNS1_11target_archE1100ELNS1_3gpuE3ELNS1_3repE0EEENS1_30default_config_static_selectorELNS0_4arch9wavefront6targetE1EEEvT1_,@function
_ZN7rocprim17ROCPRIM_400000_NS6detail17trampoline_kernelINS0_14default_configENS1_25partition_config_selectorILNS1_17partition_subalgoE9EllbEEZZNS1_14partition_implILS5_9ELb0ES3_jPlS8_PNS0_10empty_typeENS0_5tupleIJS8_S9_EEENSB_IJS8_SA_EEENS0_18inequality_wrapperIZN2at6native12_GLOBAL__N_124unique_dim_cuda_templateIfEESt5tupleIJNSF_6TensorESK_SK_EERKSK_lbbbEUlllE0_EEPmJS9_EEE10hipError_tPvRmT3_T4_T5_T6_T7_T9_mT8_P12ihipStream_tbDpT10_ENKUlT_T0_E_clISt17integral_constantIbLb1EES1A_EEDaS15_S16_EUlS15_E_NS1_11comp_targetILNS1_3genE9ELNS1_11target_archE1100ELNS1_3gpuE3ELNS1_3repE0EEENS1_30default_config_static_selectorELNS0_4arch9wavefront6targetE1EEEvT1_: ; @_ZN7rocprim17ROCPRIM_400000_NS6detail17trampoline_kernelINS0_14default_configENS1_25partition_config_selectorILNS1_17partition_subalgoE9EllbEEZZNS1_14partition_implILS5_9ELb0ES3_jPlS8_PNS0_10empty_typeENS0_5tupleIJS8_S9_EEENSB_IJS8_SA_EEENS0_18inequality_wrapperIZN2at6native12_GLOBAL__N_124unique_dim_cuda_templateIfEESt5tupleIJNSF_6TensorESK_SK_EERKSK_lbbbEUlllE0_EEPmJS9_EEE10hipError_tPvRmT3_T4_T5_T6_T7_T9_mT8_P12ihipStream_tbDpT10_ENKUlT_T0_E_clISt17integral_constantIbLb1EES1A_EEDaS15_S16_EUlS15_E_NS1_11comp_targetILNS1_3genE9ELNS1_11target_archE1100ELNS1_3gpuE3ELNS1_3repE0EEENS1_30default_config_static_selectorELNS0_4arch9wavefront6targetE1EEEvT1_
; %bb.0:
	.section	.rodata,"a",@progbits
	.p2align	6, 0x0
	.amdhsa_kernel _ZN7rocprim17ROCPRIM_400000_NS6detail17trampoline_kernelINS0_14default_configENS1_25partition_config_selectorILNS1_17partition_subalgoE9EllbEEZZNS1_14partition_implILS5_9ELb0ES3_jPlS8_PNS0_10empty_typeENS0_5tupleIJS8_S9_EEENSB_IJS8_SA_EEENS0_18inequality_wrapperIZN2at6native12_GLOBAL__N_124unique_dim_cuda_templateIfEESt5tupleIJNSF_6TensorESK_SK_EERKSK_lbbbEUlllE0_EEPmJS9_EEE10hipError_tPvRmT3_T4_T5_T6_T7_T9_mT8_P12ihipStream_tbDpT10_ENKUlT_T0_E_clISt17integral_constantIbLb1EES1A_EEDaS15_S16_EUlS15_E_NS1_11comp_targetILNS1_3genE9ELNS1_11target_archE1100ELNS1_3gpuE3ELNS1_3repE0EEENS1_30default_config_static_selectorELNS0_4arch9wavefront6targetE1EEEvT1_
		.amdhsa_group_segment_fixed_size 0
		.amdhsa_private_segment_fixed_size 0
		.amdhsa_kernarg_size 136
		.amdhsa_user_sgpr_count 6
		.amdhsa_user_sgpr_private_segment_buffer 1
		.amdhsa_user_sgpr_dispatch_ptr 0
		.amdhsa_user_sgpr_queue_ptr 0
		.amdhsa_user_sgpr_kernarg_segment_ptr 1
		.amdhsa_user_sgpr_dispatch_id 0
		.amdhsa_user_sgpr_flat_scratch_init 0
		.amdhsa_user_sgpr_kernarg_preload_length 0
		.amdhsa_user_sgpr_kernarg_preload_offset 0
		.amdhsa_user_sgpr_private_segment_size 0
		.amdhsa_uses_dynamic_stack 0
		.amdhsa_system_sgpr_private_segment_wavefront_offset 0
		.amdhsa_system_sgpr_workgroup_id_x 1
		.amdhsa_system_sgpr_workgroup_id_y 0
		.amdhsa_system_sgpr_workgroup_id_z 0
		.amdhsa_system_sgpr_workgroup_info 0
		.amdhsa_system_vgpr_workitem_id 0
		.amdhsa_next_free_vgpr 1
		.amdhsa_next_free_sgpr 0
		.amdhsa_accum_offset 4
		.amdhsa_reserve_vcc 0
		.amdhsa_reserve_flat_scratch 0
		.amdhsa_float_round_mode_32 0
		.amdhsa_float_round_mode_16_64 0
		.amdhsa_float_denorm_mode_32 3
		.amdhsa_float_denorm_mode_16_64 3
		.amdhsa_dx10_clamp 1
		.amdhsa_ieee_mode 1
		.amdhsa_fp16_overflow 0
		.amdhsa_tg_split 0
		.amdhsa_exception_fp_ieee_invalid_op 0
		.amdhsa_exception_fp_denorm_src 0
		.amdhsa_exception_fp_ieee_div_zero 0
		.amdhsa_exception_fp_ieee_overflow 0
		.amdhsa_exception_fp_ieee_underflow 0
		.amdhsa_exception_fp_ieee_inexact 0
		.amdhsa_exception_int_div_zero 0
	.end_amdhsa_kernel
	.section	.text._ZN7rocprim17ROCPRIM_400000_NS6detail17trampoline_kernelINS0_14default_configENS1_25partition_config_selectorILNS1_17partition_subalgoE9EllbEEZZNS1_14partition_implILS5_9ELb0ES3_jPlS8_PNS0_10empty_typeENS0_5tupleIJS8_S9_EEENSB_IJS8_SA_EEENS0_18inequality_wrapperIZN2at6native12_GLOBAL__N_124unique_dim_cuda_templateIfEESt5tupleIJNSF_6TensorESK_SK_EERKSK_lbbbEUlllE0_EEPmJS9_EEE10hipError_tPvRmT3_T4_T5_T6_T7_T9_mT8_P12ihipStream_tbDpT10_ENKUlT_T0_E_clISt17integral_constantIbLb1EES1A_EEDaS15_S16_EUlS15_E_NS1_11comp_targetILNS1_3genE9ELNS1_11target_archE1100ELNS1_3gpuE3ELNS1_3repE0EEENS1_30default_config_static_selectorELNS0_4arch9wavefront6targetE1EEEvT1_,"axG",@progbits,_ZN7rocprim17ROCPRIM_400000_NS6detail17trampoline_kernelINS0_14default_configENS1_25partition_config_selectorILNS1_17partition_subalgoE9EllbEEZZNS1_14partition_implILS5_9ELb0ES3_jPlS8_PNS0_10empty_typeENS0_5tupleIJS8_S9_EEENSB_IJS8_SA_EEENS0_18inequality_wrapperIZN2at6native12_GLOBAL__N_124unique_dim_cuda_templateIfEESt5tupleIJNSF_6TensorESK_SK_EERKSK_lbbbEUlllE0_EEPmJS9_EEE10hipError_tPvRmT3_T4_T5_T6_T7_T9_mT8_P12ihipStream_tbDpT10_ENKUlT_T0_E_clISt17integral_constantIbLb1EES1A_EEDaS15_S16_EUlS15_E_NS1_11comp_targetILNS1_3genE9ELNS1_11target_archE1100ELNS1_3gpuE3ELNS1_3repE0EEENS1_30default_config_static_selectorELNS0_4arch9wavefront6targetE1EEEvT1_,comdat
.Lfunc_end975:
	.size	_ZN7rocprim17ROCPRIM_400000_NS6detail17trampoline_kernelINS0_14default_configENS1_25partition_config_selectorILNS1_17partition_subalgoE9EllbEEZZNS1_14partition_implILS5_9ELb0ES3_jPlS8_PNS0_10empty_typeENS0_5tupleIJS8_S9_EEENSB_IJS8_SA_EEENS0_18inequality_wrapperIZN2at6native12_GLOBAL__N_124unique_dim_cuda_templateIfEESt5tupleIJNSF_6TensorESK_SK_EERKSK_lbbbEUlllE0_EEPmJS9_EEE10hipError_tPvRmT3_T4_T5_T6_T7_T9_mT8_P12ihipStream_tbDpT10_ENKUlT_T0_E_clISt17integral_constantIbLb1EES1A_EEDaS15_S16_EUlS15_E_NS1_11comp_targetILNS1_3genE9ELNS1_11target_archE1100ELNS1_3gpuE3ELNS1_3repE0EEENS1_30default_config_static_selectorELNS0_4arch9wavefront6targetE1EEEvT1_, .Lfunc_end975-_ZN7rocprim17ROCPRIM_400000_NS6detail17trampoline_kernelINS0_14default_configENS1_25partition_config_selectorILNS1_17partition_subalgoE9EllbEEZZNS1_14partition_implILS5_9ELb0ES3_jPlS8_PNS0_10empty_typeENS0_5tupleIJS8_S9_EEENSB_IJS8_SA_EEENS0_18inequality_wrapperIZN2at6native12_GLOBAL__N_124unique_dim_cuda_templateIfEESt5tupleIJNSF_6TensorESK_SK_EERKSK_lbbbEUlllE0_EEPmJS9_EEE10hipError_tPvRmT3_T4_T5_T6_T7_T9_mT8_P12ihipStream_tbDpT10_ENKUlT_T0_E_clISt17integral_constantIbLb1EES1A_EEDaS15_S16_EUlS15_E_NS1_11comp_targetILNS1_3genE9ELNS1_11target_archE1100ELNS1_3gpuE3ELNS1_3repE0EEENS1_30default_config_static_selectorELNS0_4arch9wavefront6targetE1EEEvT1_
                                        ; -- End function
	.section	.AMDGPU.csdata,"",@progbits
; Kernel info:
; codeLenInByte = 0
; NumSgprs: 4
; NumVgprs: 0
; NumAgprs: 0
; TotalNumVgprs: 0
; ScratchSize: 0
; MemoryBound: 0
; FloatMode: 240
; IeeeMode: 1
; LDSByteSize: 0 bytes/workgroup (compile time only)
; SGPRBlocks: 0
; VGPRBlocks: 0
; NumSGPRsForWavesPerEU: 4
; NumVGPRsForWavesPerEU: 1
; AccumOffset: 4
; Occupancy: 8
; WaveLimiterHint : 0
; COMPUTE_PGM_RSRC2:SCRATCH_EN: 0
; COMPUTE_PGM_RSRC2:USER_SGPR: 6
; COMPUTE_PGM_RSRC2:TRAP_HANDLER: 0
; COMPUTE_PGM_RSRC2:TGID_X_EN: 1
; COMPUTE_PGM_RSRC2:TGID_Y_EN: 0
; COMPUTE_PGM_RSRC2:TGID_Z_EN: 0
; COMPUTE_PGM_RSRC2:TIDIG_COMP_CNT: 0
; COMPUTE_PGM_RSRC3_GFX90A:ACCUM_OFFSET: 0
; COMPUTE_PGM_RSRC3_GFX90A:TG_SPLIT: 0
	.section	.text._ZN7rocprim17ROCPRIM_400000_NS6detail17trampoline_kernelINS0_14default_configENS1_25partition_config_selectorILNS1_17partition_subalgoE9EllbEEZZNS1_14partition_implILS5_9ELb0ES3_jPlS8_PNS0_10empty_typeENS0_5tupleIJS8_S9_EEENSB_IJS8_SA_EEENS0_18inequality_wrapperIZN2at6native12_GLOBAL__N_124unique_dim_cuda_templateIfEESt5tupleIJNSF_6TensorESK_SK_EERKSK_lbbbEUlllE0_EEPmJS9_EEE10hipError_tPvRmT3_T4_T5_T6_T7_T9_mT8_P12ihipStream_tbDpT10_ENKUlT_T0_E_clISt17integral_constantIbLb1EES1A_EEDaS15_S16_EUlS15_E_NS1_11comp_targetILNS1_3genE8ELNS1_11target_archE1030ELNS1_3gpuE2ELNS1_3repE0EEENS1_30default_config_static_selectorELNS0_4arch9wavefront6targetE1EEEvT1_,"axG",@progbits,_ZN7rocprim17ROCPRIM_400000_NS6detail17trampoline_kernelINS0_14default_configENS1_25partition_config_selectorILNS1_17partition_subalgoE9EllbEEZZNS1_14partition_implILS5_9ELb0ES3_jPlS8_PNS0_10empty_typeENS0_5tupleIJS8_S9_EEENSB_IJS8_SA_EEENS0_18inequality_wrapperIZN2at6native12_GLOBAL__N_124unique_dim_cuda_templateIfEESt5tupleIJNSF_6TensorESK_SK_EERKSK_lbbbEUlllE0_EEPmJS9_EEE10hipError_tPvRmT3_T4_T5_T6_T7_T9_mT8_P12ihipStream_tbDpT10_ENKUlT_T0_E_clISt17integral_constantIbLb1EES1A_EEDaS15_S16_EUlS15_E_NS1_11comp_targetILNS1_3genE8ELNS1_11target_archE1030ELNS1_3gpuE2ELNS1_3repE0EEENS1_30default_config_static_selectorELNS0_4arch9wavefront6targetE1EEEvT1_,comdat
	.globl	_ZN7rocprim17ROCPRIM_400000_NS6detail17trampoline_kernelINS0_14default_configENS1_25partition_config_selectorILNS1_17partition_subalgoE9EllbEEZZNS1_14partition_implILS5_9ELb0ES3_jPlS8_PNS0_10empty_typeENS0_5tupleIJS8_S9_EEENSB_IJS8_SA_EEENS0_18inequality_wrapperIZN2at6native12_GLOBAL__N_124unique_dim_cuda_templateIfEESt5tupleIJNSF_6TensorESK_SK_EERKSK_lbbbEUlllE0_EEPmJS9_EEE10hipError_tPvRmT3_T4_T5_T6_T7_T9_mT8_P12ihipStream_tbDpT10_ENKUlT_T0_E_clISt17integral_constantIbLb1EES1A_EEDaS15_S16_EUlS15_E_NS1_11comp_targetILNS1_3genE8ELNS1_11target_archE1030ELNS1_3gpuE2ELNS1_3repE0EEENS1_30default_config_static_selectorELNS0_4arch9wavefront6targetE1EEEvT1_ ; -- Begin function _ZN7rocprim17ROCPRIM_400000_NS6detail17trampoline_kernelINS0_14default_configENS1_25partition_config_selectorILNS1_17partition_subalgoE9EllbEEZZNS1_14partition_implILS5_9ELb0ES3_jPlS8_PNS0_10empty_typeENS0_5tupleIJS8_S9_EEENSB_IJS8_SA_EEENS0_18inequality_wrapperIZN2at6native12_GLOBAL__N_124unique_dim_cuda_templateIfEESt5tupleIJNSF_6TensorESK_SK_EERKSK_lbbbEUlllE0_EEPmJS9_EEE10hipError_tPvRmT3_T4_T5_T6_T7_T9_mT8_P12ihipStream_tbDpT10_ENKUlT_T0_E_clISt17integral_constantIbLb1EES1A_EEDaS15_S16_EUlS15_E_NS1_11comp_targetILNS1_3genE8ELNS1_11target_archE1030ELNS1_3gpuE2ELNS1_3repE0EEENS1_30default_config_static_selectorELNS0_4arch9wavefront6targetE1EEEvT1_
	.p2align	8
	.type	_ZN7rocprim17ROCPRIM_400000_NS6detail17trampoline_kernelINS0_14default_configENS1_25partition_config_selectorILNS1_17partition_subalgoE9EllbEEZZNS1_14partition_implILS5_9ELb0ES3_jPlS8_PNS0_10empty_typeENS0_5tupleIJS8_S9_EEENSB_IJS8_SA_EEENS0_18inequality_wrapperIZN2at6native12_GLOBAL__N_124unique_dim_cuda_templateIfEESt5tupleIJNSF_6TensorESK_SK_EERKSK_lbbbEUlllE0_EEPmJS9_EEE10hipError_tPvRmT3_T4_T5_T6_T7_T9_mT8_P12ihipStream_tbDpT10_ENKUlT_T0_E_clISt17integral_constantIbLb1EES1A_EEDaS15_S16_EUlS15_E_NS1_11comp_targetILNS1_3genE8ELNS1_11target_archE1030ELNS1_3gpuE2ELNS1_3repE0EEENS1_30default_config_static_selectorELNS0_4arch9wavefront6targetE1EEEvT1_,@function
_ZN7rocprim17ROCPRIM_400000_NS6detail17trampoline_kernelINS0_14default_configENS1_25partition_config_selectorILNS1_17partition_subalgoE9EllbEEZZNS1_14partition_implILS5_9ELb0ES3_jPlS8_PNS0_10empty_typeENS0_5tupleIJS8_S9_EEENSB_IJS8_SA_EEENS0_18inequality_wrapperIZN2at6native12_GLOBAL__N_124unique_dim_cuda_templateIfEESt5tupleIJNSF_6TensorESK_SK_EERKSK_lbbbEUlllE0_EEPmJS9_EEE10hipError_tPvRmT3_T4_T5_T6_T7_T9_mT8_P12ihipStream_tbDpT10_ENKUlT_T0_E_clISt17integral_constantIbLb1EES1A_EEDaS15_S16_EUlS15_E_NS1_11comp_targetILNS1_3genE8ELNS1_11target_archE1030ELNS1_3gpuE2ELNS1_3repE0EEENS1_30default_config_static_selectorELNS0_4arch9wavefront6targetE1EEEvT1_: ; @_ZN7rocprim17ROCPRIM_400000_NS6detail17trampoline_kernelINS0_14default_configENS1_25partition_config_selectorILNS1_17partition_subalgoE9EllbEEZZNS1_14partition_implILS5_9ELb0ES3_jPlS8_PNS0_10empty_typeENS0_5tupleIJS8_S9_EEENSB_IJS8_SA_EEENS0_18inequality_wrapperIZN2at6native12_GLOBAL__N_124unique_dim_cuda_templateIfEESt5tupleIJNSF_6TensorESK_SK_EERKSK_lbbbEUlllE0_EEPmJS9_EEE10hipError_tPvRmT3_T4_T5_T6_T7_T9_mT8_P12ihipStream_tbDpT10_ENKUlT_T0_E_clISt17integral_constantIbLb1EES1A_EEDaS15_S16_EUlS15_E_NS1_11comp_targetILNS1_3genE8ELNS1_11target_archE1030ELNS1_3gpuE2ELNS1_3repE0EEENS1_30default_config_static_selectorELNS0_4arch9wavefront6targetE1EEEvT1_
; %bb.0:
	.section	.rodata,"a",@progbits
	.p2align	6, 0x0
	.amdhsa_kernel _ZN7rocprim17ROCPRIM_400000_NS6detail17trampoline_kernelINS0_14default_configENS1_25partition_config_selectorILNS1_17partition_subalgoE9EllbEEZZNS1_14partition_implILS5_9ELb0ES3_jPlS8_PNS0_10empty_typeENS0_5tupleIJS8_S9_EEENSB_IJS8_SA_EEENS0_18inequality_wrapperIZN2at6native12_GLOBAL__N_124unique_dim_cuda_templateIfEESt5tupleIJNSF_6TensorESK_SK_EERKSK_lbbbEUlllE0_EEPmJS9_EEE10hipError_tPvRmT3_T4_T5_T6_T7_T9_mT8_P12ihipStream_tbDpT10_ENKUlT_T0_E_clISt17integral_constantIbLb1EES1A_EEDaS15_S16_EUlS15_E_NS1_11comp_targetILNS1_3genE8ELNS1_11target_archE1030ELNS1_3gpuE2ELNS1_3repE0EEENS1_30default_config_static_selectorELNS0_4arch9wavefront6targetE1EEEvT1_
		.amdhsa_group_segment_fixed_size 0
		.amdhsa_private_segment_fixed_size 0
		.amdhsa_kernarg_size 136
		.amdhsa_user_sgpr_count 6
		.amdhsa_user_sgpr_private_segment_buffer 1
		.amdhsa_user_sgpr_dispatch_ptr 0
		.amdhsa_user_sgpr_queue_ptr 0
		.amdhsa_user_sgpr_kernarg_segment_ptr 1
		.amdhsa_user_sgpr_dispatch_id 0
		.amdhsa_user_sgpr_flat_scratch_init 0
		.amdhsa_user_sgpr_kernarg_preload_length 0
		.amdhsa_user_sgpr_kernarg_preload_offset 0
		.amdhsa_user_sgpr_private_segment_size 0
		.amdhsa_uses_dynamic_stack 0
		.amdhsa_system_sgpr_private_segment_wavefront_offset 0
		.amdhsa_system_sgpr_workgroup_id_x 1
		.amdhsa_system_sgpr_workgroup_id_y 0
		.amdhsa_system_sgpr_workgroup_id_z 0
		.amdhsa_system_sgpr_workgroup_info 0
		.amdhsa_system_vgpr_workitem_id 0
		.amdhsa_next_free_vgpr 1
		.amdhsa_next_free_sgpr 0
		.amdhsa_accum_offset 4
		.amdhsa_reserve_vcc 0
		.amdhsa_reserve_flat_scratch 0
		.amdhsa_float_round_mode_32 0
		.amdhsa_float_round_mode_16_64 0
		.amdhsa_float_denorm_mode_32 3
		.amdhsa_float_denorm_mode_16_64 3
		.amdhsa_dx10_clamp 1
		.amdhsa_ieee_mode 1
		.amdhsa_fp16_overflow 0
		.amdhsa_tg_split 0
		.amdhsa_exception_fp_ieee_invalid_op 0
		.amdhsa_exception_fp_denorm_src 0
		.amdhsa_exception_fp_ieee_div_zero 0
		.amdhsa_exception_fp_ieee_overflow 0
		.amdhsa_exception_fp_ieee_underflow 0
		.amdhsa_exception_fp_ieee_inexact 0
		.amdhsa_exception_int_div_zero 0
	.end_amdhsa_kernel
	.section	.text._ZN7rocprim17ROCPRIM_400000_NS6detail17trampoline_kernelINS0_14default_configENS1_25partition_config_selectorILNS1_17partition_subalgoE9EllbEEZZNS1_14partition_implILS5_9ELb0ES3_jPlS8_PNS0_10empty_typeENS0_5tupleIJS8_S9_EEENSB_IJS8_SA_EEENS0_18inequality_wrapperIZN2at6native12_GLOBAL__N_124unique_dim_cuda_templateIfEESt5tupleIJNSF_6TensorESK_SK_EERKSK_lbbbEUlllE0_EEPmJS9_EEE10hipError_tPvRmT3_T4_T5_T6_T7_T9_mT8_P12ihipStream_tbDpT10_ENKUlT_T0_E_clISt17integral_constantIbLb1EES1A_EEDaS15_S16_EUlS15_E_NS1_11comp_targetILNS1_3genE8ELNS1_11target_archE1030ELNS1_3gpuE2ELNS1_3repE0EEENS1_30default_config_static_selectorELNS0_4arch9wavefront6targetE1EEEvT1_,"axG",@progbits,_ZN7rocprim17ROCPRIM_400000_NS6detail17trampoline_kernelINS0_14default_configENS1_25partition_config_selectorILNS1_17partition_subalgoE9EllbEEZZNS1_14partition_implILS5_9ELb0ES3_jPlS8_PNS0_10empty_typeENS0_5tupleIJS8_S9_EEENSB_IJS8_SA_EEENS0_18inequality_wrapperIZN2at6native12_GLOBAL__N_124unique_dim_cuda_templateIfEESt5tupleIJNSF_6TensorESK_SK_EERKSK_lbbbEUlllE0_EEPmJS9_EEE10hipError_tPvRmT3_T4_T5_T6_T7_T9_mT8_P12ihipStream_tbDpT10_ENKUlT_T0_E_clISt17integral_constantIbLb1EES1A_EEDaS15_S16_EUlS15_E_NS1_11comp_targetILNS1_3genE8ELNS1_11target_archE1030ELNS1_3gpuE2ELNS1_3repE0EEENS1_30default_config_static_selectorELNS0_4arch9wavefront6targetE1EEEvT1_,comdat
.Lfunc_end976:
	.size	_ZN7rocprim17ROCPRIM_400000_NS6detail17trampoline_kernelINS0_14default_configENS1_25partition_config_selectorILNS1_17partition_subalgoE9EllbEEZZNS1_14partition_implILS5_9ELb0ES3_jPlS8_PNS0_10empty_typeENS0_5tupleIJS8_S9_EEENSB_IJS8_SA_EEENS0_18inequality_wrapperIZN2at6native12_GLOBAL__N_124unique_dim_cuda_templateIfEESt5tupleIJNSF_6TensorESK_SK_EERKSK_lbbbEUlllE0_EEPmJS9_EEE10hipError_tPvRmT3_T4_T5_T6_T7_T9_mT8_P12ihipStream_tbDpT10_ENKUlT_T0_E_clISt17integral_constantIbLb1EES1A_EEDaS15_S16_EUlS15_E_NS1_11comp_targetILNS1_3genE8ELNS1_11target_archE1030ELNS1_3gpuE2ELNS1_3repE0EEENS1_30default_config_static_selectorELNS0_4arch9wavefront6targetE1EEEvT1_, .Lfunc_end976-_ZN7rocprim17ROCPRIM_400000_NS6detail17trampoline_kernelINS0_14default_configENS1_25partition_config_selectorILNS1_17partition_subalgoE9EllbEEZZNS1_14partition_implILS5_9ELb0ES3_jPlS8_PNS0_10empty_typeENS0_5tupleIJS8_S9_EEENSB_IJS8_SA_EEENS0_18inequality_wrapperIZN2at6native12_GLOBAL__N_124unique_dim_cuda_templateIfEESt5tupleIJNSF_6TensorESK_SK_EERKSK_lbbbEUlllE0_EEPmJS9_EEE10hipError_tPvRmT3_T4_T5_T6_T7_T9_mT8_P12ihipStream_tbDpT10_ENKUlT_T0_E_clISt17integral_constantIbLb1EES1A_EEDaS15_S16_EUlS15_E_NS1_11comp_targetILNS1_3genE8ELNS1_11target_archE1030ELNS1_3gpuE2ELNS1_3repE0EEENS1_30default_config_static_selectorELNS0_4arch9wavefront6targetE1EEEvT1_
                                        ; -- End function
	.section	.AMDGPU.csdata,"",@progbits
; Kernel info:
; codeLenInByte = 0
; NumSgprs: 4
; NumVgprs: 0
; NumAgprs: 0
; TotalNumVgprs: 0
; ScratchSize: 0
; MemoryBound: 0
; FloatMode: 240
; IeeeMode: 1
; LDSByteSize: 0 bytes/workgroup (compile time only)
; SGPRBlocks: 0
; VGPRBlocks: 0
; NumSGPRsForWavesPerEU: 4
; NumVGPRsForWavesPerEU: 1
; AccumOffset: 4
; Occupancy: 8
; WaveLimiterHint : 0
; COMPUTE_PGM_RSRC2:SCRATCH_EN: 0
; COMPUTE_PGM_RSRC2:USER_SGPR: 6
; COMPUTE_PGM_RSRC2:TRAP_HANDLER: 0
; COMPUTE_PGM_RSRC2:TGID_X_EN: 1
; COMPUTE_PGM_RSRC2:TGID_Y_EN: 0
; COMPUTE_PGM_RSRC2:TGID_Z_EN: 0
; COMPUTE_PGM_RSRC2:TIDIG_COMP_CNT: 0
; COMPUTE_PGM_RSRC3_GFX90A:ACCUM_OFFSET: 0
; COMPUTE_PGM_RSRC3_GFX90A:TG_SPLIT: 0
	.section	.text._ZN7rocprim17ROCPRIM_400000_NS6detail17trampoline_kernelINS0_14default_configENS1_25partition_config_selectorILNS1_17partition_subalgoE9EllbEEZZNS1_14partition_implILS5_9ELb0ES3_jPlS8_PNS0_10empty_typeENS0_5tupleIJS8_S9_EEENSB_IJS8_SA_EEENS0_18inequality_wrapperIZN2at6native12_GLOBAL__N_124unique_dim_cuda_templateIfEESt5tupleIJNSF_6TensorESK_SK_EERKSK_lbbbEUlllE0_EEPmJS9_EEE10hipError_tPvRmT3_T4_T5_T6_T7_T9_mT8_P12ihipStream_tbDpT10_ENKUlT_T0_E_clISt17integral_constantIbLb1EES19_IbLb0EEEEDaS15_S16_EUlS15_E_NS1_11comp_targetILNS1_3genE0ELNS1_11target_archE4294967295ELNS1_3gpuE0ELNS1_3repE0EEENS1_30default_config_static_selectorELNS0_4arch9wavefront6targetE1EEEvT1_,"axG",@progbits,_ZN7rocprim17ROCPRIM_400000_NS6detail17trampoline_kernelINS0_14default_configENS1_25partition_config_selectorILNS1_17partition_subalgoE9EllbEEZZNS1_14partition_implILS5_9ELb0ES3_jPlS8_PNS0_10empty_typeENS0_5tupleIJS8_S9_EEENSB_IJS8_SA_EEENS0_18inequality_wrapperIZN2at6native12_GLOBAL__N_124unique_dim_cuda_templateIfEESt5tupleIJNSF_6TensorESK_SK_EERKSK_lbbbEUlllE0_EEPmJS9_EEE10hipError_tPvRmT3_T4_T5_T6_T7_T9_mT8_P12ihipStream_tbDpT10_ENKUlT_T0_E_clISt17integral_constantIbLb1EES19_IbLb0EEEEDaS15_S16_EUlS15_E_NS1_11comp_targetILNS1_3genE0ELNS1_11target_archE4294967295ELNS1_3gpuE0ELNS1_3repE0EEENS1_30default_config_static_selectorELNS0_4arch9wavefront6targetE1EEEvT1_,comdat
	.globl	_ZN7rocprim17ROCPRIM_400000_NS6detail17trampoline_kernelINS0_14default_configENS1_25partition_config_selectorILNS1_17partition_subalgoE9EllbEEZZNS1_14partition_implILS5_9ELb0ES3_jPlS8_PNS0_10empty_typeENS0_5tupleIJS8_S9_EEENSB_IJS8_SA_EEENS0_18inequality_wrapperIZN2at6native12_GLOBAL__N_124unique_dim_cuda_templateIfEESt5tupleIJNSF_6TensorESK_SK_EERKSK_lbbbEUlllE0_EEPmJS9_EEE10hipError_tPvRmT3_T4_T5_T6_T7_T9_mT8_P12ihipStream_tbDpT10_ENKUlT_T0_E_clISt17integral_constantIbLb1EES19_IbLb0EEEEDaS15_S16_EUlS15_E_NS1_11comp_targetILNS1_3genE0ELNS1_11target_archE4294967295ELNS1_3gpuE0ELNS1_3repE0EEENS1_30default_config_static_selectorELNS0_4arch9wavefront6targetE1EEEvT1_ ; -- Begin function _ZN7rocprim17ROCPRIM_400000_NS6detail17trampoline_kernelINS0_14default_configENS1_25partition_config_selectorILNS1_17partition_subalgoE9EllbEEZZNS1_14partition_implILS5_9ELb0ES3_jPlS8_PNS0_10empty_typeENS0_5tupleIJS8_S9_EEENSB_IJS8_SA_EEENS0_18inequality_wrapperIZN2at6native12_GLOBAL__N_124unique_dim_cuda_templateIfEESt5tupleIJNSF_6TensorESK_SK_EERKSK_lbbbEUlllE0_EEPmJS9_EEE10hipError_tPvRmT3_T4_T5_T6_T7_T9_mT8_P12ihipStream_tbDpT10_ENKUlT_T0_E_clISt17integral_constantIbLb1EES19_IbLb0EEEEDaS15_S16_EUlS15_E_NS1_11comp_targetILNS1_3genE0ELNS1_11target_archE4294967295ELNS1_3gpuE0ELNS1_3repE0EEENS1_30default_config_static_selectorELNS0_4arch9wavefront6targetE1EEEvT1_
	.p2align	8
	.type	_ZN7rocprim17ROCPRIM_400000_NS6detail17trampoline_kernelINS0_14default_configENS1_25partition_config_selectorILNS1_17partition_subalgoE9EllbEEZZNS1_14partition_implILS5_9ELb0ES3_jPlS8_PNS0_10empty_typeENS0_5tupleIJS8_S9_EEENSB_IJS8_SA_EEENS0_18inequality_wrapperIZN2at6native12_GLOBAL__N_124unique_dim_cuda_templateIfEESt5tupleIJNSF_6TensorESK_SK_EERKSK_lbbbEUlllE0_EEPmJS9_EEE10hipError_tPvRmT3_T4_T5_T6_T7_T9_mT8_P12ihipStream_tbDpT10_ENKUlT_T0_E_clISt17integral_constantIbLb1EES19_IbLb0EEEEDaS15_S16_EUlS15_E_NS1_11comp_targetILNS1_3genE0ELNS1_11target_archE4294967295ELNS1_3gpuE0ELNS1_3repE0EEENS1_30default_config_static_selectorELNS0_4arch9wavefront6targetE1EEEvT1_,@function
_ZN7rocprim17ROCPRIM_400000_NS6detail17trampoline_kernelINS0_14default_configENS1_25partition_config_selectorILNS1_17partition_subalgoE9EllbEEZZNS1_14partition_implILS5_9ELb0ES3_jPlS8_PNS0_10empty_typeENS0_5tupleIJS8_S9_EEENSB_IJS8_SA_EEENS0_18inequality_wrapperIZN2at6native12_GLOBAL__N_124unique_dim_cuda_templateIfEESt5tupleIJNSF_6TensorESK_SK_EERKSK_lbbbEUlllE0_EEPmJS9_EEE10hipError_tPvRmT3_T4_T5_T6_T7_T9_mT8_P12ihipStream_tbDpT10_ENKUlT_T0_E_clISt17integral_constantIbLb1EES19_IbLb0EEEEDaS15_S16_EUlS15_E_NS1_11comp_targetILNS1_3genE0ELNS1_11target_archE4294967295ELNS1_3gpuE0ELNS1_3repE0EEENS1_30default_config_static_selectorELNS0_4arch9wavefront6targetE1EEEvT1_: ; @_ZN7rocprim17ROCPRIM_400000_NS6detail17trampoline_kernelINS0_14default_configENS1_25partition_config_selectorILNS1_17partition_subalgoE9EllbEEZZNS1_14partition_implILS5_9ELb0ES3_jPlS8_PNS0_10empty_typeENS0_5tupleIJS8_S9_EEENSB_IJS8_SA_EEENS0_18inequality_wrapperIZN2at6native12_GLOBAL__N_124unique_dim_cuda_templateIfEESt5tupleIJNSF_6TensorESK_SK_EERKSK_lbbbEUlllE0_EEPmJS9_EEE10hipError_tPvRmT3_T4_T5_T6_T7_T9_mT8_P12ihipStream_tbDpT10_ENKUlT_T0_E_clISt17integral_constantIbLb1EES19_IbLb0EEEEDaS15_S16_EUlS15_E_NS1_11comp_targetILNS1_3genE0ELNS1_11target_archE4294967295ELNS1_3gpuE0ELNS1_3repE0EEENS1_30default_config_static_selectorELNS0_4arch9wavefront6targetE1EEEvT1_
; %bb.0:
	.section	.rodata,"a",@progbits
	.p2align	6, 0x0
	.amdhsa_kernel _ZN7rocprim17ROCPRIM_400000_NS6detail17trampoline_kernelINS0_14default_configENS1_25partition_config_selectorILNS1_17partition_subalgoE9EllbEEZZNS1_14partition_implILS5_9ELb0ES3_jPlS8_PNS0_10empty_typeENS0_5tupleIJS8_S9_EEENSB_IJS8_SA_EEENS0_18inequality_wrapperIZN2at6native12_GLOBAL__N_124unique_dim_cuda_templateIfEESt5tupleIJNSF_6TensorESK_SK_EERKSK_lbbbEUlllE0_EEPmJS9_EEE10hipError_tPvRmT3_T4_T5_T6_T7_T9_mT8_P12ihipStream_tbDpT10_ENKUlT_T0_E_clISt17integral_constantIbLb1EES19_IbLb0EEEEDaS15_S16_EUlS15_E_NS1_11comp_targetILNS1_3genE0ELNS1_11target_archE4294967295ELNS1_3gpuE0ELNS1_3repE0EEENS1_30default_config_static_selectorELNS0_4arch9wavefront6targetE1EEEvT1_
		.amdhsa_group_segment_fixed_size 0
		.amdhsa_private_segment_fixed_size 0
		.amdhsa_kernarg_size 120
		.amdhsa_user_sgpr_count 6
		.amdhsa_user_sgpr_private_segment_buffer 1
		.amdhsa_user_sgpr_dispatch_ptr 0
		.amdhsa_user_sgpr_queue_ptr 0
		.amdhsa_user_sgpr_kernarg_segment_ptr 1
		.amdhsa_user_sgpr_dispatch_id 0
		.amdhsa_user_sgpr_flat_scratch_init 0
		.amdhsa_user_sgpr_kernarg_preload_length 0
		.amdhsa_user_sgpr_kernarg_preload_offset 0
		.amdhsa_user_sgpr_private_segment_size 0
		.amdhsa_uses_dynamic_stack 0
		.amdhsa_system_sgpr_private_segment_wavefront_offset 0
		.amdhsa_system_sgpr_workgroup_id_x 1
		.amdhsa_system_sgpr_workgroup_id_y 0
		.amdhsa_system_sgpr_workgroup_id_z 0
		.amdhsa_system_sgpr_workgroup_info 0
		.amdhsa_system_vgpr_workitem_id 0
		.amdhsa_next_free_vgpr 1
		.amdhsa_next_free_sgpr 0
		.amdhsa_accum_offset 4
		.amdhsa_reserve_vcc 0
		.amdhsa_reserve_flat_scratch 0
		.amdhsa_float_round_mode_32 0
		.amdhsa_float_round_mode_16_64 0
		.amdhsa_float_denorm_mode_32 3
		.amdhsa_float_denorm_mode_16_64 3
		.amdhsa_dx10_clamp 1
		.amdhsa_ieee_mode 1
		.amdhsa_fp16_overflow 0
		.amdhsa_tg_split 0
		.amdhsa_exception_fp_ieee_invalid_op 0
		.amdhsa_exception_fp_denorm_src 0
		.amdhsa_exception_fp_ieee_div_zero 0
		.amdhsa_exception_fp_ieee_overflow 0
		.amdhsa_exception_fp_ieee_underflow 0
		.amdhsa_exception_fp_ieee_inexact 0
		.amdhsa_exception_int_div_zero 0
	.end_amdhsa_kernel
	.section	.text._ZN7rocprim17ROCPRIM_400000_NS6detail17trampoline_kernelINS0_14default_configENS1_25partition_config_selectorILNS1_17partition_subalgoE9EllbEEZZNS1_14partition_implILS5_9ELb0ES3_jPlS8_PNS0_10empty_typeENS0_5tupleIJS8_S9_EEENSB_IJS8_SA_EEENS0_18inequality_wrapperIZN2at6native12_GLOBAL__N_124unique_dim_cuda_templateIfEESt5tupleIJNSF_6TensorESK_SK_EERKSK_lbbbEUlllE0_EEPmJS9_EEE10hipError_tPvRmT3_T4_T5_T6_T7_T9_mT8_P12ihipStream_tbDpT10_ENKUlT_T0_E_clISt17integral_constantIbLb1EES19_IbLb0EEEEDaS15_S16_EUlS15_E_NS1_11comp_targetILNS1_3genE0ELNS1_11target_archE4294967295ELNS1_3gpuE0ELNS1_3repE0EEENS1_30default_config_static_selectorELNS0_4arch9wavefront6targetE1EEEvT1_,"axG",@progbits,_ZN7rocprim17ROCPRIM_400000_NS6detail17trampoline_kernelINS0_14default_configENS1_25partition_config_selectorILNS1_17partition_subalgoE9EllbEEZZNS1_14partition_implILS5_9ELb0ES3_jPlS8_PNS0_10empty_typeENS0_5tupleIJS8_S9_EEENSB_IJS8_SA_EEENS0_18inequality_wrapperIZN2at6native12_GLOBAL__N_124unique_dim_cuda_templateIfEESt5tupleIJNSF_6TensorESK_SK_EERKSK_lbbbEUlllE0_EEPmJS9_EEE10hipError_tPvRmT3_T4_T5_T6_T7_T9_mT8_P12ihipStream_tbDpT10_ENKUlT_T0_E_clISt17integral_constantIbLb1EES19_IbLb0EEEEDaS15_S16_EUlS15_E_NS1_11comp_targetILNS1_3genE0ELNS1_11target_archE4294967295ELNS1_3gpuE0ELNS1_3repE0EEENS1_30default_config_static_selectorELNS0_4arch9wavefront6targetE1EEEvT1_,comdat
.Lfunc_end977:
	.size	_ZN7rocprim17ROCPRIM_400000_NS6detail17trampoline_kernelINS0_14default_configENS1_25partition_config_selectorILNS1_17partition_subalgoE9EllbEEZZNS1_14partition_implILS5_9ELb0ES3_jPlS8_PNS0_10empty_typeENS0_5tupleIJS8_S9_EEENSB_IJS8_SA_EEENS0_18inequality_wrapperIZN2at6native12_GLOBAL__N_124unique_dim_cuda_templateIfEESt5tupleIJNSF_6TensorESK_SK_EERKSK_lbbbEUlllE0_EEPmJS9_EEE10hipError_tPvRmT3_T4_T5_T6_T7_T9_mT8_P12ihipStream_tbDpT10_ENKUlT_T0_E_clISt17integral_constantIbLb1EES19_IbLb0EEEEDaS15_S16_EUlS15_E_NS1_11comp_targetILNS1_3genE0ELNS1_11target_archE4294967295ELNS1_3gpuE0ELNS1_3repE0EEENS1_30default_config_static_selectorELNS0_4arch9wavefront6targetE1EEEvT1_, .Lfunc_end977-_ZN7rocprim17ROCPRIM_400000_NS6detail17trampoline_kernelINS0_14default_configENS1_25partition_config_selectorILNS1_17partition_subalgoE9EllbEEZZNS1_14partition_implILS5_9ELb0ES3_jPlS8_PNS0_10empty_typeENS0_5tupleIJS8_S9_EEENSB_IJS8_SA_EEENS0_18inequality_wrapperIZN2at6native12_GLOBAL__N_124unique_dim_cuda_templateIfEESt5tupleIJNSF_6TensorESK_SK_EERKSK_lbbbEUlllE0_EEPmJS9_EEE10hipError_tPvRmT3_T4_T5_T6_T7_T9_mT8_P12ihipStream_tbDpT10_ENKUlT_T0_E_clISt17integral_constantIbLb1EES19_IbLb0EEEEDaS15_S16_EUlS15_E_NS1_11comp_targetILNS1_3genE0ELNS1_11target_archE4294967295ELNS1_3gpuE0ELNS1_3repE0EEENS1_30default_config_static_selectorELNS0_4arch9wavefront6targetE1EEEvT1_
                                        ; -- End function
	.section	.AMDGPU.csdata,"",@progbits
; Kernel info:
; codeLenInByte = 0
; NumSgprs: 4
; NumVgprs: 0
; NumAgprs: 0
; TotalNumVgprs: 0
; ScratchSize: 0
; MemoryBound: 0
; FloatMode: 240
; IeeeMode: 1
; LDSByteSize: 0 bytes/workgroup (compile time only)
; SGPRBlocks: 0
; VGPRBlocks: 0
; NumSGPRsForWavesPerEU: 4
; NumVGPRsForWavesPerEU: 1
; AccumOffset: 4
; Occupancy: 8
; WaveLimiterHint : 0
; COMPUTE_PGM_RSRC2:SCRATCH_EN: 0
; COMPUTE_PGM_RSRC2:USER_SGPR: 6
; COMPUTE_PGM_RSRC2:TRAP_HANDLER: 0
; COMPUTE_PGM_RSRC2:TGID_X_EN: 1
; COMPUTE_PGM_RSRC2:TGID_Y_EN: 0
; COMPUTE_PGM_RSRC2:TGID_Z_EN: 0
; COMPUTE_PGM_RSRC2:TIDIG_COMP_CNT: 0
; COMPUTE_PGM_RSRC3_GFX90A:ACCUM_OFFSET: 0
; COMPUTE_PGM_RSRC3_GFX90A:TG_SPLIT: 0
	.section	.text._ZN7rocprim17ROCPRIM_400000_NS6detail17trampoline_kernelINS0_14default_configENS1_25partition_config_selectorILNS1_17partition_subalgoE9EllbEEZZNS1_14partition_implILS5_9ELb0ES3_jPlS8_PNS0_10empty_typeENS0_5tupleIJS8_S9_EEENSB_IJS8_SA_EEENS0_18inequality_wrapperIZN2at6native12_GLOBAL__N_124unique_dim_cuda_templateIfEESt5tupleIJNSF_6TensorESK_SK_EERKSK_lbbbEUlllE0_EEPmJS9_EEE10hipError_tPvRmT3_T4_T5_T6_T7_T9_mT8_P12ihipStream_tbDpT10_ENKUlT_T0_E_clISt17integral_constantIbLb1EES19_IbLb0EEEEDaS15_S16_EUlS15_E_NS1_11comp_targetILNS1_3genE5ELNS1_11target_archE942ELNS1_3gpuE9ELNS1_3repE0EEENS1_30default_config_static_selectorELNS0_4arch9wavefront6targetE1EEEvT1_,"axG",@progbits,_ZN7rocprim17ROCPRIM_400000_NS6detail17trampoline_kernelINS0_14default_configENS1_25partition_config_selectorILNS1_17partition_subalgoE9EllbEEZZNS1_14partition_implILS5_9ELb0ES3_jPlS8_PNS0_10empty_typeENS0_5tupleIJS8_S9_EEENSB_IJS8_SA_EEENS0_18inequality_wrapperIZN2at6native12_GLOBAL__N_124unique_dim_cuda_templateIfEESt5tupleIJNSF_6TensorESK_SK_EERKSK_lbbbEUlllE0_EEPmJS9_EEE10hipError_tPvRmT3_T4_T5_T6_T7_T9_mT8_P12ihipStream_tbDpT10_ENKUlT_T0_E_clISt17integral_constantIbLb1EES19_IbLb0EEEEDaS15_S16_EUlS15_E_NS1_11comp_targetILNS1_3genE5ELNS1_11target_archE942ELNS1_3gpuE9ELNS1_3repE0EEENS1_30default_config_static_selectorELNS0_4arch9wavefront6targetE1EEEvT1_,comdat
	.globl	_ZN7rocprim17ROCPRIM_400000_NS6detail17trampoline_kernelINS0_14default_configENS1_25partition_config_selectorILNS1_17partition_subalgoE9EllbEEZZNS1_14partition_implILS5_9ELb0ES3_jPlS8_PNS0_10empty_typeENS0_5tupleIJS8_S9_EEENSB_IJS8_SA_EEENS0_18inequality_wrapperIZN2at6native12_GLOBAL__N_124unique_dim_cuda_templateIfEESt5tupleIJNSF_6TensorESK_SK_EERKSK_lbbbEUlllE0_EEPmJS9_EEE10hipError_tPvRmT3_T4_T5_T6_T7_T9_mT8_P12ihipStream_tbDpT10_ENKUlT_T0_E_clISt17integral_constantIbLb1EES19_IbLb0EEEEDaS15_S16_EUlS15_E_NS1_11comp_targetILNS1_3genE5ELNS1_11target_archE942ELNS1_3gpuE9ELNS1_3repE0EEENS1_30default_config_static_selectorELNS0_4arch9wavefront6targetE1EEEvT1_ ; -- Begin function _ZN7rocprim17ROCPRIM_400000_NS6detail17trampoline_kernelINS0_14default_configENS1_25partition_config_selectorILNS1_17partition_subalgoE9EllbEEZZNS1_14partition_implILS5_9ELb0ES3_jPlS8_PNS0_10empty_typeENS0_5tupleIJS8_S9_EEENSB_IJS8_SA_EEENS0_18inequality_wrapperIZN2at6native12_GLOBAL__N_124unique_dim_cuda_templateIfEESt5tupleIJNSF_6TensorESK_SK_EERKSK_lbbbEUlllE0_EEPmJS9_EEE10hipError_tPvRmT3_T4_T5_T6_T7_T9_mT8_P12ihipStream_tbDpT10_ENKUlT_T0_E_clISt17integral_constantIbLb1EES19_IbLb0EEEEDaS15_S16_EUlS15_E_NS1_11comp_targetILNS1_3genE5ELNS1_11target_archE942ELNS1_3gpuE9ELNS1_3repE0EEENS1_30default_config_static_selectorELNS0_4arch9wavefront6targetE1EEEvT1_
	.p2align	8
	.type	_ZN7rocprim17ROCPRIM_400000_NS6detail17trampoline_kernelINS0_14default_configENS1_25partition_config_selectorILNS1_17partition_subalgoE9EllbEEZZNS1_14partition_implILS5_9ELb0ES3_jPlS8_PNS0_10empty_typeENS0_5tupleIJS8_S9_EEENSB_IJS8_SA_EEENS0_18inequality_wrapperIZN2at6native12_GLOBAL__N_124unique_dim_cuda_templateIfEESt5tupleIJNSF_6TensorESK_SK_EERKSK_lbbbEUlllE0_EEPmJS9_EEE10hipError_tPvRmT3_T4_T5_T6_T7_T9_mT8_P12ihipStream_tbDpT10_ENKUlT_T0_E_clISt17integral_constantIbLb1EES19_IbLb0EEEEDaS15_S16_EUlS15_E_NS1_11comp_targetILNS1_3genE5ELNS1_11target_archE942ELNS1_3gpuE9ELNS1_3repE0EEENS1_30default_config_static_selectorELNS0_4arch9wavefront6targetE1EEEvT1_,@function
_ZN7rocprim17ROCPRIM_400000_NS6detail17trampoline_kernelINS0_14default_configENS1_25partition_config_selectorILNS1_17partition_subalgoE9EllbEEZZNS1_14partition_implILS5_9ELb0ES3_jPlS8_PNS0_10empty_typeENS0_5tupleIJS8_S9_EEENSB_IJS8_SA_EEENS0_18inequality_wrapperIZN2at6native12_GLOBAL__N_124unique_dim_cuda_templateIfEESt5tupleIJNSF_6TensorESK_SK_EERKSK_lbbbEUlllE0_EEPmJS9_EEE10hipError_tPvRmT3_T4_T5_T6_T7_T9_mT8_P12ihipStream_tbDpT10_ENKUlT_T0_E_clISt17integral_constantIbLb1EES19_IbLb0EEEEDaS15_S16_EUlS15_E_NS1_11comp_targetILNS1_3genE5ELNS1_11target_archE942ELNS1_3gpuE9ELNS1_3repE0EEENS1_30default_config_static_selectorELNS0_4arch9wavefront6targetE1EEEvT1_: ; @_ZN7rocprim17ROCPRIM_400000_NS6detail17trampoline_kernelINS0_14default_configENS1_25partition_config_selectorILNS1_17partition_subalgoE9EllbEEZZNS1_14partition_implILS5_9ELb0ES3_jPlS8_PNS0_10empty_typeENS0_5tupleIJS8_S9_EEENSB_IJS8_SA_EEENS0_18inequality_wrapperIZN2at6native12_GLOBAL__N_124unique_dim_cuda_templateIfEESt5tupleIJNSF_6TensorESK_SK_EERKSK_lbbbEUlllE0_EEPmJS9_EEE10hipError_tPvRmT3_T4_T5_T6_T7_T9_mT8_P12ihipStream_tbDpT10_ENKUlT_T0_E_clISt17integral_constantIbLb1EES19_IbLb0EEEEDaS15_S16_EUlS15_E_NS1_11comp_targetILNS1_3genE5ELNS1_11target_archE942ELNS1_3gpuE9ELNS1_3repE0EEENS1_30default_config_static_selectorELNS0_4arch9wavefront6targetE1EEEvT1_
; %bb.0:
	.section	.rodata,"a",@progbits
	.p2align	6, 0x0
	.amdhsa_kernel _ZN7rocprim17ROCPRIM_400000_NS6detail17trampoline_kernelINS0_14default_configENS1_25partition_config_selectorILNS1_17partition_subalgoE9EllbEEZZNS1_14partition_implILS5_9ELb0ES3_jPlS8_PNS0_10empty_typeENS0_5tupleIJS8_S9_EEENSB_IJS8_SA_EEENS0_18inequality_wrapperIZN2at6native12_GLOBAL__N_124unique_dim_cuda_templateIfEESt5tupleIJNSF_6TensorESK_SK_EERKSK_lbbbEUlllE0_EEPmJS9_EEE10hipError_tPvRmT3_T4_T5_T6_T7_T9_mT8_P12ihipStream_tbDpT10_ENKUlT_T0_E_clISt17integral_constantIbLb1EES19_IbLb0EEEEDaS15_S16_EUlS15_E_NS1_11comp_targetILNS1_3genE5ELNS1_11target_archE942ELNS1_3gpuE9ELNS1_3repE0EEENS1_30default_config_static_selectorELNS0_4arch9wavefront6targetE1EEEvT1_
		.amdhsa_group_segment_fixed_size 0
		.amdhsa_private_segment_fixed_size 0
		.amdhsa_kernarg_size 120
		.amdhsa_user_sgpr_count 6
		.amdhsa_user_sgpr_private_segment_buffer 1
		.amdhsa_user_sgpr_dispatch_ptr 0
		.amdhsa_user_sgpr_queue_ptr 0
		.amdhsa_user_sgpr_kernarg_segment_ptr 1
		.amdhsa_user_sgpr_dispatch_id 0
		.amdhsa_user_sgpr_flat_scratch_init 0
		.amdhsa_user_sgpr_kernarg_preload_length 0
		.amdhsa_user_sgpr_kernarg_preload_offset 0
		.amdhsa_user_sgpr_private_segment_size 0
		.amdhsa_uses_dynamic_stack 0
		.amdhsa_system_sgpr_private_segment_wavefront_offset 0
		.amdhsa_system_sgpr_workgroup_id_x 1
		.amdhsa_system_sgpr_workgroup_id_y 0
		.amdhsa_system_sgpr_workgroup_id_z 0
		.amdhsa_system_sgpr_workgroup_info 0
		.amdhsa_system_vgpr_workitem_id 0
		.amdhsa_next_free_vgpr 1
		.amdhsa_next_free_sgpr 0
		.amdhsa_accum_offset 4
		.amdhsa_reserve_vcc 0
		.amdhsa_reserve_flat_scratch 0
		.amdhsa_float_round_mode_32 0
		.amdhsa_float_round_mode_16_64 0
		.amdhsa_float_denorm_mode_32 3
		.amdhsa_float_denorm_mode_16_64 3
		.amdhsa_dx10_clamp 1
		.amdhsa_ieee_mode 1
		.amdhsa_fp16_overflow 0
		.amdhsa_tg_split 0
		.amdhsa_exception_fp_ieee_invalid_op 0
		.amdhsa_exception_fp_denorm_src 0
		.amdhsa_exception_fp_ieee_div_zero 0
		.amdhsa_exception_fp_ieee_overflow 0
		.amdhsa_exception_fp_ieee_underflow 0
		.amdhsa_exception_fp_ieee_inexact 0
		.amdhsa_exception_int_div_zero 0
	.end_amdhsa_kernel
	.section	.text._ZN7rocprim17ROCPRIM_400000_NS6detail17trampoline_kernelINS0_14default_configENS1_25partition_config_selectorILNS1_17partition_subalgoE9EllbEEZZNS1_14partition_implILS5_9ELb0ES3_jPlS8_PNS0_10empty_typeENS0_5tupleIJS8_S9_EEENSB_IJS8_SA_EEENS0_18inequality_wrapperIZN2at6native12_GLOBAL__N_124unique_dim_cuda_templateIfEESt5tupleIJNSF_6TensorESK_SK_EERKSK_lbbbEUlllE0_EEPmJS9_EEE10hipError_tPvRmT3_T4_T5_T6_T7_T9_mT8_P12ihipStream_tbDpT10_ENKUlT_T0_E_clISt17integral_constantIbLb1EES19_IbLb0EEEEDaS15_S16_EUlS15_E_NS1_11comp_targetILNS1_3genE5ELNS1_11target_archE942ELNS1_3gpuE9ELNS1_3repE0EEENS1_30default_config_static_selectorELNS0_4arch9wavefront6targetE1EEEvT1_,"axG",@progbits,_ZN7rocprim17ROCPRIM_400000_NS6detail17trampoline_kernelINS0_14default_configENS1_25partition_config_selectorILNS1_17partition_subalgoE9EllbEEZZNS1_14partition_implILS5_9ELb0ES3_jPlS8_PNS0_10empty_typeENS0_5tupleIJS8_S9_EEENSB_IJS8_SA_EEENS0_18inequality_wrapperIZN2at6native12_GLOBAL__N_124unique_dim_cuda_templateIfEESt5tupleIJNSF_6TensorESK_SK_EERKSK_lbbbEUlllE0_EEPmJS9_EEE10hipError_tPvRmT3_T4_T5_T6_T7_T9_mT8_P12ihipStream_tbDpT10_ENKUlT_T0_E_clISt17integral_constantIbLb1EES19_IbLb0EEEEDaS15_S16_EUlS15_E_NS1_11comp_targetILNS1_3genE5ELNS1_11target_archE942ELNS1_3gpuE9ELNS1_3repE0EEENS1_30default_config_static_selectorELNS0_4arch9wavefront6targetE1EEEvT1_,comdat
.Lfunc_end978:
	.size	_ZN7rocprim17ROCPRIM_400000_NS6detail17trampoline_kernelINS0_14default_configENS1_25partition_config_selectorILNS1_17partition_subalgoE9EllbEEZZNS1_14partition_implILS5_9ELb0ES3_jPlS8_PNS0_10empty_typeENS0_5tupleIJS8_S9_EEENSB_IJS8_SA_EEENS0_18inequality_wrapperIZN2at6native12_GLOBAL__N_124unique_dim_cuda_templateIfEESt5tupleIJNSF_6TensorESK_SK_EERKSK_lbbbEUlllE0_EEPmJS9_EEE10hipError_tPvRmT3_T4_T5_T6_T7_T9_mT8_P12ihipStream_tbDpT10_ENKUlT_T0_E_clISt17integral_constantIbLb1EES19_IbLb0EEEEDaS15_S16_EUlS15_E_NS1_11comp_targetILNS1_3genE5ELNS1_11target_archE942ELNS1_3gpuE9ELNS1_3repE0EEENS1_30default_config_static_selectorELNS0_4arch9wavefront6targetE1EEEvT1_, .Lfunc_end978-_ZN7rocprim17ROCPRIM_400000_NS6detail17trampoline_kernelINS0_14default_configENS1_25partition_config_selectorILNS1_17partition_subalgoE9EllbEEZZNS1_14partition_implILS5_9ELb0ES3_jPlS8_PNS0_10empty_typeENS0_5tupleIJS8_S9_EEENSB_IJS8_SA_EEENS0_18inequality_wrapperIZN2at6native12_GLOBAL__N_124unique_dim_cuda_templateIfEESt5tupleIJNSF_6TensorESK_SK_EERKSK_lbbbEUlllE0_EEPmJS9_EEE10hipError_tPvRmT3_T4_T5_T6_T7_T9_mT8_P12ihipStream_tbDpT10_ENKUlT_T0_E_clISt17integral_constantIbLb1EES19_IbLb0EEEEDaS15_S16_EUlS15_E_NS1_11comp_targetILNS1_3genE5ELNS1_11target_archE942ELNS1_3gpuE9ELNS1_3repE0EEENS1_30default_config_static_selectorELNS0_4arch9wavefront6targetE1EEEvT1_
                                        ; -- End function
	.section	.AMDGPU.csdata,"",@progbits
; Kernel info:
; codeLenInByte = 0
; NumSgprs: 4
; NumVgprs: 0
; NumAgprs: 0
; TotalNumVgprs: 0
; ScratchSize: 0
; MemoryBound: 0
; FloatMode: 240
; IeeeMode: 1
; LDSByteSize: 0 bytes/workgroup (compile time only)
; SGPRBlocks: 0
; VGPRBlocks: 0
; NumSGPRsForWavesPerEU: 4
; NumVGPRsForWavesPerEU: 1
; AccumOffset: 4
; Occupancy: 8
; WaveLimiterHint : 0
; COMPUTE_PGM_RSRC2:SCRATCH_EN: 0
; COMPUTE_PGM_RSRC2:USER_SGPR: 6
; COMPUTE_PGM_RSRC2:TRAP_HANDLER: 0
; COMPUTE_PGM_RSRC2:TGID_X_EN: 1
; COMPUTE_PGM_RSRC2:TGID_Y_EN: 0
; COMPUTE_PGM_RSRC2:TGID_Z_EN: 0
; COMPUTE_PGM_RSRC2:TIDIG_COMP_CNT: 0
; COMPUTE_PGM_RSRC3_GFX90A:ACCUM_OFFSET: 0
; COMPUTE_PGM_RSRC3_GFX90A:TG_SPLIT: 0
	.section	.text._ZN7rocprim17ROCPRIM_400000_NS6detail17trampoline_kernelINS0_14default_configENS1_25partition_config_selectorILNS1_17partition_subalgoE9EllbEEZZNS1_14partition_implILS5_9ELb0ES3_jPlS8_PNS0_10empty_typeENS0_5tupleIJS8_S9_EEENSB_IJS8_SA_EEENS0_18inequality_wrapperIZN2at6native12_GLOBAL__N_124unique_dim_cuda_templateIfEESt5tupleIJNSF_6TensorESK_SK_EERKSK_lbbbEUlllE0_EEPmJS9_EEE10hipError_tPvRmT3_T4_T5_T6_T7_T9_mT8_P12ihipStream_tbDpT10_ENKUlT_T0_E_clISt17integral_constantIbLb1EES19_IbLb0EEEEDaS15_S16_EUlS15_E_NS1_11comp_targetILNS1_3genE4ELNS1_11target_archE910ELNS1_3gpuE8ELNS1_3repE0EEENS1_30default_config_static_selectorELNS0_4arch9wavefront6targetE1EEEvT1_,"axG",@progbits,_ZN7rocprim17ROCPRIM_400000_NS6detail17trampoline_kernelINS0_14default_configENS1_25partition_config_selectorILNS1_17partition_subalgoE9EllbEEZZNS1_14partition_implILS5_9ELb0ES3_jPlS8_PNS0_10empty_typeENS0_5tupleIJS8_S9_EEENSB_IJS8_SA_EEENS0_18inequality_wrapperIZN2at6native12_GLOBAL__N_124unique_dim_cuda_templateIfEESt5tupleIJNSF_6TensorESK_SK_EERKSK_lbbbEUlllE0_EEPmJS9_EEE10hipError_tPvRmT3_T4_T5_T6_T7_T9_mT8_P12ihipStream_tbDpT10_ENKUlT_T0_E_clISt17integral_constantIbLb1EES19_IbLb0EEEEDaS15_S16_EUlS15_E_NS1_11comp_targetILNS1_3genE4ELNS1_11target_archE910ELNS1_3gpuE8ELNS1_3repE0EEENS1_30default_config_static_selectorELNS0_4arch9wavefront6targetE1EEEvT1_,comdat
	.globl	_ZN7rocprim17ROCPRIM_400000_NS6detail17trampoline_kernelINS0_14default_configENS1_25partition_config_selectorILNS1_17partition_subalgoE9EllbEEZZNS1_14partition_implILS5_9ELb0ES3_jPlS8_PNS0_10empty_typeENS0_5tupleIJS8_S9_EEENSB_IJS8_SA_EEENS0_18inequality_wrapperIZN2at6native12_GLOBAL__N_124unique_dim_cuda_templateIfEESt5tupleIJNSF_6TensorESK_SK_EERKSK_lbbbEUlllE0_EEPmJS9_EEE10hipError_tPvRmT3_T4_T5_T6_T7_T9_mT8_P12ihipStream_tbDpT10_ENKUlT_T0_E_clISt17integral_constantIbLb1EES19_IbLb0EEEEDaS15_S16_EUlS15_E_NS1_11comp_targetILNS1_3genE4ELNS1_11target_archE910ELNS1_3gpuE8ELNS1_3repE0EEENS1_30default_config_static_selectorELNS0_4arch9wavefront6targetE1EEEvT1_ ; -- Begin function _ZN7rocprim17ROCPRIM_400000_NS6detail17trampoline_kernelINS0_14default_configENS1_25partition_config_selectorILNS1_17partition_subalgoE9EllbEEZZNS1_14partition_implILS5_9ELb0ES3_jPlS8_PNS0_10empty_typeENS0_5tupleIJS8_S9_EEENSB_IJS8_SA_EEENS0_18inequality_wrapperIZN2at6native12_GLOBAL__N_124unique_dim_cuda_templateIfEESt5tupleIJNSF_6TensorESK_SK_EERKSK_lbbbEUlllE0_EEPmJS9_EEE10hipError_tPvRmT3_T4_T5_T6_T7_T9_mT8_P12ihipStream_tbDpT10_ENKUlT_T0_E_clISt17integral_constantIbLb1EES19_IbLb0EEEEDaS15_S16_EUlS15_E_NS1_11comp_targetILNS1_3genE4ELNS1_11target_archE910ELNS1_3gpuE8ELNS1_3repE0EEENS1_30default_config_static_selectorELNS0_4arch9wavefront6targetE1EEEvT1_
	.p2align	8
	.type	_ZN7rocprim17ROCPRIM_400000_NS6detail17trampoline_kernelINS0_14default_configENS1_25partition_config_selectorILNS1_17partition_subalgoE9EllbEEZZNS1_14partition_implILS5_9ELb0ES3_jPlS8_PNS0_10empty_typeENS0_5tupleIJS8_S9_EEENSB_IJS8_SA_EEENS0_18inequality_wrapperIZN2at6native12_GLOBAL__N_124unique_dim_cuda_templateIfEESt5tupleIJNSF_6TensorESK_SK_EERKSK_lbbbEUlllE0_EEPmJS9_EEE10hipError_tPvRmT3_T4_T5_T6_T7_T9_mT8_P12ihipStream_tbDpT10_ENKUlT_T0_E_clISt17integral_constantIbLb1EES19_IbLb0EEEEDaS15_S16_EUlS15_E_NS1_11comp_targetILNS1_3genE4ELNS1_11target_archE910ELNS1_3gpuE8ELNS1_3repE0EEENS1_30default_config_static_selectorELNS0_4arch9wavefront6targetE1EEEvT1_,@function
_ZN7rocprim17ROCPRIM_400000_NS6detail17trampoline_kernelINS0_14default_configENS1_25partition_config_selectorILNS1_17partition_subalgoE9EllbEEZZNS1_14partition_implILS5_9ELb0ES3_jPlS8_PNS0_10empty_typeENS0_5tupleIJS8_S9_EEENSB_IJS8_SA_EEENS0_18inequality_wrapperIZN2at6native12_GLOBAL__N_124unique_dim_cuda_templateIfEESt5tupleIJNSF_6TensorESK_SK_EERKSK_lbbbEUlllE0_EEPmJS9_EEE10hipError_tPvRmT3_T4_T5_T6_T7_T9_mT8_P12ihipStream_tbDpT10_ENKUlT_T0_E_clISt17integral_constantIbLb1EES19_IbLb0EEEEDaS15_S16_EUlS15_E_NS1_11comp_targetILNS1_3genE4ELNS1_11target_archE910ELNS1_3gpuE8ELNS1_3repE0EEENS1_30default_config_static_selectorELNS0_4arch9wavefront6targetE1EEEvT1_: ; @_ZN7rocprim17ROCPRIM_400000_NS6detail17trampoline_kernelINS0_14default_configENS1_25partition_config_selectorILNS1_17partition_subalgoE9EllbEEZZNS1_14partition_implILS5_9ELb0ES3_jPlS8_PNS0_10empty_typeENS0_5tupleIJS8_S9_EEENSB_IJS8_SA_EEENS0_18inequality_wrapperIZN2at6native12_GLOBAL__N_124unique_dim_cuda_templateIfEESt5tupleIJNSF_6TensorESK_SK_EERKSK_lbbbEUlllE0_EEPmJS9_EEE10hipError_tPvRmT3_T4_T5_T6_T7_T9_mT8_P12ihipStream_tbDpT10_ENKUlT_T0_E_clISt17integral_constantIbLb1EES19_IbLb0EEEEDaS15_S16_EUlS15_E_NS1_11comp_targetILNS1_3genE4ELNS1_11target_archE910ELNS1_3gpuE8ELNS1_3repE0EEENS1_30default_config_static_selectorELNS0_4arch9wavefront6targetE1EEEvT1_
; %bb.0:
	s_load_dwordx8 s[20:27], s[4:5], 0x40
	s_load_dwordx4 s[0:3], s[4:5], 0x8
	s_load_dwordx2 s[12:13], s[4:5], 0x18
	s_load_dword s9, s[4:5], 0x70
	v_lshrrev_b32_e32 v18, 2, v0
	s_waitcnt lgkmcnt(0)
	v_mov_b32_e32 v2, s24
	s_lshl_b64 s[14:15], s[2:3], 3
	s_add_u32 s18, s0, s14
	s_addc_u32 s19, s1, s15
	s_add_i32 s10, s9, -1
	s_lshl_b32 s0, s10, 9
	s_add_i32 s0, s2, s0
	s_lshl_b32 s8, s6, 9
	s_sub_i32 s7, s24, s0
	s_lshl_b32 s0, s9, 9
	s_add_u32 s0, s2, s0
	s_addc_u32 s1, s3, 0
	v_mov_b32_e32 v3, s25
	s_cmp_eq_u32 s6, s10
	s_load_dwordx2 s[22:23], s[22:23], 0x0
	v_cmp_ge_u64_e32 vcc, s[0:1], v[2:3]
	s_cselect_b64 s[24:25], -1, 0
	s_mov_b32 s9, 0
	s_and_b64 s[10:11], s[24:25], vcc
	s_xor_b64 s[34:35], s[10:11], -1
	s_lshl_b64 s[16:17], s[8:9], 3
	s_add_u32 s8, s18, s16
	s_mov_b64 s[0:1], -1
	s_addc_u32 s9, s19, s17
	s_and_b64 vcc, exec, s[34:35]
	s_cbranch_vccz .LBB979_2
; %bb.1:
	v_lshlrev_b32_e32 v1, 3, v0
	global_load_dwordx2 v[2:3], v1, s[8:9]
	global_load_dwordx2 v[4:5], v1, s[8:9] offset:1024
	global_load_dwordx2 v[6:7], v1, s[8:9] offset:2048
	;; [unrolled: 1-line block ×3, first 2 shown]
	v_or_b32_e32 v11, 0x80, v0
	v_or_b32_e32 v12, 0x100, v0
	;; [unrolled: 1-line block ×3, first 2 shown]
	v_and_b32_e32 v10, 24, v18
	v_lshrrev_b32_e32 v11, 2, v11
	v_lshrrev_b32_e32 v12, 2, v12
	;; [unrolled: 1-line block ×3, first 2 shown]
	v_add_u32_e32 v10, v10, v1
	v_and_b32_e32 v11, 56, v11
	v_and_b32_e32 v12, 0x58, v12
	;; [unrolled: 1-line block ×3, first 2 shown]
	v_add_u32_e32 v11, v11, v1
	v_add_u32_e32 v12, v12, v1
	;; [unrolled: 1-line block ×3, first 2 shown]
	s_mov_b64 s[0:1], 0
	s_waitcnt vmcnt(3)
	ds_write_b64 v10, v[2:3]
	s_waitcnt vmcnt(2)
	ds_write_b64 v11, v[4:5] offset:1024
	s_waitcnt vmcnt(1)
	ds_write_b64 v12, v[6:7] offset:2048
	;; [unrolled: 2-line block ×3, first 2 shown]
	s_waitcnt lgkmcnt(0)
	s_barrier
.LBB979_2:
	s_load_dwordx4 s[28:31], s[4:5], 0x60
	s_andn2_b64 vcc, exec, s[0:1]
	v_cmp_gt_u32_e64 s[0:1], s7, v0
	s_cbranch_vccnz .LBB979_12
; %bb.3:
                                        ; implicit-def: $vgpr2_vgpr3_vgpr4_vgpr5_vgpr6_vgpr7_vgpr8_vgpr9
	s_and_saveexec_b64 s[18:19], s[0:1]
	s_cbranch_execz .LBB979_5
; %bb.4:
	v_lshlrev_b32_e32 v1, 3, v0
	global_load_dwordx2 v[2:3], v1, s[8:9]
.LBB979_5:
	s_or_b64 exec, exec, s[18:19]
	v_or_b32_e32 v1, 0x80, v0
	v_cmp_gt_u32_e32 vcc, s7, v1
	s_and_saveexec_b64 s[0:1], vcc
	s_cbranch_execz .LBB979_7
; %bb.6:
	v_lshlrev_b32_e32 v4, 3, v0
	global_load_dwordx2 v[4:5], v4, s[8:9] offset:1024
.LBB979_7:
	s_or_b64 exec, exec, s[0:1]
	v_or_b32_e32 v10, 0x100, v0
	v_cmp_gt_u32_e32 vcc, s7, v10
	s_and_saveexec_b64 s[0:1], vcc
	s_cbranch_execz .LBB979_9
; %bb.8:
	v_lshlrev_b32_e32 v6, 3, v0
	global_load_dwordx2 v[6:7], v6, s[8:9] offset:2048
.LBB979_9:
	;; [unrolled: 9-line block ×3, first 2 shown]
	s_or_b64 exec, exec, s[0:1]
	v_lshrrev_b32_e32 v1, 2, v1
	v_lshlrev_b32_e32 v13, 3, v0
	v_and_b32_e32 v1, 56, v1
	v_add_u32_e32 v1, v1, v13
	s_waitcnt vmcnt(0)
	ds_write_b64 v1, v[4:5] offset:1024
	v_lshrrev_b32_e32 v1, 2, v10
	v_and_b32_e32 v1, 0x78, v1
	v_add_u32_e32 v1, v1, v13
	ds_write_b64 v1, v[6:7] offset:2048
	v_lshrrev_b32_e32 v1, 2, v11
	v_and_b32_e32 v12, 24, v18
	v_and_b32_e32 v1, 0x78, v1
	v_add_u32_e32 v12, v12, v13
	v_add_u32_e32 v1, v1, v13
	ds_write_b64 v12, v[2:3]
	ds_write_b64 v1, v[8:9] offset:3072
	s_waitcnt lgkmcnt(0)
	s_barrier
.LBB979_12:
	v_lshlrev_b32_e32 v1, 2, v0
	v_lshrrev_b32_e32 v2, 3, v0
	v_add_lshl_u32 v19, v2, v1, 3
	s_waitcnt lgkmcnt(0)
	ds_read2_b64 v[14:17], v19 offset1:1
	ds_read2_b64 v[10:13], v19 offset0:2 offset1:3
	s_add_u32 s0, s12, s14
	s_addc_u32 s1, s13, s15
	s_add_u32 s0, s0, s16
	s_addc_u32 s1, s1, s17
	s_mov_b64 s[12:13], -1
	s_and_b64 vcc, exec, s[34:35]
	s_waitcnt lgkmcnt(0)
	s_barrier
	s_cbranch_vccz .LBB979_14
; %bb.13:
	v_lshlrev_b32_e32 v20, 3, v0
	global_load_dwordx2 v[2:3], v20, s[0:1]
	global_load_dwordx2 v[4:5], v20, s[0:1] offset:1024
	global_load_dwordx2 v[6:7], v20, s[0:1] offset:2048
	;; [unrolled: 1-line block ×3, first 2 shown]
	v_or_b32_e32 v22, 0x80, v0
	v_or_b32_e32 v23, 0x100, v0
	;; [unrolled: 1-line block ×3, first 2 shown]
	v_and_b32_e32 v21, 24, v18
	v_lshrrev_b32_e32 v22, 2, v22
	v_lshrrev_b32_e32 v23, 2, v23
	;; [unrolled: 1-line block ×3, first 2 shown]
	v_add_u32_e32 v21, v21, v20
	v_and_b32_e32 v22, 56, v22
	v_and_b32_e32 v23, 0x58, v23
	;; [unrolled: 1-line block ×3, first 2 shown]
	v_add_u32_e32 v22, v22, v20
	v_add_u32_e32 v23, v23, v20
	;; [unrolled: 1-line block ×3, first 2 shown]
	s_mov_b64 s[12:13], 0
	s_waitcnt vmcnt(3)
	ds_write_b64 v21, v[2:3]
	s_waitcnt vmcnt(2)
	ds_write_b64 v22, v[4:5] offset:1024
	s_waitcnt vmcnt(1)
	ds_write_b64 v23, v[6:7] offset:2048
	;; [unrolled: 2-line block ×3, first 2 shown]
	s_waitcnt lgkmcnt(0)
	s_barrier
.LBB979_14:
	s_andn2_b64 vcc, exec, s[12:13]
	s_cbranch_vccnz .LBB979_24
; %bb.15:
	v_cmp_gt_u32_e32 vcc, s7, v0
                                        ; implicit-def: $vgpr2_vgpr3
	s_and_saveexec_b64 s[12:13], vcc
	s_cbranch_execz .LBB979_17
; %bb.16:
	v_lshlrev_b32_e32 v2, 3, v0
	global_load_dwordx2 v[2:3], v2, s[0:1]
.LBB979_17:
	s_or_b64 exec, exec, s[12:13]
	v_or_b32_e32 v20, 0x80, v0
	v_cmp_gt_u32_e32 vcc, s7, v20
                                        ; implicit-def: $vgpr4_vgpr5
	s_and_saveexec_b64 s[12:13], vcc
	s_cbranch_execz .LBB979_19
; %bb.18:
	v_lshlrev_b32_e32 v4, 3, v0
	global_load_dwordx2 v[4:5], v4, s[0:1] offset:1024
.LBB979_19:
	s_or_b64 exec, exec, s[12:13]
	v_or_b32_e32 v21, 0x100, v0
	v_cmp_gt_u32_e32 vcc, s7, v21
                                        ; implicit-def: $vgpr6_vgpr7
	s_and_saveexec_b64 s[12:13], vcc
	s_cbranch_execz .LBB979_21
; %bb.20:
	v_lshlrev_b32_e32 v6, 3, v0
	global_load_dwordx2 v[6:7], v6, s[0:1] offset:2048
.LBB979_21:
	s_or_b64 exec, exec, s[12:13]
	v_or_b32_e32 v22, 0x180, v0
	v_cmp_gt_u32_e32 vcc, s7, v22
                                        ; implicit-def: $vgpr8_vgpr9
	s_and_saveexec_b64 s[12:13], vcc
	s_cbranch_execz .LBB979_23
; %bb.22:
	v_lshlrev_b32_e32 v8, 3, v0
	global_load_dwordx2 v[8:9], v8, s[0:1] offset:3072
.LBB979_23:
	s_or_b64 exec, exec, s[12:13]
	v_and_b32_e32 v18, 24, v18
	v_lshlrev_b32_e32 v23, 3, v0
	v_add_u32_e32 v18, v18, v23
	s_waitcnt vmcnt(0)
	ds_write_b64 v18, v[2:3]
	v_lshrrev_b32_e32 v2, 2, v20
	v_and_b32_e32 v2, 56, v2
	v_add_u32_e32 v2, v2, v23
	ds_write_b64 v2, v[4:5] offset:1024
	v_lshrrev_b32_e32 v2, 2, v21
	v_and_b32_e32 v2, 0x78, v2
	v_add_u32_e32 v2, v2, v23
	ds_write_b64 v2, v[6:7] offset:2048
	;; [unrolled: 4-line block ×3, first 2 shown]
	s_waitcnt lgkmcnt(0)
	s_barrier
.LBB979_24:
	ds_read2_b64 v[6:9], v19 offset1:1
	ds_read2_b64 v[2:5], v19 offset0:2 offset1:3
	s_cmp_lg_u32 s6, 0
	s_cselect_b64 s[16:17], -1, 0
	s_cmp_lg_u64 s[2:3], 0
	s_cselect_b64 s[0:1], -1, 0
	s_or_b64 s[0:1], s[16:17], s[0:1]
	s_mov_b64 s[12:13], 0
	s_and_b64 vcc, exec, s[0:1]
	v_cmp_gt_i64_e64 s[0:1], s[26:27], 0
	s_waitcnt lgkmcnt(0)
	s_barrier
	s_cbranch_vccz .LBB979_33
; %bb.25:
	s_add_u32 s2, s8, -8
	s_addc_u32 s3, s9, -1
	s_load_dwordx2 s[12:13], s[2:3], 0x0
	v_cndmask_b32_e64 v18, 0, 1, s[0:1]
	v_lshlrev_b32_e32 v26, 3, v0
	s_mov_b64 s[14:15], 0
	s_and_b64 vcc, exec, s[34:35]
	v_cmp_ne_u32_e64 s[0:1], 1, v18
	ds_write_b64 v26, v[12:13]
	s_cbranch_vccz .LBB979_34
; %bb.26:
	v_mul_lo_u32 v20, v11, s26
	v_mul_lo_u32 v21, v10, s27
	v_mad_u64_u32 v[18:19], s[2:3], v10, s26, 0
	v_add3_u32 v19, v19, v21, v20
	s_and_b64 vcc, exec, s[0:1]
	v_lshlrev_b64 v[18:19], 2, v[18:19]
	s_cbranch_vccnz .LBB979_37
; %bb.27:
	v_mul_lo_u32 v22, v13, s26
	v_mul_lo_u32 v23, v12, s27
	v_mad_u64_u32 v[20:21], s[2:3], v12, s26, 0
	v_add3_u32 v21, v21, v23, v22
	v_mov_b32_e32 v23, s29
	v_add_co_u32_e32 v22, vcc, s28, v18
	v_addc_co_u32_e64 v23, s[2:3], v23, v19, vcc
	v_lshlrev_b64 v[20:21], 2, v[20:21]
	v_mov_b32_e32 v25, s29
	v_add_co_u32_e64 v24, s[2:3], s28, v20
	v_addc_co_u32_e64 v25, s[8:9], v25, v21, s[2:3]
	global_load_dword v20, v[22:23], off
	global_load_dword v27, v[24:25], off
	s_mov_b64 s[14:15], -1
	s_waitcnt vmcnt(0)
	v_cmp_eq_f32_e64 s[8:9], v20, v27
	s_and_saveexec_b64 s[18:19], s[8:9]
	s_cbranch_execz .LBB979_36
; %bb.28:
	v_mov_b32_e32 v20, s29
	v_addc_co_u32_e64 v21, s[2:3], v21, v20, s[2:3]
	v_add_co_u32_e64 v20, s[2:3], 4, v24
	v_mov_b32_e32 v23, s29
	v_addc_co_u32_e64 v21, s[2:3], 0, v21, s[2:3]
	v_addc_co_u32_e32 v23, vcc, v19, v23, vcc
	v_add_co_u32_e32 v22, vcc, 4, v22
	s_add_u32 s2, s26, -1
	v_addc_co_u32_e32 v23, vcc, 0, v23, vcc
	s_addc_u32 s3, s27, -1
	s_mov_b64 s[8:9], 0
	s_mov_b64 s[36:37], 0
                                        ; implicit-def: $sgpr14_sgpr15
	s_branch .LBB979_31
.LBB979_29:                             ;   in Loop: Header=BB979_31 Depth=1
	global_load_dword v24, v[22:23], off
	global_load_dword v25, v[20:21], off
	v_add_co_u32_e32 v20, vcc, 4, v20
	v_addc_co_u32_e32 v21, vcc, 0, v21, vcc
	v_add_co_u32_e32 v22, vcc, 4, v22
	v_addc_co_u32_e32 v23, vcc, 0, v23, vcc
	s_add_u32 s36, s36, 1
	s_addc_u32 s37, s37, 0
	s_andn2_b64 s[14:15], s[14:15], exec
	s_waitcnt vmcnt(0)
	v_cmp_neq_f32_e32 vcc, v24, v25
	s_and_b64 s[38:39], vcc, exec
	s_or_b64 s[14:15], s[14:15], s[38:39]
.LBB979_30:                             ;   in Loop: Header=BB979_31 Depth=1
	s_and_b64 s[38:39], exec, s[14:15]
	s_or_b64 s[8:9], s[38:39], s[8:9]
	v_pk_mov_b32 v[24:25], s[36:37], s[36:37] op_sel:[0,1]
	s_andn2_b64 exec, exec, s[8:9]
	s_cbranch_execz .LBB979_35
.LBB979_31:                             ; =>This Inner Loop Header: Depth=1
	s_or_b64 s[14:15], s[14:15], exec
	s_cmp_eq_u64 s[2:3], s[36:37]
	s_cbranch_scc0 .LBB979_29
; %bb.32:                               ;   in Loop: Header=BB979_31 Depth=1
                                        ; implicit-def: $vgpr20_vgpr21
                                        ; implicit-def: $vgpr22_vgpr23
	s_mov_b64 s[36:37], s[26:27]
	s_branch .LBB979_30
.LBB979_33:
                                        ; implicit-def: $sgpr18_sgpr19
                                        ; implicit-def: $vgpr28
	s_branch .LBB979_115
.LBB979_34:
                                        ; implicit-def: $sgpr18_sgpr19
                                        ; implicit-def: $vgpr28
	s_cbranch_execnz .LBB979_67
	s_branch .LBB979_114
.LBB979_35:
	s_or_b64 exec, exec, s[8:9]
	v_cmp_gt_i64_e32 vcc, s[26:27], v[24:25]
	s_orn2_b64 s[14:15], vcc, exec
.LBB979_36:
	s_or_b64 exec, exec, s[18:19]
.LBB979_37:
	v_mul_lo_u32 v22, v17, s26
	v_mul_lo_u32 v23, v16, s27
	v_mad_u64_u32 v[20:21], s[2:3], v16, s26, 0
	v_add3_u32 v21, v21, v23, v22
	s_mov_b64 s[18:19], 0
	s_and_b64 vcc, exec, s[0:1]
	v_lshlrev_b64 v[20:21], 2, v[20:21]
	s_mov_b64 s[36:37], 0
	s_cbranch_vccnz .LBB979_46
; %bb.38:
	v_mov_b32_e32 v23, s29
	v_add_co_u32_e32 v22, vcc, s28, v20
	v_addc_co_u32_e64 v23, s[2:3], v23, v21, vcc
	v_mov_b32_e32 v25, s29
	v_add_co_u32_e64 v24, s[2:3], s28, v18
	v_addc_co_u32_e64 v25, s[8:9], v25, v19, s[2:3]
	global_load_dword v18, v[22:23], off
	global_load_dword v27, v[24:25], off
	s_mov_b64 s[36:37], -1
	s_waitcnt vmcnt(0)
	v_cmp_eq_f32_e64 s[8:9], v18, v27
	s_and_saveexec_b64 s[38:39], s[8:9]
	s_cbranch_execz .LBB979_45
; %bb.39:
	v_mov_b32_e32 v18, s29
	v_addc_co_u32_e64 v19, s[2:3], v19, v18, s[2:3]
	v_add_co_u32_e64 v18, s[2:3], 4, v24
	v_mov_b32_e32 v23, s29
	v_addc_co_u32_e64 v19, s[2:3], 0, v19, s[2:3]
	v_addc_co_u32_e32 v23, vcc, v21, v23, vcc
	v_add_co_u32_e32 v22, vcc, 4, v22
	s_add_u32 s2, s26, -1
	v_addc_co_u32_e32 v23, vcc, 0, v23, vcc
	s_addc_u32 s3, s27, -1
	s_mov_b64 s[8:9], 0
	s_mov_b64 s[40:41], 0
                                        ; implicit-def: $sgpr36_sgpr37
	s_branch .LBB979_42
.LBB979_40:                             ;   in Loop: Header=BB979_42 Depth=1
	global_load_dword v24, v[22:23], off
	global_load_dword v25, v[18:19], off
	v_add_co_u32_e32 v18, vcc, 4, v18
	v_addc_co_u32_e32 v19, vcc, 0, v19, vcc
	v_add_co_u32_e32 v22, vcc, 4, v22
	v_addc_co_u32_e32 v23, vcc, 0, v23, vcc
	s_add_u32 s40, s40, 1
	s_addc_u32 s41, s41, 0
	s_andn2_b64 s[36:37], s[36:37], exec
	s_waitcnt vmcnt(0)
	v_cmp_neq_f32_e32 vcc, v24, v25
	s_and_b64 s[42:43], vcc, exec
	s_or_b64 s[36:37], s[36:37], s[42:43]
.LBB979_41:                             ;   in Loop: Header=BB979_42 Depth=1
	s_and_b64 s[42:43], exec, s[36:37]
	s_or_b64 s[8:9], s[42:43], s[8:9]
	v_pk_mov_b32 v[24:25], s[40:41], s[40:41] op_sel:[0,1]
	s_andn2_b64 exec, exec, s[8:9]
	s_cbranch_execz .LBB979_44
.LBB979_42:                             ; =>This Inner Loop Header: Depth=1
	s_or_b64 s[36:37], s[36:37], exec
	s_cmp_eq_u64 s[2:3], s[40:41]
	s_cbranch_scc0 .LBB979_40
; %bb.43:                               ;   in Loop: Header=BB979_42 Depth=1
                                        ; implicit-def: $vgpr18_vgpr19
                                        ; implicit-def: $vgpr22_vgpr23
	s_mov_b64 s[40:41], s[26:27]
	s_branch .LBB979_41
.LBB979_44:
	s_or_b64 exec, exec, s[8:9]
	v_cmp_gt_i64_e32 vcc, s[26:27], v[24:25]
	s_orn2_b64 s[36:37], vcc, exec
.LBB979_45:
	s_or_b64 exec, exec, s[38:39]
.LBB979_46:
	v_mul_lo_u32 v22, v15, s26
	v_mul_lo_u32 v23, v14, s27
	v_mad_u64_u32 v[18:19], s[2:3], v14, s26, 0
	v_add3_u32 v19, v19, v23, v22
	s_and_b64 vcc, exec, s[0:1]
	v_lshlrev_b64 v[18:19], 2, v[18:19]
	s_cbranch_vccnz .LBB979_55
; %bb.47:
	v_mov_b32_e32 v23, s29
	v_add_co_u32_e32 v22, vcc, s28, v18
	v_addc_co_u32_e64 v23, s[2:3], v23, v19, vcc
	v_mov_b32_e32 v25, s29
	v_add_co_u32_e64 v24, s[2:3], s28, v20
	v_addc_co_u32_e64 v25, s[8:9], v25, v21, s[2:3]
	global_load_dword v20, v[22:23], off
	global_load_dword v27, v[24:25], off
	s_mov_b64 s[18:19], -1
	s_waitcnt vmcnt(0)
	v_cmp_eq_f32_e64 s[8:9], v20, v27
	s_and_saveexec_b64 s[38:39], s[8:9]
	s_cbranch_execz .LBB979_54
; %bb.48:
	v_mov_b32_e32 v20, s29
	v_addc_co_u32_e64 v21, s[2:3], v21, v20, s[2:3]
	v_add_co_u32_e64 v20, s[2:3], 4, v24
	v_mov_b32_e32 v23, s29
	v_addc_co_u32_e64 v21, s[2:3], 0, v21, s[2:3]
	v_addc_co_u32_e32 v23, vcc, v19, v23, vcc
	v_add_co_u32_e32 v22, vcc, 4, v22
	s_add_u32 s2, s26, -1
	v_addc_co_u32_e32 v23, vcc, 0, v23, vcc
	s_addc_u32 s3, s27, -1
	s_mov_b64 s[8:9], 0
	s_mov_b64 s[40:41], 0
                                        ; implicit-def: $sgpr18_sgpr19
	s_branch .LBB979_51
.LBB979_49:                             ;   in Loop: Header=BB979_51 Depth=1
	global_load_dword v24, v[22:23], off
	global_load_dword v25, v[20:21], off
	v_add_co_u32_e32 v20, vcc, 4, v20
	v_addc_co_u32_e32 v21, vcc, 0, v21, vcc
	v_add_co_u32_e32 v22, vcc, 4, v22
	v_addc_co_u32_e32 v23, vcc, 0, v23, vcc
	s_add_u32 s40, s40, 1
	s_addc_u32 s41, s41, 0
	s_andn2_b64 s[18:19], s[18:19], exec
	s_waitcnt vmcnt(0)
	v_cmp_neq_f32_e32 vcc, v24, v25
	s_and_b64 s[42:43], vcc, exec
	s_or_b64 s[18:19], s[18:19], s[42:43]
.LBB979_50:                             ;   in Loop: Header=BB979_51 Depth=1
	s_and_b64 s[42:43], exec, s[18:19]
	s_or_b64 s[8:9], s[42:43], s[8:9]
	v_pk_mov_b32 v[24:25], s[40:41], s[40:41] op_sel:[0,1]
	s_andn2_b64 exec, exec, s[8:9]
	s_cbranch_execz .LBB979_53
.LBB979_51:                             ; =>This Inner Loop Header: Depth=1
	s_or_b64 s[18:19], s[18:19], exec
	s_cmp_eq_u64 s[2:3], s[40:41]
	s_cbranch_scc0 .LBB979_49
; %bb.52:                               ;   in Loop: Header=BB979_51 Depth=1
                                        ; implicit-def: $vgpr20_vgpr21
                                        ; implicit-def: $vgpr22_vgpr23
	s_mov_b64 s[40:41], s[26:27]
	s_branch .LBB979_50
.LBB979_53:
	s_or_b64 exec, exec, s[8:9]
	v_cmp_gt_i64_e32 vcc, s[26:27], v[24:25]
	s_orn2_b64 s[18:19], vcc, exec
.LBB979_54:
	s_or_b64 exec, exec, s[38:39]
.LBB979_55:
	v_cmp_ne_u32_e32 vcc, 0, v0
	s_waitcnt lgkmcnt(0)
	v_pk_mov_b32 v[20:21], s[12:13], s[12:13] op_sel:[0,1]
	s_barrier
	s_and_saveexec_b64 s[2:3], vcc
	s_cbranch_execz .LBB979_57
; %bb.56:
	v_add_u32_e32 v20, -8, v26
	ds_read_b64 v[20:21], v20
.LBB979_57:
	s_or_b64 exec, exec, s[2:3]
	v_cndmask_b32_e64 v23, 0, 1, s[14:15]
	v_cndmask_b32_e64 v22, 0, 1, s[36:37]
	;; [unrolled: 1-line block ×3, first 2 shown]
	v_lshlrev_b16_e32 v23, 8, v23
	v_lshlrev_b16_e32 v27, 8, v24
	v_or_b32_sdwa v28, v22, v23 dst_sel:WORD_1 dst_unused:UNUSED_PAD src0_sel:DWORD src1_sel:DWORD
	s_mov_b64 s[14:15], 0
	s_and_b64 vcc, exec, s[0:1]
	s_mov_b64 s[18:19], 0
	s_cbranch_vccnz .LBB979_66
; %bb.58:
	s_waitcnt lgkmcnt(0)
	v_mul_lo_u32 v22, v21, s26
	v_mul_lo_u32 v23, v20, s27
	v_mad_u64_u32 v[20:21], s[2:3], v20, s26, 0
	v_add3_u32 v21, v21, v23, v22
	v_lshlrev_b64 v[20:21], 2, v[20:21]
	v_mov_b32_e32 v23, s29
	v_add_co_u32_e32 v22, vcc, s28, v20
	v_addc_co_u32_e64 v23, s[2:3], v23, v21, vcc
	v_mov_b32_e32 v20, s29
	v_add_co_u32_e64 v24, s[2:3], s28, v18
	v_addc_co_u32_e64 v25, s[8:9], v20, v19, s[2:3]
	global_load_dword v18, v[22:23], off
	global_load_dword v20, v[24:25], off
	s_mov_b64 s[18:19], -1
	s_waitcnt vmcnt(0)
	v_cmp_eq_f32_e64 s[8:9], v18, v20
	s_and_saveexec_b64 s[36:37], s[8:9]
	s_cbranch_execz .LBB979_65
; %bb.59:
	v_mov_b32_e32 v18, s29
	v_addc_co_u32_e64 v19, s[2:3], v19, v18, s[2:3]
	v_add_co_u32_e64 v18, s[2:3], 4, v24
	v_mov_b32_e32 v20, s29
	v_addc_co_u32_e64 v19, s[2:3], 0, v19, s[2:3]
	v_addc_co_u32_e32 v21, vcc, v21, v20, vcc
	v_add_co_u32_e32 v20, vcc, 4, v22
	s_add_u32 s2, s26, -1
	v_addc_co_u32_e32 v21, vcc, 0, v21, vcc
	s_addc_u32 s3, s27, -1
	s_mov_b64 s[8:9], 0
	s_mov_b64 s[38:39], 0
                                        ; implicit-def: $sgpr18_sgpr19
	s_branch .LBB979_62
.LBB979_60:                             ;   in Loop: Header=BB979_62 Depth=1
	global_load_dword v22, v[20:21], off
	global_load_dword v23, v[18:19], off
	v_add_co_u32_e32 v18, vcc, 4, v18
	v_addc_co_u32_e32 v19, vcc, 0, v19, vcc
	v_add_co_u32_e32 v20, vcc, 4, v20
	v_addc_co_u32_e32 v21, vcc, 0, v21, vcc
	s_add_u32 s38, s38, 1
	s_addc_u32 s39, s39, 0
	s_andn2_b64 s[18:19], s[18:19], exec
	s_waitcnt vmcnt(0)
	v_cmp_neq_f32_e32 vcc, v22, v23
	s_and_b64 s[40:41], vcc, exec
	s_or_b64 s[18:19], s[18:19], s[40:41]
.LBB979_61:                             ;   in Loop: Header=BB979_62 Depth=1
	s_and_b64 s[40:41], exec, s[18:19]
	s_or_b64 s[8:9], s[40:41], s[8:9]
	v_pk_mov_b32 v[22:23], s[38:39], s[38:39] op_sel:[0,1]
	s_andn2_b64 exec, exec, s[8:9]
	s_cbranch_execz .LBB979_64
.LBB979_62:                             ; =>This Inner Loop Header: Depth=1
	s_or_b64 s[18:19], s[18:19], exec
	s_cmp_eq_u64 s[2:3], s[38:39]
	s_cbranch_scc0 .LBB979_60
; %bb.63:                               ;   in Loop: Header=BB979_62 Depth=1
                                        ; implicit-def: $vgpr18_vgpr19
                                        ; implicit-def: $vgpr20_vgpr21
	s_mov_b64 s[38:39], s[26:27]
	s_branch .LBB979_61
.LBB979_64:
	s_or_b64 exec, exec, s[8:9]
	v_cmp_gt_i64_e32 vcc, s[26:27], v[22:23]
	s_orn2_b64 s[18:19], vcc, exec
.LBB979_65:
	s_or_b64 exec, exec, s[36:37]
.LBB979_66:
	v_or_b32_e32 v28, v27, v28
	s_and_b64 vcc, exec, s[14:15]
	s_cbranch_vccz .LBB979_114
.LBB979_67:
	v_or_b32_e32 v18, 3, v1
	v_cmp_gt_u32_e32 vcc, s7, v18
	s_mov_b64 s[18:19], 0
	s_mov_b64 s[14:15], 0
	s_and_saveexec_b64 s[36:37], vcc
	s_cbranch_execz .LBB979_78
; %bb.68:
	s_and_b64 vcc, exec, s[0:1]
	s_mov_b64 s[38:39], 0
	s_cbranch_vccnz .LBB979_77
; %bb.69:
	s_waitcnt lgkmcnt(0)
	v_mul_lo_u32 v20, v11, s26
	v_mul_lo_u32 v21, v10, s27
	v_mad_u64_u32 v[18:19], s[2:3], v10, s26, 0
	v_add3_u32 v19, v19, v21, v20
	v_mul_lo_u32 v20, v13, s26
	v_mul_lo_u32 v21, v12, s27
	v_mad_u64_u32 v[24:25], s[2:3], v12, s26, 0
	v_add3_u32 v25, v25, v21, v20
	v_lshlrev_b64 v[20:21], 2, v[18:19]
	v_mov_b32_e32 v18, s29
	v_add_co_u32_e32 v22, vcc, s28, v20
	v_addc_co_u32_e64 v23, s[2:3], v18, v21, vcc
	v_lshlrev_b64 v[18:19], 2, v[24:25]
	v_mov_b32_e32 v20, s29
	v_add_co_u32_e64 v24, s[2:3], s28, v18
	v_addc_co_u32_e64 v25, s[8:9], v20, v19, s[2:3]
	global_load_dword v18, v[22:23], off
	global_load_dword v20, v[24:25], off
	s_mov_b64 s[38:39], -1
	s_waitcnt vmcnt(0)
	v_cmp_eq_f32_e64 s[8:9], v18, v20
	s_and_saveexec_b64 s[14:15], s[8:9]
	s_cbranch_execz .LBB979_76
; %bb.70:
	v_mov_b32_e32 v18, s29
	v_addc_co_u32_e64 v19, s[2:3], v19, v18, s[2:3]
	v_add_co_u32_e64 v18, s[2:3], 4, v24
	v_mov_b32_e32 v20, s29
	v_addc_co_u32_e64 v19, s[2:3], 0, v19, s[2:3]
	v_addc_co_u32_e32 v21, vcc, v21, v20, vcc
	v_add_co_u32_e32 v20, vcc, 4, v22
	s_add_u32 s2, s26, -1
	v_addc_co_u32_e32 v21, vcc, 0, v21, vcc
	s_addc_u32 s3, s27, -1
	s_mov_b64 s[8:9], 0
	s_mov_b64 s[40:41], 0
                                        ; implicit-def: $sgpr38_sgpr39
	s_branch .LBB979_73
.LBB979_71:                             ;   in Loop: Header=BB979_73 Depth=1
	global_load_dword v22, v[20:21], off
	global_load_dword v23, v[18:19], off
	v_add_co_u32_e32 v18, vcc, 4, v18
	v_addc_co_u32_e32 v19, vcc, 0, v19, vcc
	v_add_co_u32_e32 v20, vcc, 4, v20
	v_addc_co_u32_e32 v21, vcc, 0, v21, vcc
	s_add_u32 s40, s40, 1
	s_addc_u32 s41, s41, 0
	s_andn2_b64 s[38:39], s[38:39], exec
	s_waitcnt vmcnt(0)
	v_cmp_neq_f32_e32 vcc, v22, v23
	s_and_b64 s[42:43], vcc, exec
	s_or_b64 s[38:39], s[38:39], s[42:43]
.LBB979_72:                             ;   in Loop: Header=BB979_73 Depth=1
	s_and_b64 s[42:43], exec, s[38:39]
	s_or_b64 s[8:9], s[42:43], s[8:9]
	v_pk_mov_b32 v[22:23], s[40:41], s[40:41] op_sel:[0,1]
	s_andn2_b64 exec, exec, s[8:9]
	s_cbranch_execz .LBB979_75
.LBB979_73:                             ; =>This Inner Loop Header: Depth=1
	s_or_b64 s[38:39], s[38:39], exec
	s_cmp_eq_u64 s[2:3], s[40:41]
	s_cbranch_scc0 .LBB979_71
; %bb.74:                               ;   in Loop: Header=BB979_73 Depth=1
                                        ; implicit-def: $vgpr18_vgpr19
                                        ; implicit-def: $vgpr20_vgpr21
	s_mov_b64 s[40:41], s[26:27]
	s_branch .LBB979_72
.LBB979_75:
	s_or_b64 exec, exec, s[8:9]
	v_cmp_gt_i64_e32 vcc, s[26:27], v[22:23]
	s_orn2_b64 s[38:39], vcc, exec
.LBB979_76:
	s_or_b64 exec, exec, s[14:15]
.LBB979_77:
	s_and_b64 s[14:15], s[38:39], exec
.LBB979_78:
	s_or_b64 exec, exec, s[36:37]
	v_or_b32_e32 v18, 2, v1
	v_cmp_gt_u32_e32 vcc, s7, v18
	s_and_saveexec_b64 s[36:37], vcc
	s_cbranch_execz .LBB979_89
; %bb.79:
	s_and_b64 vcc, exec, s[0:1]
	s_mov_b64 s[38:39], 0
	s_cbranch_vccnz .LBB979_88
; %bb.80:
	s_waitcnt lgkmcnt(0)
	v_mul_lo_u32 v20, v17, s26
	v_mul_lo_u32 v21, v16, s27
	v_mad_u64_u32 v[18:19], s[2:3], v16, s26, 0
	v_add3_u32 v19, v19, v21, v20
	v_mul_lo_u32 v20, v11, s26
	v_mul_lo_u32 v21, v10, s27
	v_mad_u64_u32 v[24:25], s[2:3], v10, s26, 0
	v_add3_u32 v25, v25, v21, v20
	v_lshlrev_b64 v[20:21], 2, v[18:19]
	v_mov_b32_e32 v18, s29
	v_add_co_u32_e32 v22, vcc, s28, v20
	v_addc_co_u32_e64 v23, s[2:3], v18, v21, vcc
	v_lshlrev_b64 v[18:19], 2, v[24:25]
	v_mov_b32_e32 v20, s29
	v_add_co_u32_e64 v24, s[2:3], s28, v18
	v_addc_co_u32_e64 v25, s[8:9], v20, v19, s[2:3]
	global_load_dword v18, v[22:23], off
	global_load_dword v20, v[24:25], off
	s_mov_b64 s[38:39], -1
	s_waitcnt vmcnt(0)
	v_cmp_eq_f32_e64 s[8:9], v18, v20
	s_and_saveexec_b64 s[18:19], s[8:9]
	s_cbranch_execz .LBB979_87
; %bb.81:
	v_mov_b32_e32 v18, s29
	v_addc_co_u32_e64 v19, s[2:3], v19, v18, s[2:3]
	v_add_co_u32_e64 v18, s[2:3], 4, v24
	v_mov_b32_e32 v20, s29
	v_addc_co_u32_e64 v19, s[2:3], 0, v19, s[2:3]
	v_addc_co_u32_e32 v21, vcc, v21, v20, vcc
	v_add_co_u32_e32 v20, vcc, 4, v22
	s_add_u32 s2, s26, -1
	v_addc_co_u32_e32 v21, vcc, 0, v21, vcc
	s_addc_u32 s3, s27, -1
	s_mov_b64 s[8:9], 0
	s_mov_b64 s[40:41], 0
                                        ; implicit-def: $sgpr38_sgpr39
	s_branch .LBB979_84
.LBB979_82:                             ;   in Loop: Header=BB979_84 Depth=1
	global_load_dword v22, v[20:21], off
	global_load_dword v23, v[18:19], off
	v_add_co_u32_e32 v18, vcc, 4, v18
	v_addc_co_u32_e32 v19, vcc, 0, v19, vcc
	v_add_co_u32_e32 v20, vcc, 4, v20
	v_addc_co_u32_e32 v21, vcc, 0, v21, vcc
	s_add_u32 s40, s40, 1
	s_addc_u32 s41, s41, 0
	s_andn2_b64 s[38:39], s[38:39], exec
	s_waitcnt vmcnt(0)
	v_cmp_neq_f32_e32 vcc, v22, v23
	s_and_b64 s[42:43], vcc, exec
	s_or_b64 s[38:39], s[38:39], s[42:43]
.LBB979_83:                             ;   in Loop: Header=BB979_84 Depth=1
	s_and_b64 s[42:43], exec, s[38:39]
	s_or_b64 s[8:9], s[42:43], s[8:9]
	v_pk_mov_b32 v[22:23], s[40:41], s[40:41] op_sel:[0,1]
	s_andn2_b64 exec, exec, s[8:9]
	s_cbranch_execz .LBB979_86
.LBB979_84:                             ; =>This Inner Loop Header: Depth=1
	s_or_b64 s[38:39], s[38:39], exec
	s_cmp_eq_u64 s[2:3], s[40:41]
	s_cbranch_scc0 .LBB979_82
; %bb.85:                               ;   in Loop: Header=BB979_84 Depth=1
                                        ; implicit-def: $vgpr18_vgpr19
                                        ; implicit-def: $vgpr20_vgpr21
	s_mov_b64 s[40:41], s[26:27]
	s_branch .LBB979_83
.LBB979_86:
	s_or_b64 exec, exec, s[8:9]
	v_cmp_gt_i64_e32 vcc, s[26:27], v[22:23]
	s_orn2_b64 s[38:39], vcc, exec
.LBB979_87:
	s_or_b64 exec, exec, s[18:19]
.LBB979_88:
	s_and_b64 s[18:19], s[38:39], exec
.LBB979_89:
	s_or_b64 exec, exec, s[36:37]
	v_or_b32_e32 v18, 1, v1
	v_cmp_gt_u32_e32 vcc, s7, v18
	s_mov_b64 s[2:3], 0
	s_and_saveexec_b64 s[36:37], vcc
	s_cbranch_execz .LBB979_100
; %bb.90:
	s_and_b64 vcc, exec, s[0:1]
	s_mov_b64 s[40:41], 0
	s_cbranch_vccnz .LBB979_99
; %bb.91:
	s_waitcnt lgkmcnt(0)
	v_mul_lo_u32 v20, v15, s26
	v_mul_lo_u32 v21, v14, s27
	v_mad_u64_u32 v[18:19], s[2:3], v14, s26, 0
	v_add3_u32 v19, v19, v21, v20
	v_mul_lo_u32 v20, v17, s26
	v_mul_lo_u32 v21, v16, s27
	v_mad_u64_u32 v[24:25], s[2:3], v16, s26, 0
	v_add3_u32 v25, v25, v21, v20
	v_lshlrev_b64 v[20:21], 2, v[18:19]
	v_mov_b32_e32 v18, s29
	v_add_co_u32_e32 v22, vcc, s28, v20
	v_addc_co_u32_e64 v23, s[2:3], v18, v21, vcc
	v_lshlrev_b64 v[18:19], 2, v[24:25]
	v_mov_b32_e32 v20, s29
	v_add_co_u32_e64 v24, s[2:3], s28, v18
	v_addc_co_u32_e64 v25, s[8:9], v20, v19, s[2:3]
	global_load_dword v18, v[22:23], off
	global_load_dword v20, v[24:25], off
	s_mov_b64 s[40:41], -1
	s_waitcnt vmcnt(0)
	v_cmp_eq_f32_e64 s[8:9], v18, v20
	s_and_saveexec_b64 s[38:39], s[8:9]
	s_cbranch_execz .LBB979_98
; %bb.92:
	v_mov_b32_e32 v18, s29
	v_addc_co_u32_e64 v19, s[2:3], v19, v18, s[2:3]
	v_add_co_u32_e64 v18, s[2:3], 4, v24
	v_mov_b32_e32 v20, s29
	v_addc_co_u32_e64 v19, s[2:3], 0, v19, s[2:3]
	v_addc_co_u32_e32 v21, vcc, v21, v20, vcc
	v_add_co_u32_e32 v20, vcc, 4, v22
	s_add_u32 s2, s26, -1
	v_addc_co_u32_e32 v21, vcc, 0, v21, vcc
	s_addc_u32 s3, s27, -1
	s_mov_b64 s[8:9], 0
	s_mov_b64 s[42:43], 0
                                        ; implicit-def: $sgpr40_sgpr41
	s_branch .LBB979_95
.LBB979_93:                             ;   in Loop: Header=BB979_95 Depth=1
	global_load_dword v22, v[20:21], off
	global_load_dword v23, v[18:19], off
	v_add_co_u32_e32 v18, vcc, 4, v18
	v_addc_co_u32_e32 v19, vcc, 0, v19, vcc
	v_add_co_u32_e32 v20, vcc, 4, v20
	v_addc_co_u32_e32 v21, vcc, 0, v21, vcc
	s_add_u32 s42, s42, 1
	s_addc_u32 s43, s43, 0
	s_andn2_b64 s[40:41], s[40:41], exec
	s_waitcnt vmcnt(0)
	v_cmp_neq_f32_e32 vcc, v22, v23
	s_and_b64 s[44:45], vcc, exec
	s_or_b64 s[40:41], s[40:41], s[44:45]
.LBB979_94:                             ;   in Loop: Header=BB979_95 Depth=1
	s_and_b64 s[44:45], exec, s[40:41]
	s_or_b64 s[8:9], s[44:45], s[8:9]
	v_pk_mov_b32 v[22:23], s[42:43], s[42:43] op_sel:[0,1]
	s_andn2_b64 exec, exec, s[8:9]
	s_cbranch_execz .LBB979_97
.LBB979_95:                             ; =>This Inner Loop Header: Depth=1
	s_or_b64 s[40:41], s[40:41], exec
	s_cmp_eq_u64 s[2:3], s[42:43]
	s_cbranch_scc0 .LBB979_93
; %bb.96:                               ;   in Loop: Header=BB979_95 Depth=1
                                        ; implicit-def: $vgpr18_vgpr19
                                        ; implicit-def: $vgpr20_vgpr21
	s_mov_b64 s[42:43], s[26:27]
	s_branch .LBB979_94
.LBB979_97:
	s_or_b64 exec, exec, s[8:9]
	v_cmp_gt_i64_e32 vcc, s[26:27], v[22:23]
	s_orn2_b64 s[40:41], vcc, exec
.LBB979_98:
	s_or_b64 exec, exec, s[38:39]
.LBB979_99:
	s_and_b64 s[2:3], s[40:41], exec
.LBB979_100:
	s_or_b64 exec, exec, s[36:37]
	v_cmp_ne_u32_e32 vcc, 0, v0
	s_waitcnt lgkmcnt(0)
	v_pk_mov_b32 v[18:19], s[12:13], s[12:13] op_sel:[0,1]
	s_barrier
	s_and_saveexec_b64 s[8:9], vcc
	s_cbranch_execz .LBB979_102
; %bb.101:
	v_add_u32_e32 v18, -8, v26
	ds_read_b64 v[18:19], v18
.LBB979_102:
	s_or_b64 exec, exec, s[8:9]
	v_cndmask_b32_e64 v21, 0, 1, s[14:15]
	v_cndmask_b32_e64 v20, 0, 1, s[18:19]
	;; [unrolled: 1-line block ×3, first 2 shown]
	v_lshlrev_b16_e32 v21, 8, v21
	v_lshlrev_b16_e32 v26, 8, v22
	v_or_b32_sdwa v27, v20, v21 dst_sel:WORD_1 dst_unused:UNUSED_PAD src0_sel:DWORD src1_sel:DWORD
	v_cmp_gt_u32_e32 vcc, s7, v1
	s_mov_b64 s[18:19], 0
	s_and_saveexec_b64 s[8:9], vcc
	s_cbranch_execz .LBB979_113
; %bb.103:
	s_and_b64 vcc, exec, s[0:1]
	s_mov_b64 s[14:15], 0
	s_cbranch_vccnz .LBB979_112
; %bb.104:
	s_waitcnt lgkmcnt(0)
	v_mul_lo_u32 v20, v19, s26
	v_mul_lo_u32 v21, v18, s27
	v_mad_u64_u32 v[18:19], s[0:1], v18, s26, 0
	v_add3_u32 v19, v19, v21, v20
	v_mul_lo_u32 v20, v15, s26
	v_mul_lo_u32 v21, v14, s27
	v_mad_u64_u32 v[24:25], s[0:1], v14, s26, 0
	v_add3_u32 v25, v25, v21, v20
	v_lshlrev_b64 v[20:21], 2, v[18:19]
	v_mov_b32_e32 v18, s29
	v_add_co_u32_e32 v22, vcc, s28, v20
	v_addc_co_u32_e64 v23, s[0:1], v18, v21, vcc
	v_lshlrev_b64 v[18:19], 2, v[24:25]
	v_mov_b32_e32 v20, s29
	v_add_co_u32_e64 v24, s[0:1], s28, v18
	v_addc_co_u32_e64 v25, s[2:3], v20, v19, s[0:1]
	global_load_dword v18, v[22:23], off
	global_load_dword v20, v[24:25], off
	s_mov_b64 s[14:15], -1
	s_waitcnt vmcnt(0)
	v_cmp_eq_f32_e64 s[2:3], v18, v20
	s_and_saveexec_b64 s[12:13], s[2:3]
	s_cbranch_execz .LBB979_111
; %bb.105:
	v_mov_b32_e32 v18, s29
	v_addc_co_u32_e64 v19, s[0:1], v19, v18, s[0:1]
	v_add_co_u32_e64 v18, s[0:1], 4, v24
	v_mov_b32_e32 v20, s29
	v_addc_co_u32_e64 v19, s[0:1], 0, v19, s[0:1]
	v_addc_co_u32_e32 v21, vcc, v21, v20, vcc
	v_add_co_u32_e32 v20, vcc, 4, v22
	s_add_u32 s0, s26, -1
	v_addc_co_u32_e32 v21, vcc, 0, v21, vcc
	s_addc_u32 s1, s27, -1
	s_mov_b64 s[2:3], 0
                                        ; implicit-def: $sgpr14_sgpr15
	s_branch .LBB979_108
.LBB979_106:                            ;   in Loop: Header=BB979_108 Depth=1
	global_load_dword v22, v[20:21], off
	global_load_dword v23, v[18:19], off
	v_add_co_u32_e32 v18, vcc, 4, v18
	v_addc_co_u32_e32 v19, vcc, 0, v19, vcc
	v_add_co_u32_e32 v20, vcc, 4, v20
	v_addc_co_u32_e32 v21, vcc, 0, v21, vcc
	s_add_u32 s18, s18, 1
	s_addc_u32 s19, s19, 0
	s_andn2_b64 s[14:15], s[14:15], exec
	s_waitcnt vmcnt(0)
	v_cmp_neq_f32_e32 vcc, v22, v23
	s_and_b64 s[36:37], vcc, exec
	s_or_b64 s[14:15], s[14:15], s[36:37]
.LBB979_107:                            ;   in Loop: Header=BB979_108 Depth=1
	s_and_b64 s[36:37], exec, s[14:15]
	s_or_b64 s[2:3], s[36:37], s[2:3]
	v_pk_mov_b32 v[22:23], s[18:19], s[18:19] op_sel:[0,1]
	s_andn2_b64 exec, exec, s[2:3]
	s_cbranch_execz .LBB979_110
.LBB979_108:                            ; =>This Inner Loop Header: Depth=1
	s_or_b64 s[14:15], s[14:15], exec
	s_cmp_eq_u64 s[0:1], s[18:19]
	s_cbranch_scc0 .LBB979_106
; %bb.109:                              ;   in Loop: Header=BB979_108 Depth=1
                                        ; implicit-def: $vgpr18_vgpr19
                                        ; implicit-def: $vgpr20_vgpr21
	s_mov_b64 s[18:19], s[26:27]
	s_branch .LBB979_107
.LBB979_110:
	s_or_b64 exec, exec, s[2:3]
	v_cmp_gt_i64_e32 vcc, s[26:27], v[22:23]
	s_orn2_b64 s[14:15], vcc, exec
.LBB979_111:
	s_or_b64 exec, exec, s[12:13]
.LBB979_112:
	s_and_b64 s[18:19], s[14:15], exec
.LBB979_113:
	s_or_b64 exec, exec, s[8:9]
	v_or_b32_e32 v28, v26, v27
.LBB979_114:
	s_waitcnt lgkmcnt(0)
	s_mov_b64 s[12:13], -1
	s_cbranch_execnz .LBB979_203
.LBB979_115:
	v_lshlrev_b32_e32 v29, 3, v0
	s_mov_b64 s[18:19], 0
	v_cmp_gt_i64_e64 s[14:15], s[26:27], 0
	s_and_b64 vcc, exec, s[34:35]
	ds_write_b64 v29, v[12:13]
	s_cbranch_vccz .LBB979_123
; %bb.116:
	v_mul_lo_u32 v20, v11, s26
	v_mul_lo_u32 v21, v10, s27
	v_mad_u64_u32 v[18:19], s[0:1], v10, s26, 0
	v_add3_u32 v19, v19, v21, v20
	v_cndmask_b32_e64 v20, 0, 1, s[14:15]
	v_cmp_ne_u32_e64 s[0:1], 1, v20
	s_andn2_b64 vcc, exec, s[14:15]
	v_lshlrev_b64 v[18:19], 2, v[18:19]
	s_cbranch_vccnz .LBB979_126
; %bb.117:
	v_mul_lo_u32 v22, v13, s26
	v_mul_lo_u32 v23, v12, s27
	v_mad_u64_u32 v[20:21], s[2:3], v12, s26, 0
	v_add3_u32 v21, v21, v23, v22
	v_mov_b32_e32 v23, s29
	v_add_co_u32_e32 v22, vcc, s28, v18
	v_addc_co_u32_e64 v23, s[2:3], v23, v19, vcc
	v_lshlrev_b64 v[20:21], 2, v[20:21]
	v_mov_b32_e32 v25, s29
	v_add_co_u32_e64 v24, s[2:3], s28, v20
	v_addc_co_u32_e64 v25, s[8:9], v25, v21, s[2:3]
	global_load_dword v20, v[22:23], off
	global_load_dword v26, v[24:25], off
	s_mov_b64 s[18:19], -1
	s_waitcnt vmcnt(0)
	v_cmp_eq_f32_e64 s[8:9], v20, v26
	s_and_saveexec_b64 s[36:37], s[8:9]
	s_cbranch_execz .LBB979_125
; %bb.118:
	v_mov_b32_e32 v20, s29
	v_addc_co_u32_e64 v21, s[2:3], v21, v20, s[2:3]
	v_add_co_u32_e64 v20, s[2:3], 4, v24
	v_mov_b32_e32 v23, s29
	v_addc_co_u32_e64 v21, s[2:3], 0, v21, s[2:3]
	v_addc_co_u32_e32 v23, vcc, v19, v23, vcc
	v_add_co_u32_e32 v22, vcc, 4, v22
	s_add_u32 s2, s26, -1
	v_addc_co_u32_e32 v23, vcc, 0, v23, vcc
	s_addc_u32 s3, s27, -1
	s_mov_b64 s[8:9], 0
	s_mov_b64 s[38:39], 0
                                        ; implicit-def: $sgpr18_sgpr19
	s_branch .LBB979_121
.LBB979_119:                            ;   in Loop: Header=BB979_121 Depth=1
	global_load_dword v24, v[22:23], off
	global_load_dword v25, v[20:21], off
	v_add_co_u32_e32 v20, vcc, 4, v20
	v_addc_co_u32_e32 v21, vcc, 0, v21, vcc
	v_add_co_u32_e32 v22, vcc, 4, v22
	v_addc_co_u32_e32 v23, vcc, 0, v23, vcc
	s_add_u32 s38, s38, 1
	s_addc_u32 s39, s39, 0
	s_andn2_b64 s[18:19], s[18:19], exec
	s_waitcnt vmcnt(0)
	v_cmp_neq_f32_e32 vcc, v24, v25
	s_and_b64 s[40:41], vcc, exec
	s_or_b64 s[18:19], s[18:19], s[40:41]
.LBB979_120:                            ;   in Loop: Header=BB979_121 Depth=1
	s_and_b64 s[40:41], exec, s[18:19]
	s_or_b64 s[8:9], s[40:41], s[8:9]
	v_pk_mov_b32 v[24:25], s[38:39], s[38:39] op_sel:[0,1]
	s_andn2_b64 exec, exec, s[8:9]
	s_cbranch_execz .LBB979_124
.LBB979_121:                            ; =>This Inner Loop Header: Depth=1
	s_or_b64 s[18:19], s[18:19], exec
	s_cmp_eq_u64 s[2:3], s[38:39]
	s_cbranch_scc0 .LBB979_119
; %bb.122:                              ;   in Loop: Header=BB979_121 Depth=1
                                        ; implicit-def: $vgpr20_vgpr21
                                        ; implicit-def: $vgpr22_vgpr23
	s_mov_b64 s[38:39], s[26:27]
	s_branch .LBB979_120
.LBB979_123:
                                        ; implicit-def: $sgpr18_sgpr19
                                        ; implicit-def: $vgpr28
	s_cbranch_execnz .LBB979_156
	s_branch .LBB979_203
.LBB979_124:
	s_or_b64 exec, exec, s[8:9]
	v_cmp_gt_i64_e32 vcc, s[26:27], v[24:25]
	s_orn2_b64 s[18:19], vcc, exec
.LBB979_125:
	s_or_b64 exec, exec, s[36:37]
.LBB979_126:
	v_mul_lo_u32 v22, v17, s26
	v_mul_lo_u32 v23, v16, s27
	v_mad_u64_u32 v[20:21], s[2:3], v16, s26, 0
	v_add3_u32 v21, v21, v23, v22
	s_mov_b64 s[36:37], 0
	s_and_b64 vcc, exec, s[0:1]
	v_lshlrev_b64 v[20:21], 2, v[20:21]
	s_mov_b64 s[38:39], 0
	s_cbranch_vccnz .LBB979_135
; %bb.127:
	v_mov_b32_e32 v23, s29
	v_add_co_u32_e32 v22, vcc, s28, v20
	v_addc_co_u32_e64 v23, s[2:3], v23, v21, vcc
	v_mov_b32_e32 v25, s29
	v_add_co_u32_e64 v24, s[2:3], s28, v18
	v_addc_co_u32_e64 v25, s[8:9], v25, v19, s[2:3]
	global_load_dword v18, v[22:23], off
	global_load_dword v26, v[24:25], off
	s_mov_b64 s[38:39], -1
	s_waitcnt vmcnt(0)
	v_cmp_eq_f32_e64 s[8:9], v18, v26
	s_and_saveexec_b64 s[40:41], s[8:9]
	s_cbranch_execz .LBB979_134
; %bb.128:
	v_mov_b32_e32 v18, s29
	v_addc_co_u32_e64 v19, s[2:3], v19, v18, s[2:3]
	v_add_co_u32_e64 v18, s[2:3], 4, v24
	v_mov_b32_e32 v23, s29
	v_addc_co_u32_e64 v19, s[2:3], 0, v19, s[2:3]
	v_addc_co_u32_e32 v23, vcc, v21, v23, vcc
	v_add_co_u32_e32 v22, vcc, 4, v22
	s_add_u32 s2, s26, -1
	v_addc_co_u32_e32 v23, vcc, 0, v23, vcc
	s_addc_u32 s3, s27, -1
	s_mov_b64 s[8:9], 0
	s_mov_b64 s[42:43], 0
                                        ; implicit-def: $sgpr38_sgpr39
	s_branch .LBB979_131
.LBB979_129:                            ;   in Loop: Header=BB979_131 Depth=1
	global_load_dword v24, v[22:23], off
	global_load_dword v25, v[18:19], off
	v_add_co_u32_e32 v18, vcc, 4, v18
	v_addc_co_u32_e32 v19, vcc, 0, v19, vcc
	v_add_co_u32_e32 v22, vcc, 4, v22
	v_addc_co_u32_e32 v23, vcc, 0, v23, vcc
	s_add_u32 s42, s42, 1
	s_addc_u32 s43, s43, 0
	s_andn2_b64 s[38:39], s[38:39], exec
	s_waitcnt vmcnt(0)
	v_cmp_neq_f32_e32 vcc, v24, v25
	s_and_b64 s[44:45], vcc, exec
	s_or_b64 s[38:39], s[38:39], s[44:45]
.LBB979_130:                            ;   in Loop: Header=BB979_131 Depth=1
	s_and_b64 s[44:45], exec, s[38:39]
	s_or_b64 s[8:9], s[44:45], s[8:9]
	v_pk_mov_b32 v[24:25], s[42:43], s[42:43] op_sel:[0,1]
	s_andn2_b64 exec, exec, s[8:9]
	s_cbranch_execz .LBB979_133
.LBB979_131:                            ; =>This Inner Loop Header: Depth=1
	s_or_b64 s[38:39], s[38:39], exec
	s_cmp_eq_u64 s[2:3], s[42:43]
	s_cbranch_scc0 .LBB979_129
; %bb.132:                              ;   in Loop: Header=BB979_131 Depth=1
                                        ; implicit-def: $vgpr18_vgpr19
                                        ; implicit-def: $vgpr22_vgpr23
	s_mov_b64 s[42:43], s[26:27]
	s_branch .LBB979_130
.LBB979_133:
	s_or_b64 exec, exec, s[8:9]
	v_cmp_gt_i64_e32 vcc, s[26:27], v[24:25]
	s_orn2_b64 s[38:39], vcc, exec
.LBB979_134:
	s_or_b64 exec, exec, s[40:41]
.LBB979_135:
	v_mul_lo_u32 v22, v15, s26
	v_mul_lo_u32 v23, v14, s27
	v_mad_u64_u32 v[18:19], s[2:3], v14, s26, 0
	s_and_b64 vcc, exec, s[0:1]
	v_add3_u32 v19, v19, v23, v22
	s_cbranch_vccnz .LBB979_144
; %bb.136:
	v_lshlrev_b64 v[22:23], 2, v[18:19]
	v_mov_b32_e32 v25, s29
	v_add_co_u32_e32 v24, vcc, s28, v22
	v_addc_co_u32_e64 v25, s[2:3], v25, v23, vcc
	v_mov_b32_e32 v22, s29
	v_add_co_u32_e64 v26, s[2:3], s28, v20
	v_addc_co_u32_e64 v27, s[8:9], v22, v21, s[2:3]
	global_load_dword v20, v[24:25], off
	global_load_dword v22, v[26:27], off
	s_mov_b64 s[36:37], -1
	s_waitcnt vmcnt(0)
	v_cmp_eq_f32_e64 s[8:9], v20, v22
	s_and_saveexec_b64 s[40:41], s[8:9]
	s_cbranch_execz .LBB979_143
; %bb.137:
	v_mov_b32_e32 v20, s29
	v_addc_co_u32_e64 v21, s[2:3], v21, v20, s[2:3]
	v_add_co_u32_e64 v20, s[2:3], 4, v26
	v_mov_b32_e32 v22, s29
	v_addc_co_u32_e64 v21, s[2:3], 0, v21, s[2:3]
	v_addc_co_u32_e32 v23, vcc, v23, v22, vcc
	v_add_co_u32_e32 v22, vcc, 4, v24
	s_add_u32 s2, s26, -1
	v_addc_co_u32_e32 v23, vcc, 0, v23, vcc
	s_addc_u32 s3, s27, -1
	s_mov_b64 s[8:9], 0
	s_mov_b64 s[42:43], 0
                                        ; implicit-def: $sgpr36_sgpr37
	s_branch .LBB979_140
.LBB979_138:                            ;   in Loop: Header=BB979_140 Depth=1
	global_load_dword v24, v[22:23], off
	global_load_dword v25, v[20:21], off
	v_add_co_u32_e32 v20, vcc, 4, v20
	v_addc_co_u32_e32 v21, vcc, 0, v21, vcc
	v_add_co_u32_e32 v22, vcc, 4, v22
	v_addc_co_u32_e32 v23, vcc, 0, v23, vcc
	s_add_u32 s42, s42, 1
	s_addc_u32 s43, s43, 0
	s_andn2_b64 s[36:37], s[36:37], exec
	s_waitcnt vmcnt(0)
	v_cmp_neq_f32_e32 vcc, v24, v25
	s_and_b64 s[44:45], vcc, exec
	s_or_b64 s[36:37], s[36:37], s[44:45]
.LBB979_139:                            ;   in Loop: Header=BB979_140 Depth=1
	s_and_b64 s[44:45], exec, s[36:37]
	s_or_b64 s[8:9], s[44:45], s[8:9]
	v_pk_mov_b32 v[24:25], s[42:43], s[42:43] op_sel:[0,1]
	s_andn2_b64 exec, exec, s[8:9]
	s_cbranch_execz .LBB979_142
.LBB979_140:                            ; =>This Inner Loop Header: Depth=1
	s_or_b64 s[36:37], s[36:37], exec
	s_cmp_eq_u64 s[2:3], s[42:43]
	s_cbranch_scc0 .LBB979_138
; %bb.141:                              ;   in Loop: Header=BB979_140 Depth=1
                                        ; implicit-def: $vgpr20_vgpr21
                                        ; implicit-def: $vgpr22_vgpr23
	s_mov_b64 s[42:43], s[26:27]
	s_branch .LBB979_139
.LBB979_142:
	s_or_b64 exec, exec, s[8:9]
	v_cmp_gt_i64_e32 vcc, s[26:27], v[24:25]
	s_orn2_b64 s[36:37], vcc, exec
.LBB979_143:
	s_or_b64 exec, exec, s[40:41]
.LBB979_144:
	v_cndmask_b32_e64 v21, 0, 1, s[18:19]
	v_cndmask_b32_e64 v22, 0, 1, s[36:37]
	;; [unrolled: 1-line block ×3, first 2 shown]
	v_lshlrev_b16_e32 v22, 8, v22
	v_lshlrev_b16_e32 v21, 8, v21
	v_or_b32_e32 v22, 1, v22
	v_or_b32_sdwa v20, v20, v21 dst_sel:WORD_1 dst_unused:UNUSED_PAD src0_sel:DWORD src1_sel:DWORD
	v_or_b32_sdwa v28, v22, v20 dst_sel:DWORD dst_unused:UNUSED_PAD src0_sel:WORD_0 src1_sel:DWORD
	v_cmp_ne_u32_e32 vcc, 0, v0
	s_waitcnt lgkmcnt(0)
	s_barrier
	s_waitcnt lgkmcnt(0)
                                        ; implicit-def: $sgpr18_sgpr19
	s_and_saveexec_b64 s[2:3], vcc
	s_xor_b64 s[8:9], exec, s[2:3]
	s_cbranch_execz .LBB979_155
; %bb.145:
	s_and_b64 vcc, exec, s[0:1]
	s_mov_b64 s[36:37], 0
	s_cbranch_vccnz .LBB979_154
; %bb.146:
	v_add_u32_e32 v20, -8, v29
	ds_read_b64 v[20:21], v20
	v_mov_b32_e32 v23, s29
	v_lshlrev_b64 v[18:19], 2, v[18:19]
	s_mov_b64 s[36:37], -1
	s_waitcnt lgkmcnt(0)
	v_mul_lo_u32 v22, v21, s26
	v_mul_lo_u32 v24, v20, s27
	v_mad_u64_u32 v[20:21], s[0:1], v20, s26, 0
	v_add3_u32 v21, v21, v24, v22
	v_lshlrev_b64 v[20:21], 2, v[20:21]
	v_add_co_u32_e32 v22, vcc, s28, v20
	v_addc_co_u32_e64 v23, s[0:1], v23, v21, vcc
	v_mov_b32_e32 v20, s29
	v_add_co_u32_e64 v24, s[0:1], s28, v18
	v_addc_co_u32_e64 v25, s[2:3], v20, v19, s[0:1]
	global_load_dword v18, v[22:23], off
	global_load_dword v20, v[24:25], off
	s_waitcnt vmcnt(0)
	v_cmp_eq_f32_e64 s[2:3], v18, v20
	s_and_saveexec_b64 s[18:19], s[2:3]
	s_cbranch_execz .LBB979_153
; %bb.147:
	v_mov_b32_e32 v18, s29
	v_addc_co_u32_e64 v19, s[0:1], v19, v18, s[0:1]
	v_add_co_u32_e64 v18, s[0:1], 4, v24
	v_mov_b32_e32 v20, s29
	v_addc_co_u32_e64 v19, s[0:1], 0, v19, s[0:1]
	v_addc_co_u32_e32 v21, vcc, v21, v20, vcc
	v_add_co_u32_e32 v20, vcc, 4, v22
	s_add_u32 s0, s26, -1
	v_addc_co_u32_e32 v21, vcc, 0, v21, vcc
	s_addc_u32 s1, s27, -1
	s_mov_b64 s[2:3], 0
	s_mov_b64 s[38:39], 0
                                        ; implicit-def: $sgpr36_sgpr37
	s_branch .LBB979_150
.LBB979_148:                            ;   in Loop: Header=BB979_150 Depth=1
	global_load_dword v22, v[20:21], off
	global_load_dword v23, v[18:19], off
	v_add_co_u32_e32 v18, vcc, 4, v18
	v_addc_co_u32_e32 v19, vcc, 0, v19, vcc
	v_add_co_u32_e32 v20, vcc, 4, v20
	v_addc_co_u32_e32 v21, vcc, 0, v21, vcc
	s_add_u32 s38, s38, 1
	s_addc_u32 s39, s39, 0
	s_andn2_b64 s[36:37], s[36:37], exec
	s_waitcnt vmcnt(0)
	v_cmp_neq_f32_e32 vcc, v22, v23
	s_and_b64 s[40:41], vcc, exec
	s_or_b64 s[36:37], s[36:37], s[40:41]
.LBB979_149:                            ;   in Loop: Header=BB979_150 Depth=1
	s_and_b64 s[40:41], exec, s[36:37]
	s_or_b64 s[2:3], s[40:41], s[2:3]
	v_pk_mov_b32 v[22:23], s[38:39], s[38:39] op_sel:[0,1]
	s_andn2_b64 exec, exec, s[2:3]
	s_cbranch_execz .LBB979_152
.LBB979_150:                            ; =>This Inner Loop Header: Depth=1
	s_or_b64 s[36:37], s[36:37], exec
	s_cmp_eq_u64 s[0:1], s[38:39]
	s_cbranch_scc0 .LBB979_148
; %bb.151:                              ;   in Loop: Header=BB979_150 Depth=1
                                        ; implicit-def: $vgpr18_vgpr19
                                        ; implicit-def: $vgpr20_vgpr21
	s_mov_b64 s[38:39], s[26:27]
	s_branch .LBB979_149
.LBB979_152:
	s_or_b64 exec, exec, s[2:3]
	v_cmp_gt_i64_e32 vcc, s[26:27], v[22:23]
	s_orn2_b64 s[36:37], vcc, exec
.LBB979_153:
	s_or_b64 exec, exec, s[18:19]
.LBB979_154:
	s_and_b64 s[18:19], s[36:37], exec
	s_or_b64 s[12:13], s[12:13], exec
.LBB979_155:
	s_or_b64 exec, exec, s[8:9]
	s_branch .LBB979_203
.LBB979_156:
	v_or_b32_e32 v18, 3, v1
	v_cmp_gt_u32_e32 vcc, s7, v18
	s_mov_b64 s[18:19], 0
	s_mov_b64 s[8:9], 0
	s_and_saveexec_b64 s[36:37], vcc
	s_cbranch_execz .LBB979_167
; %bb.157:
	s_andn2_b64 vcc, exec, s[14:15]
	s_mov_b64 s[38:39], 0
	s_cbranch_vccnz .LBB979_166
; %bb.158:
	v_mul_lo_u32 v20, v11, s26
	v_mul_lo_u32 v21, v10, s27
	v_mad_u64_u32 v[18:19], s[0:1], v10, s26, 0
	v_add3_u32 v19, v19, v21, v20
	v_mul_lo_u32 v20, v13, s26
	v_mul_lo_u32 v21, v12, s27
	v_mad_u64_u32 v[24:25], s[0:1], v12, s26, 0
	v_add3_u32 v25, v25, v21, v20
	v_lshlrev_b64 v[20:21], 2, v[18:19]
	v_mov_b32_e32 v18, s29
	v_add_co_u32_e32 v22, vcc, s28, v20
	v_addc_co_u32_e64 v23, s[0:1], v18, v21, vcc
	v_lshlrev_b64 v[18:19], 2, v[24:25]
	v_mov_b32_e32 v20, s29
	v_add_co_u32_e64 v24, s[0:1], s28, v18
	v_addc_co_u32_e64 v25, s[2:3], v20, v19, s[0:1]
	global_load_dword v18, v[22:23], off
	global_load_dword v20, v[24:25], off
	s_mov_b64 s[38:39], -1
	s_waitcnt vmcnt(0)
	v_cmp_eq_f32_e64 s[2:3], v18, v20
	s_and_saveexec_b64 s[8:9], s[2:3]
	s_cbranch_execz .LBB979_165
; %bb.159:
	v_mov_b32_e32 v18, s29
	v_addc_co_u32_e64 v19, s[0:1], v19, v18, s[0:1]
	v_add_co_u32_e64 v18, s[0:1], 4, v24
	v_mov_b32_e32 v20, s29
	v_addc_co_u32_e64 v19, s[0:1], 0, v19, s[0:1]
	v_addc_co_u32_e32 v21, vcc, v21, v20, vcc
	v_add_co_u32_e32 v20, vcc, 4, v22
	s_add_u32 s0, s26, -1
	v_addc_co_u32_e32 v21, vcc, 0, v21, vcc
	s_addc_u32 s1, s27, -1
	s_mov_b64 s[2:3], 0
	s_mov_b64 s[40:41], 0
                                        ; implicit-def: $sgpr38_sgpr39
	s_branch .LBB979_162
.LBB979_160:                            ;   in Loop: Header=BB979_162 Depth=1
	global_load_dword v22, v[20:21], off
	global_load_dword v23, v[18:19], off
	v_add_co_u32_e32 v18, vcc, 4, v18
	v_addc_co_u32_e32 v19, vcc, 0, v19, vcc
	v_add_co_u32_e32 v20, vcc, 4, v20
	v_addc_co_u32_e32 v21, vcc, 0, v21, vcc
	s_add_u32 s40, s40, 1
	s_addc_u32 s41, s41, 0
	s_andn2_b64 s[38:39], s[38:39], exec
	s_waitcnt vmcnt(0)
	v_cmp_neq_f32_e32 vcc, v22, v23
	s_and_b64 s[42:43], vcc, exec
	s_or_b64 s[38:39], s[38:39], s[42:43]
.LBB979_161:                            ;   in Loop: Header=BB979_162 Depth=1
	s_and_b64 s[42:43], exec, s[38:39]
	s_or_b64 s[2:3], s[42:43], s[2:3]
	v_pk_mov_b32 v[22:23], s[40:41], s[40:41] op_sel:[0,1]
	s_andn2_b64 exec, exec, s[2:3]
	s_cbranch_execz .LBB979_164
.LBB979_162:                            ; =>This Inner Loop Header: Depth=1
	s_or_b64 s[38:39], s[38:39], exec
	s_cmp_eq_u64 s[0:1], s[40:41]
	s_cbranch_scc0 .LBB979_160
; %bb.163:                              ;   in Loop: Header=BB979_162 Depth=1
                                        ; implicit-def: $vgpr18_vgpr19
                                        ; implicit-def: $vgpr20_vgpr21
	s_mov_b64 s[40:41], s[26:27]
	s_branch .LBB979_161
.LBB979_164:
	s_or_b64 exec, exec, s[2:3]
	v_cmp_gt_i64_e32 vcc, s[26:27], v[22:23]
	s_orn2_b64 s[38:39], vcc, exec
.LBB979_165:
	s_or_b64 exec, exec, s[8:9]
.LBB979_166:
	s_and_b64 s[8:9], s[38:39], exec
.LBB979_167:
	s_or_b64 exec, exec, s[36:37]
	v_or_b32_e32 v18, 2, v1
	v_cmp_gt_u32_e32 vcc, s7, v18
	s_and_saveexec_b64 s[36:37], vcc
	s_cbranch_execz .LBB979_178
; %bb.168:
	s_andn2_b64 vcc, exec, s[14:15]
	s_mov_b64 s[38:39], 0
	s_cbranch_vccnz .LBB979_177
; %bb.169:
	v_mul_lo_u32 v20, v17, s26
	v_mul_lo_u32 v21, v16, s27
	v_mad_u64_u32 v[18:19], s[0:1], v16, s26, 0
	v_add3_u32 v19, v19, v21, v20
	v_mul_lo_u32 v20, v11, s26
	v_mul_lo_u32 v21, v10, s27
	v_mad_u64_u32 v[24:25], s[0:1], v10, s26, 0
	v_add3_u32 v25, v25, v21, v20
	v_lshlrev_b64 v[20:21], 2, v[18:19]
	v_mov_b32_e32 v18, s29
	v_add_co_u32_e32 v22, vcc, s28, v20
	v_addc_co_u32_e64 v23, s[0:1], v18, v21, vcc
	v_lshlrev_b64 v[18:19], 2, v[24:25]
	v_mov_b32_e32 v20, s29
	v_add_co_u32_e64 v24, s[0:1], s28, v18
	v_addc_co_u32_e64 v25, s[2:3], v20, v19, s[0:1]
	global_load_dword v18, v[22:23], off
	global_load_dword v20, v[24:25], off
	s_mov_b64 s[38:39], -1
	s_waitcnt vmcnt(0)
	v_cmp_eq_f32_e64 s[2:3], v18, v20
	s_and_saveexec_b64 s[18:19], s[2:3]
	s_cbranch_execz .LBB979_176
; %bb.170:
	v_mov_b32_e32 v18, s29
	v_addc_co_u32_e64 v19, s[0:1], v19, v18, s[0:1]
	v_add_co_u32_e64 v18, s[0:1], 4, v24
	v_mov_b32_e32 v20, s29
	v_addc_co_u32_e64 v19, s[0:1], 0, v19, s[0:1]
	v_addc_co_u32_e32 v21, vcc, v21, v20, vcc
	v_add_co_u32_e32 v20, vcc, 4, v22
	s_add_u32 s0, s26, -1
	v_addc_co_u32_e32 v21, vcc, 0, v21, vcc
	s_addc_u32 s1, s27, -1
	s_mov_b64 s[2:3], 0
	s_mov_b64 s[40:41], 0
                                        ; implicit-def: $sgpr38_sgpr39
	s_branch .LBB979_173
.LBB979_171:                            ;   in Loop: Header=BB979_173 Depth=1
	global_load_dword v22, v[20:21], off
	global_load_dword v23, v[18:19], off
	v_add_co_u32_e32 v18, vcc, 4, v18
	v_addc_co_u32_e32 v19, vcc, 0, v19, vcc
	v_add_co_u32_e32 v20, vcc, 4, v20
	v_addc_co_u32_e32 v21, vcc, 0, v21, vcc
	s_add_u32 s40, s40, 1
	s_addc_u32 s41, s41, 0
	s_andn2_b64 s[38:39], s[38:39], exec
	s_waitcnt vmcnt(0)
	v_cmp_neq_f32_e32 vcc, v22, v23
	s_and_b64 s[42:43], vcc, exec
	s_or_b64 s[38:39], s[38:39], s[42:43]
.LBB979_172:                            ;   in Loop: Header=BB979_173 Depth=1
	s_and_b64 s[42:43], exec, s[38:39]
	s_or_b64 s[2:3], s[42:43], s[2:3]
	v_pk_mov_b32 v[22:23], s[40:41], s[40:41] op_sel:[0,1]
	s_andn2_b64 exec, exec, s[2:3]
	s_cbranch_execz .LBB979_175
.LBB979_173:                            ; =>This Inner Loop Header: Depth=1
	s_or_b64 s[38:39], s[38:39], exec
	s_cmp_eq_u64 s[0:1], s[40:41]
	s_cbranch_scc0 .LBB979_171
; %bb.174:                              ;   in Loop: Header=BB979_173 Depth=1
                                        ; implicit-def: $vgpr18_vgpr19
                                        ; implicit-def: $vgpr20_vgpr21
	s_mov_b64 s[40:41], s[26:27]
	s_branch .LBB979_172
.LBB979_175:
	s_or_b64 exec, exec, s[2:3]
	v_cmp_gt_i64_e32 vcc, s[26:27], v[22:23]
	s_orn2_b64 s[38:39], vcc, exec
.LBB979_176:
	s_or_b64 exec, exec, s[18:19]
.LBB979_177:
	s_and_b64 s[18:19], s[38:39], exec
.LBB979_178:
	s_or_b64 exec, exec, s[36:37]
	v_or_b32_e32 v18, 1, v1
	v_cmp_gt_u32_e32 vcc, s7, v18
	s_mov_b64 s[0:1], 0
	s_and_saveexec_b64 s[36:37], vcc
	s_cbranch_execz .LBB979_189
; %bb.179:
	s_andn2_b64 vcc, exec, s[14:15]
	s_mov_b64 s[40:41], 0
	s_cbranch_vccnz .LBB979_188
; %bb.180:
	v_mul_lo_u32 v20, v15, s26
	v_mul_lo_u32 v21, v14, s27
	v_mad_u64_u32 v[18:19], s[0:1], v14, s26, 0
	v_add3_u32 v19, v19, v21, v20
	v_mul_lo_u32 v20, v17, s26
	v_mul_lo_u32 v21, v16, s27
	v_mad_u64_u32 v[24:25], s[0:1], v16, s26, 0
	v_add3_u32 v25, v25, v21, v20
	v_lshlrev_b64 v[20:21], 2, v[18:19]
	v_mov_b32_e32 v18, s29
	v_add_co_u32_e32 v22, vcc, s28, v20
	v_addc_co_u32_e64 v23, s[0:1], v18, v21, vcc
	v_lshlrev_b64 v[18:19], 2, v[24:25]
	v_mov_b32_e32 v20, s29
	v_add_co_u32_e64 v24, s[0:1], s28, v18
	v_addc_co_u32_e64 v25, s[2:3], v20, v19, s[0:1]
	global_load_dword v18, v[22:23], off
	global_load_dword v20, v[24:25], off
	s_mov_b64 s[40:41], -1
	s_waitcnt vmcnt(0)
	v_cmp_eq_f32_e64 s[2:3], v18, v20
	s_and_saveexec_b64 s[38:39], s[2:3]
	s_cbranch_execz .LBB979_187
; %bb.181:
	v_mov_b32_e32 v18, s29
	v_addc_co_u32_e64 v19, s[0:1], v19, v18, s[0:1]
	v_add_co_u32_e64 v18, s[0:1], 4, v24
	v_mov_b32_e32 v20, s29
	v_addc_co_u32_e64 v19, s[0:1], 0, v19, s[0:1]
	v_addc_co_u32_e32 v21, vcc, v21, v20, vcc
	v_add_co_u32_e32 v20, vcc, 4, v22
	s_add_u32 s0, s26, -1
	v_addc_co_u32_e32 v21, vcc, 0, v21, vcc
	s_addc_u32 s1, s27, -1
	s_mov_b64 s[2:3], 0
	s_mov_b64 s[42:43], 0
                                        ; implicit-def: $sgpr40_sgpr41
	s_branch .LBB979_184
.LBB979_182:                            ;   in Loop: Header=BB979_184 Depth=1
	global_load_dword v22, v[20:21], off
	global_load_dword v23, v[18:19], off
	v_add_co_u32_e32 v18, vcc, 4, v18
	v_addc_co_u32_e32 v19, vcc, 0, v19, vcc
	v_add_co_u32_e32 v20, vcc, 4, v20
	v_addc_co_u32_e32 v21, vcc, 0, v21, vcc
	s_add_u32 s42, s42, 1
	s_addc_u32 s43, s43, 0
	s_andn2_b64 s[40:41], s[40:41], exec
	s_waitcnt vmcnt(0)
	v_cmp_neq_f32_e32 vcc, v22, v23
	s_and_b64 s[44:45], vcc, exec
	s_or_b64 s[40:41], s[40:41], s[44:45]
.LBB979_183:                            ;   in Loop: Header=BB979_184 Depth=1
	s_and_b64 s[44:45], exec, s[40:41]
	s_or_b64 s[2:3], s[44:45], s[2:3]
	v_pk_mov_b32 v[22:23], s[42:43], s[42:43] op_sel:[0,1]
	s_andn2_b64 exec, exec, s[2:3]
	s_cbranch_execz .LBB979_186
.LBB979_184:                            ; =>This Inner Loop Header: Depth=1
	s_or_b64 s[40:41], s[40:41], exec
	s_cmp_eq_u64 s[0:1], s[42:43]
	s_cbranch_scc0 .LBB979_182
; %bb.185:                              ;   in Loop: Header=BB979_184 Depth=1
                                        ; implicit-def: $vgpr18_vgpr19
                                        ; implicit-def: $vgpr20_vgpr21
	s_mov_b64 s[42:43], s[26:27]
	s_branch .LBB979_183
.LBB979_186:
	s_or_b64 exec, exec, s[2:3]
	v_cmp_gt_i64_e32 vcc, s[26:27], v[22:23]
	s_orn2_b64 s[40:41], vcc, exec
.LBB979_187:
	s_or_b64 exec, exec, s[38:39]
.LBB979_188:
	s_and_b64 s[0:1], s[40:41], exec
.LBB979_189:
	s_or_b64 exec, exec, s[36:37]
	v_cndmask_b32_e64 v19, 0, 1, s[8:9]
	v_cndmask_b32_e64 v20, 0, 1, s[0:1]
	;; [unrolled: 1-line block ×3, first 2 shown]
	v_lshlrev_b16_e32 v20, 8, v20
	v_lshlrev_b16_e32 v19, 8, v19
	v_or_b32_e32 v20, 1, v20
	v_or_b32_sdwa v18, v18, v19 dst_sel:WORD_1 dst_unused:UNUSED_PAD src0_sel:DWORD src1_sel:DWORD
	v_or_b32_sdwa v28, v20, v18 dst_sel:DWORD dst_unused:UNUSED_PAD src0_sel:WORD_0 src1_sel:DWORD
	v_cmp_ne_u32_e32 vcc, 0, v0
	s_waitcnt lgkmcnt(0)
	s_barrier
	s_waitcnt lgkmcnt(0)
                                        ; implicit-def: $sgpr18_sgpr19
	s_and_saveexec_b64 s[8:9], vcc
	s_cbranch_execz .LBB979_202
; %bb.190:
	v_cmp_gt_u32_e32 vcc, s7, v1
	s_mov_b64 s[0:1], 0
	s_and_saveexec_b64 s[18:19], vcc
	s_cbranch_execz .LBB979_201
; %bb.191:
	s_andn2_b64 vcc, exec, s[14:15]
	s_mov_b64 s[36:37], 0
	s_cbranch_vccnz .LBB979_200
; %bb.192:
	v_add_u32_e32 v18, -8, v29
	ds_read_b64 v[18:19], v18
	v_mul_lo_u32 v20, v15, s26
	v_mad_u64_u32 v[24:25], s[0:1], v14, s26, 0
	s_mov_b64 s[36:37], -1
	s_waitcnt lgkmcnt(0)
	v_mul_lo_u32 v21, v19, s26
	v_mul_lo_u32 v22, v18, s27
	v_mad_u64_u32 v[18:19], s[0:1], v18, s26, 0
	v_add3_u32 v19, v19, v22, v21
	v_mul_lo_u32 v21, v14, s27
	v_add3_u32 v25, v25, v21, v20
	v_lshlrev_b64 v[20:21], 2, v[18:19]
	v_mov_b32_e32 v18, s29
	v_add_co_u32_e32 v22, vcc, s28, v20
	v_addc_co_u32_e64 v23, s[0:1], v18, v21, vcc
	v_lshlrev_b64 v[18:19], 2, v[24:25]
	v_mov_b32_e32 v20, s29
	v_add_co_u32_e64 v24, s[0:1], s28, v18
	v_addc_co_u32_e64 v25, s[2:3], v20, v19, s[0:1]
	global_load_dword v18, v[22:23], off
	global_load_dword v20, v[24:25], off
	s_waitcnt vmcnt(0)
	v_cmp_eq_f32_e64 s[2:3], v18, v20
	s_and_saveexec_b64 s[14:15], s[2:3]
	s_cbranch_execz .LBB979_199
; %bb.193:
	v_mov_b32_e32 v18, s29
	v_addc_co_u32_e64 v19, s[0:1], v19, v18, s[0:1]
	v_add_co_u32_e64 v18, s[0:1], 4, v24
	v_mov_b32_e32 v20, s29
	v_addc_co_u32_e64 v19, s[0:1], 0, v19, s[0:1]
	v_addc_co_u32_e32 v21, vcc, v21, v20, vcc
	v_add_co_u32_e32 v20, vcc, 4, v22
	s_add_u32 s0, s26, -1
	v_addc_co_u32_e32 v21, vcc, 0, v21, vcc
	s_addc_u32 s1, s27, -1
	s_mov_b64 s[2:3], 0
	s_mov_b64 s[36:37], 0
                                        ; implicit-def: $sgpr28_sgpr29
	s_branch .LBB979_196
.LBB979_194:                            ;   in Loop: Header=BB979_196 Depth=1
	global_load_dword v22, v[20:21], off
	global_load_dword v23, v[18:19], off
	v_add_co_u32_e32 v18, vcc, 4, v18
	v_addc_co_u32_e32 v19, vcc, 0, v19, vcc
	v_add_co_u32_e32 v20, vcc, 4, v20
	v_addc_co_u32_e32 v21, vcc, 0, v21, vcc
	s_add_u32 s36, s36, 1
	s_addc_u32 s37, s37, 0
	s_andn2_b64 s[28:29], s[28:29], exec
	s_waitcnt vmcnt(0)
	v_cmp_neq_f32_e32 vcc, v22, v23
	s_and_b64 s[38:39], vcc, exec
	s_or_b64 s[28:29], s[28:29], s[38:39]
.LBB979_195:                            ;   in Loop: Header=BB979_196 Depth=1
	s_and_b64 s[38:39], exec, s[28:29]
	s_or_b64 s[2:3], s[38:39], s[2:3]
	v_pk_mov_b32 v[22:23], s[36:37], s[36:37] op_sel:[0,1]
	s_andn2_b64 exec, exec, s[2:3]
	s_cbranch_execz .LBB979_198
.LBB979_196:                            ; =>This Inner Loop Header: Depth=1
	s_or_b64 s[28:29], s[28:29], exec
	s_cmp_eq_u64 s[0:1], s[36:37]
	s_cbranch_scc0 .LBB979_194
; %bb.197:                              ;   in Loop: Header=BB979_196 Depth=1
                                        ; implicit-def: $vgpr18_vgpr19
                                        ; implicit-def: $vgpr20_vgpr21
	s_mov_b64 s[36:37], s[26:27]
	s_branch .LBB979_195
.LBB979_198:
	s_or_b64 exec, exec, s[2:3]
	v_cmp_gt_i64_e32 vcc, s[26:27], v[22:23]
	s_orn2_b64 s[36:37], vcc, exec
.LBB979_199:
	s_or_b64 exec, exec, s[14:15]
.LBB979_200:
	s_and_b64 s[0:1], s[36:37], exec
.LBB979_201:
	s_or_b64 exec, exec, s[18:19]
	s_and_b64 s[18:19], s[0:1], exec
	s_or_b64 s[12:13], s[12:13], exec
.LBB979_202:
	s_or_b64 exec, exec, s[8:9]
.LBB979_203:
	s_and_saveexec_b64 s[0:1], s[12:13]
; %bb.204:
	v_and_b32_e32 v18, 0xffffff00, v28
	v_cndmask_b32_e64 v19, 0, 1, s[18:19]
	v_or_b32_e32 v18, v19, v18
	v_and_b32_e32 v18, 0xffff, v18
	s_mov_b32 s2, 0xffff0000
	v_and_or_b32 v28, v28, s2, v18
; %bb.205:
	s_or_b64 exec, exec, s[0:1]
	s_andn2_b64 vcc, exec, s[10:11]
	s_cbranch_vccnz .LBB979_207
; %bb.206:
	v_cmp_gt_u32_e32 vcc, s7, v1
	v_cndmask_b32_e32 v18, 0, v28, vcc
	v_or_b32_e32 v19, 1, v1
	v_and_b32_e32 v18, 0xff, v18
	v_cmp_gt_u32_e32 vcc, s7, v19
	v_cndmask_b32_e32 v18, v18, v28, vcc
	v_or_b32_e32 v19, 2, v1
	v_and_b32_e32 v18, 0xffff, v18
	;; [unrolled: 4-line block ×3, first 2 shown]
	v_cmp_gt_u32_e32 vcc, s7, v19
	v_cndmask_b32_e32 v28, v18, v28, vcc
.LBB979_207:
	v_bfe_u32 v30, v28, 16, 8
	v_lshrrev_b32_e32 v29, 24, v28
	v_add_u32_sdwa v18, v28, v28 dst_sel:DWORD dst_unused:UNUSED_PAD src0_sel:BYTE_1 src1_sel:BYTE_0
	v_add3_u32 v33, v18, v30, v29
	v_mbcnt_lo_u32_b32 v18, -1, 0
	v_mbcnt_hi_u32_b32 v31, -1, v18
	v_and_b32_e32 v18, 15, v31
	v_cmp_eq_u32_e64 s[14:15], 0, v18
	v_cmp_lt_u32_e64 s[12:13], 1, v18
	v_cmp_lt_u32_e64 s[10:11], 3, v18
	;; [unrolled: 1-line block ×3, first 2 shown]
	v_and_b32_e32 v18, 16, v31
	v_cmp_eq_u32_e64 s[18:19], 0, v18
	v_or_b32_e32 v18, 63, v0
	v_cmp_lt_u32_e64 s[0:1], 31, v31
	v_lshrrev_b32_e32 v32, 6, v0
	v_cmp_eq_u32_e64 s[2:3], v18, v0
	s_and_b64 vcc, exec, s[16:17]
	s_waitcnt lgkmcnt(0)
	s_barrier
	s_cbranch_vccz .LBB979_238
; %bb.208:
	v_mov_b32_dpp v18, v33 row_shr:1 row_mask:0xf bank_mask:0xf
	v_cndmask_b32_e64 v18, v18, 0, s[14:15]
	v_add_u32_e32 v18, v18, v33
	s_nop 1
	v_mov_b32_dpp v19, v18 row_shr:2 row_mask:0xf bank_mask:0xf
	v_cndmask_b32_e64 v19, 0, v19, s[12:13]
	v_add_u32_e32 v18, v18, v19
	s_nop 1
	;; [unrolled: 4-line block ×4, first 2 shown]
	v_mov_b32_dpp v19, v18 row_bcast:15 row_mask:0xf bank_mask:0xf
	v_cndmask_b32_e64 v19, v19, 0, s[18:19]
	v_add_u32_e32 v18, v18, v19
	s_nop 1
	v_mov_b32_dpp v19, v18 row_bcast:31 row_mask:0xf bank_mask:0xf
	v_cndmask_b32_e64 v19, 0, v19, s[0:1]
	v_add_u32_e32 v18, v18, v19
	s_and_saveexec_b64 s[16:17], s[2:3]
	s_cbranch_execz .LBB979_210
; %bb.209:
	v_lshlrev_b32_e32 v19, 2, v32
	ds_write_b32 v19, v18
.LBB979_210:
	s_or_b64 exec, exec, s[16:17]
	v_cmp_gt_u32_e32 vcc, 2, v0
	s_waitcnt lgkmcnt(0)
	s_barrier
	s_and_saveexec_b64 s[16:17], vcc
	s_cbranch_execz .LBB979_212
; %bb.211:
	ds_read_b32 v19, v1
	v_bfe_i32 v20, v31, 0, 1
	s_waitcnt lgkmcnt(0)
	v_mov_b32_dpp v21, v19 row_shr:1 row_mask:0xf bank_mask:0xf
	v_and_b32_e32 v20, v20, v21
	v_add_u32_e32 v19, v20, v19
	ds_write_b32 v1, v19
.LBB979_212:
	s_or_b64 exec, exec, s[16:17]
	v_cmp_gt_u32_e32 vcc, 64, v0
	v_cmp_lt_u32_e64 s[16:17], 63, v0
	s_waitcnt lgkmcnt(0)
	s_barrier
	s_waitcnt lgkmcnt(0)
                                        ; implicit-def: $vgpr34
	s_and_saveexec_b64 s[26:27], s[16:17]
	s_cbranch_execz .LBB979_214
; %bb.213:
	v_lshl_add_u32 v19, v32, 2, -4
	ds_read_b32 v34, v19
	s_waitcnt lgkmcnt(0)
	v_add_u32_e32 v18, v34, v18
.LBB979_214:
	s_or_b64 exec, exec, s[26:27]
	v_add_u32_e32 v19, -1, v31
	v_and_b32_e32 v20, 64, v31
	v_cmp_lt_i32_e64 s[16:17], v19, v20
	v_cndmask_b32_e64 v19, v19, v31, s[16:17]
	v_lshlrev_b32_e32 v19, 2, v19
	ds_bpermute_b32 v35, v19, v18
	v_cmp_eq_u32_e64 s[16:17], 0, v31
	s_and_saveexec_b64 s[26:27], vcc
	s_cbranch_execz .LBB979_237
; %bb.215:
	v_mov_b32_e32 v27, 0
	ds_read_b32 v18, v27 offset:4
	s_and_saveexec_b64 s[28:29], s[16:17]
	s_cbranch_execz .LBB979_217
; %bb.216:
	s_add_i32 s36, s6, 64
	s_mov_b32 s37, 0
	s_lshl_b64 s[36:37], s[36:37], 3
	s_add_u32 s36, s30, s36
	v_mov_b32_e32 v19, 1
	s_addc_u32 s37, s31, s37
	s_waitcnt lgkmcnt(0)
	global_store_dwordx2 v27, v[18:19], s[36:37]
.LBB979_217:
	s_or_b64 exec, exec, s[28:29]
	v_xad_u32 v20, v31, -1, s6
	v_add_u32_e32 v26, 64, v20
	v_lshlrev_b64 v[22:23], 3, v[26:27]
	v_mov_b32_e32 v19, s31
	v_add_co_u32_e32 v22, vcc, s30, v22
	v_addc_co_u32_e32 v23, vcc, v19, v23, vcc
	global_load_dwordx2 v[24:25], v[22:23], off glc
	s_waitcnt vmcnt(0)
	v_cmp_eq_u16_sdwa s[36:37], v25, v27 src0_sel:BYTE_0 src1_sel:DWORD
	s_and_saveexec_b64 s[28:29], s[36:37]
	s_cbranch_execz .LBB979_223
; %bb.218:
	s_mov_b32 s7, 1
	s_mov_b64 s[36:37], 0
	v_mov_b32_e32 v19, 0
.LBB979_219:                            ; =>This Loop Header: Depth=1
                                        ;     Child Loop BB979_220 Depth 2
	s_max_u32 s33, s7, 1
.LBB979_220:                            ;   Parent Loop BB979_219 Depth=1
                                        ; =>  This Inner Loop Header: Depth=2
	s_add_i32 s33, s33, -1
	s_cmp_eq_u32 s33, 0
	s_sleep 1
	s_cbranch_scc0 .LBB979_220
; %bb.221:                              ;   in Loop: Header=BB979_219 Depth=1
	global_load_dwordx2 v[24:25], v[22:23], off glc
	s_cmp_lt_u32 s7, 32
	s_cselect_b64 s[38:39], -1, 0
	s_cmp_lg_u64 s[38:39], 0
	s_addc_u32 s7, s7, 0
	s_waitcnt vmcnt(0)
	v_cmp_ne_u16_sdwa s[38:39], v25, v19 src0_sel:BYTE_0 src1_sel:DWORD
	s_or_b64 s[36:37], s[38:39], s[36:37]
	s_andn2_b64 exec, exec, s[36:37]
	s_cbranch_execnz .LBB979_219
; %bb.222:
	s_or_b64 exec, exec, s[36:37]
.LBB979_223:
	s_or_b64 exec, exec, s[28:29]
	v_and_b32_e32 v36, 63, v31
	v_mov_b32_e32 v19, 2
	v_cmp_ne_u32_e32 vcc, 63, v36
	v_cmp_eq_u16_sdwa s[28:29], v25, v19 src0_sel:BYTE_0 src1_sel:DWORD
	v_lshlrev_b64 v[22:23], v31, -1
	v_addc_co_u32_e32 v27, vcc, 0, v31, vcc
	v_and_b32_e32 v21, s29, v23
	v_lshlrev_b32_e32 v37, 2, v27
	v_or_b32_e32 v21, 0x80000000, v21
	ds_bpermute_b32 v27, v37, v24
	v_and_b32_e32 v26, s28, v22
	v_ffbl_b32_e32 v21, v21
	v_add_u32_e32 v21, 32, v21
	v_ffbl_b32_e32 v26, v26
	v_min_u32_e32 v21, v26, v21
	v_cmp_lt_u32_e32 vcc, v36, v21
	s_waitcnt lgkmcnt(0)
	v_cndmask_b32_e32 v26, 0, v27, vcc
	v_cmp_gt_u32_e32 vcc, 62, v36
	v_add_u32_e32 v24, v26, v24
	v_cndmask_b32_e64 v26, 0, 1, vcc
	v_lshlrev_b32_e32 v26, 1, v26
	v_add_lshl_u32 v38, v26, v31, 2
	ds_bpermute_b32 v26, v38, v24
	v_add_u32_e32 v39, 2, v36
	v_cmp_le_u32_e32 vcc, v39, v21
	v_add_u32_e32 v41, 4, v36
	v_add_u32_e32 v43, 8, v36
	s_waitcnt lgkmcnt(0)
	v_cndmask_b32_e32 v26, 0, v26, vcc
	v_cmp_gt_u32_e32 vcc, 60, v36
	v_add_u32_e32 v24, v24, v26
	v_cndmask_b32_e64 v26, 0, 1, vcc
	v_lshlrev_b32_e32 v26, 2, v26
	v_add_lshl_u32 v40, v26, v31, 2
	ds_bpermute_b32 v26, v40, v24
	v_cmp_le_u32_e32 vcc, v41, v21
	v_add_u32_e32 v46, 16, v36
	v_add_u32_e32 v48, 32, v36
	s_waitcnt lgkmcnt(0)
	v_cndmask_b32_e32 v26, 0, v26, vcc
	v_cmp_gt_u32_e32 vcc, 56, v36
	v_add_u32_e32 v24, v24, v26
	v_cndmask_b32_e64 v26, 0, 1, vcc
	v_lshlrev_b32_e32 v26, 3, v26
	v_add_lshl_u32 v42, v26, v31, 2
	ds_bpermute_b32 v26, v42, v24
	v_cmp_le_u32_e32 vcc, v43, v21
	s_waitcnt lgkmcnt(0)
	v_cndmask_b32_e32 v26, 0, v26, vcc
	v_cmp_gt_u32_e32 vcc, 48, v36
	v_add_u32_e32 v24, v24, v26
	v_cndmask_b32_e64 v26, 0, 1, vcc
	v_lshlrev_b32_e32 v26, 4, v26
	v_add_lshl_u32 v45, v26, v31, 2
	ds_bpermute_b32 v26, v45, v24
	v_cmp_le_u32_e32 vcc, v46, v21
	;; [unrolled: 9-line block ×3, first 2 shown]
	s_waitcnt lgkmcnt(0)
	v_cndmask_b32_e32 v21, 0, v26, vcc
	v_add_u32_e32 v24, v24, v21
	v_mov_b32_e32 v21, 0
	s_branch .LBB979_225
.LBB979_224:                            ;   in Loop: Header=BB979_225 Depth=1
	s_or_b64 exec, exec, s[28:29]
	v_cmp_eq_u16_sdwa s[28:29], v25, v19 src0_sel:BYTE_0 src1_sel:DWORD
	v_and_b32_e32 v26, s29, v23
	v_or_b32_e32 v26, 0x80000000, v26
	ds_bpermute_b32 v49, v37, v24
	v_and_b32_e32 v27, s28, v22
	v_ffbl_b32_e32 v26, v26
	v_add_u32_e32 v26, 32, v26
	v_ffbl_b32_e32 v27, v27
	v_min_u32_e32 v26, v27, v26
	v_cmp_lt_u32_e32 vcc, v36, v26
	s_waitcnt lgkmcnt(0)
	v_cndmask_b32_e32 v27, 0, v49, vcc
	v_add_u32_e32 v24, v27, v24
	ds_bpermute_b32 v27, v38, v24
	v_cmp_le_u32_e32 vcc, v39, v26
	v_subrev_u32_e32 v20, 64, v20
	s_waitcnt lgkmcnt(0)
	v_cndmask_b32_e32 v27, 0, v27, vcc
	v_add_u32_e32 v24, v24, v27
	ds_bpermute_b32 v27, v40, v24
	v_cmp_le_u32_e32 vcc, v41, v26
	s_waitcnt lgkmcnt(0)
	v_cndmask_b32_e32 v27, 0, v27, vcc
	v_add_u32_e32 v24, v24, v27
	ds_bpermute_b32 v27, v42, v24
	v_cmp_le_u32_e32 vcc, v43, v26
	;; [unrolled: 5-line block ×4, first 2 shown]
	s_waitcnt lgkmcnt(0)
	v_cndmask_b32_e32 v26, 0, v27, vcc
	v_add3_u32 v24, v26, v44, v24
.LBB979_225:                            ; =>This Loop Header: Depth=1
                                        ;     Child Loop BB979_228 Depth 2
                                        ;       Child Loop BB979_229 Depth 3
	v_cmp_ne_u16_sdwa s[28:29], v25, v19 src0_sel:BYTE_0 src1_sel:DWORD
	v_cndmask_b32_e64 v25, 0, 1, s[28:29]
	;;#ASMSTART
	;;#ASMEND
	v_cmp_ne_u32_e32 vcc, 0, v25
	s_cmp_lg_u64 vcc, exec
	v_mov_b32_e32 v44, v24
	s_cbranch_scc1 .LBB979_232
; %bb.226:                              ;   in Loop: Header=BB979_225 Depth=1
	v_lshlrev_b64 v[24:25], 3, v[20:21]
	v_mov_b32_e32 v27, s31
	v_add_co_u32_e32 v26, vcc, s30, v24
	v_addc_co_u32_e32 v27, vcc, v27, v25, vcc
	global_load_dwordx2 v[24:25], v[26:27], off glc
	s_waitcnt vmcnt(0)
	v_cmp_eq_u16_sdwa s[36:37], v25, v21 src0_sel:BYTE_0 src1_sel:DWORD
	s_and_saveexec_b64 s[28:29], s[36:37]
	s_cbranch_execz .LBB979_224
; %bb.227:                              ;   in Loop: Header=BB979_225 Depth=1
	s_mov_b32 s7, 1
	s_mov_b64 s[36:37], 0
.LBB979_228:                            ;   Parent Loop BB979_225 Depth=1
                                        ; =>  This Loop Header: Depth=2
                                        ;       Child Loop BB979_229 Depth 3
	s_max_u32 s33, s7, 1
.LBB979_229:                            ;   Parent Loop BB979_225 Depth=1
                                        ;     Parent Loop BB979_228 Depth=2
                                        ; =>    This Inner Loop Header: Depth=3
	s_add_i32 s33, s33, -1
	s_cmp_eq_u32 s33, 0
	s_sleep 1
	s_cbranch_scc0 .LBB979_229
; %bb.230:                              ;   in Loop: Header=BB979_228 Depth=2
	global_load_dwordx2 v[24:25], v[26:27], off glc
	s_cmp_lt_u32 s7, 32
	s_cselect_b64 s[38:39], -1, 0
	s_cmp_lg_u64 s[38:39], 0
	s_addc_u32 s7, s7, 0
	s_waitcnt vmcnt(0)
	v_cmp_ne_u16_sdwa s[38:39], v25, v21 src0_sel:BYTE_0 src1_sel:DWORD
	s_or_b64 s[36:37], s[38:39], s[36:37]
	s_andn2_b64 exec, exec, s[36:37]
	s_cbranch_execnz .LBB979_228
; %bb.231:                              ;   in Loop: Header=BB979_225 Depth=1
	s_or_b64 exec, exec, s[36:37]
	s_branch .LBB979_224
.LBB979_232:                            ;   in Loop: Header=BB979_225 Depth=1
                                        ; implicit-def: $vgpr24
                                        ; implicit-def: $vgpr25
	s_cbranch_execz .LBB979_225
; %bb.233:
	s_and_saveexec_b64 s[28:29], s[16:17]
	s_cbranch_execz .LBB979_235
; %bb.234:
	s_add_i32 s6, s6, 64
	s_mov_b32 s7, 0
	s_lshl_b64 s[6:7], s[6:7], 3
	s_add_u32 s6, s30, s6
	v_add_u32_e32 v20, v44, v18
	v_mov_b32_e32 v21, 2
	s_addc_u32 s7, s31, s7
	v_mov_b32_e32 v19, 0
	global_store_dwordx2 v19, v[20:21], s[6:7]
	s_movk_i32 s6, 0x1000
	v_add_u32_e64 v19, s6, 0
	ds_write2_b32 v19, v18, v44 offset0:32 offset1:34
.LBB979_235:
	s_or_b64 exec, exec, s[28:29]
	v_cmp_eq_u32_e32 vcc, 0, v0
	s_and_b64 exec, exec, vcc
	s_cbranch_execz .LBB979_237
; %bb.236:
	v_mov_b32_e32 v18, 0
	ds_write_b32 v18, v44 offset:4
.LBB979_237:
	s_or_b64 exec, exec, s[26:27]
	v_mov_b32_e32 v19, 0
	s_waitcnt lgkmcnt(0)
	s_barrier
	ds_read_b32 v19, v19 offset:4
	s_movk_i32 s6, 0x1000
	v_add_u32_e64 v20, s6, 0
	v_cndmask_b32_e64 v18, v35, v34, s[16:17]
	v_cmp_ne_u32_e32 vcc, 0, v0
	s_waitcnt lgkmcnt(0)
	s_barrier
	ds_read2_b32 v[26:27], v20 offset0:32 offset1:34
	v_cndmask_b32_e32 v18, 0, v18, vcc
	v_add_u32_e32 v24, v19, v18
	v_add_u32_sdwa v22, v24, v28 dst_sel:DWORD dst_unused:UNUSED_PAD src0_sel:DWORD src1_sel:BYTE_0
	v_add_u32_sdwa v20, v22, v28 dst_sel:DWORD dst_unused:UNUSED_PAD src0_sel:DWORD src1_sel:BYTE_1
	v_add_u32_e32 v18, v20, v30
	s_waitcnt lgkmcnt(0)
	v_readfirstlane_b32 s26, v26
	v_readfirstlane_b32 s16, v27
	s_branch .LBB979_248
.LBB979_238:
                                        ; implicit-def: $vgpr18
                                        ; implicit-def: $vgpr20
                                        ; implicit-def: $vgpr22
                                        ; implicit-def: $vgpr24
                                        ; implicit-def: $sgpr16
                                        ; implicit-def: $sgpr26
	s_cbranch_execz .LBB979_248
; %bb.239:
	s_nop 0
	v_mov_b32_dpp v18, v33 row_shr:1 row_mask:0xf bank_mask:0xf
	v_cndmask_b32_e64 v18, v18, 0, s[14:15]
	v_add_u32_e32 v18, v18, v33
	s_nop 1
	v_mov_b32_dpp v19, v18 row_shr:2 row_mask:0xf bank_mask:0xf
	v_cndmask_b32_e64 v19, 0, v19, s[12:13]
	v_add_u32_e32 v18, v18, v19
	;; [unrolled: 4-line block ×4, first 2 shown]
	s_nop 1
	v_mov_b32_dpp v19, v18 row_bcast:15 row_mask:0xf bank_mask:0xf
	v_cndmask_b32_e64 v19, v19, 0, s[18:19]
	v_add_u32_e32 v18, v18, v19
	s_nop 1
	v_mov_b32_dpp v19, v18 row_bcast:31 row_mask:0xf bank_mask:0xf
	v_cndmask_b32_e64 v19, 0, v19, s[0:1]
	v_add_u32_e32 v18, v18, v19
	s_and_saveexec_b64 s[0:1], s[2:3]
	s_cbranch_execz .LBB979_241
; %bb.240:
	v_lshlrev_b32_e32 v19, 2, v32
	ds_write_b32 v19, v18
.LBB979_241:
	s_or_b64 exec, exec, s[0:1]
	v_cmp_gt_u32_e32 vcc, 2, v0
	s_waitcnt lgkmcnt(0)
	s_barrier
	s_and_saveexec_b64 s[0:1], vcc
	s_cbranch_execz .LBB979_243
; %bb.242:
	ds_read_b32 v19, v1
	v_bfe_i32 v20, v31, 0, 1
	s_waitcnt lgkmcnt(0)
	v_mov_b32_dpp v21, v19 row_shr:1 row_mask:0xf bank_mask:0xf
	v_and_b32_e32 v20, v20, v21
	v_add_u32_e32 v19, v20, v19
	ds_write_b32 v1, v19
.LBB979_243:
	s_or_b64 exec, exec, s[0:1]
	v_cmp_lt_u32_e32 vcc, 63, v0
	v_mov_b32_e32 v19, 0
	v_mov_b32_e32 v1, 0
	s_waitcnt lgkmcnt(0)
	s_barrier
	s_and_saveexec_b64 s[0:1], vcc
	s_cbranch_execz .LBB979_245
; %bb.244:
	v_lshl_add_u32 v1, v32, 2, -4
	ds_read_b32 v1, v1
.LBB979_245:
	s_or_b64 exec, exec, s[0:1]
	v_add_u32_e32 v20, -1, v31
	v_and_b32_e32 v21, 64, v31
	v_cmp_lt_i32_e32 vcc, v20, v21
	v_cndmask_b32_e32 v20, v20, v31, vcc
	s_waitcnt lgkmcnt(0)
	v_add_u32_e32 v18, v1, v18
	v_lshlrev_b32_e32 v20, 2, v20
	ds_read_b32 v19, v19 offset:4
	ds_bpermute_b32 v18, v20, v18
	s_mov_b32 s16, 0
	v_cmp_eq_u32_e32 vcc, 0, v0
	s_waitcnt lgkmcnt(1)
	v_readfirstlane_b32 s26, v19
	s_and_saveexec_b64 s[0:1], vcc
	s_cbranch_execz .LBB979_247
; %bb.246:
	v_mov_b32_e32 v19, 0
	v_mov_b32_e32 v20, s26
	;; [unrolled: 1-line block ×3, first 2 shown]
	global_store_dwordx2 v19, v[20:21], s[30:31] offset:512
.LBB979_247:
	s_or_b64 exec, exec, s[0:1]
	v_cmp_eq_u32_e64 s[0:1], 0, v31
	s_waitcnt lgkmcnt(0)
	v_cndmask_b32_e64 v1, v18, v1, s[0:1]
	v_cndmask_b32_e64 v24, v1, 0, vcc
	v_add_u32_sdwa v22, v24, v28 dst_sel:DWORD dst_unused:UNUSED_PAD src0_sel:DWORD src1_sel:BYTE_0
	v_add_u32_sdwa v20, v22, v28 dst_sel:DWORD dst_unused:UNUSED_PAD src0_sel:DWORD src1_sel:BYTE_1
	v_add_u32_e32 v18, v20, v30
	s_barrier
.LBB979_248:
	s_load_dwordx4 s[4:7], s[4:5], 0x28
	s_cmpk_lt_u32 s26, 0x81
	s_cselect_b64 s[2:3], -1, 0
	v_lshrrev_b32_e32 v1, 8, v28
	s_mov_b64 s[0:1], -1
	s_and_b64 vcc, exec, s[2:3]
	s_cbranch_vccz .LBB979_262
; %bb.249:
	s_add_i32 s8, s16, s26
	v_cmp_gt_u32_e32 vcc, s8, v24
	s_or_b64 s[10:11], s[34:35], vcc
	s_and_saveexec_b64 s[0:1], s[10:11]
	s_cbranch_execz .LBB979_252
; %bb.250:
	v_and_b32_e32 v19, 1, v28
	v_cmp_eq_u32_e32 vcc, 1, v19
	s_and_b64 exec, exec, vcc
	s_cbranch_execz .LBB979_252
; %bb.251:
	s_lshl_b64 s[10:11], s[22:23], 3
	s_waitcnt lgkmcnt(0)
	s_add_u32 s9, s4, s10
	v_mov_b32_e32 v25, 0
	s_addc_u32 s10, s5, s11
	v_lshlrev_b64 v[26:27], 3, v[24:25]
	v_mov_b32_e32 v19, s10
	v_add_co_u32_e32 v26, vcc, s9, v26
	v_addc_co_u32_e32 v27, vcc, v19, v27, vcc
	global_store_dwordx2 v[26:27], v[14:15], off
.LBB979_252:
	s_or_b64 exec, exec, s[0:1]
	v_cmp_gt_u32_e32 vcc, s8, v22
	s_or_b64 s[10:11], s[34:35], vcc
	s_and_saveexec_b64 s[0:1], s[10:11]
	s_cbranch_execz .LBB979_255
; %bb.253:
	v_and_b32_e32 v19, 1, v1
	v_cmp_eq_u32_e32 vcc, 1, v19
	s_and_b64 exec, exec, vcc
	s_cbranch_execz .LBB979_255
; %bb.254:
	s_lshl_b64 s[10:11], s[22:23], 3
	s_waitcnt lgkmcnt(0)
	s_add_u32 s9, s4, s10
	v_mov_b32_e32 v23, 0
	s_addc_u32 s10, s5, s11
	v_lshlrev_b64 v[26:27], 3, v[22:23]
	v_mov_b32_e32 v19, s10
	v_add_co_u32_e32 v26, vcc, s9, v26
	v_addc_co_u32_e32 v27, vcc, v19, v27, vcc
	global_store_dwordx2 v[26:27], v[16:17], off
.LBB979_255:
	s_or_b64 exec, exec, s[0:1]
	v_cmp_gt_u32_e32 vcc, s8, v20
	s_or_b64 s[10:11], s[34:35], vcc
	s_and_saveexec_b64 s[0:1], s[10:11]
	s_cbranch_execz .LBB979_258
; %bb.256:
	v_mov_b32_e32 v19, 1
	v_and_b32_sdwa v19, v19, v28 dst_sel:DWORD dst_unused:UNUSED_PAD src0_sel:DWORD src1_sel:WORD_1
	v_cmp_eq_u32_e32 vcc, 1, v19
	s_and_b64 exec, exec, vcc
	s_cbranch_execz .LBB979_258
; %bb.257:
	s_lshl_b64 s[10:11], s[22:23], 3
	s_waitcnt lgkmcnt(0)
	s_add_u32 s9, s4, s10
	v_mov_b32_e32 v21, 0
	s_addc_u32 s10, s5, s11
	v_lshlrev_b64 v[26:27], 3, v[20:21]
	v_mov_b32_e32 v19, s10
	v_add_co_u32_e32 v26, vcc, s9, v26
	v_addc_co_u32_e32 v27, vcc, v19, v27, vcc
	global_store_dwordx2 v[26:27], v[10:11], off
.LBB979_258:
	s_or_b64 exec, exec, s[0:1]
	v_cmp_gt_u32_e32 vcc, s8, v18
	s_or_b64 s[8:9], s[34:35], vcc
	s_and_saveexec_b64 s[0:1], s[8:9]
	s_cbranch_execz .LBB979_261
; %bb.259:
	v_and_b32_e32 v19, 1, v29
	v_cmp_eq_u32_e32 vcc, 1, v19
	s_and_b64 exec, exec, vcc
	s_cbranch_execz .LBB979_261
; %bb.260:
	s_lshl_b64 s[8:9], s[22:23], 3
	s_waitcnt lgkmcnt(0)
	s_add_u32 s8, s4, s8
	v_mov_b32_e32 v19, 0
	s_addc_u32 s9, s5, s9
	v_lshlrev_b64 v[26:27], 3, v[18:19]
	v_mov_b32_e32 v19, s9
	v_add_co_u32_e32 v26, vcc, s8, v26
	v_addc_co_u32_e32 v27, vcc, v19, v27, vcc
	global_store_dwordx2 v[26:27], v[12:13], off
.LBB979_261:
	s_or_b64 exec, exec, s[0:1]
	s_mov_b64 s[0:1], 0
.LBB979_262:
	v_and_b32_e32 v26, 1, v28
	s_and_b64 vcc, exec, s[0:1]
	v_cmp_eq_u32_e64 s[0:1], 1, v26
	s_cbranch_vccz .LBB979_275
; %bb.263:
	s_and_saveexec_b64 s[8:9], s[0:1]
	s_cbranch_execz .LBB979_265
; %bb.264:
	v_subrev_u32_e32 v19, s16, v24
	v_lshlrev_b32_e32 v19, 3, v19
	ds_write_b64 v19, v[14:15]
.LBB979_265:
	s_or_b64 exec, exec, s[8:9]
	v_and_b32_e32 v14, 1, v1
	v_cmp_eq_u32_e32 vcc, 1, v14
	s_and_saveexec_b64 s[0:1], vcc
	s_cbranch_execz .LBB979_267
; %bb.266:
	v_subrev_u32_e32 v14, s16, v22
	v_lshlrev_b32_e32 v14, 3, v14
	ds_write_b64 v14, v[16:17]
.LBB979_267:
	s_or_b64 exec, exec, s[0:1]
	v_mov_b32_e32 v14, 1
	v_and_b32_sdwa v14, v14, v28 dst_sel:DWORD dst_unused:UNUSED_PAD src0_sel:DWORD src1_sel:WORD_1
	v_cmp_eq_u32_e32 vcc, 1, v14
	s_and_saveexec_b64 s[0:1], vcc
	s_cbranch_execz .LBB979_269
; %bb.268:
	v_subrev_u32_e32 v14, s16, v20
	v_lshlrev_b32_e32 v14, 3, v14
	ds_write_b64 v14, v[10:11]
.LBB979_269:
	s_or_b64 exec, exec, s[0:1]
	v_and_b32_e32 v10, 1, v29
	v_cmp_eq_u32_e32 vcc, 1, v10
	s_and_saveexec_b64 s[0:1], vcc
	s_cbranch_execz .LBB979_271
; %bb.270:
	v_subrev_u32_e32 v10, s16, v18
	v_lshlrev_b32_e32 v10, 3, v10
	ds_write_b64 v10, v[12:13]
.LBB979_271:
	s_or_b64 exec, exec, s[0:1]
	v_cmp_gt_u32_e32 vcc, s26, v0
	s_waitcnt lgkmcnt(0)
	s_barrier
	s_and_saveexec_b64 s[0:1], vcc
	s_cbranch_execz .LBB979_274
; %bb.272:
	s_mov_b32 s17, 0
	s_lshl_b64 s[8:9], s[16:17], 3
	s_add_u32 s8, s4, s8
	s_addc_u32 s9, s5, s9
	s_lshl_b64 s[4:5], s[22:23], 3
	s_add_u32 s8, s8, s4
	s_addc_u32 s9, s9, s5
	v_lshlrev_b32_e32 v12, 3, v0
	s_mov_b64 s[4:5], 0
	v_mov_b32_e32 v11, 0
	v_mov_b32_e32 v13, s9
	;; [unrolled: 1-line block ×3, first 2 shown]
.LBB979_273:                            ; =>This Inner Loop Header: Depth=1
	ds_read_b64 v[14:15], v12
	v_lshlrev_b64 v[16:17], 3, v[10:11]
	v_add_co_u32_e32 v16, vcc, s8, v16
	v_add_u32_e32 v10, 0x80, v10
	v_addc_co_u32_e32 v17, vcc, v13, v17, vcc
	v_cmp_le_u32_e32 vcc, s26, v10
	v_add_u32_e32 v12, 0x400, v12
	s_or_b64 s[4:5], vcc, s[4:5]
	s_waitcnt lgkmcnt(0)
	global_store_dwordx2 v[16:17], v[14:15], off
	s_andn2_b64 exec, exec, s[4:5]
	s_cbranch_execnz .LBB979_273
.LBB979_274:
	s_or_b64 exec, exec, s[0:1]
.LBB979_275:
	s_mov_b64 s[0:1], -1
	s_and_b64 vcc, exec, s[2:3]
	s_waitcnt lgkmcnt(0)
	s_barrier
	s_cbranch_vccnz .LBB979_279
; %bb.276:
	s_and_b64 vcc, exec, s[0:1]
	s_cbranch_vccnz .LBB979_292
.LBB979_277:
	v_cmp_eq_u32_e32 vcc, 0, v0
	s_and_b64 s[0:1], vcc, s[24:25]
	s_and_saveexec_b64 s[2:3], s[0:1]
	s_cbranch_execnz .LBB979_304
.LBB979_278:
	s_endpgm
.LBB979_279:
	s_add_i32 s2, s16, s26
	v_cmp_gt_u32_e32 vcc, s2, v24
	s_or_b64 s[4:5], s[34:35], vcc
	s_and_saveexec_b64 s[0:1], s[4:5]
	s_cbranch_execz .LBB979_282
; %bb.280:
	v_cmp_eq_u32_e32 vcc, 1, v26
	s_and_b64 exec, exec, vcc
	s_cbranch_execz .LBB979_282
; %bb.281:
	s_lshl_b64 s[4:5], s[22:23], 3
	s_add_u32 s3, s6, s4
	v_mov_b32_e32 v25, 0
	s_addc_u32 s4, s7, s5
	v_lshlrev_b64 v[10:11], 3, v[24:25]
	v_mov_b32_e32 v12, s4
	v_add_co_u32_e32 v10, vcc, s3, v10
	v_addc_co_u32_e32 v11, vcc, v12, v11, vcc
	global_store_dwordx2 v[10:11], v[6:7], off
.LBB979_282:
	s_or_b64 exec, exec, s[0:1]
	v_cmp_gt_u32_e32 vcc, s2, v22
	s_or_b64 s[4:5], s[34:35], vcc
	s_and_saveexec_b64 s[0:1], s[4:5]
	s_cbranch_execz .LBB979_285
; %bb.283:
	v_and_b32_e32 v10, 1, v1
	v_cmp_eq_u32_e32 vcc, 1, v10
	s_and_b64 exec, exec, vcc
	s_cbranch_execz .LBB979_285
; %bb.284:
	s_lshl_b64 s[4:5], s[22:23], 3
	s_add_u32 s3, s6, s4
	v_mov_b32_e32 v23, 0
	s_addc_u32 s4, s7, s5
	v_lshlrev_b64 v[10:11], 3, v[22:23]
	v_mov_b32_e32 v12, s4
	v_add_co_u32_e32 v10, vcc, s3, v10
	v_addc_co_u32_e32 v11, vcc, v12, v11, vcc
	global_store_dwordx2 v[10:11], v[8:9], off
.LBB979_285:
	s_or_b64 exec, exec, s[0:1]
	v_cmp_gt_u32_e32 vcc, s2, v20
	s_or_b64 s[4:5], s[34:35], vcc
	s_and_saveexec_b64 s[0:1], s[4:5]
	s_cbranch_execz .LBB979_288
; %bb.286:
	v_mov_b32_e32 v10, 1
	v_and_b32_sdwa v10, v10, v28 dst_sel:DWORD dst_unused:UNUSED_PAD src0_sel:DWORD src1_sel:WORD_1
	v_cmp_eq_u32_e32 vcc, 1, v10
	s_and_b64 exec, exec, vcc
	s_cbranch_execz .LBB979_288
; %bb.287:
	s_lshl_b64 s[4:5], s[22:23], 3
	s_add_u32 s3, s6, s4
	v_mov_b32_e32 v21, 0
	s_addc_u32 s4, s7, s5
	v_lshlrev_b64 v[10:11], 3, v[20:21]
	v_mov_b32_e32 v12, s4
	v_add_co_u32_e32 v10, vcc, s3, v10
	v_addc_co_u32_e32 v11, vcc, v12, v11, vcc
	global_store_dwordx2 v[10:11], v[2:3], off
.LBB979_288:
	s_or_b64 exec, exec, s[0:1]
	v_cmp_gt_u32_e32 vcc, s2, v18
	s_or_b64 s[2:3], s[34:35], vcc
	s_and_saveexec_b64 s[0:1], s[2:3]
	s_cbranch_execz .LBB979_291
; %bb.289:
	v_and_b32_e32 v10, 1, v29
	v_cmp_eq_u32_e32 vcc, 1, v10
	s_and_b64 exec, exec, vcc
	s_cbranch_execz .LBB979_291
; %bb.290:
	s_lshl_b64 s[2:3], s[22:23], 3
	s_add_u32 s2, s6, s2
	v_mov_b32_e32 v19, 0
	s_addc_u32 s3, s7, s3
	v_lshlrev_b64 v[10:11], 3, v[18:19]
	v_mov_b32_e32 v12, s3
	v_add_co_u32_e32 v10, vcc, s2, v10
	v_addc_co_u32_e32 v11, vcc, v12, v11, vcc
	global_store_dwordx2 v[10:11], v[4:5], off
.LBB979_291:
	s_or_b64 exec, exec, s[0:1]
	s_branch .LBB979_277
.LBB979_292:
	v_cmp_eq_u32_e32 vcc, 1, v26
	s_and_saveexec_b64 s[0:1], vcc
	s_cbranch_execz .LBB979_294
; %bb.293:
	v_subrev_u32_e32 v10, s16, v24
	v_lshlrev_b32_e32 v10, 3, v10
	ds_write_b64 v10, v[6:7]
.LBB979_294:
	s_or_b64 exec, exec, s[0:1]
	v_and_b32_e32 v1, 1, v1
	v_cmp_eq_u32_e32 vcc, 1, v1
	s_and_saveexec_b64 s[0:1], vcc
	s_cbranch_execz .LBB979_296
; %bb.295:
	v_subrev_u32_e32 v1, s16, v22
	v_lshlrev_b32_e32 v1, 3, v1
	ds_write_b64 v1, v[8:9]
.LBB979_296:
	s_or_b64 exec, exec, s[0:1]
	v_mov_b32_e32 v1, 1
	v_and_b32_sdwa v1, v1, v28 dst_sel:DWORD dst_unused:UNUSED_PAD src0_sel:DWORD src1_sel:WORD_1
	v_cmp_eq_u32_e32 vcc, 1, v1
	s_and_saveexec_b64 s[0:1], vcc
	s_cbranch_execz .LBB979_298
; %bb.297:
	v_subrev_u32_e32 v1, s16, v20
	v_lshlrev_b32_e32 v1, 3, v1
	ds_write_b64 v1, v[2:3]
.LBB979_298:
	s_or_b64 exec, exec, s[0:1]
	v_and_b32_e32 v1, 1, v29
	v_cmp_eq_u32_e32 vcc, 1, v1
	s_and_saveexec_b64 s[0:1], vcc
	s_cbranch_execz .LBB979_300
; %bb.299:
	v_subrev_u32_e32 v1, s16, v18
	v_lshlrev_b32_e32 v1, 3, v1
	ds_write_b64 v1, v[4:5]
.LBB979_300:
	s_or_b64 exec, exec, s[0:1]
	v_cmp_gt_u32_e32 vcc, s26, v0
	s_waitcnt lgkmcnt(0)
	s_barrier
	s_and_saveexec_b64 s[0:1], vcc
	s_cbranch_execz .LBB979_303
; %bb.301:
	s_mov_b32 s17, 0
	s_lshl_b64 s[2:3], s[16:17], 3
	s_add_u32 s4, s6, s2
	s_addc_u32 s5, s7, s3
	s_lshl_b64 s[2:3], s[22:23], 3
	s_add_u32 s4, s4, s2
	s_addc_u32 s5, s5, s3
	v_lshlrev_b32_e32 v1, 3, v0
	s_mov_b64 s[2:3], 0
	v_mov_b32_e32 v3, 0
	v_mov_b32_e32 v4, s5
	;; [unrolled: 1-line block ×3, first 2 shown]
.LBB979_302:                            ; =>This Inner Loop Header: Depth=1
	ds_read_b64 v[6:7], v1
	v_lshlrev_b64 v[8:9], 3, v[2:3]
	v_add_co_u32_e32 v8, vcc, s4, v8
	v_add_u32_e32 v2, 0x80, v2
	v_addc_co_u32_e32 v9, vcc, v4, v9, vcc
	v_cmp_le_u32_e32 vcc, s26, v2
	v_add_u32_e32 v1, 0x400, v1
	s_or_b64 s[2:3], vcc, s[2:3]
	s_waitcnt lgkmcnt(0)
	global_store_dwordx2 v[8:9], v[6:7], off
	s_andn2_b64 exec, exec, s[2:3]
	s_cbranch_execnz .LBB979_302
.LBB979_303:
	s_or_b64 exec, exec, s[0:1]
	v_cmp_eq_u32_e32 vcc, 0, v0
	s_and_b64 s[0:1], vcc, s[24:25]
	s_and_saveexec_b64 s[2:3], s[0:1]
	s_cbranch_execz .LBB979_278
.LBB979_304:
	s_add_u32 s0, s22, s26
	s_addc_u32 s1, s23, 0
	s_add_u32 s0, s0, s16
	s_addc_u32 s1, s1, 0
	v_mov_b32_e32 v2, 0
	v_pk_mov_b32 v[0:1], s[0:1], s[0:1] op_sel:[0,1]
	global_store_dwordx2 v2, v[0:1], s[20:21]
	s_endpgm
	.section	.rodata,"a",@progbits
	.p2align	6, 0x0
	.amdhsa_kernel _ZN7rocprim17ROCPRIM_400000_NS6detail17trampoline_kernelINS0_14default_configENS1_25partition_config_selectorILNS1_17partition_subalgoE9EllbEEZZNS1_14partition_implILS5_9ELb0ES3_jPlS8_PNS0_10empty_typeENS0_5tupleIJS8_S9_EEENSB_IJS8_SA_EEENS0_18inequality_wrapperIZN2at6native12_GLOBAL__N_124unique_dim_cuda_templateIfEESt5tupleIJNSF_6TensorESK_SK_EERKSK_lbbbEUlllE0_EEPmJS9_EEE10hipError_tPvRmT3_T4_T5_T6_T7_T9_mT8_P12ihipStream_tbDpT10_ENKUlT_T0_E_clISt17integral_constantIbLb1EES19_IbLb0EEEEDaS15_S16_EUlS15_E_NS1_11comp_targetILNS1_3genE4ELNS1_11target_archE910ELNS1_3gpuE8ELNS1_3repE0EEENS1_30default_config_static_selectorELNS0_4arch9wavefront6targetE1EEEvT1_
		.amdhsa_group_segment_fixed_size 4236
		.amdhsa_private_segment_fixed_size 0
		.amdhsa_kernarg_size 120
		.amdhsa_user_sgpr_count 6
		.amdhsa_user_sgpr_private_segment_buffer 1
		.amdhsa_user_sgpr_dispatch_ptr 0
		.amdhsa_user_sgpr_queue_ptr 0
		.amdhsa_user_sgpr_kernarg_segment_ptr 1
		.amdhsa_user_sgpr_dispatch_id 0
		.amdhsa_user_sgpr_flat_scratch_init 0
		.amdhsa_user_sgpr_kernarg_preload_length 0
		.amdhsa_user_sgpr_kernarg_preload_offset 0
		.amdhsa_user_sgpr_private_segment_size 0
		.amdhsa_uses_dynamic_stack 0
		.amdhsa_system_sgpr_private_segment_wavefront_offset 0
		.amdhsa_system_sgpr_workgroup_id_x 1
		.amdhsa_system_sgpr_workgroup_id_y 0
		.amdhsa_system_sgpr_workgroup_id_z 0
		.amdhsa_system_sgpr_workgroup_info 0
		.amdhsa_system_vgpr_workitem_id 0
		.amdhsa_next_free_vgpr 50
		.amdhsa_next_free_sgpr 46
		.amdhsa_accum_offset 52
		.amdhsa_reserve_vcc 1
		.amdhsa_reserve_flat_scratch 0
		.amdhsa_float_round_mode_32 0
		.amdhsa_float_round_mode_16_64 0
		.amdhsa_float_denorm_mode_32 3
		.amdhsa_float_denorm_mode_16_64 3
		.amdhsa_dx10_clamp 1
		.amdhsa_ieee_mode 1
		.amdhsa_fp16_overflow 0
		.amdhsa_tg_split 0
		.amdhsa_exception_fp_ieee_invalid_op 0
		.amdhsa_exception_fp_denorm_src 0
		.amdhsa_exception_fp_ieee_div_zero 0
		.amdhsa_exception_fp_ieee_overflow 0
		.amdhsa_exception_fp_ieee_underflow 0
		.amdhsa_exception_fp_ieee_inexact 0
		.amdhsa_exception_int_div_zero 0
	.end_amdhsa_kernel
	.section	.text._ZN7rocprim17ROCPRIM_400000_NS6detail17trampoline_kernelINS0_14default_configENS1_25partition_config_selectorILNS1_17partition_subalgoE9EllbEEZZNS1_14partition_implILS5_9ELb0ES3_jPlS8_PNS0_10empty_typeENS0_5tupleIJS8_S9_EEENSB_IJS8_SA_EEENS0_18inequality_wrapperIZN2at6native12_GLOBAL__N_124unique_dim_cuda_templateIfEESt5tupleIJNSF_6TensorESK_SK_EERKSK_lbbbEUlllE0_EEPmJS9_EEE10hipError_tPvRmT3_T4_T5_T6_T7_T9_mT8_P12ihipStream_tbDpT10_ENKUlT_T0_E_clISt17integral_constantIbLb1EES19_IbLb0EEEEDaS15_S16_EUlS15_E_NS1_11comp_targetILNS1_3genE4ELNS1_11target_archE910ELNS1_3gpuE8ELNS1_3repE0EEENS1_30default_config_static_selectorELNS0_4arch9wavefront6targetE1EEEvT1_,"axG",@progbits,_ZN7rocprim17ROCPRIM_400000_NS6detail17trampoline_kernelINS0_14default_configENS1_25partition_config_selectorILNS1_17partition_subalgoE9EllbEEZZNS1_14partition_implILS5_9ELb0ES3_jPlS8_PNS0_10empty_typeENS0_5tupleIJS8_S9_EEENSB_IJS8_SA_EEENS0_18inequality_wrapperIZN2at6native12_GLOBAL__N_124unique_dim_cuda_templateIfEESt5tupleIJNSF_6TensorESK_SK_EERKSK_lbbbEUlllE0_EEPmJS9_EEE10hipError_tPvRmT3_T4_T5_T6_T7_T9_mT8_P12ihipStream_tbDpT10_ENKUlT_T0_E_clISt17integral_constantIbLb1EES19_IbLb0EEEEDaS15_S16_EUlS15_E_NS1_11comp_targetILNS1_3genE4ELNS1_11target_archE910ELNS1_3gpuE8ELNS1_3repE0EEENS1_30default_config_static_selectorELNS0_4arch9wavefront6targetE1EEEvT1_,comdat
.Lfunc_end979:
	.size	_ZN7rocprim17ROCPRIM_400000_NS6detail17trampoline_kernelINS0_14default_configENS1_25partition_config_selectorILNS1_17partition_subalgoE9EllbEEZZNS1_14partition_implILS5_9ELb0ES3_jPlS8_PNS0_10empty_typeENS0_5tupleIJS8_S9_EEENSB_IJS8_SA_EEENS0_18inequality_wrapperIZN2at6native12_GLOBAL__N_124unique_dim_cuda_templateIfEESt5tupleIJNSF_6TensorESK_SK_EERKSK_lbbbEUlllE0_EEPmJS9_EEE10hipError_tPvRmT3_T4_T5_T6_T7_T9_mT8_P12ihipStream_tbDpT10_ENKUlT_T0_E_clISt17integral_constantIbLb1EES19_IbLb0EEEEDaS15_S16_EUlS15_E_NS1_11comp_targetILNS1_3genE4ELNS1_11target_archE910ELNS1_3gpuE8ELNS1_3repE0EEENS1_30default_config_static_selectorELNS0_4arch9wavefront6targetE1EEEvT1_, .Lfunc_end979-_ZN7rocprim17ROCPRIM_400000_NS6detail17trampoline_kernelINS0_14default_configENS1_25partition_config_selectorILNS1_17partition_subalgoE9EllbEEZZNS1_14partition_implILS5_9ELb0ES3_jPlS8_PNS0_10empty_typeENS0_5tupleIJS8_S9_EEENSB_IJS8_SA_EEENS0_18inequality_wrapperIZN2at6native12_GLOBAL__N_124unique_dim_cuda_templateIfEESt5tupleIJNSF_6TensorESK_SK_EERKSK_lbbbEUlllE0_EEPmJS9_EEE10hipError_tPvRmT3_T4_T5_T6_T7_T9_mT8_P12ihipStream_tbDpT10_ENKUlT_T0_E_clISt17integral_constantIbLb1EES19_IbLb0EEEEDaS15_S16_EUlS15_E_NS1_11comp_targetILNS1_3genE4ELNS1_11target_archE910ELNS1_3gpuE8ELNS1_3repE0EEENS1_30default_config_static_selectorELNS0_4arch9wavefront6targetE1EEEvT1_
                                        ; -- End function
	.section	.AMDGPU.csdata,"",@progbits
; Kernel info:
; codeLenInByte = 10876
; NumSgprs: 50
; NumVgprs: 50
; NumAgprs: 0
; TotalNumVgprs: 50
; ScratchSize: 0
; MemoryBound: 0
; FloatMode: 240
; IeeeMode: 1
; LDSByteSize: 4236 bytes/workgroup (compile time only)
; SGPRBlocks: 6
; VGPRBlocks: 6
; NumSGPRsForWavesPerEU: 50
; NumVGPRsForWavesPerEU: 50
; AccumOffset: 52
; Occupancy: 8
; WaveLimiterHint : 1
; COMPUTE_PGM_RSRC2:SCRATCH_EN: 0
; COMPUTE_PGM_RSRC2:USER_SGPR: 6
; COMPUTE_PGM_RSRC2:TRAP_HANDLER: 0
; COMPUTE_PGM_RSRC2:TGID_X_EN: 1
; COMPUTE_PGM_RSRC2:TGID_Y_EN: 0
; COMPUTE_PGM_RSRC2:TGID_Z_EN: 0
; COMPUTE_PGM_RSRC2:TIDIG_COMP_CNT: 0
; COMPUTE_PGM_RSRC3_GFX90A:ACCUM_OFFSET: 12
; COMPUTE_PGM_RSRC3_GFX90A:TG_SPLIT: 0
	.section	.text._ZN7rocprim17ROCPRIM_400000_NS6detail17trampoline_kernelINS0_14default_configENS1_25partition_config_selectorILNS1_17partition_subalgoE9EllbEEZZNS1_14partition_implILS5_9ELb0ES3_jPlS8_PNS0_10empty_typeENS0_5tupleIJS8_S9_EEENSB_IJS8_SA_EEENS0_18inequality_wrapperIZN2at6native12_GLOBAL__N_124unique_dim_cuda_templateIfEESt5tupleIJNSF_6TensorESK_SK_EERKSK_lbbbEUlllE0_EEPmJS9_EEE10hipError_tPvRmT3_T4_T5_T6_T7_T9_mT8_P12ihipStream_tbDpT10_ENKUlT_T0_E_clISt17integral_constantIbLb1EES19_IbLb0EEEEDaS15_S16_EUlS15_E_NS1_11comp_targetILNS1_3genE3ELNS1_11target_archE908ELNS1_3gpuE7ELNS1_3repE0EEENS1_30default_config_static_selectorELNS0_4arch9wavefront6targetE1EEEvT1_,"axG",@progbits,_ZN7rocprim17ROCPRIM_400000_NS6detail17trampoline_kernelINS0_14default_configENS1_25partition_config_selectorILNS1_17partition_subalgoE9EllbEEZZNS1_14partition_implILS5_9ELb0ES3_jPlS8_PNS0_10empty_typeENS0_5tupleIJS8_S9_EEENSB_IJS8_SA_EEENS0_18inequality_wrapperIZN2at6native12_GLOBAL__N_124unique_dim_cuda_templateIfEESt5tupleIJNSF_6TensorESK_SK_EERKSK_lbbbEUlllE0_EEPmJS9_EEE10hipError_tPvRmT3_T4_T5_T6_T7_T9_mT8_P12ihipStream_tbDpT10_ENKUlT_T0_E_clISt17integral_constantIbLb1EES19_IbLb0EEEEDaS15_S16_EUlS15_E_NS1_11comp_targetILNS1_3genE3ELNS1_11target_archE908ELNS1_3gpuE7ELNS1_3repE0EEENS1_30default_config_static_selectorELNS0_4arch9wavefront6targetE1EEEvT1_,comdat
	.globl	_ZN7rocprim17ROCPRIM_400000_NS6detail17trampoline_kernelINS0_14default_configENS1_25partition_config_selectorILNS1_17partition_subalgoE9EllbEEZZNS1_14partition_implILS5_9ELb0ES3_jPlS8_PNS0_10empty_typeENS0_5tupleIJS8_S9_EEENSB_IJS8_SA_EEENS0_18inequality_wrapperIZN2at6native12_GLOBAL__N_124unique_dim_cuda_templateIfEESt5tupleIJNSF_6TensorESK_SK_EERKSK_lbbbEUlllE0_EEPmJS9_EEE10hipError_tPvRmT3_T4_T5_T6_T7_T9_mT8_P12ihipStream_tbDpT10_ENKUlT_T0_E_clISt17integral_constantIbLb1EES19_IbLb0EEEEDaS15_S16_EUlS15_E_NS1_11comp_targetILNS1_3genE3ELNS1_11target_archE908ELNS1_3gpuE7ELNS1_3repE0EEENS1_30default_config_static_selectorELNS0_4arch9wavefront6targetE1EEEvT1_ ; -- Begin function _ZN7rocprim17ROCPRIM_400000_NS6detail17trampoline_kernelINS0_14default_configENS1_25partition_config_selectorILNS1_17partition_subalgoE9EllbEEZZNS1_14partition_implILS5_9ELb0ES3_jPlS8_PNS0_10empty_typeENS0_5tupleIJS8_S9_EEENSB_IJS8_SA_EEENS0_18inequality_wrapperIZN2at6native12_GLOBAL__N_124unique_dim_cuda_templateIfEESt5tupleIJNSF_6TensorESK_SK_EERKSK_lbbbEUlllE0_EEPmJS9_EEE10hipError_tPvRmT3_T4_T5_T6_T7_T9_mT8_P12ihipStream_tbDpT10_ENKUlT_T0_E_clISt17integral_constantIbLb1EES19_IbLb0EEEEDaS15_S16_EUlS15_E_NS1_11comp_targetILNS1_3genE3ELNS1_11target_archE908ELNS1_3gpuE7ELNS1_3repE0EEENS1_30default_config_static_selectorELNS0_4arch9wavefront6targetE1EEEvT1_
	.p2align	8
	.type	_ZN7rocprim17ROCPRIM_400000_NS6detail17trampoline_kernelINS0_14default_configENS1_25partition_config_selectorILNS1_17partition_subalgoE9EllbEEZZNS1_14partition_implILS5_9ELb0ES3_jPlS8_PNS0_10empty_typeENS0_5tupleIJS8_S9_EEENSB_IJS8_SA_EEENS0_18inequality_wrapperIZN2at6native12_GLOBAL__N_124unique_dim_cuda_templateIfEESt5tupleIJNSF_6TensorESK_SK_EERKSK_lbbbEUlllE0_EEPmJS9_EEE10hipError_tPvRmT3_T4_T5_T6_T7_T9_mT8_P12ihipStream_tbDpT10_ENKUlT_T0_E_clISt17integral_constantIbLb1EES19_IbLb0EEEEDaS15_S16_EUlS15_E_NS1_11comp_targetILNS1_3genE3ELNS1_11target_archE908ELNS1_3gpuE7ELNS1_3repE0EEENS1_30default_config_static_selectorELNS0_4arch9wavefront6targetE1EEEvT1_,@function
_ZN7rocprim17ROCPRIM_400000_NS6detail17trampoline_kernelINS0_14default_configENS1_25partition_config_selectorILNS1_17partition_subalgoE9EllbEEZZNS1_14partition_implILS5_9ELb0ES3_jPlS8_PNS0_10empty_typeENS0_5tupleIJS8_S9_EEENSB_IJS8_SA_EEENS0_18inequality_wrapperIZN2at6native12_GLOBAL__N_124unique_dim_cuda_templateIfEESt5tupleIJNSF_6TensorESK_SK_EERKSK_lbbbEUlllE0_EEPmJS9_EEE10hipError_tPvRmT3_T4_T5_T6_T7_T9_mT8_P12ihipStream_tbDpT10_ENKUlT_T0_E_clISt17integral_constantIbLb1EES19_IbLb0EEEEDaS15_S16_EUlS15_E_NS1_11comp_targetILNS1_3genE3ELNS1_11target_archE908ELNS1_3gpuE7ELNS1_3repE0EEENS1_30default_config_static_selectorELNS0_4arch9wavefront6targetE1EEEvT1_: ; @_ZN7rocprim17ROCPRIM_400000_NS6detail17trampoline_kernelINS0_14default_configENS1_25partition_config_selectorILNS1_17partition_subalgoE9EllbEEZZNS1_14partition_implILS5_9ELb0ES3_jPlS8_PNS0_10empty_typeENS0_5tupleIJS8_S9_EEENSB_IJS8_SA_EEENS0_18inequality_wrapperIZN2at6native12_GLOBAL__N_124unique_dim_cuda_templateIfEESt5tupleIJNSF_6TensorESK_SK_EERKSK_lbbbEUlllE0_EEPmJS9_EEE10hipError_tPvRmT3_T4_T5_T6_T7_T9_mT8_P12ihipStream_tbDpT10_ENKUlT_T0_E_clISt17integral_constantIbLb1EES19_IbLb0EEEEDaS15_S16_EUlS15_E_NS1_11comp_targetILNS1_3genE3ELNS1_11target_archE908ELNS1_3gpuE7ELNS1_3repE0EEENS1_30default_config_static_selectorELNS0_4arch9wavefront6targetE1EEEvT1_
; %bb.0:
	.section	.rodata,"a",@progbits
	.p2align	6, 0x0
	.amdhsa_kernel _ZN7rocprim17ROCPRIM_400000_NS6detail17trampoline_kernelINS0_14default_configENS1_25partition_config_selectorILNS1_17partition_subalgoE9EllbEEZZNS1_14partition_implILS5_9ELb0ES3_jPlS8_PNS0_10empty_typeENS0_5tupleIJS8_S9_EEENSB_IJS8_SA_EEENS0_18inequality_wrapperIZN2at6native12_GLOBAL__N_124unique_dim_cuda_templateIfEESt5tupleIJNSF_6TensorESK_SK_EERKSK_lbbbEUlllE0_EEPmJS9_EEE10hipError_tPvRmT3_T4_T5_T6_T7_T9_mT8_P12ihipStream_tbDpT10_ENKUlT_T0_E_clISt17integral_constantIbLb1EES19_IbLb0EEEEDaS15_S16_EUlS15_E_NS1_11comp_targetILNS1_3genE3ELNS1_11target_archE908ELNS1_3gpuE7ELNS1_3repE0EEENS1_30default_config_static_selectorELNS0_4arch9wavefront6targetE1EEEvT1_
		.amdhsa_group_segment_fixed_size 0
		.amdhsa_private_segment_fixed_size 0
		.amdhsa_kernarg_size 120
		.amdhsa_user_sgpr_count 6
		.amdhsa_user_sgpr_private_segment_buffer 1
		.amdhsa_user_sgpr_dispatch_ptr 0
		.amdhsa_user_sgpr_queue_ptr 0
		.amdhsa_user_sgpr_kernarg_segment_ptr 1
		.amdhsa_user_sgpr_dispatch_id 0
		.amdhsa_user_sgpr_flat_scratch_init 0
		.amdhsa_user_sgpr_kernarg_preload_length 0
		.amdhsa_user_sgpr_kernarg_preload_offset 0
		.amdhsa_user_sgpr_private_segment_size 0
		.amdhsa_uses_dynamic_stack 0
		.amdhsa_system_sgpr_private_segment_wavefront_offset 0
		.amdhsa_system_sgpr_workgroup_id_x 1
		.amdhsa_system_sgpr_workgroup_id_y 0
		.amdhsa_system_sgpr_workgroup_id_z 0
		.amdhsa_system_sgpr_workgroup_info 0
		.amdhsa_system_vgpr_workitem_id 0
		.amdhsa_next_free_vgpr 1
		.amdhsa_next_free_sgpr 0
		.amdhsa_accum_offset 4
		.amdhsa_reserve_vcc 0
		.amdhsa_reserve_flat_scratch 0
		.amdhsa_float_round_mode_32 0
		.amdhsa_float_round_mode_16_64 0
		.amdhsa_float_denorm_mode_32 3
		.amdhsa_float_denorm_mode_16_64 3
		.amdhsa_dx10_clamp 1
		.amdhsa_ieee_mode 1
		.amdhsa_fp16_overflow 0
		.amdhsa_tg_split 0
		.amdhsa_exception_fp_ieee_invalid_op 0
		.amdhsa_exception_fp_denorm_src 0
		.amdhsa_exception_fp_ieee_div_zero 0
		.amdhsa_exception_fp_ieee_overflow 0
		.amdhsa_exception_fp_ieee_underflow 0
		.amdhsa_exception_fp_ieee_inexact 0
		.amdhsa_exception_int_div_zero 0
	.end_amdhsa_kernel
	.section	.text._ZN7rocprim17ROCPRIM_400000_NS6detail17trampoline_kernelINS0_14default_configENS1_25partition_config_selectorILNS1_17partition_subalgoE9EllbEEZZNS1_14partition_implILS5_9ELb0ES3_jPlS8_PNS0_10empty_typeENS0_5tupleIJS8_S9_EEENSB_IJS8_SA_EEENS0_18inequality_wrapperIZN2at6native12_GLOBAL__N_124unique_dim_cuda_templateIfEESt5tupleIJNSF_6TensorESK_SK_EERKSK_lbbbEUlllE0_EEPmJS9_EEE10hipError_tPvRmT3_T4_T5_T6_T7_T9_mT8_P12ihipStream_tbDpT10_ENKUlT_T0_E_clISt17integral_constantIbLb1EES19_IbLb0EEEEDaS15_S16_EUlS15_E_NS1_11comp_targetILNS1_3genE3ELNS1_11target_archE908ELNS1_3gpuE7ELNS1_3repE0EEENS1_30default_config_static_selectorELNS0_4arch9wavefront6targetE1EEEvT1_,"axG",@progbits,_ZN7rocprim17ROCPRIM_400000_NS6detail17trampoline_kernelINS0_14default_configENS1_25partition_config_selectorILNS1_17partition_subalgoE9EllbEEZZNS1_14partition_implILS5_9ELb0ES3_jPlS8_PNS0_10empty_typeENS0_5tupleIJS8_S9_EEENSB_IJS8_SA_EEENS0_18inequality_wrapperIZN2at6native12_GLOBAL__N_124unique_dim_cuda_templateIfEESt5tupleIJNSF_6TensorESK_SK_EERKSK_lbbbEUlllE0_EEPmJS9_EEE10hipError_tPvRmT3_T4_T5_T6_T7_T9_mT8_P12ihipStream_tbDpT10_ENKUlT_T0_E_clISt17integral_constantIbLb1EES19_IbLb0EEEEDaS15_S16_EUlS15_E_NS1_11comp_targetILNS1_3genE3ELNS1_11target_archE908ELNS1_3gpuE7ELNS1_3repE0EEENS1_30default_config_static_selectorELNS0_4arch9wavefront6targetE1EEEvT1_,comdat
.Lfunc_end980:
	.size	_ZN7rocprim17ROCPRIM_400000_NS6detail17trampoline_kernelINS0_14default_configENS1_25partition_config_selectorILNS1_17partition_subalgoE9EllbEEZZNS1_14partition_implILS5_9ELb0ES3_jPlS8_PNS0_10empty_typeENS0_5tupleIJS8_S9_EEENSB_IJS8_SA_EEENS0_18inequality_wrapperIZN2at6native12_GLOBAL__N_124unique_dim_cuda_templateIfEESt5tupleIJNSF_6TensorESK_SK_EERKSK_lbbbEUlllE0_EEPmJS9_EEE10hipError_tPvRmT3_T4_T5_T6_T7_T9_mT8_P12ihipStream_tbDpT10_ENKUlT_T0_E_clISt17integral_constantIbLb1EES19_IbLb0EEEEDaS15_S16_EUlS15_E_NS1_11comp_targetILNS1_3genE3ELNS1_11target_archE908ELNS1_3gpuE7ELNS1_3repE0EEENS1_30default_config_static_selectorELNS0_4arch9wavefront6targetE1EEEvT1_, .Lfunc_end980-_ZN7rocprim17ROCPRIM_400000_NS6detail17trampoline_kernelINS0_14default_configENS1_25partition_config_selectorILNS1_17partition_subalgoE9EllbEEZZNS1_14partition_implILS5_9ELb0ES3_jPlS8_PNS0_10empty_typeENS0_5tupleIJS8_S9_EEENSB_IJS8_SA_EEENS0_18inequality_wrapperIZN2at6native12_GLOBAL__N_124unique_dim_cuda_templateIfEESt5tupleIJNSF_6TensorESK_SK_EERKSK_lbbbEUlllE0_EEPmJS9_EEE10hipError_tPvRmT3_T4_T5_T6_T7_T9_mT8_P12ihipStream_tbDpT10_ENKUlT_T0_E_clISt17integral_constantIbLb1EES19_IbLb0EEEEDaS15_S16_EUlS15_E_NS1_11comp_targetILNS1_3genE3ELNS1_11target_archE908ELNS1_3gpuE7ELNS1_3repE0EEENS1_30default_config_static_selectorELNS0_4arch9wavefront6targetE1EEEvT1_
                                        ; -- End function
	.section	.AMDGPU.csdata,"",@progbits
; Kernel info:
; codeLenInByte = 0
; NumSgprs: 4
; NumVgprs: 0
; NumAgprs: 0
; TotalNumVgprs: 0
; ScratchSize: 0
; MemoryBound: 0
; FloatMode: 240
; IeeeMode: 1
; LDSByteSize: 0 bytes/workgroup (compile time only)
; SGPRBlocks: 0
; VGPRBlocks: 0
; NumSGPRsForWavesPerEU: 4
; NumVGPRsForWavesPerEU: 1
; AccumOffset: 4
; Occupancy: 8
; WaveLimiterHint : 0
; COMPUTE_PGM_RSRC2:SCRATCH_EN: 0
; COMPUTE_PGM_RSRC2:USER_SGPR: 6
; COMPUTE_PGM_RSRC2:TRAP_HANDLER: 0
; COMPUTE_PGM_RSRC2:TGID_X_EN: 1
; COMPUTE_PGM_RSRC2:TGID_Y_EN: 0
; COMPUTE_PGM_RSRC2:TGID_Z_EN: 0
; COMPUTE_PGM_RSRC2:TIDIG_COMP_CNT: 0
; COMPUTE_PGM_RSRC3_GFX90A:ACCUM_OFFSET: 0
; COMPUTE_PGM_RSRC3_GFX90A:TG_SPLIT: 0
	.section	.text._ZN7rocprim17ROCPRIM_400000_NS6detail17trampoline_kernelINS0_14default_configENS1_25partition_config_selectorILNS1_17partition_subalgoE9EllbEEZZNS1_14partition_implILS5_9ELb0ES3_jPlS8_PNS0_10empty_typeENS0_5tupleIJS8_S9_EEENSB_IJS8_SA_EEENS0_18inequality_wrapperIZN2at6native12_GLOBAL__N_124unique_dim_cuda_templateIfEESt5tupleIJNSF_6TensorESK_SK_EERKSK_lbbbEUlllE0_EEPmJS9_EEE10hipError_tPvRmT3_T4_T5_T6_T7_T9_mT8_P12ihipStream_tbDpT10_ENKUlT_T0_E_clISt17integral_constantIbLb1EES19_IbLb0EEEEDaS15_S16_EUlS15_E_NS1_11comp_targetILNS1_3genE2ELNS1_11target_archE906ELNS1_3gpuE6ELNS1_3repE0EEENS1_30default_config_static_selectorELNS0_4arch9wavefront6targetE1EEEvT1_,"axG",@progbits,_ZN7rocprim17ROCPRIM_400000_NS6detail17trampoline_kernelINS0_14default_configENS1_25partition_config_selectorILNS1_17partition_subalgoE9EllbEEZZNS1_14partition_implILS5_9ELb0ES3_jPlS8_PNS0_10empty_typeENS0_5tupleIJS8_S9_EEENSB_IJS8_SA_EEENS0_18inequality_wrapperIZN2at6native12_GLOBAL__N_124unique_dim_cuda_templateIfEESt5tupleIJNSF_6TensorESK_SK_EERKSK_lbbbEUlllE0_EEPmJS9_EEE10hipError_tPvRmT3_T4_T5_T6_T7_T9_mT8_P12ihipStream_tbDpT10_ENKUlT_T0_E_clISt17integral_constantIbLb1EES19_IbLb0EEEEDaS15_S16_EUlS15_E_NS1_11comp_targetILNS1_3genE2ELNS1_11target_archE906ELNS1_3gpuE6ELNS1_3repE0EEENS1_30default_config_static_selectorELNS0_4arch9wavefront6targetE1EEEvT1_,comdat
	.globl	_ZN7rocprim17ROCPRIM_400000_NS6detail17trampoline_kernelINS0_14default_configENS1_25partition_config_selectorILNS1_17partition_subalgoE9EllbEEZZNS1_14partition_implILS5_9ELb0ES3_jPlS8_PNS0_10empty_typeENS0_5tupleIJS8_S9_EEENSB_IJS8_SA_EEENS0_18inequality_wrapperIZN2at6native12_GLOBAL__N_124unique_dim_cuda_templateIfEESt5tupleIJNSF_6TensorESK_SK_EERKSK_lbbbEUlllE0_EEPmJS9_EEE10hipError_tPvRmT3_T4_T5_T6_T7_T9_mT8_P12ihipStream_tbDpT10_ENKUlT_T0_E_clISt17integral_constantIbLb1EES19_IbLb0EEEEDaS15_S16_EUlS15_E_NS1_11comp_targetILNS1_3genE2ELNS1_11target_archE906ELNS1_3gpuE6ELNS1_3repE0EEENS1_30default_config_static_selectorELNS0_4arch9wavefront6targetE1EEEvT1_ ; -- Begin function _ZN7rocprim17ROCPRIM_400000_NS6detail17trampoline_kernelINS0_14default_configENS1_25partition_config_selectorILNS1_17partition_subalgoE9EllbEEZZNS1_14partition_implILS5_9ELb0ES3_jPlS8_PNS0_10empty_typeENS0_5tupleIJS8_S9_EEENSB_IJS8_SA_EEENS0_18inequality_wrapperIZN2at6native12_GLOBAL__N_124unique_dim_cuda_templateIfEESt5tupleIJNSF_6TensorESK_SK_EERKSK_lbbbEUlllE0_EEPmJS9_EEE10hipError_tPvRmT3_T4_T5_T6_T7_T9_mT8_P12ihipStream_tbDpT10_ENKUlT_T0_E_clISt17integral_constantIbLb1EES19_IbLb0EEEEDaS15_S16_EUlS15_E_NS1_11comp_targetILNS1_3genE2ELNS1_11target_archE906ELNS1_3gpuE6ELNS1_3repE0EEENS1_30default_config_static_selectorELNS0_4arch9wavefront6targetE1EEEvT1_
	.p2align	8
	.type	_ZN7rocprim17ROCPRIM_400000_NS6detail17trampoline_kernelINS0_14default_configENS1_25partition_config_selectorILNS1_17partition_subalgoE9EllbEEZZNS1_14partition_implILS5_9ELb0ES3_jPlS8_PNS0_10empty_typeENS0_5tupleIJS8_S9_EEENSB_IJS8_SA_EEENS0_18inequality_wrapperIZN2at6native12_GLOBAL__N_124unique_dim_cuda_templateIfEESt5tupleIJNSF_6TensorESK_SK_EERKSK_lbbbEUlllE0_EEPmJS9_EEE10hipError_tPvRmT3_T4_T5_T6_T7_T9_mT8_P12ihipStream_tbDpT10_ENKUlT_T0_E_clISt17integral_constantIbLb1EES19_IbLb0EEEEDaS15_S16_EUlS15_E_NS1_11comp_targetILNS1_3genE2ELNS1_11target_archE906ELNS1_3gpuE6ELNS1_3repE0EEENS1_30default_config_static_selectorELNS0_4arch9wavefront6targetE1EEEvT1_,@function
_ZN7rocprim17ROCPRIM_400000_NS6detail17trampoline_kernelINS0_14default_configENS1_25partition_config_selectorILNS1_17partition_subalgoE9EllbEEZZNS1_14partition_implILS5_9ELb0ES3_jPlS8_PNS0_10empty_typeENS0_5tupleIJS8_S9_EEENSB_IJS8_SA_EEENS0_18inequality_wrapperIZN2at6native12_GLOBAL__N_124unique_dim_cuda_templateIfEESt5tupleIJNSF_6TensorESK_SK_EERKSK_lbbbEUlllE0_EEPmJS9_EEE10hipError_tPvRmT3_T4_T5_T6_T7_T9_mT8_P12ihipStream_tbDpT10_ENKUlT_T0_E_clISt17integral_constantIbLb1EES19_IbLb0EEEEDaS15_S16_EUlS15_E_NS1_11comp_targetILNS1_3genE2ELNS1_11target_archE906ELNS1_3gpuE6ELNS1_3repE0EEENS1_30default_config_static_selectorELNS0_4arch9wavefront6targetE1EEEvT1_: ; @_ZN7rocprim17ROCPRIM_400000_NS6detail17trampoline_kernelINS0_14default_configENS1_25partition_config_selectorILNS1_17partition_subalgoE9EllbEEZZNS1_14partition_implILS5_9ELb0ES3_jPlS8_PNS0_10empty_typeENS0_5tupleIJS8_S9_EEENSB_IJS8_SA_EEENS0_18inequality_wrapperIZN2at6native12_GLOBAL__N_124unique_dim_cuda_templateIfEESt5tupleIJNSF_6TensorESK_SK_EERKSK_lbbbEUlllE0_EEPmJS9_EEE10hipError_tPvRmT3_T4_T5_T6_T7_T9_mT8_P12ihipStream_tbDpT10_ENKUlT_T0_E_clISt17integral_constantIbLb1EES19_IbLb0EEEEDaS15_S16_EUlS15_E_NS1_11comp_targetILNS1_3genE2ELNS1_11target_archE906ELNS1_3gpuE6ELNS1_3repE0EEENS1_30default_config_static_selectorELNS0_4arch9wavefront6targetE1EEEvT1_
; %bb.0:
	.section	.rodata,"a",@progbits
	.p2align	6, 0x0
	.amdhsa_kernel _ZN7rocprim17ROCPRIM_400000_NS6detail17trampoline_kernelINS0_14default_configENS1_25partition_config_selectorILNS1_17partition_subalgoE9EllbEEZZNS1_14partition_implILS5_9ELb0ES3_jPlS8_PNS0_10empty_typeENS0_5tupleIJS8_S9_EEENSB_IJS8_SA_EEENS0_18inequality_wrapperIZN2at6native12_GLOBAL__N_124unique_dim_cuda_templateIfEESt5tupleIJNSF_6TensorESK_SK_EERKSK_lbbbEUlllE0_EEPmJS9_EEE10hipError_tPvRmT3_T4_T5_T6_T7_T9_mT8_P12ihipStream_tbDpT10_ENKUlT_T0_E_clISt17integral_constantIbLb1EES19_IbLb0EEEEDaS15_S16_EUlS15_E_NS1_11comp_targetILNS1_3genE2ELNS1_11target_archE906ELNS1_3gpuE6ELNS1_3repE0EEENS1_30default_config_static_selectorELNS0_4arch9wavefront6targetE1EEEvT1_
		.amdhsa_group_segment_fixed_size 0
		.amdhsa_private_segment_fixed_size 0
		.amdhsa_kernarg_size 120
		.amdhsa_user_sgpr_count 6
		.amdhsa_user_sgpr_private_segment_buffer 1
		.amdhsa_user_sgpr_dispatch_ptr 0
		.amdhsa_user_sgpr_queue_ptr 0
		.amdhsa_user_sgpr_kernarg_segment_ptr 1
		.amdhsa_user_sgpr_dispatch_id 0
		.amdhsa_user_sgpr_flat_scratch_init 0
		.amdhsa_user_sgpr_kernarg_preload_length 0
		.amdhsa_user_sgpr_kernarg_preload_offset 0
		.amdhsa_user_sgpr_private_segment_size 0
		.amdhsa_uses_dynamic_stack 0
		.amdhsa_system_sgpr_private_segment_wavefront_offset 0
		.amdhsa_system_sgpr_workgroup_id_x 1
		.amdhsa_system_sgpr_workgroup_id_y 0
		.amdhsa_system_sgpr_workgroup_id_z 0
		.amdhsa_system_sgpr_workgroup_info 0
		.amdhsa_system_vgpr_workitem_id 0
		.amdhsa_next_free_vgpr 1
		.amdhsa_next_free_sgpr 0
		.amdhsa_accum_offset 4
		.amdhsa_reserve_vcc 0
		.amdhsa_reserve_flat_scratch 0
		.amdhsa_float_round_mode_32 0
		.amdhsa_float_round_mode_16_64 0
		.amdhsa_float_denorm_mode_32 3
		.amdhsa_float_denorm_mode_16_64 3
		.amdhsa_dx10_clamp 1
		.amdhsa_ieee_mode 1
		.amdhsa_fp16_overflow 0
		.amdhsa_tg_split 0
		.amdhsa_exception_fp_ieee_invalid_op 0
		.amdhsa_exception_fp_denorm_src 0
		.amdhsa_exception_fp_ieee_div_zero 0
		.amdhsa_exception_fp_ieee_overflow 0
		.amdhsa_exception_fp_ieee_underflow 0
		.amdhsa_exception_fp_ieee_inexact 0
		.amdhsa_exception_int_div_zero 0
	.end_amdhsa_kernel
	.section	.text._ZN7rocprim17ROCPRIM_400000_NS6detail17trampoline_kernelINS0_14default_configENS1_25partition_config_selectorILNS1_17partition_subalgoE9EllbEEZZNS1_14partition_implILS5_9ELb0ES3_jPlS8_PNS0_10empty_typeENS0_5tupleIJS8_S9_EEENSB_IJS8_SA_EEENS0_18inequality_wrapperIZN2at6native12_GLOBAL__N_124unique_dim_cuda_templateIfEESt5tupleIJNSF_6TensorESK_SK_EERKSK_lbbbEUlllE0_EEPmJS9_EEE10hipError_tPvRmT3_T4_T5_T6_T7_T9_mT8_P12ihipStream_tbDpT10_ENKUlT_T0_E_clISt17integral_constantIbLb1EES19_IbLb0EEEEDaS15_S16_EUlS15_E_NS1_11comp_targetILNS1_3genE2ELNS1_11target_archE906ELNS1_3gpuE6ELNS1_3repE0EEENS1_30default_config_static_selectorELNS0_4arch9wavefront6targetE1EEEvT1_,"axG",@progbits,_ZN7rocprim17ROCPRIM_400000_NS6detail17trampoline_kernelINS0_14default_configENS1_25partition_config_selectorILNS1_17partition_subalgoE9EllbEEZZNS1_14partition_implILS5_9ELb0ES3_jPlS8_PNS0_10empty_typeENS0_5tupleIJS8_S9_EEENSB_IJS8_SA_EEENS0_18inequality_wrapperIZN2at6native12_GLOBAL__N_124unique_dim_cuda_templateIfEESt5tupleIJNSF_6TensorESK_SK_EERKSK_lbbbEUlllE0_EEPmJS9_EEE10hipError_tPvRmT3_T4_T5_T6_T7_T9_mT8_P12ihipStream_tbDpT10_ENKUlT_T0_E_clISt17integral_constantIbLb1EES19_IbLb0EEEEDaS15_S16_EUlS15_E_NS1_11comp_targetILNS1_3genE2ELNS1_11target_archE906ELNS1_3gpuE6ELNS1_3repE0EEENS1_30default_config_static_selectorELNS0_4arch9wavefront6targetE1EEEvT1_,comdat
.Lfunc_end981:
	.size	_ZN7rocprim17ROCPRIM_400000_NS6detail17trampoline_kernelINS0_14default_configENS1_25partition_config_selectorILNS1_17partition_subalgoE9EllbEEZZNS1_14partition_implILS5_9ELb0ES3_jPlS8_PNS0_10empty_typeENS0_5tupleIJS8_S9_EEENSB_IJS8_SA_EEENS0_18inequality_wrapperIZN2at6native12_GLOBAL__N_124unique_dim_cuda_templateIfEESt5tupleIJNSF_6TensorESK_SK_EERKSK_lbbbEUlllE0_EEPmJS9_EEE10hipError_tPvRmT3_T4_T5_T6_T7_T9_mT8_P12ihipStream_tbDpT10_ENKUlT_T0_E_clISt17integral_constantIbLb1EES19_IbLb0EEEEDaS15_S16_EUlS15_E_NS1_11comp_targetILNS1_3genE2ELNS1_11target_archE906ELNS1_3gpuE6ELNS1_3repE0EEENS1_30default_config_static_selectorELNS0_4arch9wavefront6targetE1EEEvT1_, .Lfunc_end981-_ZN7rocprim17ROCPRIM_400000_NS6detail17trampoline_kernelINS0_14default_configENS1_25partition_config_selectorILNS1_17partition_subalgoE9EllbEEZZNS1_14partition_implILS5_9ELb0ES3_jPlS8_PNS0_10empty_typeENS0_5tupleIJS8_S9_EEENSB_IJS8_SA_EEENS0_18inequality_wrapperIZN2at6native12_GLOBAL__N_124unique_dim_cuda_templateIfEESt5tupleIJNSF_6TensorESK_SK_EERKSK_lbbbEUlllE0_EEPmJS9_EEE10hipError_tPvRmT3_T4_T5_T6_T7_T9_mT8_P12ihipStream_tbDpT10_ENKUlT_T0_E_clISt17integral_constantIbLb1EES19_IbLb0EEEEDaS15_S16_EUlS15_E_NS1_11comp_targetILNS1_3genE2ELNS1_11target_archE906ELNS1_3gpuE6ELNS1_3repE0EEENS1_30default_config_static_selectorELNS0_4arch9wavefront6targetE1EEEvT1_
                                        ; -- End function
	.section	.AMDGPU.csdata,"",@progbits
; Kernel info:
; codeLenInByte = 0
; NumSgprs: 4
; NumVgprs: 0
; NumAgprs: 0
; TotalNumVgprs: 0
; ScratchSize: 0
; MemoryBound: 0
; FloatMode: 240
; IeeeMode: 1
; LDSByteSize: 0 bytes/workgroup (compile time only)
; SGPRBlocks: 0
; VGPRBlocks: 0
; NumSGPRsForWavesPerEU: 4
; NumVGPRsForWavesPerEU: 1
; AccumOffset: 4
; Occupancy: 8
; WaveLimiterHint : 0
; COMPUTE_PGM_RSRC2:SCRATCH_EN: 0
; COMPUTE_PGM_RSRC2:USER_SGPR: 6
; COMPUTE_PGM_RSRC2:TRAP_HANDLER: 0
; COMPUTE_PGM_RSRC2:TGID_X_EN: 1
; COMPUTE_PGM_RSRC2:TGID_Y_EN: 0
; COMPUTE_PGM_RSRC2:TGID_Z_EN: 0
; COMPUTE_PGM_RSRC2:TIDIG_COMP_CNT: 0
; COMPUTE_PGM_RSRC3_GFX90A:ACCUM_OFFSET: 0
; COMPUTE_PGM_RSRC3_GFX90A:TG_SPLIT: 0
	.section	.text._ZN7rocprim17ROCPRIM_400000_NS6detail17trampoline_kernelINS0_14default_configENS1_25partition_config_selectorILNS1_17partition_subalgoE9EllbEEZZNS1_14partition_implILS5_9ELb0ES3_jPlS8_PNS0_10empty_typeENS0_5tupleIJS8_S9_EEENSB_IJS8_SA_EEENS0_18inequality_wrapperIZN2at6native12_GLOBAL__N_124unique_dim_cuda_templateIfEESt5tupleIJNSF_6TensorESK_SK_EERKSK_lbbbEUlllE0_EEPmJS9_EEE10hipError_tPvRmT3_T4_T5_T6_T7_T9_mT8_P12ihipStream_tbDpT10_ENKUlT_T0_E_clISt17integral_constantIbLb1EES19_IbLb0EEEEDaS15_S16_EUlS15_E_NS1_11comp_targetILNS1_3genE10ELNS1_11target_archE1200ELNS1_3gpuE4ELNS1_3repE0EEENS1_30default_config_static_selectorELNS0_4arch9wavefront6targetE1EEEvT1_,"axG",@progbits,_ZN7rocprim17ROCPRIM_400000_NS6detail17trampoline_kernelINS0_14default_configENS1_25partition_config_selectorILNS1_17partition_subalgoE9EllbEEZZNS1_14partition_implILS5_9ELb0ES3_jPlS8_PNS0_10empty_typeENS0_5tupleIJS8_S9_EEENSB_IJS8_SA_EEENS0_18inequality_wrapperIZN2at6native12_GLOBAL__N_124unique_dim_cuda_templateIfEESt5tupleIJNSF_6TensorESK_SK_EERKSK_lbbbEUlllE0_EEPmJS9_EEE10hipError_tPvRmT3_T4_T5_T6_T7_T9_mT8_P12ihipStream_tbDpT10_ENKUlT_T0_E_clISt17integral_constantIbLb1EES19_IbLb0EEEEDaS15_S16_EUlS15_E_NS1_11comp_targetILNS1_3genE10ELNS1_11target_archE1200ELNS1_3gpuE4ELNS1_3repE0EEENS1_30default_config_static_selectorELNS0_4arch9wavefront6targetE1EEEvT1_,comdat
	.globl	_ZN7rocprim17ROCPRIM_400000_NS6detail17trampoline_kernelINS0_14default_configENS1_25partition_config_selectorILNS1_17partition_subalgoE9EllbEEZZNS1_14partition_implILS5_9ELb0ES3_jPlS8_PNS0_10empty_typeENS0_5tupleIJS8_S9_EEENSB_IJS8_SA_EEENS0_18inequality_wrapperIZN2at6native12_GLOBAL__N_124unique_dim_cuda_templateIfEESt5tupleIJNSF_6TensorESK_SK_EERKSK_lbbbEUlllE0_EEPmJS9_EEE10hipError_tPvRmT3_T4_T5_T6_T7_T9_mT8_P12ihipStream_tbDpT10_ENKUlT_T0_E_clISt17integral_constantIbLb1EES19_IbLb0EEEEDaS15_S16_EUlS15_E_NS1_11comp_targetILNS1_3genE10ELNS1_11target_archE1200ELNS1_3gpuE4ELNS1_3repE0EEENS1_30default_config_static_selectorELNS0_4arch9wavefront6targetE1EEEvT1_ ; -- Begin function _ZN7rocprim17ROCPRIM_400000_NS6detail17trampoline_kernelINS0_14default_configENS1_25partition_config_selectorILNS1_17partition_subalgoE9EllbEEZZNS1_14partition_implILS5_9ELb0ES3_jPlS8_PNS0_10empty_typeENS0_5tupleIJS8_S9_EEENSB_IJS8_SA_EEENS0_18inequality_wrapperIZN2at6native12_GLOBAL__N_124unique_dim_cuda_templateIfEESt5tupleIJNSF_6TensorESK_SK_EERKSK_lbbbEUlllE0_EEPmJS9_EEE10hipError_tPvRmT3_T4_T5_T6_T7_T9_mT8_P12ihipStream_tbDpT10_ENKUlT_T0_E_clISt17integral_constantIbLb1EES19_IbLb0EEEEDaS15_S16_EUlS15_E_NS1_11comp_targetILNS1_3genE10ELNS1_11target_archE1200ELNS1_3gpuE4ELNS1_3repE0EEENS1_30default_config_static_selectorELNS0_4arch9wavefront6targetE1EEEvT1_
	.p2align	8
	.type	_ZN7rocprim17ROCPRIM_400000_NS6detail17trampoline_kernelINS0_14default_configENS1_25partition_config_selectorILNS1_17partition_subalgoE9EllbEEZZNS1_14partition_implILS5_9ELb0ES3_jPlS8_PNS0_10empty_typeENS0_5tupleIJS8_S9_EEENSB_IJS8_SA_EEENS0_18inequality_wrapperIZN2at6native12_GLOBAL__N_124unique_dim_cuda_templateIfEESt5tupleIJNSF_6TensorESK_SK_EERKSK_lbbbEUlllE0_EEPmJS9_EEE10hipError_tPvRmT3_T4_T5_T6_T7_T9_mT8_P12ihipStream_tbDpT10_ENKUlT_T0_E_clISt17integral_constantIbLb1EES19_IbLb0EEEEDaS15_S16_EUlS15_E_NS1_11comp_targetILNS1_3genE10ELNS1_11target_archE1200ELNS1_3gpuE4ELNS1_3repE0EEENS1_30default_config_static_selectorELNS0_4arch9wavefront6targetE1EEEvT1_,@function
_ZN7rocprim17ROCPRIM_400000_NS6detail17trampoline_kernelINS0_14default_configENS1_25partition_config_selectorILNS1_17partition_subalgoE9EllbEEZZNS1_14partition_implILS5_9ELb0ES3_jPlS8_PNS0_10empty_typeENS0_5tupleIJS8_S9_EEENSB_IJS8_SA_EEENS0_18inequality_wrapperIZN2at6native12_GLOBAL__N_124unique_dim_cuda_templateIfEESt5tupleIJNSF_6TensorESK_SK_EERKSK_lbbbEUlllE0_EEPmJS9_EEE10hipError_tPvRmT3_T4_T5_T6_T7_T9_mT8_P12ihipStream_tbDpT10_ENKUlT_T0_E_clISt17integral_constantIbLb1EES19_IbLb0EEEEDaS15_S16_EUlS15_E_NS1_11comp_targetILNS1_3genE10ELNS1_11target_archE1200ELNS1_3gpuE4ELNS1_3repE0EEENS1_30default_config_static_selectorELNS0_4arch9wavefront6targetE1EEEvT1_: ; @_ZN7rocprim17ROCPRIM_400000_NS6detail17trampoline_kernelINS0_14default_configENS1_25partition_config_selectorILNS1_17partition_subalgoE9EllbEEZZNS1_14partition_implILS5_9ELb0ES3_jPlS8_PNS0_10empty_typeENS0_5tupleIJS8_S9_EEENSB_IJS8_SA_EEENS0_18inequality_wrapperIZN2at6native12_GLOBAL__N_124unique_dim_cuda_templateIfEESt5tupleIJNSF_6TensorESK_SK_EERKSK_lbbbEUlllE0_EEPmJS9_EEE10hipError_tPvRmT3_T4_T5_T6_T7_T9_mT8_P12ihipStream_tbDpT10_ENKUlT_T0_E_clISt17integral_constantIbLb1EES19_IbLb0EEEEDaS15_S16_EUlS15_E_NS1_11comp_targetILNS1_3genE10ELNS1_11target_archE1200ELNS1_3gpuE4ELNS1_3repE0EEENS1_30default_config_static_selectorELNS0_4arch9wavefront6targetE1EEEvT1_
; %bb.0:
	.section	.rodata,"a",@progbits
	.p2align	6, 0x0
	.amdhsa_kernel _ZN7rocprim17ROCPRIM_400000_NS6detail17trampoline_kernelINS0_14default_configENS1_25partition_config_selectorILNS1_17partition_subalgoE9EllbEEZZNS1_14partition_implILS5_9ELb0ES3_jPlS8_PNS0_10empty_typeENS0_5tupleIJS8_S9_EEENSB_IJS8_SA_EEENS0_18inequality_wrapperIZN2at6native12_GLOBAL__N_124unique_dim_cuda_templateIfEESt5tupleIJNSF_6TensorESK_SK_EERKSK_lbbbEUlllE0_EEPmJS9_EEE10hipError_tPvRmT3_T4_T5_T6_T7_T9_mT8_P12ihipStream_tbDpT10_ENKUlT_T0_E_clISt17integral_constantIbLb1EES19_IbLb0EEEEDaS15_S16_EUlS15_E_NS1_11comp_targetILNS1_3genE10ELNS1_11target_archE1200ELNS1_3gpuE4ELNS1_3repE0EEENS1_30default_config_static_selectorELNS0_4arch9wavefront6targetE1EEEvT1_
		.amdhsa_group_segment_fixed_size 0
		.amdhsa_private_segment_fixed_size 0
		.amdhsa_kernarg_size 120
		.amdhsa_user_sgpr_count 6
		.amdhsa_user_sgpr_private_segment_buffer 1
		.amdhsa_user_sgpr_dispatch_ptr 0
		.amdhsa_user_sgpr_queue_ptr 0
		.amdhsa_user_sgpr_kernarg_segment_ptr 1
		.amdhsa_user_sgpr_dispatch_id 0
		.amdhsa_user_sgpr_flat_scratch_init 0
		.amdhsa_user_sgpr_kernarg_preload_length 0
		.amdhsa_user_sgpr_kernarg_preload_offset 0
		.amdhsa_user_sgpr_private_segment_size 0
		.amdhsa_uses_dynamic_stack 0
		.amdhsa_system_sgpr_private_segment_wavefront_offset 0
		.amdhsa_system_sgpr_workgroup_id_x 1
		.amdhsa_system_sgpr_workgroup_id_y 0
		.amdhsa_system_sgpr_workgroup_id_z 0
		.amdhsa_system_sgpr_workgroup_info 0
		.amdhsa_system_vgpr_workitem_id 0
		.amdhsa_next_free_vgpr 1
		.amdhsa_next_free_sgpr 0
		.amdhsa_accum_offset 4
		.amdhsa_reserve_vcc 0
		.amdhsa_reserve_flat_scratch 0
		.amdhsa_float_round_mode_32 0
		.amdhsa_float_round_mode_16_64 0
		.amdhsa_float_denorm_mode_32 3
		.amdhsa_float_denorm_mode_16_64 3
		.amdhsa_dx10_clamp 1
		.amdhsa_ieee_mode 1
		.amdhsa_fp16_overflow 0
		.amdhsa_tg_split 0
		.amdhsa_exception_fp_ieee_invalid_op 0
		.amdhsa_exception_fp_denorm_src 0
		.amdhsa_exception_fp_ieee_div_zero 0
		.amdhsa_exception_fp_ieee_overflow 0
		.amdhsa_exception_fp_ieee_underflow 0
		.amdhsa_exception_fp_ieee_inexact 0
		.amdhsa_exception_int_div_zero 0
	.end_amdhsa_kernel
	.section	.text._ZN7rocprim17ROCPRIM_400000_NS6detail17trampoline_kernelINS0_14default_configENS1_25partition_config_selectorILNS1_17partition_subalgoE9EllbEEZZNS1_14partition_implILS5_9ELb0ES3_jPlS8_PNS0_10empty_typeENS0_5tupleIJS8_S9_EEENSB_IJS8_SA_EEENS0_18inequality_wrapperIZN2at6native12_GLOBAL__N_124unique_dim_cuda_templateIfEESt5tupleIJNSF_6TensorESK_SK_EERKSK_lbbbEUlllE0_EEPmJS9_EEE10hipError_tPvRmT3_T4_T5_T6_T7_T9_mT8_P12ihipStream_tbDpT10_ENKUlT_T0_E_clISt17integral_constantIbLb1EES19_IbLb0EEEEDaS15_S16_EUlS15_E_NS1_11comp_targetILNS1_3genE10ELNS1_11target_archE1200ELNS1_3gpuE4ELNS1_3repE0EEENS1_30default_config_static_selectorELNS0_4arch9wavefront6targetE1EEEvT1_,"axG",@progbits,_ZN7rocprim17ROCPRIM_400000_NS6detail17trampoline_kernelINS0_14default_configENS1_25partition_config_selectorILNS1_17partition_subalgoE9EllbEEZZNS1_14partition_implILS5_9ELb0ES3_jPlS8_PNS0_10empty_typeENS0_5tupleIJS8_S9_EEENSB_IJS8_SA_EEENS0_18inequality_wrapperIZN2at6native12_GLOBAL__N_124unique_dim_cuda_templateIfEESt5tupleIJNSF_6TensorESK_SK_EERKSK_lbbbEUlllE0_EEPmJS9_EEE10hipError_tPvRmT3_T4_T5_T6_T7_T9_mT8_P12ihipStream_tbDpT10_ENKUlT_T0_E_clISt17integral_constantIbLb1EES19_IbLb0EEEEDaS15_S16_EUlS15_E_NS1_11comp_targetILNS1_3genE10ELNS1_11target_archE1200ELNS1_3gpuE4ELNS1_3repE0EEENS1_30default_config_static_selectorELNS0_4arch9wavefront6targetE1EEEvT1_,comdat
.Lfunc_end982:
	.size	_ZN7rocprim17ROCPRIM_400000_NS6detail17trampoline_kernelINS0_14default_configENS1_25partition_config_selectorILNS1_17partition_subalgoE9EllbEEZZNS1_14partition_implILS5_9ELb0ES3_jPlS8_PNS0_10empty_typeENS0_5tupleIJS8_S9_EEENSB_IJS8_SA_EEENS0_18inequality_wrapperIZN2at6native12_GLOBAL__N_124unique_dim_cuda_templateIfEESt5tupleIJNSF_6TensorESK_SK_EERKSK_lbbbEUlllE0_EEPmJS9_EEE10hipError_tPvRmT3_T4_T5_T6_T7_T9_mT8_P12ihipStream_tbDpT10_ENKUlT_T0_E_clISt17integral_constantIbLb1EES19_IbLb0EEEEDaS15_S16_EUlS15_E_NS1_11comp_targetILNS1_3genE10ELNS1_11target_archE1200ELNS1_3gpuE4ELNS1_3repE0EEENS1_30default_config_static_selectorELNS0_4arch9wavefront6targetE1EEEvT1_, .Lfunc_end982-_ZN7rocprim17ROCPRIM_400000_NS6detail17trampoline_kernelINS0_14default_configENS1_25partition_config_selectorILNS1_17partition_subalgoE9EllbEEZZNS1_14partition_implILS5_9ELb0ES3_jPlS8_PNS0_10empty_typeENS0_5tupleIJS8_S9_EEENSB_IJS8_SA_EEENS0_18inequality_wrapperIZN2at6native12_GLOBAL__N_124unique_dim_cuda_templateIfEESt5tupleIJNSF_6TensorESK_SK_EERKSK_lbbbEUlllE0_EEPmJS9_EEE10hipError_tPvRmT3_T4_T5_T6_T7_T9_mT8_P12ihipStream_tbDpT10_ENKUlT_T0_E_clISt17integral_constantIbLb1EES19_IbLb0EEEEDaS15_S16_EUlS15_E_NS1_11comp_targetILNS1_3genE10ELNS1_11target_archE1200ELNS1_3gpuE4ELNS1_3repE0EEENS1_30default_config_static_selectorELNS0_4arch9wavefront6targetE1EEEvT1_
                                        ; -- End function
	.section	.AMDGPU.csdata,"",@progbits
; Kernel info:
; codeLenInByte = 0
; NumSgprs: 4
; NumVgprs: 0
; NumAgprs: 0
; TotalNumVgprs: 0
; ScratchSize: 0
; MemoryBound: 0
; FloatMode: 240
; IeeeMode: 1
; LDSByteSize: 0 bytes/workgroup (compile time only)
; SGPRBlocks: 0
; VGPRBlocks: 0
; NumSGPRsForWavesPerEU: 4
; NumVGPRsForWavesPerEU: 1
; AccumOffset: 4
; Occupancy: 8
; WaveLimiterHint : 0
; COMPUTE_PGM_RSRC2:SCRATCH_EN: 0
; COMPUTE_PGM_RSRC2:USER_SGPR: 6
; COMPUTE_PGM_RSRC2:TRAP_HANDLER: 0
; COMPUTE_PGM_RSRC2:TGID_X_EN: 1
; COMPUTE_PGM_RSRC2:TGID_Y_EN: 0
; COMPUTE_PGM_RSRC2:TGID_Z_EN: 0
; COMPUTE_PGM_RSRC2:TIDIG_COMP_CNT: 0
; COMPUTE_PGM_RSRC3_GFX90A:ACCUM_OFFSET: 0
; COMPUTE_PGM_RSRC3_GFX90A:TG_SPLIT: 0
	.section	.text._ZN7rocprim17ROCPRIM_400000_NS6detail17trampoline_kernelINS0_14default_configENS1_25partition_config_selectorILNS1_17partition_subalgoE9EllbEEZZNS1_14partition_implILS5_9ELb0ES3_jPlS8_PNS0_10empty_typeENS0_5tupleIJS8_S9_EEENSB_IJS8_SA_EEENS0_18inequality_wrapperIZN2at6native12_GLOBAL__N_124unique_dim_cuda_templateIfEESt5tupleIJNSF_6TensorESK_SK_EERKSK_lbbbEUlllE0_EEPmJS9_EEE10hipError_tPvRmT3_T4_T5_T6_T7_T9_mT8_P12ihipStream_tbDpT10_ENKUlT_T0_E_clISt17integral_constantIbLb1EES19_IbLb0EEEEDaS15_S16_EUlS15_E_NS1_11comp_targetILNS1_3genE9ELNS1_11target_archE1100ELNS1_3gpuE3ELNS1_3repE0EEENS1_30default_config_static_selectorELNS0_4arch9wavefront6targetE1EEEvT1_,"axG",@progbits,_ZN7rocprim17ROCPRIM_400000_NS6detail17trampoline_kernelINS0_14default_configENS1_25partition_config_selectorILNS1_17partition_subalgoE9EllbEEZZNS1_14partition_implILS5_9ELb0ES3_jPlS8_PNS0_10empty_typeENS0_5tupleIJS8_S9_EEENSB_IJS8_SA_EEENS0_18inequality_wrapperIZN2at6native12_GLOBAL__N_124unique_dim_cuda_templateIfEESt5tupleIJNSF_6TensorESK_SK_EERKSK_lbbbEUlllE0_EEPmJS9_EEE10hipError_tPvRmT3_T4_T5_T6_T7_T9_mT8_P12ihipStream_tbDpT10_ENKUlT_T0_E_clISt17integral_constantIbLb1EES19_IbLb0EEEEDaS15_S16_EUlS15_E_NS1_11comp_targetILNS1_3genE9ELNS1_11target_archE1100ELNS1_3gpuE3ELNS1_3repE0EEENS1_30default_config_static_selectorELNS0_4arch9wavefront6targetE1EEEvT1_,comdat
	.globl	_ZN7rocprim17ROCPRIM_400000_NS6detail17trampoline_kernelINS0_14default_configENS1_25partition_config_selectorILNS1_17partition_subalgoE9EllbEEZZNS1_14partition_implILS5_9ELb0ES3_jPlS8_PNS0_10empty_typeENS0_5tupleIJS8_S9_EEENSB_IJS8_SA_EEENS0_18inequality_wrapperIZN2at6native12_GLOBAL__N_124unique_dim_cuda_templateIfEESt5tupleIJNSF_6TensorESK_SK_EERKSK_lbbbEUlllE0_EEPmJS9_EEE10hipError_tPvRmT3_T4_T5_T6_T7_T9_mT8_P12ihipStream_tbDpT10_ENKUlT_T0_E_clISt17integral_constantIbLb1EES19_IbLb0EEEEDaS15_S16_EUlS15_E_NS1_11comp_targetILNS1_3genE9ELNS1_11target_archE1100ELNS1_3gpuE3ELNS1_3repE0EEENS1_30default_config_static_selectorELNS0_4arch9wavefront6targetE1EEEvT1_ ; -- Begin function _ZN7rocprim17ROCPRIM_400000_NS6detail17trampoline_kernelINS0_14default_configENS1_25partition_config_selectorILNS1_17partition_subalgoE9EllbEEZZNS1_14partition_implILS5_9ELb0ES3_jPlS8_PNS0_10empty_typeENS0_5tupleIJS8_S9_EEENSB_IJS8_SA_EEENS0_18inequality_wrapperIZN2at6native12_GLOBAL__N_124unique_dim_cuda_templateIfEESt5tupleIJNSF_6TensorESK_SK_EERKSK_lbbbEUlllE0_EEPmJS9_EEE10hipError_tPvRmT3_T4_T5_T6_T7_T9_mT8_P12ihipStream_tbDpT10_ENKUlT_T0_E_clISt17integral_constantIbLb1EES19_IbLb0EEEEDaS15_S16_EUlS15_E_NS1_11comp_targetILNS1_3genE9ELNS1_11target_archE1100ELNS1_3gpuE3ELNS1_3repE0EEENS1_30default_config_static_selectorELNS0_4arch9wavefront6targetE1EEEvT1_
	.p2align	8
	.type	_ZN7rocprim17ROCPRIM_400000_NS6detail17trampoline_kernelINS0_14default_configENS1_25partition_config_selectorILNS1_17partition_subalgoE9EllbEEZZNS1_14partition_implILS5_9ELb0ES3_jPlS8_PNS0_10empty_typeENS0_5tupleIJS8_S9_EEENSB_IJS8_SA_EEENS0_18inequality_wrapperIZN2at6native12_GLOBAL__N_124unique_dim_cuda_templateIfEESt5tupleIJNSF_6TensorESK_SK_EERKSK_lbbbEUlllE0_EEPmJS9_EEE10hipError_tPvRmT3_T4_T5_T6_T7_T9_mT8_P12ihipStream_tbDpT10_ENKUlT_T0_E_clISt17integral_constantIbLb1EES19_IbLb0EEEEDaS15_S16_EUlS15_E_NS1_11comp_targetILNS1_3genE9ELNS1_11target_archE1100ELNS1_3gpuE3ELNS1_3repE0EEENS1_30default_config_static_selectorELNS0_4arch9wavefront6targetE1EEEvT1_,@function
_ZN7rocprim17ROCPRIM_400000_NS6detail17trampoline_kernelINS0_14default_configENS1_25partition_config_selectorILNS1_17partition_subalgoE9EllbEEZZNS1_14partition_implILS5_9ELb0ES3_jPlS8_PNS0_10empty_typeENS0_5tupleIJS8_S9_EEENSB_IJS8_SA_EEENS0_18inequality_wrapperIZN2at6native12_GLOBAL__N_124unique_dim_cuda_templateIfEESt5tupleIJNSF_6TensorESK_SK_EERKSK_lbbbEUlllE0_EEPmJS9_EEE10hipError_tPvRmT3_T4_T5_T6_T7_T9_mT8_P12ihipStream_tbDpT10_ENKUlT_T0_E_clISt17integral_constantIbLb1EES19_IbLb0EEEEDaS15_S16_EUlS15_E_NS1_11comp_targetILNS1_3genE9ELNS1_11target_archE1100ELNS1_3gpuE3ELNS1_3repE0EEENS1_30default_config_static_selectorELNS0_4arch9wavefront6targetE1EEEvT1_: ; @_ZN7rocprim17ROCPRIM_400000_NS6detail17trampoline_kernelINS0_14default_configENS1_25partition_config_selectorILNS1_17partition_subalgoE9EllbEEZZNS1_14partition_implILS5_9ELb0ES3_jPlS8_PNS0_10empty_typeENS0_5tupleIJS8_S9_EEENSB_IJS8_SA_EEENS0_18inequality_wrapperIZN2at6native12_GLOBAL__N_124unique_dim_cuda_templateIfEESt5tupleIJNSF_6TensorESK_SK_EERKSK_lbbbEUlllE0_EEPmJS9_EEE10hipError_tPvRmT3_T4_T5_T6_T7_T9_mT8_P12ihipStream_tbDpT10_ENKUlT_T0_E_clISt17integral_constantIbLb1EES19_IbLb0EEEEDaS15_S16_EUlS15_E_NS1_11comp_targetILNS1_3genE9ELNS1_11target_archE1100ELNS1_3gpuE3ELNS1_3repE0EEENS1_30default_config_static_selectorELNS0_4arch9wavefront6targetE1EEEvT1_
; %bb.0:
	.section	.rodata,"a",@progbits
	.p2align	6, 0x0
	.amdhsa_kernel _ZN7rocprim17ROCPRIM_400000_NS6detail17trampoline_kernelINS0_14default_configENS1_25partition_config_selectorILNS1_17partition_subalgoE9EllbEEZZNS1_14partition_implILS5_9ELb0ES3_jPlS8_PNS0_10empty_typeENS0_5tupleIJS8_S9_EEENSB_IJS8_SA_EEENS0_18inequality_wrapperIZN2at6native12_GLOBAL__N_124unique_dim_cuda_templateIfEESt5tupleIJNSF_6TensorESK_SK_EERKSK_lbbbEUlllE0_EEPmJS9_EEE10hipError_tPvRmT3_T4_T5_T6_T7_T9_mT8_P12ihipStream_tbDpT10_ENKUlT_T0_E_clISt17integral_constantIbLb1EES19_IbLb0EEEEDaS15_S16_EUlS15_E_NS1_11comp_targetILNS1_3genE9ELNS1_11target_archE1100ELNS1_3gpuE3ELNS1_3repE0EEENS1_30default_config_static_selectorELNS0_4arch9wavefront6targetE1EEEvT1_
		.amdhsa_group_segment_fixed_size 0
		.amdhsa_private_segment_fixed_size 0
		.amdhsa_kernarg_size 120
		.amdhsa_user_sgpr_count 6
		.amdhsa_user_sgpr_private_segment_buffer 1
		.amdhsa_user_sgpr_dispatch_ptr 0
		.amdhsa_user_sgpr_queue_ptr 0
		.amdhsa_user_sgpr_kernarg_segment_ptr 1
		.amdhsa_user_sgpr_dispatch_id 0
		.amdhsa_user_sgpr_flat_scratch_init 0
		.amdhsa_user_sgpr_kernarg_preload_length 0
		.amdhsa_user_sgpr_kernarg_preload_offset 0
		.amdhsa_user_sgpr_private_segment_size 0
		.amdhsa_uses_dynamic_stack 0
		.amdhsa_system_sgpr_private_segment_wavefront_offset 0
		.amdhsa_system_sgpr_workgroup_id_x 1
		.amdhsa_system_sgpr_workgroup_id_y 0
		.amdhsa_system_sgpr_workgroup_id_z 0
		.amdhsa_system_sgpr_workgroup_info 0
		.amdhsa_system_vgpr_workitem_id 0
		.amdhsa_next_free_vgpr 1
		.amdhsa_next_free_sgpr 0
		.amdhsa_accum_offset 4
		.amdhsa_reserve_vcc 0
		.amdhsa_reserve_flat_scratch 0
		.amdhsa_float_round_mode_32 0
		.amdhsa_float_round_mode_16_64 0
		.amdhsa_float_denorm_mode_32 3
		.amdhsa_float_denorm_mode_16_64 3
		.amdhsa_dx10_clamp 1
		.amdhsa_ieee_mode 1
		.amdhsa_fp16_overflow 0
		.amdhsa_tg_split 0
		.amdhsa_exception_fp_ieee_invalid_op 0
		.amdhsa_exception_fp_denorm_src 0
		.amdhsa_exception_fp_ieee_div_zero 0
		.amdhsa_exception_fp_ieee_overflow 0
		.amdhsa_exception_fp_ieee_underflow 0
		.amdhsa_exception_fp_ieee_inexact 0
		.amdhsa_exception_int_div_zero 0
	.end_amdhsa_kernel
	.section	.text._ZN7rocprim17ROCPRIM_400000_NS6detail17trampoline_kernelINS0_14default_configENS1_25partition_config_selectorILNS1_17partition_subalgoE9EllbEEZZNS1_14partition_implILS5_9ELb0ES3_jPlS8_PNS0_10empty_typeENS0_5tupleIJS8_S9_EEENSB_IJS8_SA_EEENS0_18inequality_wrapperIZN2at6native12_GLOBAL__N_124unique_dim_cuda_templateIfEESt5tupleIJNSF_6TensorESK_SK_EERKSK_lbbbEUlllE0_EEPmJS9_EEE10hipError_tPvRmT3_T4_T5_T6_T7_T9_mT8_P12ihipStream_tbDpT10_ENKUlT_T0_E_clISt17integral_constantIbLb1EES19_IbLb0EEEEDaS15_S16_EUlS15_E_NS1_11comp_targetILNS1_3genE9ELNS1_11target_archE1100ELNS1_3gpuE3ELNS1_3repE0EEENS1_30default_config_static_selectorELNS0_4arch9wavefront6targetE1EEEvT1_,"axG",@progbits,_ZN7rocprim17ROCPRIM_400000_NS6detail17trampoline_kernelINS0_14default_configENS1_25partition_config_selectorILNS1_17partition_subalgoE9EllbEEZZNS1_14partition_implILS5_9ELb0ES3_jPlS8_PNS0_10empty_typeENS0_5tupleIJS8_S9_EEENSB_IJS8_SA_EEENS0_18inequality_wrapperIZN2at6native12_GLOBAL__N_124unique_dim_cuda_templateIfEESt5tupleIJNSF_6TensorESK_SK_EERKSK_lbbbEUlllE0_EEPmJS9_EEE10hipError_tPvRmT3_T4_T5_T6_T7_T9_mT8_P12ihipStream_tbDpT10_ENKUlT_T0_E_clISt17integral_constantIbLb1EES19_IbLb0EEEEDaS15_S16_EUlS15_E_NS1_11comp_targetILNS1_3genE9ELNS1_11target_archE1100ELNS1_3gpuE3ELNS1_3repE0EEENS1_30default_config_static_selectorELNS0_4arch9wavefront6targetE1EEEvT1_,comdat
.Lfunc_end983:
	.size	_ZN7rocprim17ROCPRIM_400000_NS6detail17trampoline_kernelINS0_14default_configENS1_25partition_config_selectorILNS1_17partition_subalgoE9EllbEEZZNS1_14partition_implILS5_9ELb0ES3_jPlS8_PNS0_10empty_typeENS0_5tupleIJS8_S9_EEENSB_IJS8_SA_EEENS0_18inequality_wrapperIZN2at6native12_GLOBAL__N_124unique_dim_cuda_templateIfEESt5tupleIJNSF_6TensorESK_SK_EERKSK_lbbbEUlllE0_EEPmJS9_EEE10hipError_tPvRmT3_T4_T5_T6_T7_T9_mT8_P12ihipStream_tbDpT10_ENKUlT_T0_E_clISt17integral_constantIbLb1EES19_IbLb0EEEEDaS15_S16_EUlS15_E_NS1_11comp_targetILNS1_3genE9ELNS1_11target_archE1100ELNS1_3gpuE3ELNS1_3repE0EEENS1_30default_config_static_selectorELNS0_4arch9wavefront6targetE1EEEvT1_, .Lfunc_end983-_ZN7rocprim17ROCPRIM_400000_NS6detail17trampoline_kernelINS0_14default_configENS1_25partition_config_selectorILNS1_17partition_subalgoE9EllbEEZZNS1_14partition_implILS5_9ELb0ES3_jPlS8_PNS0_10empty_typeENS0_5tupleIJS8_S9_EEENSB_IJS8_SA_EEENS0_18inequality_wrapperIZN2at6native12_GLOBAL__N_124unique_dim_cuda_templateIfEESt5tupleIJNSF_6TensorESK_SK_EERKSK_lbbbEUlllE0_EEPmJS9_EEE10hipError_tPvRmT3_T4_T5_T6_T7_T9_mT8_P12ihipStream_tbDpT10_ENKUlT_T0_E_clISt17integral_constantIbLb1EES19_IbLb0EEEEDaS15_S16_EUlS15_E_NS1_11comp_targetILNS1_3genE9ELNS1_11target_archE1100ELNS1_3gpuE3ELNS1_3repE0EEENS1_30default_config_static_selectorELNS0_4arch9wavefront6targetE1EEEvT1_
                                        ; -- End function
	.section	.AMDGPU.csdata,"",@progbits
; Kernel info:
; codeLenInByte = 0
; NumSgprs: 4
; NumVgprs: 0
; NumAgprs: 0
; TotalNumVgprs: 0
; ScratchSize: 0
; MemoryBound: 0
; FloatMode: 240
; IeeeMode: 1
; LDSByteSize: 0 bytes/workgroup (compile time only)
; SGPRBlocks: 0
; VGPRBlocks: 0
; NumSGPRsForWavesPerEU: 4
; NumVGPRsForWavesPerEU: 1
; AccumOffset: 4
; Occupancy: 8
; WaveLimiterHint : 0
; COMPUTE_PGM_RSRC2:SCRATCH_EN: 0
; COMPUTE_PGM_RSRC2:USER_SGPR: 6
; COMPUTE_PGM_RSRC2:TRAP_HANDLER: 0
; COMPUTE_PGM_RSRC2:TGID_X_EN: 1
; COMPUTE_PGM_RSRC2:TGID_Y_EN: 0
; COMPUTE_PGM_RSRC2:TGID_Z_EN: 0
; COMPUTE_PGM_RSRC2:TIDIG_COMP_CNT: 0
; COMPUTE_PGM_RSRC3_GFX90A:ACCUM_OFFSET: 0
; COMPUTE_PGM_RSRC3_GFX90A:TG_SPLIT: 0
	.section	.text._ZN7rocprim17ROCPRIM_400000_NS6detail17trampoline_kernelINS0_14default_configENS1_25partition_config_selectorILNS1_17partition_subalgoE9EllbEEZZNS1_14partition_implILS5_9ELb0ES3_jPlS8_PNS0_10empty_typeENS0_5tupleIJS8_S9_EEENSB_IJS8_SA_EEENS0_18inequality_wrapperIZN2at6native12_GLOBAL__N_124unique_dim_cuda_templateIfEESt5tupleIJNSF_6TensorESK_SK_EERKSK_lbbbEUlllE0_EEPmJS9_EEE10hipError_tPvRmT3_T4_T5_T6_T7_T9_mT8_P12ihipStream_tbDpT10_ENKUlT_T0_E_clISt17integral_constantIbLb1EES19_IbLb0EEEEDaS15_S16_EUlS15_E_NS1_11comp_targetILNS1_3genE8ELNS1_11target_archE1030ELNS1_3gpuE2ELNS1_3repE0EEENS1_30default_config_static_selectorELNS0_4arch9wavefront6targetE1EEEvT1_,"axG",@progbits,_ZN7rocprim17ROCPRIM_400000_NS6detail17trampoline_kernelINS0_14default_configENS1_25partition_config_selectorILNS1_17partition_subalgoE9EllbEEZZNS1_14partition_implILS5_9ELb0ES3_jPlS8_PNS0_10empty_typeENS0_5tupleIJS8_S9_EEENSB_IJS8_SA_EEENS0_18inequality_wrapperIZN2at6native12_GLOBAL__N_124unique_dim_cuda_templateIfEESt5tupleIJNSF_6TensorESK_SK_EERKSK_lbbbEUlllE0_EEPmJS9_EEE10hipError_tPvRmT3_T4_T5_T6_T7_T9_mT8_P12ihipStream_tbDpT10_ENKUlT_T0_E_clISt17integral_constantIbLb1EES19_IbLb0EEEEDaS15_S16_EUlS15_E_NS1_11comp_targetILNS1_3genE8ELNS1_11target_archE1030ELNS1_3gpuE2ELNS1_3repE0EEENS1_30default_config_static_selectorELNS0_4arch9wavefront6targetE1EEEvT1_,comdat
	.globl	_ZN7rocprim17ROCPRIM_400000_NS6detail17trampoline_kernelINS0_14default_configENS1_25partition_config_selectorILNS1_17partition_subalgoE9EllbEEZZNS1_14partition_implILS5_9ELb0ES3_jPlS8_PNS0_10empty_typeENS0_5tupleIJS8_S9_EEENSB_IJS8_SA_EEENS0_18inequality_wrapperIZN2at6native12_GLOBAL__N_124unique_dim_cuda_templateIfEESt5tupleIJNSF_6TensorESK_SK_EERKSK_lbbbEUlllE0_EEPmJS9_EEE10hipError_tPvRmT3_T4_T5_T6_T7_T9_mT8_P12ihipStream_tbDpT10_ENKUlT_T0_E_clISt17integral_constantIbLb1EES19_IbLb0EEEEDaS15_S16_EUlS15_E_NS1_11comp_targetILNS1_3genE8ELNS1_11target_archE1030ELNS1_3gpuE2ELNS1_3repE0EEENS1_30default_config_static_selectorELNS0_4arch9wavefront6targetE1EEEvT1_ ; -- Begin function _ZN7rocprim17ROCPRIM_400000_NS6detail17trampoline_kernelINS0_14default_configENS1_25partition_config_selectorILNS1_17partition_subalgoE9EllbEEZZNS1_14partition_implILS5_9ELb0ES3_jPlS8_PNS0_10empty_typeENS0_5tupleIJS8_S9_EEENSB_IJS8_SA_EEENS0_18inequality_wrapperIZN2at6native12_GLOBAL__N_124unique_dim_cuda_templateIfEESt5tupleIJNSF_6TensorESK_SK_EERKSK_lbbbEUlllE0_EEPmJS9_EEE10hipError_tPvRmT3_T4_T5_T6_T7_T9_mT8_P12ihipStream_tbDpT10_ENKUlT_T0_E_clISt17integral_constantIbLb1EES19_IbLb0EEEEDaS15_S16_EUlS15_E_NS1_11comp_targetILNS1_3genE8ELNS1_11target_archE1030ELNS1_3gpuE2ELNS1_3repE0EEENS1_30default_config_static_selectorELNS0_4arch9wavefront6targetE1EEEvT1_
	.p2align	8
	.type	_ZN7rocprim17ROCPRIM_400000_NS6detail17trampoline_kernelINS0_14default_configENS1_25partition_config_selectorILNS1_17partition_subalgoE9EllbEEZZNS1_14partition_implILS5_9ELb0ES3_jPlS8_PNS0_10empty_typeENS0_5tupleIJS8_S9_EEENSB_IJS8_SA_EEENS0_18inequality_wrapperIZN2at6native12_GLOBAL__N_124unique_dim_cuda_templateIfEESt5tupleIJNSF_6TensorESK_SK_EERKSK_lbbbEUlllE0_EEPmJS9_EEE10hipError_tPvRmT3_T4_T5_T6_T7_T9_mT8_P12ihipStream_tbDpT10_ENKUlT_T0_E_clISt17integral_constantIbLb1EES19_IbLb0EEEEDaS15_S16_EUlS15_E_NS1_11comp_targetILNS1_3genE8ELNS1_11target_archE1030ELNS1_3gpuE2ELNS1_3repE0EEENS1_30default_config_static_selectorELNS0_4arch9wavefront6targetE1EEEvT1_,@function
_ZN7rocprim17ROCPRIM_400000_NS6detail17trampoline_kernelINS0_14default_configENS1_25partition_config_selectorILNS1_17partition_subalgoE9EllbEEZZNS1_14partition_implILS5_9ELb0ES3_jPlS8_PNS0_10empty_typeENS0_5tupleIJS8_S9_EEENSB_IJS8_SA_EEENS0_18inequality_wrapperIZN2at6native12_GLOBAL__N_124unique_dim_cuda_templateIfEESt5tupleIJNSF_6TensorESK_SK_EERKSK_lbbbEUlllE0_EEPmJS9_EEE10hipError_tPvRmT3_T4_T5_T6_T7_T9_mT8_P12ihipStream_tbDpT10_ENKUlT_T0_E_clISt17integral_constantIbLb1EES19_IbLb0EEEEDaS15_S16_EUlS15_E_NS1_11comp_targetILNS1_3genE8ELNS1_11target_archE1030ELNS1_3gpuE2ELNS1_3repE0EEENS1_30default_config_static_selectorELNS0_4arch9wavefront6targetE1EEEvT1_: ; @_ZN7rocprim17ROCPRIM_400000_NS6detail17trampoline_kernelINS0_14default_configENS1_25partition_config_selectorILNS1_17partition_subalgoE9EllbEEZZNS1_14partition_implILS5_9ELb0ES3_jPlS8_PNS0_10empty_typeENS0_5tupleIJS8_S9_EEENSB_IJS8_SA_EEENS0_18inequality_wrapperIZN2at6native12_GLOBAL__N_124unique_dim_cuda_templateIfEESt5tupleIJNSF_6TensorESK_SK_EERKSK_lbbbEUlllE0_EEPmJS9_EEE10hipError_tPvRmT3_T4_T5_T6_T7_T9_mT8_P12ihipStream_tbDpT10_ENKUlT_T0_E_clISt17integral_constantIbLb1EES19_IbLb0EEEEDaS15_S16_EUlS15_E_NS1_11comp_targetILNS1_3genE8ELNS1_11target_archE1030ELNS1_3gpuE2ELNS1_3repE0EEENS1_30default_config_static_selectorELNS0_4arch9wavefront6targetE1EEEvT1_
; %bb.0:
	.section	.rodata,"a",@progbits
	.p2align	6, 0x0
	.amdhsa_kernel _ZN7rocprim17ROCPRIM_400000_NS6detail17trampoline_kernelINS0_14default_configENS1_25partition_config_selectorILNS1_17partition_subalgoE9EllbEEZZNS1_14partition_implILS5_9ELb0ES3_jPlS8_PNS0_10empty_typeENS0_5tupleIJS8_S9_EEENSB_IJS8_SA_EEENS0_18inequality_wrapperIZN2at6native12_GLOBAL__N_124unique_dim_cuda_templateIfEESt5tupleIJNSF_6TensorESK_SK_EERKSK_lbbbEUlllE0_EEPmJS9_EEE10hipError_tPvRmT3_T4_T5_T6_T7_T9_mT8_P12ihipStream_tbDpT10_ENKUlT_T0_E_clISt17integral_constantIbLb1EES19_IbLb0EEEEDaS15_S16_EUlS15_E_NS1_11comp_targetILNS1_3genE8ELNS1_11target_archE1030ELNS1_3gpuE2ELNS1_3repE0EEENS1_30default_config_static_selectorELNS0_4arch9wavefront6targetE1EEEvT1_
		.amdhsa_group_segment_fixed_size 0
		.amdhsa_private_segment_fixed_size 0
		.amdhsa_kernarg_size 120
		.amdhsa_user_sgpr_count 6
		.amdhsa_user_sgpr_private_segment_buffer 1
		.amdhsa_user_sgpr_dispatch_ptr 0
		.amdhsa_user_sgpr_queue_ptr 0
		.amdhsa_user_sgpr_kernarg_segment_ptr 1
		.amdhsa_user_sgpr_dispatch_id 0
		.amdhsa_user_sgpr_flat_scratch_init 0
		.amdhsa_user_sgpr_kernarg_preload_length 0
		.amdhsa_user_sgpr_kernarg_preload_offset 0
		.amdhsa_user_sgpr_private_segment_size 0
		.amdhsa_uses_dynamic_stack 0
		.amdhsa_system_sgpr_private_segment_wavefront_offset 0
		.amdhsa_system_sgpr_workgroup_id_x 1
		.amdhsa_system_sgpr_workgroup_id_y 0
		.amdhsa_system_sgpr_workgroup_id_z 0
		.amdhsa_system_sgpr_workgroup_info 0
		.amdhsa_system_vgpr_workitem_id 0
		.amdhsa_next_free_vgpr 1
		.amdhsa_next_free_sgpr 0
		.amdhsa_accum_offset 4
		.amdhsa_reserve_vcc 0
		.amdhsa_reserve_flat_scratch 0
		.amdhsa_float_round_mode_32 0
		.amdhsa_float_round_mode_16_64 0
		.amdhsa_float_denorm_mode_32 3
		.amdhsa_float_denorm_mode_16_64 3
		.amdhsa_dx10_clamp 1
		.amdhsa_ieee_mode 1
		.amdhsa_fp16_overflow 0
		.amdhsa_tg_split 0
		.amdhsa_exception_fp_ieee_invalid_op 0
		.amdhsa_exception_fp_denorm_src 0
		.amdhsa_exception_fp_ieee_div_zero 0
		.amdhsa_exception_fp_ieee_overflow 0
		.amdhsa_exception_fp_ieee_underflow 0
		.amdhsa_exception_fp_ieee_inexact 0
		.amdhsa_exception_int_div_zero 0
	.end_amdhsa_kernel
	.section	.text._ZN7rocprim17ROCPRIM_400000_NS6detail17trampoline_kernelINS0_14default_configENS1_25partition_config_selectorILNS1_17partition_subalgoE9EllbEEZZNS1_14partition_implILS5_9ELb0ES3_jPlS8_PNS0_10empty_typeENS0_5tupleIJS8_S9_EEENSB_IJS8_SA_EEENS0_18inequality_wrapperIZN2at6native12_GLOBAL__N_124unique_dim_cuda_templateIfEESt5tupleIJNSF_6TensorESK_SK_EERKSK_lbbbEUlllE0_EEPmJS9_EEE10hipError_tPvRmT3_T4_T5_T6_T7_T9_mT8_P12ihipStream_tbDpT10_ENKUlT_T0_E_clISt17integral_constantIbLb1EES19_IbLb0EEEEDaS15_S16_EUlS15_E_NS1_11comp_targetILNS1_3genE8ELNS1_11target_archE1030ELNS1_3gpuE2ELNS1_3repE0EEENS1_30default_config_static_selectorELNS0_4arch9wavefront6targetE1EEEvT1_,"axG",@progbits,_ZN7rocprim17ROCPRIM_400000_NS6detail17trampoline_kernelINS0_14default_configENS1_25partition_config_selectorILNS1_17partition_subalgoE9EllbEEZZNS1_14partition_implILS5_9ELb0ES3_jPlS8_PNS0_10empty_typeENS0_5tupleIJS8_S9_EEENSB_IJS8_SA_EEENS0_18inequality_wrapperIZN2at6native12_GLOBAL__N_124unique_dim_cuda_templateIfEESt5tupleIJNSF_6TensorESK_SK_EERKSK_lbbbEUlllE0_EEPmJS9_EEE10hipError_tPvRmT3_T4_T5_T6_T7_T9_mT8_P12ihipStream_tbDpT10_ENKUlT_T0_E_clISt17integral_constantIbLb1EES19_IbLb0EEEEDaS15_S16_EUlS15_E_NS1_11comp_targetILNS1_3genE8ELNS1_11target_archE1030ELNS1_3gpuE2ELNS1_3repE0EEENS1_30default_config_static_selectorELNS0_4arch9wavefront6targetE1EEEvT1_,comdat
.Lfunc_end984:
	.size	_ZN7rocprim17ROCPRIM_400000_NS6detail17trampoline_kernelINS0_14default_configENS1_25partition_config_selectorILNS1_17partition_subalgoE9EllbEEZZNS1_14partition_implILS5_9ELb0ES3_jPlS8_PNS0_10empty_typeENS0_5tupleIJS8_S9_EEENSB_IJS8_SA_EEENS0_18inequality_wrapperIZN2at6native12_GLOBAL__N_124unique_dim_cuda_templateIfEESt5tupleIJNSF_6TensorESK_SK_EERKSK_lbbbEUlllE0_EEPmJS9_EEE10hipError_tPvRmT3_T4_T5_T6_T7_T9_mT8_P12ihipStream_tbDpT10_ENKUlT_T0_E_clISt17integral_constantIbLb1EES19_IbLb0EEEEDaS15_S16_EUlS15_E_NS1_11comp_targetILNS1_3genE8ELNS1_11target_archE1030ELNS1_3gpuE2ELNS1_3repE0EEENS1_30default_config_static_selectorELNS0_4arch9wavefront6targetE1EEEvT1_, .Lfunc_end984-_ZN7rocprim17ROCPRIM_400000_NS6detail17trampoline_kernelINS0_14default_configENS1_25partition_config_selectorILNS1_17partition_subalgoE9EllbEEZZNS1_14partition_implILS5_9ELb0ES3_jPlS8_PNS0_10empty_typeENS0_5tupleIJS8_S9_EEENSB_IJS8_SA_EEENS0_18inequality_wrapperIZN2at6native12_GLOBAL__N_124unique_dim_cuda_templateIfEESt5tupleIJNSF_6TensorESK_SK_EERKSK_lbbbEUlllE0_EEPmJS9_EEE10hipError_tPvRmT3_T4_T5_T6_T7_T9_mT8_P12ihipStream_tbDpT10_ENKUlT_T0_E_clISt17integral_constantIbLb1EES19_IbLb0EEEEDaS15_S16_EUlS15_E_NS1_11comp_targetILNS1_3genE8ELNS1_11target_archE1030ELNS1_3gpuE2ELNS1_3repE0EEENS1_30default_config_static_selectorELNS0_4arch9wavefront6targetE1EEEvT1_
                                        ; -- End function
	.section	.AMDGPU.csdata,"",@progbits
; Kernel info:
; codeLenInByte = 0
; NumSgprs: 4
; NumVgprs: 0
; NumAgprs: 0
; TotalNumVgprs: 0
; ScratchSize: 0
; MemoryBound: 0
; FloatMode: 240
; IeeeMode: 1
; LDSByteSize: 0 bytes/workgroup (compile time only)
; SGPRBlocks: 0
; VGPRBlocks: 0
; NumSGPRsForWavesPerEU: 4
; NumVGPRsForWavesPerEU: 1
; AccumOffset: 4
; Occupancy: 8
; WaveLimiterHint : 0
; COMPUTE_PGM_RSRC2:SCRATCH_EN: 0
; COMPUTE_PGM_RSRC2:USER_SGPR: 6
; COMPUTE_PGM_RSRC2:TRAP_HANDLER: 0
; COMPUTE_PGM_RSRC2:TGID_X_EN: 1
; COMPUTE_PGM_RSRC2:TGID_Y_EN: 0
; COMPUTE_PGM_RSRC2:TGID_Z_EN: 0
; COMPUTE_PGM_RSRC2:TIDIG_COMP_CNT: 0
; COMPUTE_PGM_RSRC3_GFX90A:ACCUM_OFFSET: 0
; COMPUTE_PGM_RSRC3_GFX90A:TG_SPLIT: 0
	.section	.text._ZN7rocprim17ROCPRIM_400000_NS6detail17trampoline_kernelINS0_14default_configENS1_25partition_config_selectorILNS1_17partition_subalgoE9EllbEEZZNS1_14partition_implILS5_9ELb0ES3_jPlS8_PNS0_10empty_typeENS0_5tupleIJS8_S9_EEENSB_IJS8_SA_EEENS0_18inequality_wrapperIZN2at6native12_GLOBAL__N_124unique_dim_cuda_templateIfEESt5tupleIJNSF_6TensorESK_SK_EERKSK_lbbbEUlllE0_EEPmJS9_EEE10hipError_tPvRmT3_T4_T5_T6_T7_T9_mT8_P12ihipStream_tbDpT10_ENKUlT_T0_E_clISt17integral_constantIbLb0EES19_IbLb1EEEEDaS15_S16_EUlS15_E_NS1_11comp_targetILNS1_3genE0ELNS1_11target_archE4294967295ELNS1_3gpuE0ELNS1_3repE0EEENS1_30default_config_static_selectorELNS0_4arch9wavefront6targetE1EEEvT1_,"axG",@progbits,_ZN7rocprim17ROCPRIM_400000_NS6detail17trampoline_kernelINS0_14default_configENS1_25partition_config_selectorILNS1_17partition_subalgoE9EllbEEZZNS1_14partition_implILS5_9ELb0ES3_jPlS8_PNS0_10empty_typeENS0_5tupleIJS8_S9_EEENSB_IJS8_SA_EEENS0_18inequality_wrapperIZN2at6native12_GLOBAL__N_124unique_dim_cuda_templateIfEESt5tupleIJNSF_6TensorESK_SK_EERKSK_lbbbEUlllE0_EEPmJS9_EEE10hipError_tPvRmT3_T4_T5_T6_T7_T9_mT8_P12ihipStream_tbDpT10_ENKUlT_T0_E_clISt17integral_constantIbLb0EES19_IbLb1EEEEDaS15_S16_EUlS15_E_NS1_11comp_targetILNS1_3genE0ELNS1_11target_archE4294967295ELNS1_3gpuE0ELNS1_3repE0EEENS1_30default_config_static_selectorELNS0_4arch9wavefront6targetE1EEEvT1_,comdat
	.globl	_ZN7rocprim17ROCPRIM_400000_NS6detail17trampoline_kernelINS0_14default_configENS1_25partition_config_selectorILNS1_17partition_subalgoE9EllbEEZZNS1_14partition_implILS5_9ELb0ES3_jPlS8_PNS0_10empty_typeENS0_5tupleIJS8_S9_EEENSB_IJS8_SA_EEENS0_18inequality_wrapperIZN2at6native12_GLOBAL__N_124unique_dim_cuda_templateIfEESt5tupleIJNSF_6TensorESK_SK_EERKSK_lbbbEUlllE0_EEPmJS9_EEE10hipError_tPvRmT3_T4_T5_T6_T7_T9_mT8_P12ihipStream_tbDpT10_ENKUlT_T0_E_clISt17integral_constantIbLb0EES19_IbLb1EEEEDaS15_S16_EUlS15_E_NS1_11comp_targetILNS1_3genE0ELNS1_11target_archE4294967295ELNS1_3gpuE0ELNS1_3repE0EEENS1_30default_config_static_selectorELNS0_4arch9wavefront6targetE1EEEvT1_ ; -- Begin function _ZN7rocprim17ROCPRIM_400000_NS6detail17trampoline_kernelINS0_14default_configENS1_25partition_config_selectorILNS1_17partition_subalgoE9EllbEEZZNS1_14partition_implILS5_9ELb0ES3_jPlS8_PNS0_10empty_typeENS0_5tupleIJS8_S9_EEENSB_IJS8_SA_EEENS0_18inequality_wrapperIZN2at6native12_GLOBAL__N_124unique_dim_cuda_templateIfEESt5tupleIJNSF_6TensorESK_SK_EERKSK_lbbbEUlllE0_EEPmJS9_EEE10hipError_tPvRmT3_T4_T5_T6_T7_T9_mT8_P12ihipStream_tbDpT10_ENKUlT_T0_E_clISt17integral_constantIbLb0EES19_IbLb1EEEEDaS15_S16_EUlS15_E_NS1_11comp_targetILNS1_3genE0ELNS1_11target_archE4294967295ELNS1_3gpuE0ELNS1_3repE0EEENS1_30default_config_static_selectorELNS0_4arch9wavefront6targetE1EEEvT1_
	.p2align	8
	.type	_ZN7rocprim17ROCPRIM_400000_NS6detail17trampoline_kernelINS0_14default_configENS1_25partition_config_selectorILNS1_17partition_subalgoE9EllbEEZZNS1_14partition_implILS5_9ELb0ES3_jPlS8_PNS0_10empty_typeENS0_5tupleIJS8_S9_EEENSB_IJS8_SA_EEENS0_18inequality_wrapperIZN2at6native12_GLOBAL__N_124unique_dim_cuda_templateIfEESt5tupleIJNSF_6TensorESK_SK_EERKSK_lbbbEUlllE0_EEPmJS9_EEE10hipError_tPvRmT3_T4_T5_T6_T7_T9_mT8_P12ihipStream_tbDpT10_ENKUlT_T0_E_clISt17integral_constantIbLb0EES19_IbLb1EEEEDaS15_S16_EUlS15_E_NS1_11comp_targetILNS1_3genE0ELNS1_11target_archE4294967295ELNS1_3gpuE0ELNS1_3repE0EEENS1_30default_config_static_selectorELNS0_4arch9wavefront6targetE1EEEvT1_,@function
_ZN7rocprim17ROCPRIM_400000_NS6detail17trampoline_kernelINS0_14default_configENS1_25partition_config_selectorILNS1_17partition_subalgoE9EllbEEZZNS1_14partition_implILS5_9ELb0ES3_jPlS8_PNS0_10empty_typeENS0_5tupleIJS8_S9_EEENSB_IJS8_SA_EEENS0_18inequality_wrapperIZN2at6native12_GLOBAL__N_124unique_dim_cuda_templateIfEESt5tupleIJNSF_6TensorESK_SK_EERKSK_lbbbEUlllE0_EEPmJS9_EEE10hipError_tPvRmT3_T4_T5_T6_T7_T9_mT8_P12ihipStream_tbDpT10_ENKUlT_T0_E_clISt17integral_constantIbLb0EES19_IbLb1EEEEDaS15_S16_EUlS15_E_NS1_11comp_targetILNS1_3genE0ELNS1_11target_archE4294967295ELNS1_3gpuE0ELNS1_3repE0EEENS1_30default_config_static_selectorELNS0_4arch9wavefront6targetE1EEEvT1_: ; @_ZN7rocprim17ROCPRIM_400000_NS6detail17trampoline_kernelINS0_14default_configENS1_25partition_config_selectorILNS1_17partition_subalgoE9EllbEEZZNS1_14partition_implILS5_9ELb0ES3_jPlS8_PNS0_10empty_typeENS0_5tupleIJS8_S9_EEENSB_IJS8_SA_EEENS0_18inequality_wrapperIZN2at6native12_GLOBAL__N_124unique_dim_cuda_templateIfEESt5tupleIJNSF_6TensorESK_SK_EERKSK_lbbbEUlllE0_EEPmJS9_EEE10hipError_tPvRmT3_T4_T5_T6_T7_T9_mT8_P12ihipStream_tbDpT10_ENKUlT_T0_E_clISt17integral_constantIbLb0EES19_IbLb1EEEEDaS15_S16_EUlS15_E_NS1_11comp_targetILNS1_3genE0ELNS1_11target_archE4294967295ELNS1_3gpuE0ELNS1_3repE0EEENS1_30default_config_static_selectorELNS0_4arch9wavefront6targetE1EEEvT1_
; %bb.0:
	.section	.rodata,"a",@progbits
	.p2align	6, 0x0
	.amdhsa_kernel _ZN7rocprim17ROCPRIM_400000_NS6detail17trampoline_kernelINS0_14default_configENS1_25partition_config_selectorILNS1_17partition_subalgoE9EllbEEZZNS1_14partition_implILS5_9ELb0ES3_jPlS8_PNS0_10empty_typeENS0_5tupleIJS8_S9_EEENSB_IJS8_SA_EEENS0_18inequality_wrapperIZN2at6native12_GLOBAL__N_124unique_dim_cuda_templateIfEESt5tupleIJNSF_6TensorESK_SK_EERKSK_lbbbEUlllE0_EEPmJS9_EEE10hipError_tPvRmT3_T4_T5_T6_T7_T9_mT8_P12ihipStream_tbDpT10_ENKUlT_T0_E_clISt17integral_constantIbLb0EES19_IbLb1EEEEDaS15_S16_EUlS15_E_NS1_11comp_targetILNS1_3genE0ELNS1_11target_archE4294967295ELNS1_3gpuE0ELNS1_3repE0EEENS1_30default_config_static_selectorELNS0_4arch9wavefront6targetE1EEEvT1_
		.amdhsa_group_segment_fixed_size 0
		.amdhsa_private_segment_fixed_size 0
		.amdhsa_kernarg_size 136
		.amdhsa_user_sgpr_count 6
		.amdhsa_user_sgpr_private_segment_buffer 1
		.amdhsa_user_sgpr_dispatch_ptr 0
		.amdhsa_user_sgpr_queue_ptr 0
		.amdhsa_user_sgpr_kernarg_segment_ptr 1
		.amdhsa_user_sgpr_dispatch_id 0
		.amdhsa_user_sgpr_flat_scratch_init 0
		.amdhsa_user_sgpr_kernarg_preload_length 0
		.amdhsa_user_sgpr_kernarg_preload_offset 0
		.amdhsa_user_sgpr_private_segment_size 0
		.amdhsa_uses_dynamic_stack 0
		.amdhsa_system_sgpr_private_segment_wavefront_offset 0
		.amdhsa_system_sgpr_workgroup_id_x 1
		.amdhsa_system_sgpr_workgroup_id_y 0
		.amdhsa_system_sgpr_workgroup_id_z 0
		.amdhsa_system_sgpr_workgroup_info 0
		.amdhsa_system_vgpr_workitem_id 0
		.amdhsa_next_free_vgpr 1
		.amdhsa_next_free_sgpr 0
		.amdhsa_accum_offset 4
		.amdhsa_reserve_vcc 0
		.amdhsa_reserve_flat_scratch 0
		.amdhsa_float_round_mode_32 0
		.amdhsa_float_round_mode_16_64 0
		.amdhsa_float_denorm_mode_32 3
		.amdhsa_float_denorm_mode_16_64 3
		.amdhsa_dx10_clamp 1
		.amdhsa_ieee_mode 1
		.amdhsa_fp16_overflow 0
		.amdhsa_tg_split 0
		.amdhsa_exception_fp_ieee_invalid_op 0
		.amdhsa_exception_fp_denorm_src 0
		.amdhsa_exception_fp_ieee_div_zero 0
		.amdhsa_exception_fp_ieee_overflow 0
		.amdhsa_exception_fp_ieee_underflow 0
		.amdhsa_exception_fp_ieee_inexact 0
		.amdhsa_exception_int_div_zero 0
	.end_amdhsa_kernel
	.section	.text._ZN7rocprim17ROCPRIM_400000_NS6detail17trampoline_kernelINS0_14default_configENS1_25partition_config_selectorILNS1_17partition_subalgoE9EllbEEZZNS1_14partition_implILS5_9ELb0ES3_jPlS8_PNS0_10empty_typeENS0_5tupleIJS8_S9_EEENSB_IJS8_SA_EEENS0_18inequality_wrapperIZN2at6native12_GLOBAL__N_124unique_dim_cuda_templateIfEESt5tupleIJNSF_6TensorESK_SK_EERKSK_lbbbEUlllE0_EEPmJS9_EEE10hipError_tPvRmT3_T4_T5_T6_T7_T9_mT8_P12ihipStream_tbDpT10_ENKUlT_T0_E_clISt17integral_constantIbLb0EES19_IbLb1EEEEDaS15_S16_EUlS15_E_NS1_11comp_targetILNS1_3genE0ELNS1_11target_archE4294967295ELNS1_3gpuE0ELNS1_3repE0EEENS1_30default_config_static_selectorELNS0_4arch9wavefront6targetE1EEEvT1_,"axG",@progbits,_ZN7rocprim17ROCPRIM_400000_NS6detail17trampoline_kernelINS0_14default_configENS1_25partition_config_selectorILNS1_17partition_subalgoE9EllbEEZZNS1_14partition_implILS5_9ELb0ES3_jPlS8_PNS0_10empty_typeENS0_5tupleIJS8_S9_EEENSB_IJS8_SA_EEENS0_18inequality_wrapperIZN2at6native12_GLOBAL__N_124unique_dim_cuda_templateIfEESt5tupleIJNSF_6TensorESK_SK_EERKSK_lbbbEUlllE0_EEPmJS9_EEE10hipError_tPvRmT3_T4_T5_T6_T7_T9_mT8_P12ihipStream_tbDpT10_ENKUlT_T0_E_clISt17integral_constantIbLb0EES19_IbLb1EEEEDaS15_S16_EUlS15_E_NS1_11comp_targetILNS1_3genE0ELNS1_11target_archE4294967295ELNS1_3gpuE0ELNS1_3repE0EEENS1_30default_config_static_selectorELNS0_4arch9wavefront6targetE1EEEvT1_,comdat
.Lfunc_end985:
	.size	_ZN7rocprim17ROCPRIM_400000_NS6detail17trampoline_kernelINS0_14default_configENS1_25partition_config_selectorILNS1_17partition_subalgoE9EllbEEZZNS1_14partition_implILS5_9ELb0ES3_jPlS8_PNS0_10empty_typeENS0_5tupleIJS8_S9_EEENSB_IJS8_SA_EEENS0_18inequality_wrapperIZN2at6native12_GLOBAL__N_124unique_dim_cuda_templateIfEESt5tupleIJNSF_6TensorESK_SK_EERKSK_lbbbEUlllE0_EEPmJS9_EEE10hipError_tPvRmT3_T4_T5_T6_T7_T9_mT8_P12ihipStream_tbDpT10_ENKUlT_T0_E_clISt17integral_constantIbLb0EES19_IbLb1EEEEDaS15_S16_EUlS15_E_NS1_11comp_targetILNS1_3genE0ELNS1_11target_archE4294967295ELNS1_3gpuE0ELNS1_3repE0EEENS1_30default_config_static_selectorELNS0_4arch9wavefront6targetE1EEEvT1_, .Lfunc_end985-_ZN7rocprim17ROCPRIM_400000_NS6detail17trampoline_kernelINS0_14default_configENS1_25partition_config_selectorILNS1_17partition_subalgoE9EllbEEZZNS1_14partition_implILS5_9ELb0ES3_jPlS8_PNS0_10empty_typeENS0_5tupleIJS8_S9_EEENSB_IJS8_SA_EEENS0_18inequality_wrapperIZN2at6native12_GLOBAL__N_124unique_dim_cuda_templateIfEESt5tupleIJNSF_6TensorESK_SK_EERKSK_lbbbEUlllE0_EEPmJS9_EEE10hipError_tPvRmT3_T4_T5_T6_T7_T9_mT8_P12ihipStream_tbDpT10_ENKUlT_T0_E_clISt17integral_constantIbLb0EES19_IbLb1EEEEDaS15_S16_EUlS15_E_NS1_11comp_targetILNS1_3genE0ELNS1_11target_archE4294967295ELNS1_3gpuE0ELNS1_3repE0EEENS1_30default_config_static_selectorELNS0_4arch9wavefront6targetE1EEEvT1_
                                        ; -- End function
	.section	.AMDGPU.csdata,"",@progbits
; Kernel info:
; codeLenInByte = 0
; NumSgprs: 4
; NumVgprs: 0
; NumAgprs: 0
; TotalNumVgprs: 0
; ScratchSize: 0
; MemoryBound: 0
; FloatMode: 240
; IeeeMode: 1
; LDSByteSize: 0 bytes/workgroup (compile time only)
; SGPRBlocks: 0
; VGPRBlocks: 0
; NumSGPRsForWavesPerEU: 4
; NumVGPRsForWavesPerEU: 1
; AccumOffset: 4
; Occupancy: 8
; WaveLimiterHint : 0
; COMPUTE_PGM_RSRC2:SCRATCH_EN: 0
; COMPUTE_PGM_RSRC2:USER_SGPR: 6
; COMPUTE_PGM_RSRC2:TRAP_HANDLER: 0
; COMPUTE_PGM_RSRC2:TGID_X_EN: 1
; COMPUTE_PGM_RSRC2:TGID_Y_EN: 0
; COMPUTE_PGM_RSRC2:TGID_Z_EN: 0
; COMPUTE_PGM_RSRC2:TIDIG_COMP_CNT: 0
; COMPUTE_PGM_RSRC3_GFX90A:ACCUM_OFFSET: 0
; COMPUTE_PGM_RSRC3_GFX90A:TG_SPLIT: 0
	.section	.text._ZN7rocprim17ROCPRIM_400000_NS6detail17trampoline_kernelINS0_14default_configENS1_25partition_config_selectorILNS1_17partition_subalgoE9EllbEEZZNS1_14partition_implILS5_9ELb0ES3_jPlS8_PNS0_10empty_typeENS0_5tupleIJS8_S9_EEENSB_IJS8_SA_EEENS0_18inequality_wrapperIZN2at6native12_GLOBAL__N_124unique_dim_cuda_templateIfEESt5tupleIJNSF_6TensorESK_SK_EERKSK_lbbbEUlllE0_EEPmJS9_EEE10hipError_tPvRmT3_T4_T5_T6_T7_T9_mT8_P12ihipStream_tbDpT10_ENKUlT_T0_E_clISt17integral_constantIbLb0EES19_IbLb1EEEEDaS15_S16_EUlS15_E_NS1_11comp_targetILNS1_3genE5ELNS1_11target_archE942ELNS1_3gpuE9ELNS1_3repE0EEENS1_30default_config_static_selectorELNS0_4arch9wavefront6targetE1EEEvT1_,"axG",@progbits,_ZN7rocprim17ROCPRIM_400000_NS6detail17trampoline_kernelINS0_14default_configENS1_25partition_config_selectorILNS1_17partition_subalgoE9EllbEEZZNS1_14partition_implILS5_9ELb0ES3_jPlS8_PNS0_10empty_typeENS0_5tupleIJS8_S9_EEENSB_IJS8_SA_EEENS0_18inequality_wrapperIZN2at6native12_GLOBAL__N_124unique_dim_cuda_templateIfEESt5tupleIJNSF_6TensorESK_SK_EERKSK_lbbbEUlllE0_EEPmJS9_EEE10hipError_tPvRmT3_T4_T5_T6_T7_T9_mT8_P12ihipStream_tbDpT10_ENKUlT_T0_E_clISt17integral_constantIbLb0EES19_IbLb1EEEEDaS15_S16_EUlS15_E_NS1_11comp_targetILNS1_3genE5ELNS1_11target_archE942ELNS1_3gpuE9ELNS1_3repE0EEENS1_30default_config_static_selectorELNS0_4arch9wavefront6targetE1EEEvT1_,comdat
	.globl	_ZN7rocprim17ROCPRIM_400000_NS6detail17trampoline_kernelINS0_14default_configENS1_25partition_config_selectorILNS1_17partition_subalgoE9EllbEEZZNS1_14partition_implILS5_9ELb0ES3_jPlS8_PNS0_10empty_typeENS0_5tupleIJS8_S9_EEENSB_IJS8_SA_EEENS0_18inequality_wrapperIZN2at6native12_GLOBAL__N_124unique_dim_cuda_templateIfEESt5tupleIJNSF_6TensorESK_SK_EERKSK_lbbbEUlllE0_EEPmJS9_EEE10hipError_tPvRmT3_T4_T5_T6_T7_T9_mT8_P12ihipStream_tbDpT10_ENKUlT_T0_E_clISt17integral_constantIbLb0EES19_IbLb1EEEEDaS15_S16_EUlS15_E_NS1_11comp_targetILNS1_3genE5ELNS1_11target_archE942ELNS1_3gpuE9ELNS1_3repE0EEENS1_30default_config_static_selectorELNS0_4arch9wavefront6targetE1EEEvT1_ ; -- Begin function _ZN7rocprim17ROCPRIM_400000_NS6detail17trampoline_kernelINS0_14default_configENS1_25partition_config_selectorILNS1_17partition_subalgoE9EllbEEZZNS1_14partition_implILS5_9ELb0ES3_jPlS8_PNS0_10empty_typeENS0_5tupleIJS8_S9_EEENSB_IJS8_SA_EEENS0_18inequality_wrapperIZN2at6native12_GLOBAL__N_124unique_dim_cuda_templateIfEESt5tupleIJNSF_6TensorESK_SK_EERKSK_lbbbEUlllE0_EEPmJS9_EEE10hipError_tPvRmT3_T4_T5_T6_T7_T9_mT8_P12ihipStream_tbDpT10_ENKUlT_T0_E_clISt17integral_constantIbLb0EES19_IbLb1EEEEDaS15_S16_EUlS15_E_NS1_11comp_targetILNS1_3genE5ELNS1_11target_archE942ELNS1_3gpuE9ELNS1_3repE0EEENS1_30default_config_static_selectorELNS0_4arch9wavefront6targetE1EEEvT1_
	.p2align	8
	.type	_ZN7rocprim17ROCPRIM_400000_NS6detail17trampoline_kernelINS0_14default_configENS1_25partition_config_selectorILNS1_17partition_subalgoE9EllbEEZZNS1_14partition_implILS5_9ELb0ES3_jPlS8_PNS0_10empty_typeENS0_5tupleIJS8_S9_EEENSB_IJS8_SA_EEENS0_18inequality_wrapperIZN2at6native12_GLOBAL__N_124unique_dim_cuda_templateIfEESt5tupleIJNSF_6TensorESK_SK_EERKSK_lbbbEUlllE0_EEPmJS9_EEE10hipError_tPvRmT3_T4_T5_T6_T7_T9_mT8_P12ihipStream_tbDpT10_ENKUlT_T0_E_clISt17integral_constantIbLb0EES19_IbLb1EEEEDaS15_S16_EUlS15_E_NS1_11comp_targetILNS1_3genE5ELNS1_11target_archE942ELNS1_3gpuE9ELNS1_3repE0EEENS1_30default_config_static_selectorELNS0_4arch9wavefront6targetE1EEEvT1_,@function
_ZN7rocprim17ROCPRIM_400000_NS6detail17trampoline_kernelINS0_14default_configENS1_25partition_config_selectorILNS1_17partition_subalgoE9EllbEEZZNS1_14partition_implILS5_9ELb0ES3_jPlS8_PNS0_10empty_typeENS0_5tupleIJS8_S9_EEENSB_IJS8_SA_EEENS0_18inequality_wrapperIZN2at6native12_GLOBAL__N_124unique_dim_cuda_templateIfEESt5tupleIJNSF_6TensorESK_SK_EERKSK_lbbbEUlllE0_EEPmJS9_EEE10hipError_tPvRmT3_T4_T5_T6_T7_T9_mT8_P12ihipStream_tbDpT10_ENKUlT_T0_E_clISt17integral_constantIbLb0EES19_IbLb1EEEEDaS15_S16_EUlS15_E_NS1_11comp_targetILNS1_3genE5ELNS1_11target_archE942ELNS1_3gpuE9ELNS1_3repE0EEENS1_30default_config_static_selectorELNS0_4arch9wavefront6targetE1EEEvT1_: ; @_ZN7rocprim17ROCPRIM_400000_NS6detail17trampoline_kernelINS0_14default_configENS1_25partition_config_selectorILNS1_17partition_subalgoE9EllbEEZZNS1_14partition_implILS5_9ELb0ES3_jPlS8_PNS0_10empty_typeENS0_5tupleIJS8_S9_EEENSB_IJS8_SA_EEENS0_18inequality_wrapperIZN2at6native12_GLOBAL__N_124unique_dim_cuda_templateIfEESt5tupleIJNSF_6TensorESK_SK_EERKSK_lbbbEUlllE0_EEPmJS9_EEE10hipError_tPvRmT3_T4_T5_T6_T7_T9_mT8_P12ihipStream_tbDpT10_ENKUlT_T0_E_clISt17integral_constantIbLb0EES19_IbLb1EEEEDaS15_S16_EUlS15_E_NS1_11comp_targetILNS1_3genE5ELNS1_11target_archE942ELNS1_3gpuE9ELNS1_3repE0EEENS1_30default_config_static_selectorELNS0_4arch9wavefront6targetE1EEEvT1_
; %bb.0:
	.section	.rodata,"a",@progbits
	.p2align	6, 0x0
	.amdhsa_kernel _ZN7rocprim17ROCPRIM_400000_NS6detail17trampoline_kernelINS0_14default_configENS1_25partition_config_selectorILNS1_17partition_subalgoE9EllbEEZZNS1_14partition_implILS5_9ELb0ES3_jPlS8_PNS0_10empty_typeENS0_5tupleIJS8_S9_EEENSB_IJS8_SA_EEENS0_18inequality_wrapperIZN2at6native12_GLOBAL__N_124unique_dim_cuda_templateIfEESt5tupleIJNSF_6TensorESK_SK_EERKSK_lbbbEUlllE0_EEPmJS9_EEE10hipError_tPvRmT3_T4_T5_T6_T7_T9_mT8_P12ihipStream_tbDpT10_ENKUlT_T0_E_clISt17integral_constantIbLb0EES19_IbLb1EEEEDaS15_S16_EUlS15_E_NS1_11comp_targetILNS1_3genE5ELNS1_11target_archE942ELNS1_3gpuE9ELNS1_3repE0EEENS1_30default_config_static_selectorELNS0_4arch9wavefront6targetE1EEEvT1_
		.amdhsa_group_segment_fixed_size 0
		.amdhsa_private_segment_fixed_size 0
		.amdhsa_kernarg_size 136
		.amdhsa_user_sgpr_count 6
		.amdhsa_user_sgpr_private_segment_buffer 1
		.amdhsa_user_sgpr_dispatch_ptr 0
		.amdhsa_user_sgpr_queue_ptr 0
		.amdhsa_user_sgpr_kernarg_segment_ptr 1
		.amdhsa_user_sgpr_dispatch_id 0
		.amdhsa_user_sgpr_flat_scratch_init 0
		.amdhsa_user_sgpr_kernarg_preload_length 0
		.amdhsa_user_sgpr_kernarg_preload_offset 0
		.amdhsa_user_sgpr_private_segment_size 0
		.amdhsa_uses_dynamic_stack 0
		.amdhsa_system_sgpr_private_segment_wavefront_offset 0
		.amdhsa_system_sgpr_workgroup_id_x 1
		.amdhsa_system_sgpr_workgroup_id_y 0
		.amdhsa_system_sgpr_workgroup_id_z 0
		.amdhsa_system_sgpr_workgroup_info 0
		.amdhsa_system_vgpr_workitem_id 0
		.amdhsa_next_free_vgpr 1
		.amdhsa_next_free_sgpr 0
		.amdhsa_accum_offset 4
		.amdhsa_reserve_vcc 0
		.amdhsa_reserve_flat_scratch 0
		.amdhsa_float_round_mode_32 0
		.amdhsa_float_round_mode_16_64 0
		.amdhsa_float_denorm_mode_32 3
		.amdhsa_float_denorm_mode_16_64 3
		.amdhsa_dx10_clamp 1
		.amdhsa_ieee_mode 1
		.amdhsa_fp16_overflow 0
		.amdhsa_tg_split 0
		.amdhsa_exception_fp_ieee_invalid_op 0
		.amdhsa_exception_fp_denorm_src 0
		.amdhsa_exception_fp_ieee_div_zero 0
		.amdhsa_exception_fp_ieee_overflow 0
		.amdhsa_exception_fp_ieee_underflow 0
		.amdhsa_exception_fp_ieee_inexact 0
		.amdhsa_exception_int_div_zero 0
	.end_amdhsa_kernel
	.section	.text._ZN7rocprim17ROCPRIM_400000_NS6detail17trampoline_kernelINS0_14default_configENS1_25partition_config_selectorILNS1_17partition_subalgoE9EllbEEZZNS1_14partition_implILS5_9ELb0ES3_jPlS8_PNS0_10empty_typeENS0_5tupleIJS8_S9_EEENSB_IJS8_SA_EEENS0_18inequality_wrapperIZN2at6native12_GLOBAL__N_124unique_dim_cuda_templateIfEESt5tupleIJNSF_6TensorESK_SK_EERKSK_lbbbEUlllE0_EEPmJS9_EEE10hipError_tPvRmT3_T4_T5_T6_T7_T9_mT8_P12ihipStream_tbDpT10_ENKUlT_T0_E_clISt17integral_constantIbLb0EES19_IbLb1EEEEDaS15_S16_EUlS15_E_NS1_11comp_targetILNS1_3genE5ELNS1_11target_archE942ELNS1_3gpuE9ELNS1_3repE0EEENS1_30default_config_static_selectorELNS0_4arch9wavefront6targetE1EEEvT1_,"axG",@progbits,_ZN7rocprim17ROCPRIM_400000_NS6detail17trampoline_kernelINS0_14default_configENS1_25partition_config_selectorILNS1_17partition_subalgoE9EllbEEZZNS1_14partition_implILS5_9ELb0ES3_jPlS8_PNS0_10empty_typeENS0_5tupleIJS8_S9_EEENSB_IJS8_SA_EEENS0_18inequality_wrapperIZN2at6native12_GLOBAL__N_124unique_dim_cuda_templateIfEESt5tupleIJNSF_6TensorESK_SK_EERKSK_lbbbEUlllE0_EEPmJS9_EEE10hipError_tPvRmT3_T4_T5_T6_T7_T9_mT8_P12ihipStream_tbDpT10_ENKUlT_T0_E_clISt17integral_constantIbLb0EES19_IbLb1EEEEDaS15_S16_EUlS15_E_NS1_11comp_targetILNS1_3genE5ELNS1_11target_archE942ELNS1_3gpuE9ELNS1_3repE0EEENS1_30default_config_static_selectorELNS0_4arch9wavefront6targetE1EEEvT1_,comdat
.Lfunc_end986:
	.size	_ZN7rocprim17ROCPRIM_400000_NS6detail17trampoline_kernelINS0_14default_configENS1_25partition_config_selectorILNS1_17partition_subalgoE9EllbEEZZNS1_14partition_implILS5_9ELb0ES3_jPlS8_PNS0_10empty_typeENS0_5tupleIJS8_S9_EEENSB_IJS8_SA_EEENS0_18inequality_wrapperIZN2at6native12_GLOBAL__N_124unique_dim_cuda_templateIfEESt5tupleIJNSF_6TensorESK_SK_EERKSK_lbbbEUlllE0_EEPmJS9_EEE10hipError_tPvRmT3_T4_T5_T6_T7_T9_mT8_P12ihipStream_tbDpT10_ENKUlT_T0_E_clISt17integral_constantIbLb0EES19_IbLb1EEEEDaS15_S16_EUlS15_E_NS1_11comp_targetILNS1_3genE5ELNS1_11target_archE942ELNS1_3gpuE9ELNS1_3repE0EEENS1_30default_config_static_selectorELNS0_4arch9wavefront6targetE1EEEvT1_, .Lfunc_end986-_ZN7rocprim17ROCPRIM_400000_NS6detail17trampoline_kernelINS0_14default_configENS1_25partition_config_selectorILNS1_17partition_subalgoE9EllbEEZZNS1_14partition_implILS5_9ELb0ES3_jPlS8_PNS0_10empty_typeENS0_5tupleIJS8_S9_EEENSB_IJS8_SA_EEENS0_18inequality_wrapperIZN2at6native12_GLOBAL__N_124unique_dim_cuda_templateIfEESt5tupleIJNSF_6TensorESK_SK_EERKSK_lbbbEUlllE0_EEPmJS9_EEE10hipError_tPvRmT3_T4_T5_T6_T7_T9_mT8_P12ihipStream_tbDpT10_ENKUlT_T0_E_clISt17integral_constantIbLb0EES19_IbLb1EEEEDaS15_S16_EUlS15_E_NS1_11comp_targetILNS1_3genE5ELNS1_11target_archE942ELNS1_3gpuE9ELNS1_3repE0EEENS1_30default_config_static_selectorELNS0_4arch9wavefront6targetE1EEEvT1_
                                        ; -- End function
	.section	.AMDGPU.csdata,"",@progbits
; Kernel info:
; codeLenInByte = 0
; NumSgprs: 4
; NumVgprs: 0
; NumAgprs: 0
; TotalNumVgprs: 0
; ScratchSize: 0
; MemoryBound: 0
; FloatMode: 240
; IeeeMode: 1
; LDSByteSize: 0 bytes/workgroup (compile time only)
; SGPRBlocks: 0
; VGPRBlocks: 0
; NumSGPRsForWavesPerEU: 4
; NumVGPRsForWavesPerEU: 1
; AccumOffset: 4
; Occupancy: 8
; WaveLimiterHint : 0
; COMPUTE_PGM_RSRC2:SCRATCH_EN: 0
; COMPUTE_PGM_RSRC2:USER_SGPR: 6
; COMPUTE_PGM_RSRC2:TRAP_HANDLER: 0
; COMPUTE_PGM_RSRC2:TGID_X_EN: 1
; COMPUTE_PGM_RSRC2:TGID_Y_EN: 0
; COMPUTE_PGM_RSRC2:TGID_Z_EN: 0
; COMPUTE_PGM_RSRC2:TIDIG_COMP_CNT: 0
; COMPUTE_PGM_RSRC3_GFX90A:ACCUM_OFFSET: 0
; COMPUTE_PGM_RSRC3_GFX90A:TG_SPLIT: 0
	.section	.text._ZN7rocprim17ROCPRIM_400000_NS6detail17trampoline_kernelINS0_14default_configENS1_25partition_config_selectorILNS1_17partition_subalgoE9EllbEEZZNS1_14partition_implILS5_9ELb0ES3_jPlS8_PNS0_10empty_typeENS0_5tupleIJS8_S9_EEENSB_IJS8_SA_EEENS0_18inequality_wrapperIZN2at6native12_GLOBAL__N_124unique_dim_cuda_templateIfEESt5tupleIJNSF_6TensorESK_SK_EERKSK_lbbbEUlllE0_EEPmJS9_EEE10hipError_tPvRmT3_T4_T5_T6_T7_T9_mT8_P12ihipStream_tbDpT10_ENKUlT_T0_E_clISt17integral_constantIbLb0EES19_IbLb1EEEEDaS15_S16_EUlS15_E_NS1_11comp_targetILNS1_3genE4ELNS1_11target_archE910ELNS1_3gpuE8ELNS1_3repE0EEENS1_30default_config_static_selectorELNS0_4arch9wavefront6targetE1EEEvT1_,"axG",@progbits,_ZN7rocprim17ROCPRIM_400000_NS6detail17trampoline_kernelINS0_14default_configENS1_25partition_config_selectorILNS1_17partition_subalgoE9EllbEEZZNS1_14partition_implILS5_9ELb0ES3_jPlS8_PNS0_10empty_typeENS0_5tupleIJS8_S9_EEENSB_IJS8_SA_EEENS0_18inequality_wrapperIZN2at6native12_GLOBAL__N_124unique_dim_cuda_templateIfEESt5tupleIJNSF_6TensorESK_SK_EERKSK_lbbbEUlllE0_EEPmJS9_EEE10hipError_tPvRmT3_T4_T5_T6_T7_T9_mT8_P12ihipStream_tbDpT10_ENKUlT_T0_E_clISt17integral_constantIbLb0EES19_IbLb1EEEEDaS15_S16_EUlS15_E_NS1_11comp_targetILNS1_3genE4ELNS1_11target_archE910ELNS1_3gpuE8ELNS1_3repE0EEENS1_30default_config_static_selectorELNS0_4arch9wavefront6targetE1EEEvT1_,comdat
	.globl	_ZN7rocprim17ROCPRIM_400000_NS6detail17trampoline_kernelINS0_14default_configENS1_25partition_config_selectorILNS1_17partition_subalgoE9EllbEEZZNS1_14partition_implILS5_9ELb0ES3_jPlS8_PNS0_10empty_typeENS0_5tupleIJS8_S9_EEENSB_IJS8_SA_EEENS0_18inequality_wrapperIZN2at6native12_GLOBAL__N_124unique_dim_cuda_templateIfEESt5tupleIJNSF_6TensorESK_SK_EERKSK_lbbbEUlllE0_EEPmJS9_EEE10hipError_tPvRmT3_T4_T5_T6_T7_T9_mT8_P12ihipStream_tbDpT10_ENKUlT_T0_E_clISt17integral_constantIbLb0EES19_IbLb1EEEEDaS15_S16_EUlS15_E_NS1_11comp_targetILNS1_3genE4ELNS1_11target_archE910ELNS1_3gpuE8ELNS1_3repE0EEENS1_30default_config_static_selectorELNS0_4arch9wavefront6targetE1EEEvT1_ ; -- Begin function _ZN7rocprim17ROCPRIM_400000_NS6detail17trampoline_kernelINS0_14default_configENS1_25partition_config_selectorILNS1_17partition_subalgoE9EllbEEZZNS1_14partition_implILS5_9ELb0ES3_jPlS8_PNS0_10empty_typeENS0_5tupleIJS8_S9_EEENSB_IJS8_SA_EEENS0_18inequality_wrapperIZN2at6native12_GLOBAL__N_124unique_dim_cuda_templateIfEESt5tupleIJNSF_6TensorESK_SK_EERKSK_lbbbEUlllE0_EEPmJS9_EEE10hipError_tPvRmT3_T4_T5_T6_T7_T9_mT8_P12ihipStream_tbDpT10_ENKUlT_T0_E_clISt17integral_constantIbLb0EES19_IbLb1EEEEDaS15_S16_EUlS15_E_NS1_11comp_targetILNS1_3genE4ELNS1_11target_archE910ELNS1_3gpuE8ELNS1_3repE0EEENS1_30default_config_static_selectorELNS0_4arch9wavefront6targetE1EEEvT1_
	.p2align	8
	.type	_ZN7rocprim17ROCPRIM_400000_NS6detail17trampoline_kernelINS0_14default_configENS1_25partition_config_selectorILNS1_17partition_subalgoE9EllbEEZZNS1_14partition_implILS5_9ELb0ES3_jPlS8_PNS0_10empty_typeENS0_5tupleIJS8_S9_EEENSB_IJS8_SA_EEENS0_18inequality_wrapperIZN2at6native12_GLOBAL__N_124unique_dim_cuda_templateIfEESt5tupleIJNSF_6TensorESK_SK_EERKSK_lbbbEUlllE0_EEPmJS9_EEE10hipError_tPvRmT3_T4_T5_T6_T7_T9_mT8_P12ihipStream_tbDpT10_ENKUlT_T0_E_clISt17integral_constantIbLb0EES19_IbLb1EEEEDaS15_S16_EUlS15_E_NS1_11comp_targetILNS1_3genE4ELNS1_11target_archE910ELNS1_3gpuE8ELNS1_3repE0EEENS1_30default_config_static_selectorELNS0_4arch9wavefront6targetE1EEEvT1_,@function
_ZN7rocprim17ROCPRIM_400000_NS6detail17trampoline_kernelINS0_14default_configENS1_25partition_config_selectorILNS1_17partition_subalgoE9EllbEEZZNS1_14partition_implILS5_9ELb0ES3_jPlS8_PNS0_10empty_typeENS0_5tupleIJS8_S9_EEENSB_IJS8_SA_EEENS0_18inequality_wrapperIZN2at6native12_GLOBAL__N_124unique_dim_cuda_templateIfEESt5tupleIJNSF_6TensorESK_SK_EERKSK_lbbbEUlllE0_EEPmJS9_EEE10hipError_tPvRmT3_T4_T5_T6_T7_T9_mT8_P12ihipStream_tbDpT10_ENKUlT_T0_E_clISt17integral_constantIbLb0EES19_IbLb1EEEEDaS15_S16_EUlS15_E_NS1_11comp_targetILNS1_3genE4ELNS1_11target_archE910ELNS1_3gpuE8ELNS1_3repE0EEENS1_30default_config_static_selectorELNS0_4arch9wavefront6targetE1EEEvT1_: ; @_ZN7rocprim17ROCPRIM_400000_NS6detail17trampoline_kernelINS0_14default_configENS1_25partition_config_selectorILNS1_17partition_subalgoE9EllbEEZZNS1_14partition_implILS5_9ELb0ES3_jPlS8_PNS0_10empty_typeENS0_5tupleIJS8_S9_EEENSB_IJS8_SA_EEENS0_18inequality_wrapperIZN2at6native12_GLOBAL__N_124unique_dim_cuda_templateIfEESt5tupleIJNSF_6TensorESK_SK_EERKSK_lbbbEUlllE0_EEPmJS9_EEE10hipError_tPvRmT3_T4_T5_T6_T7_T9_mT8_P12ihipStream_tbDpT10_ENKUlT_T0_E_clISt17integral_constantIbLb0EES19_IbLb1EEEEDaS15_S16_EUlS15_E_NS1_11comp_targetILNS1_3genE4ELNS1_11target_archE910ELNS1_3gpuE8ELNS1_3repE0EEENS1_30default_config_static_selectorELNS0_4arch9wavefront6targetE1EEEvT1_
; %bb.0:
	s_load_dwordx4 s[8:11], s[4:5], 0x8
	s_load_dwordx2 s[14:15], s[4:5], 0x18
	s_load_dwordx8 s[20:27], s[4:5], 0x40
	s_load_dwordx4 s[16:19], s[4:5], 0x60
	v_cmp_ne_u32_e64 s[2:3], 0, v0
	v_cmp_eq_u32_e64 s[0:1], 0, v0
	s_and_saveexec_b64 s[6:7], s[0:1]
	s_cbranch_execz .LBB987_4
; %bb.1:
	s_mov_b64 s[28:29], exec
	v_mbcnt_lo_u32_b32 v1, s28, 0
	v_mbcnt_hi_u32_b32 v1, s29, v1
	v_cmp_eq_u32_e32 vcc, 0, v1
                                        ; implicit-def: $vgpr2
	s_and_saveexec_b64 s[12:13], vcc
	s_cbranch_execz .LBB987_3
; %bb.2:
	s_load_dwordx2 s[30:31], s[4:5], 0x78
	s_bcnt1_i32_b64 s28, s[28:29]
	v_mov_b32_e32 v2, 0
	v_mov_b32_e32 v3, s28
	s_waitcnt lgkmcnt(0)
	global_atomic_add v2, v2, v3, s[30:31] glc
.LBB987_3:
	s_or_b64 exec, exec, s[12:13]
	s_waitcnt vmcnt(0)
	v_readfirstlane_b32 s12, v2
	v_add_u32_e32 v1, s12, v1
	v_mov_b32_e32 v2, 0
	ds_write_b32 v2, v1
.LBB987_4:
	s_or_b64 exec, exec, s[6:7]
	v_mov_b32_e32 v1, 0
	s_load_dwordx4 s[28:31], s[4:5], 0x28
	s_load_dword s6, s[4:5], 0x70
	s_waitcnt lgkmcnt(0)
	s_barrier
	ds_read_b32 v6, v1
	s_waitcnt lgkmcnt(0)
	s_barrier
	global_load_dwordx2 v[2:3], v1, s[22:23]
	s_lshl_b64 s[36:37], s[10:11], 3
	s_add_u32 s22, s8, s36
	s_addc_u32 s23, s9, s37
	s_add_i32 s12, s6, -1
	s_lshl_b32 s8, s6, 9
	s_lshl_b32 s6, s12, 9
	s_add_i32 s6, s10, s6
	v_readfirstlane_b32 s33, v6
	s_sub_i32 s48, s24, s6
	s_lshl_b32 s6, s33, 9
	s_add_u32 s8, s10, s8
	s_addc_u32 s9, s11, 0
	v_mov_b32_e32 v4, s24
	v_mov_b32_e32 v5, s25
	s_cmp_eq_u32 s33, s12
	v_cmp_ge_u64_e32 vcc, s[8:9], v[4:5]
	s_cselect_b64 s[24:25], -1, 0
	s_mov_b32 s7, 0
	s_and_b64 s[12:13], vcc, s[24:25]
	s_lshl_b64 s[8:9], s[6:7], 3
	s_xor_b64 s[34:35], s[12:13], -1
	s_add_u32 s6, s22, s8
	s_mov_b64 s[4:5], -1
	v_lshrrev_b32_e32 v18, 2, v0
	s_addc_u32 s7, s23, s9
	s_and_b64 vcc, exec, s[34:35]
	s_waitcnt vmcnt(0)
	v_readfirstlane_b32 s22, v2
	v_readfirstlane_b32 s23, v3
	s_cbranch_vccz .LBB987_6
; %bb.5:
	v_lshlrev_b32_e32 v1, 3, v0
	global_load_dwordx2 v[2:3], v1, s[6:7]
	global_load_dwordx2 v[4:5], v1, s[6:7] offset:1024
	global_load_dwordx2 v[6:7], v1, s[6:7] offset:2048
	;; [unrolled: 1-line block ×3, first 2 shown]
	v_or_b32_e32 v11, 0x80, v0
	v_or_b32_e32 v12, 0x100, v0
	;; [unrolled: 1-line block ×3, first 2 shown]
	v_and_b32_e32 v10, 24, v18
	v_lshrrev_b32_e32 v11, 2, v11
	v_lshrrev_b32_e32 v12, 2, v12
	;; [unrolled: 1-line block ×3, first 2 shown]
	v_add_u32_e32 v10, v10, v1
	v_and_b32_e32 v11, 56, v11
	v_and_b32_e32 v12, 0x58, v12
	;; [unrolled: 1-line block ×3, first 2 shown]
	v_add_u32_e32 v11, v11, v1
	v_add_u32_e32 v12, v12, v1
	;; [unrolled: 1-line block ×3, first 2 shown]
	s_mov_b64 s[4:5], 0
	s_waitcnt vmcnt(3)
	ds_write_b64 v10, v[2:3]
	s_waitcnt vmcnt(2)
	ds_write_b64 v11, v[4:5] offset:1024
	s_waitcnt vmcnt(1)
	ds_write_b64 v12, v[6:7] offset:2048
	;; [unrolled: 2-line block ×3, first 2 shown]
	s_waitcnt lgkmcnt(0)
	s_barrier
.LBB987_6:
	s_andn2_b64 vcc, exec, s[4:5]
	v_cmp_gt_u32_e64 s[4:5], s48, v0
	s_cbranch_vccnz .LBB987_16
; %bb.7:
                                        ; implicit-def: $vgpr2_vgpr3_vgpr4_vgpr5_vgpr6_vgpr7_vgpr8_vgpr9
	s_and_saveexec_b64 s[38:39], s[4:5]
	s_cbranch_execz .LBB987_9
; %bb.8:
	v_lshlrev_b32_e32 v1, 3, v0
	global_load_dwordx2 v[2:3], v1, s[6:7]
.LBB987_9:
	s_or_b64 exec, exec, s[38:39]
	v_or_b32_e32 v1, 0x80, v0
	v_cmp_gt_u32_e32 vcc, s48, v1
	s_and_saveexec_b64 s[4:5], vcc
	s_cbranch_execz .LBB987_11
; %bb.10:
	v_lshlrev_b32_e32 v4, 3, v0
	global_load_dwordx2 v[4:5], v4, s[6:7] offset:1024
.LBB987_11:
	s_or_b64 exec, exec, s[4:5]
	v_or_b32_e32 v10, 0x100, v0
	v_cmp_gt_u32_e32 vcc, s48, v10
	s_and_saveexec_b64 s[4:5], vcc
	s_cbranch_execz .LBB987_13
; %bb.12:
	v_lshlrev_b32_e32 v6, 3, v0
	global_load_dwordx2 v[6:7], v6, s[6:7] offset:2048
.LBB987_13:
	;; [unrolled: 9-line block ×3, first 2 shown]
	s_or_b64 exec, exec, s[4:5]
	v_lshrrev_b32_e32 v1, 2, v1
	v_lshlrev_b32_e32 v13, 3, v0
	v_and_b32_e32 v1, 56, v1
	v_add_u32_e32 v1, v1, v13
	s_waitcnt vmcnt(0)
	ds_write_b64 v1, v[4:5] offset:1024
	v_lshrrev_b32_e32 v1, 2, v10
	v_and_b32_e32 v1, 0x78, v1
	v_add_u32_e32 v1, v1, v13
	ds_write_b64 v1, v[6:7] offset:2048
	v_lshrrev_b32_e32 v1, 2, v11
	v_and_b32_e32 v12, 24, v18
	v_and_b32_e32 v1, 0x78, v1
	v_add_u32_e32 v12, v12, v13
	v_add_u32_e32 v1, v1, v13
	ds_write_b64 v12, v[2:3]
	ds_write_b64 v1, v[8:9] offset:3072
	s_waitcnt lgkmcnt(0)
	s_barrier
.LBB987_16:
	v_lshlrev_b32_e32 v1, 2, v0
	v_lshrrev_b32_e32 v2, 3, v0
	v_add_lshl_u32 v19, v2, v1, 3
	ds_read2_b64 v[14:17], v19 offset1:1
	ds_read2_b64 v[10:13], v19 offset0:2 offset1:3
	s_add_u32 s4, s14, s36
	s_addc_u32 s5, s15, s37
	s_add_u32 s4, s4, s8
	s_addc_u32 s5, s5, s9
	s_mov_b64 s[8:9], -1
	s_and_b64 vcc, exec, s[34:35]
	s_waitcnt lgkmcnt(0)
	s_barrier
	s_cbranch_vccz .LBB987_18
; %bb.17:
	v_lshlrev_b32_e32 v20, 3, v0
	global_load_dwordx2 v[2:3], v20, s[4:5]
	global_load_dwordx2 v[4:5], v20, s[4:5] offset:1024
	global_load_dwordx2 v[6:7], v20, s[4:5] offset:2048
	;; [unrolled: 1-line block ×3, first 2 shown]
	v_or_b32_e32 v22, 0x80, v0
	v_or_b32_e32 v23, 0x100, v0
	v_or_b32_e32 v24, 0x180, v0
	v_and_b32_e32 v21, 24, v18
	v_lshrrev_b32_e32 v22, 2, v22
	v_lshrrev_b32_e32 v23, 2, v23
	;; [unrolled: 1-line block ×3, first 2 shown]
	v_add_u32_e32 v21, v21, v20
	v_and_b32_e32 v22, 56, v22
	v_and_b32_e32 v23, 0x58, v23
	;; [unrolled: 1-line block ×3, first 2 shown]
	v_add_u32_e32 v22, v22, v20
	v_add_u32_e32 v23, v23, v20
	;; [unrolled: 1-line block ×3, first 2 shown]
	s_mov_b64 s[8:9], 0
	s_waitcnt vmcnt(3)
	ds_write_b64 v21, v[2:3]
	s_waitcnt vmcnt(2)
	ds_write_b64 v22, v[4:5] offset:1024
	s_waitcnt vmcnt(1)
	ds_write_b64 v23, v[6:7] offset:2048
	;; [unrolled: 2-line block ×3, first 2 shown]
	s_waitcnt lgkmcnt(0)
	s_barrier
.LBB987_18:
	s_andn2_b64 vcc, exec, s[8:9]
	s_cbranch_vccnz .LBB987_28
; %bb.19:
	v_cmp_gt_u32_e32 vcc, s48, v0
                                        ; implicit-def: $vgpr2_vgpr3
	s_and_saveexec_b64 s[8:9], vcc
	s_cbranch_execz .LBB987_21
; %bb.20:
	v_lshlrev_b32_e32 v2, 3, v0
	global_load_dwordx2 v[2:3], v2, s[4:5]
.LBB987_21:
	s_or_b64 exec, exec, s[8:9]
	v_or_b32_e32 v20, 0x80, v0
	v_cmp_gt_u32_e32 vcc, s48, v20
                                        ; implicit-def: $vgpr4_vgpr5
	s_and_saveexec_b64 s[8:9], vcc
	s_cbranch_execz .LBB987_23
; %bb.22:
	v_lshlrev_b32_e32 v4, 3, v0
	global_load_dwordx2 v[4:5], v4, s[4:5] offset:1024
.LBB987_23:
	s_or_b64 exec, exec, s[8:9]
	v_or_b32_e32 v21, 0x100, v0
	v_cmp_gt_u32_e32 vcc, s48, v21
                                        ; implicit-def: $vgpr6_vgpr7
	s_and_saveexec_b64 s[8:9], vcc
	s_cbranch_execz .LBB987_25
; %bb.24:
	v_lshlrev_b32_e32 v6, 3, v0
	global_load_dwordx2 v[6:7], v6, s[4:5] offset:2048
.LBB987_25:
	s_or_b64 exec, exec, s[8:9]
	v_or_b32_e32 v22, 0x180, v0
	v_cmp_gt_u32_e32 vcc, s48, v22
                                        ; implicit-def: $vgpr8_vgpr9
	s_and_saveexec_b64 s[8:9], vcc
	s_cbranch_execz .LBB987_27
; %bb.26:
	v_lshlrev_b32_e32 v8, 3, v0
	global_load_dwordx2 v[8:9], v8, s[4:5] offset:3072
.LBB987_27:
	s_or_b64 exec, exec, s[8:9]
	v_and_b32_e32 v18, 24, v18
	v_lshlrev_b32_e32 v23, 3, v0
	v_add_u32_e32 v18, v18, v23
	s_waitcnt vmcnt(0)
	ds_write_b64 v18, v[2:3]
	v_lshrrev_b32_e32 v2, 2, v20
	v_and_b32_e32 v2, 56, v2
	v_add_u32_e32 v2, v2, v23
	ds_write_b64 v2, v[4:5] offset:1024
	v_lshrrev_b32_e32 v2, 2, v21
	v_and_b32_e32 v2, 0x78, v2
	v_add_u32_e32 v2, v2, v23
	ds_write_b64 v2, v[6:7] offset:2048
	v_lshrrev_b32_e32 v2, 2, v22
	v_and_b32_e32 v2, 0x78, v2
	v_add_u32_e32 v2, v2, v23
	ds_write_b64 v2, v[8:9] offset:3072
	s_waitcnt lgkmcnt(0)
	s_barrier
.LBB987_28:
	ds_read2_b64 v[6:9], v19 offset1:1
	ds_read2_b64 v[2:5], v19 offset0:2 offset1:3
	s_cmp_lg_u32 s33, 0
	s_cselect_b64 s[36:37], -1, 0
	s_cmp_lg_u64 s[10:11], 0
	s_cselect_b64 s[4:5], -1, 0
	s_or_b64 s[4:5], s[4:5], s[36:37]
	s_mov_b64 s[14:15], 0
	s_and_b64 vcc, exec, s[4:5]
	v_cmp_gt_i64_e64 s[4:5], s[26:27], 0
	s_waitcnt lgkmcnt(0)
	s_barrier
	s_cbranch_vccz .LBB987_37
; %bb.29:
	v_mov_b32_e32 v18, 0
	global_load_dwordx2 v[18:19], v18, s[6:7] offset:-8
	v_cndmask_b32_e64 v20, 0, 1, s[4:5]
	v_lshlrev_b32_e32 v29, 3, v0
	s_mov_b64 s[10:11], 0
	s_and_b64 vcc, exec, s[34:35]
	v_cmp_ne_u32_e64 s[4:5], 1, v20
	ds_write_b64 v29, v[12:13]
	s_cbranch_vccz .LBB987_38
; %bb.30:
	v_mul_lo_u32 v22, v11, s26
	v_mul_lo_u32 v23, v10, s27
	v_mad_u64_u32 v[20:21], s[6:7], v10, s26, 0
	v_add3_u32 v21, v21, v23, v22
	s_and_b64 vcc, exec, s[4:5]
	v_lshlrev_b64 v[20:21], 2, v[20:21]
	s_cbranch_vccnz .LBB987_41
; %bb.31:
	v_mul_lo_u32 v24, v13, s26
	v_mul_lo_u32 v25, v12, s27
	v_mad_u64_u32 v[22:23], s[6:7], v12, s26, 0
	v_add3_u32 v23, v23, v25, v24
	v_mov_b32_e32 v25, s17
	v_add_co_u32_e32 v24, vcc, s16, v20
	v_addc_co_u32_e64 v25, s[6:7], v25, v21, vcc
	v_lshlrev_b64 v[22:23], 2, v[22:23]
	v_mov_b32_e32 v27, s17
	v_add_co_u32_e64 v26, s[6:7], s16, v22
	v_addc_co_u32_e64 v27, s[8:9], v27, v23, s[6:7]
	global_load_dword v22, v[24:25], off
	global_load_dword v28, v[26:27], off
	s_mov_b64 s[10:11], -1
	s_waitcnt vmcnt(0)
	v_cmp_eq_f32_e64 s[8:9], v22, v28
	s_and_saveexec_b64 s[14:15], s[8:9]
	s_cbranch_execz .LBB987_40
; %bb.32:
	v_mov_b32_e32 v22, s17
	v_addc_co_u32_e64 v23, s[6:7], v23, v22, s[6:7]
	v_add_co_u32_e64 v22, s[6:7], 4, v26
	v_mov_b32_e32 v25, s17
	v_addc_co_u32_e64 v23, s[6:7], 0, v23, s[6:7]
	v_addc_co_u32_e32 v25, vcc, v21, v25, vcc
	v_add_co_u32_e32 v24, vcc, 4, v24
	s_add_u32 s6, s26, -1
	v_addc_co_u32_e32 v25, vcc, 0, v25, vcc
	s_addc_u32 s7, s27, -1
	s_mov_b64 s[8:9], 0
	s_mov_b64 s[38:39], 0
                                        ; implicit-def: $sgpr10_sgpr11
	s_branch .LBB987_35
.LBB987_33:                             ;   in Loop: Header=BB987_35 Depth=1
	global_load_dword v26, v[24:25], off
	global_load_dword v27, v[22:23], off
	v_add_co_u32_e32 v22, vcc, 4, v22
	v_addc_co_u32_e32 v23, vcc, 0, v23, vcc
	v_add_co_u32_e32 v24, vcc, 4, v24
	v_addc_co_u32_e32 v25, vcc, 0, v25, vcc
	s_add_u32 s38, s38, 1
	s_addc_u32 s39, s39, 0
	s_andn2_b64 s[10:11], s[10:11], exec
	s_waitcnt vmcnt(0)
	v_cmp_neq_f32_e32 vcc, v26, v27
	s_and_b64 s[40:41], vcc, exec
	s_or_b64 s[10:11], s[10:11], s[40:41]
.LBB987_34:                             ;   in Loop: Header=BB987_35 Depth=1
	s_and_b64 s[40:41], exec, s[10:11]
	s_or_b64 s[8:9], s[40:41], s[8:9]
	v_pk_mov_b32 v[26:27], s[38:39], s[38:39] op_sel:[0,1]
	s_andn2_b64 exec, exec, s[8:9]
	s_cbranch_execz .LBB987_39
.LBB987_35:                             ; =>This Inner Loop Header: Depth=1
	s_or_b64 s[10:11], s[10:11], exec
	s_cmp_eq_u64 s[6:7], s[38:39]
	s_cbranch_scc0 .LBB987_33
; %bb.36:                               ;   in Loop: Header=BB987_35 Depth=1
                                        ; implicit-def: $vgpr22_vgpr23
                                        ; implicit-def: $vgpr24_vgpr25
	s_mov_b64 s[38:39], s[26:27]
	s_branch .LBB987_34
.LBB987_37:
                                        ; implicit-def: $sgpr38_sgpr39
                                        ; implicit-def: $vgpr28
	s_branch .LBB987_119
.LBB987_38:
                                        ; implicit-def: $sgpr38_sgpr39
                                        ; implicit-def: $vgpr28
	s_cbranch_execnz .LBB987_71
	s_branch .LBB987_118
.LBB987_39:
	s_or_b64 exec, exec, s[8:9]
	v_cmp_gt_i64_e32 vcc, s[26:27], v[26:27]
	s_orn2_b64 s[10:11], vcc, exec
.LBB987_40:
	s_or_b64 exec, exec, s[14:15]
.LBB987_41:
	v_mul_lo_u32 v24, v17, s26
	v_mul_lo_u32 v25, v16, s27
	v_mad_u64_u32 v[22:23], s[6:7], v16, s26, 0
	v_add3_u32 v23, v23, v25, v24
	s_mov_b64 s[14:15], 0
	s_and_b64 vcc, exec, s[4:5]
	v_lshlrev_b64 v[22:23], 2, v[22:23]
	s_mov_b64 s[38:39], 0
	s_cbranch_vccnz .LBB987_50
; %bb.42:
	v_mov_b32_e32 v25, s17
	v_add_co_u32_e32 v24, vcc, s16, v22
	v_addc_co_u32_e64 v25, s[6:7], v25, v23, vcc
	v_mov_b32_e32 v27, s17
	v_add_co_u32_e64 v26, s[6:7], s16, v20
	v_addc_co_u32_e64 v27, s[8:9], v27, v21, s[6:7]
	global_load_dword v20, v[24:25], off
	global_load_dword v28, v[26:27], off
	s_mov_b64 s[38:39], -1
	s_waitcnt vmcnt(0)
	v_cmp_eq_f32_e64 s[8:9], v20, v28
	s_and_saveexec_b64 s[40:41], s[8:9]
	s_cbranch_execz .LBB987_49
; %bb.43:
	v_mov_b32_e32 v20, s17
	v_addc_co_u32_e64 v21, s[6:7], v21, v20, s[6:7]
	v_add_co_u32_e64 v20, s[6:7], 4, v26
	v_mov_b32_e32 v25, s17
	v_addc_co_u32_e64 v21, s[6:7], 0, v21, s[6:7]
	v_addc_co_u32_e32 v25, vcc, v23, v25, vcc
	v_add_co_u32_e32 v24, vcc, 4, v24
	s_add_u32 s6, s26, -1
	v_addc_co_u32_e32 v25, vcc, 0, v25, vcc
	s_addc_u32 s7, s27, -1
	s_mov_b64 s[8:9], 0
	s_mov_b64 s[42:43], 0
                                        ; implicit-def: $sgpr38_sgpr39
	s_branch .LBB987_46
.LBB987_44:                             ;   in Loop: Header=BB987_46 Depth=1
	global_load_dword v26, v[24:25], off
	global_load_dword v27, v[20:21], off
	v_add_co_u32_e32 v20, vcc, 4, v20
	v_addc_co_u32_e32 v21, vcc, 0, v21, vcc
	v_add_co_u32_e32 v24, vcc, 4, v24
	v_addc_co_u32_e32 v25, vcc, 0, v25, vcc
	s_add_u32 s42, s42, 1
	s_addc_u32 s43, s43, 0
	s_andn2_b64 s[38:39], s[38:39], exec
	s_waitcnt vmcnt(0)
	v_cmp_neq_f32_e32 vcc, v26, v27
	s_and_b64 s[44:45], vcc, exec
	s_or_b64 s[38:39], s[38:39], s[44:45]
.LBB987_45:                             ;   in Loop: Header=BB987_46 Depth=1
	s_and_b64 s[44:45], exec, s[38:39]
	s_or_b64 s[8:9], s[44:45], s[8:9]
	v_pk_mov_b32 v[26:27], s[42:43], s[42:43] op_sel:[0,1]
	s_andn2_b64 exec, exec, s[8:9]
	s_cbranch_execz .LBB987_48
.LBB987_46:                             ; =>This Inner Loop Header: Depth=1
	s_or_b64 s[38:39], s[38:39], exec
	s_cmp_eq_u64 s[6:7], s[42:43]
	s_cbranch_scc0 .LBB987_44
; %bb.47:                               ;   in Loop: Header=BB987_46 Depth=1
                                        ; implicit-def: $vgpr20_vgpr21
                                        ; implicit-def: $vgpr24_vgpr25
	s_mov_b64 s[42:43], s[26:27]
	s_branch .LBB987_45
.LBB987_48:
	s_or_b64 exec, exec, s[8:9]
	v_cmp_gt_i64_e32 vcc, s[26:27], v[26:27]
	s_orn2_b64 s[38:39], vcc, exec
.LBB987_49:
	s_or_b64 exec, exec, s[40:41]
.LBB987_50:
	v_mul_lo_u32 v24, v15, s26
	v_mul_lo_u32 v25, v14, s27
	v_mad_u64_u32 v[20:21], s[6:7], v14, s26, 0
	v_add3_u32 v21, v21, v25, v24
	s_and_b64 vcc, exec, s[4:5]
	v_lshlrev_b64 v[20:21], 2, v[20:21]
	s_cbranch_vccnz .LBB987_59
; %bb.51:
	v_mov_b32_e32 v25, s17
	v_add_co_u32_e32 v24, vcc, s16, v20
	v_addc_co_u32_e64 v25, s[6:7], v25, v21, vcc
	v_mov_b32_e32 v27, s17
	v_add_co_u32_e64 v26, s[6:7], s16, v22
	v_addc_co_u32_e64 v27, s[8:9], v27, v23, s[6:7]
	global_load_dword v22, v[24:25], off
	global_load_dword v28, v[26:27], off
	s_mov_b64 s[14:15], -1
	s_waitcnt vmcnt(0)
	v_cmp_eq_f32_e64 s[8:9], v22, v28
	s_and_saveexec_b64 s[40:41], s[8:9]
	s_cbranch_execz .LBB987_58
; %bb.52:
	v_mov_b32_e32 v22, s17
	v_addc_co_u32_e64 v23, s[6:7], v23, v22, s[6:7]
	v_add_co_u32_e64 v22, s[6:7], 4, v26
	v_mov_b32_e32 v25, s17
	v_addc_co_u32_e64 v23, s[6:7], 0, v23, s[6:7]
	v_addc_co_u32_e32 v25, vcc, v21, v25, vcc
	v_add_co_u32_e32 v24, vcc, 4, v24
	s_add_u32 s6, s26, -1
	v_addc_co_u32_e32 v25, vcc, 0, v25, vcc
	s_addc_u32 s7, s27, -1
	s_mov_b64 s[8:9], 0
	s_mov_b64 s[42:43], 0
                                        ; implicit-def: $sgpr14_sgpr15
	s_branch .LBB987_55
.LBB987_53:                             ;   in Loop: Header=BB987_55 Depth=1
	global_load_dword v26, v[24:25], off
	global_load_dword v27, v[22:23], off
	v_add_co_u32_e32 v22, vcc, 4, v22
	v_addc_co_u32_e32 v23, vcc, 0, v23, vcc
	v_add_co_u32_e32 v24, vcc, 4, v24
	v_addc_co_u32_e32 v25, vcc, 0, v25, vcc
	s_add_u32 s42, s42, 1
	s_addc_u32 s43, s43, 0
	s_andn2_b64 s[14:15], s[14:15], exec
	s_waitcnt vmcnt(0)
	v_cmp_neq_f32_e32 vcc, v26, v27
	s_and_b64 s[44:45], vcc, exec
	s_or_b64 s[14:15], s[14:15], s[44:45]
.LBB987_54:                             ;   in Loop: Header=BB987_55 Depth=1
	s_and_b64 s[44:45], exec, s[14:15]
	s_or_b64 s[8:9], s[44:45], s[8:9]
	v_pk_mov_b32 v[26:27], s[42:43], s[42:43] op_sel:[0,1]
	s_andn2_b64 exec, exec, s[8:9]
	s_cbranch_execz .LBB987_57
.LBB987_55:                             ; =>This Inner Loop Header: Depth=1
	s_or_b64 s[14:15], s[14:15], exec
	s_cmp_eq_u64 s[6:7], s[42:43]
	s_cbranch_scc0 .LBB987_53
; %bb.56:                               ;   in Loop: Header=BB987_55 Depth=1
                                        ; implicit-def: $vgpr22_vgpr23
                                        ; implicit-def: $vgpr24_vgpr25
	s_mov_b64 s[42:43], s[26:27]
	s_branch .LBB987_54
.LBB987_57:
	s_or_b64 exec, exec, s[8:9]
	v_cmp_gt_i64_e32 vcc, s[26:27], v[26:27]
	s_orn2_b64 s[14:15], vcc, exec
.LBB987_58:
	s_or_b64 exec, exec, s[40:41]
.LBB987_59:
	s_waitcnt vmcnt(0)
	v_pk_mov_b32 v[22:23], v[18:19], v[18:19] op_sel:[0,1]
	s_waitcnt lgkmcnt(0)
	s_barrier
	s_and_saveexec_b64 s[6:7], s[2:3]
	s_cbranch_execz .LBB987_61
; %bb.60:
	v_add_u32_e32 v22, -8, v29
	ds_read_b64 v[22:23], v22
.LBB987_61:
	s_or_b64 exec, exec, s[6:7]
	v_cndmask_b32_e64 v25, 0, 1, s[10:11]
	v_cndmask_b32_e64 v24, 0, 1, s[38:39]
	;; [unrolled: 1-line block ×3, first 2 shown]
	v_lshlrev_b16_e32 v25, 8, v25
	v_lshlrev_b16_e32 v28, 8, v26
	v_or_b32_sdwa v30, v24, v25 dst_sel:WORD_1 dst_unused:UNUSED_PAD src0_sel:DWORD src1_sel:DWORD
	s_mov_b64 s[10:11], 0
	s_and_b64 vcc, exec, s[4:5]
	s_mov_b64 s[38:39], 0
	s_cbranch_vccnz .LBB987_70
; %bb.62:
	s_waitcnt lgkmcnt(0)
	v_mul_lo_u32 v24, v23, s26
	v_mul_lo_u32 v25, v22, s27
	v_mad_u64_u32 v[22:23], s[6:7], v22, s26, 0
	v_add3_u32 v23, v23, v25, v24
	v_lshlrev_b64 v[22:23], 2, v[22:23]
	v_mov_b32_e32 v25, s17
	v_add_co_u32_e32 v24, vcc, s16, v22
	v_addc_co_u32_e64 v25, s[6:7], v25, v23, vcc
	v_mov_b32_e32 v22, s17
	v_add_co_u32_e64 v26, s[6:7], s16, v20
	v_addc_co_u32_e64 v27, s[8:9], v22, v21, s[6:7]
	global_load_dword v20, v[24:25], off
	global_load_dword v22, v[26:27], off
	s_mov_b64 s[38:39], -1
	s_waitcnt vmcnt(0)
	v_cmp_eq_f32_e64 s[8:9], v20, v22
	s_and_saveexec_b64 s[14:15], s[8:9]
	s_cbranch_execz .LBB987_69
; %bb.63:
	v_mov_b32_e32 v20, s17
	v_addc_co_u32_e64 v21, s[6:7], v21, v20, s[6:7]
	v_add_co_u32_e64 v20, s[6:7], 4, v26
	v_mov_b32_e32 v22, s17
	v_addc_co_u32_e64 v21, s[6:7], 0, v21, s[6:7]
	v_addc_co_u32_e32 v23, vcc, v23, v22, vcc
	v_add_co_u32_e32 v22, vcc, 4, v24
	s_add_u32 s6, s26, -1
	v_addc_co_u32_e32 v23, vcc, 0, v23, vcc
	s_addc_u32 s7, s27, -1
	s_mov_b64 s[8:9], 0
	s_mov_b64 s[40:41], 0
                                        ; implicit-def: $sgpr38_sgpr39
	s_branch .LBB987_66
.LBB987_64:                             ;   in Loop: Header=BB987_66 Depth=1
	global_load_dword v24, v[22:23], off
	global_load_dword v25, v[20:21], off
	v_add_co_u32_e32 v20, vcc, 4, v20
	v_addc_co_u32_e32 v21, vcc, 0, v21, vcc
	v_add_co_u32_e32 v22, vcc, 4, v22
	v_addc_co_u32_e32 v23, vcc, 0, v23, vcc
	s_add_u32 s40, s40, 1
	s_addc_u32 s41, s41, 0
	s_andn2_b64 s[38:39], s[38:39], exec
	s_waitcnt vmcnt(0)
	v_cmp_neq_f32_e32 vcc, v24, v25
	s_and_b64 s[42:43], vcc, exec
	s_or_b64 s[38:39], s[38:39], s[42:43]
.LBB987_65:                             ;   in Loop: Header=BB987_66 Depth=1
	s_and_b64 s[42:43], exec, s[38:39]
	s_or_b64 s[8:9], s[42:43], s[8:9]
	v_pk_mov_b32 v[24:25], s[40:41], s[40:41] op_sel:[0,1]
	s_andn2_b64 exec, exec, s[8:9]
	s_cbranch_execz .LBB987_68
.LBB987_66:                             ; =>This Inner Loop Header: Depth=1
	s_or_b64 s[38:39], s[38:39], exec
	s_cmp_eq_u64 s[6:7], s[40:41]
	s_cbranch_scc0 .LBB987_64
; %bb.67:                               ;   in Loop: Header=BB987_66 Depth=1
                                        ; implicit-def: $vgpr20_vgpr21
                                        ; implicit-def: $vgpr22_vgpr23
	s_mov_b64 s[40:41], s[26:27]
	s_branch .LBB987_65
.LBB987_68:
	s_or_b64 exec, exec, s[8:9]
	v_cmp_gt_i64_e32 vcc, s[26:27], v[24:25]
	s_orn2_b64 s[38:39], vcc, exec
.LBB987_69:
	s_or_b64 exec, exec, s[14:15]
.LBB987_70:
	v_or_b32_e32 v28, v28, v30
	s_and_b64 vcc, exec, s[10:11]
	s_cbranch_vccz .LBB987_118
.LBB987_71:
	v_or_b32_e32 v20, 3, v1
	v_cmp_gt_u32_e32 vcc, s48, v20
	s_mov_b64 s[14:15], 0
	s_mov_b64 s[10:11], 0
	s_and_saveexec_b64 s[38:39], vcc
	s_cbranch_execz .LBB987_82
; %bb.72:
	s_and_b64 vcc, exec, s[4:5]
	s_mov_b64 s[40:41], 0
	s_cbranch_vccnz .LBB987_81
; %bb.73:
	s_waitcnt lgkmcnt(0)
	v_mul_lo_u32 v22, v11, s26
	v_mul_lo_u32 v23, v10, s27
	v_mad_u64_u32 v[20:21], s[6:7], v10, s26, 0
	v_add3_u32 v21, v21, v23, v22
	v_mul_lo_u32 v22, v13, s26
	v_mul_lo_u32 v23, v12, s27
	v_mad_u64_u32 v[26:27], s[6:7], v12, s26, 0
	v_add3_u32 v27, v27, v23, v22
	v_lshlrev_b64 v[22:23], 2, v[20:21]
	v_mov_b32_e32 v20, s17
	v_add_co_u32_e32 v24, vcc, s16, v22
	v_addc_co_u32_e64 v25, s[6:7], v20, v23, vcc
	v_lshlrev_b64 v[20:21], 2, v[26:27]
	v_mov_b32_e32 v22, s17
	v_add_co_u32_e64 v26, s[6:7], s16, v20
	v_addc_co_u32_e64 v27, s[8:9], v22, v21, s[6:7]
	global_load_dword v20, v[24:25], off
	global_load_dword v22, v[26:27], off
	s_mov_b64 s[40:41], -1
	s_waitcnt vmcnt(0)
	v_cmp_eq_f32_e64 s[8:9], v20, v22
	s_and_saveexec_b64 s[10:11], s[8:9]
	s_cbranch_execz .LBB987_80
; %bb.74:
	v_mov_b32_e32 v20, s17
	v_addc_co_u32_e64 v21, s[6:7], v21, v20, s[6:7]
	v_add_co_u32_e64 v20, s[6:7], 4, v26
	v_mov_b32_e32 v22, s17
	v_addc_co_u32_e64 v21, s[6:7], 0, v21, s[6:7]
	v_addc_co_u32_e32 v23, vcc, v23, v22, vcc
	v_add_co_u32_e32 v22, vcc, 4, v24
	s_add_u32 s6, s26, -1
	v_addc_co_u32_e32 v23, vcc, 0, v23, vcc
	s_addc_u32 s7, s27, -1
	s_mov_b64 s[8:9], 0
	s_mov_b64 s[42:43], 0
                                        ; implicit-def: $sgpr40_sgpr41
	s_branch .LBB987_77
.LBB987_75:                             ;   in Loop: Header=BB987_77 Depth=1
	global_load_dword v24, v[22:23], off
	global_load_dword v25, v[20:21], off
	v_add_co_u32_e32 v20, vcc, 4, v20
	v_addc_co_u32_e32 v21, vcc, 0, v21, vcc
	v_add_co_u32_e32 v22, vcc, 4, v22
	v_addc_co_u32_e32 v23, vcc, 0, v23, vcc
	s_add_u32 s42, s42, 1
	s_addc_u32 s43, s43, 0
	s_andn2_b64 s[40:41], s[40:41], exec
	s_waitcnt vmcnt(0)
	v_cmp_neq_f32_e32 vcc, v24, v25
	s_and_b64 s[44:45], vcc, exec
	s_or_b64 s[40:41], s[40:41], s[44:45]
.LBB987_76:                             ;   in Loop: Header=BB987_77 Depth=1
	s_and_b64 s[44:45], exec, s[40:41]
	s_or_b64 s[8:9], s[44:45], s[8:9]
	v_pk_mov_b32 v[24:25], s[42:43], s[42:43] op_sel:[0,1]
	s_andn2_b64 exec, exec, s[8:9]
	s_cbranch_execz .LBB987_79
.LBB987_77:                             ; =>This Inner Loop Header: Depth=1
	s_or_b64 s[40:41], s[40:41], exec
	s_cmp_eq_u64 s[6:7], s[42:43]
	s_cbranch_scc0 .LBB987_75
; %bb.78:                               ;   in Loop: Header=BB987_77 Depth=1
                                        ; implicit-def: $vgpr20_vgpr21
                                        ; implicit-def: $vgpr22_vgpr23
	s_mov_b64 s[42:43], s[26:27]
	s_branch .LBB987_76
.LBB987_79:
	s_or_b64 exec, exec, s[8:9]
	v_cmp_gt_i64_e32 vcc, s[26:27], v[24:25]
	s_orn2_b64 s[40:41], vcc, exec
.LBB987_80:
	s_or_b64 exec, exec, s[10:11]
.LBB987_81:
	s_and_b64 s[10:11], s[40:41], exec
.LBB987_82:
	s_or_b64 exec, exec, s[38:39]
	v_or_b32_e32 v20, 2, v1
	v_cmp_gt_u32_e32 vcc, s48, v20
	s_and_saveexec_b64 s[38:39], vcc
	s_cbranch_execz .LBB987_93
; %bb.83:
	s_and_b64 vcc, exec, s[4:5]
	s_mov_b64 s[40:41], 0
	s_cbranch_vccnz .LBB987_92
; %bb.84:
	s_waitcnt lgkmcnt(0)
	v_mul_lo_u32 v22, v17, s26
	v_mul_lo_u32 v23, v16, s27
	v_mad_u64_u32 v[20:21], s[6:7], v16, s26, 0
	v_add3_u32 v21, v21, v23, v22
	v_mul_lo_u32 v22, v11, s26
	v_mul_lo_u32 v23, v10, s27
	v_mad_u64_u32 v[26:27], s[6:7], v10, s26, 0
	v_add3_u32 v27, v27, v23, v22
	v_lshlrev_b64 v[22:23], 2, v[20:21]
	v_mov_b32_e32 v20, s17
	v_add_co_u32_e32 v24, vcc, s16, v22
	v_addc_co_u32_e64 v25, s[6:7], v20, v23, vcc
	v_lshlrev_b64 v[20:21], 2, v[26:27]
	v_mov_b32_e32 v22, s17
	v_add_co_u32_e64 v26, s[6:7], s16, v20
	v_addc_co_u32_e64 v27, s[8:9], v22, v21, s[6:7]
	global_load_dword v20, v[24:25], off
	global_load_dword v22, v[26:27], off
	s_mov_b64 s[40:41], -1
	s_waitcnt vmcnt(0)
	v_cmp_eq_f32_e64 s[8:9], v20, v22
	s_and_saveexec_b64 s[14:15], s[8:9]
	s_cbranch_execz .LBB987_91
; %bb.85:
	v_mov_b32_e32 v20, s17
	v_addc_co_u32_e64 v21, s[6:7], v21, v20, s[6:7]
	v_add_co_u32_e64 v20, s[6:7], 4, v26
	v_mov_b32_e32 v22, s17
	v_addc_co_u32_e64 v21, s[6:7], 0, v21, s[6:7]
	v_addc_co_u32_e32 v23, vcc, v23, v22, vcc
	v_add_co_u32_e32 v22, vcc, 4, v24
	s_add_u32 s6, s26, -1
	v_addc_co_u32_e32 v23, vcc, 0, v23, vcc
	s_addc_u32 s7, s27, -1
	s_mov_b64 s[8:9], 0
	s_mov_b64 s[42:43], 0
                                        ; implicit-def: $sgpr40_sgpr41
	s_branch .LBB987_88
.LBB987_86:                             ;   in Loop: Header=BB987_88 Depth=1
	global_load_dword v24, v[22:23], off
	global_load_dword v25, v[20:21], off
	v_add_co_u32_e32 v20, vcc, 4, v20
	v_addc_co_u32_e32 v21, vcc, 0, v21, vcc
	v_add_co_u32_e32 v22, vcc, 4, v22
	v_addc_co_u32_e32 v23, vcc, 0, v23, vcc
	s_add_u32 s42, s42, 1
	s_addc_u32 s43, s43, 0
	s_andn2_b64 s[40:41], s[40:41], exec
	s_waitcnt vmcnt(0)
	v_cmp_neq_f32_e32 vcc, v24, v25
	s_and_b64 s[44:45], vcc, exec
	s_or_b64 s[40:41], s[40:41], s[44:45]
.LBB987_87:                             ;   in Loop: Header=BB987_88 Depth=1
	s_and_b64 s[44:45], exec, s[40:41]
	s_or_b64 s[8:9], s[44:45], s[8:9]
	v_pk_mov_b32 v[24:25], s[42:43], s[42:43] op_sel:[0,1]
	s_andn2_b64 exec, exec, s[8:9]
	s_cbranch_execz .LBB987_90
.LBB987_88:                             ; =>This Inner Loop Header: Depth=1
	s_or_b64 s[40:41], s[40:41], exec
	s_cmp_eq_u64 s[6:7], s[42:43]
	s_cbranch_scc0 .LBB987_86
; %bb.89:                               ;   in Loop: Header=BB987_88 Depth=1
                                        ; implicit-def: $vgpr20_vgpr21
                                        ; implicit-def: $vgpr22_vgpr23
	s_mov_b64 s[42:43], s[26:27]
	s_branch .LBB987_87
.LBB987_90:
	s_or_b64 exec, exec, s[8:9]
	v_cmp_gt_i64_e32 vcc, s[26:27], v[24:25]
	s_orn2_b64 s[40:41], vcc, exec
.LBB987_91:
	s_or_b64 exec, exec, s[14:15]
.LBB987_92:
	s_and_b64 s[14:15], s[40:41], exec
.LBB987_93:
	s_or_b64 exec, exec, s[38:39]
	v_or_b32_e32 v20, 1, v1
	v_cmp_gt_u32_e32 vcc, s48, v20
	s_mov_b64 s[6:7], 0
	s_and_saveexec_b64 s[38:39], vcc
	s_cbranch_execz .LBB987_104
; %bb.94:
	s_and_b64 vcc, exec, s[4:5]
	s_mov_b64 s[42:43], 0
	s_cbranch_vccnz .LBB987_103
; %bb.95:
	s_waitcnt lgkmcnt(0)
	v_mul_lo_u32 v22, v15, s26
	v_mul_lo_u32 v23, v14, s27
	v_mad_u64_u32 v[20:21], s[6:7], v14, s26, 0
	v_add3_u32 v21, v21, v23, v22
	v_mul_lo_u32 v22, v17, s26
	v_mul_lo_u32 v23, v16, s27
	v_mad_u64_u32 v[26:27], s[6:7], v16, s26, 0
	v_add3_u32 v27, v27, v23, v22
	v_lshlrev_b64 v[22:23], 2, v[20:21]
	v_mov_b32_e32 v20, s17
	v_add_co_u32_e32 v24, vcc, s16, v22
	v_addc_co_u32_e64 v25, s[6:7], v20, v23, vcc
	v_lshlrev_b64 v[20:21], 2, v[26:27]
	v_mov_b32_e32 v22, s17
	v_add_co_u32_e64 v26, s[6:7], s16, v20
	v_addc_co_u32_e64 v27, s[8:9], v22, v21, s[6:7]
	global_load_dword v20, v[24:25], off
	global_load_dword v22, v[26:27], off
	s_mov_b64 s[42:43], -1
	s_waitcnt vmcnt(0)
	v_cmp_eq_f32_e64 s[8:9], v20, v22
	s_and_saveexec_b64 s[40:41], s[8:9]
	s_cbranch_execz .LBB987_102
; %bb.96:
	v_mov_b32_e32 v20, s17
	v_addc_co_u32_e64 v21, s[6:7], v21, v20, s[6:7]
	v_add_co_u32_e64 v20, s[6:7], 4, v26
	v_mov_b32_e32 v22, s17
	v_addc_co_u32_e64 v21, s[6:7], 0, v21, s[6:7]
	v_addc_co_u32_e32 v23, vcc, v23, v22, vcc
	v_add_co_u32_e32 v22, vcc, 4, v24
	s_add_u32 s6, s26, -1
	v_addc_co_u32_e32 v23, vcc, 0, v23, vcc
	s_addc_u32 s7, s27, -1
	s_mov_b64 s[8:9], 0
	s_mov_b64 s[44:45], 0
                                        ; implicit-def: $sgpr42_sgpr43
	s_branch .LBB987_99
.LBB987_97:                             ;   in Loop: Header=BB987_99 Depth=1
	global_load_dword v24, v[22:23], off
	global_load_dword v25, v[20:21], off
	v_add_co_u32_e32 v20, vcc, 4, v20
	v_addc_co_u32_e32 v21, vcc, 0, v21, vcc
	v_add_co_u32_e32 v22, vcc, 4, v22
	v_addc_co_u32_e32 v23, vcc, 0, v23, vcc
	s_add_u32 s44, s44, 1
	s_addc_u32 s45, s45, 0
	s_andn2_b64 s[42:43], s[42:43], exec
	s_waitcnt vmcnt(0)
	v_cmp_neq_f32_e32 vcc, v24, v25
	s_and_b64 s[46:47], vcc, exec
	s_or_b64 s[42:43], s[42:43], s[46:47]
.LBB987_98:                             ;   in Loop: Header=BB987_99 Depth=1
	s_and_b64 s[46:47], exec, s[42:43]
	s_or_b64 s[8:9], s[46:47], s[8:9]
	v_pk_mov_b32 v[24:25], s[44:45], s[44:45] op_sel:[0,1]
	s_andn2_b64 exec, exec, s[8:9]
	s_cbranch_execz .LBB987_101
.LBB987_99:                             ; =>This Inner Loop Header: Depth=1
	s_or_b64 s[42:43], s[42:43], exec
	s_cmp_eq_u64 s[6:7], s[44:45]
	s_cbranch_scc0 .LBB987_97
; %bb.100:                              ;   in Loop: Header=BB987_99 Depth=1
                                        ; implicit-def: $vgpr20_vgpr21
                                        ; implicit-def: $vgpr22_vgpr23
	s_mov_b64 s[44:45], s[26:27]
	s_branch .LBB987_98
.LBB987_101:
	s_or_b64 exec, exec, s[8:9]
	v_cmp_gt_i64_e32 vcc, s[26:27], v[24:25]
	s_orn2_b64 s[42:43], vcc, exec
.LBB987_102:
	s_or_b64 exec, exec, s[40:41]
.LBB987_103:
	s_and_b64 s[6:7], s[42:43], exec
.LBB987_104:
	s_or_b64 exec, exec, s[38:39]
	s_waitcnt lgkmcnt(0)
	s_barrier
	s_and_saveexec_b64 s[8:9], s[2:3]
	s_cbranch_execz .LBB987_106
; %bb.105:
	s_waitcnt vmcnt(0)
	v_add_u32_e32 v18, -8, v29
	ds_read_b64 v[18:19], v18
.LBB987_106:
	s_or_b64 exec, exec, s[8:9]
	v_cndmask_b32_e64 v21, 0, 1, s[10:11]
	v_cndmask_b32_e64 v20, 0, 1, s[14:15]
	;; [unrolled: 1-line block ×3, first 2 shown]
	v_lshlrev_b16_e32 v21, 8, v21
	v_lshlrev_b16_e32 v26, 8, v22
	v_or_b32_sdwa v27, v20, v21 dst_sel:WORD_1 dst_unused:UNUSED_PAD src0_sel:DWORD src1_sel:DWORD
	v_cmp_gt_u32_e32 vcc, s48, v1
	s_mov_b64 s[38:39], 0
	s_and_saveexec_b64 s[8:9], vcc
	s_cbranch_execz .LBB987_117
; %bb.107:
	s_and_b64 vcc, exec, s[4:5]
	s_mov_b64 s[14:15], 0
	s_cbranch_vccnz .LBB987_116
; %bb.108:
	s_waitcnt vmcnt(0) lgkmcnt(0)
	v_mul_lo_u32 v20, v19, s26
	v_mul_lo_u32 v21, v18, s27
	v_mad_u64_u32 v[18:19], s[4:5], v18, s26, 0
	v_add3_u32 v19, v19, v21, v20
	v_mul_lo_u32 v20, v15, s26
	v_mul_lo_u32 v21, v14, s27
	v_mad_u64_u32 v[24:25], s[4:5], v14, s26, 0
	v_add3_u32 v25, v25, v21, v20
	v_lshlrev_b64 v[20:21], 2, v[18:19]
	v_mov_b32_e32 v18, s17
	v_add_co_u32_e32 v22, vcc, s16, v20
	v_addc_co_u32_e64 v23, s[4:5], v18, v21, vcc
	v_lshlrev_b64 v[18:19], 2, v[24:25]
	v_mov_b32_e32 v20, s17
	v_add_co_u32_e64 v24, s[4:5], s16, v18
	v_addc_co_u32_e64 v25, s[6:7], v20, v19, s[4:5]
	global_load_dword v18, v[22:23], off
	global_load_dword v20, v[24:25], off
	s_mov_b64 s[14:15], -1
	s_waitcnt vmcnt(0)
	v_cmp_eq_f32_e64 s[6:7], v18, v20
	s_and_saveexec_b64 s[10:11], s[6:7]
	s_cbranch_execz .LBB987_115
; %bb.109:
	v_mov_b32_e32 v18, s17
	v_addc_co_u32_e64 v19, s[4:5], v19, v18, s[4:5]
	v_add_co_u32_e64 v18, s[4:5], 4, v24
	v_mov_b32_e32 v20, s17
	v_addc_co_u32_e64 v19, s[4:5], 0, v19, s[4:5]
	v_addc_co_u32_e32 v21, vcc, v21, v20, vcc
	v_add_co_u32_e32 v20, vcc, 4, v22
	s_add_u32 s4, s26, -1
	v_addc_co_u32_e32 v21, vcc, 0, v21, vcc
	s_addc_u32 s5, s27, -1
	s_mov_b64 s[6:7], 0
                                        ; implicit-def: $sgpr14_sgpr15
	s_branch .LBB987_112
.LBB987_110:                            ;   in Loop: Header=BB987_112 Depth=1
	global_load_dword v22, v[20:21], off
	global_load_dword v23, v[18:19], off
	v_add_co_u32_e32 v18, vcc, 4, v18
	v_addc_co_u32_e32 v19, vcc, 0, v19, vcc
	v_add_co_u32_e32 v20, vcc, 4, v20
	v_addc_co_u32_e32 v21, vcc, 0, v21, vcc
	s_add_u32 s38, s38, 1
	s_addc_u32 s39, s39, 0
	s_andn2_b64 s[14:15], s[14:15], exec
	s_waitcnt vmcnt(0)
	v_cmp_neq_f32_e32 vcc, v22, v23
	s_and_b64 s[40:41], vcc, exec
	s_or_b64 s[14:15], s[14:15], s[40:41]
.LBB987_111:                            ;   in Loop: Header=BB987_112 Depth=1
	s_and_b64 s[40:41], exec, s[14:15]
	s_or_b64 s[6:7], s[40:41], s[6:7]
	v_pk_mov_b32 v[22:23], s[38:39], s[38:39] op_sel:[0,1]
	s_andn2_b64 exec, exec, s[6:7]
	s_cbranch_execz .LBB987_114
.LBB987_112:                            ; =>This Inner Loop Header: Depth=1
	s_or_b64 s[14:15], s[14:15], exec
	s_cmp_eq_u64 s[4:5], s[38:39]
	s_cbranch_scc0 .LBB987_110
; %bb.113:                              ;   in Loop: Header=BB987_112 Depth=1
                                        ; implicit-def: $vgpr18_vgpr19
                                        ; implicit-def: $vgpr20_vgpr21
	s_mov_b64 s[38:39], s[26:27]
	s_branch .LBB987_111
.LBB987_114:
	s_or_b64 exec, exec, s[6:7]
	v_cmp_gt_i64_e32 vcc, s[26:27], v[22:23]
	s_orn2_b64 s[14:15], vcc, exec
.LBB987_115:
	s_or_b64 exec, exec, s[10:11]
.LBB987_116:
	s_and_b64 s[38:39], s[14:15], exec
.LBB987_117:
	s_or_b64 exec, exec, s[8:9]
	v_or_b32_e32 v28, v26, v27
.LBB987_118:
	s_mov_b64 s[14:15], -1
	s_cbranch_execnz .LBB987_207
.LBB987_119:
	v_lshlrev_b32_e32 v29, 3, v0
	s_mov_b64 s[38:39], 0
	v_cmp_gt_i64_e64 s[10:11], s[26:27], 0
	s_and_b64 vcc, exec, s[34:35]
	ds_write_b64 v29, v[12:13]
	s_cbranch_vccz .LBB987_127
; %bb.120:
	v_mul_lo_u32 v20, v11, s26
	v_mul_lo_u32 v21, v10, s27
	s_waitcnt vmcnt(0) lgkmcnt(1)
	v_mad_u64_u32 v[18:19], s[4:5], v10, s26, 0
	v_add3_u32 v19, v19, v21, v20
	v_cndmask_b32_e64 v20, 0, 1, s[10:11]
	v_cmp_ne_u32_e64 s[4:5], 1, v20
	s_andn2_b64 vcc, exec, s[10:11]
	v_lshlrev_b64 v[18:19], 2, v[18:19]
	s_cbranch_vccnz .LBB987_130
; %bb.121:
	v_mul_lo_u32 v22, v13, s26
	v_mul_lo_u32 v23, v12, s27
	v_mad_u64_u32 v[20:21], s[6:7], v12, s26, 0
	v_add3_u32 v21, v21, v23, v22
	v_mov_b32_e32 v23, s17
	v_add_co_u32_e32 v22, vcc, s16, v18
	v_addc_co_u32_e64 v23, s[6:7], v23, v19, vcc
	v_lshlrev_b64 v[20:21], 2, v[20:21]
	v_mov_b32_e32 v25, s17
	v_add_co_u32_e64 v24, s[6:7], s16, v20
	v_addc_co_u32_e64 v25, s[8:9], v25, v21, s[6:7]
	global_load_dword v20, v[22:23], off
	global_load_dword v26, v[24:25], off
	s_mov_b64 s[38:39], -1
	s_waitcnt vmcnt(0)
	v_cmp_eq_f32_e64 s[8:9], v20, v26
	s_and_saveexec_b64 s[40:41], s[8:9]
	s_cbranch_execz .LBB987_129
; %bb.122:
	v_mov_b32_e32 v20, s17
	v_addc_co_u32_e64 v21, s[6:7], v21, v20, s[6:7]
	v_add_co_u32_e64 v20, s[6:7], 4, v24
	v_mov_b32_e32 v23, s17
	v_addc_co_u32_e64 v21, s[6:7], 0, v21, s[6:7]
	v_addc_co_u32_e32 v23, vcc, v19, v23, vcc
	v_add_co_u32_e32 v22, vcc, 4, v22
	s_add_u32 s6, s26, -1
	v_addc_co_u32_e32 v23, vcc, 0, v23, vcc
	s_addc_u32 s7, s27, -1
	s_mov_b64 s[8:9], 0
	s_mov_b64 s[42:43], 0
                                        ; implicit-def: $sgpr38_sgpr39
	s_branch .LBB987_125
.LBB987_123:                            ;   in Loop: Header=BB987_125 Depth=1
	global_load_dword v24, v[22:23], off
	global_load_dword v25, v[20:21], off
	v_add_co_u32_e32 v20, vcc, 4, v20
	v_addc_co_u32_e32 v21, vcc, 0, v21, vcc
	v_add_co_u32_e32 v22, vcc, 4, v22
	v_addc_co_u32_e32 v23, vcc, 0, v23, vcc
	s_add_u32 s42, s42, 1
	s_addc_u32 s43, s43, 0
	s_andn2_b64 s[38:39], s[38:39], exec
	s_waitcnt vmcnt(0)
	v_cmp_neq_f32_e32 vcc, v24, v25
	s_and_b64 s[44:45], vcc, exec
	s_or_b64 s[38:39], s[38:39], s[44:45]
.LBB987_124:                            ;   in Loop: Header=BB987_125 Depth=1
	s_and_b64 s[44:45], exec, s[38:39]
	s_or_b64 s[8:9], s[44:45], s[8:9]
	v_pk_mov_b32 v[24:25], s[42:43], s[42:43] op_sel:[0,1]
	s_andn2_b64 exec, exec, s[8:9]
	s_cbranch_execz .LBB987_128
.LBB987_125:                            ; =>This Inner Loop Header: Depth=1
	s_or_b64 s[38:39], s[38:39], exec
	s_cmp_eq_u64 s[6:7], s[42:43]
	s_cbranch_scc0 .LBB987_123
; %bb.126:                              ;   in Loop: Header=BB987_125 Depth=1
                                        ; implicit-def: $vgpr20_vgpr21
                                        ; implicit-def: $vgpr22_vgpr23
	s_mov_b64 s[42:43], s[26:27]
	s_branch .LBB987_124
.LBB987_127:
                                        ; implicit-def: $sgpr38_sgpr39
                                        ; implicit-def: $vgpr28
	s_cbranch_execnz .LBB987_160
	s_branch .LBB987_207
.LBB987_128:
	s_or_b64 exec, exec, s[8:9]
	v_cmp_gt_i64_e32 vcc, s[26:27], v[24:25]
	s_orn2_b64 s[38:39], vcc, exec
.LBB987_129:
	s_or_b64 exec, exec, s[40:41]
.LBB987_130:
	v_mul_lo_u32 v22, v17, s26
	v_mul_lo_u32 v23, v16, s27
	v_mad_u64_u32 v[20:21], s[6:7], v16, s26, 0
	v_add3_u32 v21, v21, v23, v22
	s_mov_b64 s[40:41], 0
	s_and_b64 vcc, exec, s[4:5]
	v_lshlrev_b64 v[20:21], 2, v[20:21]
	s_mov_b64 s[42:43], 0
	s_cbranch_vccnz .LBB987_139
; %bb.131:
	v_mov_b32_e32 v23, s17
	v_add_co_u32_e32 v22, vcc, s16, v20
	v_addc_co_u32_e64 v23, s[6:7], v23, v21, vcc
	v_mov_b32_e32 v25, s17
	v_add_co_u32_e64 v24, s[6:7], s16, v18
	v_addc_co_u32_e64 v25, s[8:9], v25, v19, s[6:7]
	global_load_dword v18, v[22:23], off
	global_load_dword v26, v[24:25], off
	s_mov_b64 s[42:43], -1
	s_waitcnt vmcnt(0)
	v_cmp_eq_f32_e64 s[8:9], v18, v26
	s_and_saveexec_b64 s[44:45], s[8:9]
	s_cbranch_execz .LBB987_138
; %bb.132:
	v_mov_b32_e32 v18, s17
	v_addc_co_u32_e64 v19, s[6:7], v19, v18, s[6:7]
	v_add_co_u32_e64 v18, s[6:7], 4, v24
	v_mov_b32_e32 v23, s17
	v_addc_co_u32_e64 v19, s[6:7], 0, v19, s[6:7]
	v_addc_co_u32_e32 v23, vcc, v21, v23, vcc
	v_add_co_u32_e32 v22, vcc, 4, v22
	s_add_u32 s6, s26, -1
	v_addc_co_u32_e32 v23, vcc, 0, v23, vcc
	s_addc_u32 s7, s27, -1
	s_mov_b64 s[8:9], 0
	s_mov_b64 s[46:47], 0
                                        ; implicit-def: $sgpr42_sgpr43
	s_branch .LBB987_135
.LBB987_133:                            ;   in Loop: Header=BB987_135 Depth=1
	global_load_dword v24, v[22:23], off
	global_load_dword v25, v[18:19], off
	v_add_co_u32_e32 v18, vcc, 4, v18
	v_addc_co_u32_e32 v19, vcc, 0, v19, vcc
	v_add_co_u32_e32 v22, vcc, 4, v22
	v_addc_co_u32_e32 v23, vcc, 0, v23, vcc
	s_add_u32 s46, s46, 1
	s_addc_u32 s47, s47, 0
	s_andn2_b64 s[42:43], s[42:43], exec
	s_waitcnt vmcnt(0)
	v_cmp_neq_f32_e32 vcc, v24, v25
	s_and_b64 s[50:51], vcc, exec
	s_or_b64 s[42:43], s[42:43], s[50:51]
.LBB987_134:                            ;   in Loop: Header=BB987_135 Depth=1
	s_and_b64 s[50:51], exec, s[42:43]
	s_or_b64 s[8:9], s[50:51], s[8:9]
	v_pk_mov_b32 v[24:25], s[46:47], s[46:47] op_sel:[0,1]
	s_andn2_b64 exec, exec, s[8:9]
	s_cbranch_execz .LBB987_137
.LBB987_135:                            ; =>This Inner Loop Header: Depth=1
	s_or_b64 s[42:43], s[42:43], exec
	s_cmp_eq_u64 s[6:7], s[46:47]
	s_cbranch_scc0 .LBB987_133
; %bb.136:                              ;   in Loop: Header=BB987_135 Depth=1
                                        ; implicit-def: $vgpr18_vgpr19
                                        ; implicit-def: $vgpr22_vgpr23
	s_mov_b64 s[46:47], s[26:27]
	s_branch .LBB987_134
.LBB987_137:
	s_or_b64 exec, exec, s[8:9]
	v_cmp_gt_i64_e32 vcc, s[26:27], v[24:25]
	s_orn2_b64 s[42:43], vcc, exec
.LBB987_138:
	s_or_b64 exec, exec, s[44:45]
.LBB987_139:
	v_mul_lo_u32 v22, v15, s26
	v_mul_lo_u32 v23, v14, s27
	v_mad_u64_u32 v[18:19], s[6:7], v14, s26, 0
	s_and_b64 vcc, exec, s[4:5]
	v_add3_u32 v19, v19, v23, v22
	s_cbranch_vccnz .LBB987_148
; %bb.140:
	v_lshlrev_b64 v[22:23], 2, v[18:19]
	v_mov_b32_e32 v25, s17
	v_add_co_u32_e32 v24, vcc, s16, v22
	v_addc_co_u32_e64 v25, s[6:7], v25, v23, vcc
	v_mov_b32_e32 v22, s17
	v_add_co_u32_e64 v26, s[6:7], s16, v20
	v_addc_co_u32_e64 v27, s[8:9], v22, v21, s[6:7]
	global_load_dword v20, v[24:25], off
	global_load_dword v22, v[26:27], off
	s_mov_b64 s[40:41], -1
	s_waitcnt vmcnt(0)
	v_cmp_eq_f32_e64 s[8:9], v20, v22
	s_and_saveexec_b64 s[44:45], s[8:9]
	s_cbranch_execz .LBB987_147
; %bb.141:
	v_mov_b32_e32 v20, s17
	v_addc_co_u32_e64 v21, s[6:7], v21, v20, s[6:7]
	v_add_co_u32_e64 v20, s[6:7], 4, v26
	v_mov_b32_e32 v22, s17
	v_addc_co_u32_e64 v21, s[6:7], 0, v21, s[6:7]
	v_addc_co_u32_e32 v23, vcc, v23, v22, vcc
	v_add_co_u32_e32 v22, vcc, 4, v24
	s_add_u32 s6, s26, -1
	v_addc_co_u32_e32 v23, vcc, 0, v23, vcc
	s_addc_u32 s7, s27, -1
	s_mov_b64 s[8:9], 0
	s_mov_b64 s[46:47], 0
                                        ; implicit-def: $sgpr40_sgpr41
	s_branch .LBB987_144
.LBB987_142:                            ;   in Loop: Header=BB987_144 Depth=1
	global_load_dword v24, v[22:23], off
	global_load_dword v25, v[20:21], off
	v_add_co_u32_e32 v20, vcc, 4, v20
	v_addc_co_u32_e32 v21, vcc, 0, v21, vcc
	v_add_co_u32_e32 v22, vcc, 4, v22
	v_addc_co_u32_e32 v23, vcc, 0, v23, vcc
	s_add_u32 s46, s46, 1
	s_addc_u32 s47, s47, 0
	s_andn2_b64 s[40:41], s[40:41], exec
	s_waitcnt vmcnt(0)
	v_cmp_neq_f32_e32 vcc, v24, v25
	s_and_b64 s[50:51], vcc, exec
	s_or_b64 s[40:41], s[40:41], s[50:51]
.LBB987_143:                            ;   in Loop: Header=BB987_144 Depth=1
	s_and_b64 s[50:51], exec, s[40:41]
	s_or_b64 s[8:9], s[50:51], s[8:9]
	v_pk_mov_b32 v[24:25], s[46:47], s[46:47] op_sel:[0,1]
	s_andn2_b64 exec, exec, s[8:9]
	s_cbranch_execz .LBB987_146
.LBB987_144:                            ; =>This Inner Loop Header: Depth=1
	s_or_b64 s[40:41], s[40:41], exec
	s_cmp_eq_u64 s[6:7], s[46:47]
	s_cbranch_scc0 .LBB987_142
; %bb.145:                              ;   in Loop: Header=BB987_144 Depth=1
                                        ; implicit-def: $vgpr20_vgpr21
                                        ; implicit-def: $vgpr22_vgpr23
	s_mov_b64 s[46:47], s[26:27]
	s_branch .LBB987_143
.LBB987_146:
	s_or_b64 exec, exec, s[8:9]
	v_cmp_gt_i64_e32 vcc, s[26:27], v[24:25]
	s_orn2_b64 s[40:41], vcc, exec
.LBB987_147:
	s_or_b64 exec, exec, s[44:45]
.LBB987_148:
	v_cndmask_b32_e64 v21, 0, 1, s[38:39]
	v_cndmask_b32_e64 v22, 0, 1, s[40:41]
	;; [unrolled: 1-line block ×3, first 2 shown]
	v_lshlrev_b16_e32 v22, 8, v22
	v_lshlrev_b16_e32 v21, 8, v21
	v_or_b32_e32 v22, 1, v22
	v_or_b32_sdwa v20, v20, v21 dst_sel:WORD_1 dst_unused:UNUSED_PAD src0_sel:DWORD src1_sel:DWORD
	v_or_b32_sdwa v28, v22, v20 dst_sel:DWORD dst_unused:UNUSED_PAD src0_sel:WORD_0 src1_sel:DWORD
	s_waitcnt lgkmcnt(0)
	s_barrier
	s_waitcnt lgkmcnt(0)
                                        ; implicit-def: $sgpr38_sgpr39
	s_and_saveexec_b64 s[6:7], s[2:3]
	s_xor_b64 s[8:9], exec, s[6:7]
	s_cbranch_execz .LBB987_159
; %bb.149:
	s_and_b64 vcc, exec, s[4:5]
	s_mov_b64 s[40:41], 0
	s_cbranch_vccnz .LBB987_158
; %bb.150:
	v_add_u32_e32 v20, -8, v29
	ds_read_b64 v[20:21], v20
	v_mov_b32_e32 v23, s17
	v_lshlrev_b64 v[18:19], 2, v[18:19]
	s_mov_b64 s[40:41], -1
	s_waitcnt lgkmcnt(0)
	v_mul_lo_u32 v22, v21, s26
	v_mul_lo_u32 v24, v20, s27
	v_mad_u64_u32 v[20:21], s[4:5], v20, s26, 0
	v_add3_u32 v21, v21, v24, v22
	v_lshlrev_b64 v[20:21], 2, v[20:21]
	v_add_co_u32_e32 v22, vcc, s16, v20
	v_addc_co_u32_e64 v23, s[4:5], v23, v21, vcc
	v_mov_b32_e32 v20, s17
	v_add_co_u32_e64 v24, s[4:5], s16, v18
	v_addc_co_u32_e64 v25, s[6:7], v20, v19, s[4:5]
	global_load_dword v18, v[22:23], off
	global_load_dword v20, v[24:25], off
	s_waitcnt vmcnt(0)
	v_cmp_eq_f32_e64 s[6:7], v18, v20
	s_and_saveexec_b64 s[38:39], s[6:7]
	s_cbranch_execz .LBB987_157
; %bb.151:
	v_mov_b32_e32 v18, s17
	v_addc_co_u32_e64 v19, s[4:5], v19, v18, s[4:5]
	v_add_co_u32_e64 v18, s[4:5], 4, v24
	v_mov_b32_e32 v20, s17
	v_addc_co_u32_e64 v19, s[4:5], 0, v19, s[4:5]
	v_addc_co_u32_e32 v21, vcc, v21, v20, vcc
	v_add_co_u32_e32 v20, vcc, 4, v22
	s_add_u32 s4, s26, -1
	v_addc_co_u32_e32 v21, vcc, 0, v21, vcc
	s_addc_u32 s5, s27, -1
	s_mov_b64 s[6:7], 0
	s_mov_b64 s[42:43], 0
                                        ; implicit-def: $sgpr40_sgpr41
	s_branch .LBB987_154
.LBB987_152:                            ;   in Loop: Header=BB987_154 Depth=1
	global_load_dword v22, v[20:21], off
	global_load_dword v23, v[18:19], off
	v_add_co_u32_e32 v18, vcc, 4, v18
	v_addc_co_u32_e32 v19, vcc, 0, v19, vcc
	v_add_co_u32_e32 v20, vcc, 4, v20
	v_addc_co_u32_e32 v21, vcc, 0, v21, vcc
	s_add_u32 s42, s42, 1
	s_addc_u32 s43, s43, 0
	s_andn2_b64 s[40:41], s[40:41], exec
	s_waitcnt vmcnt(0)
	v_cmp_neq_f32_e32 vcc, v22, v23
	s_and_b64 s[44:45], vcc, exec
	s_or_b64 s[40:41], s[40:41], s[44:45]
.LBB987_153:                            ;   in Loop: Header=BB987_154 Depth=1
	s_and_b64 s[44:45], exec, s[40:41]
	s_or_b64 s[6:7], s[44:45], s[6:7]
	v_pk_mov_b32 v[22:23], s[42:43], s[42:43] op_sel:[0,1]
	s_andn2_b64 exec, exec, s[6:7]
	s_cbranch_execz .LBB987_156
.LBB987_154:                            ; =>This Inner Loop Header: Depth=1
	s_or_b64 s[40:41], s[40:41], exec
	s_cmp_eq_u64 s[4:5], s[42:43]
	s_cbranch_scc0 .LBB987_152
; %bb.155:                              ;   in Loop: Header=BB987_154 Depth=1
                                        ; implicit-def: $vgpr18_vgpr19
                                        ; implicit-def: $vgpr20_vgpr21
	s_mov_b64 s[42:43], s[26:27]
	s_branch .LBB987_153
.LBB987_156:
	s_or_b64 exec, exec, s[6:7]
	v_cmp_gt_i64_e32 vcc, s[26:27], v[22:23]
	s_orn2_b64 s[40:41], vcc, exec
.LBB987_157:
	s_or_b64 exec, exec, s[38:39]
.LBB987_158:
	s_and_b64 s[38:39], s[40:41], exec
	s_or_b64 s[14:15], s[14:15], exec
.LBB987_159:
	s_or_b64 exec, exec, s[8:9]
	s_branch .LBB987_207
.LBB987_160:
	s_waitcnt vmcnt(0) lgkmcnt(1)
	v_or_b32_e32 v18, 3, v1
	v_cmp_gt_u32_e32 vcc, s48, v18
	s_mov_b64 s[38:39], 0
	s_mov_b64 s[8:9], 0
	s_and_saveexec_b64 s[40:41], vcc
	s_cbranch_execz .LBB987_171
; %bb.161:
	s_andn2_b64 vcc, exec, s[10:11]
	s_mov_b64 s[42:43], 0
	s_cbranch_vccnz .LBB987_170
; %bb.162:
	v_mul_lo_u32 v20, v11, s26
	v_mul_lo_u32 v21, v10, s27
	v_mad_u64_u32 v[18:19], s[4:5], v10, s26, 0
	v_add3_u32 v19, v19, v21, v20
	v_mul_lo_u32 v20, v13, s26
	v_mul_lo_u32 v21, v12, s27
	v_mad_u64_u32 v[24:25], s[4:5], v12, s26, 0
	v_add3_u32 v25, v25, v21, v20
	v_lshlrev_b64 v[20:21], 2, v[18:19]
	v_mov_b32_e32 v18, s17
	v_add_co_u32_e32 v22, vcc, s16, v20
	v_addc_co_u32_e64 v23, s[4:5], v18, v21, vcc
	v_lshlrev_b64 v[18:19], 2, v[24:25]
	v_mov_b32_e32 v20, s17
	v_add_co_u32_e64 v24, s[4:5], s16, v18
	v_addc_co_u32_e64 v25, s[6:7], v20, v19, s[4:5]
	global_load_dword v18, v[22:23], off
	global_load_dword v20, v[24:25], off
	s_mov_b64 s[42:43], -1
	s_waitcnt vmcnt(0)
	v_cmp_eq_f32_e64 s[6:7], v18, v20
	s_and_saveexec_b64 s[8:9], s[6:7]
	s_cbranch_execz .LBB987_169
; %bb.163:
	v_mov_b32_e32 v18, s17
	v_addc_co_u32_e64 v19, s[4:5], v19, v18, s[4:5]
	v_add_co_u32_e64 v18, s[4:5], 4, v24
	v_mov_b32_e32 v20, s17
	v_addc_co_u32_e64 v19, s[4:5], 0, v19, s[4:5]
	v_addc_co_u32_e32 v21, vcc, v21, v20, vcc
	v_add_co_u32_e32 v20, vcc, 4, v22
	s_add_u32 s4, s26, -1
	v_addc_co_u32_e32 v21, vcc, 0, v21, vcc
	s_addc_u32 s5, s27, -1
	s_mov_b64 s[6:7], 0
	s_mov_b64 s[44:45], 0
                                        ; implicit-def: $sgpr42_sgpr43
	s_branch .LBB987_166
.LBB987_164:                            ;   in Loop: Header=BB987_166 Depth=1
	global_load_dword v22, v[20:21], off
	global_load_dword v23, v[18:19], off
	v_add_co_u32_e32 v18, vcc, 4, v18
	v_addc_co_u32_e32 v19, vcc, 0, v19, vcc
	v_add_co_u32_e32 v20, vcc, 4, v20
	v_addc_co_u32_e32 v21, vcc, 0, v21, vcc
	s_add_u32 s44, s44, 1
	s_addc_u32 s45, s45, 0
	s_andn2_b64 s[42:43], s[42:43], exec
	s_waitcnt vmcnt(0)
	v_cmp_neq_f32_e32 vcc, v22, v23
	s_and_b64 s[46:47], vcc, exec
	s_or_b64 s[42:43], s[42:43], s[46:47]
.LBB987_165:                            ;   in Loop: Header=BB987_166 Depth=1
	s_and_b64 s[46:47], exec, s[42:43]
	s_or_b64 s[6:7], s[46:47], s[6:7]
	v_pk_mov_b32 v[22:23], s[44:45], s[44:45] op_sel:[0,1]
	s_andn2_b64 exec, exec, s[6:7]
	s_cbranch_execz .LBB987_168
.LBB987_166:                            ; =>This Inner Loop Header: Depth=1
	s_or_b64 s[42:43], s[42:43], exec
	s_cmp_eq_u64 s[4:5], s[44:45]
	s_cbranch_scc0 .LBB987_164
; %bb.167:                              ;   in Loop: Header=BB987_166 Depth=1
                                        ; implicit-def: $vgpr18_vgpr19
                                        ; implicit-def: $vgpr20_vgpr21
	s_mov_b64 s[44:45], s[26:27]
	s_branch .LBB987_165
.LBB987_168:
	s_or_b64 exec, exec, s[6:7]
	v_cmp_gt_i64_e32 vcc, s[26:27], v[22:23]
	s_orn2_b64 s[42:43], vcc, exec
.LBB987_169:
	s_or_b64 exec, exec, s[8:9]
.LBB987_170:
	s_and_b64 s[8:9], s[42:43], exec
.LBB987_171:
	s_or_b64 exec, exec, s[40:41]
	v_or_b32_e32 v18, 2, v1
	v_cmp_gt_u32_e32 vcc, s48, v18
	s_and_saveexec_b64 s[40:41], vcc
	s_cbranch_execz .LBB987_182
; %bb.172:
	s_andn2_b64 vcc, exec, s[10:11]
	s_mov_b64 s[42:43], 0
	s_cbranch_vccnz .LBB987_181
; %bb.173:
	v_mul_lo_u32 v20, v17, s26
	v_mul_lo_u32 v21, v16, s27
	v_mad_u64_u32 v[18:19], s[4:5], v16, s26, 0
	v_add3_u32 v19, v19, v21, v20
	v_mul_lo_u32 v20, v11, s26
	v_mul_lo_u32 v21, v10, s27
	v_mad_u64_u32 v[24:25], s[4:5], v10, s26, 0
	v_add3_u32 v25, v25, v21, v20
	v_lshlrev_b64 v[20:21], 2, v[18:19]
	v_mov_b32_e32 v18, s17
	v_add_co_u32_e32 v22, vcc, s16, v20
	v_addc_co_u32_e64 v23, s[4:5], v18, v21, vcc
	v_lshlrev_b64 v[18:19], 2, v[24:25]
	v_mov_b32_e32 v20, s17
	v_add_co_u32_e64 v24, s[4:5], s16, v18
	v_addc_co_u32_e64 v25, s[6:7], v20, v19, s[4:5]
	global_load_dword v18, v[22:23], off
	global_load_dword v20, v[24:25], off
	s_mov_b64 s[42:43], -1
	s_waitcnt vmcnt(0)
	v_cmp_eq_f32_e64 s[6:7], v18, v20
	s_and_saveexec_b64 s[38:39], s[6:7]
	s_cbranch_execz .LBB987_180
; %bb.174:
	v_mov_b32_e32 v18, s17
	v_addc_co_u32_e64 v19, s[4:5], v19, v18, s[4:5]
	v_add_co_u32_e64 v18, s[4:5], 4, v24
	v_mov_b32_e32 v20, s17
	v_addc_co_u32_e64 v19, s[4:5], 0, v19, s[4:5]
	v_addc_co_u32_e32 v21, vcc, v21, v20, vcc
	v_add_co_u32_e32 v20, vcc, 4, v22
	s_add_u32 s4, s26, -1
	v_addc_co_u32_e32 v21, vcc, 0, v21, vcc
	s_addc_u32 s5, s27, -1
	s_mov_b64 s[6:7], 0
	s_mov_b64 s[44:45], 0
                                        ; implicit-def: $sgpr42_sgpr43
	s_branch .LBB987_177
.LBB987_175:                            ;   in Loop: Header=BB987_177 Depth=1
	global_load_dword v22, v[20:21], off
	global_load_dword v23, v[18:19], off
	v_add_co_u32_e32 v18, vcc, 4, v18
	v_addc_co_u32_e32 v19, vcc, 0, v19, vcc
	v_add_co_u32_e32 v20, vcc, 4, v20
	v_addc_co_u32_e32 v21, vcc, 0, v21, vcc
	s_add_u32 s44, s44, 1
	s_addc_u32 s45, s45, 0
	s_andn2_b64 s[42:43], s[42:43], exec
	s_waitcnt vmcnt(0)
	v_cmp_neq_f32_e32 vcc, v22, v23
	s_and_b64 s[46:47], vcc, exec
	s_or_b64 s[42:43], s[42:43], s[46:47]
.LBB987_176:                            ;   in Loop: Header=BB987_177 Depth=1
	s_and_b64 s[46:47], exec, s[42:43]
	s_or_b64 s[6:7], s[46:47], s[6:7]
	v_pk_mov_b32 v[22:23], s[44:45], s[44:45] op_sel:[0,1]
	s_andn2_b64 exec, exec, s[6:7]
	s_cbranch_execz .LBB987_179
.LBB987_177:                            ; =>This Inner Loop Header: Depth=1
	s_or_b64 s[42:43], s[42:43], exec
	s_cmp_eq_u64 s[4:5], s[44:45]
	s_cbranch_scc0 .LBB987_175
; %bb.178:                              ;   in Loop: Header=BB987_177 Depth=1
                                        ; implicit-def: $vgpr18_vgpr19
                                        ; implicit-def: $vgpr20_vgpr21
	s_mov_b64 s[44:45], s[26:27]
	s_branch .LBB987_176
.LBB987_179:
	s_or_b64 exec, exec, s[6:7]
	v_cmp_gt_i64_e32 vcc, s[26:27], v[22:23]
	s_orn2_b64 s[42:43], vcc, exec
.LBB987_180:
	s_or_b64 exec, exec, s[38:39]
.LBB987_181:
	s_and_b64 s[38:39], s[42:43], exec
.LBB987_182:
	s_or_b64 exec, exec, s[40:41]
	v_or_b32_e32 v18, 1, v1
	v_cmp_gt_u32_e32 vcc, s48, v18
	s_mov_b64 s[4:5], 0
	s_and_saveexec_b64 s[40:41], vcc
	s_cbranch_execz .LBB987_193
; %bb.183:
	s_andn2_b64 vcc, exec, s[10:11]
	s_mov_b64 s[44:45], 0
	s_cbranch_vccnz .LBB987_192
; %bb.184:
	v_mul_lo_u32 v20, v15, s26
	v_mul_lo_u32 v21, v14, s27
	v_mad_u64_u32 v[18:19], s[4:5], v14, s26, 0
	v_add3_u32 v19, v19, v21, v20
	v_mul_lo_u32 v20, v17, s26
	v_mul_lo_u32 v21, v16, s27
	v_mad_u64_u32 v[24:25], s[4:5], v16, s26, 0
	v_add3_u32 v25, v25, v21, v20
	v_lshlrev_b64 v[20:21], 2, v[18:19]
	v_mov_b32_e32 v18, s17
	v_add_co_u32_e32 v22, vcc, s16, v20
	v_addc_co_u32_e64 v23, s[4:5], v18, v21, vcc
	v_lshlrev_b64 v[18:19], 2, v[24:25]
	v_mov_b32_e32 v20, s17
	v_add_co_u32_e64 v24, s[4:5], s16, v18
	v_addc_co_u32_e64 v25, s[6:7], v20, v19, s[4:5]
	global_load_dword v18, v[22:23], off
	global_load_dword v20, v[24:25], off
	s_mov_b64 s[44:45], -1
	s_waitcnt vmcnt(0)
	v_cmp_eq_f32_e64 s[6:7], v18, v20
	s_and_saveexec_b64 s[42:43], s[6:7]
	s_cbranch_execz .LBB987_191
; %bb.185:
	v_mov_b32_e32 v18, s17
	v_addc_co_u32_e64 v19, s[4:5], v19, v18, s[4:5]
	v_add_co_u32_e64 v18, s[4:5], 4, v24
	v_mov_b32_e32 v20, s17
	v_addc_co_u32_e64 v19, s[4:5], 0, v19, s[4:5]
	v_addc_co_u32_e32 v21, vcc, v21, v20, vcc
	v_add_co_u32_e32 v20, vcc, 4, v22
	s_add_u32 s4, s26, -1
	v_addc_co_u32_e32 v21, vcc, 0, v21, vcc
	s_addc_u32 s5, s27, -1
	s_mov_b64 s[6:7], 0
	s_mov_b64 s[46:47], 0
                                        ; implicit-def: $sgpr44_sgpr45
	s_branch .LBB987_188
.LBB987_186:                            ;   in Loop: Header=BB987_188 Depth=1
	global_load_dword v22, v[20:21], off
	global_load_dword v23, v[18:19], off
	v_add_co_u32_e32 v18, vcc, 4, v18
	v_addc_co_u32_e32 v19, vcc, 0, v19, vcc
	v_add_co_u32_e32 v20, vcc, 4, v20
	v_addc_co_u32_e32 v21, vcc, 0, v21, vcc
	s_add_u32 s46, s46, 1
	s_addc_u32 s47, s47, 0
	s_andn2_b64 s[44:45], s[44:45], exec
	s_waitcnt vmcnt(0)
	v_cmp_neq_f32_e32 vcc, v22, v23
	s_and_b64 s[50:51], vcc, exec
	s_or_b64 s[44:45], s[44:45], s[50:51]
.LBB987_187:                            ;   in Loop: Header=BB987_188 Depth=1
	s_and_b64 s[50:51], exec, s[44:45]
	s_or_b64 s[6:7], s[50:51], s[6:7]
	v_pk_mov_b32 v[22:23], s[46:47], s[46:47] op_sel:[0,1]
	s_andn2_b64 exec, exec, s[6:7]
	s_cbranch_execz .LBB987_190
.LBB987_188:                            ; =>This Inner Loop Header: Depth=1
	s_or_b64 s[44:45], s[44:45], exec
	s_cmp_eq_u64 s[4:5], s[46:47]
	s_cbranch_scc0 .LBB987_186
; %bb.189:                              ;   in Loop: Header=BB987_188 Depth=1
                                        ; implicit-def: $vgpr18_vgpr19
                                        ; implicit-def: $vgpr20_vgpr21
	s_mov_b64 s[46:47], s[26:27]
	s_branch .LBB987_187
.LBB987_190:
	s_or_b64 exec, exec, s[6:7]
	v_cmp_gt_i64_e32 vcc, s[26:27], v[22:23]
	s_orn2_b64 s[44:45], vcc, exec
.LBB987_191:
	s_or_b64 exec, exec, s[42:43]
.LBB987_192:
	s_and_b64 s[4:5], s[44:45], exec
.LBB987_193:
	s_or_b64 exec, exec, s[40:41]
	v_cndmask_b32_e64 v19, 0, 1, s[8:9]
	v_cndmask_b32_e64 v20, 0, 1, s[4:5]
	;; [unrolled: 1-line block ×3, first 2 shown]
	v_lshlrev_b16_e32 v20, 8, v20
	v_lshlrev_b16_e32 v19, 8, v19
	v_or_b32_e32 v20, 1, v20
	v_or_b32_sdwa v18, v18, v19 dst_sel:WORD_1 dst_unused:UNUSED_PAD src0_sel:DWORD src1_sel:DWORD
	v_or_b32_sdwa v28, v20, v18 dst_sel:DWORD dst_unused:UNUSED_PAD src0_sel:WORD_0 src1_sel:DWORD
	s_waitcnt lgkmcnt(0)
	s_barrier
	s_waitcnt lgkmcnt(0)
                                        ; implicit-def: $sgpr38_sgpr39
	s_and_saveexec_b64 s[6:7], s[2:3]
	s_cbranch_execz .LBB987_206
; %bb.194:
	v_cmp_gt_u32_e32 vcc, s48, v1
	s_mov_b64 s[2:3], 0
	s_and_saveexec_b64 s[8:9], vcc
	s_cbranch_execz .LBB987_205
; %bb.195:
	s_andn2_b64 vcc, exec, s[10:11]
	s_mov_b64 s[38:39], 0
	s_cbranch_vccnz .LBB987_204
; %bb.196:
	v_add_u32_e32 v18, -8, v29
	ds_read_b64 v[18:19], v18
	v_mul_lo_u32 v20, v15, s26
	v_mad_u64_u32 v[24:25], s[2:3], v14, s26, 0
	s_mov_b64 s[38:39], -1
	s_waitcnt lgkmcnt(0)
	v_mul_lo_u32 v21, v19, s26
	v_mul_lo_u32 v22, v18, s27
	v_mad_u64_u32 v[18:19], s[2:3], v18, s26, 0
	v_add3_u32 v19, v19, v22, v21
	v_mul_lo_u32 v21, v14, s27
	v_add3_u32 v25, v25, v21, v20
	v_lshlrev_b64 v[20:21], 2, v[18:19]
	v_mov_b32_e32 v18, s17
	v_add_co_u32_e32 v22, vcc, s16, v20
	v_addc_co_u32_e64 v23, s[2:3], v18, v21, vcc
	v_lshlrev_b64 v[18:19], 2, v[24:25]
	v_mov_b32_e32 v20, s17
	v_add_co_u32_e64 v24, s[2:3], s16, v18
	v_addc_co_u32_e64 v25, s[4:5], v20, v19, s[2:3]
	global_load_dword v18, v[22:23], off
	global_load_dword v20, v[24:25], off
	s_waitcnt vmcnt(0)
	v_cmp_eq_f32_e64 s[4:5], v18, v20
	s_and_saveexec_b64 s[10:11], s[4:5]
	s_cbranch_execz .LBB987_203
; %bb.197:
	v_mov_b32_e32 v18, s17
	v_addc_co_u32_e64 v19, s[2:3], v19, v18, s[2:3]
	v_add_co_u32_e64 v18, s[2:3], 4, v24
	v_mov_b32_e32 v20, s17
	v_addc_co_u32_e64 v19, s[2:3], 0, v19, s[2:3]
	v_addc_co_u32_e32 v21, vcc, v21, v20, vcc
	v_add_co_u32_e32 v20, vcc, 4, v22
	s_add_u32 s2, s26, -1
	v_addc_co_u32_e32 v21, vcc, 0, v21, vcc
	s_addc_u32 s3, s27, -1
	s_mov_b64 s[4:5], 0
	s_mov_b64 s[38:39], 0
                                        ; implicit-def: $sgpr16_sgpr17
	s_branch .LBB987_200
.LBB987_198:                            ;   in Loop: Header=BB987_200 Depth=1
	global_load_dword v22, v[20:21], off
	global_load_dword v23, v[18:19], off
	v_add_co_u32_e32 v18, vcc, 4, v18
	v_addc_co_u32_e32 v19, vcc, 0, v19, vcc
	v_add_co_u32_e32 v20, vcc, 4, v20
	v_addc_co_u32_e32 v21, vcc, 0, v21, vcc
	s_add_u32 s38, s38, 1
	s_addc_u32 s39, s39, 0
	s_andn2_b64 s[16:17], s[16:17], exec
	s_waitcnt vmcnt(0)
	v_cmp_neq_f32_e32 vcc, v22, v23
	s_and_b64 s[40:41], vcc, exec
	s_or_b64 s[16:17], s[16:17], s[40:41]
.LBB987_199:                            ;   in Loop: Header=BB987_200 Depth=1
	s_and_b64 s[40:41], exec, s[16:17]
	s_or_b64 s[4:5], s[40:41], s[4:5]
	v_pk_mov_b32 v[22:23], s[38:39], s[38:39] op_sel:[0,1]
	s_andn2_b64 exec, exec, s[4:5]
	s_cbranch_execz .LBB987_202
.LBB987_200:                            ; =>This Inner Loop Header: Depth=1
	s_or_b64 s[16:17], s[16:17], exec
	s_cmp_eq_u64 s[2:3], s[38:39]
	s_cbranch_scc0 .LBB987_198
; %bb.201:                              ;   in Loop: Header=BB987_200 Depth=1
                                        ; implicit-def: $vgpr18_vgpr19
                                        ; implicit-def: $vgpr20_vgpr21
	s_mov_b64 s[38:39], s[26:27]
	s_branch .LBB987_199
.LBB987_202:
	s_or_b64 exec, exec, s[4:5]
	v_cmp_gt_i64_e32 vcc, s[26:27], v[22:23]
	s_orn2_b64 s[38:39], vcc, exec
.LBB987_203:
	s_or_b64 exec, exec, s[10:11]
.LBB987_204:
	s_and_b64 s[2:3], s[38:39], exec
.LBB987_205:
	s_or_b64 exec, exec, s[8:9]
	s_and_b64 s[38:39], s[2:3], exec
	s_or_b64 s[14:15], s[14:15], exec
.LBB987_206:
	s_or_b64 exec, exec, s[6:7]
.LBB987_207:
	s_and_saveexec_b64 s[2:3], s[14:15]
	s_cbranch_execz .LBB987_209
; %bb.208:
	s_waitcnt vmcnt(0) lgkmcnt(0)
	v_and_b32_e32 v18, 0xffffff00, v28
	v_cndmask_b32_e64 v19, 0, 1, s[38:39]
	v_or_b32_e32 v18, v19, v18
	v_and_b32_e32 v18, 0xffff, v18
	s_mov_b32 s4, 0xffff0000
	v_and_or_b32 v28, v28, s4, v18
.LBB987_209:
	s_or_b64 exec, exec, s[2:3]
	s_andn2_b64 vcc, exec, s[12:13]
	s_cbranch_vccnz .LBB987_211
; %bb.210:
	v_cmp_gt_u32_e32 vcc, s48, v1
	s_waitcnt vmcnt(0) lgkmcnt(0)
	v_cndmask_b32_e32 v18, 0, v28, vcc
	v_or_b32_e32 v19, 1, v1
	v_and_b32_e32 v18, 0xff, v18
	v_cmp_gt_u32_e32 vcc, s48, v19
	v_cndmask_b32_e32 v18, v18, v28, vcc
	v_or_b32_e32 v19, 2, v1
	v_and_b32_e32 v18, 0xffff, v18
	v_cmp_gt_u32_e32 vcc, s48, v19
	;; [unrolled: 4-line block ×3, first 2 shown]
	v_cndmask_b32_e32 v28, v18, v28, vcc
.LBB987_211:
	v_bfe_u32 v30, v28, 16, 8
	v_lshrrev_b32_e32 v29, 24, v28
	s_waitcnt vmcnt(0) lgkmcnt(0)
	v_add_u32_sdwa v18, v28, v28 dst_sel:DWORD dst_unused:UNUSED_PAD src0_sel:BYTE_1 src1_sel:BYTE_0
	v_add3_u32 v33, v18, v30, v29
	v_mbcnt_lo_u32_b32 v18, -1, 0
	v_mbcnt_hi_u32_b32 v31, -1, v18
	v_and_b32_e32 v18, 15, v31
	v_cmp_eq_u32_e64 s[14:15], 0, v18
	v_cmp_lt_u32_e64 s[12:13], 1, v18
	v_cmp_lt_u32_e64 s[10:11], 3, v18
	;; [unrolled: 1-line block ×3, first 2 shown]
	v_and_b32_e32 v18, 16, v31
	v_cmp_eq_u32_e64 s[6:7], 0, v18
	v_or_b32_e32 v18, 63, v0
	v_cmp_lt_u32_e64 s[2:3], 31, v31
	v_lshrrev_b32_e32 v32, 6, v0
	v_cmp_eq_u32_e64 s[4:5], v18, v0
	s_and_b64 vcc, exec, s[36:37]
	s_barrier
	s_cbranch_vccz .LBB987_238
; %bb.212:
	v_mov_b32_dpp v18, v33 row_shr:1 row_mask:0xf bank_mask:0xf
	v_cndmask_b32_e64 v18, v18, 0, s[14:15]
	v_add_u32_e32 v18, v18, v33
	s_nop 1
	v_mov_b32_dpp v19, v18 row_shr:2 row_mask:0xf bank_mask:0xf
	v_cndmask_b32_e64 v19, 0, v19, s[12:13]
	v_add_u32_e32 v18, v18, v19
	s_nop 1
	;; [unrolled: 4-line block ×4, first 2 shown]
	v_mov_b32_dpp v19, v18 row_bcast:15 row_mask:0xf bank_mask:0xf
	v_cndmask_b32_e64 v19, v19, 0, s[6:7]
	v_add_u32_e32 v18, v18, v19
	s_nop 1
	v_mov_b32_dpp v19, v18 row_bcast:31 row_mask:0xf bank_mask:0xf
	v_cndmask_b32_e64 v19, 0, v19, s[2:3]
	v_add_u32_e32 v18, v18, v19
	s_and_saveexec_b64 s[16:17], s[4:5]
	s_cbranch_execz .LBB987_214
; %bb.213:
	v_lshlrev_b32_e32 v19, 2, v32
	ds_write_b32 v19, v18
.LBB987_214:
	s_or_b64 exec, exec, s[16:17]
	v_cmp_gt_u32_e32 vcc, 2, v0
	s_waitcnt lgkmcnt(0)
	s_barrier
	s_and_saveexec_b64 s[16:17], vcc
	s_cbranch_execz .LBB987_216
; %bb.215:
	ds_read_b32 v19, v1
	v_bfe_i32 v20, v31, 0, 1
	s_waitcnt lgkmcnt(0)
	v_mov_b32_dpp v21, v19 row_shr:1 row_mask:0xf bank_mask:0xf
	v_and_b32_e32 v20, v20, v21
	v_add_u32_e32 v19, v20, v19
	ds_write_b32 v1, v19
.LBB987_216:
	s_or_b64 exec, exec, s[16:17]
	v_cmp_gt_u32_e32 vcc, 64, v0
	v_cmp_lt_u32_e64 s[16:17], 63, v0
	s_waitcnt lgkmcnt(0)
	s_barrier
	s_waitcnt lgkmcnt(0)
                                        ; implicit-def: $vgpr34
	s_and_saveexec_b64 s[26:27], s[16:17]
	s_cbranch_execz .LBB987_218
; %bb.217:
	v_lshl_add_u32 v19, v32, 2, -4
	ds_read_b32 v34, v19
	s_waitcnt lgkmcnt(0)
	v_add_u32_e32 v18, v34, v18
.LBB987_218:
	s_or_b64 exec, exec, s[26:27]
	v_add_u32_e32 v19, -1, v31
	v_and_b32_e32 v20, 64, v31
	v_cmp_lt_i32_e64 s[16:17], v19, v20
	v_cndmask_b32_e64 v19, v19, v31, s[16:17]
	v_lshlrev_b32_e32 v19, 2, v19
	ds_bpermute_b32 v35, v19, v18
	v_cmp_eq_u32_e64 s[16:17], 0, v31
	s_and_saveexec_b64 s[26:27], vcc
	s_cbranch_execz .LBB987_237
; %bb.219:
	v_mov_b32_e32 v25, 0
	ds_read_b32 v18, v25 offset:4
	s_and_saveexec_b64 s[36:37], s[16:17]
	s_cbranch_execz .LBB987_221
; %bb.220:
	s_add_i32 s38, s33, 64
	s_mov_b32 s39, 0
	s_lshl_b64 s[38:39], s[38:39], 3
	s_add_u32 s38, s18, s38
	v_mov_b32_e32 v19, 1
	s_addc_u32 s39, s19, s39
	s_waitcnt lgkmcnt(0)
	global_store_dwordx2 v25, v[18:19], s[38:39]
.LBB987_221:
	s_or_b64 exec, exec, s[36:37]
	v_xad_u32 v20, v31, -1, s33
	v_add_u32_e32 v24, 64, v20
	v_lshlrev_b64 v[22:23], 3, v[24:25]
	v_mov_b32_e32 v19, s19
	v_add_co_u32_e32 v26, vcc, s18, v22
	v_addc_co_u32_e32 v27, vcc, v19, v23, vcc
	global_load_dwordx2 v[22:23], v[26:27], off glc
	s_waitcnt vmcnt(0)
	v_cmp_eq_u16_sdwa s[38:39], v23, v25 src0_sel:BYTE_0 src1_sel:DWORD
	s_and_saveexec_b64 s[36:37], s[38:39]
	s_cbranch_execz .LBB987_225
; %bb.222:
	s_mov_b64 s[38:39], 0
	v_mov_b32_e32 v19, 0
.LBB987_223:                            ; =>This Inner Loop Header: Depth=1
	global_load_dwordx2 v[22:23], v[26:27], off glc
	s_waitcnt vmcnt(0)
	v_cmp_ne_u16_sdwa s[40:41], v23, v19 src0_sel:BYTE_0 src1_sel:DWORD
	s_or_b64 s[38:39], s[40:41], s[38:39]
	s_andn2_b64 exec, exec, s[38:39]
	s_cbranch_execnz .LBB987_223
; %bb.224:
	s_or_b64 exec, exec, s[38:39]
.LBB987_225:
	s_or_b64 exec, exec, s[36:37]
	v_and_b32_e32 v36, 63, v31
	v_mov_b32_e32 v19, 2
	v_cmp_ne_u32_e32 vcc, 63, v36
	v_cmp_eq_u16_sdwa s[36:37], v23, v19 src0_sel:BYTE_0 src1_sel:DWORD
	v_lshlrev_b64 v[24:25], v31, -1
	v_addc_co_u32_e32 v27, vcc, 0, v31, vcc
	v_and_b32_e32 v21, s37, v25
	v_lshlrev_b32_e32 v37, 2, v27
	v_or_b32_e32 v21, 0x80000000, v21
	ds_bpermute_b32 v27, v37, v22
	v_and_b32_e32 v26, s36, v24
	v_ffbl_b32_e32 v21, v21
	v_add_u32_e32 v21, 32, v21
	v_ffbl_b32_e32 v26, v26
	v_min_u32_e32 v21, v26, v21
	v_cmp_lt_u32_e32 vcc, v36, v21
	s_waitcnt lgkmcnt(0)
	v_cndmask_b32_e32 v26, 0, v27, vcc
	v_cmp_gt_u32_e32 vcc, 62, v36
	v_add_u32_e32 v22, v26, v22
	v_cndmask_b32_e64 v26, 0, 1, vcc
	v_lshlrev_b32_e32 v26, 1, v26
	v_add_lshl_u32 v38, v26, v31, 2
	ds_bpermute_b32 v26, v38, v22
	v_add_u32_e32 v39, 2, v36
	v_cmp_le_u32_e32 vcc, v39, v21
	v_add_u32_e32 v41, 4, v36
	v_add_u32_e32 v43, 8, v36
	s_waitcnt lgkmcnt(0)
	v_cndmask_b32_e32 v26, 0, v26, vcc
	v_cmp_gt_u32_e32 vcc, 60, v36
	v_add_u32_e32 v22, v22, v26
	v_cndmask_b32_e64 v26, 0, 1, vcc
	v_lshlrev_b32_e32 v26, 2, v26
	v_add_lshl_u32 v40, v26, v31, 2
	ds_bpermute_b32 v26, v40, v22
	v_cmp_le_u32_e32 vcc, v41, v21
	v_add_u32_e32 v46, 16, v36
	v_add_u32_e32 v48, 32, v36
	s_waitcnt lgkmcnt(0)
	v_cndmask_b32_e32 v26, 0, v26, vcc
	v_cmp_gt_u32_e32 vcc, 56, v36
	v_add_u32_e32 v22, v22, v26
	v_cndmask_b32_e64 v26, 0, 1, vcc
	v_lshlrev_b32_e32 v26, 3, v26
	v_add_lshl_u32 v42, v26, v31, 2
	ds_bpermute_b32 v26, v42, v22
	v_cmp_le_u32_e32 vcc, v43, v21
	s_waitcnt lgkmcnt(0)
	v_cndmask_b32_e32 v26, 0, v26, vcc
	v_cmp_gt_u32_e32 vcc, 48, v36
	v_add_u32_e32 v22, v22, v26
	v_cndmask_b32_e64 v26, 0, 1, vcc
	v_lshlrev_b32_e32 v26, 4, v26
	v_add_lshl_u32 v45, v26, v31, 2
	ds_bpermute_b32 v26, v45, v22
	v_cmp_le_u32_e32 vcc, v46, v21
	;; [unrolled: 9-line block ×3, first 2 shown]
	s_waitcnt lgkmcnt(0)
	v_cndmask_b32_e32 v21, 0, v26, vcc
	v_add_u32_e32 v22, v22, v21
	v_mov_b32_e32 v21, 0
	s_branch .LBB987_227
.LBB987_226:                            ;   in Loop: Header=BB987_227 Depth=1
	s_or_b64 exec, exec, s[36:37]
	v_cmp_eq_u16_sdwa s[36:37], v23, v19 src0_sel:BYTE_0 src1_sel:DWORD
	v_and_b32_e32 v26, s37, v25
	v_or_b32_e32 v26, 0x80000000, v26
	ds_bpermute_b32 v49, v37, v22
	v_and_b32_e32 v27, s36, v24
	v_ffbl_b32_e32 v26, v26
	v_add_u32_e32 v26, 32, v26
	v_ffbl_b32_e32 v27, v27
	v_min_u32_e32 v26, v27, v26
	v_cmp_lt_u32_e32 vcc, v36, v26
	s_waitcnt lgkmcnt(0)
	v_cndmask_b32_e32 v27, 0, v49, vcc
	v_add_u32_e32 v22, v27, v22
	ds_bpermute_b32 v27, v38, v22
	v_cmp_le_u32_e32 vcc, v39, v26
	v_subrev_u32_e32 v20, 64, v20
	s_waitcnt lgkmcnt(0)
	v_cndmask_b32_e32 v27, 0, v27, vcc
	v_add_u32_e32 v22, v22, v27
	ds_bpermute_b32 v27, v40, v22
	v_cmp_le_u32_e32 vcc, v41, v26
	s_waitcnt lgkmcnt(0)
	v_cndmask_b32_e32 v27, 0, v27, vcc
	v_add_u32_e32 v22, v22, v27
	ds_bpermute_b32 v27, v42, v22
	v_cmp_le_u32_e32 vcc, v43, v26
	s_waitcnt lgkmcnt(0)
	v_cndmask_b32_e32 v27, 0, v27, vcc
	v_add_u32_e32 v22, v22, v27
	ds_bpermute_b32 v27, v45, v22
	v_cmp_le_u32_e32 vcc, v46, v26
	s_waitcnt lgkmcnt(0)
	v_cndmask_b32_e32 v27, 0, v27, vcc
	v_add_u32_e32 v22, v22, v27
	ds_bpermute_b32 v27, v47, v22
	v_cmp_le_u32_e32 vcc, v48, v26
	s_waitcnt lgkmcnt(0)
	v_cndmask_b32_e32 v26, 0, v27, vcc
	v_add3_u32 v22, v26, v44, v22
.LBB987_227:                            ; =>This Loop Header: Depth=1
                                        ;     Child Loop BB987_230 Depth 2
	v_cmp_ne_u16_sdwa s[36:37], v23, v19 src0_sel:BYTE_0 src1_sel:DWORD
	v_cndmask_b32_e64 v23, 0, 1, s[36:37]
	;;#ASMSTART
	;;#ASMEND
	v_cmp_ne_u32_e32 vcc, 0, v23
	s_cmp_lg_u64 vcc, exec
	v_mov_b32_e32 v44, v22
	s_cbranch_scc1 .LBB987_232
; %bb.228:                              ;   in Loop: Header=BB987_227 Depth=1
	v_lshlrev_b64 v[22:23], 3, v[20:21]
	v_mov_b32_e32 v27, s19
	v_add_co_u32_e32 v26, vcc, s18, v22
	v_addc_co_u32_e32 v27, vcc, v27, v23, vcc
	global_load_dwordx2 v[22:23], v[26:27], off glc
	s_waitcnt vmcnt(0)
	v_cmp_eq_u16_sdwa s[38:39], v23, v21 src0_sel:BYTE_0 src1_sel:DWORD
	s_and_saveexec_b64 s[36:37], s[38:39]
	s_cbranch_execz .LBB987_226
; %bb.229:                              ;   in Loop: Header=BB987_227 Depth=1
	s_mov_b64 s[38:39], 0
.LBB987_230:                            ;   Parent Loop BB987_227 Depth=1
                                        ; =>  This Inner Loop Header: Depth=2
	global_load_dwordx2 v[22:23], v[26:27], off glc
	s_waitcnt vmcnt(0)
	v_cmp_ne_u16_sdwa s[40:41], v23, v21 src0_sel:BYTE_0 src1_sel:DWORD
	s_or_b64 s[38:39], s[40:41], s[38:39]
	s_andn2_b64 exec, exec, s[38:39]
	s_cbranch_execnz .LBB987_230
; %bb.231:                              ;   in Loop: Header=BB987_227 Depth=1
	s_or_b64 exec, exec, s[38:39]
	s_branch .LBB987_226
.LBB987_232:                            ;   in Loop: Header=BB987_227 Depth=1
                                        ; implicit-def: $vgpr22
                                        ; implicit-def: $vgpr23
	s_cbranch_execz .LBB987_227
; %bb.233:
	s_and_saveexec_b64 s[36:37], s[16:17]
	s_cbranch_execz .LBB987_235
; %bb.234:
	s_add_i32 s38, s33, 64
	s_mov_b32 s39, 0
	s_lshl_b64 s[38:39], s[38:39], 3
	s_add_u32 s38, s18, s38
	v_add_u32_e32 v20, v44, v18
	v_mov_b32_e32 v21, 2
	s_addc_u32 s39, s19, s39
	v_mov_b32_e32 v19, 0
	s_movk_i32 s33, 0x1000
	global_store_dwordx2 v19, v[20:21], s[38:39]
	v_add_u32_e64 v19, s33, 0
	ds_write2_b32 v19, v18, v44 offset0:32 offset1:34
.LBB987_235:
	s_or_b64 exec, exec, s[36:37]
	s_and_b64 exec, exec, s[0:1]
	s_cbranch_execz .LBB987_237
; %bb.236:
	v_mov_b32_e32 v18, 0
	ds_write_b32 v18, v44 offset:4
.LBB987_237:
	s_or_b64 exec, exec, s[26:27]
	v_mov_b32_e32 v19, 0
	s_waitcnt lgkmcnt(0)
	s_barrier
	ds_read_b32 v19, v19 offset:4
	v_cndmask_b32_e64 v18, v35, v34, s[16:17]
	s_movk_i32 s16, 0x1000
	v_add_u32_e64 v20, s16, 0
	s_waitcnt lgkmcnt(0)
	s_barrier
	ds_read2_b32 v[26:27], v20 offset0:32 offset1:34
	v_cndmask_b32_e64 v18, v18, 0, s[0:1]
	v_add_u32_e32 v24, v19, v18
	v_add_u32_sdwa v22, v24, v28 dst_sel:DWORD dst_unused:UNUSED_PAD src0_sel:DWORD src1_sel:BYTE_0
	v_add_u32_sdwa v20, v22, v28 dst_sel:DWORD dst_unused:UNUSED_PAD src0_sel:DWORD src1_sel:BYTE_1
	v_add_u32_e32 v18, v20, v30
	s_waitcnt lgkmcnt(0)
	v_readfirstlane_b32 s33, v26
	v_readfirstlane_b32 s16, v27
	s_branch .LBB987_248
.LBB987_238:
                                        ; implicit-def: $vgpr18
                                        ; implicit-def: $vgpr20
                                        ; implicit-def: $vgpr22
                                        ; implicit-def: $vgpr24
                                        ; implicit-def: $sgpr16
                                        ; implicit-def: $sgpr33
	s_cbranch_execz .LBB987_248
; %bb.239:
	s_nop 0
	v_mov_b32_dpp v18, v33 row_shr:1 row_mask:0xf bank_mask:0xf
	v_cndmask_b32_e64 v18, v18, 0, s[14:15]
	v_add_u32_e32 v18, v18, v33
	s_nop 1
	v_mov_b32_dpp v19, v18 row_shr:2 row_mask:0xf bank_mask:0xf
	v_cndmask_b32_e64 v19, 0, v19, s[12:13]
	v_add_u32_e32 v18, v18, v19
	;; [unrolled: 4-line block ×4, first 2 shown]
	s_nop 1
	v_mov_b32_dpp v19, v18 row_bcast:15 row_mask:0xf bank_mask:0xf
	v_cndmask_b32_e64 v19, v19, 0, s[6:7]
	v_add_u32_e32 v18, v18, v19
	s_nop 1
	v_mov_b32_dpp v19, v18 row_bcast:31 row_mask:0xf bank_mask:0xf
	v_cndmask_b32_e64 v19, 0, v19, s[2:3]
	v_add_u32_e32 v18, v18, v19
	s_and_saveexec_b64 s[2:3], s[4:5]
	s_cbranch_execz .LBB987_241
; %bb.240:
	v_lshlrev_b32_e32 v19, 2, v32
	ds_write_b32 v19, v18
.LBB987_241:
	s_or_b64 exec, exec, s[2:3]
	v_cmp_gt_u32_e32 vcc, 2, v0
	s_waitcnt lgkmcnt(0)
	s_barrier
	s_and_saveexec_b64 s[2:3], vcc
	s_cbranch_execz .LBB987_243
; %bb.242:
	ds_read_b32 v19, v1
	v_bfe_i32 v20, v31, 0, 1
	s_waitcnt lgkmcnt(0)
	v_mov_b32_dpp v21, v19 row_shr:1 row_mask:0xf bank_mask:0xf
	v_and_b32_e32 v20, v20, v21
	v_add_u32_e32 v19, v20, v19
	ds_write_b32 v1, v19
.LBB987_243:
	s_or_b64 exec, exec, s[2:3]
	v_cmp_lt_u32_e32 vcc, 63, v0
	v_mov_b32_e32 v19, 0
	v_mov_b32_e32 v1, 0
	s_waitcnt lgkmcnt(0)
	s_barrier
	s_and_saveexec_b64 s[2:3], vcc
	s_cbranch_execz .LBB987_245
; %bb.244:
	v_lshl_add_u32 v1, v32, 2, -4
	ds_read_b32 v1, v1
.LBB987_245:
	s_or_b64 exec, exec, s[2:3]
	v_add_u32_e32 v20, -1, v31
	v_and_b32_e32 v21, 64, v31
	v_cmp_lt_i32_e32 vcc, v20, v21
	v_cndmask_b32_e32 v20, v20, v31, vcc
	s_waitcnt lgkmcnt(0)
	v_add_u32_e32 v18, v1, v18
	v_lshlrev_b32_e32 v20, 2, v20
	ds_read_b32 v19, v19 offset:4
	ds_bpermute_b32 v18, v20, v18
	s_waitcnt lgkmcnt(1)
	v_readfirstlane_b32 s33, v19
	s_and_saveexec_b64 s[2:3], s[0:1]
	s_cbranch_execz .LBB987_247
; %bb.246:
	v_mov_b32_e32 v19, 0
	v_mov_b32_e32 v20, s33
	;; [unrolled: 1-line block ×3, first 2 shown]
	global_store_dwordx2 v19, v[20:21], s[18:19] offset:512
.LBB987_247:
	s_or_b64 exec, exec, s[2:3]
	v_cmp_eq_u32_e32 vcc, 0, v31
	s_waitcnt lgkmcnt(0)
	v_cndmask_b32_e32 v1, v18, v1, vcc
	v_cndmask_b32_e64 v24, v1, 0, s[0:1]
	v_add_u32_sdwa v22, v24, v28 dst_sel:DWORD dst_unused:UNUSED_PAD src0_sel:DWORD src1_sel:BYTE_0
	v_add_u32_sdwa v20, v22, v28 dst_sel:DWORD dst_unused:UNUSED_PAD src0_sel:DWORD src1_sel:BYTE_1
	s_mov_b32 s16, 0
	v_add_u32_e32 v18, v20, v30
	s_barrier
.LBB987_248:
	s_cmpk_lt_u32 s33, 0x81
	s_cselect_b64 s[4:5], -1, 0
	v_lshrrev_b32_e32 v1, 8, v28
	s_mov_b64 s[2:3], -1
	s_and_b64 vcc, exec, s[4:5]
	s_cbranch_vccz .LBB987_262
; %bb.249:
	s_add_i32 s6, s16, s33
	v_cmp_gt_u32_e32 vcc, s6, v24
	s_or_b64 s[8:9], s[34:35], vcc
	s_and_saveexec_b64 s[2:3], s[8:9]
	s_cbranch_execz .LBB987_252
; %bb.250:
	v_and_b32_e32 v19, 1, v28
	v_cmp_eq_u32_e32 vcc, 1, v19
	s_and_b64 exec, exec, vcc
	s_cbranch_execz .LBB987_252
; %bb.251:
	s_lshl_b64 s[8:9], s[22:23], 3
	s_add_u32 s7, s28, s8
	v_mov_b32_e32 v25, 0
	s_addc_u32 s8, s29, s9
	v_lshlrev_b64 v[26:27], 3, v[24:25]
	v_mov_b32_e32 v19, s8
	v_add_co_u32_e32 v26, vcc, s7, v26
	v_addc_co_u32_e32 v27, vcc, v19, v27, vcc
	global_store_dwordx2 v[26:27], v[14:15], off
.LBB987_252:
	s_or_b64 exec, exec, s[2:3]
	v_cmp_gt_u32_e32 vcc, s6, v22
	s_or_b64 s[8:9], s[34:35], vcc
	s_and_saveexec_b64 s[2:3], s[8:9]
	s_cbranch_execz .LBB987_255
; %bb.253:
	v_and_b32_e32 v19, 1, v1
	v_cmp_eq_u32_e32 vcc, 1, v19
	s_and_b64 exec, exec, vcc
	s_cbranch_execz .LBB987_255
; %bb.254:
	s_lshl_b64 s[8:9], s[22:23], 3
	s_add_u32 s7, s28, s8
	v_mov_b32_e32 v23, 0
	s_addc_u32 s8, s29, s9
	v_lshlrev_b64 v[26:27], 3, v[22:23]
	v_mov_b32_e32 v19, s8
	v_add_co_u32_e32 v26, vcc, s7, v26
	v_addc_co_u32_e32 v27, vcc, v19, v27, vcc
	global_store_dwordx2 v[26:27], v[16:17], off
.LBB987_255:
	s_or_b64 exec, exec, s[2:3]
	v_cmp_gt_u32_e32 vcc, s6, v20
	s_or_b64 s[8:9], s[34:35], vcc
	s_and_saveexec_b64 s[2:3], s[8:9]
	s_cbranch_execz .LBB987_258
; %bb.256:
	v_mov_b32_e32 v19, 1
	v_and_b32_sdwa v19, v19, v28 dst_sel:DWORD dst_unused:UNUSED_PAD src0_sel:DWORD src1_sel:WORD_1
	v_cmp_eq_u32_e32 vcc, 1, v19
	s_and_b64 exec, exec, vcc
	s_cbranch_execz .LBB987_258
; %bb.257:
	s_lshl_b64 s[8:9], s[22:23], 3
	s_add_u32 s7, s28, s8
	v_mov_b32_e32 v21, 0
	s_addc_u32 s8, s29, s9
	v_lshlrev_b64 v[26:27], 3, v[20:21]
	v_mov_b32_e32 v19, s8
	v_add_co_u32_e32 v26, vcc, s7, v26
	v_addc_co_u32_e32 v27, vcc, v19, v27, vcc
	global_store_dwordx2 v[26:27], v[10:11], off
.LBB987_258:
	s_or_b64 exec, exec, s[2:3]
	v_cmp_gt_u32_e32 vcc, s6, v18
	s_or_b64 s[6:7], s[34:35], vcc
	s_and_saveexec_b64 s[2:3], s[6:7]
	s_cbranch_execz .LBB987_261
; %bb.259:
	v_and_b32_e32 v19, 1, v29
	v_cmp_eq_u32_e32 vcc, 1, v19
	s_and_b64 exec, exec, vcc
	s_cbranch_execz .LBB987_261
; %bb.260:
	s_lshl_b64 s[6:7], s[22:23], 3
	s_add_u32 s6, s28, s6
	v_mov_b32_e32 v19, 0
	s_addc_u32 s7, s29, s7
	v_lshlrev_b64 v[26:27], 3, v[18:19]
	v_mov_b32_e32 v19, s7
	v_add_co_u32_e32 v26, vcc, s6, v26
	v_addc_co_u32_e32 v27, vcc, v19, v27, vcc
	global_store_dwordx2 v[26:27], v[12:13], off
.LBB987_261:
	s_or_b64 exec, exec, s[2:3]
	s_mov_b64 s[2:3], 0
.LBB987_262:
	v_and_b32_e32 v26, 1, v28
	s_and_b64 vcc, exec, s[2:3]
	v_cmp_eq_u32_e64 s[2:3], 1, v26
	s_cbranch_vccz .LBB987_275
; %bb.263:
	s_and_saveexec_b64 s[6:7], s[2:3]
	s_cbranch_execz .LBB987_265
; %bb.264:
	v_subrev_u32_e32 v19, s16, v24
	v_lshlrev_b32_e32 v19, 3, v19
	ds_write_b64 v19, v[14:15]
.LBB987_265:
	s_or_b64 exec, exec, s[6:7]
	v_and_b32_e32 v14, 1, v1
	v_cmp_eq_u32_e32 vcc, 1, v14
	s_and_saveexec_b64 s[2:3], vcc
	s_cbranch_execz .LBB987_267
; %bb.266:
	v_subrev_u32_e32 v14, s16, v22
	v_lshlrev_b32_e32 v14, 3, v14
	ds_write_b64 v14, v[16:17]
.LBB987_267:
	s_or_b64 exec, exec, s[2:3]
	v_mov_b32_e32 v14, 1
	v_and_b32_sdwa v14, v14, v28 dst_sel:DWORD dst_unused:UNUSED_PAD src0_sel:DWORD src1_sel:WORD_1
	v_cmp_eq_u32_e32 vcc, 1, v14
	s_and_saveexec_b64 s[2:3], vcc
	s_cbranch_execz .LBB987_269
; %bb.268:
	v_subrev_u32_e32 v14, s16, v20
	v_lshlrev_b32_e32 v14, 3, v14
	ds_write_b64 v14, v[10:11]
.LBB987_269:
	s_or_b64 exec, exec, s[2:3]
	v_and_b32_e32 v10, 1, v29
	v_cmp_eq_u32_e32 vcc, 1, v10
	s_and_saveexec_b64 s[2:3], vcc
	s_cbranch_execz .LBB987_271
; %bb.270:
	v_subrev_u32_e32 v10, s16, v18
	v_lshlrev_b32_e32 v10, 3, v10
	ds_write_b64 v10, v[12:13]
.LBB987_271:
	s_or_b64 exec, exec, s[2:3]
	v_cmp_gt_u32_e32 vcc, s33, v0
	s_waitcnt lgkmcnt(0)
	s_barrier
	s_and_saveexec_b64 s[2:3], vcc
	s_cbranch_execz .LBB987_274
; %bb.272:
	s_mov_b32 s17, 0
	s_lshl_b64 s[6:7], s[16:17], 3
	s_add_u32 s8, s28, s6
	s_addc_u32 s9, s29, s7
	s_lshl_b64 s[6:7], s[22:23], 3
	s_add_u32 s8, s8, s6
	s_addc_u32 s9, s9, s7
	v_lshlrev_b32_e32 v12, 3, v0
	s_mov_b64 s[6:7], 0
	v_mov_b32_e32 v11, 0
	v_mov_b32_e32 v13, s9
	;; [unrolled: 1-line block ×3, first 2 shown]
.LBB987_273:                            ; =>This Inner Loop Header: Depth=1
	ds_read_b64 v[14:15], v12
	v_lshlrev_b64 v[16:17], 3, v[10:11]
	v_add_co_u32_e32 v16, vcc, s8, v16
	v_add_u32_e32 v10, 0x80, v10
	v_addc_co_u32_e32 v17, vcc, v13, v17, vcc
	v_cmp_le_u32_e32 vcc, s33, v10
	v_add_u32_e32 v12, 0x400, v12
	s_or_b64 s[6:7], vcc, s[6:7]
	s_waitcnt lgkmcnt(0)
	global_store_dwordx2 v[16:17], v[14:15], off
	s_andn2_b64 exec, exec, s[6:7]
	s_cbranch_execnz .LBB987_273
.LBB987_274:
	s_or_b64 exec, exec, s[2:3]
.LBB987_275:
	s_mov_b64 s[2:3], -1
	s_and_b64 vcc, exec, s[4:5]
	s_barrier
	s_cbranch_vccnz .LBB987_279
; %bb.276:
	s_and_b64 vcc, exec, s[2:3]
	s_cbranch_vccnz .LBB987_292
.LBB987_277:
	s_and_b64 s[0:1], s[0:1], s[24:25]
	s_and_saveexec_b64 s[2:3], s[0:1]
	s_cbranch_execnz .LBB987_304
.LBB987_278:
	s_endpgm
.LBB987_279:
	s_add_i32 s4, s16, s33
	v_cmp_gt_u32_e32 vcc, s4, v24
	s_or_b64 s[6:7], s[34:35], vcc
	s_and_saveexec_b64 s[2:3], s[6:7]
	s_cbranch_execz .LBB987_282
; %bb.280:
	v_cmp_eq_u32_e32 vcc, 1, v26
	s_and_b64 exec, exec, vcc
	s_cbranch_execz .LBB987_282
; %bb.281:
	s_lshl_b64 s[6:7], s[22:23], 3
	s_add_u32 s5, s30, s6
	v_mov_b32_e32 v25, 0
	s_addc_u32 s6, s31, s7
	v_lshlrev_b64 v[10:11], 3, v[24:25]
	v_mov_b32_e32 v12, s6
	v_add_co_u32_e32 v10, vcc, s5, v10
	v_addc_co_u32_e32 v11, vcc, v12, v11, vcc
	global_store_dwordx2 v[10:11], v[6:7], off
.LBB987_282:
	s_or_b64 exec, exec, s[2:3]
	v_cmp_gt_u32_e32 vcc, s4, v22
	s_or_b64 s[6:7], s[34:35], vcc
	s_and_saveexec_b64 s[2:3], s[6:7]
	s_cbranch_execz .LBB987_285
; %bb.283:
	v_and_b32_e32 v10, 1, v1
	v_cmp_eq_u32_e32 vcc, 1, v10
	s_and_b64 exec, exec, vcc
	s_cbranch_execz .LBB987_285
; %bb.284:
	s_lshl_b64 s[6:7], s[22:23], 3
	s_add_u32 s5, s30, s6
	v_mov_b32_e32 v23, 0
	s_addc_u32 s6, s31, s7
	v_lshlrev_b64 v[10:11], 3, v[22:23]
	v_mov_b32_e32 v12, s6
	v_add_co_u32_e32 v10, vcc, s5, v10
	v_addc_co_u32_e32 v11, vcc, v12, v11, vcc
	global_store_dwordx2 v[10:11], v[8:9], off
.LBB987_285:
	s_or_b64 exec, exec, s[2:3]
	v_cmp_gt_u32_e32 vcc, s4, v20
	s_or_b64 s[6:7], s[34:35], vcc
	s_and_saveexec_b64 s[2:3], s[6:7]
	s_cbranch_execz .LBB987_288
; %bb.286:
	v_mov_b32_e32 v10, 1
	v_and_b32_sdwa v10, v10, v28 dst_sel:DWORD dst_unused:UNUSED_PAD src0_sel:DWORD src1_sel:WORD_1
	v_cmp_eq_u32_e32 vcc, 1, v10
	s_and_b64 exec, exec, vcc
	s_cbranch_execz .LBB987_288
; %bb.287:
	s_lshl_b64 s[6:7], s[22:23], 3
	s_add_u32 s5, s30, s6
	v_mov_b32_e32 v21, 0
	s_addc_u32 s6, s31, s7
	v_lshlrev_b64 v[10:11], 3, v[20:21]
	v_mov_b32_e32 v12, s6
	v_add_co_u32_e32 v10, vcc, s5, v10
	v_addc_co_u32_e32 v11, vcc, v12, v11, vcc
	global_store_dwordx2 v[10:11], v[2:3], off
.LBB987_288:
	s_or_b64 exec, exec, s[2:3]
	v_cmp_gt_u32_e32 vcc, s4, v18
	s_or_b64 s[4:5], s[34:35], vcc
	s_and_saveexec_b64 s[2:3], s[4:5]
	s_cbranch_execz .LBB987_291
; %bb.289:
	v_and_b32_e32 v10, 1, v29
	v_cmp_eq_u32_e32 vcc, 1, v10
	s_and_b64 exec, exec, vcc
	s_cbranch_execz .LBB987_291
; %bb.290:
	s_lshl_b64 s[4:5], s[22:23], 3
	s_add_u32 s4, s30, s4
	v_mov_b32_e32 v19, 0
	s_addc_u32 s5, s31, s5
	v_lshlrev_b64 v[10:11], 3, v[18:19]
	v_mov_b32_e32 v12, s5
	v_add_co_u32_e32 v10, vcc, s4, v10
	v_addc_co_u32_e32 v11, vcc, v12, v11, vcc
	global_store_dwordx2 v[10:11], v[4:5], off
.LBB987_291:
	s_or_b64 exec, exec, s[2:3]
	s_branch .LBB987_277
.LBB987_292:
	v_cmp_eq_u32_e32 vcc, 1, v26
	s_and_saveexec_b64 s[2:3], vcc
	s_cbranch_execz .LBB987_294
; %bb.293:
	v_subrev_u32_e32 v10, s16, v24
	v_lshlrev_b32_e32 v10, 3, v10
	ds_write_b64 v10, v[6:7]
.LBB987_294:
	s_or_b64 exec, exec, s[2:3]
	v_and_b32_e32 v1, 1, v1
	v_cmp_eq_u32_e32 vcc, 1, v1
	s_and_saveexec_b64 s[2:3], vcc
	s_cbranch_execz .LBB987_296
; %bb.295:
	v_subrev_u32_e32 v1, s16, v22
	v_lshlrev_b32_e32 v1, 3, v1
	ds_write_b64 v1, v[8:9]
.LBB987_296:
	s_or_b64 exec, exec, s[2:3]
	v_mov_b32_e32 v1, 1
	v_and_b32_sdwa v1, v1, v28 dst_sel:DWORD dst_unused:UNUSED_PAD src0_sel:DWORD src1_sel:WORD_1
	v_cmp_eq_u32_e32 vcc, 1, v1
	s_and_saveexec_b64 s[2:3], vcc
	s_cbranch_execz .LBB987_298
; %bb.297:
	v_subrev_u32_e32 v1, s16, v20
	v_lshlrev_b32_e32 v1, 3, v1
	ds_write_b64 v1, v[2:3]
.LBB987_298:
	s_or_b64 exec, exec, s[2:3]
	v_and_b32_e32 v1, 1, v29
	v_cmp_eq_u32_e32 vcc, 1, v1
	s_and_saveexec_b64 s[2:3], vcc
	s_cbranch_execz .LBB987_300
; %bb.299:
	v_subrev_u32_e32 v1, s16, v18
	v_lshlrev_b32_e32 v1, 3, v1
	ds_write_b64 v1, v[4:5]
.LBB987_300:
	s_or_b64 exec, exec, s[2:3]
	v_cmp_gt_u32_e32 vcc, s33, v0
	s_waitcnt lgkmcnt(0)
	s_barrier
	s_and_saveexec_b64 s[2:3], vcc
	s_cbranch_execz .LBB987_303
; %bb.301:
	s_mov_b32 s17, 0
	s_lshl_b64 s[4:5], s[16:17], 3
	s_add_u32 s6, s30, s4
	s_addc_u32 s7, s31, s5
	s_lshl_b64 s[4:5], s[22:23], 3
	s_add_u32 s6, s6, s4
	s_addc_u32 s7, s7, s5
	v_lshlrev_b32_e32 v2, 3, v0
	s_mov_b64 s[4:5], 0
	v_mov_b32_e32 v1, 0
	v_mov_b32_e32 v3, s7
.LBB987_302:                            ; =>This Inner Loop Header: Depth=1
	ds_read_b64 v[4:5], v2
	v_lshlrev_b64 v[6:7], 3, v[0:1]
	v_add_co_u32_e32 v6, vcc, s6, v6
	v_add_u32_e32 v0, 0x80, v0
	v_addc_co_u32_e32 v7, vcc, v3, v7, vcc
	v_cmp_le_u32_e32 vcc, s33, v0
	v_add_u32_e32 v2, 0x400, v2
	s_or_b64 s[4:5], vcc, s[4:5]
	s_waitcnt lgkmcnt(0)
	global_store_dwordx2 v[6:7], v[4:5], off
	s_andn2_b64 exec, exec, s[4:5]
	s_cbranch_execnz .LBB987_302
.LBB987_303:
	s_or_b64 exec, exec, s[2:3]
	s_and_b64 s[0:1], s[0:1], s[24:25]
	s_and_saveexec_b64 s[2:3], s[0:1]
	s_cbranch_execz .LBB987_278
.LBB987_304:
	s_add_u32 s0, s22, s33
	s_addc_u32 s1, s23, 0
	s_add_u32 s0, s0, s16
	s_addc_u32 s1, s1, 0
	v_mov_b32_e32 v2, 0
	v_pk_mov_b32 v[0:1], s[0:1], s[0:1] op_sel:[0,1]
	global_store_dwordx2 v2, v[0:1], s[20:21]
	s_endpgm
	.section	.rodata,"a",@progbits
	.p2align	6, 0x0
	.amdhsa_kernel _ZN7rocprim17ROCPRIM_400000_NS6detail17trampoline_kernelINS0_14default_configENS1_25partition_config_selectorILNS1_17partition_subalgoE9EllbEEZZNS1_14partition_implILS5_9ELb0ES3_jPlS8_PNS0_10empty_typeENS0_5tupleIJS8_S9_EEENSB_IJS8_SA_EEENS0_18inequality_wrapperIZN2at6native12_GLOBAL__N_124unique_dim_cuda_templateIfEESt5tupleIJNSF_6TensorESK_SK_EERKSK_lbbbEUlllE0_EEPmJS9_EEE10hipError_tPvRmT3_T4_T5_T6_T7_T9_mT8_P12ihipStream_tbDpT10_ENKUlT_T0_E_clISt17integral_constantIbLb0EES19_IbLb1EEEEDaS15_S16_EUlS15_E_NS1_11comp_targetILNS1_3genE4ELNS1_11target_archE910ELNS1_3gpuE8ELNS1_3repE0EEENS1_30default_config_static_selectorELNS0_4arch9wavefront6targetE1EEEvT1_
		.amdhsa_group_segment_fixed_size 4236
		.amdhsa_private_segment_fixed_size 0
		.amdhsa_kernarg_size 136
		.amdhsa_user_sgpr_count 6
		.amdhsa_user_sgpr_private_segment_buffer 1
		.amdhsa_user_sgpr_dispatch_ptr 0
		.amdhsa_user_sgpr_queue_ptr 0
		.amdhsa_user_sgpr_kernarg_segment_ptr 1
		.amdhsa_user_sgpr_dispatch_id 0
		.amdhsa_user_sgpr_flat_scratch_init 0
		.amdhsa_user_sgpr_kernarg_preload_length 0
		.amdhsa_user_sgpr_kernarg_preload_offset 0
		.amdhsa_user_sgpr_private_segment_size 0
		.amdhsa_uses_dynamic_stack 0
		.amdhsa_system_sgpr_private_segment_wavefront_offset 0
		.amdhsa_system_sgpr_workgroup_id_x 1
		.amdhsa_system_sgpr_workgroup_id_y 0
		.amdhsa_system_sgpr_workgroup_id_z 0
		.amdhsa_system_sgpr_workgroup_info 0
		.amdhsa_system_vgpr_workitem_id 0
		.amdhsa_next_free_vgpr 50
		.amdhsa_next_free_sgpr 52
		.amdhsa_accum_offset 52
		.amdhsa_reserve_vcc 1
		.amdhsa_reserve_flat_scratch 0
		.amdhsa_float_round_mode_32 0
		.amdhsa_float_round_mode_16_64 0
		.amdhsa_float_denorm_mode_32 3
		.amdhsa_float_denorm_mode_16_64 3
		.amdhsa_dx10_clamp 1
		.amdhsa_ieee_mode 1
		.amdhsa_fp16_overflow 0
		.amdhsa_tg_split 0
		.amdhsa_exception_fp_ieee_invalid_op 0
		.amdhsa_exception_fp_denorm_src 0
		.amdhsa_exception_fp_ieee_div_zero 0
		.amdhsa_exception_fp_ieee_overflow 0
		.amdhsa_exception_fp_ieee_underflow 0
		.amdhsa_exception_fp_ieee_inexact 0
		.amdhsa_exception_int_div_zero 0
	.end_amdhsa_kernel
	.section	.text._ZN7rocprim17ROCPRIM_400000_NS6detail17trampoline_kernelINS0_14default_configENS1_25partition_config_selectorILNS1_17partition_subalgoE9EllbEEZZNS1_14partition_implILS5_9ELb0ES3_jPlS8_PNS0_10empty_typeENS0_5tupleIJS8_S9_EEENSB_IJS8_SA_EEENS0_18inequality_wrapperIZN2at6native12_GLOBAL__N_124unique_dim_cuda_templateIfEESt5tupleIJNSF_6TensorESK_SK_EERKSK_lbbbEUlllE0_EEPmJS9_EEE10hipError_tPvRmT3_T4_T5_T6_T7_T9_mT8_P12ihipStream_tbDpT10_ENKUlT_T0_E_clISt17integral_constantIbLb0EES19_IbLb1EEEEDaS15_S16_EUlS15_E_NS1_11comp_targetILNS1_3genE4ELNS1_11target_archE910ELNS1_3gpuE8ELNS1_3repE0EEENS1_30default_config_static_selectorELNS0_4arch9wavefront6targetE1EEEvT1_,"axG",@progbits,_ZN7rocprim17ROCPRIM_400000_NS6detail17trampoline_kernelINS0_14default_configENS1_25partition_config_selectorILNS1_17partition_subalgoE9EllbEEZZNS1_14partition_implILS5_9ELb0ES3_jPlS8_PNS0_10empty_typeENS0_5tupleIJS8_S9_EEENSB_IJS8_SA_EEENS0_18inequality_wrapperIZN2at6native12_GLOBAL__N_124unique_dim_cuda_templateIfEESt5tupleIJNSF_6TensorESK_SK_EERKSK_lbbbEUlllE0_EEPmJS9_EEE10hipError_tPvRmT3_T4_T5_T6_T7_T9_mT8_P12ihipStream_tbDpT10_ENKUlT_T0_E_clISt17integral_constantIbLb0EES19_IbLb1EEEEDaS15_S16_EUlS15_E_NS1_11comp_targetILNS1_3genE4ELNS1_11target_archE910ELNS1_3gpuE8ELNS1_3repE0EEENS1_30default_config_static_selectorELNS0_4arch9wavefront6targetE1EEEvT1_,comdat
.Lfunc_end987:
	.size	_ZN7rocprim17ROCPRIM_400000_NS6detail17trampoline_kernelINS0_14default_configENS1_25partition_config_selectorILNS1_17partition_subalgoE9EllbEEZZNS1_14partition_implILS5_9ELb0ES3_jPlS8_PNS0_10empty_typeENS0_5tupleIJS8_S9_EEENSB_IJS8_SA_EEENS0_18inequality_wrapperIZN2at6native12_GLOBAL__N_124unique_dim_cuda_templateIfEESt5tupleIJNSF_6TensorESK_SK_EERKSK_lbbbEUlllE0_EEPmJS9_EEE10hipError_tPvRmT3_T4_T5_T6_T7_T9_mT8_P12ihipStream_tbDpT10_ENKUlT_T0_E_clISt17integral_constantIbLb0EES19_IbLb1EEEEDaS15_S16_EUlS15_E_NS1_11comp_targetILNS1_3genE4ELNS1_11target_archE910ELNS1_3gpuE8ELNS1_3repE0EEENS1_30default_config_static_selectorELNS0_4arch9wavefront6targetE1EEEvT1_, .Lfunc_end987-_ZN7rocprim17ROCPRIM_400000_NS6detail17trampoline_kernelINS0_14default_configENS1_25partition_config_selectorILNS1_17partition_subalgoE9EllbEEZZNS1_14partition_implILS5_9ELb0ES3_jPlS8_PNS0_10empty_typeENS0_5tupleIJS8_S9_EEENSB_IJS8_SA_EEENS0_18inequality_wrapperIZN2at6native12_GLOBAL__N_124unique_dim_cuda_templateIfEESt5tupleIJNSF_6TensorESK_SK_EERKSK_lbbbEUlllE0_EEPmJS9_EEE10hipError_tPvRmT3_T4_T5_T6_T7_T9_mT8_P12ihipStream_tbDpT10_ENKUlT_T0_E_clISt17integral_constantIbLb0EES19_IbLb1EEEEDaS15_S16_EUlS15_E_NS1_11comp_targetILNS1_3genE4ELNS1_11target_archE910ELNS1_3gpuE8ELNS1_3repE0EEENS1_30default_config_static_selectorELNS0_4arch9wavefront6targetE1EEEvT1_
                                        ; -- End function
	.section	.AMDGPU.csdata,"",@progbits
; Kernel info:
; codeLenInByte = 10900
; NumSgprs: 56
; NumVgprs: 50
; NumAgprs: 0
; TotalNumVgprs: 50
; ScratchSize: 0
; MemoryBound: 0
; FloatMode: 240
; IeeeMode: 1
; LDSByteSize: 4236 bytes/workgroup (compile time only)
; SGPRBlocks: 6
; VGPRBlocks: 6
; NumSGPRsForWavesPerEU: 56
; NumVGPRsForWavesPerEU: 50
; AccumOffset: 52
; Occupancy: 8
; WaveLimiterHint : 1
; COMPUTE_PGM_RSRC2:SCRATCH_EN: 0
; COMPUTE_PGM_RSRC2:USER_SGPR: 6
; COMPUTE_PGM_RSRC2:TRAP_HANDLER: 0
; COMPUTE_PGM_RSRC2:TGID_X_EN: 1
; COMPUTE_PGM_RSRC2:TGID_Y_EN: 0
; COMPUTE_PGM_RSRC2:TGID_Z_EN: 0
; COMPUTE_PGM_RSRC2:TIDIG_COMP_CNT: 0
; COMPUTE_PGM_RSRC3_GFX90A:ACCUM_OFFSET: 12
; COMPUTE_PGM_RSRC3_GFX90A:TG_SPLIT: 0
	.section	.text._ZN7rocprim17ROCPRIM_400000_NS6detail17trampoline_kernelINS0_14default_configENS1_25partition_config_selectorILNS1_17partition_subalgoE9EllbEEZZNS1_14partition_implILS5_9ELb0ES3_jPlS8_PNS0_10empty_typeENS0_5tupleIJS8_S9_EEENSB_IJS8_SA_EEENS0_18inequality_wrapperIZN2at6native12_GLOBAL__N_124unique_dim_cuda_templateIfEESt5tupleIJNSF_6TensorESK_SK_EERKSK_lbbbEUlllE0_EEPmJS9_EEE10hipError_tPvRmT3_T4_T5_T6_T7_T9_mT8_P12ihipStream_tbDpT10_ENKUlT_T0_E_clISt17integral_constantIbLb0EES19_IbLb1EEEEDaS15_S16_EUlS15_E_NS1_11comp_targetILNS1_3genE3ELNS1_11target_archE908ELNS1_3gpuE7ELNS1_3repE0EEENS1_30default_config_static_selectorELNS0_4arch9wavefront6targetE1EEEvT1_,"axG",@progbits,_ZN7rocprim17ROCPRIM_400000_NS6detail17trampoline_kernelINS0_14default_configENS1_25partition_config_selectorILNS1_17partition_subalgoE9EllbEEZZNS1_14partition_implILS5_9ELb0ES3_jPlS8_PNS0_10empty_typeENS0_5tupleIJS8_S9_EEENSB_IJS8_SA_EEENS0_18inequality_wrapperIZN2at6native12_GLOBAL__N_124unique_dim_cuda_templateIfEESt5tupleIJNSF_6TensorESK_SK_EERKSK_lbbbEUlllE0_EEPmJS9_EEE10hipError_tPvRmT3_T4_T5_T6_T7_T9_mT8_P12ihipStream_tbDpT10_ENKUlT_T0_E_clISt17integral_constantIbLb0EES19_IbLb1EEEEDaS15_S16_EUlS15_E_NS1_11comp_targetILNS1_3genE3ELNS1_11target_archE908ELNS1_3gpuE7ELNS1_3repE0EEENS1_30default_config_static_selectorELNS0_4arch9wavefront6targetE1EEEvT1_,comdat
	.globl	_ZN7rocprim17ROCPRIM_400000_NS6detail17trampoline_kernelINS0_14default_configENS1_25partition_config_selectorILNS1_17partition_subalgoE9EllbEEZZNS1_14partition_implILS5_9ELb0ES3_jPlS8_PNS0_10empty_typeENS0_5tupleIJS8_S9_EEENSB_IJS8_SA_EEENS0_18inequality_wrapperIZN2at6native12_GLOBAL__N_124unique_dim_cuda_templateIfEESt5tupleIJNSF_6TensorESK_SK_EERKSK_lbbbEUlllE0_EEPmJS9_EEE10hipError_tPvRmT3_T4_T5_T6_T7_T9_mT8_P12ihipStream_tbDpT10_ENKUlT_T0_E_clISt17integral_constantIbLb0EES19_IbLb1EEEEDaS15_S16_EUlS15_E_NS1_11comp_targetILNS1_3genE3ELNS1_11target_archE908ELNS1_3gpuE7ELNS1_3repE0EEENS1_30default_config_static_selectorELNS0_4arch9wavefront6targetE1EEEvT1_ ; -- Begin function _ZN7rocprim17ROCPRIM_400000_NS6detail17trampoline_kernelINS0_14default_configENS1_25partition_config_selectorILNS1_17partition_subalgoE9EllbEEZZNS1_14partition_implILS5_9ELb0ES3_jPlS8_PNS0_10empty_typeENS0_5tupleIJS8_S9_EEENSB_IJS8_SA_EEENS0_18inequality_wrapperIZN2at6native12_GLOBAL__N_124unique_dim_cuda_templateIfEESt5tupleIJNSF_6TensorESK_SK_EERKSK_lbbbEUlllE0_EEPmJS9_EEE10hipError_tPvRmT3_T4_T5_T6_T7_T9_mT8_P12ihipStream_tbDpT10_ENKUlT_T0_E_clISt17integral_constantIbLb0EES19_IbLb1EEEEDaS15_S16_EUlS15_E_NS1_11comp_targetILNS1_3genE3ELNS1_11target_archE908ELNS1_3gpuE7ELNS1_3repE0EEENS1_30default_config_static_selectorELNS0_4arch9wavefront6targetE1EEEvT1_
	.p2align	8
	.type	_ZN7rocprim17ROCPRIM_400000_NS6detail17trampoline_kernelINS0_14default_configENS1_25partition_config_selectorILNS1_17partition_subalgoE9EllbEEZZNS1_14partition_implILS5_9ELb0ES3_jPlS8_PNS0_10empty_typeENS0_5tupleIJS8_S9_EEENSB_IJS8_SA_EEENS0_18inequality_wrapperIZN2at6native12_GLOBAL__N_124unique_dim_cuda_templateIfEESt5tupleIJNSF_6TensorESK_SK_EERKSK_lbbbEUlllE0_EEPmJS9_EEE10hipError_tPvRmT3_T4_T5_T6_T7_T9_mT8_P12ihipStream_tbDpT10_ENKUlT_T0_E_clISt17integral_constantIbLb0EES19_IbLb1EEEEDaS15_S16_EUlS15_E_NS1_11comp_targetILNS1_3genE3ELNS1_11target_archE908ELNS1_3gpuE7ELNS1_3repE0EEENS1_30default_config_static_selectorELNS0_4arch9wavefront6targetE1EEEvT1_,@function
_ZN7rocprim17ROCPRIM_400000_NS6detail17trampoline_kernelINS0_14default_configENS1_25partition_config_selectorILNS1_17partition_subalgoE9EllbEEZZNS1_14partition_implILS5_9ELb0ES3_jPlS8_PNS0_10empty_typeENS0_5tupleIJS8_S9_EEENSB_IJS8_SA_EEENS0_18inequality_wrapperIZN2at6native12_GLOBAL__N_124unique_dim_cuda_templateIfEESt5tupleIJNSF_6TensorESK_SK_EERKSK_lbbbEUlllE0_EEPmJS9_EEE10hipError_tPvRmT3_T4_T5_T6_T7_T9_mT8_P12ihipStream_tbDpT10_ENKUlT_T0_E_clISt17integral_constantIbLb0EES19_IbLb1EEEEDaS15_S16_EUlS15_E_NS1_11comp_targetILNS1_3genE3ELNS1_11target_archE908ELNS1_3gpuE7ELNS1_3repE0EEENS1_30default_config_static_selectorELNS0_4arch9wavefront6targetE1EEEvT1_: ; @_ZN7rocprim17ROCPRIM_400000_NS6detail17trampoline_kernelINS0_14default_configENS1_25partition_config_selectorILNS1_17partition_subalgoE9EllbEEZZNS1_14partition_implILS5_9ELb0ES3_jPlS8_PNS0_10empty_typeENS0_5tupleIJS8_S9_EEENSB_IJS8_SA_EEENS0_18inequality_wrapperIZN2at6native12_GLOBAL__N_124unique_dim_cuda_templateIfEESt5tupleIJNSF_6TensorESK_SK_EERKSK_lbbbEUlllE0_EEPmJS9_EEE10hipError_tPvRmT3_T4_T5_T6_T7_T9_mT8_P12ihipStream_tbDpT10_ENKUlT_T0_E_clISt17integral_constantIbLb0EES19_IbLb1EEEEDaS15_S16_EUlS15_E_NS1_11comp_targetILNS1_3genE3ELNS1_11target_archE908ELNS1_3gpuE7ELNS1_3repE0EEENS1_30default_config_static_selectorELNS0_4arch9wavefront6targetE1EEEvT1_
; %bb.0:
	.section	.rodata,"a",@progbits
	.p2align	6, 0x0
	.amdhsa_kernel _ZN7rocprim17ROCPRIM_400000_NS6detail17trampoline_kernelINS0_14default_configENS1_25partition_config_selectorILNS1_17partition_subalgoE9EllbEEZZNS1_14partition_implILS5_9ELb0ES3_jPlS8_PNS0_10empty_typeENS0_5tupleIJS8_S9_EEENSB_IJS8_SA_EEENS0_18inequality_wrapperIZN2at6native12_GLOBAL__N_124unique_dim_cuda_templateIfEESt5tupleIJNSF_6TensorESK_SK_EERKSK_lbbbEUlllE0_EEPmJS9_EEE10hipError_tPvRmT3_T4_T5_T6_T7_T9_mT8_P12ihipStream_tbDpT10_ENKUlT_T0_E_clISt17integral_constantIbLb0EES19_IbLb1EEEEDaS15_S16_EUlS15_E_NS1_11comp_targetILNS1_3genE3ELNS1_11target_archE908ELNS1_3gpuE7ELNS1_3repE0EEENS1_30default_config_static_selectorELNS0_4arch9wavefront6targetE1EEEvT1_
		.amdhsa_group_segment_fixed_size 0
		.amdhsa_private_segment_fixed_size 0
		.amdhsa_kernarg_size 136
		.amdhsa_user_sgpr_count 6
		.amdhsa_user_sgpr_private_segment_buffer 1
		.amdhsa_user_sgpr_dispatch_ptr 0
		.amdhsa_user_sgpr_queue_ptr 0
		.amdhsa_user_sgpr_kernarg_segment_ptr 1
		.amdhsa_user_sgpr_dispatch_id 0
		.amdhsa_user_sgpr_flat_scratch_init 0
		.amdhsa_user_sgpr_kernarg_preload_length 0
		.amdhsa_user_sgpr_kernarg_preload_offset 0
		.amdhsa_user_sgpr_private_segment_size 0
		.amdhsa_uses_dynamic_stack 0
		.amdhsa_system_sgpr_private_segment_wavefront_offset 0
		.amdhsa_system_sgpr_workgroup_id_x 1
		.amdhsa_system_sgpr_workgroup_id_y 0
		.amdhsa_system_sgpr_workgroup_id_z 0
		.amdhsa_system_sgpr_workgroup_info 0
		.amdhsa_system_vgpr_workitem_id 0
		.amdhsa_next_free_vgpr 1
		.amdhsa_next_free_sgpr 0
		.amdhsa_accum_offset 4
		.amdhsa_reserve_vcc 0
		.amdhsa_reserve_flat_scratch 0
		.amdhsa_float_round_mode_32 0
		.amdhsa_float_round_mode_16_64 0
		.amdhsa_float_denorm_mode_32 3
		.amdhsa_float_denorm_mode_16_64 3
		.amdhsa_dx10_clamp 1
		.amdhsa_ieee_mode 1
		.amdhsa_fp16_overflow 0
		.amdhsa_tg_split 0
		.amdhsa_exception_fp_ieee_invalid_op 0
		.amdhsa_exception_fp_denorm_src 0
		.amdhsa_exception_fp_ieee_div_zero 0
		.amdhsa_exception_fp_ieee_overflow 0
		.amdhsa_exception_fp_ieee_underflow 0
		.amdhsa_exception_fp_ieee_inexact 0
		.amdhsa_exception_int_div_zero 0
	.end_amdhsa_kernel
	.section	.text._ZN7rocprim17ROCPRIM_400000_NS6detail17trampoline_kernelINS0_14default_configENS1_25partition_config_selectorILNS1_17partition_subalgoE9EllbEEZZNS1_14partition_implILS5_9ELb0ES3_jPlS8_PNS0_10empty_typeENS0_5tupleIJS8_S9_EEENSB_IJS8_SA_EEENS0_18inequality_wrapperIZN2at6native12_GLOBAL__N_124unique_dim_cuda_templateIfEESt5tupleIJNSF_6TensorESK_SK_EERKSK_lbbbEUlllE0_EEPmJS9_EEE10hipError_tPvRmT3_T4_T5_T6_T7_T9_mT8_P12ihipStream_tbDpT10_ENKUlT_T0_E_clISt17integral_constantIbLb0EES19_IbLb1EEEEDaS15_S16_EUlS15_E_NS1_11comp_targetILNS1_3genE3ELNS1_11target_archE908ELNS1_3gpuE7ELNS1_3repE0EEENS1_30default_config_static_selectorELNS0_4arch9wavefront6targetE1EEEvT1_,"axG",@progbits,_ZN7rocprim17ROCPRIM_400000_NS6detail17trampoline_kernelINS0_14default_configENS1_25partition_config_selectorILNS1_17partition_subalgoE9EllbEEZZNS1_14partition_implILS5_9ELb0ES3_jPlS8_PNS0_10empty_typeENS0_5tupleIJS8_S9_EEENSB_IJS8_SA_EEENS0_18inequality_wrapperIZN2at6native12_GLOBAL__N_124unique_dim_cuda_templateIfEESt5tupleIJNSF_6TensorESK_SK_EERKSK_lbbbEUlllE0_EEPmJS9_EEE10hipError_tPvRmT3_T4_T5_T6_T7_T9_mT8_P12ihipStream_tbDpT10_ENKUlT_T0_E_clISt17integral_constantIbLb0EES19_IbLb1EEEEDaS15_S16_EUlS15_E_NS1_11comp_targetILNS1_3genE3ELNS1_11target_archE908ELNS1_3gpuE7ELNS1_3repE0EEENS1_30default_config_static_selectorELNS0_4arch9wavefront6targetE1EEEvT1_,comdat
.Lfunc_end988:
	.size	_ZN7rocprim17ROCPRIM_400000_NS6detail17trampoline_kernelINS0_14default_configENS1_25partition_config_selectorILNS1_17partition_subalgoE9EllbEEZZNS1_14partition_implILS5_9ELb0ES3_jPlS8_PNS0_10empty_typeENS0_5tupleIJS8_S9_EEENSB_IJS8_SA_EEENS0_18inequality_wrapperIZN2at6native12_GLOBAL__N_124unique_dim_cuda_templateIfEESt5tupleIJNSF_6TensorESK_SK_EERKSK_lbbbEUlllE0_EEPmJS9_EEE10hipError_tPvRmT3_T4_T5_T6_T7_T9_mT8_P12ihipStream_tbDpT10_ENKUlT_T0_E_clISt17integral_constantIbLb0EES19_IbLb1EEEEDaS15_S16_EUlS15_E_NS1_11comp_targetILNS1_3genE3ELNS1_11target_archE908ELNS1_3gpuE7ELNS1_3repE0EEENS1_30default_config_static_selectorELNS0_4arch9wavefront6targetE1EEEvT1_, .Lfunc_end988-_ZN7rocprim17ROCPRIM_400000_NS6detail17trampoline_kernelINS0_14default_configENS1_25partition_config_selectorILNS1_17partition_subalgoE9EllbEEZZNS1_14partition_implILS5_9ELb0ES3_jPlS8_PNS0_10empty_typeENS0_5tupleIJS8_S9_EEENSB_IJS8_SA_EEENS0_18inequality_wrapperIZN2at6native12_GLOBAL__N_124unique_dim_cuda_templateIfEESt5tupleIJNSF_6TensorESK_SK_EERKSK_lbbbEUlllE0_EEPmJS9_EEE10hipError_tPvRmT3_T4_T5_T6_T7_T9_mT8_P12ihipStream_tbDpT10_ENKUlT_T0_E_clISt17integral_constantIbLb0EES19_IbLb1EEEEDaS15_S16_EUlS15_E_NS1_11comp_targetILNS1_3genE3ELNS1_11target_archE908ELNS1_3gpuE7ELNS1_3repE0EEENS1_30default_config_static_selectorELNS0_4arch9wavefront6targetE1EEEvT1_
                                        ; -- End function
	.section	.AMDGPU.csdata,"",@progbits
; Kernel info:
; codeLenInByte = 0
; NumSgprs: 4
; NumVgprs: 0
; NumAgprs: 0
; TotalNumVgprs: 0
; ScratchSize: 0
; MemoryBound: 0
; FloatMode: 240
; IeeeMode: 1
; LDSByteSize: 0 bytes/workgroup (compile time only)
; SGPRBlocks: 0
; VGPRBlocks: 0
; NumSGPRsForWavesPerEU: 4
; NumVGPRsForWavesPerEU: 1
; AccumOffset: 4
; Occupancy: 8
; WaveLimiterHint : 0
; COMPUTE_PGM_RSRC2:SCRATCH_EN: 0
; COMPUTE_PGM_RSRC2:USER_SGPR: 6
; COMPUTE_PGM_RSRC2:TRAP_HANDLER: 0
; COMPUTE_PGM_RSRC2:TGID_X_EN: 1
; COMPUTE_PGM_RSRC2:TGID_Y_EN: 0
; COMPUTE_PGM_RSRC2:TGID_Z_EN: 0
; COMPUTE_PGM_RSRC2:TIDIG_COMP_CNT: 0
; COMPUTE_PGM_RSRC3_GFX90A:ACCUM_OFFSET: 0
; COMPUTE_PGM_RSRC3_GFX90A:TG_SPLIT: 0
	.section	.text._ZN7rocprim17ROCPRIM_400000_NS6detail17trampoline_kernelINS0_14default_configENS1_25partition_config_selectorILNS1_17partition_subalgoE9EllbEEZZNS1_14partition_implILS5_9ELb0ES3_jPlS8_PNS0_10empty_typeENS0_5tupleIJS8_S9_EEENSB_IJS8_SA_EEENS0_18inequality_wrapperIZN2at6native12_GLOBAL__N_124unique_dim_cuda_templateIfEESt5tupleIJNSF_6TensorESK_SK_EERKSK_lbbbEUlllE0_EEPmJS9_EEE10hipError_tPvRmT3_T4_T5_T6_T7_T9_mT8_P12ihipStream_tbDpT10_ENKUlT_T0_E_clISt17integral_constantIbLb0EES19_IbLb1EEEEDaS15_S16_EUlS15_E_NS1_11comp_targetILNS1_3genE2ELNS1_11target_archE906ELNS1_3gpuE6ELNS1_3repE0EEENS1_30default_config_static_selectorELNS0_4arch9wavefront6targetE1EEEvT1_,"axG",@progbits,_ZN7rocprim17ROCPRIM_400000_NS6detail17trampoline_kernelINS0_14default_configENS1_25partition_config_selectorILNS1_17partition_subalgoE9EllbEEZZNS1_14partition_implILS5_9ELb0ES3_jPlS8_PNS0_10empty_typeENS0_5tupleIJS8_S9_EEENSB_IJS8_SA_EEENS0_18inequality_wrapperIZN2at6native12_GLOBAL__N_124unique_dim_cuda_templateIfEESt5tupleIJNSF_6TensorESK_SK_EERKSK_lbbbEUlllE0_EEPmJS9_EEE10hipError_tPvRmT3_T4_T5_T6_T7_T9_mT8_P12ihipStream_tbDpT10_ENKUlT_T0_E_clISt17integral_constantIbLb0EES19_IbLb1EEEEDaS15_S16_EUlS15_E_NS1_11comp_targetILNS1_3genE2ELNS1_11target_archE906ELNS1_3gpuE6ELNS1_3repE0EEENS1_30default_config_static_selectorELNS0_4arch9wavefront6targetE1EEEvT1_,comdat
	.globl	_ZN7rocprim17ROCPRIM_400000_NS6detail17trampoline_kernelINS0_14default_configENS1_25partition_config_selectorILNS1_17partition_subalgoE9EllbEEZZNS1_14partition_implILS5_9ELb0ES3_jPlS8_PNS0_10empty_typeENS0_5tupleIJS8_S9_EEENSB_IJS8_SA_EEENS0_18inequality_wrapperIZN2at6native12_GLOBAL__N_124unique_dim_cuda_templateIfEESt5tupleIJNSF_6TensorESK_SK_EERKSK_lbbbEUlllE0_EEPmJS9_EEE10hipError_tPvRmT3_T4_T5_T6_T7_T9_mT8_P12ihipStream_tbDpT10_ENKUlT_T0_E_clISt17integral_constantIbLb0EES19_IbLb1EEEEDaS15_S16_EUlS15_E_NS1_11comp_targetILNS1_3genE2ELNS1_11target_archE906ELNS1_3gpuE6ELNS1_3repE0EEENS1_30default_config_static_selectorELNS0_4arch9wavefront6targetE1EEEvT1_ ; -- Begin function _ZN7rocprim17ROCPRIM_400000_NS6detail17trampoline_kernelINS0_14default_configENS1_25partition_config_selectorILNS1_17partition_subalgoE9EllbEEZZNS1_14partition_implILS5_9ELb0ES3_jPlS8_PNS0_10empty_typeENS0_5tupleIJS8_S9_EEENSB_IJS8_SA_EEENS0_18inequality_wrapperIZN2at6native12_GLOBAL__N_124unique_dim_cuda_templateIfEESt5tupleIJNSF_6TensorESK_SK_EERKSK_lbbbEUlllE0_EEPmJS9_EEE10hipError_tPvRmT3_T4_T5_T6_T7_T9_mT8_P12ihipStream_tbDpT10_ENKUlT_T0_E_clISt17integral_constantIbLb0EES19_IbLb1EEEEDaS15_S16_EUlS15_E_NS1_11comp_targetILNS1_3genE2ELNS1_11target_archE906ELNS1_3gpuE6ELNS1_3repE0EEENS1_30default_config_static_selectorELNS0_4arch9wavefront6targetE1EEEvT1_
	.p2align	8
	.type	_ZN7rocprim17ROCPRIM_400000_NS6detail17trampoline_kernelINS0_14default_configENS1_25partition_config_selectorILNS1_17partition_subalgoE9EllbEEZZNS1_14partition_implILS5_9ELb0ES3_jPlS8_PNS0_10empty_typeENS0_5tupleIJS8_S9_EEENSB_IJS8_SA_EEENS0_18inequality_wrapperIZN2at6native12_GLOBAL__N_124unique_dim_cuda_templateIfEESt5tupleIJNSF_6TensorESK_SK_EERKSK_lbbbEUlllE0_EEPmJS9_EEE10hipError_tPvRmT3_T4_T5_T6_T7_T9_mT8_P12ihipStream_tbDpT10_ENKUlT_T0_E_clISt17integral_constantIbLb0EES19_IbLb1EEEEDaS15_S16_EUlS15_E_NS1_11comp_targetILNS1_3genE2ELNS1_11target_archE906ELNS1_3gpuE6ELNS1_3repE0EEENS1_30default_config_static_selectorELNS0_4arch9wavefront6targetE1EEEvT1_,@function
_ZN7rocprim17ROCPRIM_400000_NS6detail17trampoline_kernelINS0_14default_configENS1_25partition_config_selectorILNS1_17partition_subalgoE9EllbEEZZNS1_14partition_implILS5_9ELb0ES3_jPlS8_PNS0_10empty_typeENS0_5tupleIJS8_S9_EEENSB_IJS8_SA_EEENS0_18inequality_wrapperIZN2at6native12_GLOBAL__N_124unique_dim_cuda_templateIfEESt5tupleIJNSF_6TensorESK_SK_EERKSK_lbbbEUlllE0_EEPmJS9_EEE10hipError_tPvRmT3_T4_T5_T6_T7_T9_mT8_P12ihipStream_tbDpT10_ENKUlT_T0_E_clISt17integral_constantIbLb0EES19_IbLb1EEEEDaS15_S16_EUlS15_E_NS1_11comp_targetILNS1_3genE2ELNS1_11target_archE906ELNS1_3gpuE6ELNS1_3repE0EEENS1_30default_config_static_selectorELNS0_4arch9wavefront6targetE1EEEvT1_: ; @_ZN7rocprim17ROCPRIM_400000_NS6detail17trampoline_kernelINS0_14default_configENS1_25partition_config_selectorILNS1_17partition_subalgoE9EllbEEZZNS1_14partition_implILS5_9ELb0ES3_jPlS8_PNS0_10empty_typeENS0_5tupleIJS8_S9_EEENSB_IJS8_SA_EEENS0_18inequality_wrapperIZN2at6native12_GLOBAL__N_124unique_dim_cuda_templateIfEESt5tupleIJNSF_6TensorESK_SK_EERKSK_lbbbEUlllE0_EEPmJS9_EEE10hipError_tPvRmT3_T4_T5_T6_T7_T9_mT8_P12ihipStream_tbDpT10_ENKUlT_T0_E_clISt17integral_constantIbLb0EES19_IbLb1EEEEDaS15_S16_EUlS15_E_NS1_11comp_targetILNS1_3genE2ELNS1_11target_archE906ELNS1_3gpuE6ELNS1_3repE0EEENS1_30default_config_static_selectorELNS0_4arch9wavefront6targetE1EEEvT1_
; %bb.0:
	.section	.rodata,"a",@progbits
	.p2align	6, 0x0
	.amdhsa_kernel _ZN7rocprim17ROCPRIM_400000_NS6detail17trampoline_kernelINS0_14default_configENS1_25partition_config_selectorILNS1_17partition_subalgoE9EllbEEZZNS1_14partition_implILS5_9ELb0ES3_jPlS8_PNS0_10empty_typeENS0_5tupleIJS8_S9_EEENSB_IJS8_SA_EEENS0_18inequality_wrapperIZN2at6native12_GLOBAL__N_124unique_dim_cuda_templateIfEESt5tupleIJNSF_6TensorESK_SK_EERKSK_lbbbEUlllE0_EEPmJS9_EEE10hipError_tPvRmT3_T4_T5_T6_T7_T9_mT8_P12ihipStream_tbDpT10_ENKUlT_T0_E_clISt17integral_constantIbLb0EES19_IbLb1EEEEDaS15_S16_EUlS15_E_NS1_11comp_targetILNS1_3genE2ELNS1_11target_archE906ELNS1_3gpuE6ELNS1_3repE0EEENS1_30default_config_static_selectorELNS0_4arch9wavefront6targetE1EEEvT1_
		.amdhsa_group_segment_fixed_size 0
		.amdhsa_private_segment_fixed_size 0
		.amdhsa_kernarg_size 136
		.amdhsa_user_sgpr_count 6
		.amdhsa_user_sgpr_private_segment_buffer 1
		.amdhsa_user_sgpr_dispatch_ptr 0
		.amdhsa_user_sgpr_queue_ptr 0
		.amdhsa_user_sgpr_kernarg_segment_ptr 1
		.amdhsa_user_sgpr_dispatch_id 0
		.amdhsa_user_sgpr_flat_scratch_init 0
		.amdhsa_user_sgpr_kernarg_preload_length 0
		.amdhsa_user_sgpr_kernarg_preload_offset 0
		.amdhsa_user_sgpr_private_segment_size 0
		.amdhsa_uses_dynamic_stack 0
		.amdhsa_system_sgpr_private_segment_wavefront_offset 0
		.amdhsa_system_sgpr_workgroup_id_x 1
		.amdhsa_system_sgpr_workgroup_id_y 0
		.amdhsa_system_sgpr_workgroup_id_z 0
		.amdhsa_system_sgpr_workgroup_info 0
		.amdhsa_system_vgpr_workitem_id 0
		.amdhsa_next_free_vgpr 1
		.amdhsa_next_free_sgpr 0
		.amdhsa_accum_offset 4
		.amdhsa_reserve_vcc 0
		.amdhsa_reserve_flat_scratch 0
		.amdhsa_float_round_mode_32 0
		.amdhsa_float_round_mode_16_64 0
		.amdhsa_float_denorm_mode_32 3
		.amdhsa_float_denorm_mode_16_64 3
		.amdhsa_dx10_clamp 1
		.amdhsa_ieee_mode 1
		.amdhsa_fp16_overflow 0
		.amdhsa_tg_split 0
		.amdhsa_exception_fp_ieee_invalid_op 0
		.amdhsa_exception_fp_denorm_src 0
		.amdhsa_exception_fp_ieee_div_zero 0
		.amdhsa_exception_fp_ieee_overflow 0
		.amdhsa_exception_fp_ieee_underflow 0
		.amdhsa_exception_fp_ieee_inexact 0
		.amdhsa_exception_int_div_zero 0
	.end_amdhsa_kernel
	.section	.text._ZN7rocprim17ROCPRIM_400000_NS6detail17trampoline_kernelINS0_14default_configENS1_25partition_config_selectorILNS1_17partition_subalgoE9EllbEEZZNS1_14partition_implILS5_9ELb0ES3_jPlS8_PNS0_10empty_typeENS0_5tupleIJS8_S9_EEENSB_IJS8_SA_EEENS0_18inequality_wrapperIZN2at6native12_GLOBAL__N_124unique_dim_cuda_templateIfEESt5tupleIJNSF_6TensorESK_SK_EERKSK_lbbbEUlllE0_EEPmJS9_EEE10hipError_tPvRmT3_T4_T5_T6_T7_T9_mT8_P12ihipStream_tbDpT10_ENKUlT_T0_E_clISt17integral_constantIbLb0EES19_IbLb1EEEEDaS15_S16_EUlS15_E_NS1_11comp_targetILNS1_3genE2ELNS1_11target_archE906ELNS1_3gpuE6ELNS1_3repE0EEENS1_30default_config_static_selectorELNS0_4arch9wavefront6targetE1EEEvT1_,"axG",@progbits,_ZN7rocprim17ROCPRIM_400000_NS6detail17trampoline_kernelINS0_14default_configENS1_25partition_config_selectorILNS1_17partition_subalgoE9EllbEEZZNS1_14partition_implILS5_9ELb0ES3_jPlS8_PNS0_10empty_typeENS0_5tupleIJS8_S9_EEENSB_IJS8_SA_EEENS0_18inequality_wrapperIZN2at6native12_GLOBAL__N_124unique_dim_cuda_templateIfEESt5tupleIJNSF_6TensorESK_SK_EERKSK_lbbbEUlllE0_EEPmJS9_EEE10hipError_tPvRmT3_T4_T5_T6_T7_T9_mT8_P12ihipStream_tbDpT10_ENKUlT_T0_E_clISt17integral_constantIbLb0EES19_IbLb1EEEEDaS15_S16_EUlS15_E_NS1_11comp_targetILNS1_3genE2ELNS1_11target_archE906ELNS1_3gpuE6ELNS1_3repE0EEENS1_30default_config_static_selectorELNS0_4arch9wavefront6targetE1EEEvT1_,comdat
.Lfunc_end989:
	.size	_ZN7rocprim17ROCPRIM_400000_NS6detail17trampoline_kernelINS0_14default_configENS1_25partition_config_selectorILNS1_17partition_subalgoE9EllbEEZZNS1_14partition_implILS5_9ELb0ES3_jPlS8_PNS0_10empty_typeENS0_5tupleIJS8_S9_EEENSB_IJS8_SA_EEENS0_18inequality_wrapperIZN2at6native12_GLOBAL__N_124unique_dim_cuda_templateIfEESt5tupleIJNSF_6TensorESK_SK_EERKSK_lbbbEUlllE0_EEPmJS9_EEE10hipError_tPvRmT3_T4_T5_T6_T7_T9_mT8_P12ihipStream_tbDpT10_ENKUlT_T0_E_clISt17integral_constantIbLb0EES19_IbLb1EEEEDaS15_S16_EUlS15_E_NS1_11comp_targetILNS1_3genE2ELNS1_11target_archE906ELNS1_3gpuE6ELNS1_3repE0EEENS1_30default_config_static_selectorELNS0_4arch9wavefront6targetE1EEEvT1_, .Lfunc_end989-_ZN7rocprim17ROCPRIM_400000_NS6detail17trampoline_kernelINS0_14default_configENS1_25partition_config_selectorILNS1_17partition_subalgoE9EllbEEZZNS1_14partition_implILS5_9ELb0ES3_jPlS8_PNS0_10empty_typeENS0_5tupleIJS8_S9_EEENSB_IJS8_SA_EEENS0_18inequality_wrapperIZN2at6native12_GLOBAL__N_124unique_dim_cuda_templateIfEESt5tupleIJNSF_6TensorESK_SK_EERKSK_lbbbEUlllE0_EEPmJS9_EEE10hipError_tPvRmT3_T4_T5_T6_T7_T9_mT8_P12ihipStream_tbDpT10_ENKUlT_T0_E_clISt17integral_constantIbLb0EES19_IbLb1EEEEDaS15_S16_EUlS15_E_NS1_11comp_targetILNS1_3genE2ELNS1_11target_archE906ELNS1_3gpuE6ELNS1_3repE0EEENS1_30default_config_static_selectorELNS0_4arch9wavefront6targetE1EEEvT1_
                                        ; -- End function
	.section	.AMDGPU.csdata,"",@progbits
; Kernel info:
; codeLenInByte = 0
; NumSgprs: 4
; NumVgprs: 0
; NumAgprs: 0
; TotalNumVgprs: 0
; ScratchSize: 0
; MemoryBound: 0
; FloatMode: 240
; IeeeMode: 1
; LDSByteSize: 0 bytes/workgroup (compile time only)
; SGPRBlocks: 0
; VGPRBlocks: 0
; NumSGPRsForWavesPerEU: 4
; NumVGPRsForWavesPerEU: 1
; AccumOffset: 4
; Occupancy: 8
; WaveLimiterHint : 0
; COMPUTE_PGM_RSRC2:SCRATCH_EN: 0
; COMPUTE_PGM_RSRC2:USER_SGPR: 6
; COMPUTE_PGM_RSRC2:TRAP_HANDLER: 0
; COMPUTE_PGM_RSRC2:TGID_X_EN: 1
; COMPUTE_PGM_RSRC2:TGID_Y_EN: 0
; COMPUTE_PGM_RSRC2:TGID_Z_EN: 0
; COMPUTE_PGM_RSRC2:TIDIG_COMP_CNT: 0
; COMPUTE_PGM_RSRC3_GFX90A:ACCUM_OFFSET: 0
; COMPUTE_PGM_RSRC3_GFX90A:TG_SPLIT: 0
	.section	.text._ZN7rocprim17ROCPRIM_400000_NS6detail17trampoline_kernelINS0_14default_configENS1_25partition_config_selectorILNS1_17partition_subalgoE9EllbEEZZNS1_14partition_implILS5_9ELb0ES3_jPlS8_PNS0_10empty_typeENS0_5tupleIJS8_S9_EEENSB_IJS8_SA_EEENS0_18inequality_wrapperIZN2at6native12_GLOBAL__N_124unique_dim_cuda_templateIfEESt5tupleIJNSF_6TensorESK_SK_EERKSK_lbbbEUlllE0_EEPmJS9_EEE10hipError_tPvRmT3_T4_T5_T6_T7_T9_mT8_P12ihipStream_tbDpT10_ENKUlT_T0_E_clISt17integral_constantIbLb0EES19_IbLb1EEEEDaS15_S16_EUlS15_E_NS1_11comp_targetILNS1_3genE10ELNS1_11target_archE1200ELNS1_3gpuE4ELNS1_3repE0EEENS1_30default_config_static_selectorELNS0_4arch9wavefront6targetE1EEEvT1_,"axG",@progbits,_ZN7rocprim17ROCPRIM_400000_NS6detail17trampoline_kernelINS0_14default_configENS1_25partition_config_selectorILNS1_17partition_subalgoE9EllbEEZZNS1_14partition_implILS5_9ELb0ES3_jPlS8_PNS0_10empty_typeENS0_5tupleIJS8_S9_EEENSB_IJS8_SA_EEENS0_18inequality_wrapperIZN2at6native12_GLOBAL__N_124unique_dim_cuda_templateIfEESt5tupleIJNSF_6TensorESK_SK_EERKSK_lbbbEUlllE0_EEPmJS9_EEE10hipError_tPvRmT3_T4_T5_T6_T7_T9_mT8_P12ihipStream_tbDpT10_ENKUlT_T0_E_clISt17integral_constantIbLb0EES19_IbLb1EEEEDaS15_S16_EUlS15_E_NS1_11comp_targetILNS1_3genE10ELNS1_11target_archE1200ELNS1_3gpuE4ELNS1_3repE0EEENS1_30default_config_static_selectorELNS0_4arch9wavefront6targetE1EEEvT1_,comdat
	.globl	_ZN7rocprim17ROCPRIM_400000_NS6detail17trampoline_kernelINS0_14default_configENS1_25partition_config_selectorILNS1_17partition_subalgoE9EllbEEZZNS1_14partition_implILS5_9ELb0ES3_jPlS8_PNS0_10empty_typeENS0_5tupleIJS8_S9_EEENSB_IJS8_SA_EEENS0_18inequality_wrapperIZN2at6native12_GLOBAL__N_124unique_dim_cuda_templateIfEESt5tupleIJNSF_6TensorESK_SK_EERKSK_lbbbEUlllE0_EEPmJS9_EEE10hipError_tPvRmT3_T4_T5_T6_T7_T9_mT8_P12ihipStream_tbDpT10_ENKUlT_T0_E_clISt17integral_constantIbLb0EES19_IbLb1EEEEDaS15_S16_EUlS15_E_NS1_11comp_targetILNS1_3genE10ELNS1_11target_archE1200ELNS1_3gpuE4ELNS1_3repE0EEENS1_30default_config_static_selectorELNS0_4arch9wavefront6targetE1EEEvT1_ ; -- Begin function _ZN7rocprim17ROCPRIM_400000_NS6detail17trampoline_kernelINS0_14default_configENS1_25partition_config_selectorILNS1_17partition_subalgoE9EllbEEZZNS1_14partition_implILS5_9ELb0ES3_jPlS8_PNS0_10empty_typeENS0_5tupleIJS8_S9_EEENSB_IJS8_SA_EEENS0_18inequality_wrapperIZN2at6native12_GLOBAL__N_124unique_dim_cuda_templateIfEESt5tupleIJNSF_6TensorESK_SK_EERKSK_lbbbEUlllE0_EEPmJS9_EEE10hipError_tPvRmT3_T4_T5_T6_T7_T9_mT8_P12ihipStream_tbDpT10_ENKUlT_T0_E_clISt17integral_constantIbLb0EES19_IbLb1EEEEDaS15_S16_EUlS15_E_NS1_11comp_targetILNS1_3genE10ELNS1_11target_archE1200ELNS1_3gpuE4ELNS1_3repE0EEENS1_30default_config_static_selectorELNS0_4arch9wavefront6targetE1EEEvT1_
	.p2align	8
	.type	_ZN7rocprim17ROCPRIM_400000_NS6detail17trampoline_kernelINS0_14default_configENS1_25partition_config_selectorILNS1_17partition_subalgoE9EllbEEZZNS1_14partition_implILS5_9ELb0ES3_jPlS8_PNS0_10empty_typeENS0_5tupleIJS8_S9_EEENSB_IJS8_SA_EEENS0_18inequality_wrapperIZN2at6native12_GLOBAL__N_124unique_dim_cuda_templateIfEESt5tupleIJNSF_6TensorESK_SK_EERKSK_lbbbEUlllE0_EEPmJS9_EEE10hipError_tPvRmT3_T4_T5_T6_T7_T9_mT8_P12ihipStream_tbDpT10_ENKUlT_T0_E_clISt17integral_constantIbLb0EES19_IbLb1EEEEDaS15_S16_EUlS15_E_NS1_11comp_targetILNS1_3genE10ELNS1_11target_archE1200ELNS1_3gpuE4ELNS1_3repE0EEENS1_30default_config_static_selectorELNS0_4arch9wavefront6targetE1EEEvT1_,@function
_ZN7rocprim17ROCPRIM_400000_NS6detail17trampoline_kernelINS0_14default_configENS1_25partition_config_selectorILNS1_17partition_subalgoE9EllbEEZZNS1_14partition_implILS5_9ELb0ES3_jPlS8_PNS0_10empty_typeENS0_5tupleIJS8_S9_EEENSB_IJS8_SA_EEENS0_18inequality_wrapperIZN2at6native12_GLOBAL__N_124unique_dim_cuda_templateIfEESt5tupleIJNSF_6TensorESK_SK_EERKSK_lbbbEUlllE0_EEPmJS9_EEE10hipError_tPvRmT3_T4_T5_T6_T7_T9_mT8_P12ihipStream_tbDpT10_ENKUlT_T0_E_clISt17integral_constantIbLb0EES19_IbLb1EEEEDaS15_S16_EUlS15_E_NS1_11comp_targetILNS1_3genE10ELNS1_11target_archE1200ELNS1_3gpuE4ELNS1_3repE0EEENS1_30default_config_static_selectorELNS0_4arch9wavefront6targetE1EEEvT1_: ; @_ZN7rocprim17ROCPRIM_400000_NS6detail17trampoline_kernelINS0_14default_configENS1_25partition_config_selectorILNS1_17partition_subalgoE9EllbEEZZNS1_14partition_implILS5_9ELb0ES3_jPlS8_PNS0_10empty_typeENS0_5tupleIJS8_S9_EEENSB_IJS8_SA_EEENS0_18inequality_wrapperIZN2at6native12_GLOBAL__N_124unique_dim_cuda_templateIfEESt5tupleIJNSF_6TensorESK_SK_EERKSK_lbbbEUlllE0_EEPmJS9_EEE10hipError_tPvRmT3_T4_T5_T6_T7_T9_mT8_P12ihipStream_tbDpT10_ENKUlT_T0_E_clISt17integral_constantIbLb0EES19_IbLb1EEEEDaS15_S16_EUlS15_E_NS1_11comp_targetILNS1_3genE10ELNS1_11target_archE1200ELNS1_3gpuE4ELNS1_3repE0EEENS1_30default_config_static_selectorELNS0_4arch9wavefront6targetE1EEEvT1_
; %bb.0:
	.section	.rodata,"a",@progbits
	.p2align	6, 0x0
	.amdhsa_kernel _ZN7rocprim17ROCPRIM_400000_NS6detail17trampoline_kernelINS0_14default_configENS1_25partition_config_selectorILNS1_17partition_subalgoE9EllbEEZZNS1_14partition_implILS5_9ELb0ES3_jPlS8_PNS0_10empty_typeENS0_5tupleIJS8_S9_EEENSB_IJS8_SA_EEENS0_18inequality_wrapperIZN2at6native12_GLOBAL__N_124unique_dim_cuda_templateIfEESt5tupleIJNSF_6TensorESK_SK_EERKSK_lbbbEUlllE0_EEPmJS9_EEE10hipError_tPvRmT3_T4_T5_T6_T7_T9_mT8_P12ihipStream_tbDpT10_ENKUlT_T0_E_clISt17integral_constantIbLb0EES19_IbLb1EEEEDaS15_S16_EUlS15_E_NS1_11comp_targetILNS1_3genE10ELNS1_11target_archE1200ELNS1_3gpuE4ELNS1_3repE0EEENS1_30default_config_static_selectorELNS0_4arch9wavefront6targetE1EEEvT1_
		.amdhsa_group_segment_fixed_size 0
		.amdhsa_private_segment_fixed_size 0
		.amdhsa_kernarg_size 136
		.amdhsa_user_sgpr_count 6
		.amdhsa_user_sgpr_private_segment_buffer 1
		.amdhsa_user_sgpr_dispatch_ptr 0
		.amdhsa_user_sgpr_queue_ptr 0
		.amdhsa_user_sgpr_kernarg_segment_ptr 1
		.amdhsa_user_sgpr_dispatch_id 0
		.amdhsa_user_sgpr_flat_scratch_init 0
		.amdhsa_user_sgpr_kernarg_preload_length 0
		.amdhsa_user_sgpr_kernarg_preload_offset 0
		.amdhsa_user_sgpr_private_segment_size 0
		.amdhsa_uses_dynamic_stack 0
		.amdhsa_system_sgpr_private_segment_wavefront_offset 0
		.amdhsa_system_sgpr_workgroup_id_x 1
		.amdhsa_system_sgpr_workgroup_id_y 0
		.amdhsa_system_sgpr_workgroup_id_z 0
		.amdhsa_system_sgpr_workgroup_info 0
		.amdhsa_system_vgpr_workitem_id 0
		.amdhsa_next_free_vgpr 1
		.amdhsa_next_free_sgpr 0
		.amdhsa_accum_offset 4
		.amdhsa_reserve_vcc 0
		.amdhsa_reserve_flat_scratch 0
		.amdhsa_float_round_mode_32 0
		.amdhsa_float_round_mode_16_64 0
		.amdhsa_float_denorm_mode_32 3
		.amdhsa_float_denorm_mode_16_64 3
		.amdhsa_dx10_clamp 1
		.amdhsa_ieee_mode 1
		.amdhsa_fp16_overflow 0
		.amdhsa_tg_split 0
		.amdhsa_exception_fp_ieee_invalid_op 0
		.amdhsa_exception_fp_denorm_src 0
		.amdhsa_exception_fp_ieee_div_zero 0
		.amdhsa_exception_fp_ieee_overflow 0
		.amdhsa_exception_fp_ieee_underflow 0
		.amdhsa_exception_fp_ieee_inexact 0
		.amdhsa_exception_int_div_zero 0
	.end_amdhsa_kernel
	.section	.text._ZN7rocprim17ROCPRIM_400000_NS6detail17trampoline_kernelINS0_14default_configENS1_25partition_config_selectorILNS1_17partition_subalgoE9EllbEEZZNS1_14partition_implILS5_9ELb0ES3_jPlS8_PNS0_10empty_typeENS0_5tupleIJS8_S9_EEENSB_IJS8_SA_EEENS0_18inequality_wrapperIZN2at6native12_GLOBAL__N_124unique_dim_cuda_templateIfEESt5tupleIJNSF_6TensorESK_SK_EERKSK_lbbbEUlllE0_EEPmJS9_EEE10hipError_tPvRmT3_T4_T5_T6_T7_T9_mT8_P12ihipStream_tbDpT10_ENKUlT_T0_E_clISt17integral_constantIbLb0EES19_IbLb1EEEEDaS15_S16_EUlS15_E_NS1_11comp_targetILNS1_3genE10ELNS1_11target_archE1200ELNS1_3gpuE4ELNS1_3repE0EEENS1_30default_config_static_selectorELNS0_4arch9wavefront6targetE1EEEvT1_,"axG",@progbits,_ZN7rocprim17ROCPRIM_400000_NS6detail17trampoline_kernelINS0_14default_configENS1_25partition_config_selectorILNS1_17partition_subalgoE9EllbEEZZNS1_14partition_implILS5_9ELb0ES3_jPlS8_PNS0_10empty_typeENS0_5tupleIJS8_S9_EEENSB_IJS8_SA_EEENS0_18inequality_wrapperIZN2at6native12_GLOBAL__N_124unique_dim_cuda_templateIfEESt5tupleIJNSF_6TensorESK_SK_EERKSK_lbbbEUlllE0_EEPmJS9_EEE10hipError_tPvRmT3_T4_T5_T6_T7_T9_mT8_P12ihipStream_tbDpT10_ENKUlT_T0_E_clISt17integral_constantIbLb0EES19_IbLb1EEEEDaS15_S16_EUlS15_E_NS1_11comp_targetILNS1_3genE10ELNS1_11target_archE1200ELNS1_3gpuE4ELNS1_3repE0EEENS1_30default_config_static_selectorELNS0_4arch9wavefront6targetE1EEEvT1_,comdat
.Lfunc_end990:
	.size	_ZN7rocprim17ROCPRIM_400000_NS6detail17trampoline_kernelINS0_14default_configENS1_25partition_config_selectorILNS1_17partition_subalgoE9EllbEEZZNS1_14partition_implILS5_9ELb0ES3_jPlS8_PNS0_10empty_typeENS0_5tupleIJS8_S9_EEENSB_IJS8_SA_EEENS0_18inequality_wrapperIZN2at6native12_GLOBAL__N_124unique_dim_cuda_templateIfEESt5tupleIJNSF_6TensorESK_SK_EERKSK_lbbbEUlllE0_EEPmJS9_EEE10hipError_tPvRmT3_T4_T5_T6_T7_T9_mT8_P12ihipStream_tbDpT10_ENKUlT_T0_E_clISt17integral_constantIbLb0EES19_IbLb1EEEEDaS15_S16_EUlS15_E_NS1_11comp_targetILNS1_3genE10ELNS1_11target_archE1200ELNS1_3gpuE4ELNS1_3repE0EEENS1_30default_config_static_selectorELNS0_4arch9wavefront6targetE1EEEvT1_, .Lfunc_end990-_ZN7rocprim17ROCPRIM_400000_NS6detail17trampoline_kernelINS0_14default_configENS1_25partition_config_selectorILNS1_17partition_subalgoE9EllbEEZZNS1_14partition_implILS5_9ELb0ES3_jPlS8_PNS0_10empty_typeENS0_5tupleIJS8_S9_EEENSB_IJS8_SA_EEENS0_18inequality_wrapperIZN2at6native12_GLOBAL__N_124unique_dim_cuda_templateIfEESt5tupleIJNSF_6TensorESK_SK_EERKSK_lbbbEUlllE0_EEPmJS9_EEE10hipError_tPvRmT3_T4_T5_T6_T7_T9_mT8_P12ihipStream_tbDpT10_ENKUlT_T0_E_clISt17integral_constantIbLb0EES19_IbLb1EEEEDaS15_S16_EUlS15_E_NS1_11comp_targetILNS1_3genE10ELNS1_11target_archE1200ELNS1_3gpuE4ELNS1_3repE0EEENS1_30default_config_static_selectorELNS0_4arch9wavefront6targetE1EEEvT1_
                                        ; -- End function
	.section	.AMDGPU.csdata,"",@progbits
; Kernel info:
; codeLenInByte = 0
; NumSgprs: 4
; NumVgprs: 0
; NumAgprs: 0
; TotalNumVgprs: 0
; ScratchSize: 0
; MemoryBound: 0
; FloatMode: 240
; IeeeMode: 1
; LDSByteSize: 0 bytes/workgroup (compile time only)
; SGPRBlocks: 0
; VGPRBlocks: 0
; NumSGPRsForWavesPerEU: 4
; NumVGPRsForWavesPerEU: 1
; AccumOffset: 4
; Occupancy: 8
; WaveLimiterHint : 0
; COMPUTE_PGM_RSRC2:SCRATCH_EN: 0
; COMPUTE_PGM_RSRC2:USER_SGPR: 6
; COMPUTE_PGM_RSRC2:TRAP_HANDLER: 0
; COMPUTE_PGM_RSRC2:TGID_X_EN: 1
; COMPUTE_PGM_RSRC2:TGID_Y_EN: 0
; COMPUTE_PGM_RSRC2:TGID_Z_EN: 0
; COMPUTE_PGM_RSRC2:TIDIG_COMP_CNT: 0
; COMPUTE_PGM_RSRC3_GFX90A:ACCUM_OFFSET: 0
; COMPUTE_PGM_RSRC3_GFX90A:TG_SPLIT: 0
	.section	.text._ZN7rocprim17ROCPRIM_400000_NS6detail17trampoline_kernelINS0_14default_configENS1_25partition_config_selectorILNS1_17partition_subalgoE9EllbEEZZNS1_14partition_implILS5_9ELb0ES3_jPlS8_PNS0_10empty_typeENS0_5tupleIJS8_S9_EEENSB_IJS8_SA_EEENS0_18inequality_wrapperIZN2at6native12_GLOBAL__N_124unique_dim_cuda_templateIfEESt5tupleIJNSF_6TensorESK_SK_EERKSK_lbbbEUlllE0_EEPmJS9_EEE10hipError_tPvRmT3_T4_T5_T6_T7_T9_mT8_P12ihipStream_tbDpT10_ENKUlT_T0_E_clISt17integral_constantIbLb0EES19_IbLb1EEEEDaS15_S16_EUlS15_E_NS1_11comp_targetILNS1_3genE9ELNS1_11target_archE1100ELNS1_3gpuE3ELNS1_3repE0EEENS1_30default_config_static_selectorELNS0_4arch9wavefront6targetE1EEEvT1_,"axG",@progbits,_ZN7rocprim17ROCPRIM_400000_NS6detail17trampoline_kernelINS0_14default_configENS1_25partition_config_selectorILNS1_17partition_subalgoE9EllbEEZZNS1_14partition_implILS5_9ELb0ES3_jPlS8_PNS0_10empty_typeENS0_5tupleIJS8_S9_EEENSB_IJS8_SA_EEENS0_18inequality_wrapperIZN2at6native12_GLOBAL__N_124unique_dim_cuda_templateIfEESt5tupleIJNSF_6TensorESK_SK_EERKSK_lbbbEUlllE0_EEPmJS9_EEE10hipError_tPvRmT3_T4_T5_T6_T7_T9_mT8_P12ihipStream_tbDpT10_ENKUlT_T0_E_clISt17integral_constantIbLb0EES19_IbLb1EEEEDaS15_S16_EUlS15_E_NS1_11comp_targetILNS1_3genE9ELNS1_11target_archE1100ELNS1_3gpuE3ELNS1_3repE0EEENS1_30default_config_static_selectorELNS0_4arch9wavefront6targetE1EEEvT1_,comdat
	.globl	_ZN7rocprim17ROCPRIM_400000_NS6detail17trampoline_kernelINS0_14default_configENS1_25partition_config_selectorILNS1_17partition_subalgoE9EllbEEZZNS1_14partition_implILS5_9ELb0ES3_jPlS8_PNS0_10empty_typeENS0_5tupleIJS8_S9_EEENSB_IJS8_SA_EEENS0_18inequality_wrapperIZN2at6native12_GLOBAL__N_124unique_dim_cuda_templateIfEESt5tupleIJNSF_6TensorESK_SK_EERKSK_lbbbEUlllE0_EEPmJS9_EEE10hipError_tPvRmT3_T4_T5_T6_T7_T9_mT8_P12ihipStream_tbDpT10_ENKUlT_T0_E_clISt17integral_constantIbLb0EES19_IbLb1EEEEDaS15_S16_EUlS15_E_NS1_11comp_targetILNS1_3genE9ELNS1_11target_archE1100ELNS1_3gpuE3ELNS1_3repE0EEENS1_30default_config_static_selectorELNS0_4arch9wavefront6targetE1EEEvT1_ ; -- Begin function _ZN7rocprim17ROCPRIM_400000_NS6detail17trampoline_kernelINS0_14default_configENS1_25partition_config_selectorILNS1_17partition_subalgoE9EllbEEZZNS1_14partition_implILS5_9ELb0ES3_jPlS8_PNS0_10empty_typeENS0_5tupleIJS8_S9_EEENSB_IJS8_SA_EEENS0_18inequality_wrapperIZN2at6native12_GLOBAL__N_124unique_dim_cuda_templateIfEESt5tupleIJNSF_6TensorESK_SK_EERKSK_lbbbEUlllE0_EEPmJS9_EEE10hipError_tPvRmT3_T4_T5_T6_T7_T9_mT8_P12ihipStream_tbDpT10_ENKUlT_T0_E_clISt17integral_constantIbLb0EES19_IbLb1EEEEDaS15_S16_EUlS15_E_NS1_11comp_targetILNS1_3genE9ELNS1_11target_archE1100ELNS1_3gpuE3ELNS1_3repE0EEENS1_30default_config_static_selectorELNS0_4arch9wavefront6targetE1EEEvT1_
	.p2align	8
	.type	_ZN7rocprim17ROCPRIM_400000_NS6detail17trampoline_kernelINS0_14default_configENS1_25partition_config_selectorILNS1_17partition_subalgoE9EllbEEZZNS1_14partition_implILS5_9ELb0ES3_jPlS8_PNS0_10empty_typeENS0_5tupleIJS8_S9_EEENSB_IJS8_SA_EEENS0_18inequality_wrapperIZN2at6native12_GLOBAL__N_124unique_dim_cuda_templateIfEESt5tupleIJNSF_6TensorESK_SK_EERKSK_lbbbEUlllE0_EEPmJS9_EEE10hipError_tPvRmT3_T4_T5_T6_T7_T9_mT8_P12ihipStream_tbDpT10_ENKUlT_T0_E_clISt17integral_constantIbLb0EES19_IbLb1EEEEDaS15_S16_EUlS15_E_NS1_11comp_targetILNS1_3genE9ELNS1_11target_archE1100ELNS1_3gpuE3ELNS1_3repE0EEENS1_30default_config_static_selectorELNS0_4arch9wavefront6targetE1EEEvT1_,@function
_ZN7rocprim17ROCPRIM_400000_NS6detail17trampoline_kernelINS0_14default_configENS1_25partition_config_selectorILNS1_17partition_subalgoE9EllbEEZZNS1_14partition_implILS5_9ELb0ES3_jPlS8_PNS0_10empty_typeENS0_5tupleIJS8_S9_EEENSB_IJS8_SA_EEENS0_18inequality_wrapperIZN2at6native12_GLOBAL__N_124unique_dim_cuda_templateIfEESt5tupleIJNSF_6TensorESK_SK_EERKSK_lbbbEUlllE0_EEPmJS9_EEE10hipError_tPvRmT3_T4_T5_T6_T7_T9_mT8_P12ihipStream_tbDpT10_ENKUlT_T0_E_clISt17integral_constantIbLb0EES19_IbLb1EEEEDaS15_S16_EUlS15_E_NS1_11comp_targetILNS1_3genE9ELNS1_11target_archE1100ELNS1_3gpuE3ELNS1_3repE0EEENS1_30default_config_static_selectorELNS0_4arch9wavefront6targetE1EEEvT1_: ; @_ZN7rocprim17ROCPRIM_400000_NS6detail17trampoline_kernelINS0_14default_configENS1_25partition_config_selectorILNS1_17partition_subalgoE9EllbEEZZNS1_14partition_implILS5_9ELb0ES3_jPlS8_PNS0_10empty_typeENS0_5tupleIJS8_S9_EEENSB_IJS8_SA_EEENS0_18inequality_wrapperIZN2at6native12_GLOBAL__N_124unique_dim_cuda_templateIfEESt5tupleIJNSF_6TensorESK_SK_EERKSK_lbbbEUlllE0_EEPmJS9_EEE10hipError_tPvRmT3_T4_T5_T6_T7_T9_mT8_P12ihipStream_tbDpT10_ENKUlT_T0_E_clISt17integral_constantIbLb0EES19_IbLb1EEEEDaS15_S16_EUlS15_E_NS1_11comp_targetILNS1_3genE9ELNS1_11target_archE1100ELNS1_3gpuE3ELNS1_3repE0EEENS1_30default_config_static_selectorELNS0_4arch9wavefront6targetE1EEEvT1_
; %bb.0:
	.section	.rodata,"a",@progbits
	.p2align	6, 0x0
	.amdhsa_kernel _ZN7rocprim17ROCPRIM_400000_NS6detail17trampoline_kernelINS0_14default_configENS1_25partition_config_selectorILNS1_17partition_subalgoE9EllbEEZZNS1_14partition_implILS5_9ELb0ES3_jPlS8_PNS0_10empty_typeENS0_5tupleIJS8_S9_EEENSB_IJS8_SA_EEENS0_18inequality_wrapperIZN2at6native12_GLOBAL__N_124unique_dim_cuda_templateIfEESt5tupleIJNSF_6TensorESK_SK_EERKSK_lbbbEUlllE0_EEPmJS9_EEE10hipError_tPvRmT3_T4_T5_T6_T7_T9_mT8_P12ihipStream_tbDpT10_ENKUlT_T0_E_clISt17integral_constantIbLb0EES19_IbLb1EEEEDaS15_S16_EUlS15_E_NS1_11comp_targetILNS1_3genE9ELNS1_11target_archE1100ELNS1_3gpuE3ELNS1_3repE0EEENS1_30default_config_static_selectorELNS0_4arch9wavefront6targetE1EEEvT1_
		.amdhsa_group_segment_fixed_size 0
		.amdhsa_private_segment_fixed_size 0
		.amdhsa_kernarg_size 136
		.amdhsa_user_sgpr_count 6
		.amdhsa_user_sgpr_private_segment_buffer 1
		.amdhsa_user_sgpr_dispatch_ptr 0
		.amdhsa_user_sgpr_queue_ptr 0
		.amdhsa_user_sgpr_kernarg_segment_ptr 1
		.amdhsa_user_sgpr_dispatch_id 0
		.amdhsa_user_sgpr_flat_scratch_init 0
		.amdhsa_user_sgpr_kernarg_preload_length 0
		.amdhsa_user_sgpr_kernarg_preload_offset 0
		.amdhsa_user_sgpr_private_segment_size 0
		.amdhsa_uses_dynamic_stack 0
		.amdhsa_system_sgpr_private_segment_wavefront_offset 0
		.amdhsa_system_sgpr_workgroup_id_x 1
		.amdhsa_system_sgpr_workgroup_id_y 0
		.amdhsa_system_sgpr_workgroup_id_z 0
		.amdhsa_system_sgpr_workgroup_info 0
		.amdhsa_system_vgpr_workitem_id 0
		.amdhsa_next_free_vgpr 1
		.amdhsa_next_free_sgpr 0
		.amdhsa_accum_offset 4
		.amdhsa_reserve_vcc 0
		.amdhsa_reserve_flat_scratch 0
		.amdhsa_float_round_mode_32 0
		.amdhsa_float_round_mode_16_64 0
		.amdhsa_float_denorm_mode_32 3
		.amdhsa_float_denorm_mode_16_64 3
		.amdhsa_dx10_clamp 1
		.amdhsa_ieee_mode 1
		.amdhsa_fp16_overflow 0
		.amdhsa_tg_split 0
		.amdhsa_exception_fp_ieee_invalid_op 0
		.amdhsa_exception_fp_denorm_src 0
		.amdhsa_exception_fp_ieee_div_zero 0
		.amdhsa_exception_fp_ieee_overflow 0
		.amdhsa_exception_fp_ieee_underflow 0
		.amdhsa_exception_fp_ieee_inexact 0
		.amdhsa_exception_int_div_zero 0
	.end_amdhsa_kernel
	.section	.text._ZN7rocprim17ROCPRIM_400000_NS6detail17trampoline_kernelINS0_14default_configENS1_25partition_config_selectorILNS1_17partition_subalgoE9EllbEEZZNS1_14partition_implILS5_9ELb0ES3_jPlS8_PNS0_10empty_typeENS0_5tupleIJS8_S9_EEENSB_IJS8_SA_EEENS0_18inequality_wrapperIZN2at6native12_GLOBAL__N_124unique_dim_cuda_templateIfEESt5tupleIJNSF_6TensorESK_SK_EERKSK_lbbbEUlllE0_EEPmJS9_EEE10hipError_tPvRmT3_T4_T5_T6_T7_T9_mT8_P12ihipStream_tbDpT10_ENKUlT_T0_E_clISt17integral_constantIbLb0EES19_IbLb1EEEEDaS15_S16_EUlS15_E_NS1_11comp_targetILNS1_3genE9ELNS1_11target_archE1100ELNS1_3gpuE3ELNS1_3repE0EEENS1_30default_config_static_selectorELNS0_4arch9wavefront6targetE1EEEvT1_,"axG",@progbits,_ZN7rocprim17ROCPRIM_400000_NS6detail17trampoline_kernelINS0_14default_configENS1_25partition_config_selectorILNS1_17partition_subalgoE9EllbEEZZNS1_14partition_implILS5_9ELb0ES3_jPlS8_PNS0_10empty_typeENS0_5tupleIJS8_S9_EEENSB_IJS8_SA_EEENS0_18inequality_wrapperIZN2at6native12_GLOBAL__N_124unique_dim_cuda_templateIfEESt5tupleIJNSF_6TensorESK_SK_EERKSK_lbbbEUlllE0_EEPmJS9_EEE10hipError_tPvRmT3_T4_T5_T6_T7_T9_mT8_P12ihipStream_tbDpT10_ENKUlT_T0_E_clISt17integral_constantIbLb0EES19_IbLb1EEEEDaS15_S16_EUlS15_E_NS1_11comp_targetILNS1_3genE9ELNS1_11target_archE1100ELNS1_3gpuE3ELNS1_3repE0EEENS1_30default_config_static_selectorELNS0_4arch9wavefront6targetE1EEEvT1_,comdat
.Lfunc_end991:
	.size	_ZN7rocprim17ROCPRIM_400000_NS6detail17trampoline_kernelINS0_14default_configENS1_25partition_config_selectorILNS1_17partition_subalgoE9EllbEEZZNS1_14partition_implILS5_9ELb0ES3_jPlS8_PNS0_10empty_typeENS0_5tupleIJS8_S9_EEENSB_IJS8_SA_EEENS0_18inequality_wrapperIZN2at6native12_GLOBAL__N_124unique_dim_cuda_templateIfEESt5tupleIJNSF_6TensorESK_SK_EERKSK_lbbbEUlllE0_EEPmJS9_EEE10hipError_tPvRmT3_T4_T5_T6_T7_T9_mT8_P12ihipStream_tbDpT10_ENKUlT_T0_E_clISt17integral_constantIbLb0EES19_IbLb1EEEEDaS15_S16_EUlS15_E_NS1_11comp_targetILNS1_3genE9ELNS1_11target_archE1100ELNS1_3gpuE3ELNS1_3repE0EEENS1_30default_config_static_selectorELNS0_4arch9wavefront6targetE1EEEvT1_, .Lfunc_end991-_ZN7rocprim17ROCPRIM_400000_NS6detail17trampoline_kernelINS0_14default_configENS1_25partition_config_selectorILNS1_17partition_subalgoE9EllbEEZZNS1_14partition_implILS5_9ELb0ES3_jPlS8_PNS0_10empty_typeENS0_5tupleIJS8_S9_EEENSB_IJS8_SA_EEENS0_18inequality_wrapperIZN2at6native12_GLOBAL__N_124unique_dim_cuda_templateIfEESt5tupleIJNSF_6TensorESK_SK_EERKSK_lbbbEUlllE0_EEPmJS9_EEE10hipError_tPvRmT3_T4_T5_T6_T7_T9_mT8_P12ihipStream_tbDpT10_ENKUlT_T0_E_clISt17integral_constantIbLb0EES19_IbLb1EEEEDaS15_S16_EUlS15_E_NS1_11comp_targetILNS1_3genE9ELNS1_11target_archE1100ELNS1_3gpuE3ELNS1_3repE0EEENS1_30default_config_static_selectorELNS0_4arch9wavefront6targetE1EEEvT1_
                                        ; -- End function
	.section	.AMDGPU.csdata,"",@progbits
; Kernel info:
; codeLenInByte = 0
; NumSgprs: 4
; NumVgprs: 0
; NumAgprs: 0
; TotalNumVgprs: 0
; ScratchSize: 0
; MemoryBound: 0
; FloatMode: 240
; IeeeMode: 1
; LDSByteSize: 0 bytes/workgroup (compile time only)
; SGPRBlocks: 0
; VGPRBlocks: 0
; NumSGPRsForWavesPerEU: 4
; NumVGPRsForWavesPerEU: 1
; AccumOffset: 4
; Occupancy: 8
; WaveLimiterHint : 0
; COMPUTE_PGM_RSRC2:SCRATCH_EN: 0
; COMPUTE_PGM_RSRC2:USER_SGPR: 6
; COMPUTE_PGM_RSRC2:TRAP_HANDLER: 0
; COMPUTE_PGM_RSRC2:TGID_X_EN: 1
; COMPUTE_PGM_RSRC2:TGID_Y_EN: 0
; COMPUTE_PGM_RSRC2:TGID_Z_EN: 0
; COMPUTE_PGM_RSRC2:TIDIG_COMP_CNT: 0
; COMPUTE_PGM_RSRC3_GFX90A:ACCUM_OFFSET: 0
; COMPUTE_PGM_RSRC3_GFX90A:TG_SPLIT: 0
	.section	.text._ZN7rocprim17ROCPRIM_400000_NS6detail17trampoline_kernelINS0_14default_configENS1_25partition_config_selectorILNS1_17partition_subalgoE9EllbEEZZNS1_14partition_implILS5_9ELb0ES3_jPlS8_PNS0_10empty_typeENS0_5tupleIJS8_S9_EEENSB_IJS8_SA_EEENS0_18inequality_wrapperIZN2at6native12_GLOBAL__N_124unique_dim_cuda_templateIfEESt5tupleIJNSF_6TensorESK_SK_EERKSK_lbbbEUlllE0_EEPmJS9_EEE10hipError_tPvRmT3_T4_T5_T6_T7_T9_mT8_P12ihipStream_tbDpT10_ENKUlT_T0_E_clISt17integral_constantIbLb0EES19_IbLb1EEEEDaS15_S16_EUlS15_E_NS1_11comp_targetILNS1_3genE8ELNS1_11target_archE1030ELNS1_3gpuE2ELNS1_3repE0EEENS1_30default_config_static_selectorELNS0_4arch9wavefront6targetE1EEEvT1_,"axG",@progbits,_ZN7rocprim17ROCPRIM_400000_NS6detail17trampoline_kernelINS0_14default_configENS1_25partition_config_selectorILNS1_17partition_subalgoE9EllbEEZZNS1_14partition_implILS5_9ELb0ES3_jPlS8_PNS0_10empty_typeENS0_5tupleIJS8_S9_EEENSB_IJS8_SA_EEENS0_18inequality_wrapperIZN2at6native12_GLOBAL__N_124unique_dim_cuda_templateIfEESt5tupleIJNSF_6TensorESK_SK_EERKSK_lbbbEUlllE0_EEPmJS9_EEE10hipError_tPvRmT3_T4_T5_T6_T7_T9_mT8_P12ihipStream_tbDpT10_ENKUlT_T0_E_clISt17integral_constantIbLb0EES19_IbLb1EEEEDaS15_S16_EUlS15_E_NS1_11comp_targetILNS1_3genE8ELNS1_11target_archE1030ELNS1_3gpuE2ELNS1_3repE0EEENS1_30default_config_static_selectorELNS0_4arch9wavefront6targetE1EEEvT1_,comdat
	.globl	_ZN7rocprim17ROCPRIM_400000_NS6detail17trampoline_kernelINS0_14default_configENS1_25partition_config_selectorILNS1_17partition_subalgoE9EllbEEZZNS1_14partition_implILS5_9ELb0ES3_jPlS8_PNS0_10empty_typeENS0_5tupleIJS8_S9_EEENSB_IJS8_SA_EEENS0_18inequality_wrapperIZN2at6native12_GLOBAL__N_124unique_dim_cuda_templateIfEESt5tupleIJNSF_6TensorESK_SK_EERKSK_lbbbEUlllE0_EEPmJS9_EEE10hipError_tPvRmT3_T4_T5_T6_T7_T9_mT8_P12ihipStream_tbDpT10_ENKUlT_T0_E_clISt17integral_constantIbLb0EES19_IbLb1EEEEDaS15_S16_EUlS15_E_NS1_11comp_targetILNS1_3genE8ELNS1_11target_archE1030ELNS1_3gpuE2ELNS1_3repE0EEENS1_30default_config_static_selectorELNS0_4arch9wavefront6targetE1EEEvT1_ ; -- Begin function _ZN7rocprim17ROCPRIM_400000_NS6detail17trampoline_kernelINS0_14default_configENS1_25partition_config_selectorILNS1_17partition_subalgoE9EllbEEZZNS1_14partition_implILS5_9ELb0ES3_jPlS8_PNS0_10empty_typeENS0_5tupleIJS8_S9_EEENSB_IJS8_SA_EEENS0_18inequality_wrapperIZN2at6native12_GLOBAL__N_124unique_dim_cuda_templateIfEESt5tupleIJNSF_6TensorESK_SK_EERKSK_lbbbEUlllE0_EEPmJS9_EEE10hipError_tPvRmT3_T4_T5_T6_T7_T9_mT8_P12ihipStream_tbDpT10_ENKUlT_T0_E_clISt17integral_constantIbLb0EES19_IbLb1EEEEDaS15_S16_EUlS15_E_NS1_11comp_targetILNS1_3genE8ELNS1_11target_archE1030ELNS1_3gpuE2ELNS1_3repE0EEENS1_30default_config_static_selectorELNS0_4arch9wavefront6targetE1EEEvT1_
	.p2align	8
	.type	_ZN7rocprim17ROCPRIM_400000_NS6detail17trampoline_kernelINS0_14default_configENS1_25partition_config_selectorILNS1_17partition_subalgoE9EllbEEZZNS1_14partition_implILS5_9ELb0ES3_jPlS8_PNS0_10empty_typeENS0_5tupleIJS8_S9_EEENSB_IJS8_SA_EEENS0_18inequality_wrapperIZN2at6native12_GLOBAL__N_124unique_dim_cuda_templateIfEESt5tupleIJNSF_6TensorESK_SK_EERKSK_lbbbEUlllE0_EEPmJS9_EEE10hipError_tPvRmT3_T4_T5_T6_T7_T9_mT8_P12ihipStream_tbDpT10_ENKUlT_T0_E_clISt17integral_constantIbLb0EES19_IbLb1EEEEDaS15_S16_EUlS15_E_NS1_11comp_targetILNS1_3genE8ELNS1_11target_archE1030ELNS1_3gpuE2ELNS1_3repE0EEENS1_30default_config_static_selectorELNS0_4arch9wavefront6targetE1EEEvT1_,@function
_ZN7rocprim17ROCPRIM_400000_NS6detail17trampoline_kernelINS0_14default_configENS1_25partition_config_selectorILNS1_17partition_subalgoE9EllbEEZZNS1_14partition_implILS5_9ELb0ES3_jPlS8_PNS0_10empty_typeENS0_5tupleIJS8_S9_EEENSB_IJS8_SA_EEENS0_18inequality_wrapperIZN2at6native12_GLOBAL__N_124unique_dim_cuda_templateIfEESt5tupleIJNSF_6TensorESK_SK_EERKSK_lbbbEUlllE0_EEPmJS9_EEE10hipError_tPvRmT3_T4_T5_T6_T7_T9_mT8_P12ihipStream_tbDpT10_ENKUlT_T0_E_clISt17integral_constantIbLb0EES19_IbLb1EEEEDaS15_S16_EUlS15_E_NS1_11comp_targetILNS1_3genE8ELNS1_11target_archE1030ELNS1_3gpuE2ELNS1_3repE0EEENS1_30default_config_static_selectorELNS0_4arch9wavefront6targetE1EEEvT1_: ; @_ZN7rocprim17ROCPRIM_400000_NS6detail17trampoline_kernelINS0_14default_configENS1_25partition_config_selectorILNS1_17partition_subalgoE9EllbEEZZNS1_14partition_implILS5_9ELb0ES3_jPlS8_PNS0_10empty_typeENS0_5tupleIJS8_S9_EEENSB_IJS8_SA_EEENS0_18inequality_wrapperIZN2at6native12_GLOBAL__N_124unique_dim_cuda_templateIfEESt5tupleIJNSF_6TensorESK_SK_EERKSK_lbbbEUlllE0_EEPmJS9_EEE10hipError_tPvRmT3_T4_T5_T6_T7_T9_mT8_P12ihipStream_tbDpT10_ENKUlT_T0_E_clISt17integral_constantIbLb0EES19_IbLb1EEEEDaS15_S16_EUlS15_E_NS1_11comp_targetILNS1_3genE8ELNS1_11target_archE1030ELNS1_3gpuE2ELNS1_3repE0EEENS1_30default_config_static_selectorELNS0_4arch9wavefront6targetE1EEEvT1_
; %bb.0:
	.section	.rodata,"a",@progbits
	.p2align	6, 0x0
	.amdhsa_kernel _ZN7rocprim17ROCPRIM_400000_NS6detail17trampoline_kernelINS0_14default_configENS1_25partition_config_selectorILNS1_17partition_subalgoE9EllbEEZZNS1_14partition_implILS5_9ELb0ES3_jPlS8_PNS0_10empty_typeENS0_5tupleIJS8_S9_EEENSB_IJS8_SA_EEENS0_18inequality_wrapperIZN2at6native12_GLOBAL__N_124unique_dim_cuda_templateIfEESt5tupleIJNSF_6TensorESK_SK_EERKSK_lbbbEUlllE0_EEPmJS9_EEE10hipError_tPvRmT3_T4_T5_T6_T7_T9_mT8_P12ihipStream_tbDpT10_ENKUlT_T0_E_clISt17integral_constantIbLb0EES19_IbLb1EEEEDaS15_S16_EUlS15_E_NS1_11comp_targetILNS1_3genE8ELNS1_11target_archE1030ELNS1_3gpuE2ELNS1_3repE0EEENS1_30default_config_static_selectorELNS0_4arch9wavefront6targetE1EEEvT1_
		.amdhsa_group_segment_fixed_size 0
		.amdhsa_private_segment_fixed_size 0
		.amdhsa_kernarg_size 136
		.amdhsa_user_sgpr_count 6
		.amdhsa_user_sgpr_private_segment_buffer 1
		.amdhsa_user_sgpr_dispatch_ptr 0
		.amdhsa_user_sgpr_queue_ptr 0
		.amdhsa_user_sgpr_kernarg_segment_ptr 1
		.amdhsa_user_sgpr_dispatch_id 0
		.amdhsa_user_sgpr_flat_scratch_init 0
		.amdhsa_user_sgpr_kernarg_preload_length 0
		.amdhsa_user_sgpr_kernarg_preload_offset 0
		.amdhsa_user_sgpr_private_segment_size 0
		.amdhsa_uses_dynamic_stack 0
		.amdhsa_system_sgpr_private_segment_wavefront_offset 0
		.amdhsa_system_sgpr_workgroup_id_x 1
		.amdhsa_system_sgpr_workgroup_id_y 0
		.amdhsa_system_sgpr_workgroup_id_z 0
		.amdhsa_system_sgpr_workgroup_info 0
		.amdhsa_system_vgpr_workitem_id 0
		.amdhsa_next_free_vgpr 1
		.amdhsa_next_free_sgpr 0
		.amdhsa_accum_offset 4
		.amdhsa_reserve_vcc 0
		.amdhsa_reserve_flat_scratch 0
		.amdhsa_float_round_mode_32 0
		.amdhsa_float_round_mode_16_64 0
		.amdhsa_float_denorm_mode_32 3
		.amdhsa_float_denorm_mode_16_64 3
		.amdhsa_dx10_clamp 1
		.amdhsa_ieee_mode 1
		.amdhsa_fp16_overflow 0
		.amdhsa_tg_split 0
		.amdhsa_exception_fp_ieee_invalid_op 0
		.amdhsa_exception_fp_denorm_src 0
		.amdhsa_exception_fp_ieee_div_zero 0
		.amdhsa_exception_fp_ieee_overflow 0
		.amdhsa_exception_fp_ieee_underflow 0
		.amdhsa_exception_fp_ieee_inexact 0
		.amdhsa_exception_int_div_zero 0
	.end_amdhsa_kernel
	.section	.text._ZN7rocprim17ROCPRIM_400000_NS6detail17trampoline_kernelINS0_14default_configENS1_25partition_config_selectorILNS1_17partition_subalgoE9EllbEEZZNS1_14partition_implILS5_9ELb0ES3_jPlS8_PNS0_10empty_typeENS0_5tupleIJS8_S9_EEENSB_IJS8_SA_EEENS0_18inequality_wrapperIZN2at6native12_GLOBAL__N_124unique_dim_cuda_templateIfEESt5tupleIJNSF_6TensorESK_SK_EERKSK_lbbbEUlllE0_EEPmJS9_EEE10hipError_tPvRmT3_T4_T5_T6_T7_T9_mT8_P12ihipStream_tbDpT10_ENKUlT_T0_E_clISt17integral_constantIbLb0EES19_IbLb1EEEEDaS15_S16_EUlS15_E_NS1_11comp_targetILNS1_3genE8ELNS1_11target_archE1030ELNS1_3gpuE2ELNS1_3repE0EEENS1_30default_config_static_selectorELNS0_4arch9wavefront6targetE1EEEvT1_,"axG",@progbits,_ZN7rocprim17ROCPRIM_400000_NS6detail17trampoline_kernelINS0_14default_configENS1_25partition_config_selectorILNS1_17partition_subalgoE9EllbEEZZNS1_14partition_implILS5_9ELb0ES3_jPlS8_PNS0_10empty_typeENS0_5tupleIJS8_S9_EEENSB_IJS8_SA_EEENS0_18inequality_wrapperIZN2at6native12_GLOBAL__N_124unique_dim_cuda_templateIfEESt5tupleIJNSF_6TensorESK_SK_EERKSK_lbbbEUlllE0_EEPmJS9_EEE10hipError_tPvRmT3_T4_T5_T6_T7_T9_mT8_P12ihipStream_tbDpT10_ENKUlT_T0_E_clISt17integral_constantIbLb0EES19_IbLb1EEEEDaS15_S16_EUlS15_E_NS1_11comp_targetILNS1_3genE8ELNS1_11target_archE1030ELNS1_3gpuE2ELNS1_3repE0EEENS1_30default_config_static_selectorELNS0_4arch9wavefront6targetE1EEEvT1_,comdat
.Lfunc_end992:
	.size	_ZN7rocprim17ROCPRIM_400000_NS6detail17trampoline_kernelINS0_14default_configENS1_25partition_config_selectorILNS1_17partition_subalgoE9EllbEEZZNS1_14partition_implILS5_9ELb0ES3_jPlS8_PNS0_10empty_typeENS0_5tupleIJS8_S9_EEENSB_IJS8_SA_EEENS0_18inequality_wrapperIZN2at6native12_GLOBAL__N_124unique_dim_cuda_templateIfEESt5tupleIJNSF_6TensorESK_SK_EERKSK_lbbbEUlllE0_EEPmJS9_EEE10hipError_tPvRmT3_T4_T5_T6_T7_T9_mT8_P12ihipStream_tbDpT10_ENKUlT_T0_E_clISt17integral_constantIbLb0EES19_IbLb1EEEEDaS15_S16_EUlS15_E_NS1_11comp_targetILNS1_3genE8ELNS1_11target_archE1030ELNS1_3gpuE2ELNS1_3repE0EEENS1_30default_config_static_selectorELNS0_4arch9wavefront6targetE1EEEvT1_, .Lfunc_end992-_ZN7rocprim17ROCPRIM_400000_NS6detail17trampoline_kernelINS0_14default_configENS1_25partition_config_selectorILNS1_17partition_subalgoE9EllbEEZZNS1_14partition_implILS5_9ELb0ES3_jPlS8_PNS0_10empty_typeENS0_5tupleIJS8_S9_EEENSB_IJS8_SA_EEENS0_18inequality_wrapperIZN2at6native12_GLOBAL__N_124unique_dim_cuda_templateIfEESt5tupleIJNSF_6TensorESK_SK_EERKSK_lbbbEUlllE0_EEPmJS9_EEE10hipError_tPvRmT3_T4_T5_T6_T7_T9_mT8_P12ihipStream_tbDpT10_ENKUlT_T0_E_clISt17integral_constantIbLb0EES19_IbLb1EEEEDaS15_S16_EUlS15_E_NS1_11comp_targetILNS1_3genE8ELNS1_11target_archE1030ELNS1_3gpuE2ELNS1_3repE0EEENS1_30default_config_static_selectorELNS0_4arch9wavefront6targetE1EEEvT1_
                                        ; -- End function
	.section	.AMDGPU.csdata,"",@progbits
; Kernel info:
; codeLenInByte = 0
; NumSgprs: 4
; NumVgprs: 0
; NumAgprs: 0
; TotalNumVgprs: 0
; ScratchSize: 0
; MemoryBound: 0
; FloatMode: 240
; IeeeMode: 1
; LDSByteSize: 0 bytes/workgroup (compile time only)
; SGPRBlocks: 0
; VGPRBlocks: 0
; NumSGPRsForWavesPerEU: 4
; NumVGPRsForWavesPerEU: 1
; AccumOffset: 4
; Occupancy: 8
; WaveLimiterHint : 0
; COMPUTE_PGM_RSRC2:SCRATCH_EN: 0
; COMPUTE_PGM_RSRC2:USER_SGPR: 6
; COMPUTE_PGM_RSRC2:TRAP_HANDLER: 0
; COMPUTE_PGM_RSRC2:TGID_X_EN: 1
; COMPUTE_PGM_RSRC2:TGID_Y_EN: 0
; COMPUTE_PGM_RSRC2:TGID_Z_EN: 0
; COMPUTE_PGM_RSRC2:TIDIG_COMP_CNT: 0
; COMPUTE_PGM_RSRC3_GFX90A:ACCUM_OFFSET: 0
; COMPUTE_PGM_RSRC3_GFX90A:TG_SPLIT: 0
	.section	.text._ZN7rocprim17ROCPRIM_400000_NS6detail17trampoline_kernelINS0_14default_configENS1_37merge_sort_block_sort_config_selectorIlNS0_10empty_typeEEEZNS1_21merge_sort_block_sortIS3_PlS8_PS5_S9_ZN2at6native12_GLOBAL__N_124unique_dim_cuda_templateIbEESt5tupleIJNSA_6TensorESF_SF_EERKSF_lbbbEUlllE_EE10hipError_tT0_T1_T2_T3_mRjT4_P12ihipStream_tbNS1_7vsmem_tEEUlT_E_NS1_11comp_targetILNS1_3genE0ELNS1_11target_archE4294967295ELNS1_3gpuE0ELNS1_3repE0EEENS1_30default_config_static_selectorELNS0_4arch9wavefront6targetE1EEEvSM_,"axG",@progbits,_ZN7rocprim17ROCPRIM_400000_NS6detail17trampoline_kernelINS0_14default_configENS1_37merge_sort_block_sort_config_selectorIlNS0_10empty_typeEEEZNS1_21merge_sort_block_sortIS3_PlS8_PS5_S9_ZN2at6native12_GLOBAL__N_124unique_dim_cuda_templateIbEESt5tupleIJNSA_6TensorESF_SF_EERKSF_lbbbEUlllE_EE10hipError_tT0_T1_T2_T3_mRjT4_P12ihipStream_tbNS1_7vsmem_tEEUlT_E_NS1_11comp_targetILNS1_3genE0ELNS1_11target_archE4294967295ELNS1_3gpuE0ELNS1_3repE0EEENS1_30default_config_static_selectorELNS0_4arch9wavefront6targetE1EEEvSM_,comdat
	.globl	_ZN7rocprim17ROCPRIM_400000_NS6detail17trampoline_kernelINS0_14default_configENS1_37merge_sort_block_sort_config_selectorIlNS0_10empty_typeEEEZNS1_21merge_sort_block_sortIS3_PlS8_PS5_S9_ZN2at6native12_GLOBAL__N_124unique_dim_cuda_templateIbEESt5tupleIJNSA_6TensorESF_SF_EERKSF_lbbbEUlllE_EE10hipError_tT0_T1_T2_T3_mRjT4_P12ihipStream_tbNS1_7vsmem_tEEUlT_E_NS1_11comp_targetILNS1_3genE0ELNS1_11target_archE4294967295ELNS1_3gpuE0ELNS1_3repE0EEENS1_30default_config_static_selectorELNS0_4arch9wavefront6targetE1EEEvSM_ ; -- Begin function _ZN7rocprim17ROCPRIM_400000_NS6detail17trampoline_kernelINS0_14default_configENS1_37merge_sort_block_sort_config_selectorIlNS0_10empty_typeEEEZNS1_21merge_sort_block_sortIS3_PlS8_PS5_S9_ZN2at6native12_GLOBAL__N_124unique_dim_cuda_templateIbEESt5tupleIJNSA_6TensorESF_SF_EERKSF_lbbbEUlllE_EE10hipError_tT0_T1_T2_T3_mRjT4_P12ihipStream_tbNS1_7vsmem_tEEUlT_E_NS1_11comp_targetILNS1_3genE0ELNS1_11target_archE4294967295ELNS1_3gpuE0ELNS1_3repE0EEENS1_30default_config_static_selectorELNS0_4arch9wavefront6targetE1EEEvSM_
	.p2align	8
	.type	_ZN7rocprim17ROCPRIM_400000_NS6detail17trampoline_kernelINS0_14default_configENS1_37merge_sort_block_sort_config_selectorIlNS0_10empty_typeEEEZNS1_21merge_sort_block_sortIS3_PlS8_PS5_S9_ZN2at6native12_GLOBAL__N_124unique_dim_cuda_templateIbEESt5tupleIJNSA_6TensorESF_SF_EERKSF_lbbbEUlllE_EE10hipError_tT0_T1_T2_T3_mRjT4_P12ihipStream_tbNS1_7vsmem_tEEUlT_E_NS1_11comp_targetILNS1_3genE0ELNS1_11target_archE4294967295ELNS1_3gpuE0ELNS1_3repE0EEENS1_30default_config_static_selectorELNS0_4arch9wavefront6targetE1EEEvSM_,@function
_ZN7rocprim17ROCPRIM_400000_NS6detail17trampoline_kernelINS0_14default_configENS1_37merge_sort_block_sort_config_selectorIlNS0_10empty_typeEEEZNS1_21merge_sort_block_sortIS3_PlS8_PS5_S9_ZN2at6native12_GLOBAL__N_124unique_dim_cuda_templateIbEESt5tupleIJNSA_6TensorESF_SF_EERKSF_lbbbEUlllE_EE10hipError_tT0_T1_T2_T3_mRjT4_P12ihipStream_tbNS1_7vsmem_tEEUlT_E_NS1_11comp_targetILNS1_3genE0ELNS1_11target_archE4294967295ELNS1_3gpuE0ELNS1_3repE0EEENS1_30default_config_static_selectorELNS0_4arch9wavefront6targetE1EEEvSM_: ; @_ZN7rocprim17ROCPRIM_400000_NS6detail17trampoline_kernelINS0_14default_configENS1_37merge_sort_block_sort_config_selectorIlNS0_10empty_typeEEEZNS1_21merge_sort_block_sortIS3_PlS8_PS5_S9_ZN2at6native12_GLOBAL__N_124unique_dim_cuda_templateIbEESt5tupleIJNSA_6TensorESF_SF_EERKSF_lbbbEUlllE_EE10hipError_tT0_T1_T2_T3_mRjT4_P12ihipStream_tbNS1_7vsmem_tEEUlT_E_NS1_11comp_targetILNS1_3genE0ELNS1_11target_archE4294967295ELNS1_3gpuE0ELNS1_3repE0EEENS1_30default_config_static_selectorELNS0_4arch9wavefront6targetE1EEEvSM_
; %bb.0:
	.section	.rodata,"a",@progbits
	.p2align	6, 0x0
	.amdhsa_kernel _ZN7rocprim17ROCPRIM_400000_NS6detail17trampoline_kernelINS0_14default_configENS1_37merge_sort_block_sort_config_selectorIlNS0_10empty_typeEEEZNS1_21merge_sort_block_sortIS3_PlS8_PS5_S9_ZN2at6native12_GLOBAL__N_124unique_dim_cuda_templateIbEESt5tupleIJNSA_6TensorESF_SF_EERKSF_lbbbEUlllE_EE10hipError_tT0_T1_T2_T3_mRjT4_P12ihipStream_tbNS1_7vsmem_tEEUlT_E_NS1_11comp_targetILNS1_3genE0ELNS1_11target_archE4294967295ELNS1_3gpuE0ELNS1_3repE0EEENS1_30default_config_static_selectorELNS0_4arch9wavefront6targetE1EEEvSM_
		.amdhsa_group_segment_fixed_size 0
		.amdhsa_private_segment_fixed_size 0
		.amdhsa_kernarg_size 72
		.amdhsa_user_sgpr_count 6
		.amdhsa_user_sgpr_private_segment_buffer 1
		.amdhsa_user_sgpr_dispatch_ptr 0
		.amdhsa_user_sgpr_queue_ptr 0
		.amdhsa_user_sgpr_kernarg_segment_ptr 1
		.amdhsa_user_sgpr_dispatch_id 0
		.amdhsa_user_sgpr_flat_scratch_init 0
		.amdhsa_user_sgpr_kernarg_preload_length 0
		.amdhsa_user_sgpr_kernarg_preload_offset 0
		.amdhsa_user_sgpr_private_segment_size 0
		.amdhsa_uses_dynamic_stack 0
		.amdhsa_system_sgpr_private_segment_wavefront_offset 0
		.amdhsa_system_sgpr_workgroup_id_x 1
		.amdhsa_system_sgpr_workgroup_id_y 0
		.amdhsa_system_sgpr_workgroup_id_z 0
		.amdhsa_system_sgpr_workgroup_info 0
		.amdhsa_system_vgpr_workitem_id 0
		.amdhsa_next_free_vgpr 1
		.amdhsa_next_free_sgpr 0
		.amdhsa_accum_offset 4
		.amdhsa_reserve_vcc 0
		.amdhsa_reserve_flat_scratch 0
		.amdhsa_float_round_mode_32 0
		.amdhsa_float_round_mode_16_64 0
		.amdhsa_float_denorm_mode_32 3
		.amdhsa_float_denorm_mode_16_64 3
		.amdhsa_dx10_clamp 1
		.amdhsa_ieee_mode 1
		.amdhsa_fp16_overflow 0
		.amdhsa_tg_split 0
		.amdhsa_exception_fp_ieee_invalid_op 0
		.amdhsa_exception_fp_denorm_src 0
		.amdhsa_exception_fp_ieee_div_zero 0
		.amdhsa_exception_fp_ieee_overflow 0
		.amdhsa_exception_fp_ieee_underflow 0
		.amdhsa_exception_fp_ieee_inexact 0
		.amdhsa_exception_int_div_zero 0
	.end_amdhsa_kernel
	.section	.text._ZN7rocprim17ROCPRIM_400000_NS6detail17trampoline_kernelINS0_14default_configENS1_37merge_sort_block_sort_config_selectorIlNS0_10empty_typeEEEZNS1_21merge_sort_block_sortIS3_PlS8_PS5_S9_ZN2at6native12_GLOBAL__N_124unique_dim_cuda_templateIbEESt5tupleIJNSA_6TensorESF_SF_EERKSF_lbbbEUlllE_EE10hipError_tT0_T1_T2_T3_mRjT4_P12ihipStream_tbNS1_7vsmem_tEEUlT_E_NS1_11comp_targetILNS1_3genE0ELNS1_11target_archE4294967295ELNS1_3gpuE0ELNS1_3repE0EEENS1_30default_config_static_selectorELNS0_4arch9wavefront6targetE1EEEvSM_,"axG",@progbits,_ZN7rocprim17ROCPRIM_400000_NS6detail17trampoline_kernelINS0_14default_configENS1_37merge_sort_block_sort_config_selectorIlNS0_10empty_typeEEEZNS1_21merge_sort_block_sortIS3_PlS8_PS5_S9_ZN2at6native12_GLOBAL__N_124unique_dim_cuda_templateIbEESt5tupleIJNSA_6TensorESF_SF_EERKSF_lbbbEUlllE_EE10hipError_tT0_T1_T2_T3_mRjT4_P12ihipStream_tbNS1_7vsmem_tEEUlT_E_NS1_11comp_targetILNS1_3genE0ELNS1_11target_archE4294967295ELNS1_3gpuE0ELNS1_3repE0EEENS1_30default_config_static_selectorELNS0_4arch9wavefront6targetE1EEEvSM_,comdat
.Lfunc_end993:
	.size	_ZN7rocprim17ROCPRIM_400000_NS6detail17trampoline_kernelINS0_14default_configENS1_37merge_sort_block_sort_config_selectorIlNS0_10empty_typeEEEZNS1_21merge_sort_block_sortIS3_PlS8_PS5_S9_ZN2at6native12_GLOBAL__N_124unique_dim_cuda_templateIbEESt5tupleIJNSA_6TensorESF_SF_EERKSF_lbbbEUlllE_EE10hipError_tT0_T1_T2_T3_mRjT4_P12ihipStream_tbNS1_7vsmem_tEEUlT_E_NS1_11comp_targetILNS1_3genE0ELNS1_11target_archE4294967295ELNS1_3gpuE0ELNS1_3repE0EEENS1_30default_config_static_selectorELNS0_4arch9wavefront6targetE1EEEvSM_, .Lfunc_end993-_ZN7rocprim17ROCPRIM_400000_NS6detail17trampoline_kernelINS0_14default_configENS1_37merge_sort_block_sort_config_selectorIlNS0_10empty_typeEEEZNS1_21merge_sort_block_sortIS3_PlS8_PS5_S9_ZN2at6native12_GLOBAL__N_124unique_dim_cuda_templateIbEESt5tupleIJNSA_6TensorESF_SF_EERKSF_lbbbEUlllE_EE10hipError_tT0_T1_T2_T3_mRjT4_P12ihipStream_tbNS1_7vsmem_tEEUlT_E_NS1_11comp_targetILNS1_3genE0ELNS1_11target_archE4294967295ELNS1_3gpuE0ELNS1_3repE0EEENS1_30default_config_static_selectorELNS0_4arch9wavefront6targetE1EEEvSM_
                                        ; -- End function
	.section	.AMDGPU.csdata,"",@progbits
; Kernel info:
; codeLenInByte = 0
; NumSgprs: 4
; NumVgprs: 0
; NumAgprs: 0
; TotalNumVgprs: 0
; ScratchSize: 0
; MemoryBound: 0
; FloatMode: 240
; IeeeMode: 1
; LDSByteSize: 0 bytes/workgroup (compile time only)
; SGPRBlocks: 0
; VGPRBlocks: 0
; NumSGPRsForWavesPerEU: 4
; NumVGPRsForWavesPerEU: 1
; AccumOffset: 4
; Occupancy: 8
; WaveLimiterHint : 0
; COMPUTE_PGM_RSRC2:SCRATCH_EN: 0
; COMPUTE_PGM_RSRC2:USER_SGPR: 6
; COMPUTE_PGM_RSRC2:TRAP_HANDLER: 0
; COMPUTE_PGM_RSRC2:TGID_X_EN: 1
; COMPUTE_PGM_RSRC2:TGID_Y_EN: 0
; COMPUTE_PGM_RSRC2:TGID_Z_EN: 0
; COMPUTE_PGM_RSRC2:TIDIG_COMP_CNT: 0
; COMPUTE_PGM_RSRC3_GFX90A:ACCUM_OFFSET: 0
; COMPUTE_PGM_RSRC3_GFX90A:TG_SPLIT: 0
	.section	.text._ZN7rocprim17ROCPRIM_400000_NS6detail17trampoline_kernelINS0_14default_configENS1_37merge_sort_block_sort_config_selectorIlNS0_10empty_typeEEEZNS1_21merge_sort_block_sortIS3_PlS8_PS5_S9_ZN2at6native12_GLOBAL__N_124unique_dim_cuda_templateIbEESt5tupleIJNSA_6TensorESF_SF_EERKSF_lbbbEUlllE_EE10hipError_tT0_T1_T2_T3_mRjT4_P12ihipStream_tbNS1_7vsmem_tEEUlT_E_NS1_11comp_targetILNS1_3genE5ELNS1_11target_archE942ELNS1_3gpuE9ELNS1_3repE0EEENS1_30default_config_static_selectorELNS0_4arch9wavefront6targetE1EEEvSM_,"axG",@progbits,_ZN7rocprim17ROCPRIM_400000_NS6detail17trampoline_kernelINS0_14default_configENS1_37merge_sort_block_sort_config_selectorIlNS0_10empty_typeEEEZNS1_21merge_sort_block_sortIS3_PlS8_PS5_S9_ZN2at6native12_GLOBAL__N_124unique_dim_cuda_templateIbEESt5tupleIJNSA_6TensorESF_SF_EERKSF_lbbbEUlllE_EE10hipError_tT0_T1_T2_T3_mRjT4_P12ihipStream_tbNS1_7vsmem_tEEUlT_E_NS1_11comp_targetILNS1_3genE5ELNS1_11target_archE942ELNS1_3gpuE9ELNS1_3repE0EEENS1_30default_config_static_selectorELNS0_4arch9wavefront6targetE1EEEvSM_,comdat
	.globl	_ZN7rocprim17ROCPRIM_400000_NS6detail17trampoline_kernelINS0_14default_configENS1_37merge_sort_block_sort_config_selectorIlNS0_10empty_typeEEEZNS1_21merge_sort_block_sortIS3_PlS8_PS5_S9_ZN2at6native12_GLOBAL__N_124unique_dim_cuda_templateIbEESt5tupleIJNSA_6TensorESF_SF_EERKSF_lbbbEUlllE_EE10hipError_tT0_T1_T2_T3_mRjT4_P12ihipStream_tbNS1_7vsmem_tEEUlT_E_NS1_11comp_targetILNS1_3genE5ELNS1_11target_archE942ELNS1_3gpuE9ELNS1_3repE0EEENS1_30default_config_static_selectorELNS0_4arch9wavefront6targetE1EEEvSM_ ; -- Begin function _ZN7rocprim17ROCPRIM_400000_NS6detail17trampoline_kernelINS0_14default_configENS1_37merge_sort_block_sort_config_selectorIlNS0_10empty_typeEEEZNS1_21merge_sort_block_sortIS3_PlS8_PS5_S9_ZN2at6native12_GLOBAL__N_124unique_dim_cuda_templateIbEESt5tupleIJNSA_6TensorESF_SF_EERKSF_lbbbEUlllE_EE10hipError_tT0_T1_T2_T3_mRjT4_P12ihipStream_tbNS1_7vsmem_tEEUlT_E_NS1_11comp_targetILNS1_3genE5ELNS1_11target_archE942ELNS1_3gpuE9ELNS1_3repE0EEENS1_30default_config_static_selectorELNS0_4arch9wavefront6targetE1EEEvSM_
	.p2align	8
	.type	_ZN7rocprim17ROCPRIM_400000_NS6detail17trampoline_kernelINS0_14default_configENS1_37merge_sort_block_sort_config_selectorIlNS0_10empty_typeEEEZNS1_21merge_sort_block_sortIS3_PlS8_PS5_S9_ZN2at6native12_GLOBAL__N_124unique_dim_cuda_templateIbEESt5tupleIJNSA_6TensorESF_SF_EERKSF_lbbbEUlllE_EE10hipError_tT0_T1_T2_T3_mRjT4_P12ihipStream_tbNS1_7vsmem_tEEUlT_E_NS1_11comp_targetILNS1_3genE5ELNS1_11target_archE942ELNS1_3gpuE9ELNS1_3repE0EEENS1_30default_config_static_selectorELNS0_4arch9wavefront6targetE1EEEvSM_,@function
_ZN7rocprim17ROCPRIM_400000_NS6detail17trampoline_kernelINS0_14default_configENS1_37merge_sort_block_sort_config_selectorIlNS0_10empty_typeEEEZNS1_21merge_sort_block_sortIS3_PlS8_PS5_S9_ZN2at6native12_GLOBAL__N_124unique_dim_cuda_templateIbEESt5tupleIJNSA_6TensorESF_SF_EERKSF_lbbbEUlllE_EE10hipError_tT0_T1_T2_T3_mRjT4_P12ihipStream_tbNS1_7vsmem_tEEUlT_E_NS1_11comp_targetILNS1_3genE5ELNS1_11target_archE942ELNS1_3gpuE9ELNS1_3repE0EEENS1_30default_config_static_selectorELNS0_4arch9wavefront6targetE1EEEvSM_: ; @_ZN7rocprim17ROCPRIM_400000_NS6detail17trampoline_kernelINS0_14default_configENS1_37merge_sort_block_sort_config_selectorIlNS0_10empty_typeEEEZNS1_21merge_sort_block_sortIS3_PlS8_PS5_S9_ZN2at6native12_GLOBAL__N_124unique_dim_cuda_templateIbEESt5tupleIJNSA_6TensorESF_SF_EERKSF_lbbbEUlllE_EE10hipError_tT0_T1_T2_T3_mRjT4_P12ihipStream_tbNS1_7vsmem_tEEUlT_E_NS1_11comp_targetILNS1_3genE5ELNS1_11target_archE942ELNS1_3gpuE9ELNS1_3repE0EEENS1_30default_config_static_selectorELNS0_4arch9wavefront6targetE1EEEvSM_
; %bb.0:
	.section	.rodata,"a",@progbits
	.p2align	6, 0x0
	.amdhsa_kernel _ZN7rocprim17ROCPRIM_400000_NS6detail17trampoline_kernelINS0_14default_configENS1_37merge_sort_block_sort_config_selectorIlNS0_10empty_typeEEEZNS1_21merge_sort_block_sortIS3_PlS8_PS5_S9_ZN2at6native12_GLOBAL__N_124unique_dim_cuda_templateIbEESt5tupleIJNSA_6TensorESF_SF_EERKSF_lbbbEUlllE_EE10hipError_tT0_T1_T2_T3_mRjT4_P12ihipStream_tbNS1_7vsmem_tEEUlT_E_NS1_11comp_targetILNS1_3genE5ELNS1_11target_archE942ELNS1_3gpuE9ELNS1_3repE0EEENS1_30default_config_static_selectorELNS0_4arch9wavefront6targetE1EEEvSM_
		.amdhsa_group_segment_fixed_size 0
		.amdhsa_private_segment_fixed_size 0
		.amdhsa_kernarg_size 72
		.amdhsa_user_sgpr_count 6
		.amdhsa_user_sgpr_private_segment_buffer 1
		.amdhsa_user_sgpr_dispatch_ptr 0
		.amdhsa_user_sgpr_queue_ptr 0
		.amdhsa_user_sgpr_kernarg_segment_ptr 1
		.amdhsa_user_sgpr_dispatch_id 0
		.amdhsa_user_sgpr_flat_scratch_init 0
		.amdhsa_user_sgpr_kernarg_preload_length 0
		.amdhsa_user_sgpr_kernarg_preload_offset 0
		.amdhsa_user_sgpr_private_segment_size 0
		.amdhsa_uses_dynamic_stack 0
		.amdhsa_system_sgpr_private_segment_wavefront_offset 0
		.amdhsa_system_sgpr_workgroup_id_x 1
		.amdhsa_system_sgpr_workgroup_id_y 0
		.amdhsa_system_sgpr_workgroup_id_z 0
		.amdhsa_system_sgpr_workgroup_info 0
		.amdhsa_system_vgpr_workitem_id 0
		.amdhsa_next_free_vgpr 1
		.amdhsa_next_free_sgpr 0
		.amdhsa_accum_offset 4
		.amdhsa_reserve_vcc 0
		.amdhsa_reserve_flat_scratch 0
		.amdhsa_float_round_mode_32 0
		.amdhsa_float_round_mode_16_64 0
		.amdhsa_float_denorm_mode_32 3
		.amdhsa_float_denorm_mode_16_64 3
		.amdhsa_dx10_clamp 1
		.amdhsa_ieee_mode 1
		.amdhsa_fp16_overflow 0
		.amdhsa_tg_split 0
		.amdhsa_exception_fp_ieee_invalid_op 0
		.amdhsa_exception_fp_denorm_src 0
		.amdhsa_exception_fp_ieee_div_zero 0
		.amdhsa_exception_fp_ieee_overflow 0
		.amdhsa_exception_fp_ieee_underflow 0
		.amdhsa_exception_fp_ieee_inexact 0
		.amdhsa_exception_int_div_zero 0
	.end_amdhsa_kernel
	.section	.text._ZN7rocprim17ROCPRIM_400000_NS6detail17trampoline_kernelINS0_14default_configENS1_37merge_sort_block_sort_config_selectorIlNS0_10empty_typeEEEZNS1_21merge_sort_block_sortIS3_PlS8_PS5_S9_ZN2at6native12_GLOBAL__N_124unique_dim_cuda_templateIbEESt5tupleIJNSA_6TensorESF_SF_EERKSF_lbbbEUlllE_EE10hipError_tT0_T1_T2_T3_mRjT4_P12ihipStream_tbNS1_7vsmem_tEEUlT_E_NS1_11comp_targetILNS1_3genE5ELNS1_11target_archE942ELNS1_3gpuE9ELNS1_3repE0EEENS1_30default_config_static_selectorELNS0_4arch9wavefront6targetE1EEEvSM_,"axG",@progbits,_ZN7rocprim17ROCPRIM_400000_NS6detail17trampoline_kernelINS0_14default_configENS1_37merge_sort_block_sort_config_selectorIlNS0_10empty_typeEEEZNS1_21merge_sort_block_sortIS3_PlS8_PS5_S9_ZN2at6native12_GLOBAL__N_124unique_dim_cuda_templateIbEESt5tupleIJNSA_6TensorESF_SF_EERKSF_lbbbEUlllE_EE10hipError_tT0_T1_T2_T3_mRjT4_P12ihipStream_tbNS1_7vsmem_tEEUlT_E_NS1_11comp_targetILNS1_3genE5ELNS1_11target_archE942ELNS1_3gpuE9ELNS1_3repE0EEENS1_30default_config_static_selectorELNS0_4arch9wavefront6targetE1EEEvSM_,comdat
.Lfunc_end994:
	.size	_ZN7rocprim17ROCPRIM_400000_NS6detail17trampoline_kernelINS0_14default_configENS1_37merge_sort_block_sort_config_selectorIlNS0_10empty_typeEEEZNS1_21merge_sort_block_sortIS3_PlS8_PS5_S9_ZN2at6native12_GLOBAL__N_124unique_dim_cuda_templateIbEESt5tupleIJNSA_6TensorESF_SF_EERKSF_lbbbEUlllE_EE10hipError_tT0_T1_T2_T3_mRjT4_P12ihipStream_tbNS1_7vsmem_tEEUlT_E_NS1_11comp_targetILNS1_3genE5ELNS1_11target_archE942ELNS1_3gpuE9ELNS1_3repE0EEENS1_30default_config_static_selectorELNS0_4arch9wavefront6targetE1EEEvSM_, .Lfunc_end994-_ZN7rocprim17ROCPRIM_400000_NS6detail17trampoline_kernelINS0_14default_configENS1_37merge_sort_block_sort_config_selectorIlNS0_10empty_typeEEEZNS1_21merge_sort_block_sortIS3_PlS8_PS5_S9_ZN2at6native12_GLOBAL__N_124unique_dim_cuda_templateIbEESt5tupleIJNSA_6TensorESF_SF_EERKSF_lbbbEUlllE_EE10hipError_tT0_T1_T2_T3_mRjT4_P12ihipStream_tbNS1_7vsmem_tEEUlT_E_NS1_11comp_targetILNS1_3genE5ELNS1_11target_archE942ELNS1_3gpuE9ELNS1_3repE0EEENS1_30default_config_static_selectorELNS0_4arch9wavefront6targetE1EEEvSM_
                                        ; -- End function
	.section	.AMDGPU.csdata,"",@progbits
; Kernel info:
; codeLenInByte = 0
; NumSgprs: 4
; NumVgprs: 0
; NumAgprs: 0
; TotalNumVgprs: 0
; ScratchSize: 0
; MemoryBound: 0
; FloatMode: 240
; IeeeMode: 1
; LDSByteSize: 0 bytes/workgroup (compile time only)
; SGPRBlocks: 0
; VGPRBlocks: 0
; NumSGPRsForWavesPerEU: 4
; NumVGPRsForWavesPerEU: 1
; AccumOffset: 4
; Occupancy: 8
; WaveLimiterHint : 0
; COMPUTE_PGM_RSRC2:SCRATCH_EN: 0
; COMPUTE_PGM_RSRC2:USER_SGPR: 6
; COMPUTE_PGM_RSRC2:TRAP_HANDLER: 0
; COMPUTE_PGM_RSRC2:TGID_X_EN: 1
; COMPUTE_PGM_RSRC2:TGID_Y_EN: 0
; COMPUTE_PGM_RSRC2:TGID_Z_EN: 0
; COMPUTE_PGM_RSRC2:TIDIG_COMP_CNT: 0
; COMPUTE_PGM_RSRC3_GFX90A:ACCUM_OFFSET: 0
; COMPUTE_PGM_RSRC3_GFX90A:TG_SPLIT: 0
	.section	.text._ZN7rocprim17ROCPRIM_400000_NS6detail17trampoline_kernelINS0_14default_configENS1_37merge_sort_block_sort_config_selectorIlNS0_10empty_typeEEEZNS1_21merge_sort_block_sortIS3_PlS8_PS5_S9_ZN2at6native12_GLOBAL__N_124unique_dim_cuda_templateIbEESt5tupleIJNSA_6TensorESF_SF_EERKSF_lbbbEUlllE_EE10hipError_tT0_T1_T2_T3_mRjT4_P12ihipStream_tbNS1_7vsmem_tEEUlT_E_NS1_11comp_targetILNS1_3genE4ELNS1_11target_archE910ELNS1_3gpuE8ELNS1_3repE0EEENS1_30default_config_static_selectorELNS0_4arch9wavefront6targetE1EEEvSM_,"axG",@progbits,_ZN7rocprim17ROCPRIM_400000_NS6detail17trampoline_kernelINS0_14default_configENS1_37merge_sort_block_sort_config_selectorIlNS0_10empty_typeEEEZNS1_21merge_sort_block_sortIS3_PlS8_PS5_S9_ZN2at6native12_GLOBAL__N_124unique_dim_cuda_templateIbEESt5tupleIJNSA_6TensorESF_SF_EERKSF_lbbbEUlllE_EE10hipError_tT0_T1_T2_T3_mRjT4_P12ihipStream_tbNS1_7vsmem_tEEUlT_E_NS1_11comp_targetILNS1_3genE4ELNS1_11target_archE910ELNS1_3gpuE8ELNS1_3repE0EEENS1_30default_config_static_selectorELNS0_4arch9wavefront6targetE1EEEvSM_,comdat
	.globl	_ZN7rocprim17ROCPRIM_400000_NS6detail17trampoline_kernelINS0_14default_configENS1_37merge_sort_block_sort_config_selectorIlNS0_10empty_typeEEEZNS1_21merge_sort_block_sortIS3_PlS8_PS5_S9_ZN2at6native12_GLOBAL__N_124unique_dim_cuda_templateIbEESt5tupleIJNSA_6TensorESF_SF_EERKSF_lbbbEUlllE_EE10hipError_tT0_T1_T2_T3_mRjT4_P12ihipStream_tbNS1_7vsmem_tEEUlT_E_NS1_11comp_targetILNS1_3genE4ELNS1_11target_archE910ELNS1_3gpuE8ELNS1_3repE0EEENS1_30default_config_static_selectorELNS0_4arch9wavefront6targetE1EEEvSM_ ; -- Begin function _ZN7rocprim17ROCPRIM_400000_NS6detail17trampoline_kernelINS0_14default_configENS1_37merge_sort_block_sort_config_selectorIlNS0_10empty_typeEEEZNS1_21merge_sort_block_sortIS3_PlS8_PS5_S9_ZN2at6native12_GLOBAL__N_124unique_dim_cuda_templateIbEESt5tupleIJNSA_6TensorESF_SF_EERKSF_lbbbEUlllE_EE10hipError_tT0_T1_T2_T3_mRjT4_P12ihipStream_tbNS1_7vsmem_tEEUlT_E_NS1_11comp_targetILNS1_3genE4ELNS1_11target_archE910ELNS1_3gpuE8ELNS1_3repE0EEENS1_30default_config_static_selectorELNS0_4arch9wavefront6targetE1EEEvSM_
	.p2align	8
	.type	_ZN7rocprim17ROCPRIM_400000_NS6detail17trampoline_kernelINS0_14default_configENS1_37merge_sort_block_sort_config_selectorIlNS0_10empty_typeEEEZNS1_21merge_sort_block_sortIS3_PlS8_PS5_S9_ZN2at6native12_GLOBAL__N_124unique_dim_cuda_templateIbEESt5tupleIJNSA_6TensorESF_SF_EERKSF_lbbbEUlllE_EE10hipError_tT0_T1_T2_T3_mRjT4_P12ihipStream_tbNS1_7vsmem_tEEUlT_E_NS1_11comp_targetILNS1_3genE4ELNS1_11target_archE910ELNS1_3gpuE8ELNS1_3repE0EEENS1_30default_config_static_selectorELNS0_4arch9wavefront6targetE1EEEvSM_,@function
_ZN7rocprim17ROCPRIM_400000_NS6detail17trampoline_kernelINS0_14default_configENS1_37merge_sort_block_sort_config_selectorIlNS0_10empty_typeEEEZNS1_21merge_sort_block_sortIS3_PlS8_PS5_S9_ZN2at6native12_GLOBAL__N_124unique_dim_cuda_templateIbEESt5tupleIJNSA_6TensorESF_SF_EERKSF_lbbbEUlllE_EE10hipError_tT0_T1_T2_T3_mRjT4_P12ihipStream_tbNS1_7vsmem_tEEUlT_E_NS1_11comp_targetILNS1_3genE4ELNS1_11target_archE910ELNS1_3gpuE8ELNS1_3repE0EEENS1_30default_config_static_selectorELNS0_4arch9wavefront6targetE1EEEvSM_: ; @_ZN7rocprim17ROCPRIM_400000_NS6detail17trampoline_kernelINS0_14default_configENS1_37merge_sort_block_sort_config_selectorIlNS0_10empty_typeEEEZNS1_21merge_sort_block_sortIS3_PlS8_PS5_S9_ZN2at6native12_GLOBAL__N_124unique_dim_cuda_templateIbEESt5tupleIJNSA_6TensorESF_SF_EERKSF_lbbbEUlllE_EE10hipError_tT0_T1_T2_T3_mRjT4_P12ihipStream_tbNS1_7vsmem_tEEUlT_E_NS1_11comp_targetILNS1_3genE4ELNS1_11target_archE910ELNS1_3gpuE8ELNS1_3repE0EEENS1_30default_config_static_selectorELNS0_4arch9wavefront6targetE1EEEvSM_
; %bb.0:
	s_load_dwordx2 s[18:19], s[4:5], 0x48
	s_load_dword s0, s[4:5], 0x0
	s_add_u32 s10, s4, 0x48
	s_addc_u32 s11, s5, 0
	s_waitcnt lgkmcnt(0)
	s_mul_i32 s1, s19, s8
	s_add_i32 s1, s1, s7
	s_mul_i32 s1, s1, s18
	s_add_i32 s20, s1, s6
	s_cmp_ge_u32 s20, s0
	s_cbranch_scc1 .LBB995_725
; %bb.1:
	s_load_dwordx2 s[22:23], s[4:5], 0x8
	s_load_dwordx4 s[0:3], s[4:5], 0x18
	s_load_dwordx4 s[12:15], s[4:5], 0x38
	s_mov_b32 s21, 0
	s_lshl_b64 s[4:5], s[20:21], 13
	s_waitcnt lgkmcnt(0)
	s_lshr_b64 s[24:25], s[22:23], 10
	s_add_u32 s8, s0, s4
	s_addc_u32 s9, s1, s5
	s_add_u32 s16, s2, s4
	s_addc_u32 s17, s3, s5
	v_and_b32_e32 v12, 0x3ff, v0
	s_cmp_lg_u64 s[24:25], s[20:21]
	v_bfe_u32 v24, v0, 10, 10
	v_bfe_u32 v25, v0, 20, 10
	v_lshlrev_b32_e32 v22, 3, v12
	v_lshrrev_b32_e32 v27, 2, v12
	v_lshlrev_b32_e32 v23, 2, v12
	v_lshrrev_b32_e32 v26, 3, v12
	v_cmp_gt_i64_e64 s[24:25], s[12:13], 0
	s_cbranch_scc0 .LBB995_8
; %bb.2:
	v_mov_b32_e32 v0, s9
	v_add_co_u32_e32 v4, vcc, s8, v22
	v_addc_co_u32_e32 v5, vcc, 0, v0, vcc
	v_add_co_u32_e32 v4, vcc, 0x1000, v4
	v_addc_co_u32_e32 v5, vcc, 0, v5, vcc
	global_load_dwordx2 v[0:1], v22, s[8:9]
	global_load_dwordx2 v[2:3], v22, s[8:9] offset:2048
	global_load_dwordx2 v[6:7], v[4:5], off
	global_load_dwordx2 v[8:9], v[4:5], off offset:2048
	v_and_b32_e32 v4, 0xf8, v27
	v_add_u32_e32 v5, 0x100, v12
	v_add_u32_e32 v10, 0x200, v12
	;; [unrolled: 1-line block ×4, first 2 shown]
	v_lshrrev_b32_e32 v4, 2, v5
	v_lshrrev_b32_e32 v5, 2, v10
	;; [unrolled: 1-line block ×3, first 2 shown]
	v_add_lshl_u32 v29, v26, v23, 3
	v_and_b32_e32 v4, 0x1f8, v4
	v_and_b32_e32 v5, 0x1f8, v5
	;; [unrolled: 1-line block ×3, first 2 shown]
	v_add_u32_e32 v30, v4, v22
	v_add_u32_e32 v31, v5, v22
	;; [unrolled: 1-line block ×3, first 2 shown]
	v_mov_b32_e32 v13, 0
	v_cndmask_b32_e64 v15, 0, 1, s[24:25]
	s_waitcnt vmcnt(3)
	ds_write_b64 v28, v[0:1]
	s_waitcnt vmcnt(2)
	ds_write_b64 v30, v[2:3] offset:2048
	s_waitcnt vmcnt(1)
	ds_write_b64 v31, v[6:7] offset:4096
	s_waitcnt vmcnt(0)
	ds_write_b64 v32, v[8:9] offset:6144
	s_waitcnt lgkmcnt(0)
	s_barrier
	ds_read2_b64 v[8:11], v29 offset1:1
	ds_read2_b64 v[4:7], v29 offset0:2 offset1:3
	s_waitcnt lgkmcnt(0)
	s_barrier
	s_load_dword s0, s[10:11], 0xc
	v_mov_b32_e32 v0, v8
	v_mov_b32_e32 v1, v9
	;; [unrolled: 1-line block ×4, first 2 shown]
	s_waitcnt lgkmcnt(0)
	s_lshr_b32 s2, s0, 16
	s_cmp_lt_u32 s6, s18
	s_cselect_b32 s0, 12, 18
	s_add_u32 s0, s10, s0
	s_addc_u32 s1, s11, 0
	global_load_ushort v14, v13, s[0:1]
	v_mad_u32_u24 v16, v25, s2, v24
	s_movk_i32 s0, 0x400
	s_waitcnt vmcnt(0)
	v_mul_lo_u32 v14, v16, v14
	v_add_lshl_u32 v33, v14, v12, 2
	v_cmp_gt_u32_e32 vcc, s0, v33
	v_cmp_ne_u32_e64 s[0:1], 1, v15
	s_and_saveexec_b64 s[4:5], vcc
	s_cbranch_execz .LBB995_60
; %bb.3:
	s_and_b64 vcc, exec, s[0:1]
	s_cbranch_vccnz .LBB995_14
; %bb.4:
	v_pk_mov_b32 v[16:17], s[14:15], s[14:15] op_sel:[0,1]
	v_mad_u64_u32 v[14:15], s[2:3], v10, s12, v[16:17]
	v_mul_lo_u32 v18, v10, s13
	v_mul_lo_u32 v19, v11, s12
	v_add3_u32 v15, v19, v15, v18
	v_mad_u64_u32 v[16:17], s[2:3], v8, s12, v[16:17]
	v_mul_lo_u32 v18, v8, s13
	v_mul_lo_u32 v19, v9, s12
	v_add3_u32 v17, v19, v17, v18
	s_mov_b64 s[28:29], 0
	s_mov_b64 s[40:41], s[12:13]
                                        ; implicit-def: $sgpr26_sgpr27
                                        ; implicit-def: $sgpr30_sgpr31
                                        ; implicit-def: $sgpr36_sgpr37
                                        ; implicit-def: $sgpr34_sgpr35
                                        ; implicit-def: $sgpr38_sgpr39
                                        ; implicit-def: $sgpr42_sgpr43
	s_branch .LBB995_6
.LBB995_5:                              ;   in Loop: Header=BB995_6 Depth=1
	s_or_b64 exec, exec, s[44:45]
	s_and_b64 s[44:45], exec, s[36:37]
	s_or_b64 s[28:29], s[44:45], s[28:29]
	s_andn2_b64 s[42:43], s[42:43], exec
	s_and_b64 s[44:45], s[38:39], exec
	s_or_b64 s[42:43], s[42:43], s[44:45]
	s_andn2_b64 s[30:31], s[30:31], exec
	s_and_b64 s[44:45], s[34:35], exec
	s_andn2_b64 s[26:27], s[26:27], exec
	s_and_b64 s[2:3], s[2:3], exec
	s_or_b64 s[30:31], s[30:31], s[44:45]
	s_or_b64 s[26:27], s[26:27], s[2:3]
	s_andn2_b64 exec, exec, s[28:29]
	s_cbranch_execz .LBB995_9
.LBB995_6:                              ; =>This Inner Loop Header: Depth=1
	global_load_ubyte v18, v[14:15], off
	global_load_ubyte v19, v[16:17], off
	s_andn2_b64 s[38:39], s[38:39], exec
	s_or_b64 s[34:35], s[34:35], exec
	s_or_b64 s[36:37], s[36:37], exec
	s_waitcnt vmcnt(1)
	v_cmp_eq_u16_e32 vcc, 0, v18
	s_waitcnt vmcnt(0)
	v_cmp_ne_u16_e64 s[2:3], 0, v19
	s_or_b64 s[46:47], vcc, s[2:3]
	s_and_b64 s[44:45], vcc, s[2:3]
	s_xor_b64 s[48:49], vcc, s[2:3]
	s_and_b64 s[2:3], s[46:47], s[42:43]
	s_or_b64 s[2:3], s[44:45], s[2:3]
	s_and_saveexec_b64 s[44:45], s[48:49]
	s_cbranch_execz .LBB995_5
; %bb.7:                                ;   in Loop: Header=BB995_6 Depth=1
	s_add_u32 s40, s40, -1
	s_addc_u32 s41, s41, -1
	v_add_co_u32_e32 v14, vcc, 1, v14
	s_cmp_eq_u64 s[40:41], 0
	v_addc_co_u32_e32 v15, vcc, 0, v15, vcc
	s_cselect_b64 s[42:43], -1, 0
	v_add_co_u32_e32 v16, vcc, 1, v16
	s_andn2_b64 s[38:39], s[38:39], exec
	s_and_b64 s[46:47], s[2:3], exec
	s_andn2_b64 s[36:37], s[36:37], exec
	s_and_b64 s[42:43], s[42:43], exec
	v_addc_co_u32_e32 v17, vcc, 0, v17, vcc
	s_or_b64 s[38:39], s[38:39], s[46:47]
	s_andn2_b64 s[34:35], s[34:35], exec
	s_or_b64 s[36:37], s[36:37], s[42:43]
                                        ; implicit-def: $sgpr42_sgpr43
	s_branch .LBB995_5
.LBB995_8:
	s_mov_b64 s[24:25], 0
                                        ; implicit-def: $vgpr0_vgpr1
	s_cbranch_execnz .LBB995_429
	s_branch .LBB995_723
.LBB995_9:
	s_or_b64 exec, exec, s[28:29]
	s_and_saveexec_b64 s[2:3], s[30:31]
	s_xor_b64 s[2:3], exec, s[2:3]
	s_cbranch_execz .LBB995_13
; %bb.10:
	v_pk_mov_b32 v[14:15], v[10:11], v[10:11] op_sel:[0,1]
	s_and_saveexec_b64 s[28:29], s[26:27]
; %bb.11:
	v_mov_b32_e32 v0, v10
	v_mov_b32_e32 v1, v11
	;; [unrolled: 1-line block ×4, first 2 shown]
	v_pk_mov_b32 v[14:15], v[8:9], v[8:9] op_sel:[0,1]
	v_pk_mov_b32 v[8:9], v[10:11], v[10:11] op_sel:[0,1]
; %bb.12:
	s_or_b64 exec, exec, s[28:29]
	v_pk_mov_b32 v[10:11], v[14:15], v[14:15] op_sel:[0,1]
.LBB995_13:
	s_or_b64 exec, exec, s[2:3]
.LBB995_14:
	v_mov_b32_e32 v16, v6
	v_mov_b32_e32 v17, v7
	;; [unrolled: 1-line block ×3, first 2 shown]
	s_and_b64 vcc, exec, s[0:1]
	v_mov_b32_e32 v15, v5
	s_cbranch_vccnz .LBB995_24
; %bb.15:
	v_pk_mov_b32 v[20:21], s[14:15], s[14:15] op_sel:[0,1]
	v_mad_u64_u32 v[18:19], s[2:3], v6, s12, v[20:21]
	v_mul_lo_u32 v34, v6, s13
	v_mul_lo_u32 v35, v7, s12
	v_add3_u32 v19, v35, v19, v34
	v_mad_u64_u32 v[20:21], s[2:3], v4, s12, v[20:21]
	v_mul_lo_u32 v34, v4, s13
	v_mul_lo_u32 v35, v5, s12
	v_add3_u32 v21, v35, v21, v34
	s_mov_b64 s[28:29], 0
	s_mov_b64 s[40:41], s[12:13]
                                        ; implicit-def: $sgpr26_sgpr27
                                        ; implicit-def: $sgpr30_sgpr31
                                        ; implicit-def: $sgpr36_sgpr37
                                        ; implicit-def: $sgpr34_sgpr35
                                        ; implicit-def: $sgpr38_sgpr39
                                        ; implicit-def: $sgpr42_sgpr43
	s_branch .LBB995_17
.LBB995_16:                             ;   in Loop: Header=BB995_17 Depth=1
	s_or_b64 exec, exec, s[44:45]
	s_and_b64 s[44:45], exec, s[36:37]
	s_or_b64 s[28:29], s[44:45], s[28:29]
	s_andn2_b64 s[42:43], s[42:43], exec
	s_and_b64 s[44:45], s[38:39], exec
	s_or_b64 s[42:43], s[42:43], s[44:45]
	s_andn2_b64 s[30:31], s[30:31], exec
	s_and_b64 s[44:45], s[34:35], exec
	s_andn2_b64 s[26:27], s[26:27], exec
	s_and_b64 s[2:3], s[2:3], exec
	s_or_b64 s[30:31], s[30:31], s[44:45]
	s_or_b64 s[26:27], s[26:27], s[2:3]
	s_andn2_b64 exec, exec, s[28:29]
	s_cbranch_execz .LBB995_19
.LBB995_17:                             ; =>This Inner Loop Header: Depth=1
	global_load_ubyte v34, v[18:19], off
	global_load_ubyte v35, v[20:21], off
	s_andn2_b64 s[38:39], s[38:39], exec
	s_or_b64 s[34:35], s[34:35], exec
	s_or_b64 s[36:37], s[36:37], exec
	s_waitcnt vmcnt(1)
	v_cmp_eq_u16_e32 vcc, 0, v34
	s_waitcnt vmcnt(0)
	v_cmp_ne_u16_e64 s[2:3], 0, v35
	s_or_b64 s[46:47], vcc, s[2:3]
	s_and_b64 s[44:45], vcc, s[2:3]
	s_xor_b64 s[48:49], vcc, s[2:3]
	s_and_b64 s[2:3], s[46:47], s[42:43]
	s_or_b64 s[2:3], s[44:45], s[2:3]
	s_and_saveexec_b64 s[44:45], s[48:49]
	s_cbranch_execz .LBB995_16
; %bb.18:                               ;   in Loop: Header=BB995_17 Depth=1
	s_add_u32 s40, s40, -1
	s_addc_u32 s41, s41, -1
	v_add_co_u32_e32 v18, vcc, 1, v18
	s_cmp_eq_u64 s[40:41], 0
	v_addc_co_u32_e32 v19, vcc, 0, v19, vcc
	s_cselect_b64 s[42:43], -1, 0
	v_add_co_u32_e32 v20, vcc, 1, v20
	s_andn2_b64 s[38:39], s[38:39], exec
	s_and_b64 s[46:47], s[2:3], exec
	s_andn2_b64 s[36:37], s[36:37], exec
	s_and_b64 s[42:43], s[42:43], exec
	v_addc_co_u32_e32 v21, vcc, 0, v21, vcc
	s_or_b64 s[38:39], s[38:39], s[46:47]
	s_andn2_b64 s[34:35], s[34:35], exec
	s_or_b64 s[36:37], s[36:37], s[42:43]
                                        ; implicit-def: $sgpr42_sgpr43
	s_branch .LBB995_16
.LBB995_19:
	s_or_b64 exec, exec, s[28:29]
	s_and_saveexec_b64 s[2:3], s[30:31]
	s_xor_b64 s[2:3], exec, s[2:3]
	s_cbranch_execz .LBB995_23
; %bb.20:
	s_and_saveexec_b64 s[28:29], s[26:27]
	s_cbranch_execz .LBB995_22
; %bb.21:
	v_mov_b32_e32 v34, v0
	v_mov_b32_e32 v35, v1
	;; [unrolled: 1-line block ×8, first 2 shown]
	v_pk_mov_b32 v[18:19], v[16:17], v[16:17] op_sel:[0,1]
	v_pk_mov_b32 v[0:1], v[34:35], v[34:35] op_sel:[0,1]
	;; [unrolled: 1-line block ×7, first 2 shown]
.LBB995_22:
	s_or_b64 exec, exec, s[28:29]
.LBB995_23:
	s_or_b64 exec, exec, s[2:3]
.LBB995_24:
	s_and_b64 vcc, exec, s[24:25]
	s_cbranch_vccz .LBB995_34
; %bb.25:
	v_pk_mov_b32 v[20:21], s[14:15], s[14:15] op_sel:[0,1]
	v_mad_u64_u32 v[18:19], s[2:3], v14, s12, v[20:21]
	v_mul_lo_u32 v34, v14, s13
	v_mul_lo_u32 v35, v15, s12
	v_add3_u32 v19, v35, v19, v34
	v_mad_u64_u32 v[20:21], s[2:3], v10, s12, v[20:21]
	v_mul_lo_u32 v34, v10, s13
	v_mul_lo_u32 v35, v11, s12
	v_add3_u32 v21, v35, v21, v34
	s_mov_b64 s[26:27], 0
	s_mov_b64 s[38:39], s[12:13]
                                        ; implicit-def: $sgpr24_sgpr25
                                        ; implicit-def: $sgpr28_sgpr29
                                        ; implicit-def: $sgpr34_sgpr35
                                        ; implicit-def: $sgpr30_sgpr31
                                        ; implicit-def: $sgpr36_sgpr37
                                        ; implicit-def: $sgpr40_sgpr41
	s_branch .LBB995_27
.LBB995_26:                             ;   in Loop: Header=BB995_27 Depth=1
	s_or_b64 exec, exec, s[42:43]
	s_and_b64 s[42:43], exec, s[34:35]
	s_or_b64 s[26:27], s[42:43], s[26:27]
	s_andn2_b64 s[40:41], s[40:41], exec
	s_and_b64 s[42:43], s[36:37], exec
	s_or_b64 s[40:41], s[40:41], s[42:43]
	s_andn2_b64 s[28:29], s[28:29], exec
	s_and_b64 s[42:43], s[30:31], exec
	s_andn2_b64 s[24:25], s[24:25], exec
	s_and_b64 s[2:3], s[2:3], exec
	s_or_b64 s[28:29], s[28:29], s[42:43]
	s_or_b64 s[24:25], s[24:25], s[2:3]
	s_andn2_b64 exec, exec, s[26:27]
	s_cbranch_execz .LBB995_29
.LBB995_27:                             ; =>This Inner Loop Header: Depth=1
	global_load_ubyte v34, v[18:19], off
	global_load_ubyte v35, v[20:21], off
	s_andn2_b64 s[36:37], s[36:37], exec
	s_or_b64 s[30:31], s[30:31], exec
	s_or_b64 s[34:35], s[34:35], exec
	s_waitcnt vmcnt(1)
	v_cmp_eq_u16_e32 vcc, 0, v34
	s_waitcnt vmcnt(0)
	v_cmp_ne_u16_e64 s[2:3], 0, v35
	s_or_b64 s[44:45], vcc, s[2:3]
	s_and_b64 s[42:43], vcc, s[2:3]
	s_xor_b64 s[46:47], vcc, s[2:3]
	s_and_b64 s[2:3], s[44:45], s[40:41]
	s_or_b64 s[2:3], s[42:43], s[2:3]
	s_and_saveexec_b64 s[42:43], s[46:47]
	s_cbranch_execz .LBB995_26
; %bb.28:                               ;   in Loop: Header=BB995_27 Depth=1
	s_add_u32 s38, s38, -1
	s_addc_u32 s39, s39, -1
	v_add_co_u32_e32 v18, vcc, 1, v18
	s_cmp_eq_u64 s[38:39], 0
	v_addc_co_u32_e32 v19, vcc, 0, v19, vcc
	s_cselect_b64 s[40:41], -1, 0
	v_add_co_u32_e32 v20, vcc, 1, v20
	s_andn2_b64 s[36:37], s[36:37], exec
	s_and_b64 s[44:45], s[2:3], exec
	s_andn2_b64 s[34:35], s[34:35], exec
	s_and_b64 s[40:41], s[40:41], exec
	v_addc_co_u32_e32 v21, vcc, 0, v21, vcc
	s_or_b64 s[36:37], s[36:37], s[44:45]
	s_andn2_b64 s[30:31], s[30:31], exec
	s_or_b64 s[34:35], s[34:35], s[40:41]
                                        ; implicit-def: $sgpr40_sgpr41
	s_branch .LBB995_26
.LBB995_29:
	s_or_b64 exec, exec, s[26:27]
	s_and_saveexec_b64 s[2:3], s[28:29]
	s_xor_b64 s[2:3], exec, s[2:3]
	s_cbranch_execz .LBB995_33
; %bb.30:
	v_pk_mov_b32 v[18:19], v[10:11], v[10:11] op_sel:[0,1]
	s_and_saveexec_b64 s[26:27], s[24:25]
; %bb.31:
	v_mov_b32_e32 v2, v14
	v_mov_b32_e32 v3, v15
	;; [unrolled: 1-line block ×4, first 2 shown]
	v_pk_mov_b32 v[18:19], v[14:15], v[14:15] op_sel:[0,1]
	v_pk_mov_b32 v[14:15], v[10:11], v[10:11] op_sel:[0,1]
; %bb.32:
	s_or_b64 exec, exec, s[26:27]
	v_pk_mov_b32 v[10:11], v[18:19], v[18:19] op_sel:[0,1]
.LBB995_33:
	s_or_b64 exec, exec, s[2:3]
.LBB995_34:
	s_and_b64 vcc, exec, s[0:1]
	s_cbranch_vccnz .LBB995_44
; %bb.35:
	v_pk_mov_b32 v[20:21], s[14:15], s[14:15] op_sel:[0,1]
	v_mad_u64_u32 v[18:19], s[2:3], v10, s12, v[20:21]
	v_mul_lo_u32 v34, v10, s13
	v_mul_lo_u32 v35, v11, s12
	v_add3_u32 v19, v35, v19, v34
	v_mad_u64_u32 v[20:21], s[2:3], v8, s12, v[20:21]
	v_mul_lo_u32 v34, v8, s13
	v_mul_lo_u32 v35, v9, s12
	v_add3_u32 v21, v35, v21, v34
	s_mov_b64 s[26:27], 0
	s_mov_b64 s[38:39], s[12:13]
                                        ; implicit-def: $sgpr24_sgpr25
                                        ; implicit-def: $sgpr28_sgpr29
                                        ; implicit-def: $sgpr34_sgpr35
                                        ; implicit-def: $sgpr30_sgpr31
                                        ; implicit-def: $sgpr36_sgpr37
                                        ; implicit-def: $sgpr40_sgpr41
	s_branch .LBB995_37
.LBB995_36:                             ;   in Loop: Header=BB995_37 Depth=1
	s_or_b64 exec, exec, s[42:43]
	s_and_b64 s[42:43], exec, s[34:35]
	s_or_b64 s[26:27], s[42:43], s[26:27]
	s_andn2_b64 s[40:41], s[40:41], exec
	s_and_b64 s[42:43], s[36:37], exec
	s_or_b64 s[40:41], s[40:41], s[42:43]
	s_andn2_b64 s[28:29], s[28:29], exec
	s_and_b64 s[42:43], s[30:31], exec
	s_andn2_b64 s[24:25], s[24:25], exec
	s_and_b64 s[2:3], s[2:3], exec
	s_or_b64 s[28:29], s[28:29], s[42:43]
	s_or_b64 s[24:25], s[24:25], s[2:3]
	s_andn2_b64 exec, exec, s[26:27]
	s_cbranch_execz .LBB995_39
.LBB995_37:                             ; =>This Inner Loop Header: Depth=1
	global_load_ubyte v34, v[18:19], off
	global_load_ubyte v35, v[20:21], off
	s_andn2_b64 s[36:37], s[36:37], exec
	s_or_b64 s[30:31], s[30:31], exec
	s_or_b64 s[34:35], s[34:35], exec
	s_waitcnt vmcnt(1)
	v_cmp_eq_u16_e32 vcc, 0, v34
	s_waitcnt vmcnt(0)
	v_cmp_ne_u16_e64 s[2:3], 0, v35
	s_or_b64 s[44:45], vcc, s[2:3]
	s_and_b64 s[42:43], vcc, s[2:3]
	s_xor_b64 s[46:47], vcc, s[2:3]
	s_and_b64 s[2:3], s[44:45], s[40:41]
	s_or_b64 s[2:3], s[42:43], s[2:3]
	s_and_saveexec_b64 s[42:43], s[46:47]
	s_cbranch_execz .LBB995_36
; %bb.38:                               ;   in Loop: Header=BB995_37 Depth=1
	s_add_u32 s38, s38, -1
	s_addc_u32 s39, s39, -1
	v_add_co_u32_e32 v18, vcc, 1, v18
	s_cmp_eq_u64 s[38:39], 0
	v_addc_co_u32_e32 v19, vcc, 0, v19, vcc
	s_cselect_b64 s[40:41], -1, 0
	v_add_co_u32_e32 v20, vcc, 1, v20
	s_andn2_b64 s[36:37], s[36:37], exec
	s_and_b64 s[44:45], s[2:3], exec
	s_andn2_b64 s[34:35], s[34:35], exec
	s_and_b64 s[40:41], s[40:41], exec
	v_addc_co_u32_e32 v21, vcc, 0, v21, vcc
	s_or_b64 s[36:37], s[36:37], s[44:45]
	s_andn2_b64 s[30:31], s[30:31], exec
	s_or_b64 s[34:35], s[34:35], s[40:41]
                                        ; implicit-def: $sgpr40_sgpr41
	s_branch .LBB995_36
.LBB995_39:
	s_or_b64 exec, exec, s[26:27]
	s_and_saveexec_b64 s[2:3], s[28:29]
	s_xor_b64 s[2:3], exec, s[2:3]
	s_cbranch_execz .LBB995_43
; %bb.40:
	v_pk_mov_b32 v[18:19], v[10:11], v[10:11] op_sel:[0,1]
	s_and_saveexec_b64 s[26:27], s[24:25]
; %bb.41:
	v_mov_b32_e32 v0, v10
	v_mov_b32_e32 v1, v11
	;; [unrolled: 1-line block ×4, first 2 shown]
	v_pk_mov_b32 v[18:19], v[8:9], v[8:9] op_sel:[0,1]
	v_pk_mov_b32 v[8:9], v[10:11], v[10:11] op_sel:[0,1]
; %bb.42:
	s_or_b64 exec, exec, s[26:27]
	v_pk_mov_b32 v[10:11], v[18:19], v[18:19] op_sel:[0,1]
.LBB995_43:
	s_or_b64 exec, exec, s[2:3]
.LBB995_44:
	s_and_b64 vcc, exec, s[0:1]
	s_cbranch_vccnz .LBB995_52
; %bb.45:
	v_pk_mov_b32 v[20:21], s[14:15], s[14:15] op_sel:[0,1]
	v_mad_u64_u32 v[18:19], s[2:3], v16, s12, v[20:21]
	v_mul_lo_u32 v34, v16, s13
	v_mul_lo_u32 v35, v17, s12
	v_add3_u32 v19, v35, v19, v34
	v_mad_u64_u32 v[20:21], s[2:3], v14, s12, v[20:21]
	v_mul_lo_u32 v34, v14, s13
	v_mul_lo_u32 v35, v15, s12
	v_add3_u32 v21, v35, v21, v34
	s_mov_b64 s[26:27], 0
	s_mov_b64 s[38:39], s[12:13]
                                        ; implicit-def: $sgpr24_sgpr25
                                        ; implicit-def: $sgpr28_sgpr29
                                        ; implicit-def: $sgpr34_sgpr35
                                        ; implicit-def: $sgpr30_sgpr31
                                        ; implicit-def: $sgpr36_sgpr37
                                        ; implicit-def: $sgpr40_sgpr41
	s_branch .LBB995_47
.LBB995_46:                             ;   in Loop: Header=BB995_47 Depth=1
	s_or_b64 exec, exec, s[42:43]
	s_and_b64 s[42:43], exec, s[34:35]
	s_or_b64 s[26:27], s[42:43], s[26:27]
	s_andn2_b64 s[40:41], s[40:41], exec
	s_and_b64 s[42:43], s[36:37], exec
	s_or_b64 s[40:41], s[40:41], s[42:43]
	s_andn2_b64 s[28:29], s[28:29], exec
	s_and_b64 s[42:43], s[30:31], exec
	s_andn2_b64 s[24:25], s[24:25], exec
	s_and_b64 s[2:3], s[2:3], exec
	s_or_b64 s[28:29], s[28:29], s[42:43]
	s_or_b64 s[24:25], s[24:25], s[2:3]
	s_andn2_b64 exec, exec, s[26:27]
	s_cbranch_execz .LBB995_49
.LBB995_47:                             ; =>This Inner Loop Header: Depth=1
	global_load_ubyte v34, v[18:19], off
	global_load_ubyte v35, v[20:21], off
	s_andn2_b64 s[36:37], s[36:37], exec
	s_or_b64 s[30:31], s[30:31], exec
	s_or_b64 s[34:35], s[34:35], exec
	s_waitcnt vmcnt(1)
	v_cmp_eq_u16_e32 vcc, 0, v34
	s_waitcnt vmcnt(0)
	v_cmp_ne_u16_e64 s[2:3], 0, v35
	s_or_b64 s[44:45], vcc, s[2:3]
	s_and_b64 s[42:43], vcc, s[2:3]
	s_xor_b64 s[46:47], vcc, s[2:3]
	s_and_b64 s[2:3], s[44:45], s[40:41]
	s_or_b64 s[2:3], s[42:43], s[2:3]
	s_and_saveexec_b64 s[42:43], s[46:47]
	s_cbranch_execz .LBB995_46
; %bb.48:                               ;   in Loop: Header=BB995_47 Depth=1
	s_add_u32 s38, s38, -1
	s_addc_u32 s39, s39, -1
	v_add_co_u32_e32 v18, vcc, 1, v18
	s_cmp_eq_u64 s[38:39], 0
	v_addc_co_u32_e32 v19, vcc, 0, v19, vcc
	s_cselect_b64 s[40:41], -1, 0
	v_add_co_u32_e32 v20, vcc, 1, v20
	s_andn2_b64 s[36:37], s[36:37], exec
	s_and_b64 s[44:45], s[2:3], exec
	s_andn2_b64 s[34:35], s[34:35], exec
	s_and_b64 s[40:41], s[40:41], exec
	v_addc_co_u32_e32 v21, vcc, 0, v21, vcc
	s_or_b64 s[36:37], s[36:37], s[44:45]
	s_andn2_b64 s[30:31], s[30:31], exec
	s_or_b64 s[34:35], s[34:35], s[40:41]
                                        ; implicit-def: $sgpr40_sgpr41
	s_branch .LBB995_46
.LBB995_49:
	s_or_b64 exec, exec, s[26:27]
	s_and_saveexec_b64 s[2:3], s[28:29]
	s_xor_b64 s[2:3], exec, s[2:3]
; %bb.50:
	v_cndmask_b32_e64 v7, v7, v15, s[24:25]
	v_cndmask_b32_e64 v6, v6, v14, s[24:25]
	;; [unrolled: 1-line block ×6, first 2 shown]
; %bb.51:
	s_or_b64 exec, exec, s[2:3]
.LBB995_52:
	s_and_b64 vcc, exec, s[0:1]
	s_cbranch_vccnz .LBB995_60
; %bb.53:
	v_pk_mov_b32 v[18:19], s[14:15], s[14:15] op_sel:[0,1]
	v_mad_u64_u32 v[16:17], s[2:3], v14, s12, v[18:19]
	v_mul_lo_u32 v20, v14, s13
	v_mul_lo_u32 v21, v15, s12
	v_add3_u32 v17, v21, v17, v20
	v_mad_u64_u32 v[18:19], s[2:3], v10, s12, v[18:19]
	v_mul_lo_u32 v20, v10, s13
	v_mul_lo_u32 v21, v11, s12
	v_add3_u32 v19, v21, v19, v20
	s_mov_b64 s[26:27], 0
	s_mov_b64 s[38:39], s[12:13]
                                        ; implicit-def: $sgpr24_sgpr25
                                        ; implicit-def: $sgpr28_sgpr29
                                        ; implicit-def: $sgpr34_sgpr35
                                        ; implicit-def: $sgpr30_sgpr31
                                        ; implicit-def: $sgpr36_sgpr37
                                        ; implicit-def: $sgpr40_sgpr41
	s_branch .LBB995_55
.LBB995_54:                             ;   in Loop: Header=BB995_55 Depth=1
	s_or_b64 exec, exec, s[42:43]
	s_and_b64 s[42:43], exec, s[34:35]
	s_or_b64 s[26:27], s[42:43], s[26:27]
	s_andn2_b64 s[40:41], s[40:41], exec
	s_and_b64 s[42:43], s[36:37], exec
	s_or_b64 s[40:41], s[40:41], s[42:43]
	s_andn2_b64 s[28:29], s[28:29], exec
	s_and_b64 s[42:43], s[30:31], exec
	s_andn2_b64 s[24:25], s[24:25], exec
	s_and_b64 s[2:3], s[2:3], exec
	s_or_b64 s[28:29], s[28:29], s[42:43]
	s_or_b64 s[24:25], s[24:25], s[2:3]
	s_andn2_b64 exec, exec, s[26:27]
	s_cbranch_execz .LBB995_57
.LBB995_55:                             ; =>This Inner Loop Header: Depth=1
	global_load_ubyte v20, v[16:17], off
	global_load_ubyte v21, v[18:19], off
	s_andn2_b64 s[36:37], s[36:37], exec
	s_or_b64 s[30:31], s[30:31], exec
	s_or_b64 s[34:35], s[34:35], exec
	s_waitcnt vmcnt(1)
	v_cmp_eq_u16_e32 vcc, 0, v20
	s_waitcnt vmcnt(0)
	v_cmp_ne_u16_e64 s[2:3], 0, v21
	s_or_b64 s[44:45], vcc, s[2:3]
	s_and_b64 s[42:43], vcc, s[2:3]
	s_xor_b64 s[46:47], vcc, s[2:3]
	s_and_b64 s[2:3], s[44:45], s[40:41]
	s_or_b64 s[2:3], s[42:43], s[2:3]
	s_and_saveexec_b64 s[42:43], s[46:47]
	s_cbranch_execz .LBB995_54
; %bb.56:                               ;   in Loop: Header=BB995_55 Depth=1
	s_add_u32 s38, s38, -1
	s_addc_u32 s39, s39, -1
	v_add_co_u32_e32 v16, vcc, 1, v16
	s_cmp_eq_u64 s[38:39], 0
	v_addc_co_u32_e32 v17, vcc, 0, v17, vcc
	s_cselect_b64 s[40:41], -1, 0
	v_add_co_u32_e32 v18, vcc, 1, v18
	s_andn2_b64 s[36:37], s[36:37], exec
	s_and_b64 s[44:45], s[2:3], exec
	s_andn2_b64 s[34:35], s[34:35], exec
	s_and_b64 s[40:41], s[40:41], exec
	v_addc_co_u32_e32 v19, vcc, 0, v19, vcc
	s_or_b64 s[36:37], s[36:37], s[44:45]
	s_andn2_b64 s[30:31], s[30:31], exec
	s_or_b64 s[34:35], s[34:35], s[40:41]
                                        ; implicit-def: $sgpr40_sgpr41
	s_branch .LBB995_54
.LBB995_57:
	s_or_b64 exec, exec, s[26:27]
	s_and_saveexec_b64 s[2:3], s[28:29]
	s_xor_b64 s[2:3], exec, s[2:3]
; %bb.58:
	v_cndmask_b32_e64 v5, v5, v11, s[24:25]
	v_cndmask_b32_e64 v4, v4, v10, s[24:25]
	;; [unrolled: 1-line block ×4, first 2 shown]
; %bb.59:
	s_or_b64 exec, exec, s[2:3]
.LBB995_60:
	s_or_b64 exec, exec, s[4:5]
	v_mbcnt_lo_u32_b32 v10, -1, 0
	v_and_b32_e32 v11, 0xffffff00, v33
	v_mbcnt_hi_u32_b32 v10, -1, v10
	s_movk_i32 s2, 0x400
	v_lshlrev_b32_e32 v14, 3, v11
	v_sub_u32_e64 v15, s2, v11 clamp
	v_lshlrev_b32_e32 v16, 2, v10
	v_lshl_add_u32 v17, v10, 5, v14
	v_mov_b32_e32 v10, v2
	v_mov_b32_e32 v11, v3
	ds_write_b128 v17, v[8:11]
	ds_write_b128 v17, v[4:7] offset:16
	v_or_b32_e32 v8, 4, v16
	v_min_u32_e32 v18, v15, v8
	v_add_u32_e32 v8, 4, v18
	v_and_b32_e32 v33, 0x1f8, v16
	v_min_u32_e32 v19, v15, v8
	v_and_b32_e32 v8, 4, v16
	v_min_u32_e32 v34, v15, v8
	v_sub_u32_e32 v8, v18, v33
	v_sub_u32_e32 v9, v19, v18
	v_sub_u32_e64 v21, v34, v9 clamp
	v_min_u32_e32 v35, v34, v8
	v_lshl_add_u32 v20, v33, 3, v14
	v_cmp_lt_u32_e32 vcc, v21, v35
	; wave barrier
	s_and_saveexec_b64 s[4:5], vcc
	s_cbranch_execz .LBB995_70
; %bb.61:
	v_lshlrev_b32_e32 v8, 3, v18
	v_lshlrev_b32_e32 v9, 3, v34
	v_add3_u32 v36, v14, v8, v9
	s_mov_b64 s[24:25], 0
	s_branch .LBB995_64
.LBB995_62:                             ;   in Loop: Header=BB995_64 Depth=1
	s_or_b64 exec, exec, s[28:29]
.LBB995_63:                             ;   in Loop: Header=BB995_64 Depth=1
	v_add_u32_e32 v8, 1, v37
	v_cndmask_b32_e64 v35, v35, v37, s[26:27]
	v_cndmask_b32_e64 v21, v8, v21, s[26:27]
	v_cmp_ge_u32_e32 vcc, v21, v35
	s_or_b64 s[24:25], vcc, s[24:25]
	s_andn2_b64 exec, exec, s[24:25]
	s_cbranch_execz .LBB995_69
.LBB995_64:                             ; =>This Loop Header: Depth=1
                                        ;     Child Loop BB995_67 Depth 2
	v_add_u32_e32 v8, v35, v21
	v_lshrrev_b32_e32 v37, 1, v8
	s_and_b64 vcc, exec, s[0:1]
	s_mov_b64 s[26:27], 0
	s_cbranch_vccnz .LBB995_63
; %bb.65:                               ;   in Loop: Header=BB995_64 Depth=1
	v_not_b32_e32 v8, v37
	v_lshl_add_u32 v8, v8, 3, v36
	ds_read_b64 v[8:9], v8
	v_lshl_add_u32 v38, v37, 3, v20
	ds_read_b64 v[38:39], v38
	v_pk_mov_b32 v[10:11], s[14:15], s[14:15] op_sel:[0,1]
	s_mov_b64 s[28:29], 0
	s_waitcnt lgkmcnt(1)
	v_mul_lo_u32 v40, v8, s13
	v_mul_lo_u32 v41, v9, s12
	v_mad_u64_u32 v[8:9], s[2:3], v8, s12, v[10:11]
	v_add3_u32 v9, v41, v9, v40
	s_waitcnt lgkmcnt(0)
	v_mul_lo_u32 v40, v38, s13
	v_mul_lo_u32 v39, v39, s12
	v_mad_u64_u32 v[10:11], s[2:3], v38, s12, v[10:11]
	v_add3_u32 v11, v39, v11, v40
	s_mov_b64 s[36:37], s[12:13]
                                        ; implicit-def: $sgpr26_sgpr27
                                        ; implicit-def: $sgpr30_sgpr31
                                        ; implicit-def: $sgpr34_sgpr35
                                        ; implicit-def: $sgpr2_sgpr3
                                        ; implicit-def: $sgpr38_sgpr39
	s_branch .LBB995_67
.LBB995_66:                             ;   in Loop: Header=BB995_67 Depth=2
	s_or_b64 exec, exec, s[40:41]
	s_and_b64 s[40:41], exec, s[30:31]
	s_or_b64 s[28:29], s[40:41], s[28:29]
	s_andn2_b64 s[38:39], s[38:39], exec
	s_and_b64 s[40:41], s[34:35], exec
	s_or_b64 s[38:39], s[38:39], s[40:41]
	s_andn2_b64 s[26:27], s[26:27], exec
	s_and_b64 s[40:41], s[2:3], exec
	s_or_b64 s[26:27], s[26:27], s[40:41]
	s_andn2_b64 exec, exec, s[28:29]
	s_cbranch_execz .LBB995_62
.LBB995_67:                             ;   Parent Loop BB995_64 Depth=1
                                        ; =>  This Inner Loop Header: Depth=2
	global_load_ubyte v38, v[8:9], off
	global_load_ubyte v39, v[10:11], off
	s_andn2_b64 s[40:41], s[2:3], exec
	s_andn2_b64 s[34:35], s[34:35], exec
	s_or_b64 s[30:31], s[30:31], exec
	s_waitcnt vmcnt(1)
	v_cmp_eq_u16_e32 vcc, 0, v38
	s_waitcnt vmcnt(0)
	v_cmp_ne_u16_e64 s[2:3], 0, v39
	s_or_b64 s[44:45], vcc, s[2:3]
	s_and_b64 s[42:43], vcc, s[2:3]
	s_xor_b64 s[46:47], vcc, s[2:3]
	s_and_b64 s[2:3], s[44:45], s[38:39]
	s_or_b64 s[42:43], s[42:43], s[2:3]
	s_and_b64 s[2:3], s[42:43], exec
	s_or_b64 s[2:3], s[40:41], s[2:3]
	s_and_saveexec_b64 s[40:41], s[46:47]
	s_cbranch_execz .LBB995_66
; %bb.68:                               ;   in Loop: Header=BB995_67 Depth=2
	s_add_u32 s36, s36, -1
	s_addc_u32 s37, s37, -1
	v_add_co_u32_e32 v8, vcc, 1, v8
	s_cmp_eq_u64 s[36:37], 0
	v_addc_co_u32_e32 v9, vcc, 0, v9, vcc
	s_cselect_b64 s[38:39], -1, 0
	v_add_co_u32_e32 v10, vcc, 1, v10
	s_andn2_b64 s[34:35], s[34:35], exec
	s_and_b64 s[42:43], s[42:43], exec
	s_andn2_b64 s[30:31], s[30:31], exec
	s_and_b64 s[38:39], s[38:39], exec
	v_addc_co_u32_e32 v11, vcc, 0, v11, vcc
	s_andn2_b64 s[2:3], s[2:3], exec
	s_or_b64 s[34:35], s[34:35], s[42:43]
	s_or_b64 s[30:31], s[30:31], s[38:39]
                                        ; implicit-def: $sgpr38_sgpr39
	s_branch .LBB995_66
.LBB995_69:
	s_or_b64 exec, exec, s[24:25]
.LBB995_70:
	s_or_b64 exec, exec, s[4:5]
	v_add_u32_e32 v9, v18, v34
	v_add_u32_e32 v8, v21, v33
	v_sub_u32_e32 v9, v9, v21
	v_cmp_le_u32_e32 vcc, v8, v18
	v_cmp_le_u32_e64 s[2:3], v9, v19
	v_cmp_lt_i64_e64 s[24:25], s[12:13], 1
	s_or_b64 s[2:3], vcc, s[2:3]
	s_and_saveexec_b64 s[26:27], s[2:3]
	s_cbranch_execz .LBB995_106
; %bb.71:
	v_cmp_ge_u32_e32 vcc, v8, v18
	v_cmp_lt_u32_e64 s[2:3], v8, v18
                                        ; implicit-def: $vgpr0_vgpr1
	s_and_saveexec_b64 s[4:5], s[2:3]
	s_cbranch_execz .LBB995_73
; %bb.72:
	v_lshl_add_u32 v0, v21, 3, v20
	ds_read_b64 v[0:1], v0
.LBB995_73:
	s_or_b64 exec, exec, s[4:5]
	v_cmp_ge_u32_e64 s[2:3], v9, v19
	v_cmp_lt_u32_e64 s[4:5], v9, v19
                                        ; implicit-def: $vgpr2_vgpr3
	s_and_saveexec_b64 s[28:29], s[4:5]
	s_cbranch_execz .LBB995_75
; %bb.74:
	v_lshl_add_u32 v2, v9, 3, v14
	ds_read_b64 v[2:3], v2
.LBB995_75:
	s_or_b64 exec, exec, s[28:29]
	s_or_b64 s[4:5], vcc, s[2:3]
	s_or_b64 s[4:5], s[4:5], s[24:25]
	s_xor_b64 s[30:31], s[4:5], -1
	s_xor_b64 s[4:5], vcc, -1
	s_or_b64 s[4:5], s[2:3], s[4:5]
	s_and_saveexec_b64 s[28:29], s[30:31]
	s_cbranch_execz .LBB995_81
; %bb.76:
	v_pk_mov_b32 v[6:7], s[14:15], s[14:15] op_sel:[0,1]
	s_waitcnt lgkmcnt(0)
	v_mad_u64_u32 v[4:5], s[2:3], v2, s12, v[6:7]
	v_mul_lo_u32 v10, v2, s13
	v_mul_lo_u32 v11, v3, s12
	v_add3_u32 v5, v11, v5, v10
	v_mad_u64_u32 v[6:7], s[2:3], v0, s12, v[6:7]
	v_mul_lo_u32 v10, v0, s13
	v_mul_lo_u32 v11, v1, s12
	v_add3_u32 v7, v11, v7, v10
	s_mov_b64 s[30:31], 0
	s_mov_b64 s[40:41], s[12:13]
                                        ; implicit-def: $sgpr34_sgpr35
                                        ; implicit-def: $sgpr36_sgpr37
                                        ; implicit-def: $sgpr2_sgpr3
                                        ; implicit-def: $sgpr38_sgpr39
                                        ; implicit-def: $sgpr42_sgpr43
	s_branch .LBB995_78
.LBB995_77:                             ;   in Loop: Header=BB995_78 Depth=1
	s_or_b64 exec, exec, s[44:45]
	s_and_b64 s[44:45], exec, s[36:37]
	s_or_b64 s[30:31], s[44:45], s[30:31]
	s_andn2_b64 s[42:43], s[42:43], exec
	s_and_b64 s[44:45], s[38:39], exec
	s_or_b64 s[42:43], s[42:43], s[44:45]
	s_andn2_b64 s[34:35], s[34:35], exec
	s_and_b64 s[44:45], s[2:3], exec
	s_or_b64 s[34:35], s[34:35], s[44:45]
	s_andn2_b64 exec, exec, s[30:31]
	s_cbranch_execz .LBB995_80
.LBB995_78:                             ; =>This Inner Loop Header: Depth=1
	global_load_ubyte v10, v[4:5], off
	global_load_ubyte v11, v[6:7], off
	s_andn2_b64 s[44:45], s[2:3], exec
	s_andn2_b64 s[38:39], s[38:39], exec
	s_or_b64 s[36:37], s[36:37], exec
	s_waitcnt vmcnt(1)
	v_cmp_eq_u16_e32 vcc, 0, v10
	s_waitcnt vmcnt(0)
	v_cmp_ne_u16_e64 s[2:3], 0, v11
	s_or_b64 s[48:49], vcc, s[2:3]
	s_and_b64 s[46:47], vcc, s[2:3]
	s_xor_b64 s[50:51], vcc, s[2:3]
	s_and_b64 s[2:3], s[48:49], s[42:43]
	s_or_b64 s[46:47], s[46:47], s[2:3]
	s_and_b64 s[2:3], s[46:47], exec
	s_or_b64 s[2:3], s[44:45], s[2:3]
	s_and_saveexec_b64 s[44:45], s[50:51]
	s_cbranch_execz .LBB995_77
; %bb.79:                               ;   in Loop: Header=BB995_78 Depth=1
	s_add_u32 s40, s40, -1
	s_addc_u32 s41, s41, -1
	v_add_co_u32_e32 v4, vcc, 1, v4
	s_cmp_eq_u64 s[40:41], 0
	v_addc_co_u32_e32 v5, vcc, 0, v5, vcc
	s_cselect_b64 s[42:43], -1, 0
	v_add_co_u32_e32 v6, vcc, 1, v6
	s_andn2_b64 s[38:39], s[38:39], exec
	s_and_b64 s[46:47], s[46:47], exec
	s_andn2_b64 s[36:37], s[36:37], exec
	s_and_b64 s[42:43], s[42:43], exec
	v_addc_co_u32_e32 v7, vcc, 0, v7, vcc
	s_or_b64 s[38:39], s[38:39], s[46:47]
	s_andn2_b64 s[2:3], s[2:3], exec
	s_or_b64 s[36:37], s[36:37], s[42:43]
                                        ; implicit-def: $sgpr42_sgpr43
	s_branch .LBB995_77
.LBB995_80:
	s_or_b64 exec, exec, s[30:31]
	s_xor_b64 s[2:3], s[34:35], -1
	s_andn2_b64 s[4:5], s[4:5], exec
	s_and_b64 s[2:3], s[2:3], exec
	s_or_b64 s[4:5], s[4:5], s[2:3]
.LBB995_81:
	s_or_b64 exec, exec, s[28:29]
	v_cndmask_b32_e64 v4, v9, v8, s[4:5]
	v_cndmask_b32_e64 v5, v19, v18, s[4:5]
	v_add_u32_e32 v6, 1, v4
	v_add_u32_e32 v4, -1, v5
	v_min_u32_e32 v4, v6, v4
	v_lshl_add_u32 v4, v4, 3, v14
	ds_read_b64 v[4:5], v4
	v_cndmask_b32_e64 v9, v6, v9, s[4:5]
	v_cndmask_b32_e64 v8, v8, v6, s[4:5]
	v_cmp_lt_u32_e32 vcc, v9, v19
	s_mov_b64 s[28:29], -1
	s_waitcnt lgkmcnt(0)
	v_cndmask_b32_e64 v10, v5, v3, s[4:5]
	v_cndmask_b32_e64 v11, v4, v2, s[4:5]
	;; [unrolled: 1-line block ×4, first 2 shown]
	s_mov_b64 s[30:31], -1
	s_and_saveexec_b64 s[34:35], vcc
	s_cbranch_execz .LBB995_89
; %bb.82:
	v_cmp_lt_u32_e64 s[30:31], v8, v18
	s_xor_b64 s[2:3], s[24:25], -1
	s_and_b64 s[2:3], s[30:31], s[2:3]
	s_and_saveexec_b64 s[36:37], s[2:3]
	s_cbranch_execz .LBB995_88
; %bb.83:
	v_pk_mov_b32 v[6:7], s[14:15], s[14:15] op_sel:[0,1]
	v_mad_u64_u32 v[4:5], s[2:3], v11, s12, v[6:7]
	v_mul_lo_u32 v33, v11, s13
	v_mul_lo_u32 v34, v10, s12
	v_add3_u32 v5, v34, v5, v33
	v_mad_u64_u32 v[6:7], s[2:3], v21, s12, v[6:7]
	v_mul_lo_u32 v33, v21, s13
	v_mul_lo_u32 v34, v20, s12
	v_add3_u32 v7, v34, v7, v33
	s_mov_b64 s[38:39], 0
	s_mov_b64 s[46:47], s[12:13]
                                        ; implicit-def: $sgpr40_sgpr41
                                        ; implicit-def: $sgpr42_sgpr43
                                        ; implicit-def: $sgpr2_sgpr3
                                        ; implicit-def: $sgpr44_sgpr45
                                        ; implicit-def: $sgpr48_sgpr49
	s_branch .LBB995_85
.LBB995_84:                             ;   in Loop: Header=BB995_85 Depth=1
	s_or_b64 exec, exec, s[50:51]
	s_and_b64 s[50:51], exec, s[42:43]
	s_or_b64 s[38:39], s[50:51], s[38:39]
	s_andn2_b64 s[48:49], s[48:49], exec
	s_and_b64 s[50:51], s[44:45], exec
	s_or_b64 s[48:49], s[48:49], s[50:51]
	s_andn2_b64 s[40:41], s[40:41], exec
	s_and_b64 s[50:51], s[2:3], exec
	s_or_b64 s[40:41], s[40:41], s[50:51]
	s_andn2_b64 exec, exec, s[38:39]
	s_cbranch_execz .LBB995_87
.LBB995_85:                             ; =>This Inner Loop Header: Depth=1
	global_load_ubyte v33, v[4:5], off
	global_load_ubyte v34, v[6:7], off
	s_andn2_b64 s[50:51], s[2:3], exec
	s_andn2_b64 s[44:45], s[44:45], exec
	s_or_b64 s[42:43], s[42:43], exec
	s_waitcnt vmcnt(1)
	v_cmp_eq_u16_e32 vcc, 0, v33
	s_waitcnt vmcnt(0)
	v_cmp_ne_u16_e64 s[2:3], 0, v34
	s_or_b64 s[54:55], vcc, s[2:3]
	s_and_b64 s[52:53], vcc, s[2:3]
	s_xor_b64 s[56:57], vcc, s[2:3]
	s_and_b64 s[2:3], s[54:55], s[48:49]
	s_or_b64 s[52:53], s[52:53], s[2:3]
	s_and_b64 s[2:3], s[52:53], exec
	s_or_b64 s[2:3], s[50:51], s[2:3]
	s_and_saveexec_b64 s[50:51], s[56:57]
	s_cbranch_execz .LBB995_84
; %bb.86:                               ;   in Loop: Header=BB995_85 Depth=1
	s_add_u32 s46, s46, -1
	s_addc_u32 s47, s47, -1
	v_add_co_u32_e32 v4, vcc, 1, v4
	s_cmp_eq_u64 s[46:47], 0
	v_addc_co_u32_e32 v5, vcc, 0, v5, vcc
	s_cselect_b64 s[48:49], -1, 0
	v_add_co_u32_e32 v6, vcc, 1, v6
	s_andn2_b64 s[44:45], s[44:45], exec
	s_and_b64 s[52:53], s[52:53], exec
	s_andn2_b64 s[42:43], s[42:43], exec
	s_and_b64 s[48:49], s[48:49], exec
	v_addc_co_u32_e32 v7, vcc, 0, v7, vcc
	s_or_b64 s[44:45], s[44:45], s[52:53]
	s_andn2_b64 s[2:3], s[2:3], exec
	s_or_b64 s[42:43], s[42:43], s[48:49]
                                        ; implicit-def: $sgpr48_sgpr49
	s_branch .LBB995_84
.LBB995_87:
	s_or_b64 exec, exec, s[38:39]
	s_xor_b64 s[2:3], s[40:41], -1
	s_andn2_b64 s[30:31], s[30:31], exec
	s_and_b64 s[2:3], s[2:3], exec
	s_or_b64 s[30:31], s[30:31], s[2:3]
.LBB995_88:
	s_or_b64 exec, exec, s[36:37]
	s_orn2_b64 s[30:31], s[30:31], exec
.LBB995_89:
	s_or_b64 exec, exec, s[34:35]
	v_cndmask_b32_e64 v4, v9, v8, s[30:31]
	v_cndmask_b32_e64 v5, v19, v18, s[30:31]
	v_add_u32_e32 v6, 1, v4
	v_add_u32_e32 v4, -1, v5
	v_min_u32_e32 v4, v6, v4
	v_lshl_add_u32 v4, v4, 3, v14
	ds_read_b64 v[4:5], v4
	v_cndmask_b32_e64 v9, v6, v9, s[30:31]
	v_cndmask_b32_e64 v8, v8, v6, s[30:31]
	v_cmp_lt_u32_e32 vcc, v9, v19
	s_waitcnt lgkmcnt(0)
	v_cndmask_b32_e64 v33, v5, v10, s[30:31]
	v_cndmask_b32_e64 v34, v4, v11, s[30:31]
	;; [unrolled: 1-line block ×4, first 2 shown]
	s_and_saveexec_b64 s[34:35], vcc
	s_cbranch_execz .LBB995_97
; %bb.90:
	v_cmp_lt_u32_e64 s[28:29], v8, v18
	s_xor_b64 s[2:3], s[24:25], -1
	s_and_b64 s[2:3], s[28:29], s[2:3]
	s_and_saveexec_b64 s[36:37], s[2:3]
	s_cbranch_execz .LBB995_96
; %bb.91:
	v_pk_mov_b32 v[6:7], s[14:15], s[14:15] op_sel:[0,1]
	v_mad_u64_u32 v[4:5], s[2:3], v34, s12, v[6:7]
	v_mul_lo_u32 v37, v34, s13
	v_mul_lo_u32 v38, v33, s12
	v_add3_u32 v5, v38, v5, v37
	v_mad_u64_u32 v[6:7], s[2:3], v36, s12, v[6:7]
	v_mul_lo_u32 v37, v36, s13
	v_mul_lo_u32 v38, v35, s12
	v_add3_u32 v7, v38, v7, v37
	s_mov_b64 s[38:39], 0
	s_mov_b64 s[46:47], s[12:13]
                                        ; implicit-def: $sgpr40_sgpr41
                                        ; implicit-def: $sgpr42_sgpr43
                                        ; implicit-def: $sgpr2_sgpr3
                                        ; implicit-def: $sgpr44_sgpr45
                                        ; implicit-def: $sgpr48_sgpr49
	s_branch .LBB995_93
.LBB995_92:                             ;   in Loop: Header=BB995_93 Depth=1
	s_or_b64 exec, exec, s[50:51]
	s_and_b64 s[50:51], exec, s[42:43]
	s_or_b64 s[38:39], s[50:51], s[38:39]
	s_andn2_b64 s[48:49], s[48:49], exec
	s_and_b64 s[50:51], s[44:45], exec
	s_or_b64 s[48:49], s[48:49], s[50:51]
	s_andn2_b64 s[40:41], s[40:41], exec
	s_and_b64 s[50:51], s[2:3], exec
	s_or_b64 s[40:41], s[40:41], s[50:51]
	s_andn2_b64 exec, exec, s[38:39]
	s_cbranch_execz .LBB995_95
.LBB995_93:                             ; =>This Inner Loop Header: Depth=1
	global_load_ubyte v37, v[4:5], off
	global_load_ubyte v38, v[6:7], off
	s_andn2_b64 s[50:51], s[2:3], exec
	s_andn2_b64 s[44:45], s[44:45], exec
	s_or_b64 s[42:43], s[42:43], exec
	s_waitcnt vmcnt(1)
	v_cmp_eq_u16_e32 vcc, 0, v37
	s_waitcnt vmcnt(0)
	v_cmp_ne_u16_e64 s[2:3], 0, v38
	s_or_b64 s[54:55], vcc, s[2:3]
	s_and_b64 s[52:53], vcc, s[2:3]
	s_xor_b64 s[56:57], vcc, s[2:3]
	s_and_b64 s[2:3], s[54:55], s[48:49]
	s_or_b64 s[52:53], s[52:53], s[2:3]
	s_and_b64 s[2:3], s[52:53], exec
	s_or_b64 s[2:3], s[50:51], s[2:3]
	s_and_saveexec_b64 s[50:51], s[56:57]
	s_cbranch_execz .LBB995_92
; %bb.94:                               ;   in Loop: Header=BB995_93 Depth=1
	s_add_u32 s46, s46, -1
	s_addc_u32 s47, s47, -1
	v_add_co_u32_e32 v4, vcc, 1, v4
	s_cmp_eq_u64 s[46:47], 0
	v_addc_co_u32_e32 v5, vcc, 0, v5, vcc
	s_cselect_b64 s[48:49], -1, 0
	v_add_co_u32_e32 v6, vcc, 1, v6
	s_andn2_b64 s[44:45], s[44:45], exec
	s_and_b64 s[52:53], s[52:53], exec
	s_andn2_b64 s[42:43], s[42:43], exec
	s_and_b64 s[48:49], s[48:49], exec
	v_addc_co_u32_e32 v7, vcc, 0, v7, vcc
	s_or_b64 s[44:45], s[44:45], s[52:53]
	s_andn2_b64 s[2:3], s[2:3], exec
	s_or_b64 s[42:43], s[42:43], s[48:49]
                                        ; implicit-def: $sgpr48_sgpr49
	s_branch .LBB995_92
.LBB995_95:
	s_or_b64 exec, exec, s[38:39]
	s_xor_b64 s[2:3], s[40:41], -1
	s_andn2_b64 s[28:29], s[28:29], exec
	s_and_b64 s[2:3], s[2:3], exec
	s_or_b64 s[28:29], s[28:29], s[2:3]
.LBB995_96:
	s_or_b64 exec, exec, s[36:37]
	s_orn2_b64 s[28:29], s[28:29], exec
.LBB995_97:
	s_or_b64 exec, exec, s[34:35]
	v_cndmask_b32_e64 v4, v9, v8, s[28:29]
	v_cndmask_b32_e64 v5, v19, v18, s[28:29]
	v_add_u32_e32 v38, 1, v4
	v_add_u32_e32 v4, -1, v5
	v_min_u32_e32 v4, v38, v4
	v_lshl_add_u32 v4, v4, 3, v14
	ds_read_b64 v[4:5], v4
	v_cndmask_b32_e64 v9, v38, v9, s[28:29]
	v_cmp_lt_u32_e32 vcc, v9, v19
	s_waitcnt lgkmcnt(0)
	v_cndmask_b32_e64 v7, v35, v5, s[28:29]
	v_cndmask_b32_e64 v6, v36, v4, s[28:29]
	s_and_saveexec_b64 s[34:35], vcc
	s_cbranch_execz .LBB995_105
; %bb.98:
	v_cndmask_b32_e64 v37, v4, v34, s[28:29]
	v_cndmask_b32_e64 v4, v8, v38, s[28:29]
	v_cmp_ge_u32_e32 vcc, v4, v18
	v_cndmask_b32_e64 v19, v5, v33, s[28:29]
	s_or_b64 s[2:3], vcc, s[24:25]
	v_cndmask_b32_e32 v5, v7, v19, vcc
	s_xor_b64 s[2:3], s[2:3], -1
	v_cndmask_b32_e32 v4, v6, v37, vcc
	s_and_saveexec_b64 s[36:37], s[2:3]
	s_cbranch_execz .LBB995_104
; %bb.99:
	v_pk_mov_b32 v[8:9], s[14:15], s[14:15] op_sel:[0,1]
	v_mad_u64_u32 v[4:5], s[2:3], v37, s12, v[8:9]
	v_mul_lo_u32 v18, v37, s13
	v_mul_lo_u32 v38, v19, s12
	v_add3_u32 v5, v38, v5, v18
	v_mad_u64_u32 v[8:9], s[2:3], v6, s12, v[8:9]
	v_mul_lo_u32 v18, v6, s13
	v_mul_lo_u32 v38, v7, s12
	v_add3_u32 v9, v38, v9, v18
	s_mov_b64 s[38:39], 0
	s_mov_b64 s[46:47], s[12:13]
                                        ; implicit-def: $sgpr40_sgpr41
                                        ; implicit-def: $sgpr42_sgpr43
                                        ; implicit-def: $sgpr2_sgpr3
                                        ; implicit-def: $sgpr44_sgpr45
                                        ; implicit-def: $sgpr48_sgpr49
	s_branch .LBB995_101
.LBB995_100:                            ;   in Loop: Header=BB995_101 Depth=1
	s_or_b64 exec, exec, s[50:51]
	s_and_b64 s[50:51], exec, s[42:43]
	s_or_b64 s[38:39], s[50:51], s[38:39]
	s_andn2_b64 s[48:49], s[48:49], exec
	s_and_b64 s[50:51], s[44:45], exec
	s_or_b64 s[48:49], s[48:49], s[50:51]
	s_andn2_b64 s[40:41], s[40:41], exec
	s_and_b64 s[50:51], s[2:3], exec
	s_or_b64 s[40:41], s[40:41], s[50:51]
	s_andn2_b64 exec, exec, s[38:39]
	s_cbranch_execz .LBB995_103
.LBB995_101:                            ; =>This Inner Loop Header: Depth=1
	global_load_ubyte v18, v[4:5], off
	global_load_ubyte v38, v[8:9], off
	s_andn2_b64 s[50:51], s[2:3], exec
	s_andn2_b64 s[44:45], s[44:45], exec
	s_or_b64 s[42:43], s[42:43], exec
	s_waitcnt vmcnt(1)
	v_cmp_eq_u16_e32 vcc, 0, v18
	s_waitcnt vmcnt(0)
	v_cmp_ne_u16_e64 s[2:3], 0, v38
	s_or_b64 s[54:55], vcc, s[2:3]
	s_and_b64 s[52:53], vcc, s[2:3]
	s_xor_b64 s[56:57], vcc, s[2:3]
	s_and_b64 s[2:3], s[54:55], s[48:49]
	s_or_b64 s[52:53], s[52:53], s[2:3]
	s_and_b64 s[2:3], s[52:53], exec
	s_or_b64 s[2:3], s[50:51], s[2:3]
	s_and_saveexec_b64 s[50:51], s[56:57]
	s_cbranch_execz .LBB995_100
; %bb.102:                              ;   in Loop: Header=BB995_101 Depth=1
	s_add_u32 s46, s46, -1
	s_addc_u32 s47, s47, -1
	v_add_co_u32_e32 v4, vcc, 1, v4
	s_cmp_eq_u64 s[46:47], 0
	v_addc_co_u32_e32 v5, vcc, 0, v5, vcc
	s_cselect_b64 s[48:49], -1, 0
	v_add_co_u32_e32 v8, vcc, 1, v8
	s_andn2_b64 s[44:45], s[44:45], exec
	s_and_b64 s[52:53], s[52:53], exec
	s_andn2_b64 s[42:43], s[42:43], exec
	s_and_b64 s[48:49], s[48:49], exec
	v_addc_co_u32_e32 v9, vcc, 0, v9, vcc
	s_or_b64 s[44:45], s[44:45], s[52:53]
	s_andn2_b64 s[2:3], s[2:3], exec
	s_or_b64 s[42:43], s[42:43], s[48:49]
                                        ; implicit-def: $sgpr48_sgpr49
	s_branch .LBB995_100
.LBB995_103:
	s_or_b64 exec, exec, s[38:39]
	v_cndmask_b32_e64 v5, v7, v19, s[40:41]
	v_cndmask_b32_e64 v4, v6, v37, s[40:41]
.LBB995_104:
	s_or_b64 exec, exec, s[36:37]
	v_pk_mov_b32 v[6:7], v[4:5], v[4:5] op_sel:[0,1]
.LBB995_105:
	s_or_b64 exec, exec, s[34:35]
	v_cndmask_b32_e64 v1, v3, v1, s[4:5]
	v_cndmask_b32_e64 v0, v2, v0, s[4:5]
	;; [unrolled: 1-line block ×6, first 2 shown]
.LBB995_106:
	s_or_b64 exec, exec, s[26:27]
	v_and_b32_e32 v33, 0x1f0, v16
	v_or_b32_e32 v8, 8, v33
	v_min_u32_e32 v18, v15, v8
	v_add_u32_e32 v8, 8, v18
	v_min_u32_e32 v19, v15, v8
	v_and_b32_e32 v8, 12, v16
	v_min_u32_e32 v34, v15, v8
	v_sub_u32_e32 v8, v18, v33
	v_sub_u32_e32 v9, v19, v18
	v_sub_u32_e64 v21, v34, v9 clamp
	v_min_u32_e32 v35, v34, v8
	v_lshl_add_u32 v20, v33, 3, v14
	v_cmp_lt_u32_e32 vcc, v21, v35
	; wave barrier
	ds_write_b128 v17, v[0:3]
	ds_write_b128 v17, v[4:7] offset:16
	; wave barrier
	s_and_saveexec_b64 s[4:5], vcc
	s_cbranch_execz .LBB995_116
; %bb.107:
	v_lshlrev_b32_e32 v8, 3, v18
	v_lshlrev_b32_e32 v9, 3, v34
	v_add3_u32 v36, v14, v8, v9
	s_mov_b64 s[26:27], 0
	s_branch .LBB995_110
.LBB995_108:                            ;   in Loop: Header=BB995_110 Depth=1
	s_or_b64 exec, exec, s[30:31]
.LBB995_109:                            ;   in Loop: Header=BB995_110 Depth=1
	v_add_u32_e32 v8, 1, v37
	v_cndmask_b32_e64 v35, v35, v37, s[28:29]
	v_cndmask_b32_e64 v21, v8, v21, s[28:29]
	v_cmp_ge_u32_e32 vcc, v21, v35
	s_or_b64 s[26:27], vcc, s[26:27]
	s_andn2_b64 exec, exec, s[26:27]
	s_cbranch_execz .LBB995_115
.LBB995_110:                            ; =>This Loop Header: Depth=1
                                        ;     Child Loop BB995_113 Depth 2
	v_add_u32_e32 v8, v35, v21
	v_lshrrev_b32_e32 v37, 1, v8
	s_and_b64 vcc, exec, s[0:1]
	s_mov_b64 s[28:29], 0
	s_cbranch_vccnz .LBB995_109
; %bb.111:                              ;   in Loop: Header=BB995_110 Depth=1
	v_not_b32_e32 v8, v37
	v_lshl_add_u32 v8, v8, 3, v36
	ds_read_b64 v[8:9], v8
	v_lshl_add_u32 v38, v37, 3, v20
	ds_read_b64 v[38:39], v38
	v_pk_mov_b32 v[10:11], s[14:15], s[14:15] op_sel:[0,1]
	s_mov_b64 s[30:31], 0
	s_waitcnt lgkmcnt(1)
	v_mul_lo_u32 v40, v8, s13
	v_mul_lo_u32 v41, v9, s12
	v_mad_u64_u32 v[8:9], s[2:3], v8, s12, v[10:11]
	v_add3_u32 v9, v41, v9, v40
	s_waitcnt lgkmcnt(0)
	v_mul_lo_u32 v40, v38, s13
	v_mul_lo_u32 v39, v39, s12
	v_mad_u64_u32 v[10:11], s[2:3], v38, s12, v[10:11]
	v_add3_u32 v11, v39, v11, v40
	s_mov_b64 s[38:39], s[12:13]
                                        ; implicit-def: $sgpr28_sgpr29
                                        ; implicit-def: $sgpr34_sgpr35
                                        ; implicit-def: $sgpr36_sgpr37
                                        ; implicit-def: $sgpr2_sgpr3
                                        ; implicit-def: $sgpr40_sgpr41
	s_branch .LBB995_113
.LBB995_112:                            ;   in Loop: Header=BB995_113 Depth=2
	s_or_b64 exec, exec, s[42:43]
	s_and_b64 s[42:43], exec, s[34:35]
	s_or_b64 s[30:31], s[42:43], s[30:31]
	s_andn2_b64 s[40:41], s[40:41], exec
	s_and_b64 s[42:43], s[36:37], exec
	s_or_b64 s[40:41], s[40:41], s[42:43]
	s_andn2_b64 s[28:29], s[28:29], exec
	s_and_b64 s[42:43], s[2:3], exec
	s_or_b64 s[28:29], s[28:29], s[42:43]
	s_andn2_b64 exec, exec, s[30:31]
	s_cbranch_execz .LBB995_108
.LBB995_113:                            ;   Parent Loop BB995_110 Depth=1
                                        ; =>  This Inner Loop Header: Depth=2
	global_load_ubyte v38, v[8:9], off
	global_load_ubyte v39, v[10:11], off
	s_andn2_b64 s[42:43], s[2:3], exec
	s_andn2_b64 s[36:37], s[36:37], exec
	s_or_b64 s[34:35], s[34:35], exec
	s_waitcnt vmcnt(1)
	v_cmp_eq_u16_e32 vcc, 0, v38
	s_waitcnt vmcnt(0)
	v_cmp_ne_u16_e64 s[2:3], 0, v39
	s_or_b64 s[46:47], vcc, s[2:3]
	s_and_b64 s[44:45], vcc, s[2:3]
	s_xor_b64 s[48:49], vcc, s[2:3]
	s_and_b64 s[2:3], s[46:47], s[40:41]
	s_or_b64 s[44:45], s[44:45], s[2:3]
	s_and_b64 s[2:3], s[44:45], exec
	s_or_b64 s[2:3], s[42:43], s[2:3]
	s_and_saveexec_b64 s[42:43], s[48:49]
	s_cbranch_execz .LBB995_112
; %bb.114:                              ;   in Loop: Header=BB995_113 Depth=2
	s_add_u32 s38, s38, -1
	s_addc_u32 s39, s39, -1
	v_add_co_u32_e32 v8, vcc, 1, v8
	s_cmp_eq_u64 s[38:39], 0
	v_addc_co_u32_e32 v9, vcc, 0, v9, vcc
	s_cselect_b64 s[40:41], -1, 0
	v_add_co_u32_e32 v10, vcc, 1, v10
	s_andn2_b64 s[36:37], s[36:37], exec
	s_and_b64 s[44:45], s[44:45], exec
	s_andn2_b64 s[34:35], s[34:35], exec
	s_and_b64 s[40:41], s[40:41], exec
	v_addc_co_u32_e32 v11, vcc, 0, v11, vcc
	s_andn2_b64 s[2:3], s[2:3], exec
	s_or_b64 s[36:37], s[36:37], s[44:45]
	s_or_b64 s[34:35], s[34:35], s[40:41]
                                        ; implicit-def: $sgpr40_sgpr41
	s_branch .LBB995_112
.LBB995_115:
	s_or_b64 exec, exec, s[26:27]
.LBB995_116:
	s_or_b64 exec, exec, s[4:5]
	v_add_u32_e32 v8, v18, v34
	v_add_u32_e32 v33, v21, v33
	v_sub_u32_e32 v34, v8, v21
	v_cmp_le_u32_e32 vcc, v33, v18
	v_cmp_le_u32_e64 s[2:3], v34, v19
	s_or_b64 s[2:3], vcc, s[2:3]
	s_and_saveexec_b64 s[26:27], s[2:3]
	s_cbranch_execz .LBB995_152
; %bb.117:
	v_cmp_ge_u32_e32 vcc, v33, v18
	v_cmp_lt_u32_e64 s[2:3], v33, v18
                                        ; implicit-def: $vgpr0_vgpr1
	s_and_saveexec_b64 s[4:5], s[2:3]
	s_cbranch_execz .LBB995_119
; %bb.118:
	v_lshl_add_u32 v0, v21, 3, v20
	ds_read_b64 v[0:1], v0
.LBB995_119:
	s_or_b64 exec, exec, s[4:5]
	v_cmp_ge_u32_e64 s[2:3], v34, v19
	v_cmp_lt_u32_e64 s[4:5], v34, v19
                                        ; implicit-def: $vgpr4_vgpr5
	s_and_saveexec_b64 s[28:29], s[4:5]
	s_cbranch_execz .LBB995_121
; %bb.120:
	v_lshl_add_u32 v2, v34, 3, v14
	ds_read_b64 v[4:5], v2
.LBB995_121:
	s_or_b64 exec, exec, s[28:29]
	s_or_b64 s[4:5], vcc, s[2:3]
	s_or_b64 s[4:5], s[4:5], s[24:25]
	s_xor_b64 s[30:31], s[4:5], -1
	s_xor_b64 s[4:5], vcc, -1
	s_or_b64 s[4:5], s[2:3], s[4:5]
	s_and_saveexec_b64 s[28:29], s[30:31]
	s_cbranch_execz .LBB995_127
; %bb.122:
	v_pk_mov_b32 v[6:7], s[14:15], s[14:15] op_sel:[0,1]
	s_waitcnt lgkmcnt(0)
	v_mad_u64_u32 v[2:3], s[2:3], v4, s12, v[6:7]
	v_mul_lo_u32 v8, v4, s13
	v_mul_lo_u32 v9, v5, s12
	v_add3_u32 v3, v9, v3, v8
	v_mad_u64_u32 v[6:7], s[2:3], v0, s12, v[6:7]
	v_mul_lo_u32 v8, v0, s13
	v_mul_lo_u32 v9, v1, s12
	v_add3_u32 v7, v9, v7, v8
	s_mov_b64 s[30:31], 0
	s_mov_b64 s[40:41], s[12:13]
                                        ; implicit-def: $sgpr34_sgpr35
                                        ; implicit-def: $sgpr36_sgpr37
                                        ; implicit-def: $sgpr2_sgpr3
                                        ; implicit-def: $sgpr38_sgpr39
                                        ; implicit-def: $sgpr42_sgpr43
	s_branch .LBB995_124
.LBB995_123:                            ;   in Loop: Header=BB995_124 Depth=1
	s_or_b64 exec, exec, s[44:45]
	s_and_b64 s[44:45], exec, s[36:37]
	s_or_b64 s[30:31], s[44:45], s[30:31]
	s_andn2_b64 s[42:43], s[42:43], exec
	s_and_b64 s[44:45], s[38:39], exec
	s_or_b64 s[42:43], s[42:43], s[44:45]
	s_andn2_b64 s[34:35], s[34:35], exec
	s_and_b64 s[44:45], s[2:3], exec
	s_or_b64 s[34:35], s[34:35], s[44:45]
	s_andn2_b64 exec, exec, s[30:31]
	s_cbranch_execz .LBB995_126
.LBB995_124:                            ; =>This Inner Loop Header: Depth=1
	global_load_ubyte v8, v[2:3], off
	global_load_ubyte v9, v[6:7], off
	s_andn2_b64 s[44:45], s[2:3], exec
	s_andn2_b64 s[38:39], s[38:39], exec
	s_or_b64 s[36:37], s[36:37], exec
	s_waitcnt vmcnt(1)
	v_cmp_eq_u16_e32 vcc, 0, v8
	s_waitcnt vmcnt(0)
	v_cmp_ne_u16_e64 s[2:3], 0, v9
	s_or_b64 s[48:49], vcc, s[2:3]
	s_and_b64 s[46:47], vcc, s[2:3]
	s_xor_b64 s[50:51], vcc, s[2:3]
	s_and_b64 s[2:3], s[48:49], s[42:43]
	s_or_b64 s[46:47], s[46:47], s[2:3]
	s_and_b64 s[2:3], s[46:47], exec
	s_or_b64 s[2:3], s[44:45], s[2:3]
	s_and_saveexec_b64 s[44:45], s[50:51]
	s_cbranch_execz .LBB995_123
; %bb.125:                              ;   in Loop: Header=BB995_124 Depth=1
	s_add_u32 s40, s40, -1
	s_addc_u32 s41, s41, -1
	v_add_co_u32_e32 v2, vcc, 1, v2
	s_cmp_eq_u64 s[40:41], 0
	v_addc_co_u32_e32 v3, vcc, 0, v3, vcc
	s_cselect_b64 s[42:43], -1, 0
	v_add_co_u32_e32 v6, vcc, 1, v6
	s_andn2_b64 s[38:39], s[38:39], exec
	s_and_b64 s[46:47], s[46:47], exec
	s_andn2_b64 s[36:37], s[36:37], exec
	s_and_b64 s[42:43], s[42:43], exec
	v_addc_co_u32_e32 v7, vcc, 0, v7, vcc
	s_or_b64 s[38:39], s[38:39], s[46:47]
	s_andn2_b64 s[2:3], s[2:3], exec
	s_or_b64 s[36:37], s[36:37], s[42:43]
                                        ; implicit-def: $sgpr42_sgpr43
	s_branch .LBB995_123
.LBB995_126:
	s_or_b64 exec, exec, s[30:31]
	s_xor_b64 s[2:3], s[34:35], -1
	s_andn2_b64 s[4:5], s[4:5], exec
	s_and_b64 s[2:3], s[2:3], exec
	s_or_b64 s[4:5], s[4:5], s[2:3]
.LBB995_127:
	s_or_b64 exec, exec, s[28:29]
	v_cndmask_b32_e64 v2, v34, v33, s[4:5]
	v_cndmask_b32_e64 v3, v19, v18, s[4:5]
	v_add_u32_e32 v6, 1, v2
	v_add_u32_e32 v2, -1, v3
	v_min_u32_e32 v2, v6, v2
	v_lshl_add_u32 v2, v2, 3, v14
	ds_read_b64 v[2:3], v2
	v_cndmask_b32_e64 v34, v6, v34, s[4:5]
	v_cndmask_b32_e64 v33, v33, v6, s[4:5]
	v_cmp_lt_u32_e32 vcc, v34, v19
	s_mov_b64 s[28:29], -1
	s_waitcnt lgkmcnt(0)
	v_cndmask_b32_e64 v8, v3, v5, s[4:5]
	v_cndmask_b32_e64 v9, v2, v4, s[4:5]
	v_cndmask_b32_e64 v10, v1, v3, s[4:5]
	v_cndmask_b32_e64 v11, v0, v2, s[4:5]
	s_mov_b64 s[30:31], -1
	s_and_saveexec_b64 s[34:35], vcc
	s_cbranch_execz .LBB995_135
; %bb.128:
	v_cmp_lt_u32_e64 s[30:31], v33, v18
	s_xor_b64 s[2:3], s[24:25], -1
	s_and_b64 s[2:3], s[30:31], s[2:3]
	s_and_saveexec_b64 s[36:37], s[2:3]
	s_cbranch_execz .LBB995_134
; %bb.129:
	v_pk_mov_b32 v[6:7], s[14:15], s[14:15] op_sel:[0,1]
	v_mad_u64_u32 v[2:3], s[2:3], v9, s12, v[6:7]
	v_mul_lo_u32 v20, v9, s13
	v_mul_lo_u32 v21, v8, s12
	v_add3_u32 v3, v21, v3, v20
	v_mad_u64_u32 v[6:7], s[2:3], v11, s12, v[6:7]
	v_mul_lo_u32 v20, v11, s13
	v_mul_lo_u32 v21, v10, s12
	v_add3_u32 v7, v21, v7, v20
	s_mov_b64 s[38:39], 0
	s_mov_b64 s[46:47], s[12:13]
                                        ; implicit-def: $sgpr40_sgpr41
                                        ; implicit-def: $sgpr42_sgpr43
                                        ; implicit-def: $sgpr2_sgpr3
                                        ; implicit-def: $sgpr44_sgpr45
                                        ; implicit-def: $sgpr48_sgpr49
	s_branch .LBB995_131
.LBB995_130:                            ;   in Loop: Header=BB995_131 Depth=1
	s_or_b64 exec, exec, s[50:51]
	s_and_b64 s[50:51], exec, s[42:43]
	s_or_b64 s[38:39], s[50:51], s[38:39]
	s_andn2_b64 s[48:49], s[48:49], exec
	s_and_b64 s[50:51], s[44:45], exec
	s_or_b64 s[48:49], s[48:49], s[50:51]
	s_andn2_b64 s[40:41], s[40:41], exec
	s_and_b64 s[50:51], s[2:3], exec
	s_or_b64 s[40:41], s[40:41], s[50:51]
	s_andn2_b64 exec, exec, s[38:39]
	s_cbranch_execz .LBB995_133
.LBB995_131:                            ; =>This Inner Loop Header: Depth=1
	global_load_ubyte v20, v[2:3], off
	global_load_ubyte v21, v[6:7], off
	s_andn2_b64 s[50:51], s[2:3], exec
	s_andn2_b64 s[44:45], s[44:45], exec
	s_or_b64 s[42:43], s[42:43], exec
	s_waitcnt vmcnt(1)
	v_cmp_eq_u16_e32 vcc, 0, v20
	s_waitcnt vmcnt(0)
	v_cmp_ne_u16_e64 s[2:3], 0, v21
	s_or_b64 s[54:55], vcc, s[2:3]
	s_and_b64 s[52:53], vcc, s[2:3]
	s_xor_b64 s[56:57], vcc, s[2:3]
	s_and_b64 s[2:3], s[54:55], s[48:49]
	s_or_b64 s[52:53], s[52:53], s[2:3]
	s_and_b64 s[2:3], s[52:53], exec
	s_or_b64 s[2:3], s[50:51], s[2:3]
	s_and_saveexec_b64 s[50:51], s[56:57]
	s_cbranch_execz .LBB995_130
; %bb.132:                              ;   in Loop: Header=BB995_131 Depth=1
	s_add_u32 s46, s46, -1
	s_addc_u32 s47, s47, -1
	v_add_co_u32_e32 v2, vcc, 1, v2
	s_cmp_eq_u64 s[46:47], 0
	v_addc_co_u32_e32 v3, vcc, 0, v3, vcc
	s_cselect_b64 s[48:49], -1, 0
	v_add_co_u32_e32 v6, vcc, 1, v6
	s_andn2_b64 s[44:45], s[44:45], exec
	s_and_b64 s[52:53], s[52:53], exec
	s_andn2_b64 s[42:43], s[42:43], exec
	s_and_b64 s[48:49], s[48:49], exec
	v_addc_co_u32_e32 v7, vcc, 0, v7, vcc
	s_or_b64 s[44:45], s[44:45], s[52:53]
	s_andn2_b64 s[2:3], s[2:3], exec
	s_or_b64 s[42:43], s[42:43], s[48:49]
                                        ; implicit-def: $sgpr48_sgpr49
	s_branch .LBB995_130
.LBB995_133:
	s_or_b64 exec, exec, s[38:39]
	s_xor_b64 s[2:3], s[40:41], -1
	s_andn2_b64 s[30:31], s[30:31], exec
	s_and_b64 s[2:3], s[2:3], exec
	s_or_b64 s[30:31], s[30:31], s[2:3]
.LBB995_134:
	s_or_b64 exec, exec, s[36:37]
	s_orn2_b64 s[30:31], s[30:31], exec
.LBB995_135:
	s_or_b64 exec, exec, s[34:35]
	v_cndmask_b32_e64 v2, v34, v33, s[30:31]
	v_cndmask_b32_e64 v3, v19, v18, s[30:31]
	v_add_u32_e32 v6, 1, v2
	v_add_u32_e32 v2, -1, v3
	v_min_u32_e32 v2, v6, v2
	v_lshl_add_u32 v2, v2, 3, v14
	ds_read_b64 v[2:3], v2
	v_cndmask_b32_e64 v34, v6, v34, s[30:31]
	v_cndmask_b32_e64 v33, v33, v6, s[30:31]
	v_cmp_lt_u32_e32 vcc, v34, v19
	s_waitcnt lgkmcnt(0)
	v_cndmask_b32_e64 v20, v3, v8, s[30:31]
	v_cndmask_b32_e64 v21, v2, v9, s[30:31]
	;; [unrolled: 1-line block ×4, first 2 shown]
	s_and_saveexec_b64 s[34:35], vcc
	s_cbranch_execz .LBB995_143
; %bb.136:
	v_cmp_lt_u32_e64 s[28:29], v33, v18
	s_xor_b64 s[2:3], s[24:25], -1
	s_and_b64 s[2:3], s[28:29], s[2:3]
	s_and_saveexec_b64 s[36:37], s[2:3]
	s_cbranch_execz .LBB995_142
; %bb.137:
	v_pk_mov_b32 v[6:7], s[14:15], s[14:15] op_sel:[0,1]
	v_mad_u64_u32 v[2:3], s[2:3], v21, s12, v[6:7]
	v_mul_lo_u32 v37, v21, s13
	v_mul_lo_u32 v38, v20, s12
	v_add3_u32 v3, v38, v3, v37
	v_mad_u64_u32 v[6:7], s[2:3], v36, s12, v[6:7]
	v_mul_lo_u32 v37, v36, s13
	v_mul_lo_u32 v38, v35, s12
	v_add3_u32 v7, v38, v7, v37
	s_mov_b64 s[38:39], 0
	s_mov_b64 s[46:47], s[12:13]
                                        ; implicit-def: $sgpr40_sgpr41
                                        ; implicit-def: $sgpr42_sgpr43
                                        ; implicit-def: $sgpr2_sgpr3
                                        ; implicit-def: $sgpr44_sgpr45
                                        ; implicit-def: $sgpr48_sgpr49
	s_branch .LBB995_139
.LBB995_138:                            ;   in Loop: Header=BB995_139 Depth=1
	s_or_b64 exec, exec, s[50:51]
	s_and_b64 s[50:51], exec, s[42:43]
	s_or_b64 s[38:39], s[50:51], s[38:39]
	s_andn2_b64 s[48:49], s[48:49], exec
	s_and_b64 s[50:51], s[44:45], exec
	s_or_b64 s[48:49], s[48:49], s[50:51]
	s_andn2_b64 s[40:41], s[40:41], exec
	s_and_b64 s[50:51], s[2:3], exec
	s_or_b64 s[40:41], s[40:41], s[50:51]
	s_andn2_b64 exec, exec, s[38:39]
	s_cbranch_execz .LBB995_141
.LBB995_139:                            ; =>This Inner Loop Header: Depth=1
	global_load_ubyte v37, v[2:3], off
	global_load_ubyte v38, v[6:7], off
	s_andn2_b64 s[50:51], s[2:3], exec
	s_andn2_b64 s[44:45], s[44:45], exec
	s_or_b64 s[42:43], s[42:43], exec
	s_waitcnt vmcnt(1)
	v_cmp_eq_u16_e32 vcc, 0, v37
	s_waitcnt vmcnt(0)
	v_cmp_ne_u16_e64 s[2:3], 0, v38
	s_or_b64 s[54:55], vcc, s[2:3]
	s_and_b64 s[52:53], vcc, s[2:3]
	s_xor_b64 s[56:57], vcc, s[2:3]
	s_and_b64 s[2:3], s[54:55], s[48:49]
	s_or_b64 s[52:53], s[52:53], s[2:3]
	s_and_b64 s[2:3], s[52:53], exec
	s_or_b64 s[2:3], s[50:51], s[2:3]
	s_and_saveexec_b64 s[50:51], s[56:57]
	s_cbranch_execz .LBB995_138
; %bb.140:                              ;   in Loop: Header=BB995_139 Depth=1
	s_add_u32 s46, s46, -1
	s_addc_u32 s47, s47, -1
	v_add_co_u32_e32 v2, vcc, 1, v2
	s_cmp_eq_u64 s[46:47], 0
	v_addc_co_u32_e32 v3, vcc, 0, v3, vcc
	s_cselect_b64 s[48:49], -1, 0
	v_add_co_u32_e32 v6, vcc, 1, v6
	s_andn2_b64 s[44:45], s[44:45], exec
	s_and_b64 s[52:53], s[52:53], exec
	s_andn2_b64 s[42:43], s[42:43], exec
	s_and_b64 s[48:49], s[48:49], exec
	v_addc_co_u32_e32 v7, vcc, 0, v7, vcc
	s_or_b64 s[44:45], s[44:45], s[52:53]
	s_andn2_b64 s[2:3], s[2:3], exec
	s_or_b64 s[42:43], s[42:43], s[48:49]
                                        ; implicit-def: $sgpr48_sgpr49
	s_branch .LBB995_138
.LBB995_141:
	s_or_b64 exec, exec, s[38:39]
	s_xor_b64 s[2:3], s[40:41], -1
	s_andn2_b64 s[28:29], s[28:29], exec
	s_and_b64 s[2:3], s[2:3], exec
	s_or_b64 s[28:29], s[28:29], s[2:3]
.LBB995_142:
	s_or_b64 exec, exec, s[36:37]
	s_orn2_b64 s[28:29], s[28:29], exec
.LBB995_143:
	s_or_b64 exec, exec, s[34:35]
	v_cndmask_b32_e64 v6, v34, v33, s[28:29]
	v_cndmask_b32_e64 v7, v19, v18, s[28:29]
	;; [unrolled: 1-line block ×3, first 2 shown]
	v_add_u32_e32 v10, 1, v6
	v_add_u32_e32 v6, -1, v7
	v_min_u32_e32 v6, v10, v6
	v_lshl_add_u32 v6, v6, 3, v14
	v_cndmask_b32_e64 v2, v9, v11, s[30:31]
	ds_read_b64 v[8:9], v6
	v_cndmask_b32_e64 v11, v10, v34, s[28:29]
	v_cndmask_b32_e64 v1, v5, v1, s[4:5]
	;; [unrolled: 1-line block ×5, first 2 shown]
	s_waitcnt lgkmcnt(0)
	v_cndmask_b32_e64 v7, v35, v9, s[28:29]
	v_cndmask_b32_e64 v6, v36, v8, s[28:29]
	v_cmp_lt_u32_e32 vcc, v11, v19
	s_and_saveexec_b64 s[4:5], vcc
	s_cbranch_execz .LBB995_151
; %bb.144:
	v_cndmask_b32_e64 v19, v9, v20, s[28:29]
	v_cndmask_b32_e64 v20, v8, v21, s[28:29]
	;; [unrolled: 1-line block ×3, first 2 shown]
	v_cmp_ge_u32_e32 vcc, v8, v18
	s_or_b64 s[2:3], vcc, s[24:25]
	v_cndmask_b32_e32 v9, v7, v19, vcc
	s_xor_b64 s[2:3], s[2:3], -1
	v_cndmask_b32_e32 v8, v6, v20, vcc
	s_and_saveexec_b64 s[28:29], s[2:3]
	s_cbranch_execz .LBB995_150
; %bb.145:
	v_pk_mov_b32 v[10:11], s[14:15], s[14:15] op_sel:[0,1]
	v_mad_u64_u32 v[8:9], s[2:3], v20, s12, v[10:11]
	v_mul_lo_u32 v18, v20, s13
	v_mul_lo_u32 v21, v19, s12
	v_add3_u32 v9, v21, v9, v18
	v_mad_u64_u32 v[10:11], s[2:3], v6, s12, v[10:11]
	v_mul_lo_u32 v18, v6, s13
	v_mul_lo_u32 v21, v7, s12
	v_add3_u32 v11, v21, v11, v18
	s_mov_b64 s[30:31], 0
	s_mov_b64 s[40:41], s[12:13]
                                        ; implicit-def: $sgpr34_sgpr35
                                        ; implicit-def: $sgpr36_sgpr37
                                        ; implicit-def: $sgpr2_sgpr3
                                        ; implicit-def: $sgpr38_sgpr39
                                        ; implicit-def: $sgpr42_sgpr43
	s_branch .LBB995_147
.LBB995_146:                            ;   in Loop: Header=BB995_147 Depth=1
	s_or_b64 exec, exec, s[44:45]
	s_and_b64 s[44:45], exec, s[36:37]
	s_or_b64 s[30:31], s[44:45], s[30:31]
	s_andn2_b64 s[42:43], s[42:43], exec
	s_and_b64 s[44:45], s[38:39], exec
	s_or_b64 s[42:43], s[42:43], s[44:45]
	s_andn2_b64 s[34:35], s[34:35], exec
	s_and_b64 s[44:45], s[2:3], exec
	s_or_b64 s[34:35], s[34:35], s[44:45]
	s_andn2_b64 exec, exec, s[30:31]
	s_cbranch_execz .LBB995_149
.LBB995_147:                            ; =>This Inner Loop Header: Depth=1
	global_load_ubyte v18, v[8:9], off
	global_load_ubyte v21, v[10:11], off
	s_andn2_b64 s[44:45], s[2:3], exec
	s_andn2_b64 s[38:39], s[38:39], exec
	s_or_b64 s[36:37], s[36:37], exec
	s_waitcnt vmcnt(1)
	v_cmp_eq_u16_e32 vcc, 0, v18
	s_waitcnt vmcnt(0)
	v_cmp_ne_u16_e64 s[2:3], 0, v21
	s_or_b64 s[48:49], vcc, s[2:3]
	s_and_b64 s[46:47], vcc, s[2:3]
	s_xor_b64 s[50:51], vcc, s[2:3]
	s_and_b64 s[2:3], s[48:49], s[42:43]
	s_or_b64 s[46:47], s[46:47], s[2:3]
	s_and_b64 s[2:3], s[46:47], exec
	s_or_b64 s[2:3], s[44:45], s[2:3]
	s_and_saveexec_b64 s[44:45], s[50:51]
	s_cbranch_execz .LBB995_146
; %bb.148:                              ;   in Loop: Header=BB995_147 Depth=1
	s_add_u32 s40, s40, -1
	s_addc_u32 s41, s41, -1
	v_add_co_u32_e32 v8, vcc, 1, v8
	s_cmp_eq_u64 s[40:41], 0
	v_addc_co_u32_e32 v9, vcc, 0, v9, vcc
	s_cselect_b64 s[42:43], -1, 0
	v_add_co_u32_e32 v10, vcc, 1, v10
	s_andn2_b64 s[38:39], s[38:39], exec
	s_and_b64 s[46:47], s[46:47], exec
	s_andn2_b64 s[36:37], s[36:37], exec
	s_and_b64 s[42:43], s[42:43], exec
	v_addc_co_u32_e32 v11, vcc, 0, v11, vcc
	s_or_b64 s[38:39], s[38:39], s[46:47]
	s_andn2_b64 s[2:3], s[2:3], exec
	s_or_b64 s[36:37], s[36:37], s[42:43]
                                        ; implicit-def: $sgpr42_sgpr43
	s_branch .LBB995_146
.LBB995_149:
	s_or_b64 exec, exec, s[30:31]
	v_cndmask_b32_e64 v9, v7, v19, s[34:35]
	v_cndmask_b32_e64 v8, v6, v20, s[34:35]
.LBB995_150:
	s_or_b64 exec, exec, s[28:29]
	v_pk_mov_b32 v[6:7], v[8:9], v[8:9] op_sel:[0,1]
.LBB995_151:
	s_or_b64 exec, exec, s[4:5]
.LBB995_152:
	s_or_b64 exec, exec, s[26:27]
	v_and_b32_e32 v33, 0x1e0, v16
	v_or_b32_e32 v8, 16, v33
	v_min_u32_e32 v18, v15, v8
	v_add_u32_e32 v8, 16, v18
	v_min_u32_e32 v19, v15, v8
	v_and_b32_e32 v8, 28, v16
	v_min_u32_e32 v34, v15, v8
	v_sub_u32_e32 v8, v18, v33
	v_sub_u32_e32 v9, v19, v18
	v_sub_u32_e64 v21, v34, v9 clamp
	v_min_u32_e32 v35, v34, v8
	v_lshl_add_u32 v20, v33, 3, v14
	v_cmp_lt_u32_e32 vcc, v21, v35
	; wave barrier
	ds_write_b128 v17, v[0:3]
	ds_write_b128 v17, v[4:7] offset:16
	; wave barrier
	s_and_saveexec_b64 s[4:5], vcc
	s_cbranch_execz .LBB995_162
; %bb.153:
	v_lshlrev_b32_e32 v8, 3, v18
	v_lshlrev_b32_e32 v9, 3, v34
	v_add3_u32 v36, v14, v8, v9
	s_mov_b64 s[26:27], 0
	s_branch .LBB995_156
.LBB995_154:                            ;   in Loop: Header=BB995_156 Depth=1
	s_or_b64 exec, exec, s[30:31]
.LBB995_155:                            ;   in Loop: Header=BB995_156 Depth=1
	v_add_u32_e32 v8, 1, v37
	v_cndmask_b32_e64 v35, v35, v37, s[28:29]
	v_cndmask_b32_e64 v21, v8, v21, s[28:29]
	v_cmp_ge_u32_e32 vcc, v21, v35
	s_or_b64 s[26:27], vcc, s[26:27]
	s_andn2_b64 exec, exec, s[26:27]
	s_cbranch_execz .LBB995_161
.LBB995_156:                            ; =>This Loop Header: Depth=1
                                        ;     Child Loop BB995_159 Depth 2
	v_add_u32_e32 v8, v35, v21
	v_lshrrev_b32_e32 v37, 1, v8
	s_and_b64 vcc, exec, s[0:1]
	s_mov_b64 s[28:29], 0
	s_cbranch_vccnz .LBB995_155
; %bb.157:                              ;   in Loop: Header=BB995_156 Depth=1
	v_not_b32_e32 v8, v37
	v_lshl_add_u32 v8, v8, 3, v36
	ds_read_b64 v[8:9], v8
	v_lshl_add_u32 v38, v37, 3, v20
	ds_read_b64 v[38:39], v38
	v_pk_mov_b32 v[10:11], s[14:15], s[14:15] op_sel:[0,1]
	s_mov_b64 s[30:31], 0
	s_waitcnt lgkmcnt(1)
	v_mul_lo_u32 v40, v8, s13
	v_mul_lo_u32 v41, v9, s12
	v_mad_u64_u32 v[8:9], s[2:3], v8, s12, v[10:11]
	v_add3_u32 v9, v41, v9, v40
	s_waitcnt lgkmcnt(0)
	v_mul_lo_u32 v40, v38, s13
	v_mul_lo_u32 v39, v39, s12
	v_mad_u64_u32 v[10:11], s[2:3], v38, s12, v[10:11]
	v_add3_u32 v11, v39, v11, v40
	s_mov_b64 s[38:39], s[12:13]
                                        ; implicit-def: $sgpr28_sgpr29
                                        ; implicit-def: $sgpr34_sgpr35
                                        ; implicit-def: $sgpr36_sgpr37
                                        ; implicit-def: $sgpr2_sgpr3
                                        ; implicit-def: $sgpr40_sgpr41
	s_branch .LBB995_159
.LBB995_158:                            ;   in Loop: Header=BB995_159 Depth=2
	s_or_b64 exec, exec, s[42:43]
	s_and_b64 s[42:43], exec, s[34:35]
	s_or_b64 s[30:31], s[42:43], s[30:31]
	s_andn2_b64 s[40:41], s[40:41], exec
	s_and_b64 s[42:43], s[36:37], exec
	s_or_b64 s[40:41], s[40:41], s[42:43]
	s_andn2_b64 s[28:29], s[28:29], exec
	s_and_b64 s[42:43], s[2:3], exec
	s_or_b64 s[28:29], s[28:29], s[42:43]
	s_andn2_b64 exec, exec, s[30:31]
	s_cbranch_execz .LBB995_154
.LBB995_159:                            ;   Parent Loop BB995_156 Depth=1
                                        ; =>  This Inner Loop Header: Depth=2
	global_load_ubyte v38, v[8:9], off
	global_load_ubyte v39, v[10:11], off
	s_andn2_b64 s[42:43], s[2:3], exec
	s_andn2_b64 s[36:37], s[36:37], exec
	s_or_b64 s[34:35], s[34:35], exec
	s_waitcnt vmcnt(1)
	v_cmp_eq_u16_e32 vcc, 0, v38
	s_waitcnt vmcnt(0)
	v_cmp_ne_u16_e64 s[2:3], 0, v39
	s_or_b64 s[46:47], vcc, s[2:3]
	s_and_b64 s[44:45], vcc, s[2:3]
	s_xor_b64 s[48:49], vcc, s[2:3]
	s_and_b64 s[2:3], s[46:47], s[40:41]
	s_or_b64 s[44:45], s[44:45], s[2:3]
	s_and_b64 s[2:3], s[44:45], exec
	s_or_b64 s[2:3], s[42:43], s[2:3]
	s_and_saveexec_b64 s[42:43], s[48:49]
	s_cbranch_execz .LBB995_158
; %bb.160:                              ;   in Loop: Header=BB995_159 Depth=2
	s_add_u32 s38, s38, -1
	s_addc_u32 s39, s39, -1
	v_add_co_u32_e32 v8, vcc, 1, v8
	s_cmp_eq_u64 s[38:39], 0
	v_addc_co_u32_e32 v9, vcc, 0, v9, vcc
	s_cselect_b64 s[40:41], -1, 0
	v_add_co_u32_e32 v10, vcc, 1, v10
	s_andn2_b64 s[36:37], s[36:37], exec
	s_and_b64 s[44:45], s[44:45], exec
	s_andn2_b64 s[34:35], s[34:35], exec
	s_and_b64 s[40:41], s[40:41], exec
	v_addc_co_u32_e32 v11, vcc, 0, v11, vcc
	s_andn2_b64 s[2:3], s[2:3], exec
	s_or_b64 s[36:37], s[36:37], s[44:45]
	s_or_b64 s[34:35], s[34:35], s[40:41]
                                        ; implicit-def: $sgpr40_sgpr41
	s_branch .LBB995_158
.LBB995_161:
	s_or_b64 exec, exec, s[26:27]
.LBB995_162:
	s_or_b64 exec, exec, s[4:5]
	v_add_u32_e32 v8, v18, v34
	v_add_u32_e32 v33, v21, v33
	v_sub_u32_e32 v34, v8, v21
	v_cmp_le_u32_e32 vcc, v33, v18
	v_cmp_le_u32_e64 s[2:3], v34, v19
	s_or_b64 s[2:3], vcc, s[2:3]
	s_and_saveexec_b64 s[26:27], s[2:3]
	s_cbranch_execz .LBB995_198
; %bb.163:
	v_cmp_ge_u32_e32 vcc, v33, v18
	v_cmp_lt_u32_e64 s[2:3], v33, v18
                                        ; implicit-def: $vgpr0_vgpr1
	s_and_saveexec_b64 s[4:5], s[2:3]
	s_cbranch_execz .LBB995_165
; %bb.164:
	v_lshl_add_u32 v0, v21, 3, v20
	ds_read_b64 v[0:1], v0
.LBB995_165:
	s_or_b64 exec, exec, s[4:5]
	v_cmp_ge_u32_e64 s[2:3], v34, v19
	v_cmp_lt_u32_e64 s[4:5], v34, v19
                                        ; implicit-def: $vgpr4_vgpr5
	s_and_saveexec_b64 s[28:29], s[4:5]
	s_cbranch_execz .LBB995_167
; %bb.166:
	v_lshl_add_u32 v2, v34, 3, v14
	ds_read_b64 v[4:5], v2
.LBB995_167:
	s_or_b64 exec, exec, s[28:29]
	s_or_b64 s[4:5], vcc, s[2:3]
	s_or_b64 s[4:5], s[4:5], s[24:25]
	s_xor_b64 s[30:31], s[4:5], -1
	s_xor_b64 s[4:5], vcc, -1
	s_or_b64 s[4:5], s[2:3], s[4:5]
	s_and_saveexec_b64 s[28:29], s[30:31]
	s_cbranch_execz .LBB995_173
; %bb.168:
	v_pk_mov_b32 v[6:7], s[14:15], s[14:15] op_sel:[0,1]
	s_waitcnt lgkmcnt(0)
	v_mad_u64_u32 v[2:3], s[2:3], v4, s12, v[6:7]
	v_mul_lo_u32 v8, v4, s13
	v_mul_lo_u32 v9, v5, s12
	v_add3_u32 v3, v9, v3, v8
	v_mad_u64_u32 v[6:7], s[2:3], v0, s12, v[6:7]
	v_mul_lo_u32 v8, v0, s13
	v_mul_lo_u32 v9, v1, s12
	v_add3_u32 v7, v9, v7, v8
	s_mov_b64 s[30:31], 0
	s_mov_b64 s[40:41], s[12:13]
                                        ; implicit-def: $sgpr34_sgpr35
                                        ; implicit-def: $sgpr36_sgpr37
                                        ; implicit-def: $sgpr2_sgpr3
                                        ; implicit-def: $sgpr38_sgpr39
                                        ; implicit-def: $sgpr42_sgpr43
	s_branch .LBB995_170
.LBB995_169:                            ;   in Loop: Header=BB995_170 Depth=1
	s_or_b64 exec, exec, s[44:45]
	s_and_b64 s[44:45], exec, s[36:37]
	s_or_b64 s[30:31], s[44:45], s[30:31]
	s_andn2_b64 s[42:43], s[42:43], exec
	s_and_b64 s[44:45], s[38:39], exec
	s_or_b64 s[42:43], s[42:43], s[44:45]
	s_andn2_b64 s[34:35], s[34:35], exec
	s_and_b64 s[44:45], s[2:3], exec
	s_or_b64 s[34:35], s[34:35], s[44:45]
	s_andn2_b64 exec, exec, s[30:31]
	s_cbranch_execz .LBB995_172
.LBB995_170:                            ; =>This Inner Loop Header: Depth=1
	global_load_ubyte v8, v[2:3], off
	global_load_ubyte v9, v[6:7], off
	s_andn2_b64 s[44:45], s[2:3], exec
	s_andn2_b64 s[38:39], s[38:39], exec
	s_or_b64 s[36:37], s[36:37], exec
	s_waitcnt vmcnt(1)
	v_cmp_eq_u16_e32 vcc, 0, v8
	s_waitcnt vmcnt(0)
	v_cmp_ne_u16_e64 s[2:3], 0, v9
	s_or_b64 s[48:49], vcc, s[2:3]
	s_and_b64 s[46:47], vcc, s[2:3]
	s_xor_b64 s[50:51], vcc, s[2:3]
	s_and_b64 s[2:3], s[48:49], s[42:43]
	s_or_b64 s[46:47], s[46:47], s[2:3]
	s_and_b64 s[2:3], s[46:47], exec
	s_or_b64 s[2:3], s[44:45], s[2:3]
	s_and_saveexec_b64 s[44:45], s[50:51]
	s_cbranch_execz .LBB995_169
; %bb.171:                              ;   in Loop: Header=BB995_170 Depth=1
	s_add_u32 s40, s40, -1
	s_addc_u32 s41, s41, -1
	v_add_co_u32_e32 v2, vcc, 1, v2
	s_cmp_eq_u64 s[40:41], 0
	v_addc_co_u32_e32 v3, vcc, 0, v3, vcc
	s_cselect_b64 s[42:43], -1, 0
	v_add_co_u32_e32 v6, vcc, 1, v6
	s_andn2_b64 s[38:39], s[38:39], exec
	s_and_b64 s[46:47], s[46:47], exec
	s_andn2_b64 s[36:37], s[36:37], exec
	s_and_b64 s[42:43], s[42:43], exec
	v_addc_co_u32_e32 v7, vcc, 0, v7, vcc
	s_or_b64 s[38:39], s[38:39], s[46:47]
	s_andn2_b64 s[2:3], s[2:3], exec
	s_or_b64 s[36:37], s[36:37], s[42:43]
                                        ; implicit-def: $sgpr42_sgpr43
	s_branch .LBB995_169
.LBB995_172:
	s_or_b64 exec, exec, s[30:31]
	s_xor_b64 s[2:3], s[34:35], -1
	s_andn2_b64 s[4:5], s[4:5], exec
	s_and_b64 s[2:3], s[2:3], exec
	s_or_b64 s[4:5], s[4:5], s[2:3]
.LBB995_173:
	s_or_b64 exec, exec, s[28:29]
	v_cndmask_b32_e64 v2, v34, v33, s[4:5]
	v_cndmask_b32_e64 v3, v19, v18, s[4:5]
	v_add_u32_e32 v6, 1, v2
	v_add_u32_e32 v2, -1, v3
	v_min_u32_e32 v2, v6, v2
	v_lshl_add_u32 v2, v2, 3, v14
	ds_read_b64 v[2:3], v2
	v_cndmask_b32_e64 v34, v6, v34, s[4:5]
	v_cndmask_b32_e64 v33, v33, v6, s[4:5]
	v_cmp_lt_u32_e32 vcc, v34, v19
	s_mov_b64 s[28:29], -1
	s_waitcnt lgkmcnt(0)
	v_cndmask_b32_e64 v8, v3, v5, s[4:5]
	v_cndmask_b32_e64 v9, v2, v4, s[4:5]
	v_cndmask_b32_e64 v10, v1, v3, s[4:5]
	v_cndmask_b32_e64 v11, v0, v2, s[4:5]
	s_mov_b64 s[30:31], -1
	s_and_saveexec_b64 s[34:35], vcc
	s_cbranch_execz .LBB995_181
; %bb.174:
	v_cmp_lt_u32_e64 s[30:31], v33, v18
	s_xor_b64 s[2:3], s[24:25], -1
	s_and_b64 s[2:3], s[30:31], s[2:3]
	s_and_saveexec_b64 s[36:37], s[2:3]
	s_cbranch_execz .LBB995_180
; %bb.175:
	v_pk_mov_b32 v[6:7], s[14:15], s[14:15] op_sel:[0,1]
	v_mad_u64_u32 v[2:3], s[2:3], v9, s12, v[6:7]
	v_mul_lo_u32 v20, v9, s13
	v_mul_lo_u32 v21, v8, s12
	v_add3_u32 v3, v21, v3, v20
	v_mad_u64_u32 v[6:7], s[2:3], v11, s12, v[6:7]
	v_mul_lo_u32 v20, v11, s13
	v_mul_lo_u32 v21, v10, s12
	v_add3_u32 v7, v21, v7, v20
	s_mov_b64 s[38:39], 0
	s_mov_b64 s[46:47], s[12:13]
                                        ; implicit-def: $sgpr40_sgpr41
                                        ; implicit-def: $sgpr42_sgpr43
                                        ; implicit-def: $sgpr2_sgpr3
                                        ; implicit-def: $sgpr44_sgpr45
                                        ; implicit-def: $sgpr48_sgpr49
	s_branch .LBB995_177
.LBB995_176:                            ;   in Loop: Header=BB995_177 Depth=1
	s_or_b64 exec, exec, s[50:51]
	s_and_b64 s[50:51], exec, s[42:43]
	s_or_b64 s[38:39], s[50:51], s[38:39]
	s_andn2_b64 s[48:49], s[48:49], exec
	s_and_b64 s[50:51], s[44:45], exec
	s_or_b64 s[48:49], s[48:49], s[50:51]
	s_andn2_b64 s[40:41], s[40:41], exec
	s_and_b64 s[50:51], s[2:3], exec
	s_or_b64 s[40:41], s[40:41], s[50:51]
	s_andn2_b64 exec, exec, s[38:39]
	s_cbranch_execz .LBB995_179
.LBB995_177:                            ; =>This Inner Loop Header: Depth=1
	global_load_ubyte v20, v[2:3], off
	global_load_ubyte v21, v[6:7], off
	s_andn2_b64 s[50:51], s[2:3], exec
	s_andn2_b64 s[44:45], s[44:45], exec
	s_or_b64 s[42:43], s[42:43], exec
	s_waitcnt vmcnt(1)
	v_cmp_eq_u16_e32 vcc, 0, v20
	s_waitcnt vmcnt(0)
	v_cmp_ne_u16_e64 s[2:3], 0, v21
	s_or_b64 s[54:55], vcc, s[2:3]
	s_and_b64 s[52:53], vcc, s[2:3]
	s_xor_b64 s[56:57], vcc, s[2:3]
	s_and_b64 s[2:3], s[54:55], s[48:49]
	s_or_b64 s[52:53], s[52:53], s[2:3]
	s_and_b64 s[2:3], s[52:53], exec
	s_or_b64 s[2:3], s[50:51], s[2:3]
	s_and_saveexec_b64 s[50:51], s[56:57]
	s_cbranch_execz .LBB995_176
; %bb.178:                              ;   in Loop: Header=BB995_177 Depth=1
	s_add_u32 s46, s46, -1
	s_addc_u32 s47, s47, -1
	v_add_co_u32_e32 v2, vcc, 1, v2
	s_cmp_eq_u64 s[46:47], 0
	v_addc_co_u32_e32 v3, vcc, 0, v3, vcc
	s_cselect_b64 s[48:49], -1, 0
	v_add_co_u32_e32 v6, vcc, 1, v6
	s_andn2_b64 s[44:45], s[44:45], exec
	s_and_b64 s[52:53], s[52:53], exec
	s_andn2_b64 s[42:43], s[42:43], exec
	s_and_b64 s[48:49], s[48:49], exec
	v_addc_co_u32_e32 v7, vcc, 0, v7, vcc
	s_or_b64 s[44:45], s[44:45], s[52:53]
	s_andn2_b64 s[2:3], s[2:3], exec
	s_or_b64 s[42:43], s[42:43], s[48:49]
                                        ; implicit-def: $sgpr48_sgpr49
	s_branch .LBB995_176
.LBB995_179:
	s_or_b64 exec, exec, s[38:39]
	s_xor_b64 s[2:3], s[40:41], -1
	s_andn2_b64 s[30:31], s[30:31], exec
	s_and_b64 s[2:3], s[2:3], exec
	s_or_b64 s[30:31], s[30:31], s[2:3]
.LBB995_180:
	s_or_b64 exec, exec, s[36:37]
	s_orn2_b64 s[30:31], s[30:31], exec
.LBB995_181:
	s_or_b64 exec, exec, s[34:35]
	v_cndmask_b32_e64 v2, v34, v33, s[30:31]
	v_cndmask_b32_e64 v3, v19, v18, s[30:31]
	v_add_u32_e32 v6, 1, v2
	v_add_u32_e32 v2, -1, v3
	v_min_u32_e32 v2, v6, v2
	v_lshl_add_u32 v2, v2, 3, v14
	ds_read_b64 v[2:3], v2
	v_cndmask_b32_e64 v34, v6, v34, s[30:31]
	v_cndmask_b32_e64 v33, v33, v6, s[30:31]
	v_cmp_lt_u32_e32 vcc, v34, v19
	s_waitcnt lgkmcnt(0)
	v_cndmask_b32_e64 v20, v3, v8, s[30:31]
	v_cndmask_b32_e64 v21, v2, v9, s[30:31]
	;; [unrolled: 1-line block ×4, first 2 shown]
	s_and_saveexec_b64 s[34:35], vcc
	s_cbranch_execz .LBB995_189
; %bb.182:
	v_cmp_lt_u32_e64 s[28:29], v33, v18
	s_xor_b64 s[2:3], s[24:25], -1
	s_and_b64 s[2:3], s[28:29], s[2:3]
	s_and_saveexec_b64 s[36:37], s[2:3]
	s_cbranch_execz .LBB995_188
; %bb.183:
	v_pk_mov_b32 v[6:7], s[14:15], s[14:15] op_sel:[0,1]
	v_mad_u64_u32 v[2:3], s[2:3], v21, s12, v[6:7]
	v_mul_lo_u32 v37, v21, s13
	v_mul_lo_u32 v38, v20, s12
	v_add3_u32 v3, v38, v3, v37
	v_mad_u64_u32 v[6:7], s[2:3], v36, s12, v[6:7]
	v_mul_lo_u32 v37, v36, s13
	v_mul_lo_u32 v38, v35, s12
	v_add3_u32 v7, v38, v7, v37
	s_mov_b64 s[38:39], 0
	s_mov_b64 s[46:47], s[12:13]
                                        ; implicit-def: $sgpr40_sgpr41
                                        ; implicit-def: $sgpr42_sgpr43
                                        ; implicit-def: $sgpr2_sgpr3
                                        ; implicit-def: $sgpr44_sgpr45
                                        ; implicit-def: $sgpr48_sgpr49
	s_branch .LBB995_185
.LBB995_184:                            ;   in Loop: Header=BB995_185 Depth=1
	s_or_b64 exec, exec, s[50:51]
	s_and_b64 s[50:51], exec, s[42:43]
	s_or_b64 s[38:39], s[50:51], s[38:39]
	s_andn2_b64 s[48:49], s[48:49], exec
	s_and_b64 s[50:51], s[44:45], exec
	s_or_b64 s[48:49], s[48:49], s[50:51]
	s_andn2_b64 s[40:41], s[40:41], exec
	s_and_b64 s[50:51], s[2:3], exec
	s_or_b64 s[40:41], s[40:41], s[50:51]
	s_andn2_b64 exec, exec, s[38:39]
	s_cbranch_execz .LBB995_187
.LBB995_185:                            ; =>This Inner Loop Header: Depth=1
	global_load_ubyte v37, v[2:3], off
	global_load_ubyte v38, v[6:7], off
	s_andn2_b64 s[50:51], s[2:3], exec
	s_andn2_b64 s[44:45], s[44:45], exec
	s_or_b64 s[42:43], s[42:43], exec
	s_waitcnt vmcnt(1)
	v_cmp_eq_u16_e32 vcc, 0, v37
	s_waitcnt vmcnt(0)
	v_cmp_ne_u16_e64 s[2:3], 0, v38
	s_or_b64 s[54:55], vcc, s[2:3]
	s_and_b64 s[52:53], vcc, s[2:3]
	s_xor_b64 s[56:57], vcc, s[2:3]
	s_and_b64 s[2:3], s[54:55], s[48:49]
	s_or_b64 s[52:53], s[52:53], s[2:3]
	s_and_b64 s[2:3], s[52:53], exec
	s_or_b64 s[2:3], s[50:51], s[2:3]
	s_and_saveexec_b64 s[50:51], s[56:57]
	s_cbranch_execz .LBB995_184
; %bb.186:                              ;   in Loop: Header=BB995_185 Depth=1
	s_add_u32 s46, s46, -1
	s_addc_u32 s47, s47, -1
	v_add_co_u32_e32 v2, vcc, 1, v2
	s_cmp_eq_u64 s[46:47], 0
	v_addc_co_u32_e32 v3, vcc, 0, v3, vcc
	s_cselect_b64 s[48:49], -1, 0
	v_add_co_u32_e32 v6, vcc, 1, v6
	s_andn2_b64 s[44:45], s[44:45], exec
	s_and_b64 s[52:53], s[52:53], exec
	s_andn2_b64 s[42:43], s[42:43], exec
	s_and_b64 s[48:49], s[48:49], exec
	v_addc_co_u32_e32 v7, vcc, 0, v7, vcc
	s_or_b64 s[44:45], s[44:45], s[52:53]
	s_andn2_b64 s[2:3], s[2:3], exec
	s_or_b64 s[42:43], s[42:43], s[48:49]
                                        ; implicit-def: $sgpr48_sgpr49
	s_branch .LBB995_184
.LBB995_187:
	s_or_b64 exec, exec, s[38:39]
	s_xor_b64 s[2:3], s[40:41], -1
	s_andn2_b64 s[28:29], s[28:29], exec
	s_and_b64 s[2:3], s[2:3], exec
	s_or_b64 s[28:29], s[28:29], s[2:3]
.LBB995_188:
	s_or_b64 exec, exec, s[36:37]
	s_orn2_b64 s[28:29], s[28:29], exec
.LBB995_189:
	s_or_b64 exec, exec, s[34:35]
	v_cndmask_b32_e64 v6, v34, v33, s[28:29]
	v_cndmask_b32_e64 v7, v19, v18, s[28:29]
	;; [unrolled: 1-line block ×3, first 2 shown]
	v_add_u32_e32 v10, 1, v6
	v_add_u32_e32 v6, -1, v7
	v_min_u32_e32 v6, v10, v6
	v_lshl_add_u32 v6, v6, 3, v14
	v_cndmask_b32_e64 v2, v9, v11, s[30:31]
	ds_read_b64 v[8:9], v6
	v_cndmask_b32_e64 v11, v10, v34, s[28:29]
	v_cndmask_b32_e64 v1, v5, v1, s[4:5]
	;; [unrolled: 1-line block ×5, first 2 shown]
	s_waitcnt lgkmcnt(0)
	v_cndmask_b32_e64 v7, v35, v9, s[28:29]
	v_cndmask_b32_e64 v6, v36, v8, s[28:29]
	v_cmp_lt_u32_e32 vcc, v11, v19
	s_and_saveexec_b64 s[4:5], vcc
	s_cbranch_execz .LBB995_197
; %bb.190:
	v_cndmask_b32_e64 v19, v9, v20, s[28:29]
	v_cndmask_b32_e64 v20, v8, v21, s[28:29]
	v_cndmask_b32_e64 v8, v33, v10, s[28:29]
	v_cmp_ge_u32_e32 vcc, v8, v18
	s_or_b64 s[2:3], vcc, s[24:25]
	v_cndmask_b32_e32 v9, v7, v19, vcc
	s_xor_b64 s[2:3], s[2:3], -1
	v_cndmask_b32_e32 v8, v6, v20, vcc
	s_and_saveexec_b64 s[28:29], s[2:3]
	s_cbranch_execz .LBB995_196
; %bb.191:
	v_pk_mov_b32 v[10:11], s[14:15], s[14:15] op_sel:[0,1]
	v_mad_u64_u32 v[8:9], s[2:3], v20, s12, v[10:11]
	v_mul_lo_u32 v18, v20, s13
	v_mul_lo_u32 v21, v19, s12
	v_add3_u32 v9, v21, v9, v18
	v_mad_u64_u32 v[10:11], s[2:3], v6, s12, v[10:11]
	v_mul_lo_u32 v18, v6, s13
	v_mul_lo_u32 v21, v7, s12
	v_add3_u32 v11, v21, v11, v18
	s_mov_b64 s[30:31], 0
	s_mov_b64 s[40:41], s[12:13]
                                        ; implicit-def: $sgpr34_sgpr35
                                        ; implicit-def: $sgpr36_sgpr37
                                        ; implicit-def: $sgpr2_sgpr3
                                        ; implicit-def: $sgpr38_sgpr39
                                        ; implicit-def: $sgpr42_sgpr43
	s_branch .LBB995_193
.LBB995_192:                            ;   in Loop: Header=BB995_193 Depth=1
	s_or_b64 exec, exec, s[44:45]
	s_and_b64 s[44:45], exec, s[36:37]
	s_or_b64 s[30:31], s[44:45], s[30:31]
	s_andn2_b64 s[42:43], s[42:43], exec
	s_and_b64 s[44:45], s[38:39], exec
	s_or_b64 s[42:43], s[42:43], s[44:45]
	s_andn2_b64 s[34:35], s[34:35], exec
	s_and_b64 s[44:45], s[2:3], exec
	s_or_b64 s[34:35], s[34:35], s[44:45]
	s_andn2_b64 exec, exec, s[30:31]
	s_cbranch_execz .LBB995_195
.LBB995_193:                            ; =>This Inner Loop Header: Depth=1
	global_load_ubyte v18, v[8:9], off
	global_load_ubyte v21, v[10:11], off
	s_andn2_b64 s[44:45], s[2:3], exec
	s_andn2_b64 s[38:39], s[38:39], exec
	s_or_b64 s[36:37], s[36:37], exec
	s_waitcnt vmcnt(1)
	v_cmp_eq_u16_e32 vcc, 0, v18
	s_waitcnt vmcnt(0)
	v_cmp_ne_u16_e64 s[2:3], 0, v21
	s_or_b64 s[48:49], vcc, s[2:3]
	s_and_b64 s[46:47], vcc, s[2:3]
	s_xor_b64 s[50:51], vcc, s[2:3]
	s_and_b64 s[2:3], s[48:49], s[42:43]
	s_or_b64 s[46:47], s[46:47], s[2:3]
	s_and_b64 s[2:3], s[46:47], exec
	s_or_b64 s[2:3], s[44:45], s[2:3]
	s_and_saveexec_b64 s[44:45], s[50:51]
	s_cbranch_execz .LBB995_192
; %bb.194:                              ;   in Loop: Header=BB995_193 Depth=1
	s_add_u32 s40, s40, -1
	s_addc_u32 s41, s41, -1
	v_add_co_u32_e32 v8, vcc, 1, v8
	s_cmp_eq_u64 s[40:41], 0
	v_addc_co_u32_e32 v9, vcc, 0, v9, vcc
	s_cselect_b64 s[42:43], -1, 0
	v_add_co_u32_e32 v10, vcc, 1, v10
	s_andn2_b64 s[38:39], s[38:39], exec
	s_and_b64 s[46:47], s[46:47], exec
	s_andn2_b64 s[36:37], s[36:37], exec
	s_and_b64 s[42:43], s[42:43], exec
	v_addc_co_u32_e32 v11, vcc, 0, v11, vcc
	s_or_b64 s[38:39], s[38:39], s[46:47]
	s_andn2_b64 s[2:3], s[2:3], exec
	s_or_b64 s[36:37], s[36:37], s[42:43]
                                        ; implicit-def: $sgpr42_sgpr43
	s_branch .LBB995_192
.LBB995_195:
	s_or_b64 exec, exec, s[30:31]
	v_cndmask_b32_e64 v9, v7, v19, s[34:35]
	v_cndmask_b32_e64 v8, v6, v20, s[34:35]
.LBB995_196:
	s_or_b64 exec, exec, s[28:29]
	v_pk_mov_b32 v[6:7], v[8:9], v[8:9] op_sel:[0,1]
.LBB995_197:
	s_or_b64 exec, exec, s[4:5]
.LBB995_198:
	s_or_b64 exec, exec, s[26:27]
	v_and_b32_e32 v19, 0x1c0, v16
	v_or_b32_e32 v8, 32, v19
	; wave barrier
	ds_write_b128 v17, v[0:3]
	ds_write_b128 v17, v[4:7] offset:16
	v_min_u32_e32 v17, v15, v8
	v_add_u32_e32 v8, 32, v17
	v_min_u32_e32 v18, v15, v8
	v_and_b32_e32 v8, 60, v16
	v_min_u32_e32 v20, v15, v8
	v_sub_u32_e32 v8, v17, v19
	v_sub_u32_e32 v9, v18, v17
	v_sub_u32_e64 v16, v20, v9 clamp
	v_min_u32_e32 v21, v20, v8
	v_lshl_add_u32 v15, v19, 3, v14
	v_cmp_lt_u32_e32 vcc, v16, v21
	; wave barrier
	s_and_saveexec_b64 s[4:5], vcc
	s_cbranch_execz .LBB995_208
; %bb.199:
	v_lshlrev_b32_e32 v8, 3, v17
	v_lshlrev_b32_e32 v9, 3, v20
	v_add3_u32 v33, v14, v8, v9
	s_mov_b64 s[26:27], 0
	s_branch .LBB995_202
.LBB995_200:                            ;   in Loop: Header=BB995_202 Depth=1
	s_or_b64 exec, exec, s[30:31]
.LBB995_201:                            ;   in Loop: Header=BB995_202 Depth=1
	v_add_u32_e32 v8, 1, v34
	v_cndmask_b32_e64 v21, v21, v34, s[28:29]
	v_cndmask_b32_e64 v16, v8, v16, s[28:29]
	v_cmp_ge_u32_e32 vcc, v16, v21
	s_or_b64 s[26:27], vcc, s[26:27]
	s_andn2_b64 exec, exec, s[26:27]
	s_cbranch_execz .LBB995_207
.LBB995_202:                            ; =>This Loop Header: Depth=1
                                        ;     Child Loop BB995_205 Depth 2
	v_add_u32_e32 v8, v21, v16
	v_lshrrev_b32_e32 v34, 1, v8
	s_and_b64 vcc, exec, s[0:1]
	s_mov_b64 s[28:29], 0
	s_cbranch_vccnz .LBB995_201
; %bb.203:                              ;   in Loop: Header=BB995_202 Depth=1
	v_not_b32_e32 v8, v34
	v_lshl_add_u32 v8, v8, 3, v33
	ds_read_b64 v[8:9], v8
	v_lshl_add_u32 v35, v34, 3, v15
	ds_read_b64 v[36:37], v35
	v_pk_mov_b32 v[10:11], s[14:15], s[14:15] op_sel:[0,1]
	s_mov_b64 s[30:31], 0
	s_waitcnt lgkmcnt(1)
	v_mul_lo_u32 v35, v8, s13
	v_mul_lo_u32 v38, v9, s12
	v_mad_u64_u32 v[8:9], s[2:3], v8, s12, v[10:11]
	v_add3_u32 v9, v38, v9, v35
	s_waitcnt lgkmcnt(0)
	v_mul_lo_u32 v35, v36, s13
	v_mul_lo_u32 v37, v37, s12
	v_mad_u64_u32 v[10:11], s[2:3], v36, s12, v[10:11]
	v_add3_u32 v11, v37, v11, v35
	s_mov_b64 s[38:39], s[12:13]
                                        ; implicit-def: $sgpr28_sgpr29
                                        ; implicit-def: $sgpr34_sgpr35
                                        ; implicit-def: $sgpr36_sgpr37
                                        ; implicit-def: $sgpr2_sgpr3
                                        ; implicit-def: $sgpr40_sgpr41
	s_branch .LBB995_205
.LBB995_204:                            ;   in Loop: Header=BB995_205 Depth=2
	s_or_b64 exec, exec, s[42:43]
	s_and_b64 s[42:43], exec, s[34:35]
	s_or_b64 s[30:31], s[42:43], s[30:31]
	s_andn2_b64 s[40:41], s[40:41], exec
	s_and_b64 s[42:43], s[36:37], exec
	s_or_b64 s[40:41], s[40:41], s[42:43]
	s_andn2_b64 s[28:29], s[28:29], exec
	s_and_b64 s[42:43], s[2:3], exec
	s_or_b64 s[28:29], s[28:29], s[42:43]
	s_andn2_b64 exec, exec, s[30:31]
	s_cbranch_execz .LBB995_200
.LBB995_205:                            ;   Parent Loop BB995_202 Depth=1
                                        ; =>  This Inner Loop Header: Depth=2
	global_load_ubyte v35, v[8:9], off
	global_load_ubyte v36, v[10:11], off
	s_andn2_b64 s[42:43], s[2:3], exec
	s_andn2_b64 s[36:37], s[36:37], exec
	s_or_b64 s[34:35], s[34:35], exec
	s_waitcnt vmcnt(1)
	v_cmp_eq_u16_e32 vcc, 0, v35
	s_waitcnt vmcnt(0)
	v_cmp_ne_u16_e64 s[2:3], 0, v36
	s_or_b64 s[46:47], vcc, s[2:3]
	s_and_b64 s[44:45], vcc, s[2:3]
	s_xor_b64 s[48:49], vcc, s[2:3]
	s_and_b64 s[2:3], s[46:47], s[40:41]
	s_or_b64 s[44:45], s[44:45], s[2:3]
	s_and_b64 s[2:3], s[44:45], exec
	s_or_b64 s[2:3], s[42:43], s[2:3]
	s_and_saveexec_b64 s[42:43], s[48:49]
	s_cbranch_execz .LBB995_204
; %bb.206:                              ;   in Loop: Header=BB995_205 Depth=2
	s_add_u32 s38, s38, -1
	s_addc_u32 s39, s39, -1
	v_add_co_u32_e32 v8, vcc, 1, v8
	s_cmp_eq_u64 s[38:39], 0
	v_addc_co_u32_e32 v9, vcc, 0, v9, vcc
	s_cselect_b64 s[40:41], -1, 0
	v_add_co_u32_e32 v10, vcc, 1, v10
	s_andn2_b64 s[36:37], s[36:37], exec
	s_and_b64 s[44:45], s[44:45], exec
	s_andn2_b64 s[34:35], s[34:35], exec
	s_and_b64 s[40:41], s[40:41], exec
	v_addc_co_u32_e32 v11, vcc, 0, v11, vcc
	s_andn2_b64 s[2:3], s[2:3], exec
	s_or_b64 s[36:37], s[36:37], s[44:45]
	s_or_b64 s[34:35], s[34:35], s[40:41]
                                        ; implicit-def: $sgpr40_sgpr41
	s_branch .LBB995_204
.LBB995_207:
	s_or_b64 exec, exec, s[26:27]
.LBB995_208:
	s_or_b64 exec, exec, s[4:5]
	v_add_u32_e32 v8, v17, v20
	v_add_u32_e32 v19, v16, v19
	v_sub_u32_e32 v20, v8, v16
	v_cmp_le_u32_e32 vcc, v19, v17
	v_cmp_le_u32_e64 s[2:3], v20, v18
	s_or_b64 s[2:3], vcc, s[2:3]
	s_and_saveexec_b64 s[26:27], s[2:3]
	s_cbranch_execz .LBB995_244
; %bb.209:
	v_cmp_ge_u32_e32 vcc, v19, v17
	v_cmp_lt_u32_e64 s[2:3], v19, v17
                                        ; implicit-def: $vgpr0_vgpr1
	s_and_saveexec_b64 s[4:5], s[2:3]
	s_cbranch_execz .LBB995_211
; %bb.210:
	v_lshl_add_u32 v0, v16, 3, v15
	ds_read_b64 v[0:1], v0
.LBB995_211:
	s_or_b64 exec, exec, s[4:5]
	v_cmp_ge_u32_e64 s[2:3], v20, v18
	v_cmp_lt_u32_e64 s[4:5], v20, v18
                                        ; implicit-def: $vgpr4_vgpr5
	s_and_saveexec_b64 s[28:29], s[4:5]
	s_cbranch_execz .LBB995_213
; %bb.212:
	v_lshl_add_u32 v2, v20, 3, v14
	ds_read_b64 v[4:5], v2
.LBB995_213:
	s_or_b64 exec, exec, s[28:29]
	s_or_b64 s[4:5], vcc, s[2:3]
	s_or_b64 s[4:5], s[4:5], s[24:25]
	s_xor_b64 s[30:31], s[4:5], -1
	s_xor_b64 s[4:5], vcc, -1
	s_or_b64 s[4:5], s[2:3], s[4:5]
	s_and_saveexec_b64 s[28:29], s[30:31]
	s_cbranch_execz .LBB995_219
; %bb.214:
	v_pk_mov_b32 v[6:7], s[14:15], s[14:15] op_sel:[0,1]
	s_waitcnt lgkmcnt(0)
	v_mad_u64_u32 v[2:3], s[2:3], v4, s12, v[6:7]
	v_mul_lo_u32 v8, v4, s13
	v_mul_lo_u32 v9, v5, s12
	v_add3_u32 v3, v9, v3, v8
	v_mad_u64_u32 v[6:7], s[2:3], v0, s12, v[6:7]
	v_mul_lo_u32 v8, v0, s13
	v_mul_lo_u32 v9, v1, s12
	v_add3_u32 v7, v9, v7, v8
	s_mov_b64 s[30:31], 0
	s_mov_b64 s[40:41], s[12:13]
                                        ; implicit-def: $sgpr34_sgpr35
                                        ; implicit-def: $sgpr36_sgpr37
                                        ; implicit-def: $sgpr2_sgpr3
                                        ; implicit-def: $sgpr38_sgpr39
                                        ; implicit-def: $sgpr42_sgpr43
	s_branch .LBB995_216
.LBB995_215:                            ;   in Loop: Header=BB995_216 Depth=1
	s_or_b64 exec, exec, s[44:45]
	s_and_b64 s[44:45], exec, s[36:37]
	s_or_b64 s[30:31], s[44:45], s[30:31]
	s_andn2_b64 s[42:43], s[42:43], exec
	s_and_b64 s[44:45], s[38:39], exec
	s_or_b64 s[42:43], s[42:43], s[44:45]
	s_andn2_b64 s[34:35], s[34:35], exec
	s_and_b64 s[44:45], s[2:3], exec
	s_or_b64 s[34:35], s[34:35], s[44:45]
	s_andn2_b64 exec, exec, s[30:31]
	s_cbranch_execz .LBB995_218
.LBB995_216:                            ; =>This Inner Loop Header: Depth=1
	global_load_ubyte v8, v[2:3], off
	global_load_ubyte v9, v[6:7], off
	s_andn2_b64 s[44:45], s[2:3], exec
	s_andn2_b64 s[38:39], s[38:39], exec
	s_or_b64 s[36:37], s[36:37], exec
	s_waitcnt vmcnt(1)
	v_cmp_eq_u16_e32 vcc, 0, v8
	s_waitcnt vmcnt(0)
	v_cmp_ne_u16_e64 s[2:3], 0, v9
	s_or_b64 s[48:49], vcc, s[2:3]
	s_and_b64 s[46:47], vcc, s[2:3]
	s_xor_b64 s[50:51], vcc, s[2:3]
	s_and_b64 s[2:3], s[48:49], s[42:43]
	s_or_b64 s[46:47], s[46:47], s[2:3]
	s_and_b64 s[2:3], s[46:47], exec
	s_or_b64 s[2:3], s[44:45], s[2:3]
	s_and_saveexec_b64 s[44:45], s[50:51]
	s_cbranch_execz .LBB995_215
; %bb.217:                              ;   in Loop: Header=BB995_216 Depth=1
	s_add_u32 s40, s40, -1
	s_addc_u32 s41, s41, -1
	v_add_co_u32_e32 v2, vcc, 1, v2
	s_cmp_eq_u64 s[40:41], 0
	v_addc_co_u32_e32 v3, vcc, 0, v3, vcc
	s_cselect_b64 s[42:43], -1, 0
	v_add_co_u32_e32 v6, vcc, 1, v6
	s_andn2_b64 s[38:39], s[38:39], exec
	s_and_b64 s[46:47], s[46:47], exec
	s_andn2_b64 s[36:37], s[36:37], exec
	s_and_b64 s[42:43], s[42:43], exec
	v_addc_co_u32_e32 v7, vcc, 0, v7, vcc
	s_or_b64 s[38:39], s[38:39], s[46:47]
	s_andn2_b64 s[2:3], s[2:3], exec
	s_or_b64 s[36:37], s[36:37], s[42:43]
                                        ; implicit-def: $sgpr42_sgpr43
	s_branch .LBB995_215
.LBB995_218:
	s_or_b64 exec, exec, s[30:31]
	s_xor_b64 s[2:3], s[34:35], -1
	s_andn2_b64 s[4:5], s[4:5], exec
	s_and_b64 s[2:3], s[2:3], exec
	s_or_b64 s[4:5], s[4:5], s[2:3]
.LBB995_219:
	s_or_b64 exec, exec, s[28:29]
	v_cndmask_b32_e64 v2, v20, v19, s[4:5]
	v_cndmask_b32_e64 v3, v18, v17, s[4:5]
	v_add_u32_e32 v6, 1, v2
	v_add_u32_e32 v2, -1, v3
	v_min_u32_e32 v2, v6, v2
	v_lshl_add_u32 v2, v2, 3, v14
	ds_read_b64 v[2:3], v2
	v_cndmask_b32_e64 v20, v6, v20, s[4:5]
	v_cndmask_b32_e64 v19, v19, v6, s[4:5]
	v_cmp_lt_u32_e32 vcc, v20, v18
	s_mov_b64 s[28:29], -1
	s_waitcnt lgkmcnt(0)
	v_cndmask_b32_e64 v8, v3, v5, s[4:5]
	v_cndmask_b32_e64 v9, v2, v4, s[4:5]
	;; [unrolled: 1-line block ×4, first 2 shown]
	s_mov_b64 s[30:31], -1
	s_and_saveexec_b64 s[34:35], vcc
	s_cbranch_execz .LBB995_227
; %bb.220:
	v_cmp_lt_u32_e64 s[30:31], v19, v17
	s_xor_b64 s[2:3], s[24:25], -1
	s_and_b64 s[2:3], s[30:31], s[2:3]
	s_and_saveexec_b64 s[36:37], s[2:3]
	s_cbranch_execz .LBB995_226
; %bb.221:
	v_pk_mov_b32 v[6:7], s[14:15], s[14:15] op_sel:[0,1]
	v_mad_u64_u32 v[2:3], s[2:3], v9, s12, v[6:7]
	v_mul_lo_u32 v15, v9, s13
	v_mul_lo_u32 v16, v8, s12
	v_add3_u32 v3, v16, v3, v15
	v_mad_u64_u32 v[6:7], s[2:3], v11, s12, v[6:7]
	v_mul_lo_u32 v15, v11, s13
	v_mul_lo_u32 v16, v10, s12
	v_add3_u32 v7, v16, v7, v15
	s_mov_b64 s[38:39], 0
	s_mov_b64 s[46:47], s[12:13]
                                        ; implicit-def: $sgpr40_sgpr41
                                        ; implicit-def: $sgpr42_sgpr43
                                        ; implicit-def: $sgpr2_sgpr3
                                        ; implicit-def: $sgpr44_sgpr45
                                        ; implicit-def: $sgpr48_sgpr49
	s_branch .LBB995_223
.LBB995_222:                            ;   in Loop: Header=BB995_223 Depth=1
	s_or_b64 exec, exec, s[50:51]
	s_and_b64 s[50:51], exec, s[42:43]
	s_or_b64 s[38:39], s[50:51], s[38:39]
	s_andn2_b64 s[48:49], s[48:49], exec
	s_and_b64 s[50:51], s[44:45], exec
	s_or_b64 s[48:49], s[48:49], s[50:51]
	s_andn2_b64 s[40:41], s[40:41], exec
	s_and_b64 s[50:51], s[2:3], exec
	s_or_b64 s[40:41], s[40:41], s[50:51]
	s_andn2_b64 exec, exec, s[38:39]
	s_cbranch_execz .LBB995_225
.LBB995_223:                            ; =>This Inner Loop Header: Depth=1
	global_load_ubyte v15, v[2:3], off
	global_load_ubyte v16, v[6:7], off
	s_andn2_b64 s[50:51], s[2:3], exec
	s_andn2_b64 s[44:45], s[44:45], exec
	s_or_b64 s[42:43], s[42:43], exec
	s_waitcnt vmcnt(1)
	v_cmp_eq_u16_e32 vcc, 0, v15
	s_waitcnt vmcnt(0)
	v_cmp_ne_u16_e64 s[2:3], 0, v16
	s_or_b64 s[54:55], vcc, s[2:3]
	s_and_b64 s[52:53], vcc, s[2:3]
	s_xor_b64 s[56:57], vcc, s[2:3]
	s_and_b64 s[2:3], s[54:55], s[48:49]
	s_or_b64 s[52:53], s[52:53], s[2:3]
	s_and_b64 s[2:3], s[52:53], exec
	s_or_b64 s[2:3], s[50:51], s[2:3]
	s_and_saveexec_b64 s[50:51], s[56:57]
	s_cbranch_execz .LBB995_222
; %bb.224:                              ;   in Loop: Header=BB995_223 Depth=1
	s_add_u32 s46, s46, -1
	s_addc_u32 s47, s47, -1
	v_add_co_u32_e32 v2, vcc, 1, v2
	s_cmp_eq_u64 s[46:47], 0
	v_addc_co_u32_e32 v3, vcc, 0, v3, vcc
	s_cselect_b64 s[48:49], -1, 0
	v_add_co_u32_e32 v6, vcc, 1, v6
	s_andn2_b64 s[44:45], s[44:45], exec
	s_and_b64 s[52:53], s[52:53], exec
	s_andn2_b64 s[42:43], s[42:43], exec
	s_and_b64 s[48:49], s[48:49], exec
	v_addc_co_u32_e32 v7, vcc, 0, v7, vcc
	s_or_b64 s[44:45], s[44:45], s[52:53]
	s_andn2_b64 s[2:3], s[2:3], exec
	s_or_b64 s[42:43], s[42:43], s[48:49]
                                        ; implicit-def: $sgpr48_sgpr49
	s_branch .LBB995_222
.LBB995_225:
	s_or_b64 exec, exec, s[38:39]
	s_xor_b64 s[2:3], s[40:41], -1
	s_andn2_b64 s[30:31], s[30:31], exec
	s_and_b64 s[2:3], s[2:3], exec
	s_or_b64 s[30:31], s[30:31], s[2:3]
.LBB995_226:
	s_or_b64 exec, exec, s[36:37]
	s_orn2_b64 s[30:31], s[30:31], exec
.LBB995_227:
	s_or_b64 exec, exec, s[34:35]
	v_cndmask_b32_e64 v2, v20, v19, s[30:31]
	v_cndmask_b32_e64 v3, v18, v17, s[30:31]
	v_add_u32_e32 v6, 1, v2
	v_add_u32_e32 v2, -1, v3
	v_min_u32_e32 v2, v6, v2
	v_lshl_add_u32 v2, v2, 3, v14
	ds_read_b64 v[2:3], v2
	v_cndmask_b32_e64 v20, v6, v20, s[30:31]
	v_cndmask_b32_e64 v19, v19, v6, s[30:31]
	v_cmp_lt_u32_e32 vcc, v20, v18
	s_waitcnt lgkmcnt(0)
	v_cndmask_b32_e64 v15, v3, v8, s[30:31]
	v_cndmask_b32_e64 v16, v2, v9, s[30:31]
	;; [unrolled: 1-line block ×4, first 2 shown]
	s_and_saveexec_b64 s[34:35], vcc
	s_cbranch_execz .LBB995_235
; %bb.228:
	v_cmp_lt_u32_e64 s[28:29], v19, v17
	s_xor_b64 s[2:3], s[24:25], -1
	s_and_b64 s[2:3], s[28:29], s[2:3]
	s_and_saveexec_b64 s[36:37], s[2:3]
	s_cbranch_execz .LBB995_234
; %bb.229:
	v_pk_mov_b32 v[6:7], s[14:15], s[14:15] op_sel:[0,1]
	v_mad_u64_u32 v[2:3], s[2:3], v16, s12, v[6:7]
	v_mul_lo_u32 v34, v16, s13
	v_mul_lo_u32 v35, v15, s12
	v_add3_u32 v3, v35, v3, v34
	v_mad_u64_u32 v[6:7], s[2:3], v33, s12, v[6:7]
	v_mul_lo_u32 v34, v33, s13
	v_mul_lo_u32 v35, v21, s12
	v_add3_u32 v7, v35, v7, v34
	s_mov_b64 s[38:39], 0
	s_mov_b64 s[46:47], s[12:13]
                                        ; implicit-def: $sgpr40_sgpr41
                                        ; implicit-def: $sgpr42_sgpr43
                                        ; implicit-def: $sgpr2_sgpr3
                                        ; implicit-def: $sgpr44_sgpr45
                                        ; implicit-def: $sgpr48_sgpr49
	s_branch .LBB995_231
.LBB995_230:                            ;   in Loop: Header=BB995_231 Depth=1
	s_or_b64 exec, exec, s[50:51]
	s_and_b64 s[50:51], exec, s[42:43]
	s_or_b64 s[38:39], s[50:51], s[38:39]
	s_andn2_b64 s[48:49], s[48:49], exec
	s_and_b64 s[50:51], s[44:45], exec
	s_or_b64 s[48:49], s[48:49], s[50:51]
	s_andn2_b64 s[40:41], s[40:41], exec
	s_and_b64 s[50:51], s[2:3], exec
	s_or_b64 s[40:41], s[40:41], s[50:51]
	s_andn2_b64 exec, exec, s[38:39]
	s_cbranch_execz .LBB995_233
.LBB995_231:                            ; =>This Inner Loop Header: Depth=1
	global_load_ubyte v34, v[2:3], off
	global_load_ubyte v35, v[6:7], off
	s_andn2_b64 s[50:51], s[2:3], exec
	s_andn2_b64 s[44:45], s[44:45], exec
	s_or_b64 s[42:43], s[42:43], exec
	s_waitcnt vmcnt(1)
	v_cmp_eq_u16_e32 vcc, 0, v34
	s_waitcnt vmcnt(0)
	v_cmp_ne_u16_e64 s[2:3], 0, v35
	s_or_b64 s[54:55], vcc, s[2:3]
	s_and_b64 s[52:53], vcc, s[2:3]
	s_xor_b64 s[56:57], vcc, s[2:3]
	s_and_b64 s[2:3], s[54:55], s[48:49]
	s_or_b64 s[52:53], s[52:53], s[2:3]
	s_and_b64 s[2:3], s[52:53], exec
	s_or_b64 s[2:3], s[50:51], s[2:3]
	s_and_saveexec_b64 s[50:51], s[56:57]
	s_cbranch_execz .LBB995_230
; %bb.232:                              ;   in Loop: Header=BB995_231 Depth=1
	s_add_u32 s46, s46, -1
	s_addc_u32 s47, s47, -1
	v_add_co_u32_e32 v2, vcc, 1, v2
	s_cmp_eq_u64 s[46:47], 0
	v_addc_co_u32_e32 v3, vcc, 0, v3, vcc
	s_cselect_b64 s[48:49], -1, 0
	v_add_co_u32_e32 v6, vcc, 1, v6
	s_andn2_b64 s[44:45], s[44:45], exec
	s_and_b64 s[52:53], s[52:53], exec
	s_andn2_b64 s[42:43], s[42:43], exec
	s_and_b64 s[48:49], s[48:49], exec
	v_addc_co_u32_e32 v7, vcc, 0, v7, vcc
	s_or_b64 s[44:45], s[44:45], s[52:53]
	s_andn2_b64 s[2:3], s[2:3], exec
	s_or_b64 s[42:43], s[42:43], s[48:49]
                                        ; implicit-def: $sgpr48_sgpr49
	s_branch .LBB995_230
.LBB995_233:
	s_or_b64 exec, exec, s[38:39]
	s_xor_b64 s[2:3], s[40:41], -1
	s_andn2_b64 s[28:29], s[28:29], exec
	s_and_b64 s[2:3], s[2:3], exec
	s_or_b64 s[28:29], s[28:29], s[2:3]
.LBB995_234:
	s_or_b64 exec, exec, s[36:37]
	s_orn2_b64 s[28:29], s[28:29], exec
.LBB995_235:
	s_or_b64 exec, exec, s[34:35]
	v_cndmask_b32_e64 v6, v20, v19, s[28:29]
	v_cndmask_b32_e64 v7, v18, v17, s[28:29]
	;; [unrolled: 1-line block ×3, first 2 shown]
	v_add_u32_e32 v10, 1, v6
	v_add_u32_e32 v6, -1, v7
	v_min_u32_e32 v6, v10, v6
	v_lshl_add_u32 v6, v6, 3, v14
	v_cndmask_b32_e64 v2, v9, v11, s[30:31]
	ds_read_b64 v[8:9], v6
	v_cndmask_b32_e64 v11, v10, v20, s[28:29]
	v_cndmask_b32_e64 v1, v5, v1, s[4:5]
	;; [unrolled: 1-line block ×5, first 2 shown]
	s_waitcnt lgkmcnt(0)
	v_cndmask_b32_e64 v7, v21, v9, s[28:29]
	v_cndmask_b32_e64 v6, v33, v8, s[28:29]
	v_cmp_lt_u32_e32 vcc, v11, v18
	s_and_saveexec_b64 s[4:5], vcc
	s_cbranch_execz .LBB995_243
; %bb.236:
	v_cndmask_b32_e64 v14, v9, v15, s[28:29]
	v_cndmask_b32_e64 v15, v8, v16, s[28:29]
	v_cndmask_b32_e64 v8, v19, v10, s[28:29]
	v_cmp_ge_u32_e32 vcc, v8, v17
	s_or_b64 s[2:3], vcc, s[24:25]
	v_cndmask_b32_e32 v9, v7, v14, vcc
	s_xor_b64 s[2:3], s[2:3], -1
	v_cndmask_b32_e32 v8, v6, v15, vcc
	s_and_saveexec_b64 s[28:29], s[2:3]
	s_cbranch_execz .LBB995_242
; %bb.237:
	v_pk_mov_b32 v[10:11], s[14:15], s[14:15] op_sel:[0,1]
	v_mad_u64_u32 v[8:9], s[2:3], v15, s12, v[10:11]
	v_mul_lo_u32 v16, v15, s13
	v_mul_lo_u32 v17, v14, s12
	v_add3_u32 v9, v17, v9, v16
	v_mad_u64_u32 v[10:11], s[2:3], v6, s12, v[10:11]
	v_mul_lo_u32 v16, v6, s13
	v_mul_lo_u32 v17, v7, s12
	v_add3_u32 v11, v17, v11, v16
	s_mov_b64 s[30:31], 0
	s_mov_b64 s[40:41], s[12:13]
                                        ; implicit-def: $sgpr34_sgpr35
                                        ; implicit-def: $sgpr36_sgpr37
                                        ; implicit-def: $sgpr2_sgpr3
                                        ; implicit-def: $sgpr38_sgpr39
                                        ; implicit-def: $sgpr42_sgpr43
	s_branch .LBB995_239
.LBB995_238:                            ;   in Loop: Header=BB995_239 Depth=1
	s_or_b64 exec, exec, s[44:45]
	s_and_b64 s[44:45], exec, s[36:37]
	s_or_b64 s[30:31], s[44:45], s[30:31]
	s_andn2_b64 s[42:43], s[42:43], exec
	s_and_b64 s[44:45], s[38:39], exec
	s_or_b64 s[42:43], s[42:43], s[44:45]
	s_andn2_b64 s[34:35], s[34:35], exec
	s_and_b64 s[44:45], s[2:3], exec
	s_or_b64 s[34:35], s[34:35], s[44:45]
	s_andn2_b64 exec, exec, s[30:31]
	s_cbranch_execz .LBB995_241
.LBB995_239:                            ; =>This Inner Loop Header: Depth=1
	global_load_ubyte v16, v[8:9], off
	global_load_ubyte v17, v[10:11], off
	s_andn2_b64 s[44:45], s[2:3], exec
	s_andn2_b64 s[38:39], s[38:39], exec
	s_or_b64 s[36:37], s[36:37], exec
	s_waitcnt vmcnt(1)
	v_cmp_eq_u16_e32 vcc, 0, v16
	s_waitcnt vmcnt(0)
	v_cmp_ne_u16_e64 s[2:3], 0, v17
	s_or_b64 s[48:49], vcc, s[2:3]
	s_and_b64 s[46:47], vcc, s[2:3]
	s_xor_b64 s[50:51], vcc, s[2:3]
	s_and_b64 s[2:3], s[48:49], s[42:43]
	s_or_b64 s[46:47], s[46:47], s[2:3]
	s_and_b64 s[2:3], s[46:47], exec
	s_or_b64 s[2:3], s[44:45], s[2:3]
	s_and_saveexec_b64 s[44:45], s[50:51]
	s_cbranch_execz .LBB995_238
; %bb.240:                              ;   in Loop: Header=BB995_239 Depth=1
	s_add_u32 s40, s40, -1
	s_addc_u32 s41, s41, -1
	v_add_co_u32_e32 v8, vcc, 1, v8
	s_cmp_eq_u64 s[40:41], 0
	v_addc_co_u32_e32 v9, vcc, 0, v9, vcc
	s_cselect_b64 s[42:43], -1, 0
	v_add_co_u32_e32 v10, vcc, 1, v10
	s_andn2_b64 s[38:39], s[38:39], exec
	s_and_b64 s[46:47], s[46:47], exec
	s_andn2_b64 s[36:37], s[36:37], exec
	s_and_b64 s[42:43], s[42:43], exec
	v_addc_co_u32_e32 v11, vcc, 0, v11, vcc
	s_or_b64 s[38:39], s[38:39], s[46:47]
	s_andn2_b64 s[2:3], s[2:3], exec
	s_or_b64 s[36:37], s[36:37], s[42:43]
                                        ; implicit-def: $sgpr42_sgpr43
	s_branch .LBB995_238
.LBB995_241:
	s_or_b64 exec, exec, s[30:31]
	v_cndmask_b32_e64 v9, v7, v14, s[34:35]
	v_cndmask_b32_e64 v8, v6, v15, s[34:35]
.LBB995_242:
	s_or_b64 exec, exec, s[28:29]
	v_pk_mov_b32 v[6:7], v[8:9], v[8:9] op_sel:[0,1]
.LBB995_243:
	s_or_b64 exec, exec, s[4:5]
.LBB995_244:
	s_or_b64 exec, exec, s[26:27]
	v_and_b32_e32 v19, 0xf80, v23
	v_or_b32_e32 v8, 64, v19
	v_min_u32_e32 v15, 0x400, v8
	v_min_u32_e32 v8, 0x3c0, v8
	v_add_u32_e32 v16, 64, v8
	v_and_b32_e32 v20, 0x7c, v23
	v_sub_u32_e32 v8, v15, v19
	v_sub_u32_e32 v9, v16, v15
	v_sub_u32_e64 v18, v20, v9 clamp
	v_min_u32_e32 v21, v20, v8
	v_lshlrev_b32_e32 v14, 3, v23
	v_lshlrev_b32_e32 v17, 3, v19
	v_cmp_lt_u32_e32 vcc, v18, v21
	; wave barrier
	s_waitcnt lgkmcnt(0)
	s_barrier
	ds_write_b128 v14, v[0:3]
	ds_write_b128 v14, v[4:7] offset:16
	s_waitcnt lgkmcnt(0)
	s_barrier
	s_and_saveexec_b64 s[4:5], vcc
	s_cbranch_execz .LBB995_254
; %bb.245:
	v_lshlrev_b32_e32 v8, 3, v20
	v_lshl_add_u32 v33, v15, 3, v8
	s_mov_b64 s[26:27], 0
	s_branch .LBB995_248
.LBB995_246:                            ;   in Loop: Header=BB995_248 Depth=1
	s_or_b64 exec, exec, s[30:31]
.LBB995_247:                            ;   in Loop: Header=BB995_248 Depth=1
	v_add_u32_e32 v8, 1, v34
	v_cndmask_b32_e64 v21, v21, v34, s[28:29]
	v_cndmask_b32_e64 v18, v8, v18, s[28:29]
	v_cmp_ge_u32_e32 vcc, v18, v21
	s_or_b64 s[26:27], vcc, s[26:27]
	s_andn2_b64 exec, exec, s[26:27]
	s_cbranch_execz .LBB995_253
.LBB995_248:                            ; =>This Loop Header: Depth=1
                                        ;     Child Loop BB995_251 Depth 2
	v_add_u32_e32 v8, v21, v18
	v_lshrrev_b32_e32 v34, 1, v8
	s_and_b64 vcc, exec, s[0:1]
	s_mov_b64 s[28:29], 0
	s_cbranch_vccnz .LBB995_247
; %bb.249:                              ;   in Loop: Header=BB995_248 Depth=1
	v_not_b32_e32 v8, v34
	v_lshl_add_u32 v8, v8, 3, v33
	ds_read_b64 v[8:9], v8
	v_lshl_add_u32 v35, v34, 3, v17
	ds_read_b64 v[36:37], v35
	v_pk_mov_b32 v[10:11], s[14:15], s[14:15] op_sel:[0,1]
	s_mov_b64 s[30:31], 0
	s_waitcnt lgkmcnt(1)
	v_mul_lo_u32 v35, v8, s13
	v_mul_lo_u32 v38, v9, s12
	v_mad_u64_u32 v[8:9], s[2:3], v8, s12, v[10:11]
	v_add3_u32 v9, v38, v9, v35
	s_waitcnt lgkmcnt(0)
	v_mul_lo_u32 v35, v36, s13
	v_mul_lo_u32 v37, v37, s12
	v_mad_u64_u32 v[10:11], s[2:3], v36, s12, v[10:11]
	v_add3_u32 v11, v37, v11, v35
	s_mov_b64 s[38:39], s[12:13]
                                        ; implicit-def: $sgpr28_sgpr29
                                        ; implicit-def: $sgpr34_sgpr35
                                        ; implicit-def: $sgpr36_sgpr37
                                        ; implicit-def: $sgpr2_sgpr3
                                        ; implicit-def: $sgpr40_sgpr41
	s_branch .LBB995_251
.LBB995_250:                            ;   in Loop: Header=BB995_251 Depth=2
	s_or_b64 exec, exec, s[42:43]
	s_and_b64 s[42:43], exec, s[34:35]
	s_or_b64 s[30:31], s[42:43], s[30:31]
	s_andn2_b64 s[40:41], s[40:41], exec
	s_and_b64 s[42:43], s[36:37], exec
	s_or_b64 s[40:41], s[40:41], s[42:43]
	s_andn2_b64 s[28:29], s[28:29], exec
	s_and_b64 s[42:43], s[2:3], exec
	s_or_b64 s[28:29], s[28:29], s[42:43]
	s_andn2_b64 exec, exec, s[30:31]
	s_cbranch_execz .LBB995_246
.LBB995_251:                            ;   Parent Loop BB995_248 Depth=1
                                        ; =>  This Inner Loop Header: Depth=2
	global_load_ubyte v35, v[8:9], off
	global_load_ubyte v36, v[10:11], off
	s_andn2_b64 s[42:43], s[2:3], exec
	s_andn2_b64 s[36:37], s[36:37], exec
	s_or_b64 s[34:35], s[34:35], exec
	s_waitcnt vmcnt(1)
	v_cmp_eq_u16_e32 vcc, 0, v35
	s_waitcnt vmcnt(0)
	v_cmp_ne_u16_e64 s[2:3], 0, v36
	s_or_b64 s[46:47], vcc, s[2:3]
	s_and_b64 s[44:45], vcc, s[2:3]
	s_xor_b64 s[48:49], vcc, s[2:3]
	s_and_b64 s[2:3], s[46:47], s[40:41]
	s_or_b64 s[44:45], s[44:45], s[2:3]
	s_and_b64 s[2:3], s[44:45], exec
	s_or_b64 s[2:3], s[42:43], s[2:3]
	s_and_saveexec_b64 s[42:43], s[48:49]
	s_cbranch_execz .LBB995_250
; %bb.252:                              ;   in Loop: Header=BB995_251 Depth=2
	s_add_u32 s38, s38, -1
	s_addc_u32 s39, s39, -1
	v_add_co_u32_e32 v8, vcc, 1, v8
	s_cmp_eq_u64 s[38:39], 0
	v_addc_co_u32_e32 v9, vcc, 0, v9, vcc
	s_cselect_b64 s[40:41], -1, 0
	v_add_co_u32_e32 v10, vcc, 1, v10
	s_andn2_b64 s[36:37], s[36:37], exec
	s_and_b64 s[44:45], s[44:45], exec
	s_andn2_b64 s[34:35], s[34:35], exec
	s_and_b64 s[40:41], s[40:41], exec
	v_addc_co_u32_e32 v11, vcc, 0, v11, vcc
	s_andn2_b64 s[2:3], s[2:3], exec
	s_or_b64 s[36:37], s[36:37], s[44:45]
	s_or_b64 s[34:35], s[34:35], s[40:41]
                                        ; implicit-def: $sgpr40_sgpr41
	s_branch .LBB995_250
.LBB995_253:
	s_or_b64 exec, exec, s[26:27]
.LBB995_254:
	s_or_b64 exec, exec, s[4:5]
	v_sub_u32_e32 v8, v20, v18
	v_add_u32_e32 v19, v18, v19
	v_add_u32_e32 v20, v8, v15
	v_cmp_le_u32_e32 vcc, v19, v15
	v_cmp_le_u32_e64 s[2:3], v20, v16
	s_or_b64 s[2:3], vcc, s[2:3]
	s_and_saveexec_b64 s[26:27], s[2:3]
	s_cbranch_execz .LBB995_290
; %bb.255:
	v_cmp_ge_u32_e32 vcc, v19, v15
	v_cmp_lt_u32_e64 s[2:3], v19, v15
                                        ; implicit-def: $vgpr0_vgpr1
	s_and_saveexec_b64 s[4:5], s[2:3]
	s_cbranch_execz .LBB995_257
; %bb.256:
	v_lshl_add_u32 v0, v18, 3, v17
	ds_read_b64 v[0:1], v0
.LBB995_257:
	s_or_b64 exec, exec, s[4:5]
	v_cmp_ge_u32_e64 s[2:3], v20, v16
	v_cmp_lt_u32_e64 s[4:5], v20, v16
                                        ; implicit-def: $vgpr4_vgpr5
	s_and_saveexec_b64 s[28:29], s[4:5]
	s_cbranch_execz .LBB995_259
; %bb.258:
	v_lshlrev_b32_e32 v2, 3, v20
	ds_read_b64 v[4:5], v2
.LBB995_259:
	s_or_b64 exec, exec, s[28:29]
	s_or_b64 s[4:5], vcc, s[2:3]
	s_or_b64 s[4:5], s[4:5], s[24:25]
	s_xor_b64 s[30:31], s[4:5], -1
	s_xor_b64 s[4:5], vcc, -1
	s_or_b64 s[4:5], s[2:3], s[4:5]
	s_and_saveexec_b64 s[28:29], s[30:31]
	s_cbranch_execz .LBB995_265
; %bb.260:
	v_pk_mov_b32 v[6:7], s[14:15], s[14:15] op_sel:[0,1]
	s_waitcnt lgkmcnt(0)
	v_mad_u64_u32 v[2:3], s[2:3], v4, s12, v[6:7]
	v_mul_lo_u32 v8, v4, s13
	v_mul_lo_u32 v9, v5, s12
	v_add3_u32 v3, v9, v3, v8
	v_mad_u64_u32 v[6:7], s[2:3], v0, s12, v[6:7]
	v_mul_lo_u32 v8, v0, s13
	v_mul_lo_u32 v9, v1, s12
	v_add3_u32 v7, v9, v7, v8
	s_mov_b64 s[30:31], 0
	s_mov_b64 s[40:41], s[12:13]
                                        ; implicit-def: $sgpr34_sgpr35
                                        ; implicit-def: $sgpr36_sgpr37
                                        ; implicit-def: $sgpr2_sgpr3
                                        ; implicit-def: $sgpr38_sgpr39
                                        ; implicit-def: $sgpr42_sgpr43
	s_branch .LBB995_262
.LBB995_261:                            ;   in Loop: Header=BB995_262 Depth=1
	s_or_b64 exec, exec, s[44:45]
	s_and_b64 s[44:45], exec, s[36:37]
	s_or_b64 s[30:31], s[44:45], s[30:31]
	s_andn2_b64 s[42:43], s[42:43], exec
	s_and_b64 s[44:45], s[38:39], exec
	s_or_b64 s[42:43], s[42:43], s[44:45]
	s_andn2_b64 s[34:35], s[34:35], exec
	s_and_b64 s[44:45], s[2:3], exec
	s_or_b64 s[34:35], s[34:35], s[44:45]
	s_andn2_b64 exec, exec, s[30:31]
	s_cbranch_execz .LBB995_264
.LBB995_262:                            ; =>This Inner Loop Header: Depth=1
	global_load_ubyte v8, v[2:3], off
	global_load_ubyte v9, v[6:7], off
	s_andn2_b64 s[44:45], s[2:3], exec
	s_andn2_b64 s[38:39], s[38:39], exec
	s_or_b64 s[36:37], s[36:37], exec
	s_waitcnt vmcnt(1)
	v_cmp_eq_u16_e32 vcc, 0, v8
	s_waitcnt vmcnt(0)
	v_cmp_ne_u16_e64 s[2:3], 0, v9
	s_or_b64 s[48:49], vcc, s[2:3]
	s_and_b64 s[46:47], vcc, s[2:3]
	s_xor_b64 s[50:51], vcc, s[2:3]
	s_and_b64 s[2:3], s[48:49], s[42:43]
	s_or_b64 s[46:47], s[46:47], s[2:3]
	s_and_b64 s[2:3], s[46:47], exec
	s_or_b64 s[2:3], s[44:45], s[2:3]
	s_and_saveexec_b64 s[44:45], s[50:51]
	s_cbranch_execz .LBB995_261
; %bb.263:                              ;   in Loop: Header=BB995_262 Depth=1
	s_add_u32 s40, s40, -1
	s_addc_u32 s41, s41, -1
	v_add_co_u32_e32 v2, vcc, 1, v2
	s_cmp_eq_u64 s[40:41], 0
	v_addc_co_u32_e32 v3, vcc, 0, v3, vcc
	s_cselect_b64 s[42:43], -1, 0
	v_add_co_u32_e32 v6, vcc, 1, v6
	s_andn2_b64 s[38:39], s[38:39], exec
	s_and_b64 s[46:47], s[46:47], exec
	s_andn2_b64 s[36:37], s[36:37], exec
	s_and_b64 s[42:43], s[42:43], exec
	v_addc_co_u32_e32 v7, vcc, 0, v7, vcc
	s_or_b64 s[38:39], s[38:39], s[46:47]
	s_andn2_b64 s[2:3], s[2:3], exec
	s_or_b64 s[36:37], s[36:37], s[42:43]
                                        ; implicit-def: $sgpr42_sgpr43
	s_branch .LBB995_261
.LBB995_264:
	s_or_b64 exec, exec, s[30:31]
	s_xor_b64 s[2:3], s[34:35], -1
	s_andn2_b64 s[4:5], s[4:5], exec
	s_and_b64 s[2:3], s[2:3], exec
	s_or_b64 s[4:5], s[4:5], s[2:3]
.LBB995_265:
	s_or_b64 exec, exec, s[28:29]
	v_cndmask_b32_e64 v2, v20, v19, s[4:5]
	v_cndmask_b32_e64 v3, v16, v15, s[4:5]
	v_add_u32_e32 v6, 1, v2
	v_add_u32_e32 v2, -1, v3
	v_min_u32_e32 v2, v6, v2
	v_lshlrev_b32_e32 v2, 3, v2
	ds_read_b64 v[2:3], v2
	v_cndmask_b32_e64 v20, v6, v20, s[4:5]
	v_cndmask_b32_e64 v19, v19, v6, s[4:5]
	v_cmp_lt_u32_e32 vcc, v20, v16
	s_mov_b64 s[28:29], -1
	s_waitcnt lgkmcnt(0)
	v_cndmask_b32_e64 v8, v3, v5, s[4:5]
	v_cndmask_b32_e64 v9, v2, v4, s[4:5]
	;; [unrolled: 1-line block ×4, first 2 shown]
	s_mov_b64 s[30:31], -1
	s_and_saveexec_b64 s[34:35], vcc
	s_cbranch_execz .LBB995_273
; %bb.266:
	v_cmp_lt_u32_e64 s[30:31], v19, v15
	s_xor_b64 s[2:3], s[24:25], -1
	s_and_b64 s[2:3], s[30:31], s[2:3]
	s_and_saveexec_b64 s[36:37], s[2:3]
	s_cbranch_execz .LBB995_272
; %bb.267:
	v_pk_mov_b32 v[6:7], s[14:15], s[14:15] op_sel:[0,1]
	v_mad_u64_u32 v[2:3], s[2:3], v9, s12, v[6:7]
	v_mul_lo_u32 v17, v9, s13
	v_mul_lo_u32 v18, v8, s12
	v_add3_u32 v3, v18, v3, v17
	v_mad_u64_u32 v[6:7], s[2:3], v11, s12, v[6:7]
	v_mul_lo_u32 v17, v11, s13
	v_mul_lo_u32 v18, v10, s12
	v_add3_u32 v7, v18, v7, v17
	s_mov_b64 s[38:39], 0
	s_mov_b64 s[46:47], s[12:13]
                                        ; implicit-def: $sgpr40_sgpr41
                                        ; implicit-def: $sgpr42_sgpr43
                                        ; implicit-def: $sgpr2_sgpr3
                                        ; implicit-def: $sgpr44_sgpr45
                                        ; implicit-def: $sgpr48_sgpr49
	s_branch .LBB995_269
.LBB995_268:                            ;   in Loop: Header=BB995_269 Depth=1
	s_or_b64 exec, exec, s[50:51]
	s_and_b64 s[50:51], exec, s[42:43]
	s_or_b64 s[38:39], s[50:51], s[38:39]
	s_andn2_b64 s[48:49], s[48:49], exec
	s_and_b64 s[50:51], s[44:45], exec
	s_or_b64 s[48:49], s[48:49], s[50:51]
	s_andn2_b64 s[40:41], s[40:41], exec
	s_and_b64 s[50:51], s[2:3], exec
	s_or_b64 s[40:41], s[40:41], s[50:51]
	s_andn2_b64 exec, exec, s[38:39]
	s_cbranch_execz .LBB995_271
.LBB995_269:                            ; =>This Inner Loop Header: Depth=1
	global_load_ubyte v17, v[2:3], off
	global_load_ubyte v18, v[6:7], off
	s_andn2_b64 s[50:51], s[2:3], exec
	s_andn2_b64 s[44:45], s[44:45], exec
	s_or_b64 s[42:43], s[42:43], exec
	s_waitcnt vmcnt(1)
	v_cmp_eq_u16_e32 vcc, 0, v17
	s_waitcnt vmcnt(0)
	v_cmp_ne_u16_e64 s[2:3], 0, v18
	s_or_b64 s[54:55], vcc, s[2:3]
	s_and_b64 s[52:53], vcc, s[2:3]
	s_xor_b64 s[56:57], vcc, s[2:3]
	s_and_b64 s[2:3], s[54:55], s[48:49]
	s_or_b64 s[52:53], s[52:53], s[2:3]
	s_and_b64 s[2:3], s[52:53], exec
	s_or_b64 s[2:3], s[50:51], s[2:3]
	s_and_saveexec_b64 s[50:51], s[56:57]
	s_cbranch_execz .LBB995_268
; %bb.270:                              ;   in Loop: Header=BB995_269 Depth=1
	s_add_u32 s46, s46, -1
	s_addc_u32 s47, s47, -1
	v_add_co_u32_e32 v2, vcc, 1, v2
	s_cmp_eq_u64 s[46:47], 0
	v_addc_co_u32_e32 v3, vcc, 0, v3, vcc
	s_cselect_b64 s[48:49], -1, 0
	v_add_co_u32_e32 v6, vcc, 1, v6
	s_andn2_b64 s[44:45], s[44:45], exec
	s_and_b64 s[52:53], s[52:53], exec
	s_andn2_b64 s[42:43], s[42:43], exec
	s_and_b64 s[48:49], s[48:49], exec
	v_addc_co_u32_e32 v7, vcc, 0, v7, vcc
	s_or_b64 s[44:45], s[44:45], s[52:53]
	s_andn2_b64 s[2:3], s[2:3], exec
	s_or_b64 s[42:43], s[42:43], s[48:49]
                                        ; implicit-def: $sgpr48_sgpr49
	s_branch .LBB995_268
.LBB995_271:
	s_or_b64 exec, exec, s[38:39]
	s_xor_b64 s[2:3], s[40:41], -1
	s_andn2_b64 s[30:31], s[30:31], exec
	s_and_b64 s[2:3], s[2:3], exec
	s_or_b64 s[30:31], s[30:31], s[2:3]
.LBB995_272:
	s_or_b64 exec, exec, s[36:37]
	s_orn2_b64 s[30:31], s[30:31], exec
.LBB995_273:
	s_or_b64 exec, exec, s[34:35]
	v_cndmask_b32_e64 v2, v20, v19, s[30:31]
	v_cndmask_b32_e64 v3, v16, v15, s[30:31]
	v_add_u32_e32 v6, 1, v2
	v_add_u32_e32 v2, -1, v3
	v_min_u32_e32 v2, v6, v2
	v_lshlrev_b32_e32 v2, 3, v2
	ds_read_b64 v[2:3], v2
	v_cndmask_b32_e64 v20, v6, v20, s[30:31]
	v_cndmask_b32_e64 v19, v19, v6, s[30:31]
	v_cmp_lt_u32_e32 vcc, v20, v16
	s_waitcnt lgkmcnt(0)
	v_cndmask_b32_e64 v17, v3, v8, s[30:31]
	v_cndmask_b32_e64 v18, v2, v9, s[30:31]
	;; [unrolled: 1-line block ×4, first 2 shown]
	s_and_saveexec_b64 s[34:35], vcc
	s_cbranch_execz .LBB995_281
; %bb.274:
	v_cmp_lt_u32_e64 s[28:29], v19, v15
	s_xor_b64 s[2:3], s[24:25], -1
	s_and_b64 s[2:3], s[28:29], s[2:3]
	s_and_saveexec_b64 s[36:37], s[2:3]
	s_cbranch_execz .LBB995_280
; %bb.275:
	v_pk_mov_b32 v[6:7], s[14:15], s[14:15] op_sel:[0,1]
	v_mad_u64_u32 v[2:3], s[2:3], v18, s12, v[6:7]
	v_mul_lo_u32 v34, v18, s13
	v_mul_lo_u32 v35, v17, s12
	v_add3_u32 v3, v35, v3, v34
	v_mad_u64_u32 v[6:7], s[2:3], v33, s12, v[6:7]
	v_mul_lo_u32 v34, v33, s13
	v_mul_lo_u32 v35, v21, s12
	v_add3_u32 v7, v35, v7, v34
	s_mov_b64 s[38:39], 0
	s_mov_b64 s[46:47], s[12:13]
                                        ; implicit-def: $sgpr40_sgpr41
                                        ; implicit-def: $sgpr42_sgpr43
                                        ; implicit-def: $sgpr2_sgpr3
                                        ; implicit-def: $sgpr44_sgpr45
                                        ; implicit-def: $sgpr48_sgpr49
	s_branch .LBB995_277
.LBB995_276:                            ;   in Loop: Header=BB995_277 Depth=1
	s_or_b64 exec, exec, s[50:51]
	s_and_b64 s[50:51], exec, s[42:43]
	s_or_b64 s[38:39], s[50:51], s[38:39]
	s_andn2_b64 s[48:49], s[48:49], exec
	s_and_b64 s[50:51], s[44:45], exec
	s_or_b64 s[48:49], s[48:49], s[50:51]
	s_andn2_b64 s[40:41], s[40:41], exec
	s_and_b64 s[50:51], s[2:3], exec
	s_or_b64 s[40:41], s[40:41], s[50:51]
	s_andn2_b64 exec, exec, s[38:39]
	s_cbranch_execz .LBB995_279
.LBB995_277:                            ; =>This Inner Loop Header: Depth=1
	global_load_ubyte v34, v[2:3], off
	global_load_ubyte v35, v[6:7], off
	s_andn2_b64 s[50:51], s[2:3], exec
	s_andn2_b64 s[44:45], s[44:45], exec
	s_or_b64 s[42:43], s[42:43], exec
	s_waitcnt vmcnt(1)
	v_cmp_eq_u16_e32 vcc, 0, v34
	s_waitcnt vmcnt(0)
	v_cmp_ne_u16_e64 s[2:3], 0, v35
	s_or_b64 s[54:55], vcc, s[2:3]
	s_and_b64 s[52:53], vcc, s[2:3]
	s_xor_b64 s[56:57], vcc, s[2:3]
	s_and_b64 s[2:3], s[54:55], s[48:49]
	s_or_b64 s[52:53], s[52:53], s[2:3]
	s_and_b64 s[2:3], s[52:53], exec
	s_or_b64 s[2:3], s[50:51], s[2:3]
	s_and_saveexec_b64 s[50:51], s[56:57]
	s_cbranch_execz .LBB995_276
; %bb.278:                              ;   in Loop: Header=BB995_277 Depth=1
	s_add_u32 s46, s46, -1
	s_addc_u32 s47, s47, -1
	v_add_co_u32_e32 v2, vcc, 1, v2
	s_cmp_eq_u64 s[46:47], 0
	v_addc_co_u32_e32 v3, vcc, 0, v3, vcc
	s_cselect_b64 s[48:49], -1, 0
	v_add_co_u32_e32 v6, vcc, 1, v6
	s_andn2_b64 s[44:45], s[44:45], exec
	s_and_b64 s[52:53], s[52:53], exec
	s_andn2_b64 s[42:43], s[42:43], exec
	s_and_b64 s[48:49], s[48:49], exec
	v_addc_co_u32_e32 v7, vcc, 0, v7, vcc
	s_or_b64 s[44:45], s[44:45], s[52:53]
	s_andn2_b64 s[2:3], s[2:3], exec
	s_or_b64 s[42:43], s[42:43], s[48:49]
                                        ; implicit-def: $sgpr48_sgpr49
	s_branch .LBB995_276
.LBB995_279:
	s_or_b64 exec, exec, s[38:39]
	s_xor_b64 s[2:3], s[40:41], -1
	s_andn2_b64 s[28:29], s[28:29], exec
	s_and_b64 s[2:3], s[2:3], exec
	s_or_b64 s[28:29], s[28:29], s[2:3]
.LBB995_280:
	s_or_b64 exec, exec, s[36:37]
	s_orn2_b64 s[28:29], s[28:29], exec
.LBB995_281:
	s_or_b64 exec, exec, s[34:35]
	v_cndmask_b32_e64 v6, v20, v19, s[28:29]
	v_cndmask_b32_e64 v7, v16, v15, s[28:29]
	;; [unrolled: 1-line block ×3, first 2 shown]
	v_add_u32_e32 v10, 1, v6
	v_add_u32_e32 v6, -1, v7
	v_min_u32_e32 v6, v10, v6
	v_lshlrev_b32_e32 v6, 3, v6
	v_cndmask_b32_e64 v2, v9, v11, s[30:31]
	ds_read_b64 v[8:9], v6
	v_cndmask_b32_e64 v11, v10, v20, s[28:29]
	v_cndmask_b32_e64 v1, v5, v1, s[4:5]
	;; [unrolled: 1-line block ×5, first 2 shown]
	s_waitcnt lgkmcnt(0)
	v_cndmask_b32_e64 v7, v21, v9, s[28:29]
	v_cndmask_b32_e64 v6, v33, v8, s[28:29]
	v_cmp_lt_u32_e32 vcc, v11, v16
	s_and_saveexec_b64 s[4:5], vcc
	s_cbranch_execz .LBB995_289
; %bb.282:
	v_cndmask_b32_e64 v16, v9, v17, s[28:29]
	v_cndmask_b32_e64 v17, v8, v18, s[28:29]
	;; [unrolled: 1-line block ×3, first 2 shown]
	v_cmp_ge_u32_e32 vcc, v8, v15
	s_or_b64 s[2:3], vcc, s[24:25]
	v_cndmask_b32_e32 v9, v7, v16, vcc
	s_xor_b64 s[2:3], s[2:3], -1
	v_cndmask_b32_e32 v8, v6, v17, vcc
	s_and_saveexec_b64 s[28:29], s[2:3]
	s_cbranch_execz .LBB995_288
; %bb.283:
	v_pk_mov_b32 v[10:11], s[14:15], s[14:15] op_sel:[0,1]
	v_mad_u64_u32 v[8:9], s[2:3], v17, s12, v[10:11]
	v_mul_lo_u32 v15, v17, s13
	v_mul_lo_u32 v18, v16, s12
	v_add3_u32 v9, v18, v9, v15
	v_mad_u64_u32 v[10:11], s[2:3], v6, s12, v[10:11]
	v_mul_lo_u32 v15, v6, s13
	v_mul_lo_u32 v18, v7, s12
	v_add3_u32 v11, v18, v11, v15
	s_mov_b64 s[30:31], 0
	s_mov_b64 s[40:41], s[12:13]
                                        ; implicit-def: $sgpr34_sgpr35
                                        ; implicit-def: $sgpr36_sgpr37
                                        ; implicit-def: $sgpr2_sgpr3
                                        ; implicit-def: $sgpr38_sgpr39
                                        ; implicit-def: $sgpr42_sgpr43
	s_branch .LBB995_285
.LBB995_284:                            ;   in Loop: Header=BB995_285 Depth=1
	s_or_b64 exec, exec, s[44:45]
	s_and_b64 s[44:45], exec, s[36:37]
	s_or_b64 s[30:31], s[44:45], s[30:31]
	s_andn2_b64 s[42:43], s[42:43], exec
	s_and_b64 s[44:45], s[38:39], exec
	s_or_b64 s[42:43], s[42:43], s[44:45]
	s_andn2_b64 s[34:35], s[34:35], exec
	s_and_b64 s[44:45], s[2:3], exec
	s_or_b64 s[34:35], s[34:35], s[44:45]
	s_andn2_b64 exec, exec, s[30:31]
	s_cbranch_execz .LBB995_287
.LBB995_285:                            ; =>This Inner Loop Header: Depth=1
	global_load_ubyte v15, v[8:9], off
	global_load_ubyte v18, v[10:11], off
	s_andn2_b64 s[44:45], s[2:3], exec
	s_andn2_b64 s[38:39], s[38:39], exec
	s_or_b64 s[36:37], s[36:37], exec
	s_waitcnt vmcnt(1)
	v_cmp_eq_u16_e32 vcc, 0, v15
	s_waitcnt vmcnt(0)
	v_cmp_ne_u16_e64 s[2:3], 0, v18
	s_or_b64 s[48:49], vcc, s[2:3]
	s_and_b64 s[46:47], vcc, s[2:3]
	s_xor_b64 s[50:51], vcc, s[2:3]
	s_and_b64 s[2:3], s[48:49], s[42:43]
	s_or_b64 s[46:47], s[46:47], s[2:3]
	s_and_b64 s[2:3], s[46:47], exec
	s_or_b64 s[2:3], s[44:45], s[2:3]
	s_and_saveexec_b64 s[44:45], s[50:51]
	s_cbranch_execz .LBB995_284
; %bb.286:                              ;   in Loop: Header=BB995_285 Depth=1
	s_add_u32 s40, s40, -1
	s_addc_u32 s41, s41, -1
	v_add_co_u32_e32 v8, vcc, 1, v8
	s_cmp_eq_u64 s[40:41], 0
	v_addc_co_u32_e32 v9, vcc, 0, v9, vcc
	s_cselect_b64 s[42:43], -1, 0
	v_add_co_u32_e32 v10, vcc, 1, v10
	s_andn2_b64 s[38:39], s[38:39], exec
	s_and_b64 s[46:47], s[46:47], exec
	s_andn2_b64 s[36:37], s[36:37], exec
	s_and_b64 s[42:43], s[42:43], exec
	v_addc_co_u32_e32 v11, vcc, 0, v11, vcc
	s_or_b64 s[38:39], s[38:39], s[46:47]
	s_andn2_b64 s[2:3], s[2:3], exec
	s_or_b64 s[36:37], s[36:37], s[42:43]
                                        ; implicit-def: $sgpr42_sgpr43
	s_branch .LBB995_284
.LBB995_287:
	s_or_b64 exec, exec, s[30:31]
	v_cndmask_b32_e64 v9, v7, v16, s[34:35]
	v_cndmask_b32_e64 v8, v6, v17, s[34:35]
.LBB995_288:
	s_or_b64 exec, exec, s[28:29]
	v_pk_mov_b32 v[6:7], v[8:9], v[8:9] op_sel:[0,1]
.LBB995_289:
	s_or_b64 exec, exec, s[4:5]
.LBB995_290:
	s_or_b64 exec, exec, s[26:27]
	v_and_b32_e32 v19, 0xf00, v23
	v_or_b32_e32 v8, 0x80, v19
	v_min_u32_e32 v15, 0x400, v8
	v_min_u32_e32 v8, 0x380, v8
	v_add_u32_e32 v16, 0x80, v8
	v_and_b32_e32 v20, 0xfc, v23
	v_sub_u32_e32 v8, v15, v19
	v_sub_u32_e32 v9, v16, v15
	v_sub_u32_e64 v18, v20, v9 clamp
	v_min_u32_e32 v21, v20, v8
	v_lshlrev_b32_e32 v17, 3, v19
	v_cmp_lt_u32_e32 vcc, v18, v21
	s_barrier
	ds_write_b128 v14, v[0:3]
	ds_write_b128 v14, v[4:7] offset:16
	s_waitcnt lgkmcnt(0)
	s_barrier
	s_and_saveexec_b64 s[4:5], vcc
	s_cbranch_execz .LBB995_300
; %bb.291:
	v_lshlrev_b32_e32 v8, 3, v20
	v_lshl_add_u32 v33, v15, 3, v8
	s_mov_b64 s[26:27], 0
	s_branch .LBB995_294
.LBB995_292:                            ;   in Loop: Header=BB995_294 Depth=1
	s_or_b64 exec, exec, s[30:31]
.LBB995_293:                            ;   in Loop: Header=BB995_294 Depth=1
	v_add_u32_e32 v8, 1, v34
	v_cndmask_b32_e64 v21, v21, v34, s[28:29]
	v_cndmask_b32_e64 v18, v8, v18, s[28:29]
	v_cmp_ge_u32_e32 vcc, v18, v21
	s_or_b64 s[26:27], vcc, s[26:27]
	s_andn2_b64 exec, exec, s[26:27]
	s_cbranch_execz .LBB995_299
.LBB995_294:                            ; =>This Loop Header: Depth=1
                                        ;     Child Loop BB995_297 Depth 2
	v_add_u32_e32 v8, v21, v18
	v_lshrrev_b32_e32 v34, 1, v8
	s_and_b64 vcc, exec, s[0:1]
	s_mov_b64 s[28:29], 0
	s_cbranch_vccnz .LBB995_293
; %bb.295:                              ;   in Loop: Header=BB995_294 Depth=1
	v_not_b32_e32 v8, v34
	v_lshl_add_u32 v8, v8, 3, v33
	ds_read_b64 v[8:9], v8
	v_lshl_add_u32 v35, v34, 3, v17
	ds_read_b64 v[36:37], v35
	v_pk_mov_b32 v[10:11], s[14:15], s[14:15] op_sel:[0,1]
	s_mov_b64 s[30:31], 0
	s_waitcnt lgkmcnt(1)
	v_mul_lo_u32 v35, v8, s13
	v_mul_lo_u32 v38, v9, s12
	v_mad_u64_u32 v[8:9], s[2:3], v8, s12, v[10:11]
	v_add3_u32 v9, v38, v9, v35
	s_waitcnt lgkmcnt(0)
	v_mul_lo_u32 v35, v36, s13
	v_mul_lo_u32 v37, v37, s12
	v_mad_u64_u32 v[10:11], s[2:3], v36, s12, v[10:11]
	v_add3_u32 v11, v37, v11, v35
	s_mov_b64 s[38:39], s[12:13]
                                        ; implicit-def: $sgpr28_sgpr29
                                        ; implicit-def: $sgpr34_sgpr35
                                        ; implicit-def: $sgpr36_sgpr37
                                        ; implicit-def: $sgpr2_sgpr3
                                        ; implicit-def: $sgpr40_sgpr41
	s_branch .LBB995_297
.LBB995_296:                            ;   in Loop: Header=BB995_297 Depth=2
	s_or_b64 exec, exec, s[42:43]
	s_and_b64 s[42:43], exec, s[34:35]
	s_or_b64 s[30:31], s[42:43], s[30:31]
	s_andn2_b64 s[40:41], s[40:41], exec
	s_and_b64 s[42:43], s[36:37], exec
	s_or_b64 s[40:41], s[40:41], s[42:43]
	s_andn2_b64 s[28:29], s[28:29], exec
	s_and_b64 s[42:43], s[2:3], exec
	s_or_b64 s[28:29], s[28:29], s[42:43]
	s_andn2_b64 exec, exec, s[30:31]
	s_cbranch_execz .LBB995_292
.LBB995_297:                            ;   Parent Loop BB995_294 Depth=1
                                        ; =>  This Inner Loop Header: Depth=2
	global_load_ubyte v35, v[8:9], off
	global_load_ubyte v36, v[10:11], off
	s_andn2_b64 s[42:43], s[2:3], exec
	s_andn2_b64 s[36:37], s[36:37], exec
	s_or_b64 s[34:35], s[34:35], exec
	s_waitcnt vmcnt(1)
	v_cmp_eq_u16_e32 vcc, 0, v35
	s_waitcnt vmcnt(0)
	v_cmp_ne_u16_e64 s[2:3], 0, v36
	s_or_b64 s[46:47], vcc, s[2:3]
	s_and_b64 s[44:45], vcc, s[2:3]
	s_xor_b64 s[48:49], vcc, s[2:3]
	s_and_b64 s[2:3], s[46:47], s[40:41]
	s_or_b64 s[44:45], s[44:45], s[2:3]
	s_and_b64 s[2:3], s[44:45], exec
	s_or_b64 s[2:3], s[42:43], s[2:3]
	s_and_saveexec_b64 s[42:43], s[48:49]
	s_cbranch_execz .LBB995_296
; %bb.298:                              ;   in Loop: Header=BB995_297 Depth=2
	s_add_u32 s38, s38, -1
	s_addc_u32 s39, s39, -1
	v_add_co_u32_e32 v8, vcc, 1, v8
	s_cmp_eq_u64 s[38:39], 0
	v_addc_co_u32_e32 v9, vcc, 0, v9, vcc
	s_cselect_b64 s[40:41], -1, 0
	v_add_co_u32_e32 v10, vcc, 1, v10
	s_andn2_b64 s[36:37], s[36:37], exec
	s_and_b64 s[44:45], s[44:45], exec
	s_andn2_b64 s[34:35], s[34:35], exec
	s_and_b64 s[40:41], s[40:41], exec
	v_addc_co_u32_e32 v11, vcc, 0, v11, vcc
	s_andn2_b64 s[2:3], s[2:3], exec
	s_or_b64 s[36:37], s[36:37], s[44:45]
	s_or_b64 s[34:35], s[34:35], s[40:41]
                                        ; implicit-def: $sgpr40_sgpr41
	s_branch .LBB995_296
.LBB995_299:
	s_or_b64 exec, exec, s[26:27]
.LBB995_300:
	s_or_b64 exec, exec, s[4:5]
	v_sub_u32_e32 v8, v20, v18
	v_add_u32_e32 v19, v18, v19
	v_add_u32_e32 v20, v8, v15
	v_cmp_le_u32_e32 vcc, v19, v15
	v_cmp_le_u32_e64 s[2:3], v20, v16
	s_or_b64 s[2:3], vcc, s[2:3]
	s_and_saveexec_b64 s[26:27], s[2:3]
	s_cbranch_execz .LBB995_336
; %bb.301:
	v_cmp_ge_u32_e32 vcc, v19, v15
	v_cmp_lt_u32_e64 s[2:3], v19, v15
                                        ; implicit-def: $vgpr0_vgpr1
	s_and_saveexec_b64 s[4:5], s[2:3]
	s_cbranch_execz .LBB995_303
; %bb.302:
	v_lshl_add_u32 v0, v18, 3, v17
	ds_read_b64 v[0:1], v0
.LBB995_303:
	s_or_b64 exec, exec, s[4:5]
	v_cmp_ge_u32_e64 s[2:3], v20, v16
	v_cmp_lt_u32_e64 s[4:5], v20, v16
                                        ; implicit-def: $vgpr4_vgpr5
	s_and_saveexec_b64 s[28:29], s[4:5]
	s_cbranch_execz .LBB995_305
; %bb.304:
	v_lshlrev_b32_e32 v2, 3, v20
	ds_read_b64 v[4:5], v2
.LBB995_305:
	s_or_b64 exec, exec, s[28:29]
	s_or_b64 s[4:5], vcc, s[2:3]
	s_or_b64 s[4:5], s[4:5], s[24:25]
	s_xor_b64 s[30:31], s[4:5], -1
	s_xor_b64 s[4:5], vcc, -1
	s_or_b64 s[4:5], s[2:3], s[4:5]
	s_and_saveexec_b64 s[28:29], s[30:31]
	s_cbranch_execz .LBB995_311
; %bb.306:
	v_pk_mov_b32 v[6:7], s[14:15], s[14:15] op_sel:[0,1]
	s_waitcnt lgkmcnt(0)
	v_mad_u64_u32 v[2:3], s[2:3], v4, s12, v[6:7]
	v_mul_lo_u32 v8, v4, s13
	v_mul_lo_u32 v9, v5, s12
	v_add3_u32 v3, v9, v3, v8
	v_mad_u64_u32 v[6:7], s[2:3], v0, s12, v[6:7]
	v_mul_lo_u32 v8, v0, s13
	v_mul_lo_u32 v9, v1, s12
	v_add3_u32 v7, v9, v7, v8
	s_mov_b64 s[30:31], 0
	s_mov_b64 s[40:41], s[12:13]
                                        ; implicit-def: $sgpr34_sgpr35
                                        ; implicit-def: $sgpr36_sgpr37
                                        ; implicit-def: $sgpr2_sgpr3
                                        ; implicit-def: $sgpr38_sgpr39
                                        ; implicit-def: $sgpr42_sgpr43
	s_branch .LBB995_308
.LBB995_307:                            ;   in Loop: Header=BB995_308 Depth=1
	s_or_b64 exec, exec, s[44:45]
	s_and_b64 s[44:45], exec, s[36:37]
	s_or_b64 s[30:31], s[44:45], s[30:31]
	s_andn2_b64 s[42:43], s[42:43], exec
	s_and_b64 s[44:45], s[38:39], exec
	s_or_b64 s[42:43], s[42:43], s[44:45]
	s_andn2_b64 s[34:35], s[34:35], exec
	s_and_b64 s[44:45], s[2:3], exec
	s_or_b64 s[34:35], s[34:35], s[44:45]
	s_andn2_b64 exec, exec, s[30:31]
	s_cbranch_execz .LBB995_310
.LBB995_308:                            ; =>This Inner Loop Header: Depth=1
	global_load_ubyte v8, v[2:3], off
	global_load_ubyte v9, v[6:7], off
	s_andn2_b64 s[44:45], s[2:3], exec
	s_andn2_b64 s[38:39], s[38:39], exec
	s_or_b64 s[36:37], s[36:37], exec
	s_waitcnt vmcnt(1)
	v_cmp_eq_u16_e32 vcc, 0, v8
	s_waitcnt vmcnt(0)
	v_cmp_ne_u16_e64 s[2:3], 0, v9
	s_or_b64 s[48:49], vcc, s[2:3]
	s_and_b64 s[46:47], vcc, s[2:3]
	s_xor_b64 s[50:51], vcc, s[2:3]
	s_and_b64 s[2:3], s[48:49], s[42:43]
	s_or_b64 s[46:47], s[46:47], s[2:3]
	s_and_b64 s[2:3], s[46:47], exec
	s_or_b64 s[2:3], s[44:45], s[2:3]
	s_and_saveexec_b64 s[44:45], s[50:51]
	s_cbranch_execz .LBB995_307
; %bb.309:                              ;   in Loop: Header=BB995_308 Depth=1
	s_add_u32 s40, s40, -1
	s_addc_u32 s41, s41, -1
	v_add_co_u32_e32 v2, vcc, 1, v2
	s_cmp_eq_u64 s[40:41], 0
	v_addc_co_u32_e32 v3, vcc, 0, v3, vcc
	s_cselect_b64 s[42:43], -1, 0
	v_add_co_u32_e32 v6, vcc, 1, v6
	s_andn2_b64 s[38:39], s[38:39], exec
	s_and_b64 s[46:47], s[46:47], exec
	s_andn2_b64 s[36:37], s[36:37], exec
	s_and_b64 s[42:43], s[42:43], exec
	v_addc_co_u32_e32 v7, vcc, 0, v7, vcc
	s_or_b64 s[38:39], s[38:39], s[46:47]
	s_andn2_b64 s[2:3], s[2:3], exec
	s_or_b64 s[36:37], s[36:37], s[42:43]
                                        ; implicit-def: $sgpr42_sgpr43
	s_branch .LBB995_307
.LBB995_310:
	s_or_b64 exec, exec, s[30:31]
	s_xor_b64 s[2:3], s[34:35], -1
	s_andn2_b64 s[4:5], s[4:5], exec
	s_and_b64 s[2:3], s[2:3], exec
	s_or_b64 s[4:5], s[4:5], s[2:3]
.LBB995_311:
	s_or_b64 exec, exec, s[28:29]
	v_cndmask_b32_e64 v2, v20, v19, s[4:5]
	v_cndmask_b32_e64 v3, v16, v15, s[4:5]
	v_add_u32_e32 v6, 1, v2
	v_add_u32_e32 v2, -1, v3
	v_min_u32_e32 v2, v6, v2
	v_lshlrev_b32_e32 v2, 3, v2
	ds_read_b64 v[2:3], v2
	v_cndmask_b32_e64 v20, v6, v20, s[4:5]
	v_cndmask_b32_e64 v19, v19, v6, s[4:5]
	v_cmp_lt_u32_e32 vcc, v20, v16
	s_mov_b64 s[28:29], -1
	s_waitcnt lgkmcnt(0)
	v_cndmask_b32_e64 v8, v3, v5, s[4:5]
	v_cndmask_b32_e64 v9, v2, v4, s[4:5]
	;; [unrolled: 1-line block ×4, first 2 shown]
	s_mov_b64 s[30:31], -1
	s_and_saveexec_b64 s[34:35], vcc
	s_cbranch_execz .LBB995_319
; %bb.312:
	v_cmp_lt_u32_e64 s[30:31], v19, v15
	s_xor_b64 s[2:3], s[24:25], -1
	s_and_b64 s[2:3], s[30:31], s[2:3]
	s_and_saveexec_b64 s[36:37], s[2:3]
	s_cbranch_execz .LBB995_318
; %bb.313:
	v_pk_mov_b32 v[6:7], s[14:15], s[14:15] op_sel:[0,1]
	v_mad_u64_u32 v[2:3], s[2:3], v9, s12, v[6:7]
	v_mul_lo_u32 v17, v9, s13
	v_mul_lo_u32 v18, v8, s12
	v_add3_u32 v3, v18, v3, v17
	v_mad_u64_u32 v[6:7], s[2:3], v11, s12, v[6:7]
	v_mul_lo_u32 v17, v11, s13
	v_mul_lo_u32 v18, v10, s12
	v_add3_u32 v7, v18, v7, v17
	s_mov_b64 s[38:39], 0
	s_mov_b64 s[46:47], s[12:13]
                                        ; implicit-def: $sgpr40_sgpr41
                                        ; implicit-def: $sgpr42_sgpr43
                                        ; implicit-def: $sgpr2_sgpr3
                                        ; implicit-def: $sgpr44_sgpr45
                                        ; implicit-def: $sgpr48_sgpr49
	s_branch .LBB995_315
.LBB995_314:                            ;   in Loop: Header=BB995_315 Depth=1
	s_or_b64 exec, exec, s[50:51]
	s_and_b64 s[50:51], exec, s[42:43]
	s_or_b64 s[38:39], s[50:51], s[38:39]
	s_andn2_b64 s[48:49], s[48:49], exec
	s_and_b64 s[50:51], s[44:45], exec
	s_or_b64 s[48:49], s[48:49], s[50:51]
	s_andn2_b64 s[40:41], s[40:41], exec
	s_and_b64 s[50:51], s[2:3], exec
	s_or_b64 s[40:41], s[40:41], s[50:51]
	s_andn2_b64 exec, exec, s[38:39]
	s_cbranch_execz .LBB995_317
.LBB995_315:                            ; =>This Inner Loop Header: Depth=1
	global_load_ubyte v17, v[2:3], off
	global_load_ubyte v18, v[6:7], off
	s_andn2_b64 s[50:51], s[2:3], exec
	s_andn2_b64 s[44:45], s[44:45], exec
	s_or_b64 s[42:43], s[42:43], exec
	s_waitcnt vmcnt(1)
	v_cmp_eq_u16_e32 vcc, 0, v17
	s_waitcnt vmcnt(0)
	v_cmp_ne_u16_e64 s[2:3], 0, v18
	s_or_b64 s[54:55], vcc, s[2:3]
	s_and_b64 s[52:53], vcc, s[2:3]
	s_xor_b64 s[56:57], vcc, s[2:3]
	s_and_b64 s[2:3], s[54:55], s[48:49]
	s_or_b64 s[52:53], s[52:53], s[2:3]
	s_and_b64 s[2:3], s[52:53], exec
	s_or_b64 s[2:3], s[50:51], s[2:3]
	s_and_saveexec_b64 s[50:51], s[56:57]
	s_cbranch_execz .LBB995_314
; %bb.316:                              ;   in Loop: Header=BB995_315 Depth=1
	s_add_u32 s46, s46, -1
	s_addc_u32 s47, s47, -1
	v_add_co_u32_e32 v2, vcc, 1, v2
	s_cmp_eq_u64 s[46:47], 0
	v_addc_co_u32_e32 v3, vcc, 0, v3, vcc
	s_cselect_b64 s[48:49], -1, 0
	v_add_co_u32_e32 v6, vcc, 1, v6
	s_andn2_b64 s[44:45], s[44:45], exec
	s_and_b64 s[52:53], s[52:53], exec
	s_andn2_b64 s[42:43], s[42:43], exec
	s_and_b64 s[48:49], s[48:49], exec
	v_addc_co_u32_e32 v7, vcc, 0, v7, vcc
	s_or_b64 s[44:45], s[44:45], s[52:53]
	s_andn2_b64 s[2:3], s[2:3], exec
	s_or_b64 s[42:43], s[42:43], s[48:49]
                                        ; implicit-def: $sgpr48_sgpr49
	s_branch .LBB995_314
.LBB995_317:
	s_or_b64 exec, exec, s[38:39]
	s_xor_b64 s[2:3], s[40:41], -1
	s_andn2_b64 s[30:31], s[30:31], exec
	s_and_b64 s[2:3], s[2:3], exec
	s_or_b64 s[30:31], s[30:31], s[2:3]
.LBB995_318:
	s_or_b64 exec, exec, s[36:37]
	s_orn2_b64 s[30:31], s[30:31], exec
.LBB995_319:
	s_or_b64 exec, exec, s[34:35]
	v_cndmask_b32_e64 v2, v20, v19, s[30:31]
	v_cndmask_b32_e64 v3, v16, v15, s[30:31]
	v_add_u32_e32 v6, 1, v2
	v_add_u32_e32 v2, -1, v3
	v_min_u32_e32 v2, v6, v2
	v_lshlrev_b32_e32 v2, 3, v2
	ds_read_b64 v[2:3], v2
	v_cndmask_b32_e64 v20, v6, v20, s[30:31]
	v_cndmask_b32_e64 v19, v19, v6, s[30:31]
	v_cmp_lt_u32_e32 vcc, v20, v16
	s_waitcnt lgkmcnt(0)
	v_cndmask_b32_e64 v17, v3, v8, s[30:31]
	v_cndmask_b32_e64 v18, v2, v9, s[30:31]
	;; [unrolled: 1-line block ×4, first 2 shown]
	s_and_saveexec_b64 s[34:35], vcc
	s_cbranch_execz .LBB995_327
; %bb.320:
	v_cmp_lt_u32_e64 s[28:29], v19, v15
	s_xor_b64 s[2:3], s[24:25], -1
	s_and_b64 s[2:3], s[28:29], s[2:3]
	s_and_saveexec_b64 s[36:37], s[2:3]
	s_cbranch_execz .LBB995_326
; %bb.321:
	v_pk_mov_b32 v[6:7], s[14:15], s[14:15] op_sel:[0,1]
	v_mad_u64_u32 v[2:3], s[2:3], v18, s12, v[6:7]
	v_mul_lo_u32 v34, v18, s13
	v_mul_lo_u32 v35, v17, s12
	v_add3_u32 v3, v35, v3, v34
	v_mad_u64_u32 v[6:7], s[2:3], v33, s12, v[6:7]
	v_mul_lo_u32 v34, v33, s13
	v_mul_lo_u32 v35, v21, s12
	v_add3_u32 v7, v35, v7, v34
	s_mov_b64 s[38:39], 0
	s_mov_b64 s[46:47], s[12:13]
                                        ; implicit-def: $sgpr40_sgpr41
                                        ; implicit-def: $sgpr42_sgpr43
                                        ; implicit-def: $sgpr2_sgpr3
                                        ; implicit-def: $sgpr44_sgpr45
                                        ; implicit-def: $sgpr48_sgpr49
	s_branch .LBB995_323
.LBB995_322:                            ;   in Loop: Header=BB995_323 Depth=1
	s_or_b64 exec, exec, s[50:51]
	s_and_b64 s[50:51], exec, s[42:43]
	s_or_b64 s[38:39], s[50:51], s[38:39]
	s_andn2_b64 s[48:49], s[48:49], exec
	s_and_b64 s[50:51], s[44:45], exec
	s_or_b64 s[48:49], s[48:49], s[50:51]
	s_andn2_b64 s[40:41], s[40:41], exec
	s_and_b64 s[50:51], s[2:3], exec
	s_or_b64 s[40:41], s[40:41], s[50:51]
	s_andn2_b64 exec, exec, s[38:39]
	s_cbranch_execz .LBB995_325
.LBB995_323:                            ; =>This Inner Loop Header: Depth=1
	global_load_ubyte v34, v[2:3], off
	global_load_ubyte v35, v[6:7], off
	s_andn2_b64 s[50:51], s[2:3], exec
	s_andn2_b64 s[44:45], s[44:45], exec
	s_or_b64 s[42:43], s[42:43], exec
	s_waitcnt vmcnt(1)
	v_cmp_eq_u16_e32 vcc, 0, v34
	s_waitcnt vmcnt(0)
	v_cmp_ne_u16_e64 s[2:3], 0, v35
	s_or_b64 s[54:55], vcc, s[2:3]
	s_and_b64 s[52:53], vcc, s[2:3]
	s_xor_b64 s[56:57], vcc, s[2:3]
	s_and_b64 s[2:3], s[54:55], s[48:49]
	s_or_b64 s[52:53], s[52:53], s[2:3]
	s_and_b64 s[2:3], s[52:53], exec
	s_or_b64 s[2:3], s[50:51], s[2:3]
	s_and_saveexec_b64 s[50:51], s[56:57]
	s_cbranch_execz .LBB995_322
; %bb.324:                              ;   in Loop: Header=BB995_323 Depth=1
	s_add_u32 s46, s46, -1
	s_addc_u32 s47, s47, -1
	v_add_co_u32_e32 v2, vcc, 1, v2
	s_cmp_eq_u64 s[46:47], 0
	v_addc_co_u32_e32 v3, vcc, 0, v3, vcc
	s_cselect_b64 s[48:49], -1, 0
	v_add_co_u32_e32 v6, vcc, 1, v6
	s_andn2_b64 s[44:45], s[44:45], exec
	s_and_b64 s[52:53], s[52:53], exec
	s_andn2_b64 s[42:43], s[42:43], exec
	s_and_b64 s[48:49], s[48:49], exec
	v_addc_co_u32_e32 v7, vcc, 0, v7, vcc
	s_or_b64 s[44:45], s[44:45], s[52:53]
	s_andn2_b64 s[2:3], s[2:3], exec
	s_or_b64 s[42:43], s[42:43], s[48:49]
                                        ; implicit-def: $sgpr48_sgpr49
	s_branch .LBB995_322
.LBB995_325:
	s_or_b64 exec, exec, s[38:39]
	s_xor_b64 s[2:3], s[40:41], -1
	s_andn2_b64 s[28:29], s[28:29], exec
	s_and_b64 s[2:3], s[2:3], exec
	s_or_b64 s[28:29], s[28:29], s[2:3]
.LBB995_326:
	s_or_b64 exec, exec, s[36:37]
	s_orn2_b64 s[28:29], s[28:29], exec
.LBB995_327:
	s_or_b64 exec, exec, s[34:35]
	v_cndmask_b32_e64 v6, v20, v19, s[28:29]
	v_cndmask_b32_e64 v7, v16, v15, s[28:29]
	;; [unrolled: 1-line block ×3, first 2 shown]
	v_add_u32_e32 v10, 1, v6
	v_add_u32_e32 v6, -1, v7
	v_min_u32_e32 v6, v10, v6
	v_lshlrev_b32_e32 v6, 3, v6
	v_cndmask_b32_e64 v2, v9, v11, s[30:31]
	ds_read_b64 v[8:9], v6
	v_cndmask_b32_e64 v11, v10, v20, s[28:29]
	v_cndmask_b32_e64 v1, v5, v1, s[4:5]
	;; [unrolled: 1-line block ×5, first 2 shown]
	s_waitcnt lgkmcnt(0)
	v_cndmask_b32_e64 v7, v21, v9, s[28:29]
	v_cndmask_b32_e64 v6, v33, v8, s[28:29]
	v_cmp_lt_u32_e32 vcc, v11, v16
	s_and_saveexec_b64 s[4:5], vcc
	s_cbranch_execz .LBB995_335
; %bb.328:
	v_cndmask_b32_e64 v16, v9, v17, s[28:29]
	v_cndmask_b32_e64 v17, v8, v18, s[28:29]
	;; [unrolled: 1-line block ×3, first 2 shown]
	v_cmp_ge_u32_e32 vcc, v8, v15
	s_or_b64 s[2:3], vcc, s[24:25]
	v_cndmask_b32_e32 v9, v7, v16, vcc
	s_xor_b64 s[2:3], s[2:3], -1
	v_cndmask_b32_e32 v8, v6, v17, vcc
	s_and_saveexec_b64 s[28:29], s[2:3]
	s_cbranch_execz .LBB995_334
; %bb.329:
	v_pk_mov_b32 v[10:11], s[14:15], s[14:15] op_sel:[0,1]
	v_mad_u64_u32 v[8:9], s[2:3], v17, s12, v[10:11]
	v_mul_lo_u32 v15, v17, s13
	v_mul_lo_u32 v18, v16, s12
	v_add3_u32 v9, v18, v9, v15
	v_mad_u64_u32 v[10:11], s[2:3], v6, s12, v[10:11]
	v_mul_lo_u32 v15, v6, s13
	v_mul_lo_u32 v18, v7, s12
	v_add3_u32 v11, v18, v11, v15
	s_mov_b64 s[30:31], 0
	s_mov_b64 s[40:41], s[12:13]
                                        ; implicit-def: $sgpr34_sgpr35
                                        ; implicit-def: $sgpr36_sgpr37
                                        ; implicit-def: $sgpr2_sgpr3
                                        ; implicit-def: $sgpr38_sgpr39
                                        ; implicit-def: $sgpr42_sgpr43
	s_branch .LBB995_331
.LBB995_330:                            ;   in Loop: Header=BB995_331 Depth=1
	s_or_b64 exec, exec, s[44:45]
	s_and_b64 s[44:45], exec, s[36:37]
	s_or_b64 s[30:31], s[44:45], s[30:31]
	s_andn2_b64 s[42:43], s[42:43], exec
	s_and_b64 s[44:45], s[38:39], exec
	s_or_b64 s[42:43], s[42:43], s[44:45]
	s_andn2_b64 s[34:35], s[34:35], exec
	s_and_b64 s[44:45], s[2:3], exec
	s_or_b64 s[34:35], s[34:35], s[44:45]
	s_andn2_b64 exec, exec, s[30:31]
	s_cbranch_execz .LBB995_333
.LBB995_331:                            ; =>This Inner Loop Header: Depth=1
	global_load_ubyte v15, v[8:9], off
	global_load_ubyte v18, v[10:11], off
	s_andn2_b64 s[44:45], s[2:3], exec
	s_andn2_b64 s[38:39], s[38:39], exec
	s_or_b64 s[36:37], s[36:37], exec
	s_waitcnt vmcnt(1)
	v_cmp_eq_u16_e32 vcc, 0, v15
	s_waitcnt vmcnt(0)
	v_cmp_ne_u16_e64 s[2:3], 0, v18
	s_or_b64 s[48:49], vcc, s[2:3]
	s_and_b64 s[46:47], vcc, s[2:3]
	s_xor_b64 s[50:51], vcc, s[2:3]
	s_and_b64 s[2:3], s[48:49], s[42:43]
	s_or_b64 s[46:47], s[46:47], s[2:3]
	s_and_b64 s[2:3], s[46:47], exec
	s_or_b64 s[2:3], s[44:45], s[2:3]
	s_and_saveexec_b64 s[44:45], s[50:51]
	s_cbranch_execz .LBB995_330
; %bb.332:                              ;   in Loop: Header=BB995_331 Depth=1
	s_add_u32 s40, s40, -1
	s_addc_u32 s41, s41, -1
	v_add_co_u32_e32 v8, vcc, 1, v8
	s_cmp_eq_u64 s[40:41], 0
	v_addc_co_u32_e32 v9, vcc, 0, v9, vcc
	s_cselect_b64 s[42:43], -1, 0
	v_add_co_u32_e32 v10, vcc, 1, v10
	s_andn2_b64 s[38:39], s[38:39], exec
	s_and_b64 s[46:47], s[46:47], exec
	s_andn2_b64 s[36:37], s[36:37], exec
	s_and_b64 s[42:43], s[42:43], exec
	v_addc_co_u32_e32 v11, vcc, 0, v11, vcc
	s_or_b64 s[38:39], s[38:39], s[46:47]
	s_andn2_b64 s[2:3], s[2:3], exec
	s_or_b64 s[36:37], s[36:37], s[42:43]
                                        ; implicit-def: $sgpr42_sgpr43
	s_branch .LBB995_330
.LBB995_333:
	s_or_b64 exec, exec, s[30:31]
	v_cndmask_b32_e64 v9, v7, v16, s[34:35]
	v_cndmask_b32_e64 v8, v6, v17, s[34:35]
.LBB995_334:
	s_or_b64 exec, exec, s[28:29]
	v_pk_mov_b32 v[6:7], v[8:9], v[8:9] op_sel:[0,1]
.LBB995_335:
	s_or_b64 exec, exec, s[4:5]
.LBB995_336:
	s_or_b64 exec, exec, s[26:27]
	v_and_b32_e32 v19, 0xe00, v23
	v_or_b32_e32 v8, 0x100, v19
	v_min_u32_e32 v15, 0x400, v8
	v_min_u32_e32 v8, 0x300, v8
	v_add_u32_e32 v16, 0x100, v8
	v_and_b32_e32 v20, 0x1fc, v23
	v_sub_u32_e32 v8, v15, v19
	v_sub_u32_e32 v9, v16, v15
	v_sub_u32_e64 v18, v20, v9 clamp
	v_min_u32_e32 v21, v20, v8
	v_lshlrev_b32_e32 v17, 3, v19
	v_cmp_lt_u32_e32 vcc, v18, v21
	s_barrier
	ds_write_b128 v14, v[0:3]
	ds_write_b128 v14, v[4:7] offset:16
	s_waitcnt lgkmcnt(0)
	s_barrier
	s_and_saveexec_b64 s[4:5], vcc
	s_cbranch_execz .LBB995_346
; %bb.337:
	v_lshlrev_b32_e32 v8, 3, v20
	v_lshl_add_u32 v33, v15, 3, v8
	s_mov_b64 s[26:27], 0
	s_branch .LBB995_340
.LBB995_338:                            ;   in Loop: Header=BB995_340 Depth=1
	s_or_b64 exec, exec, s[30:31]
.LBB995_339:                            ;   in Loop: Header=BB995_340 Depth=1
	v_add_u32_e32 v8, 1, v34
	v_cndmask_b32_e64 v21, v21, v34, s[28:29]
	v_cndmask_b32_e64 v18, v8, v18, s[28:29]
	v_cmp_ge_u32_e32 vcc, v18, v21
	s_or_b64 s[26:27], vcc, s[26:27]
	s_andn2_b64 exec, exec, s[26:27]
	s_cbranch_execz .LBB995_345
.LBB995_340:                            ; =>This Loop Header: Depth=1
                                        ;     Child Loop BB995_343 Depth 2
	v_add_u32_e32 v8, v21, v18
	v_lshrrev_b32_e32 v34, 1, v8
	s_and_b64 vcc, exec, s[0:1]
	s_mov_b64 s[28:29], 0
	s_cbranch_vccnz .LBB995_339
; %bb.341:                              ;   in Loop: Header=BB995_340 Depth=1
	v_not_b32_e32 v8, v34
	v_lshl_add_u32 v8, v8, 3, v33
	ds_read_b64 v[8:9], v8
	v_lshl_add_u32 v35, v34, 3, v17
	ds_read_b64 v[36:37], v35
	v_pk_mov_b32 v[10:11], s[14:15], s[14:15] op_sel:[0,1]
	s_mov_b64 s[30:31], 0
	s_waitcnt lgkmcnt(1)
	v_mul_lo_u32 v35, v8, s13
	v_mul_lo_u32 v38, v9, s12
	v_mad_u64_u32 v[8:9], s[2:3], v8, s12, v[10:11]
	v_add3_u32 v9, v38, v9, v35
	s_waitcnt lgkmcnt(0)
	v_mul_lo_u32 v35, v36, s13
	v_mul_lo_u32 v37, v37, s12
	v_mad_u64_u32 v[10:11], s[2:3], v36, s12, v[10:11]
	v_add3_u32 v11, v37, v11, v35
	s_mov_b64 s[38:39], s[12:13]
                                        ; implicit-def: $sgpr28_sgpr29
                                        ; implicit-def: $sgpr34_sgpr35
                                        ; implicit-def: $sgpr36_sgpr37
                                        ; implicit-def: $sgpr2_sgpr3
                                        ; implicit-def: $sgpr40_sgpr41
	s_branch .LBB995_343
.LBB995_342:                            ;   in Loop: Header=BB995_343 Depth=2
	s_or_b64 exec, exec, s[42:43]
	s_and_b64 s[42:43], exec, s[34:35]
	s_or_b64 s[30:31], s[42:43], s[30:31]
	s_andn2_b64 s[40:41], s[40:41], exec
	s_and_b64 s[42:43], s[36:37], exec
	s_or_b64 s[40:41], s[40:41], s[42:43]
	s_andn2_b64 s[28:29], s[28:29], exec
	s_and_b64 s[42:43], s[2:3], exec
	s_or_b64 s[28:29], s[28:29], s[42:43]
	s_andn2_b64 exec, exec, s[30:31]
	s_cbranch_execz .LBB995_338
.LBB995_343:                            ;   Parent Loop BB995_340 Depth=1
                                        ; =>  This Inner Loop Header: Depth=2
	global_load_ubyte v35, v[8:9], off
	global_load_ubyte v36, v[10:11], off
	s_andn2_b64 s[42:43], s[2:3], exec
	s_andn2_b64 s[36:37], s[36:37], exec
	s_or_b64 s[34:35], s[34:35], exec
	s_waitcnt vmcnt(1)
	v_cmp_eq_u16_e32 vcc, 0, v35
	s_waitcnt vmcnt(0)
	v_cmp_ne_u16_e64 s[2:3], 0, v36
	s_or_b64 s[46:47], vcc, s[2:3]
	s_and_b64 s[44:45], vcc, s[2:3]
	s_xor_b64 s[48:49], vcc, s[2:3]
	s_and_b64 s[2:3], s[46:47], s[40:41]
	s_or_b64 s[44:45], s[44:45], s[2:3]
	s_and_b64 s[2:3], s[44:45], exec
	s_or_b64 s[2:3], s[42:43], s[2:3]
	s_and_saveexec_b64 s[42:43], s[48:49]
	s_cbranch_execz .LBB995_342
; %bb.344:                              ;   in Loop: Header=BB995_343 Depth=2
	s_add_u32 s38, s38, -1
	s_addc_u32 s39, s39, -1
	v_add_co_u32_e32 v8, vcc, 1, v8
	s_cmp_eq_u64 s[38:39], 0
	v_addc_co_u32_e32 v9, vcc, 0, v9, vcc
	s_cselect_b64 s[40:41], -1, 0
	v_add_co_u32_e32 v10, vcc, 1, v10
	s_andn2_b64 s[36:37], s[36:37], exec
	s_and_b64 s[44:45], s[44:45], exec
	s_andn2_b64 s[34:35], s[34:35], exec
	s_and_b64 s[40:41], s[40:41], exec
	v_addc_co_u32_e32 v11, vcc, 0, v11, vcc
	s_andn2_b64 s[2:3], s[2:3], exec
	s_or_b64 s[36:37], s[36:37], s[44:45]
	s_or_b64 s[34:35], s[34:35], s[40:41]
                                        ; implicit-def: $sgpr40_sgpr41
	s_branch .LBB995_342
.LBB995_345:
	s_or_b64 exec, exec, s[26:27]
.LBB995_346:
	s_or_b64 exec, exec, s[4:5]
	v_sub_u32_e32 v8, v20, v18
	v_add_u32_e32 v19, v18, v19
	v_add_u32_e32 v20, v8, v15
	v_cmp_le_u32_e32 vcc, v19, v15
	v_cmp_le_u32_e64 s[2:3], v20, v16
	s_or_b64 s[2:3], vcc, s[2:3]
	s_and_saveexec_b64 s[26:27], s[2:3]
	s_cbranch_execz .LBB995_382
; %bb.347:
	v_cmp_ge_u32_e32 vcc, v19, v15
	v_cmp_lt_u32_e64 s[2:3], v19, v15
                                        ; implicit-def: $vgpr0_vgpr1
	s_and_saveexec_b64 s[4:5], s[2:3]
	s_cbranch_execz .LBB995_349
; %bb.348:
	v_lshl_add_u32 v0, v18, 3, v17
	ds_read_b64 v[0:1], v0
.LBB995_349:
	s_or_b64 exec, exec, s[4:5]
	v_cmp_ge_u32_e64 s[2:3], v20, v16
	v_cmp_lt_u32_e64 s[4:5], v20, v16
                                        ; implicit-def: $vgpr4_vgpr5
	s_and_saveexec_b64 s[28:29], s[4:5]
	s_cbranch_execz .LBB995_351
; %bb.350:
	v_lshlrev_b32_e32 v2, 3, v20
	ds_read_b64 v[4:5], v2
.LBB995_351:
	s_or_b64 exec, exec, s[28:29]
	s_or_b64 s[4:5], vcc, s[2:3]
	s_or_b64 s[4:5], s[4:5], s[24:25]
	s_xor_b64 s[30:31], s[4:5], -1
	s_xor_b64 s[4:5], vcc, -1
	s_or_b64 s[4:5], s[2:3], s[4:5]
	s_and_saveexec_b64 s[28:29], s[30:31]
	s_cbranch_execz .LBB995_357
; %bb.352:
	v_pk_mov_b32 v[6:7], s[14:15], s[14:15] op_sel:[0,1]
	s_waitcnt lgkmcnt(0)
	v_mad_u64_u32 v[2:3], s[2:3], v4, s12, v[6:7]
	v_mul_lo_u32 v8, v4, s13
	v_mul_lo_u32 v9, v5, s12
	v_add3_u32 v3, v9, v3, v8
	v_mad_u64_u32 v[6:7], s[2:3], v0, s12, v[6:7]
	v_mul_lo_u32 v8, v0, s13
	v_mul_lo_u32 v9, v1, s12
	v_add3_u32 v7, v9, v7, v8
	s_mov_b64 s[30:31], 0
	s_mov_b64 s[40:41], s[12:13]
                                        ; implicit-def: $sgpr34_sgpr35
                                        ; implicit-def: $sgpr36_sgpr37
                                        ; implicit-def: $sgpr2_sgpr3
                                        ; implicit-def: $sgpr38_sgpr39
                                        ; implicit-def: $sgpr42_sgpr43
	s_branch .LBB995_354
.LBB995_353:                            ;   in Loop: Header=BB995_354 Depth=1
	s_or_b64 exec, exec, s[44:45]
	s_and_b64 s[44:45], exec, s[36:37]
	s_or_b64 s[30:31], s[44:45], s[30:31]
	s_andn2_b64 s[42:43], s[42:43], exec
	s_and_b64 s[44:45], s[38:39], exec
	s_or_b64 s[42:43], s[42:43], s[44:45]
	s_andn2_b64 s[34:35], s[34:35], exec
	s_and_b64 s[44:45], s[2:3], exec
	s_or_b64 s[34:35], s[34:35], s[44:45]
	s_andn2_b64 exec, exec, s[30:31]
	s_cbranch_execz .LBB995_356
.LBB995_354:                            ; =>This Inner Loop Header: Depth=1
	global_load_ubyte v8, v[2:3], off
	global_load_ubyte v9, v[6:7], off
	s_andn2_b64 s[44:45], s[2:3], exec
	s_andn2_b64 s[38:39], s[38:39], exec
	s_or_b64 s[36:37], s[36:37], exec
	s_waitcnt vmcnt(1)
	v_cmp_eq_u16_e32 vcc, 0, v8
	s_waitcnt vmcnt(0)
	v_cmp_ne_u16_e64 s[2:3], 0, v9
	s_or_b64 s[48:49], vcc, s[2:3]
	s_and_b64 s[46:47], vcc, s[2:3]
	s_xor_b64 s[50:51], vcc, s[2:3]
	s_and_b64 s[2:3], s[48:49], s[42:43]
	s_or_b64 s[46:47], s[46:47], s[2:3]
	s_and_b64 s[2:3], s[46:47], exec
	s_or_b64 s[2:3], s[44:45], s[2:3]
	s_and_saveexec_b64 s[44:45], s[50:51]
	s_cbranch_execz .LBB995_353
; %bb.355:                              ;   in Loop: Header=BB995_354 Depth=1
	s_add_u32 s40, s40, -1
	s_addc_u32 s41, s41, -1
	v_add_co_u32_e32 v2, vcc, 1, v2
	s_cmp_eq_u64 s[40:41], 0
	v_addc_co_u32_e32 v3, vcc, 0, v3, vcc
	s_cselect_b64 s[42:43], -1, 0
	v_add_co_u32_e32 v6, vcc, 1, v6
	s_andn2_b64 s[38:39], s[38:39], exec
	s_and_b64 s[46:47], s[46:47], exec
	s_andn2_b64 s[36:37], s[36:37], exec
	s_and_b64 s[42:43], s[42:43], exec
	v_addc_co_u32_e32 v7, vcc, 0, v7, vcc
	s_or_b64 s[38:39], s[38:39], s[46:47]
	s_andn2_b64 s[2:3], s[2:3], exec
	s_or_b64 s[36:37], s[36:37], s[42:43]
                                        ; implicit-def: $sgpr42_sgpr43
	s_branch .LBB995_353
.LBB995_356:
	s_or_b64 exec, exec, s[30:31]
	s_xor_b64 s[2:3], s[34:35], -1
	s_andn2_b64 s[4:5], s[4:5], exec
	s_and_b64 s[2:3], s[2:3], exec
	s_or_b64 s[4:5], s[4:5], s[2:3]
.LBB995_357:
	s_or_b64 exec, exec, s[28:29]
	v_cndmask_b32_e64 v2, v20, v19, s[4:5]
	v_cndmask_b32_e64 v3, v16, v15, s[4:5]
	v_add_u32_e32 v6, 1, v2
	v_add_u32_e32 v2, -1, v3
	v_min_u32_e32 v2, v6, v2
	v_lshlrev_b32_e32 v2, 3, v2
	ds_read_b64 v[2:3], v2
	v_cndmask_b32_e64 v20, v6, v20, s[4:5]
	v_cndmask_b32_e64 v19, v19, v6, s[4:5]
	v_cmp_lt_u32_e32 vcc, v20, v16
	s_mov_b64 s[28:29], -1
	s_waitcnt lgkmcnt(0)
	v_cndmask_b32_e64 v8, v3, v5, s[4:5]
	v_cndmask_b32_e64 v9, v2, v4, s[4:5]
	;; [unrolled: 1-line block ×4, first 2 shown]
	s_mov_b64 s[30:31], -1
	s_and_saveexec_b64 s[34:35], vcc
	s_cbranch_execz .LBB995_365
; %bb.358:
	v_cmp_lt_u32_e64 s[30:31], v19, v15
	s_xor_b64 s[2:3], s[24:25], -1
	s_and_b64 s[2:3], s[30:31], s[2:3]
	s_and_saveexec_b64 s[36:37], s[2:3]
	s_cbranch_execz .LBB995_364
; %bb.359:
	v_pk_mov_b32 v[6:7], s[14:15], s[14:15] op_sel:[0,1]
	v_mad_u64_u32 v[2:3], s[2:3], v9, s12, v[6:7]
	v_mul_lo_u32 v17, v9, s13
	v_mul_lo_u32 v18, v8, s12
	v_add3_u32 v3, v18, v3, v17
	v_mad_u64_u32 v[6:7], s[2:3], v11, s12, v[6:7]
	v_mul_lo_u32 v17, v11, s13
	v_mul_lo_u32 v18, v10, s12
	v_add3_u32 v7, v18, v7, v17
	s_mov_b64 s[38:39], 0
	s_mov_b64 s[46:47], s[12:13]
                                        ; implicit-def: $sgpr40_sgpr41
                                        ; implicit-def: $sgpr42_sgpr43
                                        ; implicit-def: $sgpr2_sgpr3
                                        ; implicit-def: $sgpr44_sgpr45
                                        ; implicit-def: $sgpr48_sgpr49
	s_branch .LBB995_361
.LBB995_360:                            ;   in Loop: Header=BB995_361 Depth=1
	s_or_b64 exec, exec, s[50:51]
	s_and_b64 s[50:51], exec, s[42:43]
	s_or_b64 s[38:39], s[50:51], s[38:39]
	s_andn2_b64 s[48:49], s[48:49], exec
	s_and_b64 s[50:51], s[44:45], exec
	s_or_b64 s[48:49], s[48:49], s[50:51]
	s_andn2_b64 s[40:41], s[40:41], exec
	s_and_b64 s[50:51], s[2:3], exec
	s_or_b64 s[40:41], s[40:41], s[50:51]
	s_andn2_b64 exec, exec, s[38:39]
	s_cbranch_execz .LBB995_363
.LBB995_361:                            ; =>This Inner Loop Header: Depth=1
	global_load_ubyte v17, v[2:3], off
	global_load_ubyte v18, v[6:7], off
	s_andn2_b64 s[50:51], s[2:3], exec
	s_andn2_b64 s[44:45], s[44:45], exec
	s_or_b64 s[42:43], s[42:43], exec
	s_waitcnt vmcnt(1)
	v_cmp_eq_u16_e32 vcc, 0, v17
	s_waitcnt vmcnt(0)
	v_cmp_ne_u16_e64 s[2:3], 0, v18
	s_or_b64 s[54:55], vcc, s[2:3]
	s_and_b64 s[52:53], vcc, s[2:3]
	s_xor_b64 s[56:57], vcc, s[2:3]
	s_and_b64 s[2:3], s[54:55], s[48:49]
	s_or_b64 s[52:53], s[52:53], s[2:3]
	s_and_b64 s[2:3], s[52:53], exec
	s_or_b64 s[2:3], s[50:51], s[2:3]
	s_and_saveexec_b64 s[50:51], s[56:57]
	s_cbranch_execz .LBB995_360
; %bb.362:                              ;   in Loop: Header=BB995_361 Depth=1
	s_add_u32 s46, s46, -1
	s_addc_u32 s47, s47, -1
	v_add_co_u32_e32 v2, vcc, 1, v2
	s_cmp_eq_u64 s[46:47], 0
	v_addc_co_u32_e32 v3, vcc, 0, v3, vcc
	s_cselect_b64 s[48:49], -1, 0
	v_add_co_u32_e32 v6, vcc, 1, v6
	s_andn2_b64 s[44:45], s[44:45], exec
	s_and_b64 s[52:53], s[52:53], exec
	s_andn2_b64 s[42:43], s[42:43], exec
	s_and_b64 s[48:49], s[48:49], exec
	v_addc_co_u32_e32 v7, vcc, 0, v7, vcc
	s_or_b64 s[44:45], s[44:45], s[52:53]
	s_andn2_b64 s[2:3], s[2:3], exec
	s_or_b64 s[42:43], s[42:43], s[48:49]
                                        ; implicit-def: $sgpr48_sgpr49
	s_branch .LBB995_360
.LBB995_363:
	s_or_b64 exec, exec, s[38:39]
	s_xor_b64 s[2:3], s[40:41], -1
	s_andn2_b64 s[30:31], s[30:31], exec
	s_and_b64 s[2:3], s[2:3], exec
	s_or_b64 s[30:31], s[30:31], s[2:3]
.LBB995_364:
	s_or_b64 exec, exec, s[36:37]
	s_orn2_b64 s[30:31], s[30:31], exec
.LBB995_365:
	s_or_b64 exec, exec, s[34:35]
	v_cndmask_b32_e64 v2, v20, v19, s[30:31]
	v_cndmask_b32_e64 v3, v16, v15, s[30:31]
	v_add_u32_e32 v6, 1, v2
	v_add_u32_e32 v2, -1, v3
	v_min_u32_e32 v2, v6, v2
	v_lshlrev_b32_e32 v2, 3, v2
	ds_read_b64 v[2:3], v2
	v_cndmask_b32_e64 v20, v6, v20, s[30:31]
	v_cndmask_b32_e64 v19, v19, v6, s[30:31]
	v_cmp_lt_u32_e32 vcc, v20, v16
	s_waitcnt lgkmcnt(0)
	v_cndmask_b32_e64 v17, v3, v8, s[30:31]
	v_cndmask_b32_e64 v18, v2, v9, s[30:31]
	v_cndmask_b32_e64 v21, v10, v3, s[30:31]
	v_cndmask_b32_e64 v33, v11, v2, s[30:31]
	s_and_saveexec_b64 s[34:35], vcc
	s_cbranch_execz .LBB995_373
; %bb.366:
	v_cmp_lt_u32_e64 s[28:29], v19, v15
	s_xor_b64 s[2:3], s[24:25], -1
	s_and_b64 s[2:3], s[28:29], s[2:3]
	s_and_saveexec_b64 s[36:37], s[2:3]
	s_cbranch_execz .LBB995_372
; %bb.367:
	v_pk_mov_b32 v[6:7], s[14:15], s[14:15] op_sel:[0,1]
	v_mad_u64_u32 v[2:3], s[2:3], v18, s12, v[6:7]
	v_mul_lo_u32 v34, v18, s13
	v_mul_lo_u32 v35, v17, s12
	v_add3_u32 v3, v35, v3, v34
	v_mad_u64_u32 v[6:7], s[2:3], v33, s12, v[6:7]
	v_mul_lo_u32 v34, v33, s13
	v_mul_lo_u32 v35, v21, s12
	v_add3_u32 v7, v35, v7, v34
	s_mov_b64 s[38:39], 0
	s_mov_b64 s[46:47], s[12:13]
                                        ; implicit-def: $sgpr40_sgpr41
                                        ; implicit-def: $sgpr42_sgpr43
                                        ; implicit-def: $sgpr2_sgpr3
                                        ; implicit-def: $sgpr44_sgpr45
                                        ; implicit-def: $sgpr48_sgpr49
	s_branch .LBB995_369
.LBB995_368:                            ;   in Loop: Header=BB995_369 Depth=1
	s_or_b64 exec, exec, s[50:51]
	s_and_b64 s[50:51], exec, s[42:43]
	s_or_b64 s[38:39], s[50:51], s[38:39]
	s_andn2_b64 s[48:49], s[48:49], exec
	s_and_b64 s[50:51], s[44:45], exec
	s_or_b64 s[48:49], s[48:49], s[50:51]
	s_andn2_b64 s[40:41], s[40:41], exec
	s_and_b64 s[50:51], s[2:3], exec
	s_or_b64 s[40:41], s[40:41], s[50:51]
	s_andn2_b64 exec, exec, s[38:39]
	s_cbranch_execz .LBB995_371
.LBB995_369:                            ; =>This Inner Loop Header: Depth=1
	global_load_ubyte v34, v[2:3], off
	global_load_ubyte v35, v[6:7], off
	s_andn2_b64 s[50:51], s[2:3], exec
	s_andn2_b64 s[44:45], s[44:45], exec
	s_or_b64 s[42:43], s[42:43], exec
	s_waitcnt vmcnt(1)
	v_cmp_eq_u16_e32 vcc, 0, v34
	s_waitcnt vmcnt(0)
	v_cmp_ne_u16_e64 s[2:3], 0, v35
	s_or_b64 s[54:55], vcc, s[2:3]
	s_and_b64 s[52:53], vcc, s[2:3]
	s_xor_b64 s[56:57], vcc, s[2:3]
	s_and_b64 s[2:3], s[54:55], s[48:49]
	s_or_b64 s[52:53], s[52:53], s[2:3]
	s_and_b64 s[2:3], s[52:53], exec
	s_or_b64 s[2:3], s[50:51], s[2:3]
	s_and_saveexec_b64 s[50:51], s[56:57]
	s_cbranch_execz .LBB995_368
; %bb.370:                              ;   in Loop: Header=BB995_369 Depth=1
	s_add_u32 s46, s46, -1
	s_addc_u32 s47, s47, -1
	v_add_co_u32_e32 v2, vcc, 1, v2
	s_cmp_eq_u64 s[46:47], 0
	v_addc_co_u32_e32 v3, vcc, 0, v3, vcc
	s_cselect_b64 s[48:49], -1, 0
	v_add_co_u32_e32 v6, vcc, 1, v6
	s_andn2_b64 s[44:45], s[44:45], exec
	s_and_b64 s[52:53], s[52:53], exec
	s_andn2_b64 s[42:43], s[42:43], exec
	s_and_b64 s[48:49], s[48:49], exec
	v_addc_co_u32_e32 v7, vcc, 0, v7, vcc
	s_or_b64 s[44:45], s[44:45], s[52:53]
	s_andn2_b64 s[2:3], s[2:3], exec
	s_or_b64 s[42:43], s[42:43], s[48:49]
                                        ; implicit-def: $sgpr48_sgpr49
	s_branch .LBB995_368
.LBB995_371:
	s_or_b64 exec, exec, s[38:39]
	s_xor_b64 s[2:3], s[40:41], -1
	s_andn2_b64 s[28:29], s[28:29], exec
	s_and_b64 s[2:3], s[2:3], exec
	s_or_b64 s[28:29], s[28:29], s[2:3]
.LBB995_372:
	s_or_b64 exec, exec, s[36:37]
	s_orn2_b64 s[28:29], s[28:29], exec
.LBB995_373:
	s_or_b64 exec, exec, s[34:35]
	v_cndmask_b32_e64 v6, v20, v19, s[28:29]
	v_cndmask_b32_e64 v7, v16, v15, s[28:29]
	;; [unrolled: 1-line block ×3, first 2 shown]
	v_add_u32_e32 v10, 1, v6
	v_add_u32_e32 v6, -1, v7
	v_min_u32_e32 v6, v10, v6
	v_lshlrev_b32_e32 v6, 3, v6
	v_cndmask_b32_e64 v2, v9, v11, s[30:31]
	ds_read_b64 v[8:9], v6
	v_cndmask_b32_e64 v11, v10, v20, s[28:29]
	v_cndmask_b32_e64 v1, v5, v1, s[4:5]
	v_cndmask_b32_e64 v0, v4, v0, s[4:5]
	v_cndmask_b32_e64 v5, v17, v21, s[28:29]
	v_cndmask_b32_e64 v4, v18, v33, s[28:29]
	s_waitcnt lgkmcnt(0)
	v_cndmask_b32_e64 v7, v21, v9, s[28:29]
	v_cndmask_b32_e64 v6, v33, v8, s[28:29]
	v_cmp_lt_u32_e32 vcc, v11, v16
	s_and_saveexec_b64 s[4:5], vcc
	s_cbranch_execz .LBB995_381
; %bb.374:
	v_cndmask_b32_e64 v16, v9, v17, s[28:29]
	v_cndmask_b32_e64 v17, v8, v18, s[28:29]
	;; [unrolled: 1-line block ×3, first 2 shown]
	v_cmp_ge_u32_e32 vcc, v8, v15
	s_or_b64 s[2:3], vcc, s[24:25]
	v_cndmask_b32_e32 v9, v7, v16, vcc
	s_xor_b64 s[2:3], s[2:3], -1
	v_cndmask_b32_e32 v8, v6, v17, vcc
	s_and_saveexec_b64 s[28:29], s[2:3]
	s_cbranch_execz .LBB995_380
; %bb.375:
	v_pk_mov_b32 v[10:11], s[14:15], s[14:15] op_sel:[0,1]
	v_mad_u64_u32 v[8:9], s[2:3], v17, s12, v[10:11]
	v_mul_lo_u32 v15, v17, s13
	v_mul_lo_u32 v18, v16, s12
	v_add3_u32 v9, v18, v9, v15
	v_mad_u64_u32 v[10:11], s[2:3], v6, s12, v[10:11]
	v_mul_lo_u32 v15, v6, s13
	v_mul_lo_u32 v18, v7, s12
	v_add3_u32 v11, v18, v11, v15
	s_mov_b64 s[30:31], 0
	s_mov_b64 s[40:41], s[12:13]
                                        ; implicit-def: $sgpr34_sgpr35
                                        ; implicit-def: $sgpr36_sgpr37
                                        ; implicit-def: $sgpr2_sgpr3
                                        ; implicit-def: $sgpr38_sgpr39
                                        ; implicit-def: $sgpr42_sgpr43
	s_branch .LBB995_377
.LBB995_376:                            ;   in Loop: Header=BB995_377 Depth=1
	s_or_b64 exec, exec, s[44:45]
	s_and_b64 s[44:45], exec, s[36:37]
	s_or_b64 s[30:31], s[44:45], s[30:31]
	s_andn2_b64 s[42:43], s[42:43], exec
	s_and_b64 s[44:45], s[38:39], exec
	s_or_b64 s[42:43], s[42:43], s[44:45]
	s_andn2_b64 s[34:35], s[34:35], exec
	s_and_b64 s[44:45], s[2:3], exec
	s_or_b64 s[34:35], s[34:35], s[44:45]
	s_andn2_b64 exec, exec, s[30:31]
	s_cbranch_execz .LBB995_379
.LBB995_377:                            ; =>This Inner Loop Header: Depth=1
	global_load_ubyte v15, v[8:9], off
	global_load_ubyte v18, v[10:11], off
	s_andn2_b64 s[44:45], s[2:3], exec
	s_andn2_b64 s[38:39], s[38:39], exec
	s_or_b64 s[36:37], s[36:37], exec
	s_waitcnt vmcnt(1)
	v_cmp_eq_u16_e32 vcc, 0, v15
	s_waitcnt vmcnt(0)
	v_cmp_ne_u16_e64 s[2:3], 0, v18
	s_or_b64 s[48:49], vcc, s[2:3]
	s_and_b64 s[46:47], vcc, s[2:3]
	s_xor_b64 s[50:51], vcc, s[2:3]
	s_and_b64 s[2:3], s[48:49], s[42:43]
	s_or_b64 s[46:47], s[46:47], s[2:3]
	s_and_b64 s[2:3], s[46:47], exec
	s_or_b64 s[2:3], s[44:45], s[2:3]
	s_and_saveexec_b64 s[44:45], s[50:51]
	s_cbranch_execz .LBB995_376
; %bb.378:                              ;   in Loop: Header=BB995_377 Depth=1
	s_add_u32 s40, s40, -1
	s_addc_u32 s41, s41, -1
	v_add_co_u32_e32 v8, vcc, 1, v8
	s_cmp_eq_u64 s[40:41], 0
	v_addc_co_u32_e32 v9, vcc, 0, v9, vcc
	s_cselect_b64 s[42:43], -1, 0
	v_add_co_u32_e32 v10, vcc, 1, v10
	s_andn2_b64 s[38:39], s[38:39], exec
	s_and_b64 s[46:47], s[46:47], exec
	s_andn2_b64 s[36:37], s[36:37], exec
	s_and_b64 s[42:43], s[42:43], exec
	v_addc_co_u32_e32 v11, vcc, 0, v11, vcc
	s_or_b64 s[38:39], s[38:39], s[46:47]
	s_andn2_b64 s[2:3], s[2:3], exec
	s_or_b64 s[36:37], s[36:37], s[42:43]
                                        ; implicit-def: $sgpr42_sgpr43
	s_branch .LBB995_376
.LBB995_379:
	s_or_b64 exec, exec, s[30:31]
	v_cndmask_b32_e64 v9, v7, v16, s[34:35]
	v_cndmask_b32_e64 v8, v6, v17, s[34:35]
.LBB995_380:
	s_or_b64 exec, exec, s[28:29]
	v_pk_mov_b32 v[6:7], v[8:9], v[8:9] op_sel:[0,1]
.LBB995_381:
	s_or_b64 exec, exec, s[4:5]
.LBB995_382:
	s_or_b64 exec, exec, s[26:27]
	v_and_b32_e32 v17, 0xc00, v23
	v_or_b32_e32 v8, 0x200, v17
	s_barrier
	ds_write_b128 v14, v[0:3]
	ds_write_b128 v14, v[4:7] offset:16
	v_min_u32_e32 v14, 0x400, v8
	v_and_b32_e32 v18, 0x3fc, v23
	v_sub_u32_e32 v8, v14, v17
	v_sub_u32_e32 v9, 0x400, v14
	v_sub_u32_e64 v16, v18, v9 clamp
	v_min_u32_e32 v19, v18, v8
	v_lshlrev_b32_e32 v15, 3, v17
	v_cmp_lt_u32_e32 vcc, v16, v19
	s_waitcnt lgkmcnt(0)
	s_barrier
	s_and_saveexec_b64 s[4:5], vcc
	s_cbranch_execz .LBB995_392
; %bb.383:
	v_lshlrev_b32_e32 v8, 3, v18
	v_lshl_add_u32 v20, v14, 3, v8
	s_mov_b64 s[26:27], 0
	s_branch .LBB995_386
.LBB995_384:                            ;   in Loop: Header=BB995_386 Depth=1
	s_or_b64 exec, exec, s[30:31]
.LBB995_385:                            ;   in Loop: Header=BB995_386 Depth=1
	v_add_u32_e32 v8, 1, v21
	v_cndmask_b32_e64 v19, v19, v21, s[28:29]
	v_cndmask_b32_e64 v16, v8, v16, s[28:29]
	v_cmp_ge_u32_e32 vcc, v16, v19
	s_or_b64 s[26:27], vcc, s[26:27]
	s_andn2_b64 exec, exec, s[26:27]
	s_cbranch_execz .LBB995_391
.LBB995_386:                            ; =>This Loop Header: Depth=1
                                        ;     Child Loop BB995_389 Depth 2
	v_add_u32_e32 v8, v19, v16
	v_lshrrev_b32_e32 v21, 1, v8
	s_and_b64 vcc, exec, s[0:1]
	s_mov_b64 s[28:29], 0
	s_cbranch_vccnz .LBB995_385
; %bb.387:                              ;   in Loop: Header=BB995_386 Depth=1
	v_not_b32_e32 v8, v21
	v_lshl_add_u32 v8, v8, 3, v20
	ds_read_b64 v[8:9], v8
	v_lshl_add_u32 v33, v21, 3, v15
	ds_read_b64 v[34:35], v33
	v_pk_mov_b32 v[10:11], s[14:15], s[14:15] op_sel:[0,1]
	s_mov_b64 s[30:31], 0
	s_waitcnt lgkmcnt(1)
	v_mul_lo_u32 v33, v8, s13
	v_mul_lo_u32 v36, v9, s12
	v_mad_u64_u32 v[8:9], s[2:3], v8, s12, v[10:11]
	v_add3_u32 v9, v36, v9, v33
	s_waitcnt lgkmcnt(0)
	v_mul_lo_u32 v33, v34, s13
	v_mul_lo_u32 v35, v35, s12
	v_mad_u64_u32 v[10:11], s[2:3], v34, s12, v[10:11]
	v_add3_u32 v11, v35, v11, v33
	s_mov_b64 s[38:39], s[12:13]
                                        ; implicit-def: $sgpr28_sgpr29
                                        ; implicit-def: $sgpr34_sgpr35
                                        ; implicit-def: $sgpr36_sgpr37
                                        ; implicit-def: $sgpr2_sgpr3
                                        ; implicit-def: $sgpr40_sgpr41
	s_branch .LBB995_389
.LBB995_388:                            ;   in Loop: Header=BB995_389 Depth=2
	s_or_b64 exec, exec, s[42:43]
	s_and_b64 s[42:43], exec, s[34:35]
	s_or_b64 s[30:31], s[42:43], s[30:31]
	s_andn2_b64 s[40:41], s[40:41], exec
	s_and_b64 s[42:43], s[36:37], exec
	s_or_b64 s[40:41], s[40:41], s[42:43]
	s_andn2_b64 s[28:29], s[28:29], exec
	s_and_b64 s[42:43], s[2:3], exec
	s_or_b64 s[28:29], s[28:29], s[42:43]
	s_andn2_b64 exec, exec, s[30:31]
	s_cbranch_execz .LBB995_384
.LBB995_389:                            ;   Parent Loop BB995_386 Depth=1
                                        ; =>  This Inner Loop Header: Depth=2
	global_load_ubyte v33, v[8:9], off
	global_load_ubyte v34, v[10:11], off
	s_andn2_b64 s[42:43], s[2:3], exec
	s_andn2_b64 s[36:37], s[36:37], exec
	s_or_b64 s[34:35], s[34:35], exec
	s_waitcnt vmcnt(1)
	v_cmp_eq_u16_e32 vcc, 0, v33
	s_waitcnt vmcnt(0)
	v_cmp_ne_u16_e64 s[2:3], 0, v34
	s_or_b64 s[46:47], vcc, s[2:3]
	s_and_b64 s[44:45], vcc, s[2:3]
	s_xor_b64 s[48:49], vcc, s[2:3]
	s_and_b64 s[2:3], s[46:47], s[40:41]
	s_or_b64 s[44:45], s[44:45], s[2:3]
	s_and_b64 s[2:3], s[44:45], exec
	s_or_b64 s[2:3], s[42:43], s[2:3]
	s_and_saveexec_b64 s[42:43], s[48:49]
	s_cbranch_execz .LBB995_388
; %bb.390:                              ;   in Loop: Header=BB995_389 Depth=2
	s_add_u32 s38, s38, -1
	s_addc_u32 s39, s39, -1
	v_add_co_u32_e32 v8, vcc, 1, v8
	s_cmp_eq_u64 s[38:39], 0
	v_addc_co_u32_e32 v9, vcc, 0, v9, vcc
	s_cselect_b64 s[40:41], -1, 0
	v_add_co_u32_e32 v10, vcc, 1, v10
	s_andn2_b64 s[36:37], s[36:37], exec
	s_and_b64 s[44:45], s[44:45], exec
	s_andn2_b64 s[34:35], s[34:35], exec
	s_and_b64 s[40:41], s[40:41], exec
	v_addc_co_u32_e32 v11, vcc, 0, v11, vcc
	s_andn2_b64 s[2:3], s[2:3], exec
	s_or_b64 s[36:37], s[36:37], s[44:45]
	s_or_b64 s[34:35], s[34:35], s[40:41]
                                        ; implicit-def: $sgpr40_sgpr41
	s_branch .LBB995_388
.LBB995_391:
	s_or_b64 exec, exec, s[26:27]
.LBB995_392:
	s_or_b64 exec, exec, s[4:5]
	v_sub_u32_e32 v8, v18, v16
	v_add_u32_e32 v17, v16, v17
	v_add_u32_e32 v18, v8, v14
	s_movk_i32 s0, 0x401
	v_cmp_le_u32_e32 vcc, v17, v14
	v_cmp_gt_u32_e64 s[0:1], s0, v18
	s_or_b64 s[0:1], vcc, s[0:1]
	s_and_saveexec_b64 s[4:5], s[0:1]
	s_cbranch_execz .LBB995_428
; %bb.393:
	v_cmp_ge_u32_e32 vcc, v17, v14
	v_cmp_lt_u32_e64 s[0:1], v17, v14
                                        ; implicit-def: $vgpr0_vgpr1
	s_and_saveexec_b64 s[2:3], s[0:1]
	s_cbranch_execz .LBB995_395
; %bb.394:
	v_lshl_add_u32 v0, v16, 3, v15
	ds_read_b64 v[0:1], v0
.LBB995_395:
	s_or_b64 exec, exec, s[2:3]
	s_movk_i32 s0, 0x3ff
	s_movk_i32 s2, 0x400
	v_cmp_lt_u32_e64 s[0:1], s0, v18
	v_cmp_gt_u32_e64 s[2:3], s2, v18
                                        ; implicit-def: $vgpr4_vgpr5
	s_and_saveexec_b64 s[26:27], s[2:3]
	s_cbranch_execz .LBB995_397
; %bb.396:
	v_lshlrev_b32_e32 v2, 3, v18
	ds_read_b64 v[4:5], v2
.LBB995_397:
	s_or_b64 exec, exec, s[26:27]
	s_or_b64 s[2:3], vcc, s[0:1]
	s_or_b64 s[2:3], s[2:3], s[24:25]
	s_xor_b64 s[28:29], s[2:3], -1
	s_xor_b64 s[2:3], vcc, -1
	s_or_b64 s[2:3], s[0:1], s[2:3]
	s_and_saveexec_b64 s[26:27], s[28:29]
	s_cbranch_execz .LBB995_403
; %bb.398:
	v_pk_mov_b32 v[6:7], s[14:15], s[14:15] op_sel:[0,1]
	s_waitcnt lgkmcnt(0)
	v_mad_u64_u32 v[2:3], s[0:1], v4, s12, v[6:7]
	v_mul_lo_u32 v8, v4, s13
	v_mul_lo_u32 v9, v5, s12
	v_add3_u32 v3, v9, v3, v8
	v_mad_u64_u32 v[6:7], s[0:1], v0, s12, v[6:7]
	v_mul_lo_u32 v8, v0, s13
	v_mul_lo_u32 v9, v1, s12
	v_add3_u32 v7, v9, v7, v8
	s_mov_b64 s[28:29], 0
	s_mov_b64 s[38:39], s[12:13]
                                        ; implicit-def: $sgpr30_sgpr31
                                        ; implicit-def: $sgpr34_sgpr35
                                        ; implicit-def: $sgpr0_sgpr1
                                        ; implicit-def: $sgpr36_sgpr37
                                        ; implicit-def: $sgpr40_sgpr41
	s_branch .LBB995_400
.LBB995_399:                            ;   in Loop: Header=BB995_400 Depth=1
	s_or_b64 exec, exec, s[42:43]
	s_and_b64 s[42:43], exec, s[34:35]
	s_or_b64 s[28:29], s[42:43], s[28:29]
	s_andn2_b64 s[40:41], s[40:41], exec
	s_and_b64 s[42:43], s[36:37], exec
	s_or_b64 s[40:41], s[40:41], s[42:43]
	s_andn2_b64 s[30:31], s[30:31], exec
	s_and_b64 s[42:43], s[0:1], exec
	s_or_b64 s[30:31], s[30:31], s[42:43]
	s_andn2_b64 exec, exec, s[28:29]
	s_cbranch_execz .LBB995_402
.LBB995_400:                            ; =>This Inner Loop Header: Depth=1
	global_load_ubyte v8, v[2:3], off
	global_load_ubyte v9, v[6:7], off
	s_andn2_b64 s[42:43], s[0:1], exec
	s_andn2_b64 s[36:37], s[36:37], exec
	s_or_b64 s[34:35], s[34:35], exec
	s_waitcnt vmcnt(1)
	v_cmp_eq_u16_e32 vcc, 0, v8
	s_waitcnt vmcnt(0)
	v_cmp_ne_u16_e64 s[0:1], 0, v9
	s_or_b64 s[46:47], vcc, s[0:1]
	s_and_b64 s[44:45], vcc, s[0:1]
	s_xor_b64 s[48:49], vcc, s[0:1]
	s_and_b64 s[0:1], s[46:47], s[40:41]
	s_or_b64 s[44:45], s[44:45], s[0:1]
	s_and_b64 s[0:1], s[44:45], exec
	s_or_b64 s[0:1], s[42:43], s[0:1]
	s_and_saveexec_b64 s[42:43], s[48:49]
	s_cbranch_execz .LBB995_399
; %bb.401:                              ;   in Loop: Header=BB995_400 Depth=1
	s_add_u32 s38, s38, -1
	s_addc_u32 s39, s39, -1
	v_add_co_u32_e32 v2, vcc, 1, v2
	s_cmp_eq_u64 s[38:39], 0
	v_addc_co_u32_e32 v3, vcc, 0, v3, vcc
	s_cselect_b64 s[40:41], -1, 0
	v_add_co_u32_e32 v6, vcc, 1, v6
	s_andn2_b64 s[36:37], s[36:37], exec
	s_and_b64 s[44:45], s[44:45], exec
	s_andn2_b64 s[34:35], s[34:35], exec
	s_and_b64 s[40:41], s[40:41], exec
	v_addc_co_u32_e32 v7, vcc, 0, v7, vcc
	s_or_b64 s[36:37], s[36:37], s[44:45]
	s_andn2_b64 s[0:1], s[0:1], exec
	s_or_b64 s[34:35], s[34:35], s[40:41]
                                        ; implicit-def: $sgpr40_sgpr41
	s_branch .LBB995_399
.LBB995_402:
	s_or_b64 exec, exec, s[28:29]
	s_xor_b64 s[0:1], s[30:31], -1
	s_andn2_b64 s[2:3], s[2:3], exec
	s_and_b64 s[0:1], s[0:1], exec
	s_or_b64 s[2:3], s[2:3], s[0:1]
.LBB995_403:
	s_or_b64 exec, exec, s[26:27]
	v_cndmask_b32_e64 v2, v18, v17, s[2:3]
	v_add_u32_e32 v8, -1, v14
	v_mov_b32_e32 v16, 0x3ff
	v_add_u32_e32 v6, 1, v2
	v_cndmask_b32_e64 v2, v16, v8, s[2:3]
	v_min_u32_e32 v2, v6, v2
	v_lshlrev_b32_e32 v2, 3, v2
	ds_read_b64 v[2:3], v2
	v_cndmask_b32_e64 v18, v6, v18, s[2:3]
	s_movk_i32 s7, 0x400
	v_cndmask_b32_e64 v33, v17, v6, s[2:3]
	v_cmp_gt_u32_e32 vcc, s7, v18
	s_waitcnt lgkmcnt(0)
	v_cndmask_b32_e64 v9, v3, v5, s[2:3]
	v_cndmask_b32_e64 v10, v2, v4, s[2:3]
	;; [unrolled: 1-line block ×4, first 2 shown]
	s_mov_b64 s[26:27], -1
	s_mov_b64 s[28:29], -1
	s_and_saveexec_b64 s[30:31], vcc
	s_cbranch_execz .LBB995_411
; %bb.404:
	v_cmp_lt_u32_e64 s[28:29], v33, v14
	s_xor_b64 s[0:1], s[24:25], -1
	s_and_b64 s[0:1], s[28:29], s[0:1]
	s_and_saveexec_b64 s[34:35], s[0:1]
	s_cbranch_execz .LBB995_410
; %bb.405:
	v_pk_mov_b32 v[6:7], s[14:15], s[14:15] op_sel:[0,1]
	v_mad_u64_u32 v[2:3], s[0:1], v10, s12, v[6:7]
	v_mul_lo_u32 v17, v10, s13
	v_mul_lo_u32 v19, v9, s12
	v_add3_u32 v3, v19, v3, v17
	v_mad_u64_u32 v[6:7], s[0:1], v15, s12, v[6:7]
	v_mul_lo_u32 v17, v15, s13
	v_mul_lo_u32 v19, v11, s12
	v_add3_u32 v7, v19, v7, v17
	s_mov_b64 s[36:37], 0
	s_mov_b64 s[44:45], s[12:13]
                                        ; implicit-def: $sgpr38_sgpr39
                                        ; implicit-def: $sgpr40_sgpr41
                                        ; implicit-def: $sgpr0_sgpr1
                                        ; implicit-def: $sgpr42_sgpr43
                                        ; implicit-def: $sgpr46_sgpr47
	s_branch .LBB995_407
.LBB995_406:                            ;   in Loop: Header=BB995_407 Depth=1
	s_or_b64 exec, exec, s[48:49]
	s_and_b64 s[48:49], exec, s[40:41]
	s_or_b64 s[36:37], s[48:49], s[36:37]
	s_andn2_b64 s[46:47], s[46:47], exec
	s_and_b64 s[48:49], s[42:43], exec
	s_or_b64 s[46:47], s[46:47], s[48:49]
	s_andn2_b64 s[38:39], s[38:39], exec
	s_and_b64 s[48:49], s[0:1], exec
	s_or_b64 s[38:39], s[38:39], s[48:49]
	s_andn2_b64 exec, exec, s[36:37]
	s_cbranch_execz .LBB995_409
.LBB995_407:                            ; =>This Inner Loop Header: Depth=1
	global_load_ubyte v17, v[2:3], off
	global_load_ubyte v19, v[6:7], off
	s_andn2_b64 s[48:49], s[0:1], exec
	s_andn2_b64 s[42:43], s[42:43], exec
	s_or_b64 s[40:41], s[40:41], exec
	s_waitcnt vmcnt(1)
	v_cmp_eq_u16_e32 vcc, 0, v17
	s_waitcnt vmcnt(0)
	v_cmp_ne_u16_e64 s[0:1], 0, v19
	s_or_b64 s[52:53], vcc, s[0:1]
	s_and_b64 s[50:51], vcc, s[0:1]
	s_xor_b64 s[54:55], vcc, s[0:1]
	s_and_b64 s[0:1], s[52:53], s[46:47]
	s_or_b64 s[50:51], s[50:51], s[0:1]
	s_and_b64 s[0:1], s[50:51], exec
	s_or_b64 s[0:1], s[48:49], s[0:1]
	s_and_saveexec_b64 s[48:49], s[54:55]
	s_cbranch_execz .LBB995_406
; %bb.408:                              ;   in Loop: Header=BB995_407 Depth=1
	s_add_u32 s44, s44, -1
	s_addc_u32 s45, s45, -1
	v_add_co_u32_e32 v2, vcc, 1, v2
	s_cmp_eq_u64 s[44:45], 0
	v_addc_co_u32_e32 v3, vcc, 0, v3, vcc
	s_cselect_b64 s[46:47], -1, 0
	v_add_co_u32_e32 v6, vcc, 1, v6
	s_andn2_b64 s[42:43], s[42:43], exec
	s_and_b64 s[50:51], s[50:51], exec
	s_andn2_b64 s[40:41], s[40:41], exec
	s_and_b64 s[46:47], s[46:47], exec
	v_addc_co_u32_e32 v7, vcc, 0, v7, vcc
	s_or_b64 s[42:43], s[42:43], s[50:51]
	s_andn2_b64 s[0:1], s[0:1], exec
	s_or_b64 s[40:41], s[40:41], s[46:47]
                                        ; implicit-def: $sgpr46_sgpr47
	s_branch .LBB995_406
.LBB995_409:
	s_or_b64 exec, exec, s[36:37]
	s_xor_b64 s[0:1], s[38:39], -1
	s_andn2_b64 s[28:29], s[28:29], exec
	s_and_b64 s[0:1], s[0:1], exec
	s_or_b64 s[28:29], s[28:29], s[0:1]
.LBB995_410:
	s_or_b64 exec, exec, s[34:35]
	s_orn2_b64 s[28:29], s[28:29], exec
.LBB995_411:
	s_or_b64 exec, exec, s[30:31]
	v_cndmask_b32_e64 v2, v18, v33, s[28:29]
	v_add_u32_e32 v6, 1, v2
	v_cndmask_b32_e64 v2, v16, v8, s[28:29]
	v_min_u32_e32 v2, v6, v2
	v_lshlrev_b32_e32 v2, 3, v2
	ds_read_b64 v[2:3], v2
	v_cndmask_b32_e64 v19, v6, v18, s[28:29]
	v_cndmask_b32_e64 v18, v33, v6, s[28:29]
	v_cmp_gt_u32_e32 vcc, s7, v19
	s_waitcnt lgkmcnt(0)
	v_cndmask_b32_e64 v16, v3, v9, s[28:29]
	v_cndmask_b32_e64 v17, v2, v10, s[28:29]
	;; [unrolled: 1-line block ×4, first 2 shown]
	s_and_saveexec_b64 s[30:31], vcc
	s_cbranch_execz .LBB995_419
; %bb.412:
	v_cmp_lt_u32_e64 s[26:27], v18, v14
	s_xor_b64 s[0:1], s[24:25], -1
	s_and_b64 s[0:1], s[26:27], s[0:1]
	s_and_saveexec_b64 s[34:35], s[0:1]
	s_cbranch_execz .LBB995_418
; %bb.413:
	v_pk_mov_b32 v[6:7], s[14:15], s[14:15] op_sel:[0,1]
	v_mad_u64_u32 v[2:3], s[0:1], v17, s12, v[6:7]
	v_mul_lo_u32 v33, v17, s13
	v_mul_lo_u32 v34, v16, s12
	v_add3_u32 v3, v34, v3, v33
	v_mad_u64_u32 v[6:7], s[0:1], v21, s12, v[6:7]
	v_mul_lo_u32 v33, v21, s13
	v_mul_lo_u32 v34, v20, s12
	v_add3_u32 v7, v34, v7, v33
	s_mov_b64 s[36:37], 0
	s_mov_b64 s[44:45], s[12:13]
                                        ; implicit-def: $sgpr38_sgpr39
                                        ; implicit-def: $sgpr40_sgpr41
                                        ; implicit-def: $sgpr0_sgpr1
                                        ; implicit-def: $sgpr42_sgpr43
                                        ; implicit-def: $sgpr46_sgpr47
	s_branch .LBB995_415
.LBB995_414:                            ;   in Loop: Header=BB995_415 Depth=1
	s_or_b64 exec, exec, s[48:49]
	s_and_b64 s[48:49], exec, s[40:41]
	s_or_b64 s[36:37], s[48:49], s[36:37]
	s_andn2_b64 s[46:47], s[46:47], exec
	s_and_b64 s[48:49], s[42:43], exec
	s_or_b64 s[46:47], s[46:47], s[48:49]
	s_andn2_b64 s[38:39], s[38:39], exec
	s_and_b64 s[48:49], s[0:1], exec
	s_or_b64 s[38:39], s[38:39], s[48:49]
	s_andn2_b64 exec, exec, s[36:37]
	s_cbranch_execz .LBB995_417
.LBB995_415:                            ; =>This Inner Loop Header: Depth=1
	global_load_ubyte v33, v[2:3], off
	global_load_ubyte v34, v[6:7], off
	s_andn2_b64 s[48:49], s[0:1], exec
	s_andn2_b64 s[42:43], s[42:43], exec
	s_or_b64 s[40:41], s[40:41], exec
	s_waitcnt vmcnt(1)
	v_cmp_eq_u16_e32 vcc, 0, v33
	s_waitcnt vmcnt(0)
	v_cmp_ne_u16_e64 s[0:1], 0, v34
	s_or_b64 s[52:53], vcc, s[0:1]
	s_and_b64 s[50:51], vcc, s[0:1]
	s_xor_b64 s[54:55], vcc, s[0:1]
	s_and_b64 s[0:1], s[52:53], s[46:47]
	s_or_b64 s[50:51], s[50:51], s[0:1]
	s_and_b64 s[0:1], s[50:51], exec
	s_or_b64 s[0:1], s[48:49], s[0:1]
	s_and_saveexec_b64 s[48:49], s[54:55]
	s_cbranch_execz .LBB995_414
; %bb.416:                              ;   in Loop: Header=BB995_415 Depth=1
	s_add_u32 s44, s44, -1
	s_addc_u32 s45, s45, -1
	v_add_co_u32_e32 v2, vcc, 1, v2
	s_cmp_eq_u64 s[44:45], 0
	v_addc_co_u32_e32 v3, vcc, 0, v3, vcc
	s_cselect_b64 s[46:47], -1, 0
	v_add_co_u32_e32 v6, vcc, 1, v6
	s_andn2_b64 s[42:43], s[42:43], exec
	s_and_b64 s[50:51], s[50:51], exec
	s_andn2_b64 s[40:41], s[40:41], exec
	s_and_b64 s[46:47], s[46:47], exec
	v_addc_co_u32_e32 v7, vcc, 0, v7, vcc
	s_or_b64 s[42:43], s[42:43], s[50:51]
	s_andn2_b64 s[0:1], s[0:1], exec
	s_or_b64 s[40:41], s[40:41], s[46:47]
                                        ; implicit-def: $sgpr46_sgpr47
	s_branch .LBB995_414
.LBB995_417:
	s_or_b64 exec, exec, s[36:37]
	s_xor_b64 s[0:1], s[38:39], -1
	s_andn2_b64 s[26:27], s[26:27], exec
	s_and_b64 s[0:1], s[0:1], exec
	s_or_b64 s[26:27], s[26:27], s[0:1]
.LBB995_418:
	s_or_b64 exec, exec, s[34:35]
	s_orn2_b64 s[26:27], s[26:27], exec
.LBB995_419:
	s_or_b64 exec, exec, s[30:31]
	v_cndmask_b32_e64 v6, v19, v18, s[26:27]
	v_cndmask_b32_e64 v2, v10, v15, s[28:29]
	v_add_u32_e32 v10, 1, v6
	v_mov_b32_e32 v6, 0x3ff
	v_cndmask_b32_e64 v6, v6, v8, s[26:27]
	v_min_u32_e32 v6, v10, v6
	v_lshlrev_b32_e32 v6, 3, v6
	v_cndmask_b32_e64 v3, v9, v11, s[28:29]
	ds_read_b64 v[8:9], v6
	v_cndmask_b32_e64 v11, v10, v19, s[26:27]
	s_movk_i32 s0, 0x400
	v_cndmask_b32_e64 v1, v5, v1, s[2:3]
	v_cndmask_b32_e64 v0, v4, v0, s[2:3]
	;; [unrolled: 1-line block ×4, first 2 shown]
	s_waitcnt lgkmcnt(0)
	v_cndmask_b32_e64 v7, v20, v9, s[26:27]
	v_cndmask_b32_e64 v6, v21, v8, s[26:27]
	v_cmp_gt_u32_e32 vcc, s0, v11
	s_and_saveexec_b64 s[2:3], vcc
	s_cbranch_execz .LBB995_427
; %bb.420:
	v_cndmask_b32_e64 v15, v9, v16, s[26:27]
	v_cndmask_b32_e64 v16, v8, v17, s[26:27]
	;; [unrolled: 1-line block ×3, first 2 shown]
	v_cmp_ge_u32_e32 vcc, v8, v14
	s_or_b64 s[0:1], vcc, s[24:25]
	v_cndmask_b32_e32 v9, v7, v15, vcc
	s_xor_b64 s[0:1], s[0:1], -1
	v_cndmask_b32_e32 v8, v6, v16, vcc
	s_and_saveexec_b64 s[24:25], s[0:1]
	s_cbranch_execz .LBB995_426
; %bb.421:
	v_pk_mov_b32 v[10:11], s[14:15], s[14:15] op_sel:[0,1]
	v_mad_u64_u32 v[8:9], s[0:1], v16, s12, v[10:11]
	v_mul_lo_u32 v14, v16, s13
	v_mul_lo_u32 v17, v15, s12
	v_add3_u32 v9, v17, v9, v14
	v_mad_u64_u32 v[10:11], s[0:1], v6, s12, v[10:11]
	v_mul_lo_u32 v14, v6, s13
	v_mul_lo_u32 v17, v7, s12
	v_add3_u32 v11, v17, v11, v14
	s_mov_b64 s[26:27], 0
	s_mov_b64 s[36:37], s[12:13]
                                        ; implicit-def: $sgpr28_sgpr29
                                        ; implicit-def: $sgpr30_sgpr31
                                        ; implicit-def: $sgpr0_sgpr1
                                        ; implicit-def: $sgpr34_sgpr35
                                        ; implicit-def: $sgpr38_sgpr39
	s_branch .LBB995_423
.LBB995_422:                            ;   in Loop: Header=BB995_423 Depth=1
	s_or_b64 exec, exec, s[40:41]
	s_and_b64 s[40:41], exec, s[30:31]
	s_or_b64 s[26:27], s[40:41], s[26:27]
	s_andn2_b64 s[38:39], s[38:39], exec
	s_and_b64 s[40:41], s[34:35], exec
	s_or_b64 s[38:39], s[38:39], s[40:41]
	s_andn2_b64 s[28:29], s[28:29], exec
	s_and_b64 s[40:41], s[0:1], exec
	s_or_b64 s[28:29], s[28:29], s[40:41]
	s_andn2_b64 exec, exec, s[26:27]
	s_cbranch_execz .LBB995_425
.LBB995_423:                            ; =>This Inner Loop Header: Depth=1
	global_load_ubyte v14, v[8:9], off
	global_load_ubyte v17, v[10:11], off
	s_andn2_b64 s[40:41], s[0:1], exec
	s_andn2_b64 s[34:35], s[34:35], exec
	s_or_b64 s[30:31], s[30:31], exec
	s_waitcnt vmcnt(1)
	v_cmp_eq_u16_e32 vcc, 0, v14
	s_waitcnt vmcnt(0)
	v_cmp_ne_u16_e64 s[0:1], 0, v17
	s_or_b64 s[44:45], vcc, s[0:1]
	s_and_b64 s[42:43], vcc, s[0:1]
	s_xor_b64 s[46:47], vcc, s[0:1]
	s_and_b64 s[0:1], s[44:45], s[38:39]
	s_or_b64 s[42:43], s[42:43], s[0:1]
	s_and_b64 s[0:1], s[42:43], exec
	s_or_b64 s[0:1], s[40:41], s[0:1]
	s_and_saveexec_b64 s[40:41], s[46:47]
	s_cbranch_execz .LBB995_422
; %bb.424:                              ;   in Loop: Header=BB995_423 Depth=1
	s_add_u32 s36, s36, -1
	s_addc_u32 s37, s37, -1
	v_add_co_u32_e32 v8, vcc, 1, v8
	s_cmp_eq_u64 s[36:37], 0
	v_addc_co_u32_e32 v9, vcc, 0, v9, vcc
	s_cselect_b64 s[38:39], -1, 0
	v_add_co_u32_e32 v10, vcc, 1, v10
	s_andn2_b64 s[34:35], s[34:35], exec
	s_and_b64 s[42:43], s[42:43], exec
	s_andn2_b64 s[30:31], s[30:31], exec
	s_and_b64 s[38:39], s[38:39], exec
	v_addc_co_u32_e32 v11, vcc, 0, v11, vcc
	s_or_b64 s[34:35], s[34:35], s[42:43]
	s_andn2_b64 s[0:1], s[0:1], exec
	s_or_b64 s[30:31], s[30:31], s[38:39]
                                        ; implicit-def: $sgpr38_sgpr39
	s_branch .LBB995_422
.LBB995_425:
	s_or_b64 exec, exec, s[26:27]
	v_cndmask_b32_e64 v9, v7, v15, s[28:29]
	v_cndmask_b32_e64 v8, v6, v16, s[28:29]
.LBB995_426:
	s_or_b64 exec, exec, s[24:25]
	v_pk_mov_b32 v[6:7], v[8:9], v[8:9] op_sel:[0,1]
.LBB995_427:
	s_or_b64 exec, exec, s[2:3]
.LBB995_428:
	s_or_b64 exec, exec, s[4:5]
	s_barrier
	s_barrier
	ds_write2_b64 v29, v[0:1], v[2:3] offset1:1
	ds_write2_b64 v29, v[4:5], v[6:7] offset0:2 offset1:3
	s_waitcnt lgkmcnt(0)
	s_barrier
	ds_read_b64 v[2:3], v28
	ds_read_b64 v[4:5], v30 offset:2048
	ds_read_b64 v[6:7], v31 offset:4096
	;; [unrolled: 1-line block ×3, first 2 shown]
	v_mov_b32_e32 v8, s17
	v_add_co_u32_e32 v9, vcc, s16, v22
	v_addc_co_u32_e32 v8, vcc, 0, v8, vcc
	s_waitcnt lgkmcnt(3)
	global_store_dwordx2 v22, v[2:3], s[16:17]
	s_waitcnt lgkmcnt(2)
	global_store_dwordx2 v22, v[4:5], s[16:17] offset:2048
	v_add_co_u32_e32 v2, vcc, 0x1000, v9
	v_addc_co_u32_e32 v3, vcc, 0, v8, vcc
	s_waitcnt lgkmcnt(1)
	global_store_dwordx2 v[2:3], v[6:7], off
	s_mov_b64 s[24:25], -1
	s_branch .LBB995_723
.LBB995_429:
	s_lshl_b64 s[0:1], s[20:21], 10
	s_sub_i32 s33, s22, s0
	v_cmp_gt_u32_e64 s[0:1], s33, v12
                                        ; implicit-def: $vgpr0_vgpr1_vgpr2_vgpr3_vgpr4_vgpr5_vgpr6_vgpr7
	s_and_saveexec_b64 s[2:3], s[0:1]
	s_cbranch_execz .LBB995_431
; %bb.430:
	s_waitcnt lgkmcnt(0)
	global_load_dwordx2 v[0:1], v22, s[8:9]
.LBB995_431:
	s_or_b64 exec, exec, s[2:3]
	v_add_u32_e32 v8, 0x100, v12
	v_cmp_gt_u32_e64 s[2:3], s33, v8
	s_and_saveexec_b64 s[4:5], s[2:3]
	s_cbranch_execz .LBB995_433
; %bb.432:
	global_load_dwordx2 v[2:3], v22, s[8:9] offset:2048
.LBB995_433:
	s_or_b64 exec, exec, s[4:5]
	v_add_u32_e32 v9, 0x200, v12
	v_cmp_gt_u32_e64 s[4:5], s33, v9
	s_and_saveexec_b64 s[20:21], s[4:5]
	s_cbranch_execz .LBB995_435
; %bb.434:
	v_lshlrev_b32_e32 v4, 3, v9
	global_load_dwordx2 v[4:5], v4, s[8:9]
.LBB995_435:
	s_or_b64 exec, exec, s[20:21]
	v_add_u32_e32 v10, 0x300, v12
	v_cmp_gt_u32_e64 s[24:25], s33, v10
	s_and_saveexec_b64 s[20:21], s[24:25]
	s_cbranch_execz .LBB995_437
; %bb.436:
	v_lshlrev_b32_e32 v6, 3, v10
	global_load_dwordx2 v[6:7], v6, s[8:9]
.LBB995_437:
	s_or_b64 exec, exec, s[20:21]
	v_and_b32_e32 v11, 0xf8, v27
	v_add_u32_e32 v14, v11, v22
	s_waitcnt vmcnt(0) lgkmcnt(0)
	ds_write_b64 v14, v[0:1]
	v_lshrrev_b32_e32 v0, 2, v8
	v_and_b32_e32 v0, 0x1f8, v0
	v_add_u32_e32 v13, v0, v22
	v_lshrrev_b32_e32 v0, 2, v9
	v_and_b32_e32 v0, 0x1f8, v0
	v_add_u32_e32 v15, v0, v22
	;; [unrolled: 3-line block ×3, first 2 shown]
	v_add_lshl_u32 v17, v26, v23, 3
	ds_write_b64 v13, v[2:3] offset:2048
	ds_write_b64 v15, v[4:5] offset:4096
	;; [unrolled: 1-line block ×3, first 2 shown]
	s_waitcnt lgkmcnt(0)
	s_barrier
	ds_read2_b64 v[0:3], v17 offset1:1
	ds_read2_b64 v[4:7], v17 offset0:2 offset1:3
	s_waitcnt lgkmcnt(0)
	s_barrier
	s_load_dword s7, s[10:11], 0xc
	v_mov_b32_e32 v8, 0
	s_mov_b64 s[22:23], 0
	s_waitcnt lgkmcnt(0)
	s_lshr_b32 s8, s7, 16
	s_cmp_lt_u32 s6, s18
	s_cselect_b32 s6, 12, 18
	s_add_u32 s6, s10, s6
	s_addc_u32 s7, s11, 0
	global_load_ushort v8, v8, s[6:7]
	v_mad_u32_u24 v9, v25, s8, v24
	v_cmp_gt_i64_e64 s[8:9], s[12:13], 0
	v_cmp_lt_i64_e64 s[18:19], s[12:13], 1
	s_waitcnt vmcnt(0)
	v_mul_lo_u32 v8, v9, v8
	v_add_lshl_u32 v18, v8, v12, 2
	v_sub_u32_e64 v19, s33, v18 clamp
	v_cmp_lt_u32_e32 vcc, 1, v19
	s_and_b64 s[10:11], vcc, s[8:9]
	s_and_saveexec_b64 s[20:21], s[10:11]
	s_cbranch_execz .LBB995_445
; %bb.438:
	v_pk_mov_b32 v[10:11], s[14:15], s[14:15] op_sel:[0,1]
	v_mad_u64_u32 v[8:9], s[6:7], v2, s12, v[10:11]
	v_mul_lo_u32 v20, v2, s13
	v_mul_lo_u32 v21, v3, s12
	v_add3_u32 v9, v21, v9, v20
	v_mad_u64_u32 v[10:11], s[6:7], v0, s12, v[10:11]
	v_mul_lo_u32 v20, v0, s13
	v_mul_lo_u32 v21, v1, s12
	v_add3_u32 v11, v21, v11, v20
	s_mov_b64 s[38:39], s[12:13]
                                        ; implicit-def: $sgpr26_sgpr27
                                        ; implicit-def: $sgpr28_sgpr29
                                        ; implicit-def: $sgpr34_sgpr35
                                        ; implicit-def: $sgpr30_sgpr31
                                        ; implicit-def: $sgpr36_sgpr37
                                        ; implicit-def: $sgpr40_sgpr41
	s_branch .LBB995_440
.LBB995_439:                            ;   in Loop: Header=BB995_440 Depth=1
	s_or_b64 exec, exec, s[42:43]
	s_and_b64 s[42:43], exec, s[34:35]
	s_or_b64 s[22:23], s[42:43], s[22:23]
	s_andn2_b64 s[40:41], s[40:41], exec
	s_and_b64 s[42:43], s[36:37], exec
	s_or_b64 s[40:41], s[40:41], s[42:43]
	s_andn2_b64 s[28:29], s[28:29], exec
	s_and_b64 s[42:43], s[30:31], exec
	s_andn2_b64 s[26:27], s[26:27], exec
	s_and_b64 s[6:7], s[6:7], exec
	s_or_b64 s[28:29], s[28:29], s[42:43]
	s_or_b64 s[26:27], s[26:27], s[6:7]
	s_andn2_b64 exec, exec, s[22:23]
	s_cbranch_execz .LBB995_442
.LBB995_440:                            ; =>This Inner Loop Header: Depth=1
	global_load_ubyte v20, v[8:9], off
	global_load_ubyte v21, v[10:11], off
	s_andn2_b64 s[36:37], s[36:37], exec
	s_or_b64 s[30:31], s[30:31], exec
	s_or_b64 s[34:35], s[34:35], exec
	s_waitcnt vmcnt(1)
	v_cmp_eq_u16_e32 vcc, 0, v20
	s_waitcnt vmcnt(0)
	v_cmp_ne_u16_e64 s[6:7], 0, v21
	s_or_b64 s[44:45], vcc, s[6:7]
	s_and_b64 s[42:43], vcc, s[6:7]
	s_xor_b64 s[46:47], vcc, s[6:7]
	s_and_b64 s[6:7], s[44:45], s[40:41]
	s_or_b64 s[6:7], s[42:43], s[6:7]
	s_and_saveexec_b64 s[42:43], s[46:47]
	s_cbranch_execz .LBB995_439
; %bb.441:                              ;   in Loop: Header=BB995_440 Depth=1
	s_add_u32 s38, s38, -1
	s_addc_u32 s39, s39, -1
	v_add_co_u32_e32 v8, vcc, 1, v8
	s_cmp_eq_u64 s[38:39], 0
	v_addc_co_u32_e32 v9, vcc, 0, v9, vcc
	s_cselect_b64 s[40:41], -1, 0
	v_add_co_u32_e32 v10, vcc, 1, v10
	s_andn2_b64 s[36:37], s[36:37], exec
	s_and_b64 s[44:45], s[6:7], exec
	s_andn2_b64 s[34:35], s[34:35], exec
	s_and_b64 s[40:41], s[40:41], exec
	v_addc_co_u32_e32 v11, vcc, 0, v11, vcc
	s_or_b64 s[36:37], s[36:37], s[44:45]
	s_andn2_b64 s[30:31], s[30:31], exec
	s_or_b64 s[34:35], s[34:35], s[40:41]
                                        ; implicit-def: $sgpr40_sgpr41
	s_branch .LBB995_439
.LBB995_442:
	s_or_b64 exec, exec, s[22:23]
	s_and_saveexec_b64 s[6:7], s[28:29]
	s_xor_b64 s[6:7], exec, s[6:7]
	s_cbranch_execz .LBB995_444
; %bb.443:
	v_cndmask_b32_e64 v25, v1, v3, s[26:27]
	v_cndmask_b32_e64 v24, v0, v2, s[26:27]
	;; [unrolled: 1-line block ×4, first 2 shown]
	v_mov_b32_e32 v28, v4
	v_mov_b32_e32 v29, v5
	;; [unrolled: 1-line block ×4, first 2 shown]
	v_pk_mov_b32 v[0:1], v[24:25], v[24:25] op_sel:[0,1]
	v_pk_mov_b32 v[2:3], v[26:27], v[26:27] op_sel:[0,1]
	;; [unrolled: 1-line block ×4, first 2 shown]
.LBB995_444:
	s_or_b64 exec, exec, s[6:7]
.LBB995_445:
	s_or_b64 exec, exec, s[20:21]
	v_cmp_lt_u32_e32 vcc, 3, v19
	s_xor_b64 s[20:21], s[18:19], -1
	s_and_b64 s[22:23], vcc, s[20:21]
	s_and_saveexec_b64 s[26:27], s[22:23]
	s_cbranch_execz .LBB995_453
; %bb.446:
	v_pk_mov_b32 v[10:11], s[14:15], s[14:15] op_sel:[0,1]
	v_mad_u64_u32 v[8:9], s[6:7], v6, s12, v[10:11]
	v_mul_lo_u32 v20, v6, s13
	v_mul_lo_u32 v21, v7, s12
	v_add3_u32 v9, v21, v9, v20
	v_mad_u64_u32 v[10:11], s[6:7], v4, s12, v[10:11]
	v_mul_lo_u32 v20, v4, s13
	v_mul_lo_u32 v21, v5, s12
	v_add3_u32 v11, v21, v11, v20
	s_mov_b64 s[30:31], 0
	s_mov_b64 s[42:43], s[12:13]
                                        ; implicit-def: $sgpr28_sgpr29
                                        ; implicit-def: $sgpr34_sgpr35
                                        ; implicit-def: $sgpr38_sgpr39
                                        ; implicit-def: $sgpr36_sgpr37
                                        ; implicit-def: $sgpr40_sgpr41
                                        ; implicit-def: $sgpr44_sgpr45
	s_branch .LBB995_448
.LBB995_447:                            ;   in Loop: Header=BB995_448 Depth=1
	s_or_b64 exec, exec, s[46:47]
	s_and_b64 s[46:47], exec, s[38:39]
	s_or_b64 s[30:31], s[46:47], s[30:31]
	s_andn2_b64 s[44:45], s[44:45], exec
	s_and_b64 s[46:47], s[40:41], exec
	s_or_b64 s[44:45], s[44:45], s[46:47]
	s_andn2_b64 s[34:35], s[34:35], exec
	s_and_b64 s[46:47], s[36:37], exec
	s_andn2_b64 s[28:29], s[28:29], exec
	s_and_b64 s[6:7], s[6:7], exec
	s_or_b64 s[34:35], s[34:35], s[46:47]
	s_or_b64 s[28:29], s[28:29], s[6:7]
	s_andn2_b64 exec, exec, s[30:31]
	s_cbranch_execz .LBB995_450
.LBB995_448:                            ; =>This Inner Loop Header: Depth=1
	global_load_ubyte v20, v[8:9], off
	global_load_ubyte v21, v[10:11], off
	s_andn2_b64 s[40:41], s[40:41], exec
	s_or_b64 s[36:37], s[36:37], exec
	s_or_b64 s[38:39], s[38:39], exec
	s_waitcnt vmcnt(1)
	v_cmp_eq_u16_e32 vcc, 0, v20
	s_waitcnt vmcnt(0)
	v_cmp_ne_u16_e64 s[6:7], 0, v21
	s_or_b64 s[48:49], vcc, s[6:7]
	s_and_b64 s[46:47], vcc, s[6:7]
	s_xor_b64 s[50:51], vcc, s[6:7]
	s_and_b64 s[6:7], s[48:49], s[44:45]
	s_or_b64 s[6:7], s[46:47], s[6:7]
	s_and_saveexec_b64 s[46:47], s[50:51]
	s_cbranch_execz .LBB995_447
; %bb.449:                              ;   in Loop: Header=BB995_448 Depth=1
	s_add_u32 s42, s42, -1
	s_addc_u32 s43, s43, -1
	v_add_co_u32_e32 v8, vcc, 1, v8
	s_cmp_eq_u64 s[42:43], 0
	v_addc_co_u32_e32 v9, vcc, 0, v9, vcc
	s_cselect_b64 s[44:45], -1, 0
	v_add_co_u32_e32 v10, vcc, 1, v10
	s_andn2_b64 s[40:41], s[40:41], exec
	s_and_b64 s[48:49], s[6:7], exec
	s_andn2_b64 s[38:39], s[38:39], exec
	s_and_b64 s[44:45], s[44:45], exec
	v_addc_co_u32_e32 v11, vcc, 0, v11, vcc
	s_or_b64 s[40:41], s[40:41], s[48:49]
	s_andn2_b64 s[36:37], s[36:37], exec
	s_or_b64 s[38:39], s[38:39], s[44:45]
                                        ; implicit-def: $sgpr44_sgpr45
	s_branch .LBB995_447
.LBB995_450:
	s_or_b64 exec, exec, s[30:31]
	s_and_saveexec_b64 s[6:7], s[34:35]
	s_xor_b64 s[6:7], exec, s[6:7]
; %bb.451:
	v_cndmask_b32_e64 v8, v7, v5, s[28:29]
	v_cndmask_b32_e64 v9, v6, v4, s[28:29]
	v_cndmask_b32_e64 v5, v5, v7, s[28:29]
	v_cndmask_b32_e64 v4, v4, v6, s[28:29]
	v_mov_b32_e32 v6, v9
	v_mov_b32_e32 v7, v8
; %bb.452:
	s_or_b64 exec, exec, s[6:7]
.LBB995_453:
	s_or_b64 exec, exec, s[26:27]
	v_cmp_lt_u32_e32 vcc, 2, v19
	s_and_b64 s[26:27], vcc, s[20:21]
	s_and_saveexec_b64 s[6:7], s[26:27]
	s_xor_b64 s[28:29], exec, s[6:7]
	s_cbranch_execnz .LBB995_457
; %bb.454:
	s_or_b64 exec, exec, s[28:29]
	s_and_saveexec_b64 s[28:29], s[10:11]
	s_cbranch_execnz .LBB995_464
.LBB995_455:
	s_or_b64 exec, exec, s[28:29]
	s_and_saveexec_b64 s[10:11], s[22:23]
	s_cbranch_execnz .LBB995_471
.LBB995_456:
	s_or_b64 exec, exec, s[10:11]
	s_and_saveexec_b64 s[10:11], s[26:27]
	s_cbranch_execnz .LBB995_478
	s_branch .LBB995_485
.LBB995_457:
	v_pk_mov_b32 v[10:11], s[14:15], s[14:15] op_sel:[0,1]
	v_mad_u64_u32 v[8:9], s[6:7], v4, s12, v[10:11]
	v_mul_lo_u32 v19, v4, s13
	v_mul_lo_u32 v20, v5, s12
	v_add3_u32 v9, v20, v9, v19
	v_mad_u64_u32 v[10:11], s[6:7], v2, s12, v[10:11]
	v_mul_lo_u32 v19, v2, s13
	v_mul_lo_u32 v20, v3, s12
	v_add3_u32 v11, v20, v11, v19
	s_mov_b64 s[34:35], 0
	s_mov_b64 s[44:45], s[12:13]
                                        ; implicit-def: $sgpr30_sgpr31
                                        ; implicit-def: $sgpr36_sgpr37
                                        ; implicit-def: $sgpr40_sgpr41
                                        ; implicit-def: $sgpr38_sgpr39
                                        ; implicit-def: $sgpr42_sgpr43
                                        ; implicit-def: $sgpr46_sgpr47
	s_branch .LBB995_459
.LBB995_458:                            ;   in Loop: Header=BB995_459 Depth=1
	s_or_b64 exec, exec, s[48:49]
	s_and_b64 s[48:49], exec, s[40:41]
	s_or_b64 s[34:35], s[48:49], s[34:35]
	s_andn2_b64 s[46:47], s[46:47], exec
	s_and_b64 s[48:49], s[42:43], exec
	s_or_b64 s[46:47], s[46:47], s[48:49]
	s_andn2_b64 s[36:37], s[36:37], exec
	s_and_b64 s[48:49], s[38:39], exec
	s_andn2_b64 s[30:31], s[30:31], exec
	s_and_b64 s[6:7], s[6:7], exec
	s_or_b64 s[36:37], s[36:37], s[48:49]
	s_or_b64 s[30:31], s[30:31], s[6:7]
	s_andn2_b64 exec, exec, s[34:35]
	s_cbranch_execz .LBB995_461
.LBB995_459:                            ; =>This Inner Loop Header: Depth=1
	global_load_ubyte v19, v[8:9], off
	global_load_ubyte v20, v[10:11], off
	s_andn2_b64 s[42:43], s[42:43], exec
	s_or_b64 s[38:39], s[38:39], exec
	s_or_b64 s[40:41], s[40:41], exec
	s_waitcnt vmcnt(1)
	v_cmp_eq_u16_e32 vcc, 0, v19
	s_waitcnt vmcnt(0)
	v_cmp_ne_u16_e64 s[6:7], 0, v20
	s_or_b64 s[50:51], vcc, s[6:7]
	s_and_b64 s[48:49], vcc, s[6:7]
	s_xor_b64 s[52:53], vcc, s[6:7]
	s_and_b64 s[6:7], s[50:51], s[46:47]
	s_or_b64 s[6:7], s[48:49], s[6:7]
	s_and_saveexec_b64 s[48:49], s[52:53]
	s_cbranch_execz .LBB995_458
; %bb.460:                              ;   in Loop: Header=BB995_459 Depth=1
	s_add_u32 s44, s44, -1
	s_addc_u32 s45, s45, -1
	v_add_co_u32_e32 v8, vcc, 1, v8
	s_cmp_eq_u64 s[44:45], 0
	v_addc_co_u32_e32 v9, vcc, 0, v9, vcc
	s_cselect_b64 s[46:47], -1, 0
	v_add_co_u32_e32 v10, vcc, 1, v10
	s_andn2_b64 s[42:43], s[42:43], exec
	s_and_b64 s[50:51], s[6:7], exec
	s_andn2_b64 s[40:41], s[40:41], exec
	s_and_b64 s[46:47], s[46:47], exec
	v_addc_co_u32_e32 v11, vcc, 0, v11, vcc
	s_or_b64 s[42:43], s[42:43], s[50:51]
	s_andn2_b64 s[38:39], s[38:39], exec
	s_or_b64 s[40:41], s[40:41], s[46:47]
                                        ; implicit-def: $sgpr46_sgpr47
	s_branch .LBB995_458
.LBB995_461:
	s_or_b64 exec, exec, s[34:35]
	s_and_saveexec_b64 s[6:7], s[36:37]
	s_xor_b64 s[6:7], exec, s[6:7]
; %bb.462:
	v_cndmask_b32_e64 v8, v5, v3, s[30:31]
	v_cndmask_b32_e64 v9, v4, v2, s[30:31]
	;; [unrolled: 1-line block ×4, first 2 shown]
	v_mov_b32_e32 v4, v9
	v_mov_b32_e32 v5, v8
; %bb.463:
	s_or_b64 exec, exec, s[6:7]
	s_or_b64 exec, exec, s[28:29]
	s_and_saveexec_b64 s[28:29], s[10:11]
	s_cbranch_execz .LBB995_455
.LBB995_464:
	v_pk_mov_b32 v[10:11], s[14:15], s[14:15] op_sel:[0,1]
	v_mad_u64_u32 v[8:9], s[6:7], v2, s12, v[10:11]
	v_mul_lo_u32 v19, v2, s13
	v_mul_lo_u32 v20, v3, s12
	v_add3_u32 v9, v20, v9, v19
	v_mad_u64_u32 v[10:11], s[6:7], v0, s12, v[10:11]
	v_mul_lo_u32 v19, v0, s13
	v_mul_lo_u32 v20, v1, s12
	v_add3_u32 v11, v20, v11, v19
	s_mov_b64 s[30:31], 0
	s_mov_b64 s[42:43], s[12:13]
                                        ; implicit-def: $sgpr10_sgpr11
                                        ; implicit-def: $sgpr34_sgpr35
                                        ; implicit-def: $sgpr38_sgpr39
                                        ; implicit-def: $sgpr36_sgpr37
                                        ; implicit-def: $sgpr40_sgpr41
                                        ; implicit-def: $sgpr44_sgpr45
	s_branch .LBB995_466
.LBB995_465:                            ;   in Loop: Header=BB995_466 Depth=1
	s_or_b64 exec, exec, s[46:47]
	s_and_b64 s[46:47], exec, s[38:39]
	s_or_b64 s[30:31], s[46:47], s[30:31]
	s_andn2_b64 s[44:45], s[44:45], exec
	s_and_b64 s[46:47], s[40:41], exec
	s_or_b64 s[44:45], s[44:45], s[46:47]
	s_andn2_b64 s[34:35], s[34:35], exec
	s_and_b64 s[46:47], s[36:37], exec
	s_andn2_b64 s[10:11], s[10:11], exec
	s_and_b64 s[6:7], s[6:7], exec
	s_or_b64 s[34:35], s[34:35], s[46:47]
	s_or_b64 s[10:11], s[10:11], s[6:7]
	s_andn2_b64 exec, exec, s[30:31]
	s_cbranch_execz .LBB995_468
.LBB995_466:                            ; =>This Inner Loop Header: Depth=1
	global_load_ubyte v19, v[8:9], off
	global_load_ubyte v20, v[10:11], off
	s_andn2_b64 s[40:41], s[40:41], exec
	s_or_b64 s[36:37], s[36:37], exec
	s_or_b64 s[38:39], s[38:39], exec
	s_waitcnt vmcnt(1)
	v_cmp_eq_u16_e32 vcc, 0, v19
	s_waitcnt vmcnt(0)
	v_cmp_ne_u16_e64 s[6:7], 0, v20
	s_or_b64 s[48:49], vcc, s[6:7]
	s_and_b64 s[46:47], vcc, s[6:7]
	s_xor_b64 s[50:51], vcc, s[6:7]
	s_and_b64 s[6:7], s[48:49], s[44:45]
	s_or_b64 s[6:7], s[46:47], s[6:7]
	s_and_saveexec_b64 s[46:47], s[50:51]
	s_cbranch_execz .LBB995_465
; %bb.467:                              ;   in Loop: Header=BB995_466 Depth=1
	s_add_u32 s42, s42, -1
	s_addc_u32 s43, s43, -1
	v_add_co_u32_e32 v8, vcc, 1, v8
	s_cmp_eq_u64 s[42:43], 0
	v_addc_co_u32_e32 v9, vcc, 0, v9, vcc
	s_cselect_b64 s[44:45], -1, 0
	v_add_co_u32_e32 v10, vcc, 1, v10
	s_andn2_b64 s[40:41], s[40:41], exec
	s_and_b64 s[48:49], s[6:7], exec
	s_andn2_b64 s[38:39], s[38:39], exec
	s_and_b64 s[44:45], s[44:45], exec
	v_addc_co_u32_e32 v11, vcc, 0, v11, vcc
	s_or_b64 s[40:41], s[40:41], s[48:49]
	s_andn2_b64 s[36:37], s[36:37], exec
	s_or_b64 s[38:39], s[38:39], s[44:45]
                                        ; implicit-def: $sgpr44_sgpr45
	s_branch .LBB995_465
.LBB995_468:
	s_or_b64 exec, exec, s[30:31]
	s_and_saveexec_b64 s[6:7], s[34:35]
	s_xor_b64 s[6:7], exec, s[6:7]
	s_cbranch_execz .LBB995_470
; %bb.469:
	v_cndmask_b32_e64 v25, v1, v3, s[10:11]
	v_cndmask_b32_e64 v24, v0, v2, s[10:11]
	;; [unrolled: 1-line block ×4, first 2 shown]
	v_mov_b32_e32 v28, v4
	v_mov_b32_e32 v29, v5
	;; [unrolled: 1-line block ×4, first 2 shown]
	v_pk_mov_b32 v[0:1], v[24:25], v[24:25] op_sel:[0,1]
	v_pk_mov_b32 v[2:3], v[26:27], v[26:27] op_sel:[0,1]
	;; [unrolled: 1-line block ×4, first 2 shown]
.LBB995_470:
	s_or_b64 exec, exec, s[6:7]
	s_or_b64 exec, exec, s[28:29]
	s_and_saveexec_b64 s[10:11], s[22:23]
	s_cbranch_execz .LBB995_456
.LBB995_471:
	v_pk_mov_b32 v[10:11], s[14:15], s[14:15] op_sel:[0,1]
	v_mad_u64_u32 v[8:9], s[6:7], v6, s12, v[10:11]
	v_mul_lo_u32 v19, v6, s13
	v_mul_lo_u32 v20, v7, s12
	v_add3_u32 v9, v20, v9, v19
	v_mad_u64_u32 v[10:11], s[6:7], v4, s12, v[10:11]
	v_mul_lo_u32 v19, v4, s13
	v_mul_lo_u32 v20, v5, s12
	v_add3_u32 v11, v20, v11, v19
	s_mov_b64 s[28:29], 0
	s_mov_b64 s[40:41], s[12:13]
                                        ; implicit-def: $sgpr22_sgpr23
                                        ; implicit-def: $sgpr30_sgpr31
                                        ; implicit-def: $sgpr36_sgpr37
                                        ; implicit-def: $sgpr34_sgpr35
                                        ; implicit-def: $sgpr38_sgpr39
                                        ; implicit-def: $sgpr42_sgpr43
	s_branch .LBB995_473
.LBB995_472:                            ;   in Loop: Header=BB995_473 Depth=1
	s_or_b64 exec, exec, s[44:45]
	s_and_b64 s[44:45], exec, s[36:37]
	s_or_b64 s[28:29], s[44:45], s[28:29]
	s_andn2_b64 s[42:43], s[42:43], exec
	s_and_b64 s[44:45], s[38:39], exec
	s_or_b64 s[42:43], s[42:43], s[44:45]
	s_andn2_b64 s[30:31], s[30:31], exec
	s_and_b64 s[44:45], s[34:35], exec
	s_andn2_b64 s[22:23], s[22:23], exec
	s_and_b64 s[6:7], s[6:7], exec
	s_or_b64 s[30:31], s[30:31], s[44:45]
	s_or_b64 s[22:23], s[22:23], s[6:7]
	s_andn2_b64 exec, exec, s[28:29]
	s_cbranch_execz .LBB995_475
.LBB995_473:                            ; =>This Inner Loop Header: Depth=1
	global_load_ubyte v19, v[8:9], off
	global_load_ubyte v20, v[10:11], off
	s_andn2_b64 s[38:39], s[38:39], exec
	s_or_b64 s[34:35], s[34:35], exec
	s_or_b64 s[36:37], s[36:37], exec
	s_waitcnt vmcnt(1)
	v_cmp_eq_u16_e32 vcc, 0, v19
	s_waitcnt vmcnt(0)
	v_cmp_ne_u16_e64 s[6:7], 0, v20
	s_or_b64 s[46:47], vcc, s[6:7]
	s_and_b64 s[44:45], vcc, s[6:7]
	s_xor_b64 s[48:49], vcc, s[6:7]
	s_and_b64 s[6:7], s[46:47], s[42:43]
	s_or_b64 s[6:7], s[44:45], s[6:7]
	s_and_saveexec_b64 s[44:45], s[48:49]
	s_cbranch_execz .LBB995_472
; %bb.474:                              ;   in Loop: Header=BB995_473 Depth=1
	s_add_u32 s40, s40, -1
	s_addc_u32 s41, s41, -1
	v_add_co_u32_e32 v8, vcc, 1, v8
	s_cmp_eq_u64 s[40:41], 0
	v_addc_co_u32_e32 v9, vcc, 0, v9, vcc
	s_cselect_b64 s[42:43], -1, 0
	v_add_co_u32_e32 v10, vcc, 1, v10
	s_andn2_b64 s[38:39], s[38:39], exec
	s_and_b64 s[46:47], s[6:7], exec
	s_andn2_b64 s[36:37], s[36:37], exec
	s_and_b64 s[42:43], s[42:43], exec
	v_addc_co_u32_e32 v11, vcc, 0, v11, vcc
	s_or_b64 s[38:39], s[38:39], s[46:47]
	s_andn2_b64 s[34:35], s[34:35], exec
	s_or_b64 s[36:37], s[36:37], s[42:43]
                                        ; implicit-def: $sgpr42_sgpr43
	s_branch .LBB995_472
.LBB995_475:
	s_or_b64 exec, exec, s[28:29]
	s_and_saveexec_b64 s[6:7], s[30:31]
	s_xor_b64 s[6:7], exec, s[6:7]
; %bb.476:
	v_cndmask_b32_e64 v8, v7, v5, s[22:23]
	v_cndmask_b32_e64 v9, v6, v4, s[22:23]
	;; [unrolled: 1-line block ×4, first 2 shown]
	v_mov_b32_e32 v6, v9
	v_mov_b32_e32 v7, v8
; %bb.477:
	s_or_b64 exec, exec, s[6:7]
	s_or_b64 exec, exec, s[10:11]
	s_and_saveexec_b64 s[10:11], s[26:27]
	s_cbranch_execz .LBB995_485
.LBB995_478:
	v_pk_mov_b32 v[10:11], s[14:15], s[14:15] op_sel:[0,1]
	v_mad_u64_u32 v[8:9], s[6:7], v4, s12, v[10:11]
	v_mul_lo_u32 v19, v4, s13
	v_mul_lo_u32 v20, v5, s12
	v_add3_u32 v9, v20, v9, v19
	v_mad_u64_u32 v[10:11], s[6:7], v2, s12, v[10:11]
	v_mul_lo_u32 v19, v2, s13
	v_mul_lo_u32 v20, v3, s12
	v_add3_u32 v11, v20, v11, v19
	s_mov_b64 s[26:27], 0
	s_mov_b64 s[38:39], s[12:13]
                                        ; implicit-def: $sgpr22_sgpr23
                                        ; implicit-def: $sgpr28_sgpr29
                                        ; implicit-def: $sgpr34_sgpr35
                                        ; implicit-def: $sgpr30_sgpr31
                                        ; implicit-def: $sgpr36_sgpr37
                                        ; implicit-def: $sgpr40_sgpr41
	s_branch .LBB995_480
.LBB995_479:                            ;   in Loop: Header=BB995_480 Depth=1
	s_or_b64 exec, exec, s[42:43]
	s_and_b64 s[42:43], exec, s[34:35]
	s_or_b64 s[26:27], s[42:43], s[26:27]
	s_andn2_b64 s[40:41], s[40:41], exec
	s_and_b64 s[42:43], s[36:37], exec
	s_or_b64 s[40:41], s[40:41], s[42:43]
	s_andn2_b64 s[28:29], s[28:29], exec
	s_and_b64 s[42:43], s[30:31], exec
	s_andn2_b64 s[22:23], s[22:23], exec
	s_and_b64 s[6:7], s[6:7], exec
	s_or_b64 s[28:29], s[28:29], s[42:43]
	s_or_b64 s[22:23], s[22:23], s[6:7]
	s_andn2_b64 exec, exec, s[26:27]
	s_cbranch_execz .LBB995_482
.LBB995_480:                            ; =>This Inner Loop Header: Depth=1
	global_load_ubyte v19, v[8:9], off
	global_load_ubyte v20, v[10:11], off
	s_andn2_b64 s[36:37], s[36:37], exec
	s_or_b64 s[30:31], s[30:31], exec
	s_or_b64 s[34:35], s[34:35], exec
	s_waitcnt vmcnt(1)
	v_cmp_eq_u16_e32 vcc, 0, v19
	s_waitcnt vmcnt(0)
	v_cmp_ne_u16_e64 s[6:7], 0, v20
	s_or_b64 s[44:45], vcc, s[6:7]
	s_and_b64 s[42:43], vcc, s[6:7]
	s_xor_b64 s[46:47], vcc, s[6:7]
	s_and_b64 s[6:7], s[44:45], s[40:41]
	s_or_b64 s[6:7], s[42:43], s[6:7]
	s_and_saveexec_b64 s[42:43], s[46:47]
	s_cbranch_execz .LBB995_479
; %bb.481:                              ;   in Loop: Header=BB995_480 Depth=1
	s_add_u32 s38, s38, -1
	s_addc_u32 s39, s39, -1
	v_add_co_u32_e32 v8, vcc, 1, v8
	s_cmp_eq_u64 s[38:39], 0
	v_addc_co_u32_e32 v9, vcc, 0, v9, vcc
	s_cselect_b64 s[40:41], -1, 0
	v_add_co_u32_e32 v10, vcc, 1, v10
	s_andn2_b64 s[36:37], s[36:37], exec
	s_and_b64 s[44:45], s[6:7], exec
	s_andn2_b64 s[34:35], s[34:35], exec
	s_and_b64 s[40:41], s[40:41], exec
	v_addc_co_u32_e32 v11, vcc, 0, v11, vcc
	s_or_b64 s[36:37], s[36:37], s[44:45]
	s_andn2_b64 s[30:31], s[30:31], exec
	s_or_b64 s[34:35], s[34:35], s[40:41]
                                        ; implicit-def: $sgpr40_sgpr41
	s_branch .LBB995_479
.LBB995_482:
	s_or_b64 exec, exec, s[26:27]
	s_and_saveexec_b64 s[6:7], s[28:29]
	s_xor_b64 s[6:7], exec, s[6:7]
; %bb.483:
	v_cndmask_b32_e64 v8, v5, v3, s[22:23]
	v_cndmask_b32_e64 v9, v4, v2, s[22:23]
	;; [unrolled: 1-line block ×4, first 2 shown]
	v_mov_b32_e32 v4, v9
	v_mov_b32_e32 v5, v8
; %bb.484:
	s_or_b64 exec, exec, s[6:7]
.LBB995_485:
	s_or_b64 exec, exec, s[10:11]
	v_mbcnt_lo_u32_b32 v8, -1, 0
	v_mbcnt_hi_u32_b32 v8, -1, v8
	v_and_b32_e32 v9, 0xffffff00, v18
	v_lshlrev_b32_e32 v18, 3, v9
	v_lshlrev_b32_e32 v20, 2, v8
	v_sub_u32_e64 v19, s33, v9 clamp
	v_lshl_add_u32 v21, v8, 5, v18
	v_or_b32_e32 v8, 4, v20
	v_min_u32_e32 v24, v19, v8
	v_add_u32_e32 v8, 4, v24
	v_and_b32_e32 v28, 0x1f8, v20
	v_min_u32_e32 v25, v19, v8
	v_and_b32_e32 v8, 4, v20
	v_min_u32_e32 v29, v19, v8
	v_sub_u32_e32 v8, v24, v28
	v_sub_u32_e32 v9, v25, v24
	v_sub_u32_e64 v27, v29, v9 clamp
	v_min_u32_e32 v30, v29, v8
	v_cndmask_b32_e64 v8, 0, 1, s[8:9]
	v_lshl_add_u32 v26, v28, 3, v18
	v_cmp_lt_u32_e32 vcc, v27, v30
	v_cmp_ne_u32_e64 s[6:7], 1, v8
	ds_write_b128 v21, v[0:3]
	ds_write_b128 v21, v[4:7] offset:16
	; wave barrier
	s_and_saveexec_b64 s[10:11], vcc
	s_cbranch_execz .LBB995_495
; %bb.486:
	v_lshlrev_b32_e32 v8, 3, v24
	v_lshlrev_b32_e32 v9, 3, v29
	v_add3_u32 v31, v18, v8, v9
	s_mov_b64 s[22:23], 0
	s_branch .LBB995_489
.LBB995_487:                            ;   in Loop: Header=BB995_489 Depth=1
	s_or_b64 exec, exec, s[28:29]
.LBB995_488:                            ;   in Loop: Header=BB995_489 Depth=1
	v_add_u32_e32 v8, 1, v32
	v_cndmask_b32_e64 v30, v30, v32, s[26:27]
	v_cndmask_b32_e64 v27, v8, v27, s[26:27]
	v_cmp_ge_u32_e32 vcc, v27, v30
	s_or_b64 s[22:23], vcc, s[22:23]
	s_andn2_b64 exec, exec, s[22:23]
	s_cbranch_execz .LBB995_494
.LBB995_489:                            ; =>This Loop Header: Depth=1
                                        ;     Child Loop BB995_492 Depth 2
	v_add_u32_e32 v8, v30, v27
	v_lshrrev_b32_e32 v32, 1, v8
	s_and_b64 vcc, exec, s[6:7]
	s_mov_b64 s[26:27], 0
	s_cbranch_vccnz .LBB995_488
; %bb.490:                              ;   in Loop: Header=BB995_489 Depth=1
	v_not_b32_e32 v8, v32
	v_lshl_add_u32 v8, v8, 3, v31
	ds_read_b64 v[8:9], v8
	v_lshl_add_u32 v33, v32, 3, v26
	ds_read_b64 v[34:35], v33
	v_pk_mov_b32 v[10:11], s[14:15], s[14:15] op_sel:[0,1]
	s_mov_b64 s[28:29], 0
	s_waitcnt lgkmcnt(1)
	v_mul_lo_u32 v33, v8, s13
	v_mul_lo_u32 v36, v9, s12
	v_mad_u64_u32 v[8:9], s[8:9], v8, s12, v[10:11]
	v_add3_u32 v9, v36, v9, v33
	s_waitcnt lgkmcnt(0)
	v_mul_lo_u32 v33, v34, s13
	v_mul_lo_u32 v35, v35, s12
	v_mad_u64_u32 v[10:11], s[8:9], v34, s12, v[10:11]
	v_add3_u32 v11, v35, v11, v33
	s_mov_b64 s[36:37], s[12:13]
                                        ; implicit-def: $sgpr26_sgpr27
                                        ; implicit-def: $sgpr30_sgpr31
                                        ; implicit-def: $sgpr34_sgpr35
                                        ; implicit-def: $sgpr8_sgpr9
                                        ; implicit-def: $sgpr38_sgpr39
	s_branch .LBB995_492
.LBB995_491:                            ;   in Loop: Header=BB995_492 Depth=2
	s_or_b64 exec, exec, s[40:41]
	s_and_b64 s[40:41], exec, s[30:31]
	s_or_b64 s[28:29], s[40:41], s[28:29]
	s_andn2_b64 s[38:39], s[38:39], exec
	s_and_b64 s[40:41], s[34:35], exec
	s_or_b64 s[38:39], s[38:39], s[40:41]
	s_andn2_b64 s[26:27], s[26:27], exec
	s_and_b64 s[40:41], s[8:9], exec
	s_or_b64 s[26:27], s[26:27], s[40:41]
	s_andn2_b64 exec, exec, s[28:29]
	s_cbranch_execz .LBB995_487
.LBB995_492:                            ;   Parent Loop BB995_489 Depth=1
                                        ; =>  This Inner Loop Header: Depth=2
	global_load_ubyte v33, v[8:9], off
	global_load_ubyte v34, v[10:11], off
	s_andn2_b64 s[40:41], s[8:9], exec
	s_andn2_b64 s[34:35], s[34:35], exec
	s_or_b64 s[30:31], s[30:31], exec
	s_waitcnt vmcnt(1)
	v_cmp_eq_u16_e32 vcc, 0, v33
	s_waitcnt vmcnt(0)
	v_cmp_ne_u16_e64 s[8:9], 0, v34
	s_or_b64 s[44:45], vcc, s[8:9]
	s_and_b64 s[42:43], vcc, s[8:9]
	s_xor_b64 s[46:47], vcc, s[8:9]
	s_and_b64 s[8:9], s[44:45], s[38:39]
	s_or_b64 s[42:43], s[42:43], s[8:9]
	s_and_b64 s[8:9], s[42:43], exec
	s_or_b64 s[8:9], s[40:41], s[8:9]
	s_and_saveexec_b64 s[40:41], s[46:47]
	s_cbranch_execz .LBB995_491
; %bb.493:                              ;   in Loop: Header=BB995_492 Depth=2
	s_add_u32 s36, s36, -1
	s_addc_u32 s37, s37, -1
	v_add_co_u32_e32 v8, vcc, 1, v8
	s_cmp_eq_u64 s[36:37], 0
	v_addc_co_u32_e32 v9, vcc, 0, v9, vcc
	s_cselect_b64 s[38:39], -1, 0
	v_add_co_u32_e32 v10, vcc, 1, v10
	s_andn2_b64 s[34:35], s[34:35], exec
	s_and_b64 s[42:43], s[42:43], exec
	s_andn2_b64 s[30:31], s[30:31], exec
	s_and_b64 s[38:39], s[38:39], exec
	v_addc_co_u32_e32 v11, vcc, 0, v11, vcc
	s_andn2_b64 s[8:9], s[8:9], exec
	s_or_b64 s[34:35], s[34:35], s[42:43]
	s_or_b64 s[30:31], s[30:31], s[38:39]
                                        ; implicit-def: $sgpr38_sgpr39
	s_branch .LBB995_491
.LBB995_494:
	s_or_b64 exec, exec, s[22:23]
.LBB995_495:
	s_or_b64 exec, exec, s[10:11]
	v_add_u32_e32 v9, v24, v29
	v_add_u32_e32 v8, v27, v28
	v_sub_u32_e32 v9, v9, v27
	v_cmp_le_u32_e32 vcc, v8, v24
	v_cmp_le_u32_e64 s[8:9], v9, v25
	s_or_b64 s[8:9], vcc, s[8:9]
	s_and_saveexec_b64 s[22:23], s[8:9]
	s_cbranch_execz .LBB995_531
; %bb.496:
	v_cmp_ge_u32_e32 vcc, v8, v24
	v_cmp_lt_u32_e64 s[8:9], v8, v24
                                        ; implicit-def: $vgpr0_vgpr1
	s_and_saveexec_b64 s[10:11], s[8:9]
	s_cbranch_execz .LBB995_498
; %bb.497:
	v_lshl_add_u32 v0, v27, 3, v26
	ds_read_b64 v[0:1], v0
.LBB995_498:
	s_or_b64 exec, exec, s[10:11]
	v_cmp_ge_u32_e64 s[8:9], v9, v25
	v_cmp_lt_u32_e64 s[10:11], v9, v25
                                        ; implicit-def: $vgpr2_vgpr3
	s_and_saveexec_b64 s[26:27], s[10:11]
	s_cbranch_execz .LBB995_500
; %bb.499:
	v_lshl_add_u32 v2, v9, 3, v18
	ds_read_b64 v[2:3], v2
.LBB995_500:
	s_or_b64 exec, exec, s[26:27]
	s_or_b64 s[10:11], vcc, s[8:9]
	s_or_b64 s[10:11], s[10:11], s[18:19]
	s_xor_b64 s[28:29], s[10:11], -1
	s_xor_b64 s[10:11], vcc, -1
	s_or_b64 s[10:11], s[8:9], s[10:11]
	s_and_saveexec_b64 s[26:27], s[28:29]
	s_cbranch_execz .LBB995_506
; %bb.501:
	v_pk_mov_b32 v[6:7], s[14:15], s[14:15] op_sel:[0,1]
	s_waitcnt lgkmcnt(0)
	v_mad_u64_u32 v[4:5], s[8:9], v2, s12, v[6:7]
	v_mul_lo_u32 v10, v2, s13
	v_mul_lo_u32 v11, v3, s12
	v_add3_u32 v5, v11, v5, v10
	v_mad_u64_u32 v[6:7], s[8:9], v0, s12, v[6:7]
	v_mul_lo_u32 v10, v0, s13
	v_mul_lo_u32 v11, v1, s12
	v_add3_u32 v7, v11, v7, v10
	s_mov_b64 s[28:29], 0
	s_mov_b64 s[38:39], s[12:13]
                                        ; implicit-def: $sgpr30_sgpr31
                                        ; implicit-def: $sgpr34_sgpr35
                                        ; implicit-def: $sgpr8_sgpr9
                                        ; implicit-def: $sgpr36_sgpr37
                                        ; implicit-def: $sgpr40_sgpr41
	s_branch .LBB995_503
.LBB995_502:                            ;   in Loop: Header=BB995_503 Depth=1
	s_or_b64 exec, exec, s[42:43]
	s_and_b64 s[42:43], exec, s[34:35]
	s_or_b64 s[28:29], s[42:43], s[28:29]
	s_andn2_b64 s[40:41], s[40:41], exec
	s_and_b64 s[42:43], s[36:37], exec
	s_or_b64 s[40:41], s[40:41], s[42:43]
	s_andn2_b64 s[30:31], s[30:31], exec
	s_and_b64 s[42:43], s[8:9], exec
	s_or_b64 s[30:31], s[30:31], s[42:43]
	s_andn2_b64 exec, exec, s[28:29]
	s_cbranch_execz .LBB995_505
.LBB995_503:                            ; =>This Inner Loop Header: Depth=1
	global_load_ubyte v10, v[4:5], off
	global_load_ubyte v11, v[6:7], off
	s_andn2_b64 s[42:43], s[8:9], exec
	s_andn2_b64 s[36:37], s[36:37], exec
	s_or_b64 s[34:35], s[34:35], exec
	s_waitcnt vmcnt(1)
	v_cmp_eq_u16_e32 vcc, 0, v10
	s_waitcnt vmcnt(0)
	v_cmp_ne_u16_e64 s[8:9], 0, v11
	s_or_b64 s[46:47], vcc, s[8:9]
	s_and_b64 s[44:45], vcc, s[8:9]
	s_xor_b64 s[48:49], vcc, s[8:9]
	s_and_b64 s[8:9], s[46:47], s[40:41]
	s_or_b64 s[44:45], s[44:45], s[8:9]
	s_and_b64 s[8:9], s[44:45], exec
	s_or_b64 s[8:9], s[42:43], s[8:9]
	s_and_saveexec_b64 s[42:43], s[48:49]
	s_cbranch_execz .LBB995_502
; %bb.504:                              ;   in Loop: Header=BB995_503 Depth=1
	s_add_u32 s38, s38, -1
	s_addc_u32 s39, s39, -1
	v_add_co_u32_e32 v4, vcc, 1, v4
	s_cmp_eq_u64 s[38:39], 0
	v_addc_co_u32_e32 v5, vcc, 0, v5, vcc
	s_cselect_b64 s[40:41], -1, 0
	v_add_co_u32_e32 v6, vcc, 1, v6
	s_andn2_b64 s[36:37], s[36:37], exec
	s_and_b64 s[44:45], s[44:45], exec
	s_andn2_b64 s[34:35], s[34:35], exec
	s_and_b64 s[40:41], s[40:41], exec
	v_addc_co_u32_e32 v7, vcc, 0, v7, vcc
	s_or_b64 s[36:37], s[36:37], s[44:45]
	s_andn2_b64 s[8:9], s[8:9], exec
	s_or_b64 s[34:35], s[34:35], s[40:41]
                                        ; implicit-def: $sgpr40_sgpr41
	s_branch .LBB995_502
.LBB995_505:
	s_or_b64 exec, exec, s[28:29]
	s_xor_b64 s[8:9], s[30:31], -1
	s_andn2_b64 s[10:11], s[10:11], exec
	s_and_b64 s[8:9], s[8:9], exec
	s_or_b64 s[10:11], s[10:11], s[8:9]
.LBB995_506:
	s_or_b64 exec, exec, s[26:27]
	v_cndmask_b32_e64 v4, v9, v8, s[10:11]
	v_cndmask_b32_e64 v5, v25, v24, s[10:11]
	v_add_u32_e32 v6, 1, v4
	v_add_u32_e32 v4, -1, v5
	v_min_u32_e32 v4, v6, v4
	v_lshl_add_u32 v4, v4, 3, v18
	ds_read_b64 v[4:5], v4
	v_cndmask_b32_e64 v9, v6, v9, s[10:11]
	v_cndmask_b32_e64 v8, v8, v6, s[10:11]
	v_cmp_lt_u32_e32 vcc, v9, v25
	s_mov_b64 s[26:27], -1
	s_waitcnt lgkmcnt(0)
	v_cndmask_b32_e64 v10, v5, v3, s[10:11]
	v_cndmask_b32_e64 v11, v4, v2, s[10:11]
	;; [unrolled: 1-line block ×4, first 2 shown]
	s_mov_b64 s[28:29], -1
	s_and_saveexec_b64 s[30:31], vcc
	s_cbranch_execz .LBB995_514
; %bb.507:
	v_cmp_lt_u32_e64 s[28:29], v8, v24
	s_and_b64 s[8:9], s[28:29], s[20:21]
	s_and_saveexec_b64 s[34:35], s[8:9]
	s_cbranch_execz .LBB995_513
; %bb.508:
	v_pk_mov_b32 v[6:7], s[14:15], s[14:15] op_sel:[0,1]
	v_mad_u64_u32 v[4:5], s[8:9], v11, s12, v[6:7]
	v_mul_lo_u32 v28, v11, s13
	v_mul_lo_u32 v29, v10, s12
	v_add3_u32 v5, v29, v5, v28
	v_mad_u64_u32 v[6:7], s[8:9], v27, s12, v[6:7]
	v_mul_lo_u32 v28, v27, s13
	v_mul_lo_u32 v29, v26, s12
	v_add3_u32 v7, v29, v7, v28
	s_mov_b64 s[36:37], 0
	s_mov_b64 s[44:45], s[12:13]
                                        ; implicit-def: $sgpr38_sgpr39
                                        ; implicit-def: $sgpr40_sgpr41
                                        ; implicit-def: $sgpr8_sgpr9
                                        ; implicit-def: $sgpr42_sgpr43
                                        ; implicit-def: $sgpr46_sgpr47
	s_branch .LBB995_510
.LBB995_509:                            ;   in Loop: Header=BB995_510 Depth=1
	s_or_b64 exec, exec, s[48:49]
	s_and_b64 s[48:49], exec, s[40:41]
	s_or_b64 s[36:37], s[48:49], s[36:37]
	s_andn2_b64 s[46:47], s[46:47], exec
	s_and_b64 s[48:49], s[42:43], exec
	s_or_b64 s[46:47], s[46:47], s[48:49]
	s_andn2_b64 s[38:39], s[38:39], exec
	s_and_b64 s[48:49], s[8:9], exec
	s_or_b64 s[38:39], s[38:39], s[48:49]
	s_andn2_b64 exec, exec, s[36:37]
	s_cbranch_execz .LBB995_512
.LBB995_510:                            ; =>This Inner Loop Header: Depth=1
	global_load_ubyte v28, v[4:5], off
	global_load_ubyte v29, v[6:7], off
	s_andn2_b64 s[48:49], s[8:9], exec
	s_andn2_b64 s[42:43], s[42:43], exec
	s_or_b64 s[40:41], s[40:41], exec
	s_waitcnt vmcnt(1)
	v_cmp_eq_u16_e32 vcc, 0, v28
	s_waitcnt vmcnt(0)
	v_cmp_ne_u16_e64 s[8:9], 0, v29
	s_or_b64 s[52:53], vcc, s[8:9]
	s_and_b64 s[50:51], vcc, s[8:9]
	s_xor_b64 s[54:55], vcc, s[8:9]
	s_and_b64 s[8:9], s[52:53], s[46:47]
	s_or_b64 s[50:51], s[50:51], s[8:9]
	s_and_b64 s[8:9], s[50:51], exec
	s_or_b64 s[8:9], s[48:49], s[8:9]
	s_and_saveexec_b64 s[48:49], s[54:55]
	s_cbranch_execz .LBB995_509
; %bb.511:                              ;   in Loop: Header=BB995_510 Depth=1
	s_add_u32 s44, s44, -1
	s_addc_u32 s45, s45, -1
	v_add_co_u32_e32 v4, vcc, 1, v4
	s_cmp_eq_u64 s[44:45], 0
	v_addc_co_u32_e32 v5, vcc, 0, v5, vcc
	s_cselect_b64 s[46:47], -1, 0
	v_add_co_u32_e32 v6, vcc, 1, v6
	s_andn2_b64 s[42:43], s[42:43], exec
	s_and_b64 s[50:51], s[50:51], exec
	s_andn2_b64 s[40:41], s[40:41], exec
	s_and_b64 s[46:47], s[46:47], exec
	v_addc_co_u32_e32 v7, vcc, 0, v7, vcc
	s_or_b64 s[42:43], s[42:43], s[50:51]
	s_andn2_b64 s[8:9], s[8:9], exec
	s_or_b64 s[40:41], s[40:41], s[46:47]
                                        ; implicit-def: $sgpr46_sgpr47
	s_branch .LBB995_509
.LBB995_512:
	s_or_b64 exec, exec, s[36:37]
	s_xor_b64 s[8:9], s[38:39], -1
	s_andn2_b64 s[28:29], s[28:29], exec
	s_and_b64 s[8:9], s[8:9], exec
	s_or_b64 s[28:29], s[28:29], s[8:9]
.LBB995_513:
	s_or_b64 exec, exec, s[34:35]
	s_orn2_b64 s[28:29], s[28:29], exec
.LBB995_514:
	s_or_b64 exec, exec, s[30:31]
	v_cndmask_b32_e64 v4, v9, v8, s[28:29]
	v_cndmask_b32_e64 v5, v25, v24, s[28:29]
	v_add_u32_e32 v6, 1, v4
	v_add_u32_e32 v4, -1, v5
	v_min_u32_e32 v4, v6, v4
	v_lshl_add_u32 v4, v4, 3, v18
	ds_read_b64 v[4:5], v4
	v_cndmask_b32_e64 v9, v6, v9, s[28:29]
	v_cndmask_b32_e64 v8, v8, v6, s[28:29]
	v_cmp_lt_u32_e32 vcc, v9, v25
	s_waitcnt lgkmcnt(0)
	v_cndmask_b32_e64 v28, v5, v10, s[28:29]
	v_cndmask_b32_e64 v29, v4, v11, s[28:29]
	;; [unrolled: 1-line block ×4, first 2 shown]
	s_and_saveexec_b64 s[30:31], vcc
	s_cbranch_execz .LBB995_522
; %bb.515:
	v_cmp_lt_u32_e64 s[26:27], v8, v24
	s_and_b64 s[8:9], s[26:27], s[20:21]
	s_and_saveexec_b64 s[34:35], s[8:9]
	s_cbranch_execz .LBB995_521
; %bb.516:
	v_pk_mov_b32 v[6:7], s[14:15], s[14:15] op_sel:[0,1]
	v_mad_u64_u32 v[4:5], s[8:9], v29, s12, v[6:7]
	v_mul_lo_u32 v32, v29, s13
	v_mul_lo_u32 v33, v28, s12
	v_add3_u32 v5, v33, v5, v32
	v_mad_u64_u32 v[6:7], s[8:9], v31, s12, v[6:7]
	v_mul_lo_u32 v32, v31, s13
	v_mul_lo_u32 v33, v30, s12
	v_add3_u32 v7, v33, v7, v32
	s_mov_b64 s[36:37], 0
	s_mov_b64 s[44:45], s[12:13]
                                        ; implicit-def: $sgpr38_sgpr39
                                        ; implicit-def: $sgpr40_sgpr41
                                        ; implicit-def: $sgpr8_sgpr9
                                        ; implicit-def: $sgpr42_sgpr43
                                        ; implicit-def: $sgpr46_sgpr47
	s_branch .LBB995_518
.LBB995_517:                            ;   in Loop: Header=BB995_518 Depth=1
	s_or_b64 exec, exec, s[48:49]
	s_and_b64 s[48:49], exec, s[40:41]
	s_or_b64 s[36:37], s[48:49], s[36:37]
	s_andn2_b64 s[46:47], s[46:47], exec
	s_and_b64 s[48:49], s[42:43], exec
	s_or_b64 s[46:47], s[46:47], s[48:49]
	s_andn2_b64 s[38:39], s[38:39], exec
	s_and_b64 s[48:49], s[8:9], exec
	s_or_b64 s[38:39], s[38:39], s[48:49]
	s_andn2_b64 exec, exec, s[36:37]
	s_cbranch_execz .LBB995_520
.LBB995_518:                            ; =>This Inner Loop Header: Depth=1
	global_load_ubyte v32, v[4:5], off
	global_load_ubyte v33, v[6:7], off
	s_andn2_b64 s[48:49], s[8:9], exec
	s_andn2_b64 s[42:43], s[42:43], exec
	s_or_b64 s[40:41], s[40:41], exec
	s_waitcnt vmcnt(1)
	v_cmp_eq_u16_e32 vcc, 0, v32
	s_waitcnt vmcnt(0)
	v_cmp_ne_u16_e64 s[8:9], 0, v33
	s_or_b64 s[52:53], vcc, s[8:9]
	s_and_b64 s[50:51], vcc, s[8:9]
	s_xor_b64 s[54:55], vcc, s[8:9]
	s_and_b64 s[8:9], s[52:53], s[46:47]
	s_or_b64 s[50:51], s[50:51], s[8:9]
	s_and_b64 s[8:9], s[50:51], exec
	s_or_b64 s[8:9], s[48:49], s[8:9]
	s_and_saveexec_b64 s[48:49], s[54:55]
	s_cbranch_execz .LBB995_517
; %bb.519:                              ;   in Loop: Header=BB995_518 Depth=1
	s_add_u32 s44, s44, -1
	s_addc_u32 s45, s45, -1
	v_add_co_u32_e32 v4, vcc, 1, v4
	s_cmp_eq_u64 s[44:45], 0
	v_addc_co_u32_e32 v5, vcc, 0, v5, vcc
	s_cselect_b64 s[46:47], -1, 0
	v_add_co_u32_e32 v6, vcc, 1, v6
	s_andn2_b64 s[42:43], s[42:43], exec
	s_and_b64 s[50:51], s[50:51], exec
	s_andn2_b64 s[40:41], s[40:41], exec
	s_and_b64 s[46:47], s[46:47], exec
	v_addc_co_u32_e32 v7, vcc, 0, v7, vcc
	s_or_b64 s[42:43], s[42:43], s[50:51]
	s_andn2_b64 s[8:9], s[8:9], exec
	s_or_b64 s[40:41], s[40:41], s[46:47]
                                        ; implicit-def: $sgpr46_sgpr47
	s_branch .LBB995_517
.LBB995_520:
	s_or_b64 exec, exec, s[36:37]
	s_xor_b64 s[8:9], s[38:39], -1
	s_andn2_b64 s[26:27], s[26:27], exec
	s_and_b64 s[8:9], s[8:9], exec
	s_or_b64 s[26:27], s[26:27], s[8:9]
.LBB995_521:
	s_or_b64 exec, exec, s[34:35]
	s_orn2_b64 s[26:27], s[26:27], exec
.LBB995_522:
	s_or_b64 exec, exec, s[30:31]
	v_cndmask_b32_e64 v4, v9, v8, s[26:27]
	v_cndmask_b32_e64 v5, v25, v24, s[26:27]
	v_add_u32_e32 v33, 1, v4
	v_add_u32_e32 v4, -1, v5
	v_min_u32_e32 v4, v33, v4
	v_lshl_add_u32 v4, v4, 3, v18
	ds_read_b64 v[4:5], v4
	v_cndmask_b32_e64 v9, v33, v9, s[26:27]
	v_cmp_lt_u32_e32 vcc, v9, v25
	s_waitcnt lgkmcnt(0)
	v_cndmask_b32_e64 v7, v30, v5, s[26:27]
	v_cndmask_b32_e64 v6, v31, v4, s[26:27]
	s_and_saveexec_b64 s[30:31], vcc
	s_cbranch_execz .LBB995_530
; %bb.523:
	v_cndmask_b32_e64 v32, v4, v29, s[26:27]
	v_cndmask_b32_e64 v4, v8, v33, s[26:27]
	v_cmp_ge_u32_e32 vcc, v4, v24
	v_cndmask_b32_e64 v25, v5, v28, s[26:27]
	s_or_b64 s[8:9], vcc, s[18:19]
	v_cndmask_b32_e32 v5, v7, v25, vcc
	s_xor_b64 s[8:9], s[8:9], -1
	v_cndmask_b32_e32 v4, v6, v32, vcc
	s_and_saveexec_b64 s[34:35], s[8:9]
	s_cbranch_execz .LBB995_529
; %bb.524:
	v_pk_mov_b32 v[8:9], s[14:15], s[14:15] op_sel:[0,1]
	v_mad_u64_u32 v[4:5], s[8:9], v32, s12, v[8:9]
	v_mul_lo_u32 v24, v32, s13
	v_mul_lo_u32 v33, v25, s12
	v_add3_u32 v5, v33, v5, v24
	v_mad_u64_u32 v[8:9], s[8:9], v6, s12, v[8:9]
	v_mul_lo_u32 v24, v6, s13
	v_mul_lo_u32 v33, v7, s12
	v_add3_u32 v9, v33, v9, v24
	s_mov_b64 s[36:37], 0
	s_mov_b64 s[44:45], s[12:13]
                                        ; implicit-def: $sgpr38_sgpr39
                                        ; implicit-def: $sgpr40_sgpr41
                                        ; implicit-def: $sgpr8_sgpr9
                                        ; implicit-def: $sgpr42_sgpr43
                                        ; implicit-def: $sgpr46_sgpr47
	s_branch .LBB995_526
.LBB995_525:                            ;   in Loop: Header=BB995_526 Depth=1
	s_or_b64 exec, exec, s[48:49]
	s_and_b64 s[48:49], exec, s[40:41]
	s_or_b64 s[36:37], s[48:49], s[36:37]
	s_andn2_b64 s[46:47], s[46:47], exec
	s_and_b64 s[48:49], s[42:43], exec
	s_or_b64 s[46:47], s[46:47], s[48:49]
	s_andn2_b64 s[38:39], s[38:39], exec
	s_and_b64 s[48:49], s[8:9], exec
	s_or_b64 s[38:39], s[38:39], s[48:49]
	s_andn2_b64 exec, exec, s[36:37]
	s_cbranch_execz .LBB995_528
.LBB995_526:                            ; =>This Inner Loop Header: Depth=1
	global_load_ubyte v24, v[4:5], off
	global_load_ubyte v33, v[8:9], off
	s_andn2_b64 s[48:49], s[8:9], exec
	s_andn2_b64 s[42:43], s[42:43], exec
	s_or_b64 s[40:41], s[40:41], exec
	s_waitcnt vmcnt(1)
	v_cmp_eq_u16_e32 vcc, 0, v24
	s_waitcnt vmcnt(0)
	v_cmp_ne_u16_e64 s[8:9], 0, v33
	s_or_b64 s[52:53], vcc, s[8:9]
	s_and_b64 s[50:51], vcc, s[8:9]
	s_xor_b64 s[54:55], vcc, s[8:9]
	s_and_b64 s[8:9], s[52:53], s[46:47]
	s_or_b64 s[50:51], s[50:51], s[8:9]
	s_and_b64 s[8:9], s[50:51], exec
	s_or_b64 s[8:9], s[48:49], s[8:9]
	s_and_saveexec_b64 s[48:49], s[54:55]
	s_cbranch_execz .LBB995_525
; %bb.527:                              ;   in Loop: Header=BB995_526 Depth=1
	s_add_u32 s44, s44, -1
	s_addc_u32 s45, s45, -1
	v_add_co_u32_e32 v4, vcc, 1, v4
	s_cmp_eq_u64 s[44:45], 0
	v_addc_co_u32_e32 v5, vcc, 0, v5, vcc
	s_cselect_b64 s[46:47], -1, 0
	v_add_co_u32_e32 v8, vcc, 1, v8
	s_andn2_b64 s[42:43], s[42:43], exec
	s_and_b64 s[50:51], s[50:51], exec
	s_andn2_b64 s[40:41], s[40:41], exec
	s_and_b64 s[46:47], s[46:47], exec
	v_addc_co_u32_e32 v9, vcc, 0, v9, vcc
	s_or_b64 s[42:43], s[42:43], s[50:51]
	s_andn2_b64 s[8:9], s[8:9], exec
	s_or_b64 s[40:41], s[40:41], s[46:47]
                                        ; implicit-def: $sgpr46_sgpr47
	s_branch .LBB995_525
.LBB995_528:
	s_or_b64 exec, exec, s[36:37]
	v_cndmask_b32_e64 v5, v7, v25, s[38:39]
	v_cndmask_b32_e64 v4, v6, v32, s[38:39]
.LBB995_529:
	s_or_b64 exec, exec, s[34:35]
	v_pk_mov_b32 v[6:7], v[4:5], v[4:5] op_sel:[0,1]
.LBB995_530:
	s_or_b64 exec, exec, s[30:31]
	v_cndmask_b32_e64 v1, v3, v1, s[10:11]
	v_cndmask_b32_e64 v0, v2, v0, s[10:11]
	;; [unrolled: 1-line block ×6, first 2 shown]
.LBB995_531:
	s_or_b64 exec, exec, s[22:23]
	v_and_b32_e32 v28, 0x1f0, v20
	v_or_b32_e32 v8, 8, v28
	v_min_u32_e32 v24, v19, v8
	v_add_u32_e32 v8, 8, v24
	v_min_u32_e32 v25, v19, v8
	v_and_b32_e32 v8, 12, v20
	v_min_u32_e32 v29, v19, v8
	v_sub_u32_e32 v8, v24, v28
	v_sub_u32_e32 v9, v25, v24
	v_sub_u32_e64 v27, v29, v9 clamp
	v_min_u32_e32 v30, v29, v8
	v_lshl_add_u32 v26, v28, 3, v18
	v_cmp_lt_u32_e32 vcc, v27, v30
	; wave barrier
	ds_write_b128 v21, v[0:3]
	ds_write_b128 v21, v[4:7] offset:16
	; wave barrier
	s_and_saveexec_b64 s[10:11], vcc
	s_cbranch_execz .LBB995_541
; %bb.532:
	v_lshlrev_b32_e32 v8, 3, v24
	v_lshlrev_b32_e32 v9, 3, v29
	v_add3_u32 v31, v18, v8, v9
	s_mov_b64 s[22:23], 0
	s_branch .LBB995_535
.LBB995_533:                            ;   in Loop: Header=BB995_535 Depth=1
	s_or_b64 exec, exec, s[28:29]
.LBB995_534:                            ;   in Loop: Header=BB995_535 Depth=1
	v_add_u32_e32 v8, 1, v32
	v_cndmask_b32_e64 v30, v30, v32, s[26:27]
	v_cndmask_b32_e64 v27, v8, v27, s[26:27]
	v_cmp_ge_u32_e32 vcc, v27, v30
	s_or_b64 s[22:23], vcc, s[22:23]
	s_andn2_b64 exec, exec, s[22:23]
	s_cbranch_execz .LBB995_540
.LBB995_535:                            ; =>This Loop Header: Depth=1
                                        ;     Child Loop BB995_538 Depth 2
	v_add_u32_e32 v8, v30, v27
	v_lshrrev_b32_e32 v32, 1, v8
	s_and_b64 vcc, exec, s[6:7]
	s_mov_b64 s[26:27], 0
	s_cbranch_vccnz .LBB995_534
; %bb.536:                              ;   in Loop: Header=BB995_535 Depth=1
	v_not_b32_e32 v8, v32
	v_lshl_add_u32 v8, v8, 3, v31
	ds_read_b64 v[8:9], v8
	v_lshl_add_u32 v33, v32, 3, v26
	ds_read_b64 v[34:35], v33
	v_pk_mov_b32 v[10:11], s[14:15], s[14:15] op_sel:[0,1]
	s_mov_b64 s[28:29], 0
	s_waitcnt lgkmcnt(1)
	v_mul_lo_u32 v33, v8, s13
	v_mul_lo_u32 v36, v9, s12
	v_mad_u64_u32 v[8:9], s[8:9], v8, s12, v[10:11]
	v_add3_u32 v9, v36, v9, v33
	s_waitcnt lgkmcnt(0)
	v_mul_lo_u32 v33, v34, s13
	v_mul_lo_u32 v35, v35, s12
	v_mad_u64_u32 v[10:11], s[8:9], v34, s12, v[10:11]
	v_add3_u32 v11, v35, v11, v33
	s_mov_b64 s[36:37], s[12:13]
                                        ; implicit-def: $sgpr26_sgpr27
                                        ; implicit-def: $sgpr30_sgpr31
                                        ; implicit-def: $sgpr34_sgpr35
                                        ; implicit-def: $sgpr8_sgpr9
                                        ; implicit-def: $sgpr38_sgpr39
	s_branch .LBB995_538
.LBB995_537:                            ;   in Loop: Header=BB995_538 Depth=2
	s_or_b64 exec, exec, s[40:41]
	s_and_b64 s[40:41], exec, s[30:31]
	s_or_b64 s[28:29], s[40:41], s[28:29]
	s_andn2_b64 s[38:39], s[38:39], exec
	s_and_b64 s[40:41], s[34:35], exec
	s_or_b64 s[38:39], s[38:39], s[40:41]
	s_andn2_b64 s[26:27], s[26:27], exec
	s_and_b64 s[40:41], s[8:9], exec
	s_or_b64 s[26:27], s[26:27], s[40:41]
	s_andn2_b64 exec, exec, s[28:29]
	s_cbranch_execz .LBB995_533
.LBB995_538:                            ;   Parent Loop BB995_535 Depth=1
                                        ; =>  This Inner Loop Header: Depth=2
	global_load_ubyte v33, v[8:9], off
	global_load_ubyte v34, v[10:11], off
	s_andn2_b64 s[40:41], s[8:9], exec
	s_andn2_b64 s[34:35], s[34:35], exec
	s_or_b64 s[30:31], s[30:31], exec
	s_waitcnt vmcnt(1)
	v_cmp_eq_u16_e32 vcc, 0, v33
	s_waitcnt vmcnt(0)
	v_cmp_ne_u16_e64 s[8:9], 0, v34
	s_or_b64 s[44:45], vcc, s[8:9]
	s_and_b64 s[42:43], vcc, s[8:9]
	s_xor_b64 s[46:47], vcc, s[8:9]
	s_and_b64 s[8:9], s[44:45], s[38:39]
	s_or_b64 s[42:43], s[42:43], s[8:9]
	s_and_b64 s[8:9], s[42:43], exec
	s_or_b64 s[8:9], s[40:41], s[8:9]
	s_and_saveexec_b64 s[40:41], s[46:47]
	s_cbranch_execz .LBB995_537
; %bb.539:                              ;   in Loop: Header=BB995_538 Depth=2
	s_add_u32 s36, s36, -1
	s_addc_u32 s37, s37, -1
	v_add_co_u32_e32 v8, vcc, 1, v8
	s_cmp_eq_u64 s[36:37], 0
	v_addc_co_u32_e32 v9, vcc, 0, v9, vcc
	s_cselect_b64 s[38:39], -1, 0
	v_add_co_u32_e32 v10, vcc, 1, v10
	s_andn2_b64 s[34:35], s[34:35], exec
	s_and_b64 s[42:43], s[42:43], exec
	s_andn2_b64 s[30:31], s[30:31], exec
	s_and_b64 s[38:39], s[38:39], exec
	v_addc_co_u32_e32 v11, vcc, 0, v11, vcc
	s_andn2_b64 s[8:9], s[8:9], exec
	s_or_b64 s[34:35], s[34:35], s[42:43]
	s_or_b64 s[30:31], s[30:31], s[38:39]
                                        ; implicit-def: $sgpr38_sgpr39
	s_branch .LBB995_537
.LBB995_540:
	s_or_b64 exec, exec, s[22:23]
.LBB995_541:
	s_or_b64 exec, exec, s[10:11]
	v_add_u32_e32 v9, v24, v29
	v_add_u32_e32 v8, v27, v28
	v_sub_u32_e32 v9, v9, v27
	v_cmp_le_u32_e32 vcc, v8, v24
	v_cmp_le_u32_e64 s[8:9], v9, v25
	s_or_b64 s[8:9], vcc, s[8:9]
	s_and_saveexec_b64 s[22:23], s[8:9]
	s_cbranch_execz .LBB995_577
; %bb.542:
	v_cmp_ge_u32_e32 vcc, v8, v24
	v_cmp_lt_u32_e64 s[8:9], v8, v24
                                        ; implicit-def: $vgpr0_vgpr1
	s_and_saveexec_b64 s[10:11], s[8:9]
	s_cbranch_execz .LBB995_544
; %bb.543:
	v_lshl_add_u32 v0, v27, 3, v26
	ds_read_b64 v[0:1], v0
.LBB995_544:
	s_or_b64 exec, exec, s[10:11]
	v_cmp_ge_u32_e64 s[8:9], v9, v25
	v_cmp_lt_u32_e64 s[10:11], v9, v25
                                        ; implicit-def: $vgpr2_vgpr3
	s_and_saveexec_b64 s[26:27], s[10:11]
	s_cbranch_execz .LBB995_546
; %bb.545:
	v_lshl_add_u32 v2, v9, 3, v18
	ds_read_b64 v[2:3], v2
.LBB995_546:
	s_or_b64 exec, exec, s[26:27]
	s_or_b64 s[10:11], vcc, s[8:9]
	s_or_b64 s[10:11], s[10:11], s[18:19]
	s_xor_b64 s[28:29], s[10:11], -1
	s_xor_b64 s[10:11], vcc, -1
	s_or_b64 s[10:11], s[8:9], s[10:11]
	s_and_saveexec_b64 s[26:27], s[28:29]
	s_cbranch_execz .LBB995_552
; %bb.547:
	v_pk_mov_b32 v[6:7], s[14:15], s[14:15] op_sel:[0,1]
	s_waitcnt lgkmcnt(0)
	v_mad_u64_u32 v[4:5], s[8:9], v2, s12, v[6:7]
	v_mul_lo_u32 v10, v2, s13
	v_mul_lo_u32 v11, v3, s12
	v_add3_u32 v5, v11, v5, v10
	v_mad_u64_u32 v[6:7], s[8:9], v0, s12, v[6:7]
	v_mul_lo_u32 v10, v0, s13
	v_mul_lo_u32 v11, v1, s12
	v_add3_u32 v7, v11, v7, v10
	s_mov_b64 s[28:29], 0
	s_mov_b64 s[38:39], s[12:13]
                                        ; implicit-def: $sgpr30_sgpr31
                                        ; implicit-def: $sgpr34_sgpr35
                                        ; implicit-def: $sgpr8_sgpr9
                                        ; implicit-def: $sgpr36_sgpr37
                                        ; implicit-def: $sgpr40_sgpr41
	s_branch .LBB995_549
.LBB995_548:                            ;   in Loop: Header=BB995_549 Depth=1
	s_or_b64 exec, exec, s[42:43]
	s_and_b64 s[42:43], exec, s[34:35]
	s_or_b64 s[28:29], s[42:43], s[28:29]
	s_andn2_b64 s[40:41], s[40:41], exec
	s_and_b64 s[42:43], s[36:37], exec
	s_or_b64 s[40:41], s[40:41], s[42:43]
	s_andn2_b64 s[30:31], s[30:31], exec
	s_and_b64 s[42:43], s[8:9], exec
	s_or_b64 s[30:31], s[30:31], s[42:43]
	s_andn2_b64 exec, exec, s[28:29]
	s_cbranch_execz .LBB995_551
.LBB995_549:                            ; =>This Inner Loop Header: Depth=1
	global_load_ubyte v10, v[4:5], off
	global_load_ubyte v11, v[6:7], off
	s_andn2_b64 s[42:43], s[8:9], exec
	s_andn2_b64 s[36:37], s[36:37], exec
	s_or_b64 s[34:35], s[34:35], exec
	s_waitcnt vmcnt(1)
	v_cmp_eq_u16_e32 vcc, 0, v10
	s_waitcnt vmcnt(0)
	v_cmp_ne_u16_e64 s[8:9], 0, v11
	s_or_b64 s[46:47], vcc, s[8:9]
	s_and_b64 s[44:45], vcc, s[8:9]
	s_xor_b64 s[48:49], vcc, s[8:9]
	s_and_b64 s[8:9], s[46:47], s[40:41]
	s_or_b64 s[44:45], s[44:45], s[8:9]
	s_and_b64 s[8:9], s[44:45], exec
	s_or_b64 s[8:9], s[42:43], s[8:9]
	s_and_saveexec_b64 s[42:43], s[48:49]
	s_cbranch_execz .LBB995_548
; %bb.550:                              ;   in Loop: Header=BB995_549 Depth=1
	s_add_u32 s38, s38, -1
	s_addc_u32 s39, s39, -1
	v_add_co_u32_e32 v4, vcc, 1, v4
	s_cmp_eq_u64 s[38:39], 0
	v_addc_co_u32_e32 v5, vcc, 0, v5, vcc
	s_cselect_b64 s[40:41], -1, 0
	v_add_co_u32_e32 v6, vcc, 1, v6
	s_andn2_b64 s[36:37], s[36:37], exec
	s_and_b64 s[44:45], s[44:45], exec
	s_andn2_b64 s[34:35], s[34:35], exec
	s_and_b64 s[40:41], s[40:41], exec
	v_addc_co_u32_e32 v7, vcc, 0, v7, vcc
	s_or_b64 s[36:37], s[36:37], s[44:45]
	s_andn2_b64 s[8:9], s[8:9], exec
	s_or_b64 s[34:35], s[34:35], s[40:41]
                                        ; implicit-def: $sgpr40_sgpr41
	s_branch .LBB995_548
.LBB995_551:
	s_or_b64 exec, exec, s[28:29]
	s_xor_b64 s[8:9], s[30:31], -1
	s_andn2_b64 s[10:11], s[10:11], exec
	s_and_b64 s[8:9], s[8:9], exec
	s_or_b64 s[10:11], s[10:11], s[8:9]
.LBB995_552:
	s_or_b64 exec, exec, s[26:27]
	v_cndmask_b32_e64 v4, v9, v8, s[10:11]
	v_cndmask_b32_e64 v5, v25, v24, s[10:11]
	v_add_u32_e32 v6, 1, v4
	v_add_u32_e32 v4, -1, v5
	v_min_u32_e32 v4, v6, v4
	v_lshl_add_u32 v4, v4, 3, v18
	ds_read_b64 v[4:5], v4
	v_cndmask_b32_e64 v9, v6, v9, s[10:11]
	v_cndmask_b32_e64 v8, v8, v6, s[10:11]
	v_cmp_lt_u32_e32 vcc, v9, v25
	s_mov_b64 s[26:27], -1
	s_waitcnt lgkmcnt(0)
	v_cndmask_b32_e64 v10, v5, v3, s[10:11]
	v_cndmask_b32_e64 v11, v4, v2, s[10:11]
	v_cndmask_b32_e64 v26, v1, v5, s[10:11]
	v_cndmask_b32_e64 v27, v0, v4, s[10:11]
	s_mov_b64 s[28:29], -1
	s_and_saveexec_b64 s[30:31], vcc
	s_cbranch_execz .LBB995_560
; %bb.553:
	v_cmp_lt_u32_e64 s[28:29], v8, v24
	s_and_b64 s[8:9], s[28:29], s[20:21]
	s_and_saveexec_b64 s[34:35], s[8:9]
	s_cbranch_execz .LBB995_559
; %bb.554:
	v_pk_mov_b32 v[6:7], s[14:15], s[14:15] op_sel:[0,1]
	v_mad_u64_u32 v[4:5], s[8:9], v11, s12, v[6:7]
	v_mul_lo_u32 v28, v11, s13
	v_mul_lo_u32 v29, v10, s12
	v_add3_u32 v5, v29, v5, v28
	v_mad_u64_u32 v[6:7], s[8:9], v27, s12, v[6:7]
	v_mul_lo_u32 v28, v27, s13
	v_mul_lo_u32 v29, v26, s12
	v_add3_u32 v7, v29, v7, v28
	s_mov_b64 s[36:37], 0
	s_mov_b64 s[44:45], s[12:13]
                                        ; implicit-def: $sgpr38_sgpr39
                                        ; implicit-def: $sgpr40_sgpr41
                                        ; implicit-def: $sgpr8_sgpr9
                                        ; implicit-def: $sgpr42_sgpr43
                                        ; implicit-def: $sgpr46_sgpr47
	s_branch .LBB995_556
.LBB995_555:                            ;   in Loop: Header=BB995_556 Depth=1
	s_or_b64 exec, exec, s[48:49]
	s_and_b64 s[48:49], exec, s[40:41]
	s_or_b64 s[36:37], s[48:49], s[36:37]
	s_andn2_b64 s[46:47], s[46:47], exec
	s_and_b64 s[48:49], s[42:43], exec
	s_or_b64 s[46:47], s[46:47], s[48:49]
	s_andn2_b64 s[38:39], s[38:39], exec
	s_and_b64 s[48:49], s[8:9], exec
	s_or_b64 s[38:39], s[38:39], s[48:49]
	s_andn2_b64 exec, exec, s[36:37]
	s_cbranch_execz .LBB995_558
.LBB995_556:                            ; =>This Inner Loop Header: Depth=1
	global_load_ubyte v28, v[4:5], off
	global_load_ubyte v29, v[6:7], off
	s_andn2_b64 s[48:49], s[8:9], exec
	s_andn2_b64 s[42:43], s[42:43], exec
	s_or_b64 s[40:41], s[40:41], exec
	s_waitcnt vmcnt(1)
	v_cmp_eq_u16_e32 vcc, 0, v28
	s_waitcnt vmcnt(0)
	v_cmp_ne_u16_e64 s[8:9], 0, v29
	s_or_b64 s[52:53], vcc, s[8:9]
	s_and_b64 s[50:51], vcc, s[8:9]
	s_xor_b64 s[54:55], vcc, s[8:9]
	s_and_b64 s[8:9], s[52:53], s[46:47]
	s_or_b64 s[50:51], s[50:51], s[8:9]
	s_and_b64 s[8:9], s[50:51], exec
	s_or_b64 s[8:9], s[48:49], s[8:9]
	s_and_saveexec_b64 s[48:49], s[54:55]
	s_cbranch_execz .LBB995_555
; %bb.557:                              ;   in Loop: Header=BB995_556 Depth=1
	s_add_u32 s44, s44, -1
	s_addc_u32 s45, s45, -1
	v_add_co_u32_e32 v4, vcc, 1, v4
	s_cmp_eq_u64 s[44:45], 0
	v_addc_co_u32_e32 v5, vcc, 0, v5, vcc
	s_cselect_b64 s[46:47], -1, 0
	v_add_co_u32_e32 v6, vcc, 1, v6
	s_andn2_b64 s[42:43], s[42:43], exec
	s_and_b64 s[50:51], s[50:51], exec
	s_andn2_b64 s[40:41], s[40:41], exec
	s_and_b64 s[46:47], s[46:47], exec
	v_addc_co_u32_e32 v7, vcc, 0, v7, vcc
	s_or_b64 s[42:43], s[42:43], s[50:51]
	s_andn2_b64 s[8:9], s[8:9], exec
	s_or_b64 s[40:41], s[40:41], s[46:47]
                                        ; implicit-def: $sgpr46_sgpr47
	s_branch .LBB995_555
.LBB995_558:
	s_or_b64 exec, exec, s[36:37]
	s_xor_b64 s[8:9], s[38:39], -1
	s_andn2_b64 s[28:29], s[28:29], exec
	s_and_b64 s[8:9], s[8:9], exec
	s_or_b64 s[28:29], s[28:29], s[8:9]
.LBB995_559:
	s_or_b64 exec, exec, s[34:35]
	s_orn2_b64 s[28:29], s[28:29], exec
.LBB995_560:
	s_or_b64 exec, exec, s[30:31]
	v_cndmask_b32_e64 v4, v9, v8, s[28:29]
	v_cndmask_b32_e64 v5, v25, v24, s[28:29]
	v_add_u32_e32 v6, 1, v4
	v_add_u32_e32 v4, -1, v5
	v_min_u32_e32 v4, v6, v4
	v_lshl_add_u32 v4, v4, 3, v18
	ds_read_b64 v[4:5], v4
	v_cndmask_b32_e64 v9, v6, v9, s[28:29]
	v_cndmask_b32_e64 v8, v8, v6, s[28:29]
	v_cmp_lt_u32_e32 vcc, v9, v25
	s_waitcnt lgkmcnt(0)
	v_cndmask_b32_e64 v28, v5, v10, s[28:29]
	v_cndmask_b32_e64 v29, v4, v11, s[28:29]
	;; [unrolled: 1-line block ×4, first 2 shown]
	s_and_saveexec_b64 s[30:31], vcc
	s_cbranch_execz .LBB995_568
; %bb.561:
	v_cmp_lt_u32_e64 s[26:27], v8, v24
	s_and_b64 s[8:9], s[26:27], s[20:21]
	s_and_saveexec_b64 s[34:35], s[8:9]
	s_cbranch_execz .LBB995_567
; %bb.562:
	v_pk_mov_b32 v[6:7], s[14:15], s[14:15] op_sel:[0,1]
	v_mad_u64_u32 v[4:5], s[8:9], v29, s12, v[6:7]
	v_mul_lo_u32 v32, v29, s13
	v_mul_lo_u32 v33, v28, s12
	v_add3_u32 v5, v33, v5, v32
	v_mad_u64_u32 v[6:7], s[8:9], v31, s12, v[6:7]
	v_mul_lo_u32 v32, v31, s13
	v_mul_lo_u32 v33, v30, s12
	v_add3_u32 v7, v33, v7, v32
	s_mov_b64 s[36:37], 0
	s_mov_b64 s[44:45], s[12:13]
                                        ; implicit-def: $sgpr38_sgpr39
                                        ; implicit-def: $sgpr40_sgpr41
                                        ; implicit-def: $sgpr8_sgpr9
                                        ; implicit-def: $sgpr42_sgpr43
                                        ; implicit-def: $sgpr46_sgpr47
	s_branch .LBB995_564
.LBB995_563:                            ;   in Loop: Header=BB995_564 Depth=1
	s_or_b64 exec, exec, s[48:49]
	s_and_b64 s[48:49], exec, s[40:41]
	s_or_b64 s[36:37], s[48:49], s[36:37]
	s_andn2_b64 s[46:47], s[46:47], exec
	s_and_b64 s[48:49], s[42:43], exec
	s_or_b64 s[46:47], s[46:47], s[48:49]
	s_andn2_b64 s[38:39], s[38:39], exec
	s_and_b64 s[48:49], s[8:9], exec
	s_or_b64 s[38:39], s[38:39], s[48:49]
	s_andn2_b64 exec, exec, s[36:37]
	s_cbranch_execz .LBB995_566
.LBB995_564:                            ; =>This Inner Loop Header: Depth=1
	global_load_ubyte v32, v[4:5], off
	global_load_ubyte v33, v[6:7], off
	s_andn2_b64 s[48:49], s[8:9], exec
	s_andn2_b64 s[42:43], s[42:43], exec
	s_or_b64 s[40:41], s[40:41], exec
	s_waitcnt vmcnt(1)
	v_cmp_eq_u16_e32 vcc, 0, v32
	s_waitcnt vmcnt(0)
	v_cmp_ne_u16_e64 s[8:9], 0, v33
	s_or_b64 s[52:53], vcc, s[8:9]
	s_and_b64 s[50:51], vcc, s[8:9]
	s_xor_b64 s[54:55], vcc, s[8:9]
	s_and_b64 s[8:9], s[52:53], s[46:47]
	s_or_b64 s[50:51], s[50:51], s[8:9]
	s_and_b64 s[8:9], s[50:51], exec
	s_or_b64 s[8:9], s[48:49], s[8:9]
	s_and_saveexec_b64 s[48:49], s[54:55]
	s_cbranch_execz .LBB995_563
; %bb.565:                              ;   in Loop: Header=BB995_564 Depth=1
	s_add_u32 s44, s44, -1
	s_addc_u32 s45, s45, -1
	v_add_co_u32_e32 v4, vcc, 1, v4
	s_cmp_eq_u64 s[44:45], 0
	v_addc_co_u32_e32 v5, vcc, 0, v5, vcc
	s_cselect_b64 s[46:47], -1, 0
	v_add_co_u32_e32 v6, vcc, 1, v6
	s_andn2_b64 s[42:43], s[42:43], exec
	s_and_b64 s[50:51], s[50:51], exec
	s_andn2_b64 s[40:41], s[40:41], exec
	s_and_b64 s[46:47], s[46:47], exec
	v_addc_co_u32_e32 v7, vcc, 0, v7, vcc
	s_or_b64 s[42:43], s[42:43], s[50:51]
	s_andn2_b64 s[8:9], s[8:9], exec
	s_or_b64 s[40:41], s[40:41], s[46:47]
                                        ; implicit-def: $sgpr46_sgpr47
	s_branch .LBB995_563
.LBB995_566:
	s_or_b64 exec, exec, s[36:37]
	s_xor_b64 s[8:9], s[38:39], -1
	s_andn2_b64 s[26:27], s[26:27], exec
	s_and_b64 s[8:9], s[8:9], exec
	s_or_b64 s[26:27], s[26:27], s[8:9]
.LBB995_567:
	s_or_b64 exec, exec, s[34:35]
	s_orn2_b64 s[26:27], s[26:27], exec
.LBB995_568:
	s_or_b64 exec, exec, s[30:31]
	v_cndmask_b32_e64 v4, v9, v8, s[26:27]
	v_cndmask_b32_e64 v5, v25, v24, s[26:27]
	v_add_u32_e32 v33, 1, v4
	v_add_u32_e32 v4, -1, v5
	v_min_u32_e32 v4, v33, v4
	v_lshl_add_u32 v4, v4, 3, v18
	ds_read_b64 v[4:5], v4
	v_cndmask_b32_e64 v9, v33, v9, s[26:27]
	v_cmp_lt_u32_e32 vcc, v9, v25
	s_waitcnt lgkmcnt(0)
	v_cndmask_b32_e64 v7, v30, v5, s[26:27]
	v_cndmask_b32_e64 v6, v31, v4, s[26:27]
	s_and_saveexec_b64 s[30:31], vcc
	s_cbranch_execz .LBB995_576
; %bb.569:
	v_cndmask_b32_e64 v32, v4, v29, s[26:27]
	v_cndmask_b32_e64 v4, v8, v33, s[26:27]
	v_cmp_ge_u32_e32 vcc, v4, v24
	v_cndmask_b32_e64 v25, v5, v28, s[26:27]
	s_or_b64 s[8:9], vcc, s[18:19]
	v_cndmask_b32_e32 v5, v7, v25, vcc
	s_xor_b64 s[8:9], s[8:9], -1
	v_cndmask_b32_e32 v4, v6, v32, vcc
	s_and_saveexec_b64 s[34:35], s[8:9]
	s_cbranch_execz .LBB995_575
; %bb.570:
	v_pk_mov_b32 v[8:9], s[14:15], s[14:15] op_sel:[0,1]
	v_mad_u64_u32 v[4:5], s[8:9], v32, s12, v[8:9]
	v_mul_lo_u32 v24, v32, s13
	v_mul_lo_u32 v33, v25, s12
	v_add3_u32 v5, v33, v5, v24
	v_mad_u64_u32 v[8:9], s[8:9], v6, s12, v[8:9]
	v_mul_lo_u32 v24, v6, s13
	v_mul_lo_u32 v33, v7, s12
	v_add3_u32 v9, v33, v9, v24
	s_mov_b64 s[36:37], 0
	s_mov_b64 s[44:45], s[12:13]
                                        ; implicit-def: $sgpr38_sgpr39
                                        ; implicit-def: $sgpr40_sgpr41
                                        ; implicit-def: $sgpr8_sgpr9
                                        ; implicit-def: $sgpr42_sgpr43
                                        ; implicit-def: $sgpr46_sgpr47
	s_branch .LBB995_572
.LBB995_571:                            ;   in Loop: Header=BB995_572 Depth=1
	s_or_b64 exec, exec, s[48:49]
	s_and_b64 s[48:49], exec, s[40:41]
	s_or_b64 s[36:37], s[48:49], s[36:37]
	s_andn2_b64 s[46:47], s[46:47], exec
	s_and_b64 s[48:49], s[42:43], exec
	s_or_b64 s[46:47], s[46:47], s[48:49]
	s_andn2_b64 s[38:39], s[38:39], exec
	s_and_b64 s[48:49], s[8:9], exec
	s_or_b64 s[38:39], s[38:39], s[48:49]
	s_andn2_b64 exec, exec, s[36:37]
	s_cbranch_execz .LBB995_574
.LBB995_572:                            ; =>This Inner Loop Header: Depth=1
	global_load_ubyte v24, v[4:5], off
	global_load_ubyte v33, v[8:9], off
	s_andn2_b64 s[48:49], s[8:9], exec
	s_andn2_b64 s[42:43], s[42:43], exec
	s_or_b64 s[40:41], s[40:41], exec
	s_waitcnt vmcnt(1)
	v_cmp_eq_u16_e32 vcc, 0, v24
	s_waitcnt vmcnt(0)
	v_cmp_ne_u16_e64 s[8:9], 0, v33
	s_or_b64 s[52:53], vcc, s[8:9]
	s_and_b64 s[50:51], vcc, s[8:9]
	s_xor_b64 s[54:55], vcc, s[8:9]
	s_and_b64 s[8:9], s[52:53], s[46:47]
	s_or_b64 s[50:51], s[50:51], s[8:9]
	s_and_b64 s[8:9], s[50:51], exec
	s_or_b64 s[8:9], s[48:49], s[8:9]
	s_and_saveexec_b64 s[48:49], s[54:55]
	s_cbranch_execz .LBB995_571
; %bb.573:                              ;   in Loop: Header=BB995_572 Depth=1
	s_add_u32 s44, s44, -1
	s_addc_u32 s45, s45, -1
	v_add_co_u32_e32 v4, vcc, 1, v4
	s_cmp_eq_u64 s[44:45], 0
	v_addc_co_u32_e32 v5, vcc, 0, v5, vcc
	s_cselect_b64 s[46:47], -1, 0
	v_add_co_u32_e32 v8, vcc, 1, v8
	s_andn2_b64 s[42:43], s[42:43], exec
	s_and_b64 s[50:51], s[50:51], exec
	s_andn2_b64 s[40:41], s[40:41], exec
	s_and_b64 s[46:47], s[46:47], exec
	v_addc_co_u32_e32 v9, vcc, 0, v9, vcc
	s_or_b64 s[42:43], s[42:43], s[50:51]
	s_andn2_b64 s[8:9], s[8:9], exec
	s_or_b64 s[40:41], s[40:41], s[46:47]
                                        ; implicit-def: $sgpr46_sgpr47
	s_branch .LBB995_571
.LBB995_574:
	s_or_b64 exec, exec, s[36:37]
	v_cndmask_b32_e64 v5, v7, v25, s[38:39]
	v_cndmask_b32_e64 v4, v6, v32, s[38:39]
.LBB995_575:
	s_or_b64 exec, exec, s[34:35]
	v_pk_mov_b32 v[6:7], v[4:5], v[4:5] op_sel:[0,1]
.LBB995_576:
	s_or_b64 exec, exec, s[30:31]
	v_cndmask_b32_e64 v1, v3, v1, s[10:11]
	v_cndmask_b32_e64 v0, v2, v0, s[10:11]
	;; [unrolled: 1-line block ×6, first 2 shown]
.LBB995_577:
	s_or_b64 exec, exec, s[22:23]
	v_and_b32_e32 v28, 0x1e0, v20
	v_or_b32_e32 v8, 16, v28
	v_min_u32_e32 v24, v19, v8
	v_add_u32_e32 v8, 16, v24
	v_min_u32_e32 v25, v19, v8
	v_and_b32_e32 v8, 28, v20
	v_min_u32_e32 v29, v19, v8
	v_sub_u32_e32 v8, v24, v28
	v_sub_u32_e32 v9, v25, v24
	v_sub_u32_e64 v27, v29, v9 clamp
	v_min_u32_e32 v30, v29, v8
	v_lshl_add_u32 v26, v28, 3, v18
	v_cmp_lt_u32_e32 vcc, v27, v30
	; wave barrier
	ds_write_b128 v21, v[0:3]
	ds_write_b128 v21, v[4:7] offset:16
	; wave barrier
	s_and_saveexec_b64 s[10:11], vcc
	s_cbranch_execz .LBB995_587
; %bb.578:
	v_lshlrev_b32_e32 v8, 3, v24
	v_lshlrev_b32_e32 v9, 3, v29
	v_add3_u32 v31, v18, v8, v9
	s_mov_b64 s[22:23], 0
	s_branch .LBB995_581
.LBB995_579:                            ;   in Loop: Header=BB995_581 Depth=1
	s_or_b64 exec, exec, s[28:29]
.LBB995_580:                            ;   in Loop: Header=BB995_581 Depth=1
	v_add_u32_e32 v8, 1, v32
	v_cndmask_b32_e64 v30, v30, v32, s[26:27]
	v_cndmask_b32_e64 v27, v8, v27, s[26:27]
	v_cmp_ge_u32_e32 vcc, v27, v30
	s_or_b64 s[22:23], vcc, s[22:23]
	s_andn2_b64 exec, exec, s[22:23]
	s_cbranch_execz .LBB995_586
.LBB995_581:                            ; =>This Loop Header: Depth=1
                                        ;     Child Loop BB995_584 Depth 2
	v_add_u32_e32 v8, v30, v27
	v_lshrrev_b32_e32 v32, 1, v8
	s_and_b64 vcc, exec, s[6:7]
	s_mov_b64 s[26:27], 0
	s_cbranch_vccnz .LBB995_580
; %bb.582:                              ;   in Loop: Header=BB995_581 Depth=1
	v_not_b32_e32 v8, v32
	v_lshl_add_u32 v8, v8, 3, v31
	ds_read_b64 v[8:9], v8
	v_lshl_add_u32 v33, v32, 3, v26
	ds_read_b64 v[34:35], v33
	v_pk_mov_b32 v[10:11], s[14:15], s[14:15] op_sel:[0,1]
	s_mov_b64 s[28:29], 0
	s_waitcnt lgkmcnt(1)
	v_mul_lo_u32 v33, v8, s13
	v_mul_lo_u32 v36, v9, s12
	v_mad_u64_u32 v[8:9], s[8:9], v8, s12, v[10:11]
	v_add3_u32 v9, v36, v9, v33
	s_waitcnt lgkmcnt(0)
	v_mul_lo_u32 v33, v34, s13
	v_mul_lo_u32 v35, v35, s12
	v_mad_u64_u32 v[10:11], s[8:9], v34, s12, v[10:11]
	v_add3_u32 v11, v35, v11, v33
	s_mov_b64 s[36:37], s[12:13]
                                        ; implicit-def: $sgpr26_sgpr27
                                        ; implicit-def: $sgpr30_sgpr31
                                        ; implicit-def: $sgpr34_sgpr35
                                        ; implicit-def: $sgpr8_sgpr9
                                        ; implicit-def: $sgpr38_sgpr39
	s_branch .LBB995_584
.LBB995_583:                            ;   in Loop: Header=BB995_584 Depth=2
	s_or_b64 exec, exec, s[40:41]
	s_and_b64 s[40:41], exec, s[30:31]
	s_or_b64 s[28:29], s[40:41], s[28:29]
	s_andn2_b64 s[38:39], s[38:39], exec
	s_and_b64 s[40:41], s[34:35], exec
	s_or_b64 s[38:39], s[38:39], s[40:41]
	s_andn2_b64 s[26:27], s[26:27], exec
	s_and_b64 s[40:41], s[8:9], exec
	s_or_b64 s[26:27], s[26:27], s[40:41]
	s_andn2_b64 exec, exec, s[28:29]
	s_cbranch_execz .LBB995_579
.LBB995_584:                            ;   Parent Loop BB995_581 Depth=1
                                        ; =>  This Inner Loop Header: Depth=2
	global_load_ubyte v33, v[8:9], off
	global_load_ubyte v34, v[10:11], off
	s_andn2_b64 s[40:41], s[8:9], exec
	s_andn2_b64 s[34:35], s[34:35], exec
	s_or_b64 s[30:31], s[30:31], exec
	s_waitcnt vmcnt(1)
	v_cmp_eq_u16_e32 vcc, 0, v33
	s_waitcnt vmcnt(0)
	v_cmp_ne_u16_e64 s[8:9], 0, v34
	s_or_b64 s[44:45], vcc, s[8:9]
	s_and_b64 s[42:43], vcc, s[8:9]
	s_xor_b64 s[46:47], vcc, s[8:9]
	s_and_b64 s[8:9], s[44:45], s[38:39]
	s_or_b64 s[42:43], s[42:43], s[8:9]
	s_and_b64 s[8:9], s[42:43], exec
	s_or_b64 s[8:9], s[40:41], s[8:9]
	s_and_saveexec_b64 s[40:41], s[46:47]
	s_cbranch_execz .LBB995_583
; %bb.585:                              ;   in Loop: Header=BB995_584 Depth=2
	s_add_u32 s36, s36, -1
	s_addc_u32 s37, s37, -1
	v_add_co_u32_e32 v8, vcc, 1, v8
	s_cmp_eq_u64 s[36:37], 0
	v_addc_co_u32_e32 v9, vcc, 0, v9, vcc
	s_cselect_b64 s[38:39], -1, 0
	v_add_co_u32_e32 v10, vcc, 1, v10
	s_andn2_b64 s[34:35], s[34:35], exec
	s_and_b64 s[42:43], s[42:43], exec
	s_andn2_b64 s[30:31], s[30:31], exec
	s_and_b64 s[38:39], s[38:39], exec
	v_addc_co_u32_e32 v11, vcc, 0, v11, vcc
	s_andn2_b64 s[8:9], s[8:9], exec
	s_or_b64 s[34:35], s[34:35], s[42:43]
	s_or_b64 s[30:31], s[30:31], s[38:39]
                                        ; implicit-def: $sgpr38_sgpr39
	s_branch .LBB995_583
.LBB995_586:
	s_or_b64 exec, exec, s[22:23]
.LBB995_587:
	s_or_b64 exec, exec, s[10:11]
	v_add_u32_e32 v9, v24, v29
	v_add_u32_e32 v8, v27, v28
	v_sub_u32_e32 v9, v9, v27
	v_cmp_le_u32_e32 vcc, v8, v24
	v_cmp_le_u32_e64 s[8:9], v9, v25
	s_or_b64 s[8:9], vcc, s[8:9]
	s_and_saveexec_b64 s[22:23], s[8:9]
	s_cbranch_execz .LBB995_623
; %bb.588:
	v_cmp_ge_u32_e32 vcc, v8, v24
	v_cmp_lt_u32_e64 s[8:9], v8, v24
                                        ; implicit-def: $vgpr0_vgpr1
	s_and_saveexec_b64 s[10:11], s[8:9]
	s_cbranch_execz .LBB995_590
; %bb.589:
	v_lshl_add_u32 v0, v27, 3, v26
	ds_read_b64 v[0:1], v0
.LBB995_590:
	s_or_b64 exec, exec, s[10:11]
	v_cmp_ge_u32_e64 s[8:9], v9, v25
	v_cmp_lt_u32_e64 s[10:11], v9, v25
                                        ; implicit-def: $vgpr2_vgpr3
	s_and_saveexec_b64 s[26:27], s[10:11]
	s_cbranch_execz .LBB995_592
; %bb.591:
	v_lshl_add_u32 v2, v9, 3, v18
	ds_read_b64 v[2:3], v2
.LBB995_592:
	s_or_b64 exec, exec, s[26:27]
	s_or_b64 s[10:11], vcc, s[8:9]
	s_or_b64 s[10:11], s[10:11], s[18:19]
	s_xor_b64 s[28:29], s[10:11], -1
	s_xor_b64 s[10:11], vcc, -1
	s_or_b64 s[10:11], s[8:9], s[10:11]
	s_and_saveexec_b64 s[26:27], s[28:29]
	s_cbranch_execz .LBB995_598
; %bb.593:
	v_pk_mov_b32 v[6:7], s[14:15], s[14:15] op_sel:[0,1]
	s_waitcnt lgkmcnt(0)
	v_mad_u64_u32 v[4:5], s[8:9], v2, s12, v[6:7]
	v_mul_lo_u32 v10, v2, s13
	v_mul_lo_u32 v11, v3, s12
	v_add3_u32 v5, v11, v5, v10
	v_mad_u64_u32 v[6:7], s[8:9], v0, s12, v[6:7]
	v_mul_lo_u32 v10, v0, s13
	v_mul_lo_u32 v11, v1, s12
	v_add3_u32 v7, v11, v7, v10
	s_mov_b64 s[28:29], 0
	s_mov_b64 s[38:39], s[12:13]
                                        ; implicit-def: $sgpr30_sgpr31
                                        ; implicit-def: $sgpr34_sgpr35
                                        ; implicit-def: $sgpr8_sgpr9
                                        ; implicit-def: $sgpr36_sgpr37
                                        ; implicit-def: $sgpr40_sgpr41
	s_branch .LBB995_595
.LBB995_594:                            ;   in Loop: Header=BB995_595 Depth=1
	s_or_b64 exec, exec, s[42:43]
	s_and_b64 s[42:43], exec, s[34:35]
	s_or_b64 s[28:29], s[42:43], s[28:29]
	s_andn2_b64 s[40:41], s[40:41], exec
	s_and_b64 s[42:43], s[36:37], exec
	s_or_b64 s[40:41], s[40:41], s[42:43]
	s_andn2_b64 s[30:31], s[30:31], exec
	s_and_b64 s[42:43], s[8:9], exec
	s_or_b64 s[30:31], s[30:31], s[42:43]
	s_andn2_b64 exec, exec, s[28:29]
	s_cbranch_execz .LBB995_597
.LBB995_595:                            ; =>This Inner Loop Header: Depth=1
	global_load_ubyte v10, v[4:5], off
	global_load_ubyte v11, v[6:7], off
	s_andn2_b64 s[42:43], s[8:9], exec
	s_andn2_b64 s[36:37], s[36:37], exec
	s_or_b64 s[34:35], s[34:35], exec
	s_waitcnt vmcnt(1)
	v_cmp_eq_u16_e32 vcc, 0, v10
	s_waitcnt vmcnt(0)
	v_cmp_ne_u16_e64 s[8:9], 0, v11
	s_or_b64 s[46:47], vcc, s[8:9]
	s_and_b64 s[44:45], vcc, s[8:9]
	s_xor_b64 s[48:49], vcc, s[8:9]
	s_and_b64 s[8:9], s[46:47], s[40:41]
	s_or_b64 s[44:45], s[44:45], s[8:9]
	s_and_b64 s[8:9], s[44:45], exec
	s_or_b64 s[8:9], s[42:43], s[8:9]
	s_and_saveexec_b64 s[42:43], s[48:49]
	s_cbranch_execz .LBB995_594
; %bb.596:                              ;   in Loop: Header=BB995_595 Depth=1
	s_add_u32 s38, s38, -1
	s_addc_u32 s39, s39, -1
	v_add_co_u32_e32 v4, vcc, 1, v4
	s_cmp_eq_u64 s[38:39], 0
	v_addc_co_u32_e32 v5, vcc, 0, v5, vcc
	s_cselect_b64 s[40:41], -1, 0
	v_add_co_u32_e32 v6, vcc, 1, v6
	s_andn2_b64 s[36:37], s[36:37], exec
	s_and_b64 s[44:45], s[44:45], exec
	s_andn2_b64 s[34:35], s[34:35], exec
	s_and_b64 s[40:41], s[40:41], exec
	v_addc_co_u32_e32 v7, vcc, 0, v7, vcc
	s_or_b64 s[36:37], s[36:37], s[44:45]
	s_andn2_b64 s[8:9], s[8:9], exec
	s_or_b64 s[34:35], s[34:35], s[40:41]
                                        ; implicit-def: $sgpr40_sgpr41
	s_branch .LBB995_594
.LBB995_597:
	s_or_b64 exec, exec, s[28:29]
	s_xor_b64 s[8:9], s[30:31], -1
	s_andn2_b64 s[10:11], s[10:11], exec
	s_and_b64 s[8:9], s[8:9], exec
	s_or_b64 s[10:11], s[10:11], s[8:9]
.LBB995_598:
	s_or_b64 exec, exec, s[26:27]
	v_cndmask_b32_e64 v4, v9, v8, s[10:11]
	v_cndmask_b32_e64 v5, v25, v24, s[10:11]
	v_add_u32_e32 v6, 1, v4
	v_add_u32_e32 v4, -1, v5
	v_min_u32_e32 v4, v6, v4
	v_lshl_add_u32 v4, v4, 3, v18
	ds_read_b64 v[4:5], v4
	v_cndmask_b32_e64 v9, v6, v9, s[10:11]
	v_cndmask_b32_e64 v8, v8, v6, s[10:11]
	v_cmp_lt_u32_e32 vcc, v9, v25
	s_mov_b64 s[26:27], -1
	s_waitcnt lgkmcnt(0)
	v_cndmask_b32_e64 v10, v5, v3, s[10:11]
	v_cndmask_b32_e64 v11, v4, v2, s[10:11]
	;; [unrolled: 1-line block ×4, first 2 shown]
	s_mov_b64 s[28:29], -1
	s_and_saveexec_b64 s[30:31], vcc
	s_cbranch_execz .LBB995_606
; %bb.599:
	v_cmp_lt_u32_e64 s[28:29], v8, v24
	s_and_b64 s[8:9], s[28:29], s[20:21]
	s_and_saveexec_b64 s[34:35], s[8:9]
	s_cbranch_execz .LBB995_605
; %bb.600:
	v_pk_mov_b32 v[6:7], s[14:15], s[14:15] op_sel:[0,1]
	v_mad_u64_u32 v[4:5], s[8:9], v11, s12, v[6:7]
	v_mul_lo_u32 v28, v11, s13
	v_mul_lo_u32 v29, v10, s12
	v_add3_u32 v5, v29, v5, v28
	v_mad_u64_u32 v[6:7], s[8:9], v27, s12, v[6:7]
	v_mul_lo_u32 v28, v27, s13
	v_mul_lo_u32 v29, v26, s12
	v_add3_u32 v7, v29, v7, v28
	s_mov_b64 s[36:37], 0
	s_mov_b64 s[44:45], s[12:13]
                                        ; implicit-def: $sgpr38_sgpr39
                                        ; implicit-def: $sgpr40_sgpr41
                                        ; implicit-def: $sgpr8_sgpr9
                                        ; implicit-def: $sgpr42_sgpr43
                                        ; implicit-def: $sgpr46_sgpr47
	s_branch .LBB995_602
.LBB995_601:                            ;   in Loop: Header=BB995_602 Depth=1
	s_or_b64 exec, exec, s[48:49]
	s_and_b64 s[48:49], exec, s[40:41]
	s_or_b64 s[36:37], s[48:49], s[36:37]
	s_andn2_b64 s[46:47], s[46:47], exec
	s_and_b64 s[48:49], s[42:43], exec
	s_or_b64 s[46:47], s[46:47], s[48:49]
	s_andn2_b64 s[38:39], s[38:39], exec
	s_and_b64 s[48:49], s[8:9], exec
	s_or_b64 s[38:39], s[38:39], s[48:49]
	s_andn2_b64 exec, exec, s[36:37]
	s_cbranch_execz .LBB995_604
.LBB995_602:                            ; =>This Inner Loop Header: Depth=1
	global_load_ubyte v28, v[4:5], off
	global_load_ubyte v29, v[6:7], off
	s_andn2_b64 s[48:49], s[8:9], exec
	s_andn2_b64 s[42:43], s[42:43], exec
	s_or_b64 s[40:41], s[40:41], exec
	s_waitcnt vmcnt(1)
	v_cmp_eq_u16_e32 vcc, 0, v28
	s_waitcnt vmcnt(0)
	v_cmp_ne_u16_e64 s[8:9], 0, v29
	s_or_b64 s[52:53], vcc, s[8:9]
	s_and_b64 s[50:51], vcc, s[8:9]
	s_xor_b64 s[54:55], vcc, s[8:9]
	s_and_b64 s[8:9], s[52:53], s[46:47]
	s_or_b64 s[50:51], s[50:51], s[8:9]
	s_and_b64 s[8:9], s[50:51], exec
	s_or_b64 s[8:9], s[48:49], s[8:9]
	s_and_saveexec_b64 s[48:49], s[54:55]
	s_cbranch_execz .LBB995_601
; %bb.603:                              ;   in Loop: Header=BB995_602 Depth=1
	s_add_u32 s44, s44, -1
	s_addc_u32 s45, s45, -1
	v_add_co_u32_e32 v4, vcc, 1, v4
	s_cmp_eq_u64 s[44:45], 0
	v_addc_co_u32_e32 v5, vcc, 0, v5, vcc
	s_cselect_b64 s[46:47], -1, 0
	v_add_co_u32_e32 v6, vcc, 1, v6
	s_andn2_b64 s[42:43], s[42:43], exec
	s_and_b64 s[50:51], s[50:51], exec
	s_andn2_b64 s[40:41], s[40:41], exec
	s_and_b64 s[46:47], s[46:47], exec
	v_addc_co_u32_e32 v7, vcc, 0, v7, vcc
	s_or_b64 s[42:43], s[42:43], s[50:51]
	s_andn2_b64 s[8:9], s[8:9], exec
	s_or_b64 s[40:41], s[40:41], s[46:47]
                                        ; implicit-def: $sgpr46_sgpr47
	s_branch .LBB995_601
.LBB995_604:
	s_or_b64 exec, exec, s[36:37]
	s_xor_b64 s[8:9], s[38:39], -1
	s_andn2_b64 s[28:29], s[28:29], exec
	s_and_b64 s[8:9], s[8:9], exec
	s_or_b64 s[28:29], s[28:29], s[8:9]
.LBB995_605:
	s_or_b64 exec, exec, s[34:35]
	s_orn2_b64 s[28:29], s[28:29], exec
.LBB995_606:
	s_or_b64 exec, exec, s[30:31]
	v_cndmask_b32_e64 v4, v9, v8, s[28:29]
	v_cndmask_b32_e64 v5, v25, v24, s[28:29]
	v_add_u32_e32 v6, 1, v4
	v_add_u32_e32 v4, -1, v5
	v_min_u32_e32 v4, v6, v4
	v_lshl_add_u32 v4, v4, 3, v18
	ds_read_b64 v[4:5], v4
	v_cndmask_b32_e64 v9, v6, v9, s[28:29]
	v_cndmask_b32_e64 v8, v8, v6, s[28:29]
	v_cmp_lt_u32_e32 vcc, v9, v25
	s_waitcnt lgkmcnt(0)
	v_cndmask_b32_e64 v28, v5, v10, s[28:29]
	v_cndmask_b32_e64 v29, v4, v11, s[28:29]
	;; [unrolled: 1-line block ×4, first 2 shown]
	s_and_saveexec_b64 s[30:31], vcc
	s_cbranch_execz .LBB995_614
; %bb.607:
	v_cmp_lt_u32_e64 s[26:27], v8, v24
	s_and_b64 s[8:9], s[26:27], s[20:21]
	s_and_saveexec_b64 s[34:35], s[8:9]
	s_cbranch_execz .LBB995_613
; %bb.608:
	v_pk_mov_b32 v[6:7], s[14:15], s[14:15] op_sel:[0,1]
	v_mad_u64_u32 v[4:5], s[8:9], v29, s12, v[6:7]
	v_mul_lo_u32 v32, v29, s13
	v_mul_lo_u32 v33, v28, s12
	v_add3_u32 v5, v33, v5, v32
	v_mad_u64_u32 v[6:7], s[8:9], v31, s12, v[6:7]
	v_mul_lo_u32 v32, v31, s13
	v_mul_lo_u32 v33, v30, s12
	v_add3_u32 v7, v33, v7, v32
	s_mov_b64 s[36:37], 0
	s_mov_b64 s[44:45], s[12:13]
                                        ; implicit-def: $sgpr38_sgpr39
                                        ; implicit-def: $sgpr40_sgpr41
                                        ; implicit-def: $sgpr8_sgpr9
                                        ; implicit-def: $sgpr42_sgpr43
                                        ; implicit-def: $sgpr46_sgpr47
	s_branch .LBB995_610
.LBB995_609:                            ;   in Loop: Header=BB995_610 Depth=1
	s_or_b64 exec, exec, s[48:49]
	s_and_b64 s[48:49], exec, s[40:41]
	s_or_b64 s[36:37], s[48:49], s[36:37]
	s_andn2_b64 s[46:47], s[46:47], exec
	s_and_b64 s[48:49], s[42:43], exec
	s_or_b64 s[46:47], s[46:47], s[48:49]
	s_andn2_b64 s[38:39], s[38:39], exec
	s_and_b64 s[48:49], s[8:9], exec
	s_or_b64 s[38:39], s[38:39], s[48:49]
	s_andn2_b64 exec, exec, s[36:37]
	s_cbranch_execz .LBB995_612
.LBB995_610:                            ; =>This Inner Loop Header: Depth=1
	global_load_ubyte v32, v[4:5], off
	global_load_ubyte v33, v[6:7], off
	s_andn2_b64 s[48:49], s[8:9], exec
	s_andn2_b64 s[42:43], s[42:43], exec
	s_or_b64 s[40:41], s[40:41], exec
	s_waitcnt vmcnt(1)
	v_cmp_eq_u16_e32 vcc, 0, v32
	s_waitcnt vmcnt(0)
	v_cmp_ne_u16_e64 s[8:9], 0, v33
	s_or_b64 s[52:53], vcc, s[8:9]
	s_and_b64 s[50:51], vcc, s[8:9]
	s_xor_b64 s[54:55], vcc, s[8:9]
	s_and_b64 s[8:9], s[52:53], s[46:47]
	s_or_b64 s[50:51], s[50:51], s[8:9]
	s_and_b64 s[8:9], s[50:51], exec
	s_or_b64 s[8:9], s[48:49], s[8:9]
	s_and_saveexec_b64 s[48:49], s[54:55]
	s_cbranch_execz .LBB995_609
; %bb.611:                              ;   in Loop: Header=BB995_610 Depth=1
	s_add_u32 s44, s44, -1
	s_addc_u32 s45, s45, -1
	v_add_co_u32_e32 v4, vcc, 1, v4
	s_cmp_eq_u64 s[44:45], 0
	v_addc_co_u32_e32 v5, vcc, 0, v5, vcc
	s_cselect_b64 s[46:47], -1, 0
	v_add_co_u32_e32 v6, vcc, 1, v6
	s_andn2_b64 s[42:43], s[42:43], exec
	s_and_b64 s[50:51], s[50:51], exec
	s_andn2_b64 s[40:41], s[40:41], exec
	s_and_b64 s[46:47], s[46:47], exec
	v_addc_co_u32_e32 v7, vcc, 0, v7, vcc
	s_or_b64 s[42:43], s[42:43], s[50:51]
	s_andn2_b64 s[8:9], s[8:9], exec
	s_or_b64 s[40:41], s[40:41], s[46:47]
                                        ; implicit-def: $sgpr46_sgpr47
	s_branch .LBB995_609
.LBB995_612:
	s_or_b64 exec, exec, s[36:37]
	s_xor_b64 s[8:9], s[38:39], -1
	s_andn2_b64 s[26:27], s[26:27], exec
	s_and_b64 s[8:9], s[8:9], exec
	s_or_b64 s[26:27], s[26:27], s[8:9]
.LBB995_613:
	s_or_b64 exec, exec, s[34:35]
	s_orn2_b64 s[26:27], s[26:27], exec
.LBB995_614:
	s_or_b64 exec, exec, s[30:31]
	v_cndmask_b32_e64 v4, v9, v8, s[26:27]
	v_cndmask_b32_e64 v5, v25, v24, s[26:27]
	v_add_u32_e32 v33, 1, v4
	v_add_u32_e32 v4, -1, v5
	v_min_u32_e32 v4, v33, v4
	v_lshl_add_u32 v4, v4, 3, v18
	ds_read_b64 v[4:5], v4
	v_cndmask_b32_e64 v9, v33, v9, s[26:27]
	v_cmp_lt_u32_e32 vcc, v9, v25
	s_waitcnt lgkmcnt(0)
	v_cndmask_b32_e64 v7, v30, v5, s[26:27]
	v_cndmask_b32_e64 v6, v31, v4, s[26:27]
	s_and_saveexec_b64 s[30:31], vcc
	s_cbranch_execz .LBB995_622
; %bb.615:
	v_cndmask_b32_e64 v32, v4, v29, s[26:27]
	v_cndmask_b32_e64 v4, v8, v33, s[26:27]
	v_cmp_ge_u32_e32 vcc, v4, v24
	v_cndmask_b32_e64 v25, v5, v28, s[26:27]
	s_or_b64 s[8:9], vcc, s[18:19]
	v_cndmask_b32_e32 v5, v7, v25, vcc
	s_xor_b64 s[8:9], s[8:9], -1
	v_cndmask_b32_e32 v4, v6, v32, vcc
	s_and_saveexec_b64 s[34:35], s[8:9]
	s_cbranch_execz .LBB995_621
; %bb.616:
	v_pk_mov_b32 v[8:9], s[14:15], s[14:15] op_sel:[0,1]
	v_mad_u64_u32 v[4:5], s[8:9], v32, s12, v[8:9]
	v_mul_lo_u32 v24, v32, s13
	v_mul_lo_u32 v33, v25, s12
	v_add3_u32 v5, v33, v5, v24
	v_mad_u64_u32 v[8:9], s[8:9], v6, s12, v[8:9]
	v_mul_lo_u32 v24, v6, s13
	v_mul_lo_u32 v33, v7, s12
	v_add3_u32 v9, v33, v9, v24
	s_mov_b64 s[36:37], 0
	s_mov_b64 s[44:45], s[12:13]
                                        ; implicit-def: $sgpr38_sgpr39
                                        ; implicit-def: $sgpr40_sgpr41
                                        ; implicit-def: $sgpr8_sgpr9
                                        ; implicit-def: $sgpr42_sgpr43
                                        ; implicit-def: $sgpr46_sgpr47
	s_branch .LBB995_618
.LBB995_617:                            ;   in Loop: Header=BB995_618 Depth=1
	s_or_b64 exec, exec, s[48:49]
	s_and_b64 s[48:49], exec, s[40:41]
	s_or_b64 s[36:37], s[48:49], s[36:37]
	s_andn2_b64 s[46:47], s[46:47], exec
	s_and_b64 s[48:49], s[42:43], exec
	s_or_b64 s[46:47], s[46:47], s[48:49]
	s_andn2_b64 s[38:39], s[38:39], exec
	s_and_b64 s[48:49], s[8:9], exec
	s_or_b64 s[38:39], s[38:39], s[48:49]
	s_andn2_b64 exec, exec, s[36:37]
	s_cbranch_execz .LBB995_620
.LBB995_618:                            ; =>This Inner Loop Header: Depth=1
	global_load_ubyte v24, v[4:5], off
	global_load_ubyte v33, v[8:9], off
	s_andn2_b64 s[48:49], s[8:9], exec
	s_andn2_b64 s[42:43], s[42:43], exec
	s_or_b64 s[40:41], s[40:41], exec
	s_waitcnt vmcnt(1)
	v_cmp_eq_u16_e32 vcc, 0, v24
	s_waitcnt vmcnt(0)
	v_cmp_ne_u16_e64 s[8:9], 0, v33
	s_or_b64 s[52:53], vcc, s[8:9]
	s_and_b64 s[50:51], vcc, s[8:9]
	s_xor_b64 s[54:55], vcc, s[8:9]
	s_and_b64 s[8:9], s[52:53], s[46:47]
	s_or_b64 s[50:51], s[50:51], s[8:9]
	s_and_b64 s[8:9], s[50:51], exec
	s_or_b64 s[8:9], s[48:49], s[8:9]
	s_and_saveexec_b64 s[48:49], s[54:55]
	s_cbranch_execz .LBB995_617
; %bb.619:                              ;   in Loop: Header=BB995_618 Depth=1
	s_add_u32 s44, s44, -1
	s_addc_u32 s45, s45, -1
	v_add_co_u32_e32 v4, vcc, 1, v4
	s_cmp_eq_u64 s[44:45], 0
	v_addc_co_u32_e32 v5, vcc, 0, v5, vcc
	s_cselect_b64 s[46:47], -1, 0
	v_add_co_u32_e32 v8, vcc, 1, v8
	s_andn2_b64 s[42:43], s[42:43], exec
	s_and_b64 s[50:51], s[50:51], exec
	s_andn2_b64 s[40:41], s[40:41], exec
	s_and_b64 s[46:47], s[46:47], exec
	v_addc_co_u32_e32 v9, vcc, 0, v9, vcc
	s_or_b64 s[42:43], s[42:43], s[50:51]
	s_andn2_b64 s[8:9], s[8:9], exec
	s_or_b64 s[40:41], s[40:41], s[46:47]
                                        ; implicit-def: $sgpr46_sgpr47
	s_branch .LBB995_617
.LBB995_620:
	s_or_b64 exec, exec, s[36:37]
	v_cndmask_b32_e64 v5, v7, v25, s[38:39]
	v_cndmask_b32_e64 v4, v6, v32, s[38:39]
.LBB995_621:
	s_or_b64 exec, exec, s[34:35]
	v_pk_mov_b32 v[6:7], v[4:5], v[4:5] op_sel:[0,1]
.LBB995_622:
	s_or_b64 exec, exec, s[30:31]
	v_cndmask_b32_e64 v1, v3, v1, s[10:11]
	v_cndmask_b32_e64 v0, v2, v0, s[10:11]
	;; [unrolled: 1-line block ×6, first 2 shown]
.LBB995_623:
	s_or_b64 exec, exec, s[22:23]
	v_and_b32_e32 v25, 0x1c0, v20
	v_or_b32_e32 v8, 32, v25
	; wave barrier
	ds_write_b128 v21, v[0:3]
	ds_write_b128 v21, v[4:7] offset:16
	v_min_u32_e32 v21, v19, v8
	v_add_u32_e32 v8, 32, v21
	v_min_u32_e32 v24, v19, v8
	v_and_b32_e32 v8, 60, v20
	v_min_u32_e32 v26, v19, v8
	v_sub_u32_e32 v8, v21, v25
	v_sub_u32_e32 v9, v24, v21
	v_sub_u32_e64 v20, v26, v9 clamp
	v_min_u32_e32 v27, v26, v8
	v_lshl_add_u32 v19, v25, 3, v18
	v_cmp_lt_u32_e32 vcc, v20, v27
	; wave barrier
	s_and_saveexec_b64 s[10:11], vcc
	s_cbranch_execz .LBB995_633
; %bb.624:
	v_lshlrev_b32_e32 v8, 3, v21
	v_lshlrev_b32_e32 v9, 3, v26
	v_add3_u32 v28, v18, v8, v9
	s_mov_b64 s[22:23], 0
	s_branch .LBB995_627
.LBB995_625:                            ;   in Loop: Header=BB995_627 Depth=1
	s_or_b64 exec, exec, s[28:29]
.LBB995_626:                            ;   in Loop: Header=BB995_627 Depth=1
	v_add_u32_e32 v8, 1, v29
	v_cndmask_b32_e64 v27, v27, v29, s[26:27]
	v_cndmask_b32_e64 v20, v8, v20, s[26:27]
	v_cmp_ge_u32_e32 vcc, v20, v27
	s_or_b64 s[22:23], vcc, s[22:23]
	s_andn2_b64 exec, exec, s[22:23]
	s_cbranch_execz .LBB995_632
.LBB995_627:                            ; =>This Loop Header: Depth=1
                                        ;     Child Loop BB995_630 Depth 2
	v_add_u32_e32 v8, v27, v20
	v_lshrrev_b32_e32 v29, 1, v8
	s_and_b64 vcc, exec, s[6:7]
	s_mov_b64 s[26:27], 0
	s_cbranch_vccnz .LBB995_626
; %bb.628:                              ;   in Loop: Header=BB995_627 Depth=1
	v_not_b32_e32 v8, v29
	v_lshl_add_u32 v8, v8, 3, v28
	ds_read_b64 v[8:9], v8
	v_lshl_add_u32 v30, v29, 3, v19
	ds_read_b64 v[30:31], v30
	v_pk_mov_b32 v[10:11], s[14:15], s[14:15] op_sel:[0,1]
	s_mov_b64 s[28:29], 0
	s_waitcnt lgkmcnt(1)
	v_mul_lo_u32 v32, v8, s13
	v_mul_lo_u32 v33, v9, s12
	v_mad_u64_u32 v[8:9], s[8:9], v8, s12, v[10:11]
	v_add3_u32 v9, v33, v9, v32
	s_waitcnt lgkmcnt(0)
	v_mul_lo_u32 v32, v30, s13
	v_mul_lo_u32 v31, v31, s12
	v_mad_u64_u32 v[10:11], s[8:9], v30, s12, v[10:11]
	v_add3_u32 v11, v31, v11, v32
	s_mov_b64 s[36:37], s[12:13]
                                        ; implicit-def: $sgpr26_sgpr27
                                        ; implicit-def: $sgpr30_sgpr31
                                        ; implicit-def: $sgpr34_sgpr35
                                        ; implicit-def: $sgpr8_sgpr9
                                        ; implicit-def: $sgpr38_sgpr39
	s_branch .LBB995_630
.LBB995_629:                            ;   in Loop: Header=BB995_630 Depth=2
	s_or_b64 exec, exec, s[40:41]
	s_and_b64 s[40:41], exec, s[30:31]
	s_or_b64 s[28:29], s[40:41], s[28:29]
	s_andn2_b64 s[38:39], s[38:39], exec
	s_and_b64 s[40:41], s[34:35], exec
	s_or_b64 s[38:39], s[38:39], s[40:41]
	s_andn2_b64 s[26:27], s[26:27], exec
	s_and_b64 s[40:41], s[8:9], exec
	s_or_b64 s[26:27], s[26:27], s[40:41]
	s_andn2_b64 exec, exec, s[28:29]
	s_cbranch_execz .LBB995_625
.LBB995_630:                            ;   Parent Loop BB995_627 Depth=1
                                        ; =>  This Inner Loop Header: Depth=2
	global_load_ubyte v30, v[8:9], off
	global_load_ubyte v31, v[10:11], off
	s_andn2_b64 s[40:41], s[8:9], exec
	s_andn2_b64 s[34:35], s[34:35], exec
	s_or_b64 s[30:31], s[30:31], exec
	s_waitcnt vmcnt(1)
	v_cmp_eq_u16_e32 vcc, 0, v30
	s_waitcnt vmcnt(0)
	v_cmp_ne_u16_e64 s[8:9], 0, v31
	s_or_b64 s[44:45], vcc, s[8:9]
	s_and_b64 s[42:43], vcc, s[8:9]
	s_xor_b64 s[46:47], vcc, s[8:9]
	s_and_b64 s[8:9], s[44:45], s[38:39]
	s_or_b64 s[42:43], s[42:43], s[8:9]
	s_and_b64 s[8:9], s[42:43], exec
	s_or_b64 s[8:9], s[40:41], s[8:9]
	s_and_saveexec_b64 s[40:41], s[46:47]
	s_cbranch_execz .LBB995_629
; %bb.631:                              ;   in Loop: Header=BB995_630 Depth=2
	s_add_u32 s36, s36, -1
	s_addc_u32 s37, s37, -1
	v_add_co_u32_e32 v8, vcc, 1, v8
	s_cmp_eq_u64 s[36:37], 0
	v_addc_co_u32_e32 v9, vcc, 0, v9, vcc
	s_cselect_b64 s[38:39], -1, 0
	v_add_co_u32_e32 v10, vcc, 1, v10
	s_andn2_b64 s[34:35], s[34:35], exec
	s_and_b64 s[42:43], s[42:43], exec
	s_andn2_b64 s[30:31], s[30:31], exec
	s_and_b64 s[38:39], s[38:39], exec
	v_addc_co_u32_e32 v11, vcc, 0, v11, vcc
	s_andn2_b64 s[8:9], s[8:9], exec
	s_or_b64 s[34:35], s[34:35], s[42:43]
	s_or_b64 s[30:31], s[30:31], s[38:39]
                                        ; implicit-def: $sgpr38_sgpr39
	s_branch .LBB995_629
.LBB995_632:
	s_or_b64 exec, exec, s[22:23]
.LBB995_633:
	s_or_b64 exec, exec, s[10:11]
	v_add_u32_e32 v9, v21, v26
	v_add_u32_e32 v8, v20, v25
	v_sub_u32_e32 v9, v9, v20
	v_cmp_le_u32_e32 vcc, v8, v21
	v_cmp_le_u32_e64 s[8:9], v9, v24
	s_or_b64 s[8:9], vcc, s[8:9]
	s_and_saveexec_b64 s[22:23], s[8:9]
	s_cbranch_execz .LBB995_669
; %bb.634:
	v_cmp_ge_u32_e32 vcc, v8, v21
	v_cmp_lt_u32_e64 s[8:9], v8, v21
                                        ; implicit-def: $vgpr0_vgpr1
	s_and_saveexec_b64 s[10:11], s[8:9]
	s_cbranch_execz .LBB995_636
; %bb.635:
	v_lshl_add_u32 v0, v20, 3, v19
	ds_read_b64 v[0:1], v0
.LBB995_636:
	s_or_b64 exec, exec, s[10:11]
	v_cmp_ge_u32_e64 s[8:9], v9, v24
	v_cmp_lt_u32_e64 s[10:11], v9, v24
                                        ; implicit-def: $vgpr2_vgpr3
	s_and_saveexec_b64 s[26:27], s[10:11]
	s_cbranch_execz .LBB995_638
; %bb.637:
	v_lshl_add_u32 v2, v9, 3, v18
	ds_read_b64 v[2:3], v2
.LBB995_638:
	s_or_b64 exec, exec, s[26:27]
	s_or_b64 s[10:11], vcc, s[8:9]
	s_or_b64 s[10:11], s[10:11], s[18:19]
	s_xor_b64 s[28:29], s[10:11], -1
	s_xor_b64 s[10:11], vcc, -1
	s_or_b64 s[10:11], s[8:9], s[10:11]
	s_and_saveexec_b64 s[26:27], s[28:29]
	s_cbranch_execz .LBB995_644
; %bb.639:
	v_pk_mov_b32 v[6:7], s[14:15], s[14:15] op_sel:[0,1]
	s_waitcnt lgkmcnt(0)
	v_mad_u64_u32 v[4:5], s[8:9], v2, s12, v[6:7]
	v_mul_lo_u32 v10, v2, s13
	v_mul_lo_u32 v11, v3, s12
	v_add3_u32 v5, v11, v5, v10
	v_mad_u64_u32 v[6:7], s[8:9], v0, s12, v[6:7]
	v_mul_lo_u32 v10, v0, s13
	v_mul_lo_u32 v11, v1, s12
	v_add3_u32 v7, v11, v7, v10
	s_mov_b64 s[28:29], 0
	s_mov_b64 s[38:39], s[12:13]
                                        ; implicit-def: $sgpr30_sgpr31
                                        ; implicit-def: $sgpr34_sgpr35
                                        ; implicit-def: $sgpr8_sgpr9
                                        ; implicit-def: $sgpr36_sgpr37
                                        ; implicit-def: $sgpr40_sgpr41
	s_branch .LBB995_641
.LBB995_640:                            ;   in Loop: Header=BB995_641 Depth=1
	s_or_b64 exec, exec, s[42:43]
	s_and_b64 s[42:43], exec, s[34:35]
	s_or_b64 s[28:29], s[42:43], s[28:29]
	s_andn2_b64 s[40:41], s[40:41], exec
	s_and_b64 s[42:43], s[36:37], exec
	s_or_b64 s[40:41], s[40:41], s[42:43]
	s_andn2_b64 s[30:31], s[30:31], exec
	s_and_b64 s[42:43], s[8:9], exec
	s_or_b64 s[30:31], s[30:31], s[42:43]
	s_andn2_b64 exec, exec, s[28:29]
	s_cbranch_execz .LBB995_643
.LBB995_641:                            ; =>This Inner Loop Header: Depth=1
	global_load_ubyte v10, v[4:5], off
	global_load_ubyte v11, v[6:7], off
	s_andn2_b64 s[42:43], s[8:9], exec
	s_andn2_b64 s[36:37], s[36:37], exec
	s_or_b64 s[34:35], s[34:35], exec
	s_waitcnt vmcnt(1)
	v_cmp_eq_u16_e32 vcc, 0, v10
	s_waitcnt vmcnt(0)
	v_cmp_ne_u16_e64 s[8:9], 0, v11
	s_or_b64 s[46:47], vcc, s[8:9]
	s_and_b64 s[44:45], vcc, s[8:9]
	s_xor_b64 s[48:49], vcc, s[8:9]
	s_and_b64 s[8:9], s[46:47], s[40:41]
	s_or_b64 s[44:45], s[44:45], s[8:9]
	s_and_b64 s[8:9], s[44:45], exec
	s_or_b64 s[8:9], s[42:43], s[8:9]
	s_and_saveexec_b64 s[42:43], s[48:49]
	s_cbranch_execz .LBB995_640
; %bb.642:                              ;   in Loop: Header=BB995_641 Depth=1
	s_add_u32 s38, s38, -1
	s_addc_u32 s39, s39, -1
	v_add_co_u32_e32 v4, vcc, 1, v4
	s_cmp_eq_u64 s[38:39], 0
	v_addc_co_u32_e32 v5, vcc, 0, v5, vcc
	s_cselect_b64 s[40:41], -1, 0
	v_add_co_u32_e32 v6, vcc, 1, v6
	s_andn2_b64 s[36:37], s[36:37], exec
	s_and_b64 s[44:45], s[44:45], exec
	s_andn2_b64 s[34:35], s[34:35], exec
	s_and_b64 s[40:41], s[40:41], exec
	v_addc_co_u32_e32 v7, vcc, 0, v7, vcc
	s_or_b64 s[36:37], s[36:37], s[44:45]
	s_andn2_b64 s[8:9], s[8:9], exec
	s_or_b64 s[34:35], s[34:35], s[40:41]
                                        ; implicit-def: $sgpr40_sgpr41
	s_branch .LBB995_640
.LBB995_643:
	s_or_b64 exec, exec, s[28:29]
	s_xor_b64 s[8:9], s[30:31], -1
	s_andn2_b64 s[10:11], s[10:11], exec
	s_and_b64 s[8:9], s[8:9], exec
	s_or_b64 s[10:11], s[10:11], s[8:9]
.LBB995_644:
	s_or_b64 exec, exec, s[26:27]
	v_cndmask_b32_e64 v4, v9, v8, s[10:11]
	v_cndmask_b32_e64 v5, v24, v21, s[10:11]
	v_add_u32_e32 v6, 1, v4
	v_add_u32_e32 v4, -1, v5
	v_min_u32_e32 v4, v6, v4
	v_lshl_add_u32 v4, v4, 3, v18
	ds_read_b64 v[4:5], v4
	v_cndmask_b32_e64 v9, v6, v9, s[10:11]
	v_cndmask_b32_e64 v8, v8, v6, s[10:11]
	v_cmp_lt_u32_e32 vcc, v9, v24
	s_mov_b64 s[26:27], -1
	s_waitcnt lgkmcnt(0)
	v_cndmask_b32_e64 v10, v5, v3, s[10:11]
	v_cndmask_b32_e64 v11, v4, v2, s[10:11]
	;; [unrolled: 1-line block ×4, first 2 shown]
	s_mov_b64 s[28:29], -1
	s_and_saveexec_b64 s[30:31], vcc
	s_cbranch_execz .LBB995_652
; %bb.645:
	v_cmp_lt_u32_e64 s[28:29], v8, v21
	s_and_b64 s[8:9], s[28:29], s[20:21]
	s_and_saveexec_b64 s[34:35], s[8:9]
	s_cbranch_execz .LBB995_651
; %bb.646:
	v_pk_mov_b32 v[6:7], s[14:15], s[14:15] op_sel:[0,1]
	v_mad_u64_u32 v[4:5], s[8:9], v11, s12, v[6:7]
	v_mul_lo_u32 v25, v11, s13
	v_mul_lo_u32 v26, v10, s12
	v_add3_u32 v5, v26, v5, v25
	v_mad_u64_u32 v[6:7], s[8:9], v20, s12, v[6:7]
	v_mul_lo_u32 v25, v20, s13
	v_mul_lo_u32 v26, v19, s12
	v_add3_u32 v7, v26, v7, v25
	s_mov_b64 s[36:37], 0
	s_mov_b64 s[44:45], s[12:13]
                                        ; implicit-def: $sgpr38_sgpr39
                                        ; implicit-def: $sgpr40_sgpr41
                                        ; implicit-def: $sgpr8_sgpr9
                                        ; implicit-def: $sgpr42_sgpr43
                                        ; implicit-def: $sgpr46_sgpr47
	s_branch .LBB995_648
.LBB995_647:                            ;   in Loop: Header=BB995_648 Depth=1
	s_or_b64 exec, exec, s[48:49]
	s_and_b64 s[48:49], exec, s[40:41]
	s_or_b64 s[36:37], s[48:49], s[36:37]
	s_andn2_b64 s[46:47], s[46:47], exec
	s_and_b64 s[48:49], s[42:43], exec
	s_or_b64 s[46:47], s[46:47], s[48:49]
	s_andn2_b64 s[38:39], s[38:39], exec
	s_and_b64 s[48:49], s[8:9], exec
	s_or_b64 s[38:39], s[38:39], s[48:49]
	s_andn2_b64 exec, exec, s[36:37]
	s_cbranch_execz .LBB995_650
.LBB995_648:                            ; =>This Inner Loop Header: Depth=1
	global_load_ubyte v25, v[4:5], off
	global_load_ubyte v26, v[6:7], off
	s_andn2_b64 s[48:49], s[8:9], exec
	s_andn2_b64 s[42:43], s[42:43], exec
	s_or_b64 s[40:41], s[40:41], exec
	s_waitcnt vmcnt(1)
	v_cmp_eq_u16_e32 vcc, 0, v25
	s_waitcnt vmcnt(0)
	v_cmp_ne_u16_e64 s[8:9], 0, v26
	s_or_b64 s[52:53], vcc, s[8:9]
	s_and_b64 s[50:51], vcc, s[8:9]
	s_xor_b64 s[54:55], vcc, s[8:9]
	s_and_b64 s[8:9], s[52:53], s[46:47]
	s_or_b64 s[50:51], s[50:51], s[8:9]
	s_and_b64 s[8:9], s[50:51], exec
	s_or_b64 s[8:9], s[48:49], s[8:9]
	s_and_saveexec_b64 s[48:49], s[54:55]
	s_cbranch_execz .LBB995_647
; %bb.649:                              ;   in Loop: Header=BB995_648 Depth=1
	s_add_u32 s44, s44, -1
	s_addc_u32 s45, s45, -1
	v_add_co_u32_e32 v4, vcc, 1, v4
	s_cmp_eq_u64 s[44:45], 0
	v_addc_co_u32_e32 v5, vcc, 0, v5, vcc
	s_cselect_b64 s[46:47], -1, 0
	v_add_co_u32_e32 v6, vcc, 1, v6
	s_andn2_b64 s[42:43], s[42:43], exec
	s_and_b64 s[50:51], s[50:51], exec
	s_andn2_b64 s[40:41], s[40:41], exec
	s_and_b64 s[46:47], s[46:47], exec
	v_addc_co_u32_e32 v7, vcc, 0, v7, vcc
	s_or_b64 s[42:43], s[42:43], s[50:51]
	s_andn2_b64 s[8:9], s[8:9], exec
	s_or_b64 s[40:41], s[40:41], s[46:47]
                                        ; implicit-def: $sgpr46_sgpr47
	s_branch .LBB995_647
.LBB995_650:
	s_or_b64 exec, exec, s[36:37]
	s_xor_b64 s[8:9], s[38:39], -1
	s_andn2_b64 s[28:29], s[28:29], exec
	s_and_b64 s[8:9], s[8:9], exec
	s_or_b64 s[28:29], s[28:29], s[8:9]
.LBB995_651:
	s_or_b64 exec, exec, s[34:35]
	s_orn2_b64 s[28:29], s[28:29], exec
.LBB995_652:
	s_or_b64 exec, exec, s[30:31]
	v_cndmask_b32_e64 v4, v9, v8, s[28:29]
	v_cndmask_b32_e64 v5, v24, v21, s[28:29]
	v_add_u32_e32 v6, 1, v4
	v_add_u32_e32 v4, -1, v5
	v_min_u32_e32 v4, v6, v4
	v_lshl_add_u32 v4, v4, 3, v18
	ds_read_b64 v[4:5], v4
	v_cndmask_b32_e64 v9, v6, v9, s[28:29]
	v_cndmask_b32_e64 v8, v8, v6, s[28:29]
	v_cmp_lt_u32_e32 vcc, v9, v24
	s_waitcnt lgkmcnt(0)
	v_cndmask_b32_e64 v25, v5, v10, s[28:29]
	v_cndmask_b32_e64 v26, v4, v11, s[28:29]
	;; [unrolled: 1-line block ×4, first 2 shown]
	s_and_saveexec_b64 s[30:31], vcc
	s_cbranch_execz .LBB995_660
; %bb.653:
	v_cmp_lt_u32_e64 s[26:27], v8, v21
	s_and_b64 s[8:9], s[26:27], s[20:21]
	s_and_saveexec_b64 s[34:35], s[8:9]
	s_cbranch_execz .LBB995_659
; %bb.654:
	v_pk_mov_b32 v[6:7], s[14:15], s[14:15] op_sel:[0,1]
	v_mad_u64_u32 v[4:5], s[8:9], v26, s12, v[6:7]
	v_mul_lo_u32 v29, v26, s13
	v_mul_lo_u32 v30, v25, s12
	v_add3_u32 v5, v30, v5, v29
	v_mad_u64_u32 v[6:7], s[8:9], v28, s12, v[6:7]
	v_mul_lo_u32 v29, v28, s13
	v_mul_lo_u32 v30, v27, s12
	v_add3_u32 v7, v30, v7, v29
	s_mov_b64 s[36:37], 0
	s_mov_b64 s[44:45], s[12:13]
                                        ; implicit-def: $sgpr38_sgpr39
                                        ; implicit-def: $sgpr40_sgpr41
                                        ; implicit-def: $sgpr8_sgpr9
                                        ; implicit-def: $sgpr42_sgpr43
                                        ; implicit-def: $sgpr46_sgpr47
	s_branch .LBB995_656
.LBB995_655:                            ;   in Loop: Header=BB995_656 Depth=1
	s_or_b64 exec, exec, s[48:49]
	s_and_b64 s[48:49], exec, s[40:41]
	s_or_b64 s[36:37], s[48:49], s[36:37]
	s_andn2_b64 s[46:47], s[46:47], exec
	s_and_b64 s[48:49], s[42:43], exec
	s_or_b64 s[46:47], s[46:47], s[48:49]
	s_andn2_b64 s[38:39], s[38:39], exec
	s_and_b64 s[48:49], s[8:9], exec
	s_or_b64 s[38:39], s[38:39], s[48:49]
	s_andn2_b64 exec, exec, s[36:37]
	s_cbranch_execz .LBB995_658
.LBB995_656:                            ; =>This Inner Loop Header: Depth=1
	global_load_ubyte v29, v[4:5], off
	global_load_ubyte v30, v[6:7], off
	s_andn2_b64 s[48:49], s[8:9], exec
	s_andn2_b64 s[42:43], s[42:43], exec
	s_or_b64 s[40:41], s[40:41], exec
	s_waitcnt vmcnt(1)
	v_cmp_eq_u16_e32 vcc, 0, v29
	s_waitcnt vmcnt(0)
	v_cmp_ne_u16_e64 s[8:9], 0, v30
	s_or_b64 s[52:53], vcc, s[8:9]
	s_and_b64 s[50:51], vcc, s[8:9]
	s_xor_b64 s[54:55], vcc, s[8:9]
	s_and_b64 s[8:9], s[52:53], s[46:47]
	s_or_b64 s[50:51], s[50:51], s[8:9]
	s_and_b64 s[8:9], s[50:51], exec
	s_or_b64 s[8:9], s[48:49], s[8:9]
	s_and_saveexec_b64 s[48:49], s[54:55]
	s_cbranch_execz .LBB995_655
; %bb.657:                              ;   in Loop: Header=BB995_656 Depth=1
	s_add_u32 s44, s44, -1
	s_addc_u32 s45, s45, -1
	v_add_co_u32_e32 v4, vcc, 1, v4
	s_cmp_eq_u64 s[44:45], 0
	v_addc_co_u32_e32 v5, vcc, 0, v5, vcc
	s_cselect_b64 s[46:47], -1, 0
	v_add_co_u32_e32 v6, vcc, 1, v6
	s_andn2_b64 s[42:43], s[42:43], exec
	s_and_b64 s[50:51], s[50:51], exec
	s_andn2_b64 s[40:41], s[40:41], exec
	s_and_b64 s[46:47], s[46:47], exec
	v_addc_co_u32_e32 v7, vcc, 0, v7, vcc
	s_or_b64 s[42:43], s[42:43], s[50:51]
	s_andn2_b64 s[8:9], s[8:9], exec
	s_or_b64 s[40:41], s[40:41], s[46:47]
                                        ; implicit-def: $sgpr46_sgpr47
	s_branch .LBB995_655
.LBB995_658:
	s_or_b64 exec, exec, s[36:37]
	s_xor_b64 s[8:9], s[38:39], -1
	s_andn2_b64 s[26:27], s[26:27], exec
	s_and_b64 s[8:9], s[8:9], exec
	s_or_b64 s[26:27], s[26:27], s[8:9]
.LBB995_659:
	s_or_b64 exec, exec, s[34:35]
	s_orn2_b64 s[26:27], s[26:27], exec
.LBB995_660:
	s_or_b64 exec, exec, s[30:31]
	v_cndmask_b32_e64 v4, v9, v8, s[26:27]
	v_cndmask_b32_e64 v5, v24, v21, s[26:27]
	v_add_u32_e32 v29, 1, v4
	v_add_u32_e32 v4, -1, v5
	v_min_u32_e32 v4, v29, v4
	v_lshl_add_u32 v4, v4, 3, v18
	ds_read_b64 v[4:5], v4
	v_cndmask_b32_e64 v9, v29, v9, s[26:27]
	v_cmp_lt_u32_e32 vcc, v9, v24
	s_waitcnt lgkmcnt(0)
	v_cndmask_b32_e64 v7, v27, v5, s[26:27]
	v_cndmask_b32_e64 v6, v28, v4, s[26:27]
	s_and_saveexec_b64 s[30:31], vcc
	s_cbranch_execz .LBB995_668
; %bb.661:
	v_cndmask_b32_e64 v24, v4, v26, s[26:27]
	v_cndmask_b32_e64 v4, v8, v29, s[26:27]
	v_cmp_ge_u32_e32 vcc, v4, v21
	v_cndmask_b32_e64 v18, v5, v25, s[26:27]
	s_or_b64 s[8:9], vcc, s[18:19]
	v_cndmask_b32_e32 v5, v7, v18, vcc
	s_xor_b64 s[8:9], s[8:9], -1
	v_cndmask_b32_e32 v4, v6, v24, vcc
	s_and_saveexec_b64 s[34:35], s[8:9]
	s_cbranch_execz .LBB995_667
; %bb.662:
	v_pk_mov_b32 v[8:9], s[14:15], s[14:15] op_sel:[0,1]
	v_mad_u64_u32 v[4:5], s[8:9], v24, s12, v[8:9]
	v_mul_lo_u32 v21, v24, s13
	v_mul_lo_u32 v29, v18, s12
	v_add3_u32 v5, v29, v5, v21
	v_mad_u64_u32 v[8:9], s[8:9], v6, s12, v[8:9]
	v_mul_lo_u32 v21, v6, s13
	v_mul_lo_u32 v29, v7, s12
	v_add3_u32 v9, v29, v9, v21
	s_mov_b64 s[36:37], 0
	s_mov_b64 s[44:45], s[12:13]
                                        ; implicit-def: $sgpr38_sgpr39
                                        ; implicit-def: $sgpr40_sgpr41
                                        ; implicit-def: $sgpr8_sgpr9
                                        ; implicit-def: $sgpr42_sgpr43
                                        ; implicit-def: $sgpr46_sgpr47
	s_branch .LBB995_664
.LBB995_663:                            ;   in Loop: Header=BB995_664 Depth=1
	s_or_b64 exec, exec, s[48:49]
	s_and_b64 s[48:49], exec, s[40:41]
	s_or_b64 s[36:37], s[48:49], s[36:37]
	s_andn2_b64 s[46:47], s[46:47], exec
	s_and_b64 s[48:49], s[42:43], exec
	s_or_b64 s[46:47], s[46:47], s[48:49]
	s_andn2_b64 s[38:39], s[38:39], exec
	s_and_b64 s[48:49], s[8:9], exec
	s_or_b64 s[38:39], s[38:39], s[48:49]
	s_andn2_b64 exec, exec, s[36:37]
	s_cbranch_execz .LBB995_666
.LBB995_664:                            ; =>This Inner Loop Header: Depth=1
	global_load_ubyte v21, v[4:5], off
	global_load_ubyte v29, v[8:9], off
	s_andn2_b64 s[48:49], s[8:9], exec
	s_andn2_b64 s[42:43], s[42:43], exec
	s_or_b64 s[40:41], s[40:41], exec
	s_waitcnt vmcnt(1)
	v_cmp_eq_u16_e32 vcc, 0, v21
	s_waitcnt vmcnt(0)
	v_cmp_ne_u16_e64 s[8:9], 0, v29
	s_or_b64 s[52:53], vcc, s[8:9]
	s_and_b64 s[50:51], vcc, s[8:9]
	s_xor_b64 s[54:55], vcc, s[8:9]
	s_and_b64 s[8:9], s[52:53], s[46:47]
	s_or_b64 s[50:51], s[50:51], s[8:9]
	s_and_b64 s[8:9], s[50:51], exec
	s_or_b64 s[8:9], s[48:49], s[8:9]
	s_and_saveexec_b64 s[48:49], s[54:55]
	s_cbranch_execz .LBB995_663
; %bb.665:                              ;   in Loop: Header=BB995_664 Depth=1
	s_add_u32 s44, s44, -1
	s_addc_u32 s45, s45, -1
	v_add_co_u32_e32 v4, vcc, 1, v4
	s_cmp_eq_u64 s[44:45], 0
	v_addc_co_u32_e32 v5, vcc, 0, v5, vcc
	s_cselect_b64 s[46:47], -1, 0
	v_add_co_u32_e32 v8, vcc, 1, v8
	s_andn2_b64 s[42:43], s[42:43], exec
	s_and_b64 s[50:51], s[50:51], exec
	s_andn2_b64 s[40:41], s[40:41], exec
	s_and_b64 s[46:47], s[46:47], exec
	v_addc_co_u32_e32 v9, vcc, 0, v9, vcc
	s_or_b64 s[42:43], s[42:43], s[50:51]
	s_andn2_b64 s[8:9], s[8:9], exec
	s_or_b64 s[40:41], s[40:41], s[46:47]
                                        ; implicit-def: $sgpr46_sgpr47
	s_branch .LBB995_663
.LBB995_666:
	s_or_b64 exec, exec, s[36:37]
	v_cndmask_b32_e64 v5, v7, v18, s[38:39]
	v_cndmask_b32_e64 v4, v6, v24, s[38:39]
.LBB995_667:
	s_or_b64 exec, exec, s[34:35]
	v_pk_mov_b32 v[6:7], v[4:5], v[4:5] op_sel:[0,1]
.LBB995_668:
	s_or_b64 exec, exec, s[30:31]
	v_cndmask_b32_e64 v1, v3, v1, s[10:11]
	v_cndmask_b32_e64 v0, v2, v0, s[10:11]
	;; [unrolled: 1-line block ×6, first 2 shown]
.LBB995_669:
	s_or_b64 exec, exec, s[22:23]
	s_cmpk_lt_u32 s33, 0x41
	; wave barrier
	s_waitcnt lgkmcnt(0)
	s_barrier
	s_cbranch_scc1 .LBB995_718
; %bb.670:
	v_lshlrev_b32_e32 v18, 3, v23
	s_mov_b32 s52, 64
	s_branch .LBB995_675
.LBB995_671:                            ;   in Loop: Header=BB995_675 Depth=1
	s_or_b64 exec, exec, s[36:37]
	v_cndmask_b32_e64 v5, v7, v20, s[38:39]
	v_cndmask_b32_e64 v4, v6, v29, s[38:39]
.LBB995_672:                            ;   in Loop: Header=BB995_675 Depth=1
	s_or_b64 exec, exec, s[34:35]
	v_pk_mov_b32 v[6:7], v[4:5], v[4:5] op_sel:[0,1]
.LBB995_673:                            ;   in Loop: Header=BB995_675 Depth=1
	s_or_b64 exec, exec, s[30:31]
	v_cndmask_b32_e64 v1, v3, v1, s[10:11]
	v_cndmask_b32_e64 v0, v2, v0, s[10:11]
	;; [unrolled: 1-line block ×6, first 2 shown]
.LBB995_674:                            ;   in Loop: Header=BB995_675 Depth=1
	s_or_b64 exec, exec, s[22:23]
	s_cmp_lt_u32 s52, s33
	s_barrier
	s_cbranch_scc0 .LBB995_718
.LBB995_675:                            ; =>This Loop Header: Depth=1
                                        ;     Child Loop BB995_679 Depth 2
                                        ;       Child Loop BB995_682 Depth 3
                                        ;     Child Loop BB995_693 Depth 2
                                        ;     Child Loop BB995_700 Depth 2
	;; [unrolled: 1-line block ×4, first 2 shown]
	s_mov_b32 s8, s52
	s_lshl_b32 s52, s52, 1
	s_sub_i32 s10, 0, s52
	v_and_b32_e32 v25, s10, v23
	v_add_u32_e32 v8, s8, v25
	v_min_u32_e32 v19, s33, v8
	s_add_i32 s9, s52, -1
	v_add_u32_e32 v8, s8, v19
	v_min_u32_e32 v20, s33, v8
	v_and_b32_e32 v8, s9, v23
	v_min_u32_e32 v26, s33, v8
	v_sub_u32_e32 v8, v19, v25
	v_sub_u32_e32 v9, v20, v19
	v_sub_u32_e64 v24, v26, v9 clamp
	v_min_u32_e32 v27, v26, v8
	v_lshlrev_b32_e32 v21, 3, v25
	v_cmp_lt_u32_e32 vcc, v24, v27
	ds_write_b128 v18, v[0:3]
	ds_write_b128 v18, v[4:7] offset:16
	s_waitcnt lgkmcnt(0)
	s_barrier
	s_and_saveexec_b64 s[10:11], vcc
	s_cbranch_execz .LBB995_685
; %bb.676:                              ;   in Loop: Header=BB995_675 Depth=1
	v_lshlrev_b32_e32 v8, 3, v26
	v_lshl_add_u32 v28, v19, 3, v8
	s_mov_b64 s[22:23], 0
	s_branch .LBB995_679
.LBB995_677:                            ;   in Loop: Header=BB995_679 Depth=2
	s_or_b64 exec, exec, s[28:29]
.LBB995_678:                            ;   in Loop: Header=BB995_679 Depth=2
	v_add_u32_e32 v8, 1, v29
	v_cndmask_b32_e64 v27, v27, v29, s[26:27]
	v_cndmask_b32_e64 v24, v8, v24, s[26:27]
	v_cmp_ge_u32_e32 vcc, v24, v27
	s_or_b64 s[22:23], vcc, s[22:23]
	s_andn2_b64 exec, exec, s[22:23]
	s_cbranch_execz .LBB995_684
.LBB995_679:                            ;   Parent Loop BB995_675 Depth=1
                                        ; =>  This Loop Header: Depth=2
                                        ;       Child Loop BB995_682 Depth 3
	v_add_u32_e32 v8, v27, v24
	v_lshrrev_b32_e32 v29, 1, v8
	s_and_b64 vcc, exec, s[6:7]
	s_mov_b64 s[26:27], 0
	s_cbranch_vccnz .LBB995_678
; %bb.680:                              ;   in Loop: Header=BB995_679 Depth=2
	v_not_b32_e32 v8, v29
	v_lshl_add_u32 v8, v8, 3, v28
	ds_read_b64 v[8:9], v8
	v_lshl_add_u32 v30, v29, 3, v21
	ds_read_b64 v[30:31], v30
	v_pk_mov_b32 v[10:11], s[14:15], s[14:15] op_sel:[0,1]
	s_mov_b64 s[28:29], 0
	s_waitcnt lgkmcnt(1)
	v_mul_lo_u32 v32, v8, s13
	v_mul_lo_u32 v33, v9, s12
	v_mad_u64_u32 v[8:9], s[8:9], v8, s12, v[10:11]
	v_add3_u32 v9, v33, v9, v32
	s_waitcnt lgkmcnt(0)
	v_mul_lo_u32 v32, v30, s13
	v_mul_lo_u32 v31, v31, s12
	v_mad_u64_u32 v[10:11], s[8:9], v30, s12, v[10:11]
	v_add3_u32 v11, v31, v11, v32
	s_mov_b64 s[36:37], s[12:13]
                                        ; implicit-def: $sgpr26_sgpr27
                                        ; implicit-def: $sgpr30_sgpr31
                                        ; implicit-def: $sgpr34_sgpr35
                                        ; implicit-def: $sgpr8_sgpr9
                                        ; implicit-def: $sgpr38_sgpr39
	s_branch .LBB995_682
.LBB995_681:                            ;   in Loop: Header=BB995_682 Depth=3
	s_or_b64 exec, exec, s[40:41]
	s_and_b64 s[40:41], exec, s[30:31]
	s_or_b64 s[28:29], s[40:41], s[28:29]
	s_andn2_b64 s[38:39], s[38:39], exec
	s_and_b64 s[40:41], s[34:35], exec
	s_or_b64 s[38:39], s[38:39], s[40:41]
	s_andn2_b64 s[26:27], s[26:27], exec
	s_and_b64 s[40:41], s[8:9], exec
	s_or_b64 s[26:27], s[26:27], s[40:41]
	s_andn2_b64 exec, exec, s[28:29]
	s_cbranch_execz .LBB995_677
.LBB995_682:                            ;   Parent Loop BB995_675 Depth=1
                                        ;     Parent Loop BB995_679 Depth=2
                                        ; =>    This Inner Loop Header: Depth=3
	global_load_ubyte v30, v[8:9], off
	global_load_ubyte v31, v[10:11], off
	s_andn2_b64 s[40:41], s[8:9], exec
	s_andn2_b64 s[34:35], s[34:35], exec
	s_or_b64 s[30:31], s[30:31], exec
	s_waitcnt vmcnt(1)
	v_cmp_eq_u16_e32 vcc, 0, v30
	s_waitcnt vmcnt(0)
	v_cmp_ne_u16_e64 s[8:9], 0, v31
	s_or_b64 s[44:45], vcc, s[8:9]
	s_and_b64 s[42:43], vcc, s[8:9]
	s_xor_b64 s[46:47], vcc, s[8:9]
	s_and_b64 s[8:9], s[44:45], s[38:39]
	s_or_b64 s[42:43], s[42:43], s[8:9]
	s_and_b64 s[8:9], s[42:43], exec
	s_or_b64 s[8:9], s[40:41], s[8:9]
	s_and_saveexec_b64 s[40:41], s[46:47]
	s_cbranch_execz .LBB995_681
; %bb.683:                              ;   in Loop: Header=BB995_682 Depth=3
	s_add_u32 s36, s36, -1
	s_addc_u32 s37, s37, -1
	v_add_co_u32_e32 v8, vcc, 1, v8
	s_cmp_eq_u64 s[36:37], 0
	v_addc_co_u32_e32 v9, vcc, 0, v9, vcc
	s_cselect_b64 s[38:39], -1, 0
	v_add_co_u32_e32 v10, vcc, 1, v10
	s_andn2_b64 s[34:35], s[34:35], exec
	s_and_b64 s[42:43], s[42:43], exec
	s_andn2_b64 s[30:31], s[30:31], exec
	s_and_b64 s[38:39], s[38:39], exec
	v_addc_co_u32_e32 v11, vcc, 0, v11, vcc
	s_andn2_b64 s[8:9], s[8:9], exec
	s_or_b64 s[34:35], s[34:35], s[42:43]
	s_or_b64 s[30:31], s[30:31], s[38:39]
                                        ; implicit-def: $sgpr38_sgpr39
	s_branch .LBB995_681
.LBB995_684:                            ;   in Loop: Header=BB995_675 Depth=1
	s_or_b64 exec, exec, s[22:23]
.LBB995_685:                            ;   in Loop: Header=BB995_675 Depth=1
	s_or_b64 exec, exec, s[10:11]
	v_sub_u32_e32 v9, v26, v24
	v_add_u32_e32 v8, v24, v25
	v_add_u32_e32 v9, v9, v19
	v_cmp_le_u32_e32 vcc, v8, v19
	v_cmp_le_u32_e64 s[8:9], v9, v20
	s_or_b64 s[8:9], vcc, s[8:9]
	s_and_saveexec_b64 s[22:23], s[8:9]
	s_cbranch_execz .LBB995_674
; %bb.686:                              ;   in Loop: Header=BB995_675 Depth=1
	v_cmp_ge_u32_e32 vcc, v8, v19
	v_cmp_lt_u32_e64 s[8:9], v8, v19
                                        ; implicit-def: $vgpr0_vgpr1
	s_and_saveexec_b64 s[10:11], s[8:9]
	s_cbranch_execz .LBB995_688
; %bb.687:                              ;   in Loop: Header=BB995_675 Depth=1
	v_lshl_add_u32 v0, v24, 3, v21
	ds_read_b64 v[0:1], v0
.LBB995_688:                            ;   in Loop: Header=BB995_675 Depth=1
	s_or_b64 exec, exec, s[10:11]
	v_cmp_ge_u32_e64 s[8:9], v9, v20
	v_cmp_lt_u32_e64 s[10:11], v9, v20
                                        ; implicit-def: $vgpr2_vgpr3
	s_and_saveexec_b64 s[26:27], s[10:11]
	s_cbranch_execz .LBB995_690
; %bb.689:                              ;   in Loop: Header=BB995_675 Depth=1
	v_lshlrev_b32_e32 v2, 3, v9
	ds_read_b64 v[2:3], v2
.LBB995_690:                            ;   in Loop: Header=BB995_675 Depth=1
	s_or_b64 exec, exec, s[26:27]
	s_or_b64 s[10:11], vcc, s[8:9]
	s_or_b64 s[10:11], s[10:11], s[18:19]
	s_xor_b64 s[28:29], s[10:11], -1
	s_xor_b64 s[10:11], vcc, -1
	s_or_b64 s[10:11], s[8:9], s[10:11]
	s_and_saveexec_b64 s[26:27], s[28:29]
	s_cbranch_execz .LBB995_696
; %bb.691:                              ;   in Loop: Header=BB995_675 Depth=1
	v_pk_mov_b32 v[6:7], s[14:15], s[14:15] op_sel:[0,1]
	s_waitcnt lgkmcnt(0)
	v_mad_u64_u32 v[4:5], s[8:9], v2, s12, v[6:7]
	v_mul_lo_u32 v10, v2, s13
	v_mul_lo_u32 v11, v3, s12
	v_add3_u32 v5, v11, v5, v10
	v_mad_u64_u32 v[6:7], s[8:9], v0, s12, v[6:7]
	v_mul_lo_u32 v10, v0, s13
	v_mul_lo_u32 v11, v1, s12
	v_add3_u32 v7, v11, v7, v10
	s_mov_b64 s[28:29], 0
	s_mov_b64 s[38:39], s[12:13]
                                        ; implicit-def: $sgpr30_sgpr31
                                        ; implicit-def: $sgpr34_sgpr35
                                        ; implicit-def: $sgpr8_sgpr9
                                        ; implicit-def: $sgpr36_sgpr37
                                        ; implicit-def: $sgpr40_sgpr41
	s_branch .LBB995_693
.LBB995_692:                            ;   in Loop: Header=BB995_693 Depth=2
	s_or_b64 exec, exec, s[42:43]
	s_and_b64 s[42:43], exec, s[34:35]
	s_or_b64 s[28:29], s[42:43], s[28:29]
	s_andn2_b64 s[40:41], s[40:41], exec
	s_and_b64 s[42:43], s[36:37], exec
	s_or_b64 s[40:41], s[40:41], s[42:43]
	s_andn2_b64 s[30:31], s[30:31], exec
	s_and_b64 s[42:43], s[8:9], exec
	s_or_b64 s[30:31], s[30:31], s[42:43]
	s_andn2_b64 exec, exec, s[28:29]
	s_cbranch_execz .LBB995_695
.LBB995_693:                            ;   Parent Loop BB995_675 Depth=1
                                        ; =>  This Inner Loop Header: Depth=2
	global_load_ubyte v10, v[4:5], off
	global_load_ubyte v11, v[6:7], off
	s_andn2_b64 s[42:43], s[8:9], exec
	s_andn2_b64 s[36:37], s[36:37], exec
	s_or_b64 s[34:35], s[34:35], exec
	s_waitcnt vmcnt(1)
	v_cmp_eq_u16_e32 vcc, 0, v10
	s_waitcnt vmcnt(0)
	v_cmp_ne_u16_e64 s[8:9], 0, v11
	s_or_b64 s[46:47], vcc, s[8:9]
	s_and_b64 s[44:45], vcc, s[8:9]
	s_xor_b64 s[48:49], vcc, s[8:9]
	s_and_b64 s[8:9], s[46:47], s[40:41]
	s_or_b64 s[44:45], s[44:45], s[8:9]
	s_and_b64 s[8:9], s[44:45], exec
	s_or_b64 s[8:9], s[42:43], s[8:9]
	s_and_saveexec_b64 s[42:43], s[48:49]
	s_cbranch_execz .LBB995_692
; %bb.694:                              ;   in Loop: Header=BB995_693 Depth=2
	s_add_u32 s38, s38, -1
	s_addc_u32 s39, s39, -1
	v_add_co_u32_e32 v4, vcc, 1, v4
	s_cmp_eq_u64 s[38:39], 0
	v_addc_co_u32_e32 v5, vcc, 0, v5, vcc
	s_cselect_b64 s[40:41], -1, 0
	v_add_co_u32_e32 v6, vcc, 1, v6
	s_andn2_b64 s[36:37], s[36:37], exec
	s_and_b64 s[44:45], s[44:45], exec
	s_andn2_b64 s[34:35], s[34:35], exec
	s_and_b64 s[40:41], s[40:41], exec
	v_addc_co_u32_e32 v7, vcc, 0, v7, vcc
	s_or_b64 s[36:37], s[36:37], s[44:45]
	s_andn2_b64 s[8:9], s[8:9], exec
	s_or_b64 s[34:35], s[34:35], s[40:41]
                                        ; implicit-def: $sgpr40_sgpr41
	s_branch .LBB995_692
.LBB995_695:                            ;   in Loop: Header=BB995_675 Depth=1
	s_or_b64 exec, exec, s[28:29]
	s_xor_b64 s[8:9], s[30:31], -1
	s_andn2_b64 s[10:11], s[10:11], exec
	s_and_b64 s[8:9], s[8:9], exec
	s_or_b64 s[10:11], s[10:11], s[8:9]
.LBB995_696:                            ;   in Loop: Header=BB995_675 Depth=1
	s_or_b64 exec, exec, s[26:27]
	v_cndmask_b32_e64 v4, v9, v8, s[10:11]
	v_cndmask_b32_e64 v5, v20, v19, s[10:11]
	v_add_u32_e32 v6, 1, v4
	v_add_u32_e32 v4, -1, v5
	v_min_u32_e32 v4, v6, v4
	v_lshlrev_b32_e32 v4, 3, v4
	ds_read_b64 v[4:5], v4
	v_cndmask_b32_e64 v9, v6, v9, s[10:11]
	v_cndmask_b32_e64 v8, v8, v6, s[10:11]
	v_cmp_lt_u32_e32 vcc, v9, v20
	s_mov_b64 s[26:27], -1
	s_waitcnt lgkmcnt(0)
	v_cndmask_b32_e64 v10, v5, v3, s[10:11]
	v_cndmask_b32_e64 v11, v4, v2, s[10:11]
	;; [unrolled: 1-line block ×4, first 2 shown]
	s_mov_b64 s[28:29], -1
	s_and_saveexec_b64 s[30:31], vcc
	s_cbranch_execz .LBB995_704
; %bb.697:                              ;   in Loop: Header=BB995_675 Depth=1
	v_cmp_lt_u32_e64 s[28:29], v8, v19
	s_and_b64 s[8:9], s[28:29], s[20:21]
	s_and_saveexec_b64 s[34:35], s[8:9]
	s_cbranch_execz .LBB995_703
; %bb.698:                              ;   in Loop: Header=BB995_675 Depth=1
	v_pk_mov_b32 v[6:7], s[14:15], s[14:15] op_sel:[0,1]
	v_mad_u64_u32 v[4:5], s[8:9], v11, s12, v[6:7]
	v_mul_lo_u32 v25, v11, s13
	v_mul_lo_u32 v26, v10, s12
	v_add3_u32 v5, v26, v5, v25
	v_mad_u64_u32 v[6:7], s[8:9], v24, s12, v[6:7]
	v_mul_lo_u32 v25, v24, s13
	v_mul_lo_u32 v26, v21, s12
	v_add3_u32 v7, v26, v7, v25
	s_mov_b64 s[36:37], 0
	s_mov_b64 s[44:45], s[12:13]
                                        ; implicit-def: $sgpr38_sgpr39
                                        ; implicit-def: $sgpr40_sgpr41
                                        ; implicit-def: $sgpr8_sgpr9
                                        ; implicit-def: $sgpr42_sgpr43
                                        ; implicit-def: $sgpr46_sgpr47
	s_branch .LBB995_700
.LBB995_699:                            ;   in Loop: Header=BB995_700 Depth=2
	s_or_b64 exec, exec, s[48:49]
	s_and_b64 s[48:49], exec, s[40:41]
	s_or_b64 s[36:37], s[48:49], s[36:37]
	s_andn2_b64 s[46:47], s[46:47], exec
	s_and_b64 s[48:49], s[42:43], exec
	s_or_b64 s[46:47], s[46:47], s[48:49]
	s_andn2_b64 s[38:39], s[38:39], exec
	s_and_b64 s[48:49], s[8:9], exec
	s_or_b64 s[38:39], s[38:39], s[48:49]
	s_andn2_b64 exec, exec, s[36:37]
	s_cbranch_execz .LBB995_702
.LBB995_700:                            ;   Parent Loop BB995_675 Depth=1
                                        ; =>  This Inner Loop Header: Depth=2
	global_load_ubyte v25, v[4:5], off
	global_load_ubyte v26, v[6:7], off
	s_andn2_b64 s[48:49], s[8:9], exec
	s_andn2_b64 s[42:43], s[42:43], exec
	s_or_b64 s[40:41], s[40:41], exec
	s_waitcnt vmcnt(1)
	v_cmp_eq_u16_e32 vcc, 0, v25
	s_waitcnt vmcnt(0)
	v_cmp_ne_u16_e64 s[8:9], 0, v26
	s_or_b64 s[54:55], vcc, s[8:9]
	s_and_b64 s[50:51], vcc, s[8:9]
	s_xor_b64 s[56:57], vcc, s[8:9]
	s_and_b64 s[8:9], s[54:55], s[46:47]
	s_or_b64 s[50:51], s[50:51], s[8:9]
	s_and_b64 s[8:9], s[50:51], exec
	s_or_b64 s[8:9], s[48:49], s[8:9]
	s_and_saveexec_b64 s[48:49], s[56:57]
	s_cbranch_execz .LBB995_699
; %bb.701:                              ;   in Loop: Header=BB995_700 Depth=2
	s_add_u32 s44, s44, -1
	s_addc_u32 s45, s45, -1
	v_add_co_u32_e32 v4, vcc, 1, v4
	s_cmp_eq_u64 s[44:45], 0
	v_addc_co_u32_e32 v5, vcc, 0, v5, vcc
	s_cselect_b64 s[46:47], -1, 0
	v_add_co_u32_e32 v6, vcc, 1, v6
	s_andn2_b64 s[42:43], s[42:43], exec
	s_and_b64 s[50:51], s[50:51], exec
	s_andn2_b64 s[40:41], s[40:41], exec
	s_and_b64 s[46:47], s[46:47], exec
	v_addc_co_u32_e32 v7, vcc, 0, v7, vcc
	s_or_b64 s[42:43], s[42:43], s[50:51]
	s_andn2_b64 s[8:9], s[8:9], exec
	s_or_b64 s[40:41], s[40:41], s[46:47]
                                        ; implicit-def: $sgpr46_sgpr47
	s_branch .LBB995_699
.LBB995_702:                            ;   in Loop: Header=BB995_675 Depth=1
	s_or_b64 exec, exec, s[36:37]
	s_xor_b64 s[8:9], s[38:39], -1
	s_andn2_b64 s[28:29], s[28:29], exec
	s_and_b64 s[8:9], s[8:9], exec
	s_or_b64 s[28:29], s[28:29], s[8:9]
.LBB995_703:                            ;   in Loop: Header=BB995_675 Depth=1
	s_or_b64 exec, exec, s[34:35]
	s_orn2_b64 s[28:29], s[28:29], exec
.LBB995_704:                            ;   in Loop: Header=BB995_675 Depth=1
	s_or_b64 exec, exec, s[30:31]
	v_cndmask_b32_e64 v4, v9, v8, s[28:29]
	v_cndmask_b32_e64 v5, v20, v19, s[28:29]
	v_add_u32_e32 v6, 1, v4
	v_add_u32_e32 v4, -1, v5
	v_min_u32_e32 v4, v6, v4
	v_lshlrev_b32_e32 v4, 3, v4
	ds_read_b64 v[4:5], v4
	v_cndmask_b32_e64 v9, v6, v9, s[28:29]
	v_cndmask_b32_e64 v8, v8, v6, s[28:29]
	v_cmp_lt_u32_e32 vcc, v9, v20
	s_waitcnt lgkmcnt(0)
	v_cndmask_b32_e64 v25, v5, v10, s[28:29]
	v_cndmask_b32_e64 v26, v4, v11, s[28:29]
	;; [unrolled: 1-line block ×4, first 2 shown]
	s_and_saveexec_b64 s[30:31], vcc
	s_cbranch_execz .LBB995_712
; %bb.705:                              ;   in Loop: Header=BB995_675 Depth=1
	v_cmp_lt_u32_e64 s[26:27], v8, v19
	s_and_b64 s[8:9], s[26:27], s[20:21]
	s_and_saveexec_b64 s[34:35], s[8:9]
	s_cbranch_execz .LBB995_711
; %bb.706:                              ;   in Loop: Header=BB995_675 Depth=1
	v_pk_mov_b32 v[6:7], s[14:15], s[14:15] op_sel:[0,1]
	v_mad_u64_u32 v[4:5], s[8:9], v26, s12, v[6:7]
	v_mul_lo_u32 v29, v26, s13
	v_mul_lo_u32 v30, v25, s12
	v_add3_u32 v5, v30, v5, v29
	v_mad_u64_u32 v[6:7], s[8:9], v28, s12, v[6:7]
	v_mul_lo_u32 v29, v28, s13
	v_mul_lo_u32 v30, v27, s12
	v_add3_u32 v7, v30, v7, v29
	s_mov_b64 s[36:37], 0
	s_mov_b64 s[44:45], s[12:13]
                                        ; implicit-def: $sgpr38_sgpr39
                                        ; implicit-def: $sgpr40_sgpr41
                                        ; implicit-def: $sgpr8_sgpr9
                                        ; implicit-def: $sgpr42_sgpr43
                                        ; implicit-def: $sgpr46_sgpr47
	s_branch .LBB995_708
.LBB995_707:                            ;   in Loop: Header=BB995_708 Depth=2
	s_or_b64 exec, exec, s[48:49]
	s_and_b64 s[48:49], exec, s[40:41]
	s_or_b64 s[36:37], s[48:49], s[36:37]
	s_andn2_b64 s[46:47], s[46:47], exec
	s_and_b64 s[48:49], s[42:43], exec
	s_or_b64 s[46:47], s[46:47], s[48:49]
	s_andn2_b64 s[38:39], s[38:39], exec
	s_and_b64 s[48:49], s[8:9], exec
	s_or_b64 s[38:39], s[38:39], s[48:49]
	s_andn2_b64 exec, exec, s[36:37]
	s_cbranch_execz .LBB995_710
.LBB995_708:                            ;   Parent Loop BB995_675 Depth=1
                                        ; =>  This Inner Loop Header: Depth=2
	global_load_ubyte v29, v[4:5], off
	global_load_ubyte v30, v[6:7], off
	s_andn2_b64 s[48:49], s[8:9], exec
	s_andn2_b64 s[42:43], s[42:43], exec
	s_or_b64 s[40:41], s[40:41], exec
	s_waitcnt vmcnt(1)
	v_cmp_eq_u16_e32 vcc, 0, v29
	s_waitcnt vmcnt(0)
	v_cmp_ne_u16_e64 s[8:9], 0, v30
	s_or_b64 s[54:55], vcc, s[8:9]
	s_and_b64 s[50:51], vcc, s[8:9]
	s_xor_b64 s[56:57], vcc, s[8:9]
	s_and_b64 s[8:9], s[54:55], s[46:47]
	s_or_b64 s[50:51], s[50:51], s[8:9]
	s_and_b64 s[8:9], s[50:51], exec
	s_or_b64 s[8:9], s[48:49], s[8:9]
	s_and_saveexec_b64 s[48:49], s[56:57]
	s_cbranch_execz .LBB995_707
; %bb.709:                              ;   in Loop: Header=BB995_708 Depth=2
	s_add_u32 s44, s44, -1
	s_addc_u32 s45, s45, -1
	v_add_co_u32_e32 v4, vcc, 1, v4
	s_cmp_eq_u64 s[44:45], 0
	v_addc_co_u32_e32 v5, vcc, 0, v5, vcc
	s_cselect_b64 s[46:47], -1, 0
	v_add_co_u32_e32 v6, vcc, 1, v6
	s_andn2_b64 s[42:43], s[42:43], exec
	s_and_b64 s[50:51], s[50:51], exec
	s_andn2_b64 s[40:41], s[40:41], exec
	s_and_b64 s[46:47], s[46:47], exec
	v_addc_co_u32_e32 v7, vcc, 0, v7, vcc
	s_or_b64 s[42:43], s[42:43], s[50:51]
	s_andn2_b64 s[8:9], s[8:9], exec
	s_or_b64 s[40:41], s[40:41], s[46:47]
                                        ; implicit-def: $sgpr46_sgpr47
	s_branch .LBB995_707
.LBB995_710:                            ;   in Loop: Header=BB995_675 Depth=1
	s_or_b64 exec, exec, s[36:37]
	s_xor_b64 s[8:9], s[38:39], -1
	s_andn2_b64 s[26:27], s[26:27], exec
	s_and_b64 s[8:9], s[8:9], exec
	s_or_b64 s[26:27], s[26:27], s[8:9]
.LBB995_711:                            ;   in Loop: Header=BB995_675 Depth=1
	s_or_b64 exec, exec, s[34:35]
	s_orn2_b64 s[26:27], s[26:27], exec
.LBB995_712:                            ;   in Loop: Header=BB995_675 Depth=1
	s_or_b64 exec, exec, s[30:31]
	v_cndmask_b32_e64 v4, v9, v8, s[26:27]
	v_cndmask_b32_e64 v5, v20, v19, s[26:27]
	v_add_u32_e32 v30, 1, v4
	v_add_u32_e32 v4, -1, v5
	v_min_u32_e32 v4, v30, v4
	v_lshlrev_b32_e32 v4, 3, v4
	ds_read_b64 v[4:5], v4
	v_cndmask_b32_e64 v9, v30, v9, s[26:27]
	v_cmp_lt_u32_e32 vcc, v9, v20
	s_waitcnt lgkmcnt(0)
	v_cndmask_b32_e64 v7, v27, v5, s[26:27]
	v_cndmask_b32_e64 v6, v28, v4, s[26:27]
	s_and_saveexec_b64 s[30:31], vcc
	s_cbranch_execz .LBB995_673
; %bb.713:                              ;   in Loop: Header=BB995_675 Depth=1
	v_cndmask_b32_e64 v29, v4, v26, s[26:27]
	v_cndmask_b32_e64 v4, v8, v30, s[26:27]
	v_cmp_ge_u32_e32 vcc, v4, v19
	v_cndmask_b32_e64 v20, v5, v25, s[26:27]
	s_or_b64 s[8:9], vcc, s[18:19]
	v_cndmask_b32_e32 v5, v7, v20, vcc
	s_xor_b64 s[8:9], s[8:9], -1
	v_cndmask_b32_e32 v4, v6, v29, vcc
	s_and_saveexec_b64 s[34:35], s[8:9]
	s_cbranch_execz .LBB995_672
; %bb.714:                              ;   in Loop: Header=BB995_675 Depth=1
	v_pk_mov_b32 v[8:9], s[14:15], s[14:15] op_sel:[0,1]
	v_mad_u64_u32 v[4:5], s[8:9], v29, s12, v[8:9]
	v_mul_lo_u32 v19, v29, s13
	v_mul_lo_u32 v30, v20, s12
	v_add3_u32 v5, v30, v5, v19
	v_mad_u64_u32 v[8:9], s[8:9], v6, s12, v[8:9]
	v_mul_lo_u32 v19, v6, s13
	v_mul_lo_u32 v30, v7, s12
	v_add3_u32 v9, v30, v9, v19
	s_mov_b64 s[36:37], 0
	s_mov_b64 s[44:45], s[12:13]
                                        ; implicit-def: $sgpr38_sgpr39
                                        ; implicit-def: $sgpr40_sgpr41
                                        ; implicit-def: $sgpr8_sgpr9
                                        ; implicit-def: $sgpr42_sgpr43
                                        ; implicit-def: $sgpr46_sgpr47
	s_branch .LBB995_716
.LBB995_715:                            ;   in Loop: Header=BB995_716 Depth=2
	s_or_b64 exec, exec, s[48:49]
	s_and_b64 s[48:49], exec, s[40:41]
	s_or_b64 s[36:37], s[48:49], s[36:37]
	s_andn2_b64 s[46:47], s[46:47], exec
	s_and_b64 s[48:49], s[42:43], exec
	s_or_b64 s[46:47], s[46:47], s[48:49]
	s_andn2_b64 s[38:39], s[38:39], exec
	s_and_b64 s[48:49], s[8:9], exec
	s_or_b64 s[38:39], s[38:39], s[48:49]
	s_andn2_b64 exec, exec, s[36:37]
	s_cbranch_execz .LBB995_671
.LBB995_716:                            ;   Parent Loop BB995_675 Depth=1
                                        ; =>  This Inner Loop Header: Depth=2
	global_load_ubyte v19, v[4:5], off
	global_load_ubyte v30, v[8:9], off
	s_andn2_b64 s[48:49], s[8:9], exec
	s_andn2_b64 s[42:43], s[42:43], exec
	s_or_b64 s[40:41], s[40:41], exec
	s_waitcnt vmcnt(1)
	v_cmp_eq_u16_e32 vcc, 0, v19
	s_waitcnt vmcnt(0)
	v_cmp_ne_u16_e64 s[8:9], 0, v30
	s_or_b64 s[54:55], vcc, s[8:9]
	s_and_b64 s[50:51], vcc, s[8:9]
	s_xor_b64 s[56:57], vcc, s[8:9]
	s_and_b64 s[8:9], s[54:55], s[46:47]
	s_or_b64 s[50:51], s[50:51], s[8:9]
	s_and_b64 s[8:9], s[50:51], exec
	s_or_b64 s[8:9], s[48:49], s[8:9]
	s_and_saveexec_b64 s[48:49], s[56:57]
	s_cbranch_execz .LBB995_715
; %bb.717:                              ;   in Loop: Header=BB995_716 Depth=2
	s_add_u32 s44, s44, -1
	s_addc_u32 s45, s45, -1
	v_add_co_u32_e32 v4, vcc, 1, v4
	s_cmp_eq_u64 s[44:45], 0
	v_addc_co_u32_e32 v5, vcc, 0, v5, vcc
	s_cselect_b64 s[46:47], -1, 0
	v_add_co_u32_e32 v8, vcc, 1, v8
	s_andn2_b64 s[42:43], s[42:43], exec
	s_and_b64 s[50:51], s[50:51], exec
	s_andn2_b64 s[40:41], s[40:41], exec
	s_and_b64 s[46:47], s[46:47], exec
	v_addc_co_u32_e32 v9, vcc, 0, v9, vcc
	s_or_b64 s[42:43], s[42:43], s[50:51]
	s_andn2_b64 s[8:9], s[8:9], exec
	s_or_b64 s[40:41], s[40:41], s[46:47]
                                        ; implicit-def: $sgpr46_sgpr47
	s_branch .LBB995_715
.LBB995_718:
	s_barrier
	ds_write2_b64 v17, v[0:1], v[2:3] offset1:1
	ds_write2_b64 v17, v[4:5], v[6:7] offset0:2 offset1:3
	s_waitcnt lgkmcnt(0)
	s_barrier
	ds_read_b64 v[6:7], v13 offset:2048
	ds_read_b64 v[2:3], v15 offset:4096
	ds_read_b64 v[0:1], v16 offset:6144
	v_mov_b32_e32 v5, s17
	v_add_co_u32_e32 v4, vcc, s16, v22
	v_mov_b32_e32 v13, 0
	v_addc_co_u32_e32 v5, vcc, 0, v5, vcc
	s_and_saveexec_b64 s[6:7], s[0:1]
	s_cbranch_execnz .LBB995_726
; %bb.719:
	s_or_b64 exec, exec, s[6:7]
	s_and_saveexec_b64 s[0:1], s[2:3]
	s_cbranch_execnz .LBB995_727
.LBB995_720:
	s_or_b64 exec, exec, s[0:1]
	s_and_saveexec_b64 s[0:1], s[4:5]
	s_cbranch_execz .LBB995_722
.LBB995_721:
	v_add_co_u32_e32 v4, vcc, 0x1000, v4
	v_addc_co_u32_e32 v5, vcc, 0, v5, vcc
	s_waitcnt lgkmcnt(1)
	global_store_dwordx2 v[4:5], v[2:3], off
.LBB995_722:
	s_or_b64 exec, exec, s[0:1]
.LBB995_723:
	s_and_saveexec_b64 s[0:1], s[24:25]
	s_cbranch_execz .LBB995_725
; %bb.724:
	s_waitcnt lgkmcnt(1)
	v_lshlrev_b64 v[2:3], 3, v[12:13]
	v_mov_b32_e32 v4, s17
	v_add_co_u32_e32 v2, vcc, s16, v2
	v_addc_co_u32_e32 v3, vcc, v4, v3, vcc
	v_add_co_u32_e32 v2, vcc, 0x1000, v2
	v_addc_co_u32_e32 v3, vcc, 0, v3, vcc
	s_waitcnt lgkmcnt(0)
	global_store_dwordx2 v[2:3], v[0:1], off offset:2048
.LBB995_725:
	s_endpgm
.LBB995_726:
	ds_read_b64 v[8:9], v14
	s_waitcnt lgkmcnt(0)
	global_store_dwordx2 v[4:5], v[8:9], off
	s_or_b64 exec, exec, s[6:7]
	s_and_saveexec_b64 s[0:1], s[2:3]
	s_cbranch_execz .LBB995_720
.LBB995_727:
	s_waitcnt lgkmcnt(2)
	global_store_dwordx2 v[4:5], v[6:7], off offset:2048
	s_or_b64 exec, exec, s[0:1]
	s_and_saveexec_b64 s[0:1], s[4:5]
	s_cbranch_execnz .LBB995_721
	s_branch .LBB995_722
	.section	.rodata,"a",@progbits
	.p2align	6, 0x0
	.amdhsa_kernel _ZN7rocprim17ROCPRIM_400000_NS6detail17trampoline_kernelINS0_14default_configENS1_37merge_sort_block_sort_config_selectorIlNS0_10empty_typeEEEZNS1_21merge_sort_block_sortIS3_PlS8_PS5_S9_ZN2at6native12_GLOBAL__N_124unique_dim_cuda_templateIbEESt5tupleIJNSA_6TensorESF_SF_EERKSF_lbbbEUlllE_EE10hipError_tT0_T1_T2_T3_mRjT4_P12ihipStream_tbNS1_7vsmem_tEEUlT_E_NS1_11comp_targetILNS1_3genE4ELNS1_11target_archE910ELNS1_3gpuE8ELNS1_3repE0EEENS1_30default_config_static_selectorELNS0_4arch9wavefront6targetE1EEEvSM_
		.amdhsa_group_segment_fixed_size 8448
		.amdhsa_private_segment_fixed_size 0
		.amdhsa_kernarg_size 328
		.amdhsa_user_sgpr_count 6
		.amdhsa_user_sgpr_private_segment_buffer 1
		.amdhsa_user_sgpr_dispatch_ptr 0
		.amdhsa_user_sgpr_queue_ptr 0
		.amdhsa_user_sgpr_kernarg_segment_ptr 1
		.amdhsa_user_sgpr_dispatch_id 0
		.amdhsa_user_sgpr_flat_scratch_init 0
		.amdhsa_user_sgpr_kernarg_preload_length 0
		.amdhsa_user_sgpr_kernarg_preload_offset 0
		.amdhsa_user_sgpr_private_segment_size 0
		.amdhsa_uses_dynamic_stack 0
		.amdhsa_system_sgpr_private_segment_wavefront_offset 0
		.amdhsa_system_sgpr_workgroup_id_x 1
		.amdhsa_system_sgpr_workgroup_id_y 1
		.amdhsa_system_sgpr_workgroup_id_z 1
		.amdhsa_system_sgpr_workgroup_info 0
		.amdhsa_system_vgpr_workitem_id 2
		.amdhsa_next_free_vgpr 42
		.amdhsa_next_free_sgpr 58
		.amdhsa_accum_offset 44
		.amdhsa_reserve_vcc 1
		.amdhsa_reserve_flat_scratch 0
		.amdhsa_float_round_mode_32 0
		.amdhsa_float_round_mode_16_64 0
		.amdhsa_float_denorm_mode_32 3
		.amdhsa_float_denorm_mode_16_64 3
		.amdhsa_dx10_clamp 1
		.amdhsa_ieee_mode 1
		.amdhsa_fp16_overflow 0
		.amdhsa_tg_split 0
		.amdhsa_exception_fp_ieee_invalid_op 0
		.amdhsa_exception_fp_denorm_src 0
		.amdhsa_exception_fp_ieee_div_zero 0
		.amdhsa_exception_fp_ieee_overflow 0
		.amdhsa_exception_fp_ieee_underflow 0
		.amdhsa_exception_fp_ieee_inexact 0
		.amdhsa_exception_int_div_zero 0
	.end_amdhsa_kernel
	.section	.text._ZN7rocprim17ROCPRIM_400000_NS6detail17trampoline_kernelINS0_14default_configENS1_37merge_sort_block_sort_config_selectorIlNS0_10empty_typeEEEZNS1_21merge_sort_block_sortIS3_PlS8_PS5_S9_ZN2at6native12_GLOBAL__N_124unique_dim_cuda_templateIbEESt5tupleIJNSA_6TensorESF_SF_EERKSF_lbbbEUlllE_EE10hipError_tT0_T1_T2_T3_mRjT4_P12ihipStream_tbNS1_7vsmem_tEEUlT_E_NS1_11comp_targetILNS1_3genE4ELNS1_11target_archE910ELNS1_3gpuE8ELNS1_3repE0EEENS1_30default_config_static_selectorELNS0_4arch9wavefront6targetE1EEEvSM_,"axG",@progbits,_ZN7rocprim17ROCPRIM_400000_NS6detail17trampoline_kernelINS0_14default_configENS1_37merge_sort_block_sort_config_selectorIlNS0_10empty_typeEEEZNS1_21merge_sort_block_sortIS3_PlS8_PS5_S9_ZN2at6native12_GLOBAL__N_124unique_dim_cuda_templateIbEESt5tupleIJNSA_6TensorESF_SF_EERKSF_lbbbEUlllE_EE10hipError_tT0_T1_T2_T3_mRjT4_P12ihipStream_tbNS1_7vsmem_tEEUlT_E_NS1_11comp_targetILNS1_3genE4ELNS1_11target_archE910ELNS1_3gpuE8ELNS1_3repE0EEENS1_30default_config_static_selectorELNS0_4arch9wavefront6targetE1EEEvSM_,comdat
.Lfunc_end995:
	.size	_ZN7rocprim17ROCPRIM_400000_NS6detail17trampoline_kernelINS0_14default_configENS1_37merge_sort_block_sort_config_selectorIlNS0_10empty_typeEEEZNS1_21merge_sort_block_sortIS3_PlS8_PS5_S9_ZN2at6native12_GLOBAL__N_124unique_dim_cuda_templateIbEESt5tupleIJNSA_6TensorESF_SF_EERKSF_lbbbEUlllE_EE10hipError_tT0_T1_T2_T3_mRjT4_P12ihipStream_tbNS1_7vsmem_tEEUlT_E_NS1_11comp_targetILNS1_3genE4ELNS1_11target_archE910ELNS1_3gpuE8ELNS1_3repE0EEENS1_30default_config_static_selectorELNS0_4arch9wavefront6targetE1EEEvSM_, .Lfunc_end995-_ZN7rocprim17ROCPRIM_400000_NS6detail17trampoline_kernelINS0_14default_configENS1_37merge_sort_block_sort_config_selectorIlNS0_10empty_typeEEEZNS1_21merge_sort_block_sortIS3_PlS8_PS5_S9_ZN2at6native12_GLOBAL__N_124unique_dim_cuda_templateIbEESt5tupleIJNSA_6TensorESF_SF_EERKSF_lbbbEUlllE_EE10hipError_tT0_T1_T2_T3_mRjT4_P12ihipStream_tbNS1_7vsmem_tEEUlT_E_NS1_11comp_targetILNS1_3genE4ELNS1_11target_archE910ELNS1_3gpuE8ELNS1_3repE0EEENS1_30default_config_static_selectorELNS0_4arch9wavefront6targetE1EEEvSM_
                                        ; -- End function
	.section	.AMDGPU.csdata,"",@progbits
; Kernel info:
; codeLenInByte = 36332
; NumSgprs: 62
; NumVgprs: 42
; NumAgprs: 0
; TotalNumVgprs: 42
; ScratchSize: 0
; MemoryBound: 0
; FloatMode: 240
; IeeeMode: 1
; LDSByteSize: 8448 bytes/workgroup (compile time only)
; SGPRBlocks: 7
; VGPRBlocks: 5
; NumSGPRsForWavesPerEU: 62
; NumVGPRsForWavesPerEU: 42
; AccumOffset: 44
; Occupancy: 7
; WaveLimiterHint : 1
; COMPUTE_PGM_RSRC2:SCRATCH_EN: 0
; COMPUTE_PGM_RSRC2:USER_SGPR: 6
; COMPUTE_PGM_RSRC2:TRAP_HANDLER: 0
; COMPUTE_PGM_RSRC2:TGID_X_EN: 1
; COMPUTE_PGM_RSRC2:TGID_Y_EN: 1
; COMPUTE_PGM_RSRC2:TGID_Z_EN: 1
; COMPUTE_PGM_RSRC2:TIDIG_COMP_CNT: 2
; COMPUTE_PGM_RSRC3_GFX90A:ACCUM_OFFSET: 10
; COMPUTE_PGM_RSRC3_GFX90A:TG_SPLIT: 0
	.section	.text._ZN7rocprim17ROCPRIM_400000_NS6detail17trampoline_kernelINS0_14default_configENS1_37merge_sort_block_sort_config_selectorIlNS0_10empty_typeEEEZNS1_21merge_sort_block_sortIS3_PlS8_PS5_S9_ZN2at6native12_GLOBAL__N_124unique_dim_cuda_templateIbEESt5tupleIJNSA_6TensorESF_SF_EERKSF_lbbbEUlllE_EE10hipError_tT0_T1_T2_T3_mRjT4_P12ihipStream_tbNS1_7vsmem_tEEUlT_E_NS1_11comp_targetILNS1_3genE3ELNS1_11target_archE908ELNS1_3gpuE7ELNS1_3repE0EEENS1_30default_config_static_selectorELNS0_4arch9wavefront6targetE1EEEvSM_,"axG",@progbits,_ZN7rocprim17ROCPRIM_400000_NS6detail17trampoline_kernelINS0_14default_configENS1_37merge_sort_block_sort_config_selectorIlNS0_10empty_typeEEEZNS1_21merge_sort_block_sortIS3_PlS8_PS5_S9_ZN2at6native12_GLOBAL__N_124unique_dim_cuda_templateIbEESt5tupleIJNSA_6TensorESF_SF_EERKSF_lbbbEUlllE_EE10hipError_tT0_T1_T2_T3_mRjT4_P12ihipStream_tbNS1_7vsmem_tEEUlT_E_NS1_11comp_targetILNS1_3genE3ELNS1_11target_archE908ELNS1_3gpuE7ELNS1_3repE0EEENS1_30default_config_static_selectorELNS0_4arch9wavefront6targetE1EEEvSM_,comdat
	.globl	_ZN7rocprim17ROCPRIM_400000_NS6detail17trampoline_kernelINS0_14default_configENS1_37merge_sort_block_sort_config_selectorIlNS0_10empty_typeEEEZNS1_21merge_sort_block_sortIS3_PlS8_PS5_S9_ZN2at6native12_GLOBAL__N_124unique_dim_cuda_templateIbEESt5tupleIJNSA_6TensorESF_SF_EERKSF_lbbbEUlllE_EE10hipError_tT0_T1_T2_T3_mRjT4_P12ihipStream_tbNS1_7vsmem_tEEUlT_E_NS1_11comp_targetILNS1_3genE3ELNS1_11target_archE908ELNS1_3gpuE7ELNS1_3repE0EEENS1_30default_config_static_selectorELNS0_4arch9wavefront6targetE1EEEvSM_ ; -- Begin function _ZN7rocprim17ROCPRIM_400000_NS6detail17trampoline_kernelINS0_14default_configENS1_37merge_sort_block_sort_config_selectorIlNS0_10empty_typeEEEZNS1_21merge_sort_block_sortIS3_PlS8_PS5_S9_ZN2at6native12_GLOBAL__N_124unique_dim_cuda_templateIbEESt5tupleIJNSA_6TensorESF_SF_EERKSF_lbbbEUlllE_EE10hipError_tT0_T1_T2_T3_mRjT4_P12ihipStream_tbNS1_7vsmem_tEEUlT_E_NS1_11comp_targetILNS1_3genE3ELNS1_11target_archE908ELNS1_3gpuE7ELNS1_3repE0EEENS1_30default_config_static_selectorELNS0_4arch9wavefront6targetE1EEEvSM_
	.p2align	8
	.type	_ZN7rocprim17ROCPRIM_400000_NS6detail17trampoline_kernelINS0_14default_configENS1_37merge_sort_block_sort_config_selectorIlNS0_10empty_typeEEEZNS1_21merge_sort_block_sortIS3_PlS8_PS5_S9_ZN2at6native12_GLOBAL__N_124unique_dim_cuda_templateIbEESt5tupleIJNSA_6TensorESF_SF_EERKSF_lbbbEUlllE_EE10hipError_tT0_T1_T2_T3_mRjT4_P12ihipStream_tbNS1_7vsmem_tEEUlT_E_NS1_11comp_targetILNS1_3genE3ELNS1_11target_archE908ELNS1_3gpuE7ELNS1_3repE0EEENS1_30default_config_static_selectorELNS0_4arch9wavefront6targetE1EEEvSM_,@function
_ZN7rocprim17ROCPRIM_400000_NS6detail17trampoline_kernelINS0_14default_configENS1_37merge_sort_block_sort_config_selectorIlNS0_10empty_typeEEEZNS1_21merge_sort_block_sortIS3_PlS8_PS5_S9_ZN2at6native12_GLOBAL__N_124unique_dim_cuda_templateIbEESt5tupleIJNSA_6TensorESF_SF_EERKSF_lbbbEUlllE_EE10hipError_tT0_T1_T2_T3_mRjT4_P12ihipStream_tbNS1_7vsmem_tEEUlT_E_NS1_11comp_targetILNS1_3genE3ELNS1_11target_archE908ELNS1_3gpuE7ELNS1_3repE0EEENS1_30default_config_static_selectorELNS0_4arch9wavefront6targetE1EEEvSM_: ; @_ZN7rocprim17ROCPRIM_400000_NS6detail17trampoline_kernelINS0_14default_configENS1_37merge_sort_block_sort_config_selectorIlNS0_10empty_typeEEEZNS1_21merge_sort_block_sortIS3_PlS8_PS5_S9_ZN2at6native12_GLOBAL__N_124unique_dim_cuda_templateIbEESt5tupleIJNSA_6TensorESF_SF_EERKSF_lbbbEUlllE_EE10hipError_tT0_T1_T2_T3_mRjT4_P12ihipStream_tbNS1_7vsmem_tEEUlT_E_NS1_11comp_targetILNS1_3genE3ELNS1_11target_archE908ELNS1_3gpuE7ELNS1_3repE0EEENS1_30default_config_static_selectorELNS0_4arch9wavefront6targetE1EEEvSM_
; %bb.0:
	.section	.rodata,"a",@progbits
	.p2align	6, 0x0
	.amdhsa_kernel _ZN7rocprim17ROCPRIM_400000_NS6detail17trampoline_kernelINS0_14default_configENS1_37merge_sort_block_sort_config_selectorIlNS0_10empty_typeEEEZNS1_21merge_sort_block_sortIS3_PlS8_PS5_S9_ZN2at6native12_GLOBAL__N_124unique_dim_cuda_templateIbEESt5tupleIJNSA_6TensorESF_SF_EERKSF_lbbbEUlllE_EE10hipError_tT0_T1_T2_T3_mRjT4_P12ihipStream_tbNS1_7vsmem_tEEUlT_E_NS1_11comp_targetILNS1_3genE3ELNS1_11target_archE908ELNS1_3gpuE7ELNS1_3repE0EEENS1_30default_config_static_selectorELNS0_4arch9wavefront6targetE1EEEvSM_
		.amdhsa_group_segment_fixed_size 0
		.amdhsa_private_segment_fixed_size 0
		.amdhsa_kernarg_size 72
		.amdhsa_user_sgpr_count 6
		.amdhsa_user_sgpr_private_segment_buffer 1
		.amdhsa_user_sgpr_dispatch_ptr 0
		.amdhsa_user_sgpr_queue_ptr 0
		.amdhsa_user_sgpr_kernarg_segment_ptr 1
		.amdhsa_user_sgpr_dispatch_id 0
		.amdhsa_user_sgpr_flat_scratch_init 0
		.amdhsa_user_sgpr_kernarg_preload_length 0
		.amdhsa_user_sgpr_kernarg_preload_offset 0
		.amdhsa_user_sgpr_private_segment_size 0
		.amdhsa_uses_dynamic_stack 0
		.amdhsa_system_sgpr_private_segment_wavefront_offset 0
		.amdhsa_system_sgpr_workgroup_id_x 1
		.amdhsa_system_sgpr_workgroup_id_y 0
		.amdhsa_system_sgpr_workgroup_id_z 0
		.amdhsa_system_sgpr_workgroup_info 0
		.amdhsa_system_vgpr_workitem_id 0
		.amdhsa_next_free_vgpr 1
		.amdhsa_next_free_sgpr 0
		.amdhsa_accum_offset 4
		.amdhsa_reserve_vcc 0
		.amdhsa_reserve_flat_scratch 0
		.amdhsa_float_round_mode_32 0
		.amdhsa_float_round_mode_16_64 0
		.amdhsa_float_denorm_mode_32 3
		.amdhsa_float_denorm_mode_16_64 3
		.amdhsa_dx10_clamp 1
		.amdhsa_ieee_mode 1
		.amdhsa_fp16_overflow 0
		.amdhsa_tg_split 0
		.amdhsa_exception_fp_ieee_invalid_op 0
		.amdhsa_exception_fp_denorm_src 0
		.amdhsa_exception_fp_ieee_div_zero 0
		.amdhsa_exception_fp_ieee_overflow 0
		.amdhsa_exception_fp_ieee_underflow 0
		.amdhsa_exception_fp_ieee_inexact 0
		.amdhsa_exception_int_div_zero 0
	.end_amdhsa_kernel
	.section	.text._ZN7rocprim17ROCPRIM_400000_NS6detail17trampoline_kernelINS0_14default_configENS1_37merge_sort_block_sort_config_selectorIlNS0_10empty_typeEEEZNS1_21merge_sort_block_sortIS3_PlS8_PS5_S9_ZN2at6native12_GLOBAL__N_124unique_dim_cuda_templateIbEESt5tupleIJNSA_6TensorESF_SF_EERKSF_lbbbEUlllE_EE10hipError_tT0_T1_T2_T3_mRjT4_P12ihipStream_tbNS1_7vsmem_tEEUlT_E_NS1_11comp_targetILNS1_3genE3ELNS1_11target_archE908ELNS1_3gpuE7ELNS1_3repE0EEENS1_30default_config_static_selectorELNS0_4arch9wavefront6targetE1EEEvSM_,"axG",@progbits,_ZN7rocprim17ROCPRIM_400000_NS6detail17trampoline_kernelINS0_14default_configENS1_37merge_sort_block_sort_config_selectorIlNS0_10empty_typeEEEZNS1_21merge_sort_block_sortIS3_PlS8_PS5_S9_ZN2at6native12_GLOBAL__N_124unique_dim_cuda_templateIbEESt5tupleIJNSA_6TensorESF_SF_EERKSF_lbbbEUlllE_EE10hipError_tT0_T1_T2_T3_mRjT4_P12ihipStream_tbNS1_7vsmem_tEEUlT_E_NS1_11comp_targetILNS1_3genE3ELNS1_11target_archE908ELNS1_3gpuE7ELNS1_3repE0EEENS1_30default_config_static_selectorELNS0_4arch9wavefront6targetE1EEEvSM_,comdat
.Lfunc_end996:
	.size	_ZN7rocprim17ROCPRIM_400000_NS6detail17trampoline_kernelINS0_14default_configENS1_37merge_sort_block_sort_config_selectorIlNS0_10empty_typeEEEZNS1_21merge_sort_block_sortIS3_PlS8_PS5_S9_ZN2at6native12_GLOBAL__N_124unique_dim_cuda_templateIbEESt5tupleIJNSA_6TensorESF_SF_EERKSF_lbbbEUlllE_EE10hipError_tT0_T1_T2_T3_mRjT4_P12ihipStream_tbNS1_7vsmem_tEEUlT_E_NS1_11comp_targetILNS1_3genE3ELNS1_11target_archE908ELNS1_3gpuE7ELNS1_3repE0EEENS1_30default_config_static_selectorELNS0_4arch9wavefront6targetE1EEEvSM_, .Lfunc_end996-_ZN7rocprim17ROCPRIM_400000_NS6detail17trampoline_kernelINS0_14default_configENS1_37merge_sort_block_sort_config_selectorIlNS0_10empty_typeEEEZNS1_21merge_sort_block_sortIS3_PlS8_PS5_S9_ZN2at6native12_GLOBAL__N_124unique_dim_cuda_templateIbEESt5tupleIJNSA_6TensorESF_SF_EERKSF_lbbbEUlllE_EE10hipError_tT0_T1_T2_T3_mRjT4_P12ihipStream_tbNS1_7vsmem_tEEUlT_E_NS1_11comp_targetILNS1_3genE3ELNS1_11target_archE908ELNS1_3gpuE7ELNS1_3repE0EEENS1_30default_config_static_selectorELNS0_4arch9wavefront6targetE1EEEvSM_
                                        ; -- End function
	.section	.AMDGPU.csdata,"",@progbits
; Kernel info:
; codeLenInByte = 0
; NumSgprs: 4
; NumVgprs: 0
; NumAgprs: 0
; TotalNumVgprs: 0
; ScratchSize: 0
; MemoryBound: 0
; FloatMode: 240
; IeeeMode: 1
; LDSByteSize: 0 bytes/workgroup (compile time only)
; SGPRBlocks: 0
; VGPRBlocks: 0
; NumSGPRsForWavesPerEU: 4
; NumVGPRsForWavesPerEU: 1
; AccumOffset: 4
; Occupancy: 8
; WaveLimiterHint : 0
; COMPUTE_PGM_RSRC2:SCRATCH_EN: 0
; COMPUTE_PGM_RSRC2:USER_SGPR: 6
; COMPUTE_PGM_RSRC2:TRAP_HANDLER: 0
; COMPUTE_PGM_RSRC2:TGID_X_EN: 1
; COMPUTE_PGM_RSRC2:TGID_Y_EN: 0
; COMPUTE_PGM_RSRC2:TGID_Z_EN: 0
; COMPUTE_PGM_RSRC2:TIDIG_COMP_CNT: 0
; COMPUTE_PGM_RSRC3_GFX90A:ACCUM_OFFSET: 0
; COMPUTE_PGM_RSRC3_GFX90A:TG_SPLIT: 0
	.section	.text._ZN7rocprim17ROCPRIM_400000_NS6detail17trampoline_kernelINS0_14default_configENS1_37merge_sort_block_sort_config_selectorIlNS0_10empty_typeEEEZNS1_21merge_sort_block_sortIS3_PlS8_PS5_S9_ZN2at6native12_GLOBAL__N_124unique_dim_cuda_templateIbEESt5tupleIJNSA_6TensorESF_SF_EERKSF_lbbbEUlllE_EE10hipError_tT0_T1_T2_T3_mRjT4_P12ihipStream_tbNS1_7vsmem_tEEUlT_E_NS1_11comp_targetILNS1_3genE2ELNS1_11target_archE906ELNS1_3gpuE6ELNS1_3repE0EEENS1_30default_config_static_selectorELNS0_4arch9wavefront6targetE1EEEvSM_,"axG",@progbits,_ZN7rocprim17ROCPRIM_400000_NS6detail17trampoline_kernelINS0_14default_configENS1_37merge_sort_block_sort_config_selectorIlNS0_10empty_typeEEEZNS1_21merge_sort_block_sortIS3_PlS8_PS5_S9_ZN2at6native12_GLOBAL__N_124unique_dim_cuda_templateIbEESt5tupleIJNSA_6TensorESF_SF_EERKSF_lbbbEUlllE_EE10hipError_tT0_T1_T2_T3_mRjT4_P12ihipStream_tbNS1_7vsmem_tEEUlT_E_NS1_11comp_targetILNS1_3genE2ELNS1_11target_archE906ELNS1_3gpuE6ELNS1_3repE0EEENS1_30default_config_static_selectorELNS0_4arch9wavefront6targetE1EEEvSM_,comdat
	.globl	_ZN7rocprim17ROCPRIM_400000_NS6detail17trampoline_kernelINS0_14default_configENS1_37merge_sort_block_sort_config_selectorIlNS0_10empty_typeEEEZNS1_21merge_sort_block_sortIS3_PlS8_PS5_S9_ZN2at6native12_GLOBAL__N_124unique_dim_cuda_templateIbEESt5tupleIJNSA_6TensorESF_SF_EERKSF_lbbbEUlllE_EE10hipError_tT0_T1_T2_T3_mRjT4_P12ihipStream_tbNS1_7vsmem_tEEUlT_E_NS1_11comp_targetILNS1_3genE2ELNS1_11target_archE906ELNS1_3gpuE6ELNS1_3repE0EEENS1_30default_config_static_selectorELNS0_4arch9wavefront6targetE1EEEvSM_ ; -- Begin function _ZN7rocprim17ROCPRIM_400000_NS6detail17trampoline_kernelINS0_14default_configENS1_37merge_sort_block_sort_config_selectorIlNS0_10empty_typeEEEZNS1_21merge_sort_block_sortIS3_PlS8_PS5_S9_ZN2at6native12_GLOBAL__N_124unique_dim_cuda_templateIbEESt5tupleIJNSA_6TensorESF_SF_EERKSF_lbbbEUlllE_EE10hipError_tT0_T1_T2_T3_mRjT4_P12ihipStream_tbNS1_7vsmem_tEEUlT_E_NS1_11comp_targetILNS1_3genE2ELNS1_11target_archE906ELNS1_3gpuE6ELNS1_3repE0EEENS1_30default_config_static_selectorELNS0_4arch9wavefront6targetE1EEEvSM_
	.p2align	8
	.type	_ZN7rocprim17ROCPRIM_400000_NS6detail17trampoline_kernelINS0_14default_configENS1_37merge_sort_block_sort_config_selectorIlNS0_10empty_typeEEEZNS1_21merge_sort_block_sortIS3_PlS8_PS5_S9_ZN2at6native12_GLOBAL__N_124unique_dim_cuda_templateIbEESt5tupleIJNSA_6TensorESF_SF_EERKSF_lbbbEUlllE_EE10hipError_tT0_T1_T2_T3_mRjT4_P12ihipStream_tbNS1_7vsmem_tEEUlT_E_NS1_11comp_targetILNS1_3genE2ELNS1_11target_archE906ELNS1_3gpuE6ELNS1_3repE0EEENS1_30default_config_static_selectorELNS0_4arch9wavefront6targetE1EEEvSM_,@function
_ZN7rocprim17ROCPRIM_400000_NS6detail17trampoline_kernelINS0_14default_configENS1_37merge_sort_block_sort_config_selectorIlNS0_10empty_typeEEEZNS1_21merge_sort_block_sortIS3_PlS8_PS5_S9_ZN2at6native12_GLOBAL__N_124unique_dim_cuda_templateIbEESt5tupleIJNSA_6TensorESF_SF_EERKSF_lbbbEUlllE_EE10hipError_tT0_T1_T2_T3_mRjT4_P12ihipStream_tbNS1_7vsmem_tEEUlT_E_NS1_11comp_targetILNS1_3genE2ELNS1_11target_archE906ELNS1_3gpuE6ELNS1_3repE0EEENS1_30default_config_static_selectorELNS0_4arch9wavefront6targetE1EEEvSM_: ; @_ZN7rocprim17ROCPRIM_400000_NS6detail17trampoline_kernelINS0_14default_configENS1_37merge_sort_block_sort_config_selectorIlNS0_10empty_typeEEEZNS1_21merge_sort_block_sortIS3_PlS8_PS5_S9_ZN2at6native12_GLOBAL__N_124unique_dim_cuda_templateIbEESt5tupleIJNSA_6TensorESF_SF_EERKSF_lbbbEUlllE_EE10hipError_tT0_T1_T2_T3_mRjT4_P12ihipStream_tbNS1_7vsmem_tEEUlT_E_NS1_11comp_targetILNS1_3genE2ELNS1_11target_archE906ELNS1_3gpuE6ELNS1_3repE0EEENS1_30default_config_static_selectorELNS0_4arch9wavefront6targetE1EEEvSM_
; %bb.0:
	.section	.rodata,"a",@progbits
	.p2align	6, 0x0
	.amdhsa_kernel _ZN7rocprim17ROCPRIM_400000_NS6detail17trampoline_kernelINS0_14default_configENS1_37merge_sort_block_sort_config_selectorIlNS0_10empty_typeEEEZNS1_21merge_sort_block_sortIS3_PlS8_PS5_S9_ZN2at6native12_GLOBAL__N_124unique_dim_cuda_templateIbEESt5tupleIJNSA_6TensorESF_SF_EERKSF_lbbbEUlllE_EE10hipError_tT0_T1_T2_T3_mRjT4_P12ihipStream_tbNS1_7vsmem_tEEUlT_E_NS1_11comp_targetILNS1_3genE2ELNS1_11target_archE906ELNS1_3gpuE6ELNS1_3repE0EEENS1_30default_config_static_selectorELNS0_4arch9wavefront6targetE1EEEvSM_
		.amdhsa_group_segment_fixed_size 0
		.amdhsa_private_segment_fixed_size 0
		.amdhsa_kernarg_size 72
		.amdhsa_user_sgpr_count 6
		.amdhsa_user_sgpr_private_segment_buffer 1
		.amdhsa_user_sgpr_dispatch_ptr 0
		.amdhsa_user_sgpr_queue_ptr 0
		.amdhsa_user_sgpr_kernarg_segment_ptr 1
		.amdhsa_user_sgpr_dispatch_id 0
		.amdhsa_user_sgpr_flat_scratch_init 0
		.amdhsa_user_sgpr_kernarg_preload_length 0
		.amdhsa_user_sgpr_kernarg_preload_offset 0
		.amdhsa_user_sgpr_private_segment_size 0
		.amdhsa_uses_dynamic_stack 0
		.amdhsa_system_sgpr_private_segment_wavefront_offset 0
		.amdhsa_system_sgpr_workgroup_id_x 1
		.amdhsa_system_sgpr_workgroup_id_y 0
		.amdhsa_system_sgpr_workgroup_id_z 0
		.amdhsa_system_sgpr_workgroup_info 0
		.amdhsa_system_vgpr_workitem_id 0
		.amdhsa_next_free_vgpr 1
		.amdhsa_next_free_sgpr 0
		.amdhsa_accum_offset 4
		.amdhsa_reserve_vcc 0
		.amdhsa_reserve_flat_scratch 0
		.amdhsa_float_round_mode_32 0
		.amdhsa_float_round_mode_16_64 0
		.amdhsa_float_denorm_mode_32 3
		.amdhsa_float_denorm_mode_16_64 3
		.amdhsa_dx10_clamp 1
		.amdhsa_ieee_mode 1
		.amdhsa_fp16_overflow 0
		.amdhsa_tg_split 0
		.amdhsa_exception_fp_ieee_invalid_op 0
		.amdhsa_exception_fp_denorm_src 0
		.amdhsa_exception_fp_ieee_div_zero 0
		.amdhsa_exception_fp_ieee_overflow 0
		.amdhsa_exception_fp_ieee_underflow 0
		.amdhsa_exception_fp_ieee_inexact 0
		.amdhsa_exception_int_div_zero 0
	.end_amdhsa_kernel
	.section	.text._ZN7rocprim17ROCPRIM_400000_NS6detail17trampoline_kernelINS0_14default_configENS1_37merge_sort_block_sort_config_selectorIlNS0_10empty_typeEEEZNS1_21merge_sort_block_sortIS3_PlS8_PS5_S9_ZN2at6native12_GLOBAL__N_124unique_dim_cuda_templateIbEESt5tupleIJNSA_6TensorESF_SF_EERKSF_lbbbEUlllE_EE10hipError_tT0_T1_T2_T3_mRjT4_P12ihipStream_tbNS1_7vsmem_tEEUlT_E_NS1_11comp_targetILNS1_3genE2ELNS1_11target_archE906ELNS1_3gpuE6ELNS1_3repE0EEENS1_30default_config_static_selectorELNS0_4arch9wavefront6targetE1EEEvSM_,"axG",@progbits,_ZN7rocprim17ROCPRIM_400000_NS6detail17trampoline_kernelINS0_14default_configENS1_37merge_sort_block_sort_config_selectorIlNS0_10empty_typeEEEZNS1_21merge_sort_block_sortIS3_PlS8_PS5_S9_ZN2at6native12_GLOBAL__N_124unique_dim_cuda_templateIbEESt5tupleIJNSA_6TensorESF_SF_EERKSF_lbbbEUlllE_EE10hipError_tT0_T1_T2_T3_mRjT4_P12ihipStream_tbNS1_7vsmem_tEEUlT_E_NS1_11comp_targetILNS1_3genE2ELNS1_11target_archE906ELNS1_3gpuE6ELNS1_3repE0EEENS1_30default_config_static_selectorELNS0_4arch9wavefront6targetE1EEEvSM_,comdat
.Lfunc_end997:
	.size	_ZN7rocprim17ROCPRIM_400000_NS6detail17trampoline_kernelINS0_14default_configENS1_37merge_sort_block_sort_config_selectorIlNS0_10empty_typeEEEZNS1_21merge_sort_block_sortIS3_PlS8_PS5_S9_ZN2at6native12_GLOBAL__N_124unique_dim_cuda_templateIbEESt5tupleIJNSA_6TensorESF_SF_EERKSF_lbbbEUlllE_EE10hipError_tT0_T1_T2_T3_mRjT4_P12ihipStream_tbNS1_7vsmem_tEEUlT_E_NS1_11comp_targetILNS1_3genE2ELNS1_11target_archE906ELNS1_3gpuE6ELNS1_3repE0EEENS1_30default_config_static_selectorELNS0_4arch9wavefront6targetE1EEEvSM_, .Lfunc_end997-_ZN7rocprim17ROCPRIM_400000_NS6detail17trampoline_kernelINS0_14default_configENS1_37merge_sort_block_sort_config_selectorIlNS0_10empty_typeEEEZNS1_21merge_sort_block_sortIS3_PlS8_PS5_S9_ZN2at6native12_GLOBAL__N_124unique_dim_cuda_templateIbEESt5tupleIJNSA_6TensorESF_SF_EERKSF_lbbbEUlllE_EE10hipError_tT0_T1_T2_T3_mRjT4_P12ihipStream_tbNS1_7vsmem_tEEUlT_E_NS1_11comp_targetILNS1_3genE2ELNS1_11target_archE906ELNS1_3gpuE6ELNS1_3repE0EEENS1_30default_config_static_selectorELNS0_4arch9wavefront6targetE1EEEvSM_
                                        ; -- End function
	.section	.AMDGPU.csdata,"",@progbits
; Kernel info:
; codeLenInByte = 0
; NumSgprs: 4
; NumVgprs: 0
; NumAgprs: 0
; TotalNumVgprs: 0
; ScratchSize: 0
; MemoryBound: 0
; FloatMode: 240
; IeeeMode: 1
; LDSByteSize: 0 bytes/workgroup (compile time only)
; SGPRBlocks: 0
; VGPRBlocks: 0
; NumSGPRsForWavesPerEU: 4
; NumVGPRsForWavesPerEU: 1
; AccumOffset: 4
; Occupancy: 8
; WaveLimiterHint : 0
; COMPUTE_PGM_RSRC2:SCRATCH_EN: 0
; COMPUTE_PGM_RSRC2:USER_SGPR: 6
; COMPUTE_PGM_RSRC2:TRAP_HANDLER: 0
; COMPUTE_PGM_RSRC2:TGID_X_EN: 1
; COMPUTE_PGM_RSRC2:TGID_Y_EN: 0
; COMPUTE_PGM_RSRC2:TGID_Z_EN: 0
; COMPUTE_PGM_RSRC2:TIDIG_COMP_CNT: 0
; COMPUTE_PGM_RSRC3_GFX90A:ACCUM_OFFSET: 0
; COMPUTE_PGM_RSRC3_GFX90A:TG_SPLIT: 0
	.section	.text._ZN7rocprim17ROCPRIM_400000_NS6detail17trampoline_kernelINS0_14default_configENS1_37merge_sort_block_sort_config_selectorIlNS0_10empty_typeEEEZNS1_21merge_sort_block_sortIS3_PlS8_PS5_S9_ZN2at6native12_GLOBAL__N_124unique_dim_cuda_templateIbEESt5tupleIJNSA_6TensorESF_SF_EERKSF_lbbbEUlllE_EE10hipError_tT0_T1_T2_T3_mRjT4_P12ihipStream_tbNS1_7vsmem_tEEUlT_E_NS1_11comp_targetILNS1_3genE10ELNS1_11target_archE1201ELNS1_3gpuE5ELNS1_3repE0EEENS1_30default_config_static_selectorELNS0_4arch9wavefront6targetE1EEEvSM_,"axG",@progbits,_ZN7rocprim17ROCPRIM_400000_NS6detail17trampoline_kernelINS0_14default_configENS1_37merge_sort_block_sort_config_selectorIlNS0_10empty_typeEEEZNS1_21merge_sort_block_sortIS3_PlS8_PS5_S9_ZN2at6native12_GLOBAL__N_124unique_dim_cuda_templateIbEESt5tupleIJNSA_6TensorESF_SF_EERKSF_lbbbEUlllE_EE10hipError_tT0_T1_T2_T3_mRjT4_P12ihipStream_tbNS1_7vsmem_tEEUlT_E_NS1_11comp_targetILNS1_3genE10ELNS1_11target_archE1201ELNS1_3gpuE5ELNS1_3repE0EEENS1_30default_config_static_selectorELNS0_4arch9wavefront6targetE1EEEvSM_,comdat
	.globl	_ZN7rocprim17ROCPRIM_400000_NS6detail17trampoline_kernelINS0_14default_configENS1_37merge_sort_block_sort_config_selectorIlNS0_10empty_typeEEEZNS1_21merge_sort_block_sortIS3_PlS8_PS5_S9_ZN2at6native12_GLOBAL__N_124unique_dim_cuda_templateIbEESt5tupleIJNSA_6TensorESF_SF_EERKSF_lbbbEUlllE_EE10hipError_tT0_T1_T2_T3_mRjT4_P12ihipStream_tbNS1_7vsmem_tEEUlT_E_NS1_11comp_targetILNS1_3genE10ELNS1_11target_archE1201ELNS1_3gpuE5ELNS1_3repE0EEENS1_30default_config_static_selectorELNS0_4arch9wavefront6targetE1EEEvSM_ ; -- Begin function _ZN7rocprim17ROCPRIM_400000_NS6detail17trampoline_kernelINS0_14default_configENS1_37merge_sort_block_sort_config_selectorIlNS0_10empty_typeEEEZNS1_21merge_sort_block_sortIS3_PlS8_PS5_S9_ZN2at6native12_GLOBAL__N_124unique_dim_cuda_templateIbEESt5tupleIJNSA_6TensorESF_SF_EERKSF_lbbbEUlllE_EE10hipError_tT0_T1_T2_T3_mRjT4_P12ihipStream_tbNS1_7vsmem_tEEUlT_E_NS1_11comp_targetILNS1_3genE10ELNS1_11target_archE1201ELNS1_3gpuE5ELNS1_3repE0EEENS1_30default_config_static_selectorELNS0_4arch9wavefront6targetE1EEEvSM_
	.p2align	8
	.type	_ZN7rocprim17ROCPRIM_400000_NS6detail17trampoline_kernelINS0_14default_configENS1_37merge_sort_block_sort_config_selectorIlNS0_10empty_typeEEEZNS1_21merge_sort_block_sortIS3_PlS8_PS5_S9_ZN2at6native12_GLOBAL__N_124unique_dim_cuda_templateIbEESt5tupleIJNSA_6TensorESF_SF_EERKSF_lbbbEUlllE_EE10hipError_tT0_T1_T2_T3_mRjT4_P12ihipStream_tbNS1_7vsmem_tEEUlT_E_NS1_11comp_targetILNS1_3genE10ELNS1_11target_archE1201ELNS1_3gpuE5ELNS1_3repE0EEENS1_30default_config_static_selectorELNS0_4arch9wavefront6targetE1EEEvSM_,@function
_ZN7rocprim17ROCPRIM_400000_NS6detail17trampoline_kernelINS0_14default_configENS1_37merge_sort_block_sort_config_selectorIlNS0_10empty_typeEEEZNS1_21merge_sort_block_sortIS3_PlS8_PS5_S9_ZN2at6native12_GLOBAL__N_124unique_dim_cuda_templateIbEESt5tupleIJNSA_6TensorESF_SF_EERKSF_lbbbEUlllE_EE10hipError_tT0_T1_T2_T3_mRjT4_P12ihipStream_tbNS1_7vsmem_tEEUlT_E_NS1_11comp_targetILNS1_3genE10ELNS1_11target_archE1201ELNS1_3gpuE5ELNS1_3repE0EEENS1_30default_config_static_selectorELNS0_4arch9wavefront6targetE1EEEvSM_: ; @_ZN7rocprim17ROCPRIM_400000_NS6detail17trampoline_kernelINS0_14default_configENS1_37merge_sort_block_sort_config_selectorIlNS0_10empty_typeEEEZNS1_21merge_sort_block_sortIS3_PlS8_PS5_S9_ZN2at6native12_GLOBAL__N_124unique_dim_cuda_templateIbEESt5tupleIJNSA_6TensorESF_SF_EERKSF_lbbbEUlllE_EE10hipError_tT0_T1_T2_T3_mRjT4_P12ihipStream_tbNS1_7vsmem_tEEUlT_E_NS1_11comp_targetILNS1_3genE10ELNS1_11target_archE1201ELNS1_3gpuE5ELNS1_3repE0EEENS1_30default_config_static_selectorELNS0_4arch9wavefront6targetE1EEEvSM_
; %bb.0:
	.section	.rodata,"a",@progbits
	.p2align	6, 0x0
	.amdhsa_kernel _ZN7rocprim17ROCPRIM_400000_NS6detail17trampoline_kernelINS0_14default_configENS1_37merge_sort_block_sort_config_selectorIlNS0_10empty_typeEEEZNS1_21merge_sort_block_sortIS3_PlS8_PS5_S9_ZN2at6native12_GLOBAL__N_124unique_dim_cuda_templateIbEESt5tupleIJNSA_6TensorESF_SF_EERKSF_lbbbEUlllE_EE10hipError_tT0_T1_T2_T3_mRjT4_P12ihipStream_tbNS1_7vsmem_tEEUlT_E_NS1_11comp_targetILNS1_3genE10ELNS1_11target_archE1201ELNS1_3gpuE5ELNS1_3repE0EEENS1_30default_config_static_selectorELNS0_4arch9wavefront6targetE1EEEvSM_
		.amdhsa_group_segment_fixed_size 0
		.amdhsa_private_segment_fixed_size 0
		.amdhsa_kernarg_size 72
		.amdhsa_user_sgpr_count 6
		.amdhsa_user_sgpr_private_segment_buffer 1
		.amdhsa_user_sgpr_dispatch_ptr 0
		.amdhsa_user_sgpr_queue_ptr 0
		.amdhsa_user_sgpr_kernarg_segment_ptr 1
		.amdhsa_user_sgpr_dispatch_id 0
		.amdhsa_user_sgpr_flat_scratch_init 0
		.amdhsa_user_sgpr_kernarg_preload_length 0
		.amdhsa_user_sgpr_kernarg_preload_offset 0
		.amdhsa_user_sgpr_private_segment_size 0
		.amdhsa_uses_dynamic_stack 0
		.amdhsa_system_sgpr_private_segment_wavefront_offset 0
		.amdhsa_system_sgpr_workgroup_id_x 1
		.amdhsa_system_sgpr_workgroup_id_y 0
		.amdhsa_system_sgpr_workgroup_id_z 0
		.amdhsa_system_sgpr_workgroup_info 0
		.amdhsa_system_vgpr_workitem_id 0
		.amdhsa_next_free_vgpr 1
		.amdhsa_next_free_sgpr 0
		.amdhsa_accum_offset 4
		.amdhsa_reserve_vcc 0
		.amdhsa_reserve_flat_scratch 0
		.amdhsa_float_round_mode_32 0
		.amdhsa_float_round_mode_16_64 0
		.amdhsa_float_denorm_mode_32 3
		.amdhsa_float_denorm_mode_16_64 3
		.amdhsa_dx10_clamp 1
		.amdhsa_ieee_mode 1
		.amdhsa_fp16_overflow 0
		.amdhsa_tg_split 0
		.amdhsa_exception_fp_ieee_invalid_op 0
		.amdhsa_exception_fp_denorm_src 0
		.amdhsa_exception_fp_ieee_div_zero 0
		.amdhsa_exception_fp_ieee_overflow 0
		.amdhsa_exception_fp_ieee_underflow 0
		.amdhsa_exception_fp_ieee_inexact 0
		.amdhsa_exception_int_div_zero 0
	.end_amdhsa_kernel
	.section	.text._ZN7rocprim17ROCPRIM_400000_NS6detail17trampoline_kernelINS0_14default_configENS1_37merge_sort_block_sort_config_selectorIlNS0_10empty_typeEEEZNS1_21merge_sort_block_sortIS3_PlS8_PS5_S9_ZN2at6native12_GLOBAL__N_124unique_dim_cuda_templateIbEESt5tupleIJNSA_6TensorESF_SF_EERKSF_lbbbEUlllE_EE10hipError_tT0_T1_T2_T3_mRjT4_P12ihipStream_tbNS1_7vsmem_tEEUlT_E_NS1_11comp_targetILNS1_3genE10ELNS1_11target_archE1201ELNS1_3gpuE5ELNS1_3repE0EEENS1_30default_config_static_selectorELNS0_4arch9wavefront6targetE1EEEvSM_,"axG",@progbits,_ZN7rocprim17ROCPRIM_400000_NS6detail17trampoline_kernelINS0_14default_configENS1_37merge_sort_block_sort_config_selectorIlNS0_10empty_typeEEEZNS1_21merge_sort_block_sortIS3_PlS8_PS5_S9_ZN2at6native12_GLOBAL__N_124unique_dim_cuda_templateIbEESt5tupleIJNSA_6TensorESF_SF_EERKSF_lbbbEUlllE_EE10hipError_tT0_T1_T2_T3_mRjT4_P12ihipStream_tbNS1_7vsmem_tEEUlT_E_NS1_11comp_targetILNS1_3genE10ELNS1_11target_archE1201ELNS1_3gpuE5ELNS1_3repE0EEENS1_30default_config_static_selectorELNS0_4arch9wavefront6targetE1EEEvSM_,comdat
.Lfunc_end998:
	.size	_ZN7rocprim17ROCPRIM_400000_NS6detail17trampoline_kernelINS0_14default_configENS1_37merge_sort_block_sort_config_selectorIlNS0_10empty_typeEEEZNS1_21merge_sort_block_sortIS3_PlS8_PS5_S9_ZN2at6native12_GLOBAL__N_124unique_dim_cuda_templateIbEESt5tupleIJNSA_6TensorESF_SF_EERKSF_lbbbEUlllE_EE10hipError_tT0_T1_T2_T3_mRjT4_P12ihipStream_tbNS1_7vsmem_tEEUlT_E_NS1_11comp_targetILNS1_3genE10ELNS1_11target_archE1201ELNS1_3gpuE5ELNS1_3repE0EEENS1_30default_config_static_selectorELNS0_4arch9wavefront6targetE1EEEvSM_, .Lfunc_end998-_ZN7rocprim17ROCPRIM_400000_NS6detail17trampoline_kernelINS0_14default_configENS1_37merge_sort_block_sort_config_selectorIlNS0_10empty_typeEEEZNS1_21merge_sort_block_sortIS3_PlS8_PS5_S9_ZN2at6native12_GLOBAL__N_124unique_dim_cuda_templateIbEESt5tupleIJNSA_6TensorESF_SF_EERKSF_lbbbEUlllE_EE10hipError_tT0_T1_T2_T3_mRjT4_P12ihipStream_tbNS1_7vsmem_tEEUlT_E_NS1_11comp_targetILNS1_3genE10ELNS1_11target_archE1201ELNS1_3gpuE5ELNS1_3repE0EEENS1_30default_config_static_selectorELNS0_4arch9wavefront6targetE1EEEvSM_
                                        ; -- End function
	.section	.AMDGPU.csdata,"",@progbits
; Kernel info:
; codeLenInByte = 0
; NumSgprs: 4
; NumVgprs: 0
; NumAgprs: 0
; TotalNumVgprs: 0
; ScratchSize: 0
; MemoryBound: 0
; FloatMode: 240
; IeeeMode: 1
; LDSByteSize: 0 bytes/workgroup (compile time only)
; SGPRBlocks: 0
; VGPRBlocks: 0
; NumSGPRsForWavesPerEU: 4
; NumVGPRsForWavesPerEU: 1
; AccumOffset: 4
; Occupancy: 8
; WaveLimiterHint : 0
; COMPUTE_PGM_RSRC2:SCRATCH_EN: 0
; COMPUTE_PGM_RSRC2:USER_SGPR: 6
; COMPUTE_PGM_RSRC2:TRAP_HANDLER: 0
; COMPUTE_PGM_RSRC2:TGID_X_EN: 1
; COMPUTE_PGM_RSRC2:TGID_Y_EN: 0
; COMPUTE_PGM_RSRC2:TGID_Z_EN: 0
; COMPUTE_PGM_RSRC2:TIDIG_COMP_CNT: 0
; COMPUTE_PGM_RSRC3_GFX90A:ACCUM_OFFSET: 0
; COMPUTE_PGM_RSRC3_GFX90A:TG_SPLIT: 0
	.section	.text._ZN7rocprim17ROCPRIM_400000_NS6detail17trampoline_kernelINS0_14default_configENS1_37merge_sort_block_sort_config_selectorIlNS0_10empty_typeEEEZNS1_21merge_sort_block_sortIS3_PlS8_PS5_S9_ZN2at6native12_GLOBAL__N_124unique_dim_cuda_templateIbEESt5tupleIJNSA_6TensorESF_SF_EERKSF_lbbbEUlllE_EE10hipError_tT0_T1_T2_T3_mRjT4_P12ihipStream_tbNS1_7vsmem_tEEUlT_E_NS1_11comp_targetILNS1_3genE10ELNS1_11target_archE1200ELNS1_3gpuE4ELNS1_3repE0EEENS1_30default_config_static_selectorELNS0_4arch9wavefront6targetE1EEEvSM_,"axG",@progbits,_ZN7rocprim17ROCPRIM_400000_NS6detail17trampoline_kernelINS0_14default_configENS1_37merge_sort_block_sort_config_selectorIlNS0_10empty_typeEEEZNS1_21merge_sort_block_sortIS3_PlS8_PS5_S9_ZN2at6native12_GLOBAL__N_124unique_dim_cuda_templateIbEESt5tupleIJNSA_6TensorESF_SF_EERKSF_lbbbEUlllE_EE10hipError_tT0_T1_T2_T3_mRjT4_P12ihipStream_tbNS1_7vsmem_tEEUlT_E_NS1_11comp_targetILNS1_3genE10ELNS1_11target_archE1200ELNS1_3gpuE4ELNS1_3repE0EEENS1_30default_config_static_selectorELNS0_4arch9wavefront6targetE1EEEvSM_,comdat
	.globl	_ZN7rocprim17ROCPRIM_400000_NS6detail17trampoline_kernelINS0_14default_configENS1_37merge_sort_block_sort_config_selectorIlNS0_10empty_typeEEEZNS1_21merge_sort_block_sortIS3_PlS8_PS5_S9_ZN2at6native12_GLOBAL__N_124unique_dim_cuda_templateIbEESt5tupleIJNSA_6TensorESF_SF_EERKSF_lbbbEUlllE_EE10hipError_tT0_T1_T2_T3_mRjT4_P12ihipStream_tbNS1_7vsmem_tEEUlT_E_NS1_11comp_targetILNS1_3genE10ELNS1_11target_archE1200ELNS1_3gpuE4ELNS1_3repE0EEENS1_30default_config_static_selectorELNS0_4arch9wavefront6targetE1EEEvSM_ ; -- Begin function _ZN7rocprim17ROCPRIM_400000_NS6detail17trampoline_kernelINS0_14default_configENS1_37merge_sort_block_sort_config_selectorIlNS0_10empty_typeEEEZNS1_21merge_sort_block_sortIS3_PlS8_PS5_S9_ZN2at6native12_GLOBAL__N_124unique_dim_cuda_templateIbEESt5tupleIJNSA_6TensorESF_SF_EERKSF_lbbbEUlllE_EE10hipError_tT0_T1_T2_T3_mRjT4_P12ihipStream_tbNS1_7vsmem_tEEUlT_E_NS1_11comp_targetILNS1_3genE10ELNS1_11target_archE1200ELNS1_3gpuE4ELNS1_3repE0EEENS1_30default_config_static_selectorELNS0_4arch9wavefront6targetE1EEEvSM_
	.p2align	8
	.type	_ZN7rocprim17ROCPRIM_400000_NS6detail17trampoline_kernelINS0_14default_configENS1_37merge_sort_block_sort_config_selectorIlNS0_10empty_typeEEEZNS1_21merge_sort_block_sortIS3_PlS8_PS5_S9_ZN2at6native12_GLOBAL__N_124unique_dim_cuda_templateIbEESt5tupleIJNSA_6TensorESF_SF_EERKSF_lbbbEUlllE_EE10hipError_tT0_T1_T2_T3_mRjT4_P12ihipStream_tbNS1_7vsmem_tEEUlT_E_NS1_11comp_targetILNS1_3genE10ELNS1_11target_archE1200ELNS1_3gpuE4ELNS1_3repE0EEENS1_30default_config_static_selectorELNS0_4arch9wavefront6targetE1EEEvSM_,@function
_ZN7rocprim17ROCPRIM_400000_NS6detail17trampoline_kernelINS0_14default_configENS1_37merge_sort_block_sort_config_selectorIlNS0_10empty_typeEEEZNS1_21merge_sort_block_sortIS3_PlS8_PS5_S9_ZN2at6native12_GLOBAL__N_124unique_dim_cuda_templateIbEESt5tupleIJNSA_6TensorESF_SF_EERKSF_lbbbEUlllE_EE10hipError_tT0_T1_T2_T3_mRjT4_P12ihipStream_tbNS1_7vsmem_tEEUlT_E_NS1_11comp_targetILNS1_3genE10ELNS1_11target_archE1200ELNS1_3gpuE4ELNS1_3repE0EEENS1_30default_config_static_selectorELNS0_4arch9wavefront6targetE1EEEvSM_: ; @_ZN7rocprim17ROCPRIM_400000_NS6detail17trampoline_kernelINS0_14default_configENS1_37merge_sort_block_sort_config_selectorIlNS0_10empty_typeEEEZNS1_21merge_sort_block_sortIS3_PlS8_PS5_S9_ZN2at6native12_GLOBAL__N_124unique_dim_cuda_templateIbEESt5tupleIJNSA_6TensorESF_SF_EERKSF_lbbbEUlllE_EE10hipError_tT0_T1_T2_T3_mRjT4_P12ihipStream_tbNS1_7vsmem_tEEUlT_E_NS1_11comp_targetILNS1_3genE10ELNS1_11target_archE1200ELNS1_3gpuE4ELNS1_3repE0EEENS1_30default_config_static_selectorELNS0_4arch9wavefront6targetE1EEEvSM_
; %bb.0:
	.section	.rodata,"a",@progbits
	.p2align	6, 0x0
	.amdhsa_kernel _ZN7rocprim17ROCPRIM_400000_NS6detail17trampoline_kernelINS0_14default_configENS1_37merge_sort_block_sort_config_selectorIlNS0_10empty_typeEEEZNS1_21merge_sort_block_sortIS3_PlS8_PS5_S9_ZN2at6native12_GLOBAL__N_124unique_dim_cuda_templateIbEESt5tupleIJNSA_6TensorESF_SF_EERKSF_lbbbEUlllE_EE10hipError_tT0_T1_T2_T3_mRjT4_P12ihipStream_tbNS1_7vsmem_tEEUlT_E_NS1_11comp_targetILNS1_3genE10ELNS1_11target_archE1200ELNS1_3gpuE4ELNS1_3repE0EEENS1_30default_config_static_selectorELNS0_4arch9wavefront6targetE1EEEvSM_
		.amdhsa_group_segment_fixed_size 0
		.amdhsa_private_segment_fixed_size 0
		.amdhsa_kernarg_size 72
		.amdhsa_user_sgpr_count 6
		.amdhsa_user_sgpr_private_segment_buffer 1
		.amdhsa_user_sgpr_dispatch_ptr 0
		.amdhsa_user_sgpr_queue_ptr 0
		.amdhsa_user_sgpr_kernarg_segment_ptr 1
		.amdhsa_user_sgpr_dispatch_id 0
		.amdhsa_user_sgpr_flat_scratch_init 0
		.amdhsa_user_sgpr_kernarg_preload_length 0
		.amdhsa_user_sgpr_kernarg_preload_offset 0
		.amdhsa_user_sgpr_private_segment_size 0
		.amdhsa_uses_dynamic_stack 0
		.amdhsa_system_sgpr_private_segment_wavefront_offset 0
		.amdhsa_system_sgpr_workgroup_id_x 1
		.amdhsa_system_sgpr_workgroup_id_y 0
		.amdhsa_system_sgpr_workgroup_id_z 0
		.amdhsa_system_sgpr_workgroup_info 0
		.amdhsa_system_vgpr_workitem_id 0
		.amdhsa_next_free_vgpr 1
		.amdhsa_next_free_sgpr 0
		.amdhsa_accum_offset 4
		.amdhsa_reserve_vcc 0
		.amdhsa_reserve_flat_scratch 0
		.amdhsa_float_round_mode_32 0
		.amdhsa_float_round_mode_16_64 0
		.amdhsa_float_denorm_mode_32 3
		.amdhsa_float_denorm_mode_16_64 3
		.amdhsa_dx10_clamp 1
		.amdhsa_ieee_mode 1
		.amdhsa_fp16_overflow 0
		.amdhsa_tg_split 0
		.amdhsa_exception_fp_ieee_invalid_op 0
		.amdhsa_exception_fp_denorm_src 0
		.amdhsa_exception_fp_ieee_div_zero 0
		.amdhsa_exception_fp_ieee_overflow 0
		.amdhsa_exception_fp_ieee_underflow 0
		.amdhsa_exception_fp_ieee_inexact 0
		.amdhsa_exception_int_div_zero 0
	.end_amdhsa_kernel
	.section	.text._ZN7rocprim17ROCPRIM_400000_NS6detail17trampoline_kernelINS0_14default_configENS1_37merge_sort_block_sort_config_selectorIlNS0_10empty_typeEEEZNS1_21merge_sort_block_sortIS3_PlS8_PS5_S9_ZN2at6native12_GLOBAL__N_124unique_dim_cuda_templateIbEESt5tupleIJNSA_6TensorESF_SF_EERKSF_lbbbEUlllE_EE10hipError_tT0_T1_T2_T3_mRjT4_P12ihipStream_tbNS1_7vsmem_tEEUlT_E_NS1_11comp_targetILNS1_3genE10ELNS1_11target_archE1200ELNS1_3gpuE4ELNS1_3repE0EEENS1_30default_config_static_selectorELNS0_4arch9wavefront6targetE1EEEvSM_,"axG",@progbits,_ZN7rocprim17ROCPRIM_400000_NS6detail17trampoline_kernelINS0_14default_configENS1_37merge_sort_block_sort_config_selectorIlNS0_10empty_typeEEEZNS1_21merge_sort_block_sortIS3_PlS8_PS5_S9_ZN2at6native12_GLOBAL__N_124unique_dim_cuda_templateIbEESt5tupleIJNSA_6TensorESF_SF_EERKSF_lbbbEUlllE_EE10hipError_tT0_T1_T2_T3_mRjT4_P12ihipStream_tbNS1_7vsmem_tEEUlT_E_NS1_11comp_targetILNS1_3genE10ELNS1_11target_archE1200ELNS1_3gpuE4ELNS1_3repE0EEENS1_30default_config_static_selectorELNS0_4arch9wavefront6targetE1EEEvSM_,comdat
.Lfunc_end999:
	.size	_ZN7rocprim17ROCPRIM_400000_NS6detail17trampoline_kernelINS0_14default_configENS1_37merge_sort_block_sort_config_selectorIlNS0_10empty_typeEEEZNS1_21merge_sort_block_sortIS3_PlS8_PS5_S9_ZN2at6native12_GLOBAL__N_124unique_dim_cuda_templateIbEESt5tupleIJNSA_6TensorESF_SF_EERKSF_lbbbEUlllE_EE10hipError_tT0_T1_T2_T3_mRjT4_P12ihipStream_tbNS1_7vsmem_tEEUlT_E_NS1_11comp_targetILNS1_3genE10ELNS1_11target_archE1200ELNS1_3gpuE4ELNS1_3repE0EEENS1_30default_config_static_selectorELNS0_4arch9wavefront6targetE1EEEvSM_, .Lfunc_end999-_ZN7rocprim17ROCPRIM_400000_NS6detail17trampoline_kernelINS0_14default_configENS1_37merge_sort_block_sort_config_selectorIlNS0_10empty_typeEEEZNS1_21merge_sort_block_sortIS3_PlS8_PS5_S9_ZN2at6native12_GLOBAL__N_124unique_dim_cuda_templateIbEESt5tupleIJNSA_6TensorESF_SF_EERKSF_lbbbEUlllE_EE10hipError_tT0_T1_T2_T3_mRjT4_P12ihipStream_tbNS1_7vsmem_tEEUlT_E_NS1_11comp_targetILNS1_3genE10ELNS1_11target_archE1200ELNS1_3gpuE4ELNS1_3repE0EEENS1_30default_config_static_selectorELNS0_4arch9wavefront6targetE1EEEvSM_
                                        ; -- End function
	.section	.AMDGPU.csdata,"",@progbits
; Kernel info:
; codeLenInByte = 0
; NumSgprs: 4
; NumVgprs: 0
; NumAgprs: 0
; TotalNumVgprs: 0
; ScratchSize: 0
; MemoryBound: 0
; FloatMode: 240
; IeeeMode: 1
; LDSByteSize: 0 bytes/workgroup (compile time only)
; SGPRBlocks: 0
; VGPRBlocks: 0
; NumSGPRsForWavesPerEU: 4
; NumVGPRsForWavesPerEU: 1
; AccumOffset: 4
; Occupancy: 8
; WaveLimiterHint : 0
; COMPUTE_PGM_RSRC2:SCRATCH_EN: 0
; COMPUTE_PGM_RSRC2:USER_SGPR: 6
; COMPUTE_PGM_RSRC2:TRAP_HANDLER: 0
; COMPUTE_PGM_RSRC2:TGID_X_EN: 1
; COMPUTE_PGM_RSRC2:TGID_Y_EN: 0
; COMPUTE_PGM_RSRC2:TGID_Z_EN: 0
; COMPUTE_PGM_RSRC2:TIDIG_COMP_CNT: 0
; COMPUTE_PGM_RSRC3_GFX90A:ACCUM_OFFSET: 0
; COMPUTE_PGM_RSRC3_GFX90A:TG_SPLIT: 0
	.section	.text._ZN7rocprim17ROCPRIM_400000_NS6detail17trampoline_kernelINS0_14default_configENS1_37merge_sort_block_sort_config_selectorIlNS0_10empty_typeEEEZNS1_21merge_sort_block_sortIS3_PlS8_PS5_S9_ZN2at6native12_GLOBAL__N_124unique_dim_cuda_templateIbEESt5tupleIJNSA_6TensorESF_SF_EERKSF_lbbbEUlllE_EE10hipError_tT0_T1_T2_T3_mRjT4_P12ihipStream_tbNS1_7vsmem_tEEUlT_E_NS1_11comp_targetILNS1_3genE9ELNS1_11target_archE1100ELNS1_3gpuE3ELNS1_3repE0EEENS1_30default_config_static_selectorELNS0_4arch9wavefront6targetE1EEEvSM_,"axG",@progbits,_ZN7rocprim17ROCPRIM_400000_NS6detail17trampoline_kernelINS0_14default_configENS1_37merge_sort_block_sort_config_selectorIlNS0_10empty_typeEEEZNS1_21merge_sort_block_sortIS3_PlS8_PS5_S9_ZN2at6native12_GLOBAL__N_124unique_dim_cuda_templateIbEESt5tupleIJNSA_6TensorESF_SF_EERKSF_lbbbEUlllE_EE10hipError_tT0_T1_T2_T3_mRjT4_P12ihipStream_tbNS1_7vsmem_tEEUlT_E_NS1_11comp_targetILNS1_3genE9ELNS1_11target_archE1100ELNS1_3gpuE3ELNS1_3repE0EEENS1_30default_config_static_selectorELNS0_4arch9wavefront6targetE1EEEvSM_,comdat
	.globl	_ZN7rocprim17ROCPRIM_400000_NS6detail17trampoline_kernelINS0_14default_configENS1_37merge_sort_block_sort_config_selectorIlNS0_10empty_typeEEEZNS1_21merge_sort_block_sortIS3_PlS8_PS5_S9_ZN2at6native12_GLOBAL__N_124unique_dim_cuda_templateIbEESt5tupleIJNSA_6TensorESF_SF_EERKSF_lbbbEUlllE_EE10hipError_tT0_T1_T2_T3_mRjT4_P12ihipStream_tbNS1_7vsmem_tEEUlT_E_NS1_11comp_targetILNS1_3genE9ELNS1_11target_archE1100ELNS1_3gpuE3ELNS1_3repE0EEENS1_30default_config_static_selectorELNS0_4arch9wavefront6targetE1EEEvSM_ ; -- Begin function _ZN7rocprim17ROCPRIM_400000_NS6detail17trampoline_kernelINS0_14default_configENS1_37merge_sort_block_sort_config_selectorIlNS0_10empty_typeEEEZNS1_21merge_sort_block_sortIS3_PlS8_PS5_S9_ZN2at6native12_GLOBAL__N_124unique_dim_cuda_templateIbEESt5tupleIJNSA_6TensorESF_SF_EERKSF_lbbbEUlllE_EE10hipError_tT0_T1_T2_T3_mRjT4_P12ihipStream_tbNS1_7vsmem_tEEUlT_E_NS1_11comp_targetILNS1_3genE9ELNS1_11target_archE1100ELNS1_3gpuE3ELNS1_3repE0EEENS1_30default_config_static_selectorELNS0_4arch9wavefront6targetE1EEEvSM_
	.p2align	8
	.type	_ZN7rocprim17ROCPRIM_400000_NS6detail17trampoline_kernelINS0_14default_configENS1_37merge_sort_block_sort_config_selectorIlNS0_10empty_typeEEEZNS1_21merge_sort_block_sortIS3_PlS8_PS5_S9_ZN2at6native12_GLOBAL__N_124unique_dim_cuda_templateIbEESt5tupleIJNSA_6TensorESF_SF_EERKSF_lbbbEUlllE_EE10hipError_tT0_T1_T2_T3_mRjT4_P12ihipStream_tbNS1_7vsmem_tEEUlT_E_NS1_11comp_targetILNS1_3genE9ELNS1_11target_archE1100ELNS1_3gpuE3ELNS1_3repE0EEENS1_30default_config_static_selectorELNS0_4arch9wavefront6targetE1EEEvSM_,@function
_ZN7rocprim17ROCPRIM_400000_NS6detail17trampoline_kernelINS0_14default_configENS1_37merge_sort_block_sort_config_selectorIlNS0_10empty_typeEEEZNS1_21merge_sort_block_sortIS3_PlS8_PS5_S9_ZN2at6native12_GLOBAL__N_124unique_dim_cuda_templateIbEESt5tupleIJNSA_6TensorESF_SF_EERKSF_lbbbEUlllE_EE10hipError_tT0_T1_T2_T3_mRjT4_P12ihipStream_tbNS1_7vsmem_tEEUlT_E_NS1_11comp_targetILNS1_3genE9ELNS1_11target_archE1100ELNS1_3gpuE3ELNS1_3repE0EEENS1_30default_config_static_selectorELNS0_4arch9wavefront6targetE1EEEvSM_: ; @_ZN7rocprim17ROCPRIM_400000_NS6detail17trampoline_kernelINS0_14default_configENS1_37merge_sort_block_sort_config_selectorIlNS0_10empty_typeEEEZNS1_21merge_sort_block_sortIS3_PlS8_PS5_S9_ZN2at6native12_GLOBAL__N_124unique_dim_cuda_templateIbEESt5tupleIJNSA_6TensorESF_SF_EERKSF_lbbbEUlllE_EE10hipError_tT0_T1_T2_T3_mRjT4_P12ihipStream_tbNS1_7vsmem_tEEUlT_E_NS1_11comp_targetILNS1_3genE9ELNS1_11target_archE1100ELNS1_3gpuE3ELNS1_3repE0EEENS1_30default_config_static_selectorELNS0_4arch9wavefront6targetE1EEEvSM_
; %bb.0:
	.section	.rodata,"a",@progbits
	.p2align	6, 0x0
	.amdhsa_kernel _ZN7rocprim17ROCPRIM_400000_NS6detail17trampoline_kernelINS0_14default_configENS1_37merge_sort_block_sort_config_selectorIlNS0_10empty_typeEEEZNS1_21merge_sort_block_sortIS3_PlS8_PS5_S9_ZN2at6native12_GLOBAL__N_124unique_dim_cuda_templateIbEESt5tupleIJNSA_6TensorESF_SF_EERKSF_lbbbEUlllE_EE10hipError_tT0_T1_T2_T3_mRjT4_P12ihipStream_tbNS1_7vsmem_tEEUlT_E_NS1_11comp_targetILNS1_3genE9ELNS1_11target_archE1100ELNS1_3gpuE3ELNS1_3repE0EEENS1_30default_config_static_selectorELNS0_4arch9wavefront6targetE1EEEvSM_
		.amdhsa_group_segment_fixed_size 0
		.amdhsa_private_segment_fixed_size 0
		.amdhsa_kernarg_size 72
		.amdhsa_user_sgpr_count 6
		.amdhsa_user_sgpr_private_segment_buffer 1
		.amdhsa_user_sgpr_dispatch_ptr 0
		.amdhsa_user_sgpr_queue_ptr 0
		.amdhsa_user_sgpr_kernarg_segment_ptr 1
		.amdhsa_user_sgpr_dispatch_id 0
		.amdhsa_user_sgpr_flat_scratch_init 0
		.amdhsa_user_sgpr_kernarg_preload_length 0
		.amdhsa_user_sgpr_kernarg_preload_offset 0
		.amdhsa_user_sgpr_private_segment_size 0
		.amdhsa_uses_dynamic_stack 0
		.amdhsa_system_sgpr_private_segment_wavefront_offset 0
		.amdhsa_system_sgpr_workgroup_id_x 1
		.amdhsa_system_sgpr_workgroup_id_y 0
		.amdhsa_system_sgpr_workgroup_id_z 0
		.amdhsa_system_sgpr_workgroup_info 0
		.amdhsa_system_vgpr_workitem_id 0
		.amdhsa_next_free_vgpr 1
		.amdhsa_next_free_sgpr 0
		.amdhsa_accum_offset 4
		.amdhsa_reserve_vcc 0
		.amdhsa_reserve_flat_scratch 0
		.amdhsa_float_round_mode_32 0
		.amdhsa_float_round_mode_16_64 0
		.amdhsa_float_denorm_mode_32 3
		.amdhsa_float_denorm_mode_16_64 3
		.amdhsa_dx10_clamp 1
		.amdhsa_ieee_mode 1
		.amdhsa_fp16_overflow 0
		.amdhsa_tg_split 0
		.amdhsa_exception_fp_ieee_invalid_op 0
		.amdhsa_exception_fp_denorm_src 0
		.amdhsa_exception_fp_ieee_div_zero 0
		.amdhsa_exception_fp_ieee_overflow 0
		.amdhsa_exception_fp_ieee_underflow 0
		.amdhsa_exception_fp_ieee_inexact 0
		.amdhsa_exception_int_div_zero 0
	.end_amdhsa_kernel
	.section	.text._ZN7rocprim17ROCPRIM_400000_NS6detail17trampoline_kernelINS0_14default_configENS1_37merge_sort_block_sort_config_selectorIlNS0_10empty_typeEEEZNS1_21merge_sort_block_sortIS3_PlS8_PS5_S9_ZN2at6native12_GLOBAL__N_124unique_dim_cuda_templateIbEESt5tupleIJNSA_6TensorESF_SF_EERKSF_lbbbEUlllE_EE10hipError_tT0_T1_T2_T3_mRjT4_P12ihipStream_tbNS1_7vsmem_tEEUlT_E_NS1_11comp_targetILNS1_3genE9ELNS1_11target_archE1100ELNS1_3gpuE3ELNS1_3repE0EEENS1_30default_config_static_selectorELNS0_4arch9wavefront6targetE1EEEvSM_,"axG",@progbits,_ZN7rocprim17ROCPRIM_400000_NS6detail17trampoline_kernelINS0_14default_configENS1_37merge_sort_block_sort_config_selectorIlNS0_10empty_typeEEEZNS1_21merge_sort_block_sortIS3_PlS8_PS5_S9_ZN2at6native12_GLOBAL__N_124unique_dim_cuda_templateIbEESt5tupleIJNSA_6TensorESF_SF_EERKSF_lbbbEUlllE_EE10hipError_tT0_T1_T2_T3_mRjT4_P12ihipStream_tbNS1_7vsmem_tEEUlT_E_NS1_11comp_targetILNS1_3genE9ELNS1_11target_archE1100ELNS1_3gpuE3ELNS1_3repE0EEENS1_30default_config_static_selectorELNS0_4arch9wavefront6targetE1EEEvSM_,comdat
.Lfunc_end1000:
	.size	_ZN7rocprim17ROCPRIM_400000_NS6detail17trampoline_kernelINS0_14default_configENS1_37merge_sort_block_sort_config_selectorIlNS0_10empty_typeEEEZNS1_21merge_sort_block_sortIS3_PlS8_PS5_S9_ZN2at6native12_GLOBAL__N_124unique_dim_cuda_templateIbEESt5tupleIJNSA_6TensorESF_SF_EERKSF_lbbbEUlllE_EE10hipError_tT0_T1_T2_T3_mRjT4_P12ihipStream_tbNS1_7vsmem_tEEUlT_E_NS1_11comp_targetILNS1_3genE9ELNS1_11target_archE1100ELNS1_3gpuE3ELNS1_3repE0EEENS1_30default_config_static_selectorELNS0_4arch9wavefront6targetE1EEEvSM_, .Lfunc_end1000-_ZN7rocprim17ROCPRIM_400000_NS6detail17trampoline_kernelINS0_14default_configENS1_37merge_sort_block_sort_config_selectorIlNS0_10empty_typeEEEZNS1_21merge_sort_block_sortIS3_PlS8_PS5_S9_ZN2at6native12_GLOBAL__N_124unique_dim_cuda_templateIbEESt5tupleIJNSA_6TensorESF_SF_EERKSF_lbbbEUlllE_EE10hipError_tT0_T1_T2_T3_mRjT4_P12ihipStream_tbNS1_7vsmem_tEEUlT_E_NS1_11comp_targetILNS1_3genE9ELNS1_11target_archE1100ELNS1_3gpuE3ELNS1_3repE0EEENS1_30default_config_static_selectorELNS0_4arch9wavefront6targetE1EEEvSM_
                                        ; -- End function
	.section	.AMDGPU.csdata,"",@progbits
; Kernel info:
; codeLenInByte = 0
; NumSgprs: 4
; NumVgprs: 0
; NumAgprs: 0
; TotalNumVgprs: 0
; ScratchSize: 0
; MemoryBound: 0
; FloatMode: 240
; IeeeMode: 1
; LDSByteSize: 0 bytes/workgroup (compile time only)
; SGPRBlocks: 0
; VGPRBlocks: 0
; NumSGPRsForWavesPerEU: 4
; NumVGPRsForWavesPerEU: 1
; AccumOffset: 4
; Occupancy: 8
; WaveLimiterHint : 0
; COMPUTE_PGM_RSRC2:SCRATCH_EN: 0
; COMPUTE_PGM_RSRC2:USER_SGPR: 6
; COMPUTE_PGM_RSRC2:TRAP_HANDLER: 0
; COMPUTE_PGM_RSRC2:TGID_X_EN: 1
; COMPUTE_PGM_RSRC2:TGID_Y_EN: 0
; COMPUTE_PGM_RSRC2:TGID_Z_EN: 0
; COMPUTE_PGM_RSRC2:TIDIG_COMP_CNT: 0
; COMPUTE_PGM_RSRC3_GFX90A:ACCUM_OFFSET: 0
; COMPUTE_PGM_RSRC3_GFX90A:TG_SPLIT: 0
	.section	.text._ZN7rocprim17ROCPRIM_400000_NS6detail17trampoline_kernelINS0_14default_configENS1_37merge_sort_block_sort_config_selectorIlNS0_10empty_typeEEEZNS1_21merge_sort_block_sortIS3_PlS8_PS5_S9_ZN2at6native12_GLOBAL__N_124unique_dim_cuda_templateIbEESt5tupleIJNSA_6TensorESF_SF_EERKSF_lbbbEUlllE_EE10hipError_tT0_T1_T2_T3_mRjT4_P12ihipStream_tbNS1_7vsmem_tEEUlT_E_NS1_11comp_targetILNS1_3genE8ELNS1_11target_archE1030ELNS1_3gpuE2ELNS1_3repE0EEENS1_30default_config_static_selectorELNS0_4arch9wavefront6targetE1EEEvSM_,"axG",@progbits,_ZN7rocprim17ROCPRIM_400000_NS6detail17trampoline_kernelINS0_14default_configENS1_37merge_sort_block_sort_config_selectorIlNS0_10empty_typeEEEZNS1_21merge_sort_block_sortIS3_PlS8_PS5_S9_ZN2at6native12_GLOBAL__N_124unique_dim_cuda_templateIbEESt5tupleIJNSA_6TensorESF_SF_EERKSF_lbbbEUlllE_EE10hipError_tT0_T1_T2_T3_mRjT4_P12ihipStream_tbNS1_7vsmem_tEEUlT_E_NS1_11comp_targetILNS1_3genE8ELNS1_11target_archE1030ELNS1_3gpuE2ELNS1_3repE0EEENS1_30default_config_static_selectorELNS0_4arch9wavefront6targetE1EEEvSM_,comdat
	.globl	_ZN7rocprim17ROCPRIM_400000_NS6detail17trampoline_kernelINS0_14default_configENS1_37merge_sort_block_sort_config_selectorIlNS0_10empty_typeEEEZNS1_21merge_sort_block_sortIS3_PlS8_PS5_S9_ZN2at6native12_GLOBAL__N_124unique_dim_cuda_templateIbEESt5tupleIJNSA_6TensorESF_SF_EERKSF_lbbbEUlllE_EE10hipError_tT0_T1_T2_T3_mRjT4_P12ihipStream_tbNS1_7vsmem_tEEUlT_E_NS1_11comp_targetILNS1_3genE8ELNS1_11target_archE1030ELNS1_3gpuE2ELNS1_3repE0EEENS1_30default_config_static_selectorELNS0_4arch9wavefront6targetE1EEEvSM_ ; -- Begin function _ZN7rocprim17ROCPRIM_400000_NS6detail17trampoline_kernelINS0_14default_configENS1_37merge_sort_block_sort_config_selectorIlNS0_10empty_typeEEEZNS1_21merge_sort_block_sortIS3_PlS8_PS5_S9_ZN2at6native12_GLOBAL__N_124unique_dim_cuda_templateIbEESt5tupleIJNSA_6TensorESF_SF_EERKSF_lbbbEUlllE_EE10hipError_tT0_T1_T2_T3_mRjT4_P12ihipStream_tbNS1_7vsmem_tEEUlT_E_NS1_11comp_targetILNS1_3genE8ELNS1_11target_archE1030ELNS1_3gpuE2ELNS1_3repE0EEENS1_30default_config_static_selectorELNS0_4arch9wavefront6targetE1EEEvSM_
	.p2align	8
	.type	_ZN7rocprim17ROCPRIM_400000_NS6detail17trampoline_kernelINS0_14default_configENS1_37merge_sort_block_sort_config_selectorIlNS0_10empty_typeEEEZNS1_21merge_sort_block_sortIS3_PlS8_PS5_S9_ZN2at6native12_GLOBAL__N_124unique_dim_cuda_templateIbEESt5tupleIJNSA_6TensorESF_SF_EERKSF_lbbbEUlllE_EE10hipError_tT0_T1_T2_T3_mRjT4_P12ihipStream_tbNS1_7vsmem_tEEUlT_E_NS1_11comp_targetILNS1_3genE8ELNS1_11target_archE1030ELNS1_3gpuE2ELNS1_3repE0EEENS1_30default_config_static_selectorELNS0_4arch9wavefront6targetE1EEEvSM_,@function
_ZN7rocprim17ROCPRIM_400000_NS6detail17trampoline_kernelINS0_14default_configENS1_37merge_sort_block_sort_config_selectorIlNS0_10empty_typeEEEZNS1_21merge_sort_block_sortIS3_PlS8_PS5_S9_ZN2at6native12_GLOBAL__N_124unique_dim_cuda_templateIbEESt5tupleIJNSA_6TensorESF_SF_EERKSF_lbbbEUlllE_EE10hipError_tT0_T1_T2_T3_mRjT4_P12ihipStream_tbNS1_7vsmem_tEEUlT_E_NS1_11comp_targetILNS1_3genE8ELNS1_11target_archE1030ELNS1_3gpuE2ELNS1_3repE0EEENS1_30default_config_static_selectorELNS0_4arch9wavefront6targetE1EEEvSM_: ; @_ZN7rocprim17ROCPRIM_400000_NS6detail17trampoline_kernelINS0_14default_configENS1_37merge_sort_block_sort_config_selectorIlNS0_10empty_typeEEEZNS1_21merge_sort_block_sortIS3_PlS8_PS5_S9_ZN2at6native12_GLOBAL__N_124unique_dim_cuda_templateIbEESt5tupleIJNSA_6TensorESF_SF_EERKSF_lbbbEUlllE_EE10hipError_tT0_T1_T2_T3_mRjT4_P12ihipStream_tbNS1_7vsmem_tEEUlT_E_NS1_11comp_targetILNS1_3genE8ELNS1_11target_archE1030ELNS1_3gpuE2ELNS1_3repE0EEENS1_30default_config_static_selectorELNS0_4arch9wavefront6targetE1EEEvSM_
; %bb.0:
	.section	.rodata,"a",@progbits
	.p2align	6, 0x0
	.amdhsa_kernel _ZN7rocprim17ROCPRIM_400000_NS6detail17trampoline_kernelINS0_14default_configENS1_37merge_sort_block_sort_config_selectorIlNS0_10empty_typeEEEZNS1_21merge_sort_block_sortIS3_PlS8_PS5_S9_ZN2at6native12_GLOBAL__N_124unique_dim_cuda_templateIbEESt5tupleIJNSA_6TensorESF_SF_EERKSF_lbbbEUlllE_EE10hipError_tT0_T1_T2_T3_mRjT4_P12ihipStream_tbNS1_7vsmem_tEEUlT_E_NS1_11comp_targetILNS1_3genE8ELNS1_11target_archE1030ELNS1_3gpuE2ELNS1_3repE0EEENS1_30default_config_static_selectorELNS0_4arch9wavefront6targetE1EEEvSM_
		.amdhsa_group_segment_fixed_size 0
		.amdhsa_private_segment_fixed_size 0
		.amdhsa_kernarg_size 72
		.amdhsa_user_sgpr_count 6
		.amdhsa_user_sgpr_private_segment_buffer 1
		.amdhsa_user_sgpr_dispatch_ptr 0
		.amdhsa_user_sgpr_queue_ptr 0
		.amdhsa_user_sgpr_kernarg_segment_ptr 1
		.amdhsa_user_sgpr_dispatch_id 0
		.amdhsa_user_sgpr_flat_scratch_init 0
		.amdhsa_user_sgpr_kernarg_preload_length 0
		.amdhsa_user_sgpr_kernarg_preload_offset 0
		.amdhsa_user_sgpr_private_segment_size 0
		.amdhsa_uses_dynamic_stack 0
		.amdhsa_system_sgpr_private_segment_wavefront_offset 0
		.amdhsa_system_sgpr_workgroup_id_x 1
		.amdhsa_system_sgpr_workgroup_id_y 0
		.amdhsa_system_sgpr_workgroup_id_z 0
		.amdhsa_system_sgpr_workgroup_info 0
		.amdhsa_system_vgpr_workitem_id 0
		.amdhsa_next_free_vgpr 1
		.amdhsa_next_free_sgpr 0
		.amdhsa_accum_offset 4
		.amdhsa_reserve_vcc 0
		.amdhsa_reserve_flat_scratch 0
		.amdhsa_float_round_mode_32 0
		.amdhsa_float_round_mode_16_64 0
		.amdhsa_float_denorm_mode_32 3
		.amdhsa_float_denorm_mode_16_64 3
		.amdhsa_dx10_clamp 1
		.amdhsa_ieee_mode 1
		.amdhsa_fp16_overflow 0
		.amdhsa_tg_split 0
		.amdhsa_exception_fp_ieee_invalid_op 0
		.amdhsa_exception_fp_denorm_src 0
		.amdhsa_exception_fp_ieee_div_zero 0
		.amdhsa_exception_fp_ieee_overflow 0
		.amdhsa_exception_fp_ieee_underflow 0
		.amdhsa_exception_fp_ieee_inexact 0
		.amdhsa_exception_int_div_zero 0
	.end_amdhsa_kernel
	.section	.text._ZN7rocprim17ROCPRIM_400000_NS6detail17trampoline_kernelINS0_14default_configENS1_37merge_sort_block_sort_config_selectorIlNS0_10empty_typeEEEZNS1_21merge_sort_block_sortIS3_PlS8_PS5_S9_ZN2at6native12_GLOBAL__N_124unique_dim_cuda_templateIbEESt5tupleIJNSA_6TensorESF_SF_EERKSF_lbbbEUlllE_EE10hipError_tT0_T1_T2_T3_mRjT4_P12ihipStream_tbNS1_7vsmem_tEEUlT_E_NS1_11comp_targetILNS1_3genE8ELNS1_11target_archE1030ELNS1_3gpuE2ELNS1_3repE0EEENS1_30default_config_static_selectorELNS0_4arch9wavefront6targetE1EEEvSM_,"axG",@progbits,_ZN7rocprim17ROCPRIM_400000_NS6detail17trampoline_kernelINS0_14default_configENS1_37merge_sort_block_sort_config_selectorIlNS0_10empty_typeEEEZNS1_21merge_sort_block_sortIS3_PlS8_PS5_S9_ZN2at6native12_GLOBAL__N_124unique_dim_cuda_templateIbEESt5tupleIJNSA_6TensorESF_SF_EERKSF_lbbbEUlllE_EE10hipError_tT0_T1_T2_T3_mRjT4_P12ihipStream_tbNS1_7vsmem_tEEUlT_E_NS1_11comp_targetILNS1_3genE8ELNS1_11target_archE1030ELNS1_3gpuE2ELNS1_3repE0EEENS1_30default_config_static_selectorELNS0_4arch9wavefront6targetE1EEEvSM_,comdat
.Lfunc_end1001:
	.size	_ZN7rocprim17ROCPRIM_400000_NS6detail17trampoline_kernelINS0_14default_configENS1_37merge_sort_block_sort_config_selectorIlNS0_10empty_typeEEEZNS1_21merge_sort_block_sortIS3_PlS8_PS5_S9_ZN2at6native12_GLOBAL__N_124unique_dim_cuda_templateIbEESt5tupleIJNSA_6TensorESF_SF_EERKSF_lbbbEUlllE_EE10hipError_tT0_T1_T2_T3_mRjT4_P12ihipStream_tbNS1_7vsmem_tEEUlT_E_NS1_11comp_targetILNS1_3genE8ELNS1_11target_archE1030ELNS1_3gpuE2ELNS1_3repE0EEENS1_30default_config_static_selectorELNS0_4arch9wavefront6targetE1EEEvSM_, .Lfunc_end1001-_ZN7rocprim17ROCPRIM_400000_NS6detail17trampoline_kernelINS0_14default_configENS1_37merge_sort_block_sort_config_selectorIlNS0_10empty_typeEEEZNS1_21merge_sort_block_sortIS3_PlS8_PS5_S9_ZN2at6native12_GLOBAL__N_124unique_dim_cuda_templateIbEESt5tupleIJNSA_6TensorESF_SF_EERKSF_lbbbEUlllE_EE10hipError_tT0_T1_T2_T3_mRjT4_P12ihipStream_tbNS1_7vsmem_tEEUlT_E_NS1_11comp_targetILNS1_3genE8ELNS1_11target_archE1030ELNS1_3gpuE2ELNS1_3repE0EEENS1_30default_config_static_selectorELNS0_4arch9wavefront6targetE1EEEvSM_
                                        ; -- End function
	.section	.AMDGPU.csdata,"",@progbits
; Kernel info:
; codeLenInByte = 0
; NumSgprs: 4
; NumVgprs: 0
; NumAgprs: 0
; TotalNumVgprs: 0
; ScratchSize: 0
; MemoryBound: 0
; FloatMode: 240
; IeeeMode: 1
; LDSByteSize: 0 bytes/workgroup (compile time only)
; SGPRBlocks: 0
; VGPRBlocks: 0
; NumSGPRsForWavesPerEU: 4
; NumVGPRsForWavesPerEU: 1
; AccumOffset: 4
; Occupancy: 8
; WaveLimiterHint : 0
; COMPUTE_PGM_RSRC2:SCRATCH_EN: 0
; COMPUTE_PGM_RSRC2:USER_SGPR: 6
; COMPUTE_PGM_RSRC2:TRAP_HANDLER: 0
; COMPUTE_PGM_RSRC2:TGID_X_EN: 1
; COMPUTE_PGM_RSRC2:TGID_Y_EN: 0
; COMPUTE_PGM_RSRC2:TGID_Z_EN: 0
; COMPUTE_PGM_RSRC2:TIDIG_COMP_CNT: 0
; COMPUTE_PGM_RSRC3_GFX90A:ACCUM_OFFSET: 0
; COMPUTE_PGM_RSRC3_GFX90A:TG_SPLIT: 0
	.section	.text._ZN7rocprim17ROCPRIM_400000_NS6detail17trampoline_kernelINS0_14default_configENS1_38merge_sort_block_merge_config_selectorIlNS0_10empty_typeEEEZZNS1_27merge_sort_block_merge_implIS3_PlPS5_mZN2at6native12_GLOBAL__N_124unique_dim_cuda_templateIbEESt5tupleIJNSA_6TensorESF_SF_EERKSF_lbbbEUlllE_EE10hipError_tT0_T1_T2_jT3_P12ihipStream_tbPNSt15iterator_traitsISL_E10value_typeEPNSR_ISM_E10value_typeEPSN_NS1_7vsmem_tEENKUlT_SL_SM_SN_E_clIS8_S8_S9_S9_EESK_S10_SL_SM_SN_EUlS10_E_NS1_11comp_targetILNS1_3genE0ELNS1_11target_archE4294967295ELNS1_3gpuE0ELNS1_3repE0EEENS1_48merge_mergepath_partition_config_static_selectorELNS0_4arch9wavefront6targetE1EEEvSM_,"axG",@progbits,_ZN7rocprim17ROCPRIM_400000_NS6detail17trampoline_kernelINS0_14default_configENS1_38merge_sort_block_merge_config_selectorIlNS0_10empty_typeEEEZZNS1_27merge_sort_block_merge_implIS3_PlPS5_mZN2at6native12_GLOBAL__N_124unique_dim_cuda_templateIbEESt5tupleIJNSA_6TensorESF_SF_EERKSF_lbbbEUlllE_EE10hipError_tT0_T1_T2_jT3_P12ihipStream_tbPNSt15iterator_traitsISL_E10value_typeEPNSR_ISM_E10value_typeEPSN_NS1_7vsmem_tEENKUlT_SL_SM_SN_E_clIS8_S8_S9_S9_EESK_S10_SL_SM_SN_EUlS10_E_NS1_11comp_targetILNS1_3genE0ELNS1_11target_archE4294967295ELNS1_3gpuE0ELNS1_3repE0EEENS1_48merge_mergepath_partition_config_static_selectorELNS0_4arch9wavefront6targetE1EEEvSM_,comdat
	.globl	_ZN7rocprim17ROCPRIM_400000_NS6detail17trampoline_kernelINS0_14default_configENS1_38merge_sort_block_merge_config_selectorIlNS0_10empty_typeEEEZZNS1_27merge_sort_block_merge_implIS3_PlPS5_mZN2at6native12_GLOBAL__N_124unique_dim_cuda_templateIbEESt5tupleIJNSA_6TensorESF_SF_EERKSF_lbbbEUlllE_EE10hipError_tT0_T1_T2_jT3_P12ihipStream_tbPNSt15iterator_traitsISL_E10value_typeEPNSR_ISM_E10value_typeEPSN_NS1_7vsmem_tEENKUlT_SL_SM_SN_E_clIS8_S8_S9_S9_EESK_S10_SL_SM_SN_EUlS10_E_NS1_11comp_targetILNS1_3genE0ELNS1_11target_archE4294967295ELNS1_3gpuE0ELNS1_3repE0EEENS1_48merge_mergepath_partition_config_static_selectorELNS0_4arch9wavefront6targetE1EEEvSM_ ; -- Begin function _ZN7rocprim17ROCPRIM_400000_NS6detail17trampoline_kernelINS0_14default_configENS1_38merge_sort_block_merge_config_selectorIlNS0_10empty_typeEEEZZNS1_27merge_sort_block_merge_implIS3_PlPS5_mZN2at6native12_GLOBAL__N_124unique_dim_cuda_templateIbEESt5tupleIJNSA_6TensorESF_SF_EERKSF_lbbbEUlllE_EE10hipError_tT0_T1_T2_jT3_P12ihipStream_tbPNSt15iterator_traitsISL_E10value_typeEPNSR_ISM_E10value_typeEPSN_NS1_7vsmem_tEENKUlT_SL_SM_SN_E_clIS8_S8_S9_S9_EESK_S10_SL_SM_SN_EUlS10_E_NS1_11comp_targetILNS1_3genE0ELNS1_11target_archE4294967295ELNS1_3gpuE0ELNS1_3repE0EEENS1_48merge_mergepath_partition_config_static_selectorELNS0_4arch9wavefront6targetE1EEEvSM_
	.p2align	8
	.type	_ZN7rocprim17ROCPRIM_400000_NS6detail17trampoline_kernelINS0_14default_configENS1_38merge_sort_block_merge_config_selectorIlNS0_10empty_typeEEEZZNS1_27merge_sort_block_merge_implIS3_PlPS5_mZN2at6native12_GLOBAL__N_124unique_dim_cuda_templateIbEESt5tupleIJNSA_6TensorESF_SF_EERKSF_lbbbEUlllE_EE10hipError_tT0_T1_T2_jT3_P12ihipStream_tbPNSt15iterator_traitsISL_E10value_typeEPNSR_ISM_E10value_typeEPSN_NS1_7vsmem_tEENKUlT_SL_SM_SN_E_clIS8_S8_S9_S9_EESK_S10_SL_SM_SN_EUlS10_E_NS1_11comp_targetILNS1_3genE0ELNS1_11target_archE4294967295ELNS1_3gpuE0ELNS1_3repE0EEENS1_48merge_mergepath_partition_config_static_selectorELNS0_4arch9wavefront6targetE1EEEvSM_,@function
_ZN7rocprim17ROCPRIM_400000_NS6detail17trampoline_kernelINS0_14default_configENS1_38merge_sort_block_merge_config_selectorIlNS0_10empty_typeEEEZZNS1_27merge_sort_block_merge_implIS3_PlPS5_mZN2at6native12_GLOBAL__N_124unique_dim_cuda_templateIbEESt5tupleIJNSA_6TensorESF_SF_EERKSF_lbbbEUlllE_EE10hipError_tT0_T1_T2_jT3_P12ihipStream_tbPNSt15iterator_traitsISL_E10value_typeEPNSR_ISM_E10value_typeEPSN_NS1_7vsmem_tEENKUlT_SL_SM_SN_E_clIS8_S8_S9_S9_EESK_S10_SL_SM_SN_EUlS10_E_NS1_11comp_targetILNS1_3genE0ELNS1_11target_archE4294967295ELNS1_3gpuE0ELNS1_3repE0EEENS1_48merge_mergepath_partition_config_static_selectorELNS0_4arch9wavefront6targetE1EEEvSM_: ; @_ZN7rocprim17ROCPRIM_400000_NS6detail17trampoline_kernelINS0_14default_configENS1_38merge_sort_block_merge_config_selectorIlNS0_10empty_typeEEEZZNS1_27merge_sort_block_merge_implIS3_PlPS5_mZN2at6native12_GLOBAL__N_124unique_dim_cuda_templateIbEESt5tupleIJNSA_6TensorESF_SF_EERKSF_lbbbEUlllE_EE10hipError_tT0_T1_T2_jT3_P12ihipStream_tbPNSt15iterator_traitsISL_E10value_typeEPNSR_ISM_E10value_typeEPSN_NS1_7vsmem_tEENKUlT_SL_SM_SN_E_clIS8_S8_S9_S9_EESK_S10_SL_SM_SN_EUlS10_E_NS1_11comp_targetILNS1_3genE0ELNS1_11target_archE4294967295ELNS1_3gpuE0ELNS1_3repE0EEENS1_48merge_mergepath_partition_config_static_selectorELNS0_4arch9wavefront6targetE1EEEvSM_
; %bb.0:
	.section	.rodata,"a",@progbits
	.p2align	6, 0x0
	.amdhsa_kernel _ZN7rocprim17ROCPRIM_400000_NS6detail17trampoline_kernelINS0_14default_configENS1_38merge_sort_block_merge_config_selectorIlNS0_10empty_typeEEEZZNS1_27merge_sort_block_merge_implIS3_PlPS5_mZN2at6native12_GLOBAL__N_124unique_dim_cuda_templateIbEESt5tupleIJNSA_6TensorESF_SF_EERKSF_lbbbEUlllE_EE10hipError_tT0_T1_T2_jT3_P12ihipStream_tbPNSt15iterator_traitsISL_E10value_typeEPNSR_ISM_E10value_typeEPSN_NS1_7vsmem_tEENKUlT_SL_SM_SN_E_clIS8_S8_S9_S9_EESK_S10_SL_SM_SN_EUlS10_E_NS1_11comp_targetILNS1_3genE0ELNS1_11target_archE4294967295ELNS1_3gpuE0ELNS1_3repE0EEENS1_48merge_mergepath_partition_config_static_selectorELNS0_4arch9wavefront6targetE1EEEvSM_
		.amdhsa_group_segment_fixed_size 0
		.amdhsa_private_segment_fixed_size 0
		.amdhsa_kernarg_size 56
		.amdhsa_user_sgpr_count 6
		.amdhsa_user_sgpr_private_segment_buffer 1
		.amdhsa_user_sgpr_dispatch_ptr 0
		.amdhsa_user_sgpr_queue_ptr 0
		.amdhsa_user_sgpr_kernarg_segment_ptr 1
		.amdhsa_user_sgpr_dispatch_id 0
		.amdhsa_user_sgpr_flat_scratch_init 0
		.amdhsa_user_sgpr_kernarg_preload_length 0
		.amdhsa_user_sgpr_kernarg_preload_offset 0
		.amdhsa_user_sgpr_private_segment_size 0
		.amdhsa_uses_dynamic_stack 0
		.amdhsa_system_sgpr_private_segment_wavefront_offset 0
		.amdhsa_system_sgpr_workgroup_id_x 1
		.amdhsa_system_sgpr_workgroup_id_y 0
		.amdhsa_system_sgpr_workgroup_id_z 0
		.amdhsa_system_sgpr_workgroup_info 0
		.amdhsa_system_vgpr_workitem_id 0
		.amdhsa_next_free_vgpr 1
		.amdhsa_next_free_sgpr 0
		.amdhsa_accum_offset 4
		.amdhsa_reserve_vcc 0
		.amdhsa_reserve_flat_scratch 0
		.amdhsa_float_round_mode_32 0
		.amdhsa_float_round_mode_16_64 0
		.amdhsa_float_denorm_mode_32 3
		.amdhsa_float_denorm_mode_16_64 3
		.amdhsa_dx10_clamp 1
		.amdhsa_ieee_mode 1
		.amdhsa_fp16_overflow 0
		.amdhsa_tg_split 0
		.amdhsa_exception_fp_ieee_invalid_op 0
		.amdhsa_exception_fp_denorm_src 0
		.amdhsa_exception_fp_ieee_div_zero 0
		.amdhsa_exception_fp_ieee_overflow 0
		.amdhsa_exception_fp_ieee_underflow 0
		.amdhsa_exception_fp_ieee_inexact 0
		.amdhsa_exception_int_div_zero 0
	.end_amdhsa_kernel
	.section	.text._ZN7rocprim17ROCPRIM_400000_NS6detail17trampoline_kernelINS0_14default_configENS1_38merge_sort_block_merge_config_selectorIlNS0_10empty_typeEEEZZNS1_27merge_sort_block_merge_implIS3_PlPS5_mZN2at6native12_GLOBAL__N_124unique_dim_cuda_templateIbEESt5tupleIJNSA_6TensorESF_SF_EERKSF_lbbbEUlllE_EE10hipError_tT0_T1_T2_jT3_P12ihipStream_tbPNSt15iterator_traitsISL_E10value_typeEPNSR_ISM_E10value_typeEPSN_NS1_7vsmem_tEENKUlT_SL_SM_SN_E_clIS8_S8_S9_S9_EESK_S10_SL_SM_SN_EUlS10_E_NS1_11comp_targetILNS1_3genE0ELNS1_11target_archE4294967295ELNS1_3gpuE0ELNS1_3repE0EEENS1_48merge_mergepath_partition_config_static_selectorELNS0_4arch9wavefront6targetE1EEEvSM_,"axG",@progbits,_ZN7rocprim17ROCPRIM_400000_NS6detail17trampoline_kernelINS0_14default_configENS1_38merge_sort_block_merge_config_selectorIlNS0_10empty_typeEEEZZNS1_27merge_sort_block_merge_implIS3_PlPS5_mZN2at6native12_GLOBAL__N_124unique_dim_cuda_templateIbEESt5tupleIJNSA_6TensorESF_SF_EERKSF_lbbbEUlllE_EE10hipError_tT0_T1_T2_jT3_P12ihipStream_tbPNSt15iterator_traitsISL_E10value_typeEPNSR_ISM_E10value_typeEPSN_NS1_7vsmem_tEENKUlT_SL_SM_SN_E_clIS8_S8_S9_S9_EESK_S10_SL_SM_SN_EUlS10_E_NS1_11comp_targetILNS1_3genE0ELNS1_11target_archE4294967295ELNS1_3gpuE0ELNS1_3repE0EEENS1_48merge_mergepath_partition_config_static_selectorELNS0_4arch9wavefront6targetE1EEEvSM_,comdat
.Lfunc_end1002:
	.size	_ZN7rocprim17ROCPRIM_400000_NS6detail17trampoline_kernelINS0_14default_configENS1_38merge_sort_block_merge_config_selectorIlNS0_10empty_typeEEEZZNS1_27merge_sort_block_merge_implIS3_PlPS5_mZN2at6native12_GLOBAL__N_124unique_dim_cuda_templateIbEESt5tupleIJNSA_6TensorESF_SF_EERKSF_lbbbEUlllE_EE10hipError_tT0_T1_T2_jT3_P12ihipStream_tbPNSt15iterator_traitsISL_E10value_typeEPNSR_ISM_E10value_typeEPSN_NS1_7vsmem_tEENKUlT_SL_SM_SN_E_clIS8_S8_S9_S9_EESK_S10_SL_SM_SN_EUlS10_E_NS1_11comp_targetILNS1_3genE0ELNS1_11target_archE4294967295ELNS1_3gpuE0ELNS1_3repE0EEENS1_48merge_mergepath_partition_config_static_selectorELNS0_4arch9wavefront6targetE1EEEvSM_, .Lfunc_end1002-_ZN7rocprim17ROCPRIM_400000_NS6detail17trampoline_kernelINS0_14default_configENS1_38merge_sort_block_merge_config_selectorIlNS0_10empty_typeEEEZZNS1_27merge_sort_block_merge_implIS3_PlPS5_mZN2at6native12_GLOBAL__N_124unique_dim_cuda_templateIbEESt5tupleIJNSA_6TensorESF_SF_EERKSF_lbbbEUlllE_EE10hipError_tT0_T1_T2_jT3_P12ihipStream_tbPNSt15iterator_traitsISL_E10value_typeEPNSR_ISM_E10value_typeEPSN_NS1_7vsmem_tEENKUlT_SL_SM_SN_E_clIS8_S8_S9_S9_EESK_S10_SL_SM_SN_EUlS10_E_NS1_11comp_targetILNS1_3genE0ELNS1_11target_archE4294967295ELNS1_3gpuE0ELNS1_3repE0EEENS1_48merge_mergepath_partition_config_static_selectorELNS0_4arch9wavefront6targetE1EEEvSM_
                                        ; -- End function
	.section	.AMDGPU.csdata,"",@progbits
; Kernel info:
; codeLenInByte = 0
; NumSgprs: 4
; NumVgprs: 0
; NumAgprs: 0
; TotalNumVgprs: 0
; ScratchSize: 0
; MemoryBound: 0
; FloatMode: 240
; IeeeMode: 1
; LDSByteSize: 0 bytes/workgroup (compile time only)
; SGPRBlocks: 0
; VGPRBlocks: 0
; NumSGPRsForWavesPerEU: 4
; NumVGPRsForWavesPerEU: 1
; AccumOffset: 4
; Occupancy: 8
; WaveLimiterHint : 0
; COMPUTE_PGM_RSRC2:SCRATCH_EN: 0
; COMPUTE_PGM_RSRC2:USER_SGPR: 6
; COMPUTE_PGM_RSRC2:TRAP_HANDLER: 0
; COMPUTE_PGM_RSRC2:TGID_X_EN: 1
; COMPUTE_PGM_RSRC2:TGID_Y_EN: 0
; COMPUTE_PGM_RSRC2:TGID_Z_EN: 0
; COMPUTE_PGM_RSRC2:TIDIG_COMP_CNT: 0
; COMPUTE_PGM_RSRC3_GFX90A:ACCUM_OFFSET: 0
; COMPUTE_PGM_RSRC3_GFX90A:TG_SPLIT: 0
	.section	.text._ZN7rocprim17ROCPRIM_400000_NS6detail17trampoline_kernelINS0_14default_configENS1_38merge_sort_block_merge_config_selectorIlNS0_10empty_typeEEEZZNS1_27merge_sort_block_merge_implIS3_PlPS5_mZN2at6native12_GLOBAL__N_124unique_dim_cuda_templateIbEESt5tupleIJNSA_6TensorESF_SF_EERKSF_lbbbEUlllE_EE10hipError_tT0_T1_T2_jT3_P12ihipStream_tbPNSt15iterator_traitsISL_E10value_typeEPNSR_ISM_E10value_typeEPSN_NS1_7vsmem_tEENKUlT_SL_SM_SN_E_clIS8_S8_S9_S9_EESK_S10_SL_SM_SN_EUlS10_E_NS1_11comp_targetILNS1_3genE10ELNS1_11target_archE1201ELNS1_3gpuE5ELNS1_3repE0EEENS1_48merge_mergepath_partition_config_static_selectorELNS0_4arch9wavefront6targetE1EEEvSM_,"axG",@progbits,_ZN7rocprim17ROCPRIM_400000_NS6detail17trampoline_kernelINS0_14default_configENS1_38merge_sort_block_merge_config_selectorIlNS0_10empty_typeEEEZZNS1_27merge_sort_block_merge_implIS3_PlPS5_mZN2at6native12_GLOBAL__N_124unique_dim_cuda_templateIbEESt5tupleIJNSA_6TensorESF_SF_EERKSF_lbbbEUlllE_EE10hipError_tT0_T1_T2_jT3_P12ihipStream_tbPNSt15iterator_traitsISL_E10value_typeEPNSR_ISM_E10value_typeEPSN_NS1_7vsmem_tEENKUlT_SL_SM_SN_E_clIS8_S8_S9_S9_EESK_S10_SL_SM_SN_EUlS10_E_NS1_11comp_targetILNS1_3genE10ELNS1_11target_archE1201ELNS1_3gpuE5ELNS1_3repE0EEENS1_48merge_mergepath_partition_config_static_selectorELNS0_4arch9wavefront6targetE1EEEvSM_,comdat
	.globl	_ZN7rocprim17ROCPRIM_400000_NS6detail17trampoline_kernelINS0_14default_configENS1_38merge_sort_block_merge_config_selectorIlNS0_10empty_typeEEEZZNS1_27merge_sort_block_merge_implIS3_PlPS5_mZN2at6native12_GLOBAL__N_124unique_dim_cuda_templateIbEESt5tupleIJNSA_6TensorESF_SF_EERKSF_lbbbEUlllE_EE10hipError_tT0_T1_T2_jT3_P12ihipStream_tbPNSt15iterator_traitsISL_E10value_typeEPNSR_ISM_E10value_typeEPSN_NS1_7vsmem_tEENKUlT_SL_SM_SN_E_clIS8_S8_S9_S9_EESK_S10_SL_SM_SN_EUlS10_E_NS1_11comp_targetILNS1_3genE10ELNS1_11target_archE1201ELNS1_3gpuE5ELNS1_3repE0EEENS1_48merge_mergepath_partition_config_static_selectorELNS0_4arch9wavefront6targetE1EEEvSM_ ; -- Begin function _ZN7rocprim17ROCPRIM_400000_NS6detail17trampoline_kernelINS0_14default_configENS1_38merge_sort_block_merge_config_selectorIlNS0_10empty_typeEEEZZNS1_27merge_sort_block_merge_implIS3_PlPS5_mZN2at6native12_GLOBAL__N_124unique_dim_cuda_templateIbEESt5tupleIJNSA_6TensorESF_SF_EERKSF_lbbbEUlllE_EE10hipError_tT0_T1_T2_jT3_P12ihipStream_tbPNSt15iterator_traitsISL_E10value_typeEPNSR_ISM_E10value_typeEPSN_NS1_7vsmem_tEENKUlT_SL_SM_SN_E_clIS8_S8_S9_S9_EESK_S10_SL_SM_SN_EUlS10_E_NS1_11comp_targetILNS1_3genE10ELNS1_11target_archE1201ELNS1_3gpuE5ELNS1_3repE0EEENS1_48merge_mergepath_partition_config_static_selectorELNS0_4arch9wavefront6targetE1EEEvSM_
	.p2align	8
	.type	_ZN7rocprim17ROCPRIM_400000_NS6detail17trampoline_kernelINS0_14default_configENS1_38merge_sort_block_merge_config_selectorIlNS0_10empty_typeEEEZZNS1_27merge_sort_block_merge_implIS3_PlPS5_mZN2at6native12_GLOBAL__N_124unique_dim_cuda_templateIbEESt5tupleIJNSA_6TensorESF_SF_EERKSF_lbbbEUlllE_EE10hipError_tT0_T1_T2_jT3_P12ihipStream_tbPNSt15iterator_traitsISL_E10value_typeEPNSR_ISM_E10value_typeEPSN_NS1_7vsmem_tEENKUlT_SL_SM_SN_E_clIS8_S8_S9_S9_EESK_S10_SL_SM_SN_EUlS10_E_NS1_11comp_targetILNS1_3genE10ELNS1_11target_archE1201ELNS1_3gpuE5ELNS1_3repE0EEENS1_48merge_mergepath_partition_config_static_selectorELNS0_4arch9wavefront6targetE1EEEvSM_,@function
_ZN7rocprim17ROCPRIM_400000_NS6detail17trampoline_kernelINS0_14default_configENS1_38merge_sort_block_merge_config_selectorIlNS0_10empty_typeEEEZZNS1_27merge_sort_block_merge_implIS3_PlPS5_mZN2at6native12_GLOBAL__N_124unique_dim_cuda_templateIbEESt5tupleIJNSA_6TensorESF_SF_EERKSF_lbbbEUlllE_EE10hipError_tT0_T1_T2_jT3_P12ihipStream_tbPNSt15iterator_traitsISL_E10value_typeEPNSR_ISM_E10value_typeEPSN_NS1_7vsmem_tEENKUlT_SL_SM_SN_E_clIS8_S8_S9_S9_EESK_S10_SL_SM_SN_EUlS10_E_NS1_11comp_targetILNS1_3genE10ELNS1_11target_archE1201ELNS1_3gpuE5ELNS1_3repE0EEENS1_48merge_mergepath_partition_config_static_selectorELNS0_4arch9wavefront6targetE1EEEvSM_: ; @_ZN7rocprim17ROCPRIM_400000_NS6detail17trampoline_kernelINS0_14default_configENS1_38merge_sort_block_merge_config_selectorIlNS0_10empty_typeEEEZZNS1_27merge_sort_block_merge_implIS3_PlPS5_mZN2at6native12_GLOBAL__N_124unique_dim_cuda_templateIbEESt5tupleIJNSA_6TensorESF_SF_EERKSF_lbbbEUlllE_EE10hipError_tT0_T1_T2_jT3_P12ihipStream_tbPNSt15iterator_traitsISL_E10value_typeEPNSR_ISM_E10value_typeEPSN_NS1_7vsmem_tEENKUlT_SL_SM_SN_E_clIS8_S8_S9_S9_EESK_S10_SL_SM_SN_EUlS10_E_NS1_11comp_targetILNS1_3genE10ELNS1_11target_archE1201ELNS1_3gpuE5ELNS1_3repE0EEENS1_48merge_mergepath_partition_config_static_selectorELNS0_4arch9wavefront6targetE1EEEvSM_
; %bb.0:
	.section	.rodata,"a",@progbits
	.p2align	6, 0x0
	.amdhsa_kernel _ZN7rocprim17ROCPRIM_400000_NS6detail17trampoline_kernelINS0_14default_configENS1_38merge_sort_block_merge_config_selectorIlNS0_10empty_typeEEEZZNS1_27merge_sort_block_merge_implIS3_PlPS5_mZN2at6native12_GLOBAL__N_124unique_dim_cuda_templateIbEESt5tupleIJNSA_6TensorESF_SF_EERKSF_lbbbEUlllE_EE10hipError_tT0_T1_T2_jT3_P12ihipStream_tbPNSt15iterator_traitsISL_E10value_typeEPNSR_ISM_E10value_typeEPSN_NS1_7vsmem_tEENKUlT_SL_SM_SN_E_clIS8_S8_S9_S9_EESK_S10_SL_SM_SN_EUlS10_E_NS1_11comp_targetILNS1_3genE10ELNS1_11target_archE1201ELNS1_3gpuE5ELNS1_3repE0EEENS1_48merge_mergepath_partition_config_static_selectorELNS0_4arch9wavefront6targetE1EEEvSM_
		.amdhsa_group_segment_fixed_size 0
		.amdhsa_private_segment_fixed_size 0
		.amdhsa_kernarg_size 56
		.amdhsa_user_sgpr_count 6
		.amdhsa_user_sgpr_private_segment_buffer 1
		.amdhsa_user_sgpr_dispatch_ptr 0
		.amdhsa_user_sgpr_queue_ptr 0
		.amdhsa_user_sgpr_kernarg_segment_ptr 1
		.amdhsa_user_sgpr_dispatch_id 0
		.amdhsa_user_sgpr_flat_scratch_init 0
		.amdhsa_user_sgpr_kernarg_preload_length 0
		.amdhsa_user_sgpr_kernarg_preload_offset 0
		.amdhsa_user_sgpr_private_segment_size 0
		.amdhsa_uses_dynamic_stack 0
		.amdhsa_system_sgpr_private_segment_wavefront_offset 0
		.amdhsa_system_sgpr_workgroup_id_x 1
		.amdhsa_system_sgpr_workgroup_id_y 0
		.amdhsa_system_sgpr_workgroup_id_z 0
		.amdhsa_system_sgpr_workgroup_info 0
		.amdhsa_system_vgpr_workitem_id 0
		.amdhsa_next_free_vgpr 1
		.amdhsa_next_free_sgpr 0
		.amdhsa_accum_offset 4
		.amdhsa_reserve_vcc 0
		.amdhsa_reserve_flat_scratch 0
		.amdhsa_float_round_mode_32 0
		.amdhsa_float_round_mode_16_64 0
		.amdhsa_float_denorm_mode_32 3
		.amdhsa_float_denorm_mode_16_64 3
		.amdhsa_dx10_clamp 1
		.amdhsa_ieee_mode 1
		.amdhsa_fp16_overflow 0
		.amdhsa_tg_split 0
		.amdhsa_exception_fp_ieee_invalid_op 0
		.amdhsa_exception_fp_denorm_src 0
		.amdhsa_exception_fp_ieee_div_zero 0
		.amdhsa_exception_fp_ieee_overflow 0
		.amdhsa_exception_fp_ieee_underflow 0
		.amdhsa_exception_fp_ieee_inexact 0
		.amdhsa_exception_int_div_zero 0
	.end_amdhsa_kernel
	.section	.text._ZN7rocprim17ROCPRIM_400000_NS6detail17trampoline_kernelINS0_14default_configENS1_38merge_sort_block_merge_config_selectorIlNS0_10empty_typeEEEZZNS1_27merge_sort_block_merge_implIS3_PlPS5_mZN2at6native12_GLOBAL__N_124unique_dim_cuda_templateIbEESt5tupleIJNSA_6TensorESF_SF_EERKSF_lbbbEUlllE_EE10hipError_tT0_T1_T2_jT3_P12ihipStream_tbPNSt15iterator_traitsISL_E10value_typeEPNSR_ISM_E10value_typeEPSN_NS1_7vsmem_tEENKUlT_SL_SM_SN_E_clIS8_S8_S9_S9_EESK_S10_SL_SM_SN_EUlS10_E_NS1_11comp_targetILNS1_3genE10ELNS1_11target_archE1201ELNS1_3gpuE5ELNS1_3repE0EEENS1_48merge_mergepath_partition_config_static_selectorELNS0_4arch9wavefront6targetE1EEEvSM_,"axG",@progbits,_ZN7rocprim17ROCPRIM_400000_NS6detail17trampoline_kernelINS0_14default_configENS1_38merge_sort_block_merge_config_selectorIlNS0_10empty_typeEEEZZNS1_27merge_sort_block_merge_implIS3_PlPS5_mZN2at6native12_GLOBAL__N_124unique_dim_cuda_templateIbEESt5tupleIJNSA_6TensorESF_SF_EERKSF_lbbbEUlllE_EE10hipError_tT0_T1_T2_jT3_P12ihipStream_tbPNSt15iterator_traitsISL_E10value_typeEPNSR_ISM_E10value_typeEPSN_NS1_7vsmem_tEENKUlT_SL_SM_SN_E_clIS8_S8_S9_S9_EESK_S10_SL_SM_SN_EUlS10_E_NS1_11comp_targetILNS1_3genE10ELNS1_11target_archE1201ELNS1_3gpuE5ELNS1_3repE0EEENS1_48merge_mergepath_partition_config_static_selectorELNS0_4arch9wavefront6targetE1EEEvSM_,comdat
.Lfunc_end1003:
	.size	_ZN7rocprim17ROCPRIM_400000_NS6detail17trampoline_kernelINS0_14default_configENS1_38merge_sort_block_merge_config_selectorIlNS0_10empty_typeEEEZZNS1_27merge_sort_block_merge_implIS3_PlPS5_mZN2at6native12_GLOBAL__N_124unique_dim_cuda_templateIbEESt5tupleIJNSA_6TensorESF_SF_EERKSF_lbbbEUlllE_EE10hipError_tT0_T1_T2_jT3_P12ihipStream_tbPNSt15iterator_traitsISL_E10value_typeEPNSR_ISM_E10value_typeEPSN_NS1_7vsmem_tEENKUlT_SL_SM_SN_E_clIS8_S8_S9_S9_EESK_S10_SL_SM_SN_EUlS10_E_NS1_11comp_targetILNS1_3genE10ELNS1_11target_archE1201ELNS1_3gpuE5ELNS1_3repE0EEENS1_48merge_mergepath_partition_config_static_selectorELNS0_4arch9wavefront6targetE1EEEvSM_, .Lfunc_end1003-_ZN7rocprim17ROCPRIM_400000_NS6detail17trampoline_kernelINS0_14default_configENS1_38merge_sort_block_merge_config_selectorIlNS0_10empty_typeEEEZZNS1_27merge_sort_block_merge_implIS3_PlPS5_mZN2at6native12_GLOBAL__N_124unique_dim_cuda_templateIbEESt5tupleIJNSA_6TensorESF_SF_EERKSF_lbbbEUlllE_EE10hipError_tT0_T1_T2_jT3_P12ihipStream_tbPNSt15iterator_traitsISL_E10value_typeEPNSR_ISM_E10value_typeEPSN_NS1_7vsmem_tEENKUlT_SL_SM_SN_E_clIS8_S8_S9_S9_EESK_S10_SL_SM_SN_EUlS10_E_NS1_11comp_targetILNS1_3genE10ELNS1_11target_archE1201ELNS1_3gpuE5ELNS1_3repE0EEENS1_48merge_mergepath_partition_config_static_selectorELNS0_4arch9wavefront6targetE1EEEvSM_
                                        ; -- End function
	.section	.AMDGPU.csdata,"",@progbits
; Kernel info:
; codeLenInByte = 0
; NumSgprs: 4
; NumVgprs: 0
; NumAgprs: 0
; TotalNumVgprs: 0
; ScratchSize: 0
; MemoryBound: 0
; FloatMode: 240
; IeeeMode: 1
; LDSByteSize: 0 bytes/workgroup (compile time only)
; SGPRBlocks: 0
; VGPRBlocks: 0
; NumSGPRsForWavesPerEU: 4
; NumVGPRsForWavesPerEU: 1
; AccumOffset: 4
; Occupancy: 8
; WaveLimiterHint : 0
; COMPUTE_PGM_RSRC2:SCRATCH_EN: 0
; COMPUTE_PGM_RSRC2:USER_SGPR: 6
; COMPUTE_PGM_RSRC2:TRAP_HANDLER: 0
; COMPUTE_PGM_RSRC2:TGID_X_EN: 1
; COMPUTE_PGM_RSRC2:TGID_Y_EN: 0
; COMPUTE_PGM_RSRC2:TGID_Z_EN: 0
; COMPUTE_PGM_RSRC2:TIDIG_COMP_CNT: 0
; COMPUTE_PGM_RSRC3_GFX90A:ACCUM_OFFSET: 0
; COMPUTE_PGM_RSRC3_GFX90A:TG_SPLIT: 0
	.section	.text._ZN7rocprim17ROCPRIM_400000_NS6detail17trampoline_kernelINS0_14default_configENS1_38merge_sort_block_merge_config_selectorIlNS0_10empty_typeEEEZZNS1_27merge_sort_block_merge_implIS3_PlPS5_mZN2at6native12_GLOBAL__N_124unique_dim_cuda_templateIbEESt5tupleIJNSA_6TensorESF_SF_EERKSF_lbbbEUlllE_EE10hipError_tT0_T1_T2_jT3_P12ihipStream_tbPNSt15iterator_traitsISL_E10value_typeEPNSR_ISM_E10value_typeEPSN_NS1_7vsmem_tEENKUlT_SL_SM_SN_E_clIS8_S8_S9_S9_EESK_S10_SL_SM_SN_EUlS10_E_NS1_11comp_targetILNS1_3genE5ELNS1_11target_archE942ELNS1_3gpuE9ELNS1_3repE0EEENS1_48merge_mergepath_partition_config_static_selectorELNS0_4arch9wavefront6targetE1EEEvSM_,"axG",@progbits,_ZN7rocprim17ROCPRIM_400000_NS6detail17trampoline_kernelINS0_14default_configENS1_38merge_sort_block_merge_config_selectorIlNS0_10empty_typeEEEZZNS1_27merge_sort_block_merge_implIS3_PlPS5_mZN2at6native12_GLOBAL__N_124unique_dim_cuda_templateIbEESt5tupleIJNSA_6TensorESF_SF_EERKSF_lbbbEUlllE_EE10hipError_tT0_T1_T2_jT3_P12ihipStream_tbPNSt15iterator_traitsISL_E10value_typeEPNSR_ISM_E10value_typeEPSN_NS1_7vsmem_tEENKUlT_SL_SM_SN_E_clIS8_S8_S9_S9_EESK_S10_SL_SM_SN_EUlS10_E_NS1_11comp_targetILNS1_3genE5ELNS1_11target_archE942ELNS1_3gpuE9ELNS1_3repE0EEENS1_48merge_mergepath_partition_config_static_selectorELNS0_4arch9wavefront6targetE1EEEvSM_,comdat
	.globl	_ZN7rocprim17ROCPRIM_400000_NS6detail17trampoline_kernelINS0_14default_configENS1_38merge_sort_block_merge_config_selectorIlNS0_10empty_typeEEEZZNS1_27merge_sort_block_merge_implIS3_PlPS5_mZN2at6native12_GLOBAL__N_124unique_dim_cuda_templateIbEESt5tupleIJNSA_6TensorESF_SF_EERKSF_lbbbEUlllE_EE10hipError_tT0_T1_T2_jT3_P12ihipStream_tbPNSt15iterator_traitsISL_E10value_typeEPNSR_ISM_E10value_typeEPSN_NS1_7vsmem_tEENKUlT_SL_SM_SN_E_clIS8_S8_S9_S9_EESK_S10_SL_SM_SN_EUlS10_E_NS1_11comp_targetILNS1_3genE5ELNS1_11target_archE942ELNS1_3gpuE9ELNS1_3repE0EEENS1_48merge_mergepath_partition_config_static_selectorELNS0_4arch9wavefront6targetE1EEEvSM_ ; -- Begin function _ZN7rocprim17ROCPRIM_400000_NS6detail17trampoline_kernelINS0_14default_configENS1_38merge_sort_block_merge_config_selectorIlNS0_10empty_typeEEEZZNS1_27merge_sort_block_merge_implIS3_PlPS5_mZN2at6native12_GLOBAL__N_124unique_dim_cuda_templateIbEESt5tupleIJNSA_6TensorESF_SF_EERKSF_lbbbEUlllE_EE10hipError_tT0_T1_T2_jT3_P12ihipStream_tbPNSt15iterator_traitsISL_E10value_typeEPNSR_ISM_E10value_typeEPSN_NS1_7vsmem_tEENKUlT_SL_SM_SN_E_clIS8_S8_S9_S9_EESK_S10_SL_SM_SN_EUlS10_E_NS1_11comp_targetILNS1_3genE5ELNS1_11target_archE942ELNS1_3gpuE9ELNS1_3repE0EEENS1_48merge_mergepath_partition_config_static_selectorELNS0_4arch9wavefront6targetE1EEEvSM_
	.p2align	8
	.type	_ZN7rocprim17ROCPRIM_400000_NS6detail17trampoline_kernelINS0_14default_configENS1_38merge_sort_block_merge_config_selectorIlNS0_10empty_typeEEEZZNS1_27merge_sort_block_merge_implIS3_PlPS5_mZN2at6native12_GLOBAL__N_124unique_dim_cuda_templateIbEESt5tupleIJNSA_6TensorESF_SF_EERKSF_lbbbEUlllE_EE10hipError_tT0_T1_T2_jT3_P12ihipStream_tbPNSt15iterator_traitsISL_E10value_typeEPNSR_ISM_E10value_typeEPSN_NS1_7vsmem_tEENKUlT_SL_SM_SN_E_clIS8_S8_S9_S9_EESK_S10_SL_SM_SN_EUlS10_E_NS1_11comp_targetILNS1_3genE5ELNS1_11target_archE942ELNS1_3gpuE9ELNS1_3repE0EEENS1_48merge_mergepath_partition_config_static_selectorELNS0_4arch9wavefront6targetE1EEEvSM_,@function
_ZN7rocprim17ROCPRIM_400000_NS6detail17trampoline_kernelINS0_14default_configENS1_38merge_sort_block_merge_config_selectorIlNS0_10empty_typeEEEZZNS1_27merge_sort_block_merge_implIS3_PlPS5_mZN2at6native12_GLOBAL__N_124unique_dim_cuda_templateIbEESt5tupleIJNSA_6TensorESF_SF_EERKSF_lbbbEUlllE_EE10hipError_tT0_T1_T2_jT3_P12ihipStream_tbPNSt15iterator_traitsISL_E10value_typeEPNSR_ISM_E10value_typeEPSN_NS1_7vsmem_tEENKUlT_SL_SM_SN_E_clIS8_S8_S9_S9_EESK_S10_SL_SM_SN_EUlS10_E_NS1_11comp_targetILNS1_3genE5ELNS1_11target_archE942ELNS1_3gpuE9ELNS1_3repE0EEENS1_48merge_mergepath_partition_config_static_selectorELNS0_4arch9wavefront6targetE1EEEvSM_: ; @_ZN7rocprim17ROCPRIM_400000_NS6detail17trampoline_kernelINS0_14default_configENS1_38merge_sort_block_merge_config_selectorIlNS0_10empty_typeEEEZZNS1_27merge_sort_block_merge_implIS3_PlPS5_mZN2at6native12_GLOBAL__N_124unique_dim_cuda_templateIbEESt5tupleIJNSA_6TensorESF_SF_EERKSF_lbbbEUlllE_EE10hipError_tT0_T1_T2_jT3_P12ihipStream_tbPNSt15iterator_traitsISL_E10value_typeEPNSR_ISM_E10value_typeEPSN_NS1_7vsmem_tEENKUlT_SL_SM_SN_E_clIS8_S8_S9_S9_EESK_S10_SL_SM_SN_EUlS10_E_NS1_11comp_targetILNS1_3genE5ELNS1_11target_archE942ELNS1_3gpuE9ELNS1_3repE0EEENS1_48merge_mergepath_partition_config_static_selectorELNS0_4arch9wavefront6targetE1EEEvSM_
; %bb.0:
	.section	.rodata,"a",@progbits
	.p2align	6, 0x0
	.amdhsa_kernel _ZN7rocprim17ROCPRIM_400000_NS6detail17trampoline_kernelINS0_14default_configENS1_38merge_sort_block_merge_config_selectorIlNS0_10empty_typeEEEZZNS1_27merge_sort_block_merge_implIS3_PlPS5_mZN2at6native12_GLOBAL__N_124unique_dim_cuda_templateIbEESt5tupleIJNSA_6TensorESF_SF_EERKSF_lbbbEUlllE_EE10hipError_tT0_T1_T2_jT3_P12ihipStream_tbPNSt15iterator_traitsISL_E10value_typeEPNSR_ISM_E10value_typeEPSN_NS1_7vsmem_tEENKUlT_SL_SM_SN_E_clIS8_S8_S9_S9_EESK_S10_SL_SM_SN_EUlS10_E_NS1_11comp_targetILNS1_3genE5ELNS1_11target_archE942ELNS1_3gpuE9ELNS1_3repE0EEENS1_48merge_mergepath_partition_config_static_selectorELNS0_4arch9wavefront6targetE1EEEvSM_
		.amdhsa_group_segment_fixed_size 0
		.amdhsa_private_segment_fixed_size 0
		.amdhsa_kernarg_size 56
		.amdhsa_user_sgpr_count 6
		.amdhsa_user_sgpr_private_segment_buffer 1
		.amdhsa_user_sgpr_dispatch_ptr 0
		.amdhsa_user_sgpr_queue_ptr 0
		.amdhsa_user_sgpr_kernarg_segment_ptr 1
		.amdhsa_user_sgpr_dispatch_id 0
		.amdhsa_user_sgpr_flat_scratch_init 0
		.amdhsa_user_sgpr_kernarg_preload_length 0
		.amdhsa_user_sgpr_kernarg_preload_offset 0
		.amdhsa_user_sgpr_private_segment_size 0
		.amdhsa_uses_dynamic_stack 0
		.amdhsa_system_sgpr_private_segment_wavefront_offset 0
		.amdhsa_system_sgpr_workgroup_id_x 1
		.amdhsa_system_sgpr_workgroup_id_y 0
		.amdhsa_system_sgpr_workgroup_id_z 0
		.amdhsa_system_sgpr_workgroup_info 0
		.amdhsa_system_vgpr_workitem_id 0
		.amdhsa_next_free_vgpr 1
		.amdhsa_next_free_sgpr 0
		.amdhsa_accum_offset 4
		.amdhsa_reserve_vcc 0
		.amdhsa_reserve_flat_scratch 0
		.amdhsa_float_round_mode_32 0
		.amdhsa_float_round_mode_16_64 0
		.amdhsa_float_denorm_mode_32 3
		.amdhsa_float_denorm_mode_16_64 3
		.amdhsa_dx10_clamp 1
		.amdhsa_ieee_mode 1
		.amdhsa_fp16_overflow 0
		.amdhsa_tg_split 0
		.amdhsa_exception_fp_ieee_invalid_op 0
		.amdhsa_exception_fp_denorm_src 0
		.amdhsa_exception_fp_ieee_div_zero 0
		.amdhsa_exception_fp_ieee_overflow 0
		.amdhsa_exception_fp_ieee_underflow 0
		.amdhsa_exception_fp_ieee_inexact 0
		.amdhsa_exception_int_div_zero 0
	.end_amdhsa_kernel
	.section	.text._ZN7rocprim17ROCPRIM_400000_NS6detail17trampoline_kernelINS0_14default_configENS1_38merge_sort_block_merge_config_selectorIlNS0_10empty_typeEEEZZNS1_27merge_sort_block_merge_implIS3_PlPS5_mZN2at6native12_GLOBAL__N_124unique_dim_cuda_templateIbEESt5tupleIJNSA_6TensorESF_SF_EERKSF_lbbbEUlllE_EE10hipError_tT0_T1_T2_jT3_P12ihipStream_tbPNSt15iterator_traitsISL_E10value_typeEPNSR_ISM_E10value_typeEPSN_NS1_7vsmem_tEENKUlT_SL_SM_SN_E_clIS8_S8_S9_S9_EESK_S10_SL_SM_SN_EUlS10_E_NS1_11comp_targetILNS1_3genE5ELNS1_11target_archE942ELNS1_3gpuE9ELNS1_3repE0EEENS1_48merge_mergepath_partition_config_static_selectorELNS0_4arch9wavefront6targetE1EEEvSM_,"axG",@progbits,_ZN7rocprim17ROCPRIM_400000_NS6detail17trampoline_kernelINS0_14default_configENS1_38merge_sort_block_merge_config_selectorIlNS0_10empty_typeEEEZZNS1_27merge_sort_block_merge_implIS3_PlPS5_mZN2at6native12_GLOBAL__N_124unique_dim_cuda_templateIbEESt5tupleIJNSA_6TensorESF_SF_EERKSF_lbbbEUlllE_EE10hipError_tT0_T1_T2_jT3_P12ihipStream_tbPNSt15iterator_traitsISL_E10value_typeEPNSR_ISM_E10value_typeEPSN_NS1_7vsmem_tEENKUlT_SL_SM_SN_E_clIS8_S8_S9_S9_EESK_S10_SL_SM_SN_EUlS10_E_NS1_11comp_targetILNS1_3genE5ELNS1_11target_archE942ELNS1_3gpuE9ELNS1_3repE0EEENS1_48merge_mergepath_partition_config_static_selectorELNS0_4arch9wavefront6targetE1EEEvSM_,comdat
.Lfunc_end1004:
	.size	_ZN7rocprim17ROCPRIM_400000_NS6detail17trampoline_kernelINS0_14default_configENS1_38merge_sort_block_merge_config_selectorIlNS0_10empty_typeEEEZZNS1_27merge_sort_block_merge_implIS3_PlPS5_mZN2at6native12_GLOBAL__N_124unique_dim_cuda_templateIbEESt5tupleIJNSA_6TensorESF_SF_EERKSF_lbbbEUlllE_EE10hipError_tT0_T1_T2_jT3_P12ihipStream_tbPNSt15iterator_traitsISL_E10value_typeEPNSR_ISM_E10value_typeEPSN_NS1_7vsmem_tEENKUlT_SL_SM_SN_E_clIS8_S8_S9_S9_EESK_S10_SL_SM_SN_EUlS10_E_NS1_11comp_targetILNS1_3genE5ELNS1_11target_archE942ELNS1_3gpuE9ELNS1_3repE0EEENS1_48merge_mergepath_partition_config_static_selectorELNS0_4arch9wavefront6targetE1EEEvSM_, .Lfunc_end1004-_ZN7rocprim17ROCPRIM_400000_NS6detail17trampoline_kernelINS0_14default_configENS1_38merge_sort_block_merge_config_selectorIlNS0_10empty_typeEEEZZNS1_27merge_sort_block_merge_implIS3_PlPS5_mZN2at6native12_GLOBAL__N_124unique_dim_cuda_templateIbEESt5tupleIJNSA_6TensorESF_SF_EERKSF_lbbbEUlllE_EE10hipError_tT0_T1_T2_jT3_P12ihipStream_tbPNSt15iterator_traitsISL_E10value_typeEPNSR_ISM_E10value_typeEPSN_NS1_7vsmem_tEENKUlT_SL_SM_SN_E_clIS8_S8_S9_S9_EESK_S10_SL_SM_SN_EUlS10_E_NS1_11comp_targetILNS1_3genE5ELNS1_11target_archE942ELNS1_3gpuE9ELNS1_3repE0EEENS1_48merge_mergepath_partition_config_static_selectorELNS0_4arch9wavefront6targetE1EEEvSM_
                                        ; -- End function
	.section	.AMDGPU.csdata,"",@progbits
; Kernel info:
; codeLenInByte = 0
; NumSgprs: 4
; NumVgprs: 0
; NumAgprs: 0
; TotalNumVgprs: 0
; ScratchSize: 0
; MemoryBound: 0
; FloatMode: 240
; IeeeMode: 1
; LDSByteSize: 0 bytes/workgroup (compile time only)
; SGPRBlocks: 0
; VGPRBlocks: 0
; NumSGPRsForWavesPerEU: 4
; NumVGPRsForWavesPerEU: 1
; AccumOffset: 4
; Occupancy: 8
; WaveLimiterHint : 0
; COMPUTE_PGM_RSRC2:SCRATCH_EN: 0
; COMPUTE_PGM_RSRC2:USER_SGPR: 6
; COMPUTE_PGM_RSRC2:TRAP_HANDLER: 0
; COMPUTE_PGM_RSRC2:TGID_X_EN: 1
; COMPUTE_PGM_RSRC2:TGID_Y_EN: 0
; COMPUTE_PGM_RSRC2:TGID_Z_EN: 0
; COMPUTE_PGM_RSRC2:TIDIG_COMP_CNT: 0
; COMPUTE_PGM_RSRC3_GFX90A:ACCUM_OFFSET: 0
; COMPUTE_PGM_RSRC3_GFX90A:TG_SPLIT: 0
	.section	.text._ZN7rocprim17ROCPRIM_400000_NS6detail17trampoline_kernelINS0_14default_configENS1_38merge_sort_block_merge_config_selectorIlNS0_10empty_typeEEEZZNS1_27merge_sort_block_merge_implIS3_PlPS5_mZN2at6native12_GLOBAL__N_124unique_dim_cuda_templateIbEESt5tupleIJNSA_6TensorESF_SF_EERKSF_lbbbEUlllE_EE10hipError_tT0_T1_T2_jT3_P12ihipStream_tbPNSt15iterator_traitsISL_E10value_typeEPNSR_ISM_E10value_typeEPSN_NS1_7vsmem_tEENKUlT_SL_SM_SN_E_clIS8_S8_S9_S9_EESK_S10_SL_SM_SN_EUlS10_E_NS1_11comp_targetILNS1_3genE4ELNS1_11target_archE910ELNS1_3gpuE8ELNS1_3repE0EEENS1_48merge_mergepath_partition_config_static_selectorELNS0_4arch9wavefront6targetE1EEEvSM_,"axG",@progbits,_ZN7rocprim17ROCPRIM_400000_NS6detail17trampoline_kernelINS0_14default_configENS1_38merge_sort_block_merge_config_selectorIlNS0_10empty_typeEEEZZNS1_27merge_sort_block_merge_implIS3_PlPS5_mZN2at6native12_GLOBAL__N_124unique_dim_cuda_templateIbEESt5tupleIJNSA_6TensorESF_SF_EERKSF_lbbbEUlllE_EE10hipError_tT0_T1_T2_jT3_P12ihipStream_tbPNSt15iterator_traitsISL_E10value_typeEPNSR_ISM_E10value_typeEPSN_NS1_7vsmem_tEENKUlT_SL_SM_SN_E_clIS8_S8_S9_S9_EESK_S10_SL_SM_SN_EUlS10_E_NS1_11comp_targetILNS1_3genE4ELNS1_11target_archE910ELNS1_3gpuE8ELNS1_3repE0EEENS1_48merge_mergepath_partition_config_static_selectorELNS0_4arch9wavefront6targetE1EEEvSM_,comdat
	.globl	_ZN7rocprim17ROCPRIM_400000_NS6detail17trampoline_kernelINS0_14default_configENS1_38merge_sort_block_merge_config_selectorIlNS0_10empty_typeEEEZZNS1_27merge_sort_block_merge_implIS3_PlPS5_mZN2at6native12_GLOBAL__N_124unique_dim_cuda_templateIbEESt5tupleIJNSA_6TensorESF_SF_EERKSF_lbbbEUlllE_EE10hipError_tT0_T1_T2_jT3_P12ihipStream_tbPNSt15iterator_traitsISL_E10value_typeEPNSR_ISM_E10value_typeEPSN_NS1_7vsmem_tEENKUlT_SL_SM_SN_E_clIS8_S8_S9_S9_EESK_S10_SL_SM_SN_EUlS10_E_NS1_11comp_targetILNS1_3genE4ELNS1_11target_archE910ELNS1_3gpuE8ELNS1_3repE0EEENS1_48merge_mergepath_partition_config_static_selectorELNS0_4arch9wavefront6targetE1EEEvSM_ ; -- Begin function _ZN7rocprim17ROCPRIM_400000_NS6detail17trampoline_kernelINS0_14default_configENS1_38merge_sort_block_merge_config_selectorIlNS0_10empty_typeEEEZZNS1_27merge_sort_block_merge_implIS3_PlPS5_mZN2at6native12_GLOBAL__N_124unique_dim_cuda_templateIbEESt5tupleIJNSA_6TensorESF_SF_EERKSF_lbbbEUlllE_EE10hipError_tT0_T1_T2_jT3_P12ihipStream_tbPNSt15iterator_traitsISL_E10value_typeEPNSR_ISM_E10value_typeEPSN_NS1_7vsmem_tEENKUlT_SL_SM_SN_E_clIS8_S8_S9_S9_EESK_S10_SL_SM_SN_EUlS10_E_NS1_11comp_targetILNS1_3genE4ELNS1_11target_archE910ELNS1_3gpuE8ELNS1_3repE0EEENS1_48merge_mergepath_partition_config_static_selectorELNS0_4arch9wavefront6targetE1EEEvSM_
	.p2align	8
	.type	_ZN7rocprim17ROCPRIM_400000_NS6detail17trampoline_kernelINS0_14default_configENS1_38merge_sort_block_merge_config_selectorIlNS0_10empty_typeEEEZZNS1_27merge_sort_block_merge_implIS3_PlPS5_mZN2at6native12_GLOBAL__N_124unique_dim_cuda_templateIbEESt5tupleIJNSA_6TensorESF_SF_EERKSF_lbbbEUlllE_EE10hipError_tT0_T1_T2_jT3_P12ihipStream_tbPNSt15iterator_traitsISL_E10value_typeEPNSR_ISM_E10value_typeEPSN_NS1_7vsmem_tEENKUlT_SL_SM_SN_E_clIS8_S8_S9_S9_EESK_S10_SL_SM_SN_EUlS10_E_NS1_11comp_targetILNS1_3genE4ELNS1_11target_archE910ELNS1_3gpuE8ELNS1_3repE0EEENS1_48merge_mergepath_partition_config_static_selectorELNS0_4arch9wavefront6targetE1EEEvSM_,@function
_ZN7rocprim17ROCPRIM_400000_NS6detail17trampoline_kernelINS0_14default_configENS1_38merge_sort_block_merge_config_selectorIlNS0_10empty_typeEEEZZNS1_27merge_sort_block_merge_implIS3_PlPS5_mZN2at6native12_GLOBAL__N_124unique_dim_cuda_templateIbEESt5tupleIJNSA_6TensorESF_SF_EERKSF_lbbbEUlllE_EE10hipError_tT0_T1_T2_jT3_P12ihipStream_tbPNSt15iterator_traitsISL_E10value_typeEPNSR_ISM_E10value_typeEPSN_NS1_7vsmem_tEENKUlT_SL_SM_SN_E_clIS8_S8_S9_S9_EESK_S10_SL_SM_SN_EUlS10_E_NS1_11comp_targetILNS1_3genE4ELNS1_11target_archE910ELNS1_3gpuE8ELNS1_3repE0EEENS1_48merge_mergepath_partition_config_static_selectorELNS0_4arch9wavefront6targetE1EEEvSM_: ; @_ZN7rocprim17ROCPRIM_400000_NS6detail17trampoline_kernelINS0_14default_configENS1_38merge_sort_block_merge_config_selectorIlNS0_10empty_typeEEEZZNS1_27merge_sort_block_merge_implIS3_PlPS5_mZN2at6native12_GLOBAL__N_124unique_dim_cuda_templateIbEESt5tupleIJNSA_6TensorESF_SF_EERKSF_lbbbEUlllE_EE10hipError_tT0_T1_T2_jT3_P12ihipStream_tbPNSt15iterator_traitsISL_E10value_typeEPNSR_ISM_E10value_typeEPSN_NS1_7vsmem_tEENKUlT_SL_SM_SN_E_clIS8_S8_S9_S9_EESK_S10_SL_SM_SN_EUlS10_E_NS1_11comp_targetILNS1_3genE4ELNS1_11target_archE910ELNS1_3gpuE8ELNS1_3repE0EEENS1_48merge_mergepath_partition_config_static_selectorELNS0_4arch9wavefront6targetE1EEEvSM_
; %bb.0:
	s_load_dword s0, s[4:5], 0x0
	v_lshl_or_b32 v0, s6, 7, v0
	s_waitcnt lgkmcnt(0)
	v_cmp_gt_u32_e32 vcc, s0, v0
	s_and_saveexec_b64 s[0:1], vcc
	s_cbranch_execz .LBB1005_12
; %bb.1:
	s_load_dwordx4 s[0:3], s[4:5], 0x8
	s_load_dwordx8 s[8:15], s[4:5], 0x18
	v_mov_b32_e32 v5, 0
	s_waitcnt lgkmcnt(0)
	v_mov_b32_e32 v1, s0
	v_alignbit_b32 v1, s1, v1, 9
	v_and_b32_e32 v1, -2, v1
	v_add_u32_e32 v2, -1, v1
	v_sub_u32_e32 v1, 0, v1
	v_and_b32_e32 v4, v0, v1
	v_lshlrev_b64 v[8:9], 10, v[4:5]
	v_mov_b32_e32 v1, s3
	v_cmp_lt_u64_e32 vcc, s[2:3], v[8:9]
	v_mov_b32_e32 v4, s2
	v_and_b32_e32 v6, v2, v0
	v_cndmask_b32_e32 v3, v9, v1, vcc
	v_cndmask_b32_e32 v2, v8, v4, vcc
	v_mov_b32_e32 v7, s1
	v_add_co_u32_e32 v8, vcc, s0, v8
	v_addc_co_u32_e32 v9, vcc, v9, v7, vcc
	v_cmp_lt_u64_e32 vcc, s[2:3], v[8:9]
	v_cndmask_b32_e32 v8, v8, v4, vcc
	v_cndmask_b32_e32 v9, v9, v1, vcc
	v_add_co_u32_e32 v10, vcc, s0, v8
	v_addc_co_u32_e32 v11, vcc, v9, v7, vcc
	v_cmp_lt_u64_e32 vcc, s[2:3], v[10:11]
	v_cndmask_b32_e32 v12, v10, v4, vcc
	v_cndmask_b32_e32 v1, v11, v1, vcc
	v_sub_co_u32_e32 v10, vcc, v12, v2
	v_mov_b32_e32 v7, v5
	v_subb_co_u32_e32 v11, vcc, v1, v3, vcc
	v_lshlrev_b64 v[4:5], 10, v[6:7]
	v_cmp_lt_u64_e32 vcc, v[10:11], v[4:5]
	v_cndmask_b32_e32 v11, v5, v11, vcc
	v_cndmask_b32_e32 v10, v4, v10, vcc
	v_sub_co_u32_e32 v6, vcc, v8, v2
	v_subb_co_u32_e32 v7, vcc, v9, v3, vcc
	v_sub_co_u32_e32 v4, vcc, v8, v12
	v_subb_co_u32_e32 v1, vcc, v9, v1, vcc
	v_add_co_u32_e32 v4, vcc, v10, v4
	v_addc_co_u32_e32 v5, vcc, v11, v1, vcc
	v_cmp_gt_u64_e32 vcc, v[4:5], v[10:11]
	v_cndmask_b32_e64 v5, v5, 0, vcc
	v_cndmask_b32_e64 v4, v4, 0, vcc
	v_cmp_lt_u64_e32 vcc, v[10:11], v[6:7]
	v_cndmask_b32_e32 v7, v7, v11, vcc
	v_cndmask_b32_e32 v6, v6, v10, vcc
	v_cmp_lt_u64_e32 vcc, v[4:5], v[6:7]
	s_and_saveexec_b64 s[4:5], vcc
	s_cbranch_execz .LBB1005_11
; %bb.2:
	v_lshlrev_b64 v[12:13], 3, v[2:3]
	v_mov_b32_e32 v14, s9
	v_add_co_u32_e32 v1, vcc, s8, v12
	v_addc_co_u32_e32 v14, vcc, v14, v13, vcc
	v_lshlrev_b64 v[8:9], 3, v[8:9]
	v_mov_b32_e32 v12, s9
	v_add_co_u32_e32 v13, vcc, s8, v8
	v_addc_co_u32_e32 v12, vcc, v12, v9, vcc
	v_lshlrev_b64 v[8:9], 3, v[10:11]
	v_cmp_gt_i64_e64 s[0:1], s[10:11], 0
	v_add_co_u32_e32 v15, vcc, v13, v8
	v_cndmask_b32_e64 v8, 0, 1, s[0:1]
	s_mov_b64 s[6:7], 0
	v_addc_co_u32_e32 v16, vcc, v12, v9, vcc
	v_cmp_ne_u32_e64 s[0:1], 1, v8
	s_branch .LBB1005_5
.LBB1005_3:                             ;   in Loop: Header=BB1005_5 Depth=1
	s_or_b64 exec, exec, s[16:17]
.LBB1005_4:                             ;   in Loop: Header=BB1005_5 Depth=1
	v_add_co_u32_e32 v10, vcc, 1, v8
	v_addc_co_u32_e32 v11, vcc, 0, v9, vcc
	v_cndmask_b32_e64 v7, v7, v9, s[8:9]
	v_cndmask_b32_e64 v6, v6, v8, s[8:9]
	;; [unrolled: 1-line block ×4, first 2 shown]
	v_cmp_ge_u64_e32 vcc, v[4:5], v[6:7]
	s_or_b64 s[6:7], vcc, s[6:7]
	s_andn2_b64 exec, exec, s[6:7]
	s_cbranch_execz .LBB1005_10
.LBB1005_5:                             ; =>This Loop Header: Depth=1
                                        ;     Child Loop BB1005_8 Depth 2
	v_add_co_u32_e32 v8, vcc, v6, v4
	v_addc_co_u32_e32 v9, vcc, v7, v5, vcc
	v_lshrrev_b64 v[8:9], 1, v[8:9]
	s_and_b64 vcc, exec, s[0:1]
	s_mov_b64 s[8:9], 0
	s_cbranch_vccnz .LBB1005_4
; %bb.6:                                ;   in Loop: Header=BB1005_5 Depth=1
	v_not_b32_e32 v11, v9
	v_not_b32_e32 v10, v8
	v_lshlrev_b64 v[10:11], 3, v[10:11]
	v_add_co_u32_e32 v10, vcc, v15, v10
	v_addc_co_u32_e32 v11, vcc, v16, v11, vcc
	v_lshlrev_b64 v[12:13], 3, v[8:9]
	v_add_co_u32_e32 v12, vcc, v1, v12
	v_addc_co_u32_e32 v13, vcc, v14, v13, vcc
	global_load_dwordx2 v[10:11], v[10:11], off
	v_pk_mov_b32 v[18:19], s[12:13], s[12:13] op_sel:[0,1]
	global_load_dwordx2 v[12:13], v[12:13], off
	s_mov_b64 s[16:17], 0
                                        ; implicit-def: $sgpr8_sgpr9
                                        ; implicit-def: $sgpr18_sgpr19
                                        ; implicit-def: $sgpr20_sgpr21
                                        ; implicit-def: $sgpr2_sgpr3
                                        ; implicit-def: $sgpr24_sgpr25
	s_waitcnt vmcnt(1)
	v_mul_lo_u32 v17, v10, s11
	v_mul_lo_u32 v20, v11, s10
	v_mad_u64_u32 v[10:11], s[22:23], v10, s10, v[18:19]
	s_waitcnt vmcnt(0)
	v_mul_lo_u32 v21, v12, s11
	v_mul_lo_u32 v22, v13, s10
	v_mad_u64_u32 v[12:13], s[22:23], v12, s10, v[18:19]
	v_add3_u32 v11, v20, v11, v17
	v_add3_u32 v13, v22, v13, v21
	s_mov_b64 s[22:23], s[10:11]
	s_branch .LBB1005_8
.LBB1005_7:                             ;   in Loop: Header=BB1005_8 Depth=2
	s_or_b64 exec, exec, s[26:27]
	s_and_b64 s[26:27], exec, s[18:19]
	s_or_b64 s[16:17], s[26:27], s[16:17]
	s_andn2_b64 s[24:25], s[24:25], exec
	s_and_b64 s[26:27], s[20:21], exec
	s_or_b64 s[24:25], s[24:25], s[26:27]
	s_andn2_b64 s[8:9], s[8:9], exec
	s_and_b64 s[26:27], s[2:3], exec
	s_or_b64 s[8:9], s[8:9], s[26:27]
	s_andn2_b64 exec, exec, s[16:17]
	s_cbranch_execz .LBB1005_3
.LBB1005_8:                             ;   Parent Loop BB1005_5 Depth=1
                                        ; =>  This Inner Loop Header: Depth=2
	global_load_ubyte v17, v[10:11], off
	global_load_ubyte v18, v[12:13], off
	s_andn2_b64 s[26:27], s[2:3], exec
	s_andn2_b64 s[20:21], s[20:21], exec
	s_or_b64 s[18:19], s[18:19], exec
	s_waitcnt vmcnt(1)
	v_cmp_eq_u16_e32 vcc, 0, v17
	s_waitcnt vmcnt(0)
	v_cmp_ne_u16_e64 s[2:3], 0, v18
	s_or_b64 s[30:31], vcc, s[2:3]
	s_and_b64 s[28:29], vcc, s[2:3]
	s_xor_b64 s[34:35], vcc, s[2:3]
	s_and_b64 s[2:3], s[30:31], s[24:25]
	s_or_b64 s[28:29], s[28:29], s[2:3]
	s_and_b64 s[2:3], s[28:29], exec
	s_or_b64 s[2:3], s[26:27], s[2:3]
	s_and_saveexec_b64 s[26:27], s[34:35]
	s_cbranch_execz .LBB1005_7
; %bb.9:                                ;   in Loop: Header=BB1005_8 Depth=2
	s_add_u32 s22, s22, -1
	s_addc_u32 s23, s23, -1
	v_add_co_u32_e32 v10, vcc, 1, v10
	s_cmp_eq_u64 s[22:23], 0
	v_addc_co_u32_e32 v11, vcc, 0, v11, vcc
	s_cselect_b64 s[24:25], -1, 0
	v_add_co_u32_e32 v12, vcc, 1, v12
	s_andn2_b64 s[20:21], s[20:21], exec
	s_and_b64 s[28:29], s[28:29], exec
	s_andn2_b64 s[18:19], s[18:19], exec
	s_and_b64 s[24:25], s[24:25], exec
	v_addc_co_u32_e32 v13, vcc, 0, v13, vcc
	s_andn2_b64 s[2:3], s[2:3], exec
	s_or_b64 s[20:21], s[20:21], s[28:29]
	s_or_b64 s[18:19], s[18:19], s[24:25]
                                        ; implicit-def: $sgpr24_sgpr25
	s_branch .LBB1005_7
.LBB1005_10:
	s_or_b64 exec, exec, s[6:7]
.LBB1005_11:
	s_or_b64 exec, exec, s[4:5]
	v_add_co_u32_e32 v2, vcc, v4, v2
	v_mov_b32_e32 v1, 0
	v_addc_co_u32_e32 v3, vcc, v5, v3, vcc
	v_lshlrev_b64 v[0:1], 3, v[0:1]
	v_mov_b32_e32 v4, s15
	v_add_co_u32_e32 v0, vcc, s14, v0
	v_addc_co_u32_e32 v1, vcc, v4, v1, vcc
	global_store_dwordx2 v[0:1], v[2:3], off
.LBB1005_12:
	s_endpgm
	.section	.rodata,"a",@progbits
	.p2align	6, 0x0
	.amdhsa_kernel _ZN7rocprim17ROCPRIM_400000_NS6detail17trampoline_kernelINS0_14default_configENS1_38merge_sort_block_merge_config_selectorIlNS0_10empty_typeEEEZZNS1_27merge_sort_block_merge_implIS3_PlPS5_mZN2at6native12_GLOBAL__N_124unique_dim_cuda_templateIbEESt5tupleIJNSA_6TensorESF_SF_EERKSF_lbbbEUlllE_EE10hipError_tT0_T1_T2_jT3_P12ihipStream_tbPNSt15iterator_traitsISL_E10value_typeEPNSR_ISM_E10value_typeEPSN_NS1_7vsmem_tEENKUlT_SL_SM_SN_E_clIS8_S8_S9_S9_EESK_S10_SL_SM_SN_EUlS10_E_NS1_11comp_targetILNS1_3genE4ELNS1_11target_archE910ELNS1_3gpuE8ELNS1_3repE0EEENS1_48merge_mergepath_partition_config_static_selectorELNS0_4arch9wavefront6targetE1EEEvSM_
		.amdhsa_group_segment_fixed_size 0
		.amdhsa_private_segment_fixed_size 0
		.amdhsa_kernarg_size 56
		.amdhsa_user_sgpr_count 6
		.amdhsa_user_sgpr_private_segment_buffer 1
		.amdhsa_user_sgpr_dispatch_ptr 0
		.amdhsa_user_sgpr_queue_ptr 0
		.amdhsa_user_sgpr_kernarg_segment_ptr 1
		.amdhsa_user_sgpr_dispatch_id 0
		.amdhsa_user_sgpr_flat_scratch_init 0
		.amdhsa_user_sgpr_kernarg_preload_length 0
		.amdhsa_user_sgpr_kernarg_preload_offset 0
		.amdhsa_user_sgpr_private_segment_size 0
		.amdhsa_uses_dynamic_stack 0
		.amdhsa_system_sgpr_private_segment_wavefront_offset 0
		.amdhsa_system_sgpr_workgroup_id_x 1
		.amdhsa_system_sgpr_workgroup_id_y 0
		.amdhsa_system_sgpr_workgroup_id_z 0
		.amdhsa_system_sgpr_workgroup_info 0
		.amdhsa_system_vgpr_workitem_id 0
		.amdhsa_next_free_vgpr 23
		.amdhsa_next_free_sgpr 36
		.amdhsa_accum_offset 24
		.amdhsa_reserve_vcc 1
		.amdhsa_reserve_flat_scratch 0
		.amdhsa_float_round_mode_32 0
		.amdhsa_float_round_mode_16_64 0
		.amdhsa_float_denorm_mode_32 3
		.amdhsa_float_denorm_mode_16_64 3
		.amdhsa_dx10_clamp 1
		.amdhsa_ieee_mode 1
		.amdhsa_fp16_overflow 0
		.amdhsa_tg_split 0
		.amdhsa_exception_fp_ieee_invalid_op 0
		.amdhsa_exception_fp_denorm_src 0
		.amdhsa_exception_fp_ieee_div_zero 0
		.amdhsa_exception_fp_ieee_overflow 0
		.amdhsa_exception_fp_ieee_underflow 0
		.amdhsa_exception_fp_ieee_inexact 0
		.amdhsa_exception_int_div_zero 0
	.end_amdhsa_kernel
	.section	.text._ZN7rocprim17ROCPRIM_400000_NS6detail17trampoline_kernelINS0_14default_configENS1_38merge_sort_block_merge_config_selectorIlNS0_10empty_typeEEEZZNS1_27merge_sort_block_merge_implIS3_PlPS5_mZN2at6native12_GLOBAL__N_124unique_dim_cuda_templateIbEESt5tupleIJNSA_6TensorESF_SF_EERKSF_lbbbEUlllE_EE10hipError_tT0_T1_T2_jT3_P12ihipStream_tbPNSt15iterator_traitsISL_E10value_typeEPNSR_ISM_E10value_typeEPSN_NS1_7vsmem_tEENKUlT_SL_SM_SN_E_clIS8_S8_S9_S9_EESK_S10_SL_SM_SN_EUlS10_E_NS1_11comp_targetILNS1_3genE4ELNS1_11target_archE910ELNS1_3gpuE8ELNS1_3repE0EEENS1_48merge_mergepath_partition_config_static_selectorELNS0_4arch9wavefront6targetE1EEEvSM_,"axG",@progbits,_ZN7rocprim17ROCPRIM_400000_NS6detail17trampoline_kernelINS0_14default_configENS1_38merge_sort_block_merge_config_selectorIlNS0_10empty_typeEEEZZNS1_27merge_sort_block_merge_implIS3_PlPS5_mZN2at6native12_GLOBAL__N_124unique_dim_cuda_templateIbEESt5tupleIJNSA_6TensorESF_SF_EERKSF_lbbbEUlllE_EE10hipError_tT0_T1_T2_jT3_P12ihipStream_tbPNSt15iterator_traitsISL_E10value_typeEPNSR_ISM_E10value_typeEPSN_NS1_7vsmem_tEENKUlT_SL_SM_SN_E_clIS8_S8_S9_S9_EESK_S10_SL_SM_SN_EUlS10_E_NS1_11comp_targetILNS1_3genE4ELNS1_11target_archE910ELNS1_3gpuE8ELNS1_3repE0EEENS1_48merge_mergepath_partition_config_static_selectorELNS0_4arch9wavefront6targetE1EEEvSM_,comdat
.Lfunc_end1005:
	.size	_ZN7rocprim17ROCPRIM_400000_NS6detail17trampoline_kernelINS0_14default_configENS1_38merge_sort_block_merge_config_selectorIlNS0_10empty_typeEEEZZNS1_27merge_sort_block_merge_implIS3_PlPS5_mZN2at6native12_GLOBAL__N_124unique_dim_cuda_templateIbEESt5tupleIJNSA_6TensorESF_SF_EERKSF_lbbbEUlllE_EE10hipError_tT0_T1_T2_jT3_P12ihipStream_tbPNSt15iterator_traitsISL_E10value_typeEPNSR_ISM_E10value_typeEPSN_NS1_7vsmem_tEENKUlT_SL_SM_SN_E_clIS8_S8_S9_S9_EESK_S10_SL_SM_SN_EUlS10_E_NS1_11comp_targetILNS1_3genE4ELNS1_11target_archE910ELNS1_3gpuE8ELNS1_3repE0EEENS1_48merge_mergepath_partition_config_static_selectorELNS0_4arch9wavefront6targetE1EEEvSM_, .Lfunc_end1005-_ZN7rocprim17ROCPRIM_400000_NS6detail17trampoline_kernelINS0_14default_configENS1_38merge_sort_block_merge_config_selectorIlNS0_10empty_typeEEEZZNS1_27merge_sort_block_merge_implIS3_PlPS5_mZN2at6native12_GLOBAL__N_124unique_dim_cuda_templateIbEESt5tupleIJNSA_6TensorESF_SF_EERKSF_lbbbEUlllE_EE10hipError_tT0_T1_T2_jT3_P12ihipStream_tbPNSt15iterator_traitsISL_E10value_typeEPNSR_ISM_E10value_typeEPSN_NS1_7vsmem_tEENKUlT_SL_SM_SN_E_clIS8_S8_S9_S9_EESK_S10_SL_SM_SN_EUlS10_E_NS1_11comp_targetILNS1_3genE4ELNS1_11target_archE910ELNS1_3gpuE8ELNS1_3repE0EEENS1_48merge_mergepath_partition_config_static_selectorELNS0_4arch9wavefront6targetE1EEEvSM_
                                        ; -- End function
	.section	.AMDGPU.csdata,"",@progbits
; Kernel info:
; codeLenInByte = 828
; NumSgprs: 40
; NumVgprs: 23
; NumAgprs: 0
; TotalNumVgprs: 23
; ScratchSize: 0
; MemoryBound: 0
; FloatMode: 240
; IeeeMode: 1
; LDSByteSize: 0 bytes/workgroup (compile time only)
; SGPRBlocks: 4
; VGPRBlocks: 2
; NumSGPRsForWavesPerEU: 40
; NumVGPRsForWavesPerEU: 23
; AccumOffset: 24
; Occupancy: 8
; WaveLimiterHint : 0
; COMPUTE_PGM_RSRC2:SCRATCH_EN: 0
; COMPUTE_PGM_RSRC2:USER_SGPR: 6
; COMPUTE_PGM_RSRC2:TRAP_HANDLER: 0
; COMPUTE_PGM_RSRC2:TGID_X_EN: 1
; COMPUTE_PGM_RSRC2:TGID_Y_EN: 0
; COMPUTE_PGM_RSRC2:TGID_Z_EN: 0
; COMPUTE_PGM_RSRC2:TIDIG_COMP_CNT: 0
; COMPUTE_PGM_RSRC3_GFX90A:ACCUM_OFFSET: 5
; COMPUTE_PGM_RSRC3_GFX90A:TG_SPLIT: 0
	.section	.text._ZN7rocprim17ROCPRIM_400000_NS6detail17trampoline_kernelINS0_14default_configENS1_38merge_sort_block_merge_config_selectorIlNS0_10empty_typeEEEZZNS1_27merge_sort_block_merge_implIS3_PlPS5_mZN2at6native12_GLOBAL__N_124unique_dim_cuda_templateIbEESt5tupleIJNSA_6TensorESF_SF_EERKSF_lbbbEUlllE_EE10hipError_tT0_T1_T2_jT3_P12ihipStream_tbPNSt15iterator_traitsISL_E10value_typeEPNSR_ISM_E10value_typeEPSN_NS1_7vsmem_tEENKUlT_SL_SM_SN_E_clIS8_S8_S9_S9_EESK_S10_SL_SM_SN_EUlS10_E_NS1_11comp_targetILNS1_3genE3ELNS1_11target_archE908ELNS1_3gpuE7ELNS1_3repE0EEENS1_48merge_mergepath_partition_config_static_selectorELNS0_4arch9wavefront6targetE1EEEvSM_,"axG",@progbits,_ZN7rocprim17ROCPRIM_400000_NS6detail17trampoline_kernelINS0_14default_configENS1_38merge_sort_block_merge_config_selectorIlNS0_10empty_typeEEEZZNS1_27merge_sort_block_merge_implIS3_PlPS5_mZN2at6native12_GLOBAL__N_124unique_dim_cuda_templateIbEESt5tupleIJNSA_6TensorESF_SF_EERKSF_lbbbEUlllE_EE10hipError_tT0_T1_T2_jT3_P12ihipStream_tbPNSt15iterator_traitsISL_E10value_typeEPNSR_ISM_E10value_typeEPSN_NS1_7vsmem_tEENKUlT_SL_SM_SN_E_clIS8_S8_S9_S9_EESK_S10_SL_SM_SN_EUlS10_E_NS1_11comp_targetILNS1_3genE3ELNS1_11target_archE908ELNS1_3gpuE7ELNS1_3repE0EEENS1_48merge_mergepath_partition_config_static_selectorELNS0_4arch9wavefront6targetE1EEEvSM_,comdat
	.globl	_ZN7rocprim17ROCPRIM_400000_NS6detail17trampoline_kernelINS0_14default_configENS1_38merge_sort_block_merge_config_selectorIlNS0_10empty_typeEEEZZNS1_27merge_sort_block_merge_implIS3_PlPS5_mZN2at6native12_GLOBAL__N_124unique_dim_cuda_templateIbEESt5tupleIJNSA_6TensorESF_SF_EERKSF_lbbbEUlllE_EE10hipError_tT0_T1_T2_jT3_P12ihipStream_tbPNSt15iterator_traitsISL_E10value_typeEPNSR_ISM_E10value_typeEPSN_NS1_7vsmem_tEENKUlT_SL_SM_SN_E_clIS8_S8_S9_S9_EESK_S10_SL_SM_SN_EUlS10_E_NS1_11comp_targetILNS1_3genE3ELNS1_11target_archE908ELNS1_3gpuE7ELNS1_3repE0EEENS1_48merge_mergepath_partition_config_static_selectorELNS0_4arch9wavefront6targetE1EEEvSM_ ; -- Begin function _ZN7rocprim17ROCPRIM_400000_NS6detail17trampoline_kernelINS0_14default_configENS1_38merge_sort_block_merge_config_selectorIlNS0_10empty_typeEEEZZNS1_27merge_sort_block_merge_implIS3_PlPS5_mZN2at6native12_GLOBAL__N_124unique_dim_cuda_templateIbEESt5tupleIJNSA_6TensorESF_SF_EERKSF_lbbbEUlllE_EE10hipError_tT0_T1_T2_jT3_P12ihipStream_tbPNSt15iterator_traitsISL_E10value_typeEPNSR_ISM_E10value_typeEPSN_NS1_7vsmem_tEENKUlT_SL_SM_SN_E_clIS8_S8_S9_S9_EESK_S10_SL_SM_SN_EUlS10_E_NS1_11comp_targetILNS1_3genE3ELNS1_11target_archE908ELNS1_3gpuE7ELNS1_3repE0EEENS1_48merge_mergepath_partition_config_static_selectorELNS0_4arch9wavefront6targetE1EEEvSM_
	.p2align	8
	.type	_ZN7rocprim17ROCPRIM_400000_NS6detail17trampoline_kernelINS0_14default_configENS1_38merge_sort_block_merge_config_selectorIlNS0_10empty_typeEEEZZNS1_27merge_sort_block_merge_implIS3_PlPS5_mZN2at6native12_GLOBAL__N_124unique_dim_cuda_templateIbEESt5tupleIJNSA_6TensorESF_SF_EERKSF_lbbbEUlllE_EE10hipError_tT0_T1_T2_jT3_P12ihipStream_tbPNSt15iterator_traitsISL_E10value_typeEPNSR_ISM_E10value_typeEPSN_NS1_7vsmem_tEENKUlT_SL_SM_SN_E_clIS8_S8_S9_S9_EESK_S10_SL_SM_SN_EUlS10_E_NS1_11comp_targetILNS1_3genE3ELNS1_11target_archE908ELNS1_3gpuE7ELNS1_3repE0EEENS1_48merge_mergepath_partition_config_static_selectorELNS0_4arch9wavefront6targetE1EEEvSM_,@function
_ZN7rocprim17ROCPRIM_400000_NS6detail17trampoline_kernelINS0_14default_configENS1_38merge_sort_block_merge_config_selectorIlNS0_10empty_typeEEEZZNS1_27merge_sort_block_merge_implIS3_PlPS5_mZN2at6native12_GLOBAL__N_124unique_dim_cuda_templateIbEESt5tupleIJNSA_6TensorESF_SF_EERKSF_lbbbEUlllE_EE10hipError_tT0_T1_T2_jT3_P12ihipStream_tbPNSt15iterator_traitsISL_E10value_typeEPNSR_ISM_E10value_typeEPSN_NS1_7vsmem_tEENKUlT_SL_SM_SN_E_clIS8_S8_S9_S9_EESK_S10_SL_SM_SN_EUlS10_E_NS1_11comp_targetILNS1_3genE3ELNS1_11target_archE908ELNS1_3gpuE7ELNS1_3repE0EEENS1_48merge_mergepath_partition_config_static_selectorELNS0_4arch9wavefront6targetE1EEEvSM_: ; @_ZN7rocprim17ROCPRIM_400000_NS6detail17trampoline_kernelINS0_14default_configENS1_38merge_sort_block_merge_config_selectorIlNS0_10empty_typeEEEZZNS1_27merge_sort_block_merge_implIS3_PlPS5_mZN2at6native12_GLOBAL__N_124unique_dim_cuda_templateIbEESt5tupleIJNSA_6TensorESF_SF_EERKSF_lbbbEUlllE_EE10hipError_tT0_T1_T2_jT3_P12ihipStream_tbPNSt15iterator_traitsISL_E10value_typeEPNSR_ISM_E10value_typeEPSN_NS1_7vsmem_tEENKUlT_SL_SM_SN_E_clIS8_S8_S9_S9_EESK_S10_SL_SM_SN_EUlS10_E_NS1_11comp_targetILNS1_3genE3ELNS1_11target_archE908ELNS1_3gpuE7ELNS1_3repE0EEENS1_48merge_mergepath_partition_config_static_selectorELNS0_4arch9wavefront6targetE1EEEvSM_
; %bb.0:
	.section	.rodata,"a",@progbits
	.p2align	6, 0x0
	.amdhsa_kernel _ZN7rocprim17ROCPRIM_400000_NS6detail17trampoline_kernelINS0_14default_configENS1_38merge_sort_block_merge_config_selectorIlNS0_10empty_typeEEEZZNS1_27merge_sort_block_merge_implIS3_PlPS5_mZN2at6native12_GLOBAL__N_124unique_dim_cuda_templateIbEESt5tupleIJNSA_6TensorESF_SF_EERKSF_lbbbEUlllE_EE10hipError_tT0_T1_T2_jT3_P12ihipStream_tbPNSt15iterator_traitsISL_E10value_typeEPNSR_ISM_E10value_typeEPSN_NS1_7vsmem_tEENKUlT_SL_SM_SN_E_clIS8_S8_S9_S9_EESK_S10_SL_SM_SN_EUlS10_E_NS1_11comp_targetILNS1_3genE3ELNS1_11target_archE908ELNS1_3gpuE7ELNS1_3repE0EEENS1_48merge_mergepath_partition_config_static_selectorELNS0_4arch9wavefront6targetE1EEEvSM_
		.amdhsa_group_segment_fixed_size 0
		.amdhsa_private_segment_fixed_size 0
		.amdhsa_kernarg_size 56
		.amdhsa_user_sgpr_count 6
		.amdhsa_user_sgpr_private_segment_buffer 1
		.amdhsa_user_sgpr_dispatch_ptr 0
		.amdhsa_user_sgpr_queue_ptr 0
		.amdhsa_user_sgpr_kernarg_segment_ptr 1
		.amdhsa_user_sgpr_dispatch_id 0
		.amdhsa_user_sgpr_flat_scratch_init 0
		.amdhsa_user_sgpr_kernarg_preload_length 0
		.amdhsa_user_sgpr_kernarg_preload_offset 0
		.amdhsa_user_sgpr_private_segment_size 0
		.amdhsa_uses_dynamic_stack 0
		.amdhsa_system_sgpr_private_segment_wavefront_offset 0
		.amdhsa_system_sgpr_workgroup_id_x 1
		.amdhsa_system_sgpr_workgroup_id_y 0
		.amdhsa_system_sgpr_workgroup_id_z 0
		.amdhsa_system_sgpr_workgroup_info 0
		.amdhsa_system_vgpr_workitem_id 0
		.amdhsa_next_free_vgpr 1
		.amdhsa_next_free_sgpr 0
		.amdhsa_accum_offset 4
		.amdhsa_reserve_vcc 0
		.amdhsa_reserve_flat_scratch 0
		.amdhsa_float_round_mode_32 0
		.amdhsa_float_round_mode_16_64 0
		.amdhsa_float_denorm_mode_32 3
		.amdhsa_float_denorm_mode_16_64 3
		.amdhsa_dx10_clamp 1
		.amdhsa_ieee_mode 1
		.amdhsa_fp16_overflow 0
		.amdhsa_tg_split 0
		.amdhsa_exception_fp_ieee_invalid_op 0
		.amdhsa_exception_fp_denorm_src 0
		.amdhsa_exception_fp_ieee_div_zero 0
		.amdhsa_exception_fp_ieee_overflow 0
		.amdhsa_exception_fp_ieee_underflow 0
		.amdhsa_exception_fp_ieee_inexact 0
		.amdhsa_exception_int_div_zero 0
	.end_amdhsa_kernel
	.section	.text._ZN7rocprim17ROCPRIM_400000_NS6detail17trampoline_kernelINS0_14default_configENS1_38merge_sort_block_merge_config_selectorIlNS0_10empty_typeEEEZZNS1_27merge_sort_block_merge_implIS3_PlPS5_mZN2at6native12_GLOBAL__N_124unique_dim_cuda_templateIbEESt5tupleIJNSA_6TensorESF_SF_EERKSF_lbbbEUlllE_EE10hipError_tT0_T1_T2_jT3_P12ihipStream_tbPNSt15iterator_traitsISL_E10value_typeEPNSR_ISM_E10value_typeEPSN_NS1_7vsmem_tEENKUlT_SL_SM_SN_E_clIS8_S8_S9_S9_EESK_S10_SL_SM_SN_EUlS10_E_NS1_11comp_targetILNS1_3genE3ELNS1_11target_archE908ELNS1_3gpuE7ELNS1_3repE0EEENS1_48merge_mergepath_partition_config_static_selectorELNS0_4arch9wavefront6targetE1EEEvSM_,"axG",@progbits,_ZN7rocprim17ROCPRIM_400000_NS6detail17trampoline_kernelINS0_14default_configENS1_38merge_sort_block_merge_config_selectorIlNS0_10empty_typeEEEZZNS1_27merge_sort_block_merge_implIS3_PlPS5_mZN2at6native12_GLOBAL__N_124unique_dim_cuda_templateIbEESt5tupleIJNSA_6TensorESF_SF_EERKSF_lbbbEUlllE_EE10hipError_tT0_T1_T2_jT3_P12ihipStream_tbPNSt15iterator_traitsISL_E10value_typeEPNSR_ISM_E10value_typeEPSN_NS1_7vsmem_tEENKUlT_SL_SM_SN_E_clIS8_S8_S9_S9_EESK_S10_SL_SM_SN_EUlS10_E_NS1_11comp_targetILNS1_3genE3ELNS1_11target_archE908ELNS1_3gpuE7ELNS1_3repE0EEENS1_48merge_mergepath_partition_config_static_selectorELNS0_4arch9wavefront6targetE1EEEvSM_,comdat
.Lfunc_end1006:
	.size	_ZN7rocprim17ROCPRIM_400000_NS6detail17trampoline_kernelINS0_14default_configENS1_38merge_sort_block_merge_config_selectorIlNS0_10empty_typeEEEZZNS1_27merge_sort_block_merge_implIS3_PlPS5_mZN2at6native12_GLOBAL__N_124unique_dim_cuda_templateIbEESt5tupleIJNSA_6TensorESF_SF_EERKSF_lbbbEUlllE_EE10hipError_tT0_T1_T2_jT3_P12ihipStream_tbPNSt15iterator_traitsISL_E10value_typeEPNSR_ISM_E10value_typeEPSN_NS1_7vsmem_tEENKUlT_SL_SM_SN_E_clIS8_S8_S9_S9_EESK_S10_SL_SM_SN_EUlS10_E_NS1_11comp_targetILNS1_3genE3ELNS1_11target_archE908ELNS1_3gpuE7ELNS1_3repE0EEENS1_48merge_mergepath_partition_config_static_selectorELNS0_4arch9wavefront6targetE1EEEvSM_, .Lfunc_end1006-_ZN7rocprim17ROCPRIM_400000_NS6detail17trampoline_kernelINS0_14default_configENS1_38merge_sort_block_merge_config_selectorIlNS0_10empty_typeEEEZZNS1_27merge_sort_block_merge_implIS3_PlPS5_mZN2at6native12_GLOBAL__N_124unique_dim_cuda_templateIbEESt5tupleIJNSA_6TensorESF_SF_EERKSF_lbbbEUlllE_EE10hipError_tT0_T1_T2_jT3_P12ihipStream_tbPNSt15iterator_traitsISL_E10value_typeEPNSR_ISM_E10value_typeEPSN_NS1_7vsmem_tEENKUlT_SL_SM_SN_E_clIS8_S8_S9_S9_EESK_S10_SL_SM_SN_EUlS10_E_NS1_11comp_targetILNS1_3genE3ELNS1_11target_archE908ELNS1_3gpuE7ELNS1_3repE0EEENS1_48merge_mergepath_partition_config_static_selectorELNS0_4arch9wavefront6targetE1EEEvSM_
                                        ; -- End function
	.section	.AMDGPU.csdata,"",@progbits
; Kernel info:
; codeLenInByte = 0
; NumSgprs: 4
; NumVgprs: 0
; NumAgprs: 0
; TotalNumVgprs: 0
; ScratchSize: 0
; MemoryBound: 0
; FloatMode: 240
; IeeeMode: 1
; LDSByteSize: 0 bytes/workgroup (compile time only)
; SGPRBlocks: 0
; VGPRBlocks: 0
; NumSGPRsForWavesPerEU: 4
; NumVGPRsForWavesPerEU: 1
; AccumOffset: 4
; Occupancy: 8
; WaveLimiterHint : 0
; COMPUTE_PGM_RSRC2:SCRATCH_EN: 0
; COMPUTE_PGM_RSRC2:USER_SGPR: 6
; COMPUTE_PGM_RSRC2:TRAP_HANDLER: 0
; COMPUTE_PGM_RSRC2:TGID_X_EN: 1
; COMPUTE_PGM_RSRC2:TGID_Y_EN: 0
; COMPUTE_PGM_RSRC2:TGID_Z_EN: 0
; COMPUTE_PGM_RSRC2:TIDIG_COMP_CNT: 0
; COMPUTE_PGM_RSRC3_GFX90A:ACCUM_OFFSET: 0
; COMPUTE_PGM_RSRC3_GFX90A:TG_SPLIT: 0
	.section	.text._ZN7rocprim17ROCPRIM_400000_NS6detail17trampoline_kernelINS0_14default_configENS1_38merge_sort_block_merge_config_selectorIlNS0_10empty_typeEEEZZNS1_27merge_sort_block_merge_implIS3_PlPS5_mZN2at6native12_GLOBAL__N_124unique_dim_cuda_templateIbEESt5tupleIJNSA_6TensorESF_SF_EERKSF_lbbbEUlllE_EE10hipError_tT0_T1_T2_jT3_P12ihipStream_tbPNSt15iterator_traitsISL_E10value_typeEPNSR_ISM_E10value_typeEPSN_NS1_7vsmem_tEENKUlT_SL_SM_SN_E_clIS8_S8_S9_S9_EESK_S10_SL_SM_SN_EUlS10_E_NS1_11comp_targetILNS1_3genE2ELNS1_11target_archE906ELNS1_3gpuE6ELNS1_3repE0EEENS1_48merge_mergepath_partition_config_static_selectorELNS0_4arch9wavefront6targetE1EEEvSM_,"axG",@progbits,_ZN7rocprim17ROCPRIM_400000_NS6detail17trampoline_kernelINS0_14default_configENS1_38merge_sort_block_merge_config_selectorIlNS0_10empty_typeEEEZZNS1_27merge_sort_block_merge_implIS3_PlPS5_mZN2at6native12_GLOBAL__N_124unique_dim_cuda_templateIbEESt5tupleIJNSA_6TensorESF_SF_EERKSF_lbbbEUlllE_EE10hipError_tT0_T1_T2_jT3_P12ihipStream_tbPNSt15iterator_traitsISL_E10value_typeEPNSR_ISM_E10value_typeEPSN_NS1_7vsmem_tEENKUlT_SL_SM_SN_E_clIS8_S8_S9_S9_EESK_S10_SL_SM_SN_EUlS10_E_NS1_11comp_targetILNS1_3genE2ELNS1_11target_archE906ELNS1_3gpuE6ELNS1_3repE0EEENS1_48merge_mergepath_partition_config_static_selectorELNS0_4arch9wavefront6targetE1EEEvSM_,comdat
	.globl	_ZN7rocprim17ROCPRIM_400000_NS6detail17trampoline_kernelINS0_14default_configENS1_38merge_sort_block_merge_config_selectorIlNS0_10empty_typeEEEZZNS1_27merge_sort_block_merge_implIS3_PlPS5_mZN2at6native12_GLOBAL__N_124unique_dim_cuda_templateIbEESt5tupleIJNSA_6TensorESF_SF_EERKSF_lbbbEUlllE_EE10hipError_tT0_T1_T2_jT3_P12ihipStream_tbPNSt15iterator_traitsISL_E10value_typeEPNSR_ISM_E10value_typeEPSN_NS1_7vsmem_tEENKUlT_SL_SM_SN_E_clIS8_S8_S9_S9_EESK_S10_SL_SM_SN_EUlS10_E_NS1_11comp_targetILNS1_3genE2ELNS1_11target_archE906ELNS1_3gpuE6ELNS1_3repE0EEENS1_48merge_mergepath_partition_config_static_selectorELNS0_4arch9wavefront6targetE1EEEvSM_ ; -- Begin function _ZN7rocprim17ROCPRIM_400000_NS6detail17trampoline_kernelINS0_14default_configENS1_38merge_sort_block_merge_config_selectorIlNS0_10empty_typeEEEZZNS1_27merge_sort_block_merge_implIS3_PlPS5_mZN2at6native12_GLOBAL__N_124unique_dim_cuda_templateIbEESt5tupleIJNSA_6TensorESF_SF_EERKSF_lbbbEUlllE_EE10hipError_tT0_T1_T2_jT3_P12ihipStream_tbPNSt15iterator_traitsISL_E10value_typeEPNSR_ISM_E10value_typeEPSN_NS1_7vsmem_tEENKUlT_SL_SM_SN_E_clIS8_S8_S9_S9_EESK_S10_SL_SM_SN_EUlS10_E_NS1_11comp_targetILNS1_3genE2ELNS1_11target_archE906ELNS1_3gpuE6ELNS1_3repE0EEENS1_48merge_mergepath_partition_config_static_selectorELNS0_4arch9wavefront6targetE1EEEvSM_
	.p2align	8
	.type	_ZN7rocprim17ROCPRIM_400000_NS6detail17trampoline_kernelINS0_14default_configENS1_38merge_sort_block_merge_config_selectorIlNS0_10empty_typeEEEZZNS1_27merge_sort_block_merge_implIS3_PlPS5_mZN2at6native12_GLOBAL__N_124unique_dim_cuda_templateIbEESt5tupleIJNSA_6TensorESF_SF_EERKSF_lbbbEUlllE_EE10hipError_tT0_T1_T2_jT3_P12ihipStream_tbPNSt15iterator_traitsISL_E10value_typeEPNSR_ISM_E10value_typeEPSN_NS1_7vsmem_tEENKUlT_SL_SM_SN_E_clIS8_S8_S9_S9_EESK_S10_SL_SM_SN_EUlS10_E_NS1_11comp_targetILNS1_3genE2ELNS1_11target_archE906ELNS1_3gpuE6ELNS1_3repE0EEENS1_48merge_mergepath_partition_config_static_selectorELNS0_4arch9wavefront6targetE1EEEvSM_,@function
_ZN7rocprim17ROCPRIM_400000_NS6detail17trampoline_kernelINS0_14default_configENS1_38merge_sort_block_merge_config_selectorIlNS0_10empty_typeEEEZZNS1_27merge_sort_block_merge_implIS3_PlPS5_mZN2at6native12_GLOBAL__N_124unique_dim_cuda_templateIbEESt5tupleIJNSA_6TensorESF_SF_EERKSF_lbbbEUlllE_EE10hipError_tT0_T1_T2_jT3_P12ihipStream_tbPNSt15iterator_traitsISL_E10value_typeEPNSR_ISM_E10value_typeEPSN_NS1_7vsmem_tEENKUlT_SL_SM_SN_E_clIS8_S8_S9_S9_EESK_S10_SL_SM_SN_EUlS10_E_NS1_11comp_targetILNS1_3genE2ELNS1_11target_archE906ELNS1_3gpuE6ELNS1_3repE0EEENS1_48merge_mergepath_partition_config_static_selectorELNS0_4arch9wavefront6targetE1EEEvSM_: ; @_ZN7rocprim17ROCPRIM_400000_NS6detail17trampoline_kernelINS0_14default_configENS1_38merge_sort_block_merge_config_selectorIlNS0_10empty_typeEEEZZNS1_27merge_sort_block_merge_implIS3_PlPS5_mZN2at6native12_GLOBAL__N_124unique_dim_cuda_templateIbEESt5tupleIJNSA_6TensorESF_SF_EERKSF_lbbbEUlllE_EE10hipError_tT0_T1_T2_jT3_P12ihipStream_tbPNSt15iterator_traitsISL_E10value_typeEPNSR_ISM_E10value_typeEPSN_NS1_7vsmem_tEENKUlT_SL_SM_SN_E_clIS8_S8_S9_S9_EESK_S10_SL_SM_SN_EUlS10_E_NS1_11comp_targetILNS1_3genE2ELNS1_11target_archE906ELNS1_3gpuE6ELNS1_3repE0EEENS1_48merge_mergepath_partition_config_static_selectorELNS0_4arch9wavefront6targetE1EEEvSM_
; %bb.0:
	.section	.rodata,"a",@progbits
	.p2align	6, 0x0
	.amdhsa_kernel _ZN7rocprim17ROCPRIM_400000_NS6detail17trampoline_kernelINS0_14default_configENS1_38merge_sort_block_merge_config_selectorIlNS0_10empty_typeEEEZZNS1_27merge_sort_block_merge_implIS3_PlPS5_mZN2at6native12_GLOBAL__N_124unique_dim_cuda_templateIbEESt5tupleIJNSA_6TensorESF_SF_EERKSF_lbbbEUlllE_EE10hipError_tT0_T1_T2_jT3_P12ihipStream_tbPNSt15iterator_traitsISL_E10value_typeEPNSR_ISM_E10value_typeEPSN_NS1_7vsmem_tEENKUlT_SL_SM_SN_E_clIS8_S8_S9_S9_EESK_S10_SL_SM_SN_EUlS10_E_NS1_11comp_targetILNS1_3genE2ELNS1_11target_archE906ELNS1_3gpuE6ELNS1_3repE0EEENS1_48merge_mergepath_partition_config_static_selectorELNS0_4arch9wavefront6targetE1EEEvSM_
		.amdhsa_group_segment_fixed_size 0
		.amdhsa_private_segment_fixed_size 0
		.amdhsa_kernarg_size 56
		.amdhsa_user_sgpr_count 6
		.amdhsa_user_sgpr_private_segment_buffer 1
		.amdhsa_user_sgpr_dispatch_ptr 0
		.amdhsa_user_sgpr_queue_ptr 0
		.amdhsa_user_sgpr_kernarg_segment_ptr 1
		.amdhsa_user_sgpr_dispatch_id 0
		.amdhsa_user_sgpr_flat_scratch_init 0
		.amdhsa_user_sgpr_kernarg_preload_length 0
		.amdhsa_user_sgpr_kernarg_preload_offset 0
		.amdhsa_user_sgpr_private_segment_size 0
		.amdhsa_uses_dynamic_stack 0
		.amdhsa_system_sgpr_private_segment_wavefront_offset 0
		.amdhsa_system_sgpr_workgroup_id_x 1
		.amdhsa_system_sgpr_workgroup_id_y 0
		.amdhsa_system_sgpr_workgroup_id_z 0
		.amdhsa_system_sgpr_workgroup_info 0
		.amdhsa_system_vgpr_workitem_id 0
		.amdhsa_next_free_vgpr 1
		.amdhsa_next_free_sgpr 0
		.amdhsa_accum_offset 4
		.amdhsa_reserve_vcc 0
		.amdhsa_reserve_flat_scratch 0
		.amdhsa_float_round_mode_32 0
		.amdhsa_float_round_mode_16_64 0
		.amdhsa_float_denorm_mode_32 3
		.amdhsa_float_denorm_mode_16_64 3
		.amdhsa_dx10_clamp 1
		.amdhsa_ieee_mode 1
		.amdhsa_fp16_overflow 0
		.amdhsa_tg_split 0
		.amdhsa_exception_fp_ieee_invalid_op 0
		.amdhsa_exception_fp_denorm_src 0
		.amdhsa_exception_fp_ieee_div_zero 0
		.amdhsa_exception_fp_ieee_overflow 0
		.amdhsa_exception_fp_ieee_underflow 0
		.amdhsa_exception_fp_ieee_inexact 0
		.amdhsa_exception_int_div_zero 0
	.end_amdhsa_kernel
	.section	.text._ZN7rocprim17ROCPRIM_400000_NS6detail17trampoline_kernelINS0_14default_configENS1_38merge_sort_block_merge_config_selectorIlNS0_10empty_typeEEEZZNS1_27merge_sort_block_merge_implIS3_PlPS5_mZN2at6native12_GLOBAL__N_124unique_dim_cuda_templateIbEESt5tupleIJNSA_6TensorESF_SF_EERKSF_lbbbEUlllE_EE10hipError_tT0_T1_T2_jT3_P12ihipStream_tbPNSt15iterator_traitsISL_E10value_typeEPNSR_ISM_E10value_typeEPSN_NS1_7vsmem_tEENKUlT_SL_SM_SN_E_clIS8_S8_S9_S9_EESK_S10_SL_SM_SN_EUlS10_E_NS1_11comp_targetILNS1_3genE2ELNS1_11target_archE906ELNS1_3gpuE6ELNS1_3repE0EEENS1_48merge_mergepath_partition_config_static_selectorELNS0_4arch9wavefront6targetE1EEEvSM_,"axG",@progbits,_ZN7rocprim17ROCPRIM_400000_NS6detail17trampoline_kernelINS0_14default_configENS1_38merge_sort_block_merge_config_selectorIlNS0_10empty_typeEEEZZNS1_27merge_sort_block_merge_implIS3_PlPS5_mZN2at6native12_GLOBAL__N_124unique_dim_cuda_templateIbEESt5tupleIJNSA_6TensorESF_SF_EERKSF_lbbbEUlllE_EE10hipError_tT0_T1_T2_jT3_P12ihipStream_tbPNSt15iterator_traitsISL_E10value_typeEPNSR_ISM_E10value_typeEPSN_NS1_7vsmem_tEENKUlT_SL_SM_SN_E_clIS8_S8_S9_S9_EESK_S10_SL_SM_SN_EUlS10_E_NS1_11comp_targetILNS1_3genE2ELNS1_11target_archE906ELNS1_3gpuE6ELNS1_3repE0EEENS1_48merge_mergepath_partition_config_static_selectorELNS0_4arch9wavefront6targetE1EEEvSM_,comdat
.Lfunc_end1007:
	.size	_ZN7rocprim17ROCPRIM_400000_NS6detail17trampoline_kernelINS0_14default_configENS1_38merge_sort_block_merge_config_selectorIlNS0_10empty_typeEEEZZNS1_27merge_sort_block_merge_implIS3_PlPS5_mZN2at6native12_GLOBAL__N_124unique_dim_cuda_templateIbEESt5tupleIJNSA_6TensorESF_SF_EERKSF_lbbbEUlllE_EE10hipError_tT0_T1_T2_jT3_P12ihipStream_tbPNSt15iterator_traitsISL_E10value_typeEPNSR_ISM_E10value_typeEPSN_NS1_7vsmem_tEENKUlT_SL_SM_SN_E_clIS8_S8_S9_S9_EESK_S10_SL_SM_SN_EUlS10_E_NS1_11comp_targetILNS1_3genE2ELNS1_11target_archE906ELNS1_3gpuE6ELNS1_3repE0EEENS1_48merge_mergepath_partition_config_static_selectorELNS0_4arch9wavefront6targetE1EEEvSM_, .Lfunc_end1007-_ZN7rocprim17ROCPRIM_400000_NS6detail17trampoline_kernelINS0_14default_configENS1_38merge_sort_block_merge_config_selectorIlNS0_10empty_typeEEEZZNS1_27merge_sort_block_merge_implIS3_PlPS5_mZN2at6native12_GLOBAL__N_124unique_dim_cuda_templateIbEESt5tupleIJNSA_6TensorESF_SF_EERKSF_lbbbEUlllE_EE10hipError_tT0_T1_T2_jT3_P12ihipStream_tbPNSt15iterator_traitsISL_E10value_typeEPNSR_ISM_E10value_typeEPSN_NS1_7vsmem_tEENKUlT_SL_SM_SN_E_clIS8_S8_S9_S9_EESK_S10_SL_SM_SN_EUlS10_E_NS1_11comp_targetILNS1_3genE2ELNS1_11target_archE906ELNS1_3gpuE6ELNS1_3repE0EEENS1_48merge_mergepath_partition_config_static_selectorELNS0_4arch9wavefront6targetE1EEEvSM_
                                        ; -- End function
	.section	.AMDGPU.csdata,"",@progbits
; Kernel info:
; codeLenInByte = 0
; NumSgprs: 4
; NumVgprs: 0
; NumAgprs: 0
; TotalNumVgprs: 0
; ScratchSize: 0
; MemoryBound: 0
; FloatMode: 240
; IeeeMode: 1
; LDSByteSize: 0 bytes/workgroup (compile time only)
; SGPRBlocks: 0
; VGPRBlocks: 0
; NumSGPRsForWavesPerEU: 4
; NumVGPRsForWavesPerEU: 1
; AccumOffset: 4
; Occupancy: 8
; WaveLimiterHint : 0
; COMPUTE_PGM_RSRC2:SCRATCH_EN: 0
; COMPUTE_PGM_RSRC2:USER_SGPR: 6
; COMPUTE_PGM_RSRC2:TRAP_HANDLER: 0
; COMPUTE_PGM_RSRC2:TGID_X_EN: 1
; COMPUTE_PGM_RSRC2:TGID_Y_EN: 0
; COMPUTE_PGM_RSRC2:TGID_Z_EN: 0
; COMPUTE_PGM_RSRC2:TIDIG_COMP_CNT: 0
; COMPUTE_PGM_RSRC3_GFX90A:ACCUM_OFFSET: 0
; COMPUTE_PGM_RSRC3_GFX90A:TG_SPLIT: 0
	.section	.text._ZN7rocprim17ROCPRIM_400000_NS6detail17trampoline_kernelINS0_14default_configENS1_38merge_sort_block_merge_config_selectorIlNS0_10empty_typeEEEZZNS1_27merge_sort_block_merge_implIS3_PlPS5_mZN2at6native12_GLOBAL__N_124unique_dim_cuda_templateIbEESt5tupleIJNSA_6TensorESF_SF_EERKSF_lbbbEUlllE_EE10hipError_tT0_T1_T2_jT3_P12ihipStream_tbPNSt15iterator_traitsISL_E10value_typeEPNSR_ISM_E10value_typeEPSN_NS1_7vsmem_tEENKUlT_SL_SM_SN_E_clIS8_S8_S9_S9_EESK_S10_SL_SM_SN_EUlS10_E_NS1_11comp_targetILNS1_3genE9ELNS1_11target_archE1100ELNS1_3gpuE3ELNS1_3repE0EEENS1_48merge_mergepath_partition_config_static_selectorELNS0_4arch9wavefront6targetE1EEEvSM_,"axG",@progbits,_ZN7rocprim17ROCPRIM_400000_NS6detail17trampoline_kernelINS0_14default_configENS1_38merge_sort_block_merge_config_selectorIlNS0_10empty_typeEEEZZNS1_27merge_sort_block_merge_implIS3_PlPS5_mZN2at6native12_GLOBAL__N_124unique_dim_cuda_templateIbEESt5tupleIJNSA_6TensorESF_SF_EERKSF_lbbbEUlllE_EE10hipError_tT0_T1_T2_jT3_P12ihipStream_tbPNSt15iterator_traitsISL_E10value_typeEPNSR_ISM_E10value_typeEPSN_NS1_7vsmem_tEENKUlT_SL_SM_SN_E_clIS8_S8_S9_S9_EESK_S10_SL_SM_SN_EUlS10_E_NS1_11comp_targetILNS1_3genE9ELNS1_11target_archE1100ELNS1_3gpuE3ELNS1_3repE0EEENS1_48merge_mergepath_partition_config_static_selectorELNS0_4arch9wavefront6targetE1EEEvSM_,comdat
	.globl	_ZN7rocprim17ROCPRIM_400000_NS6detail17trampoline_kernelINS0_14default_configENS1_38merge_sort_block_merge_config_selectorIlNS0_10empty_typeEEEZZNS1_27merge_sort_block_merge_implIS3_PlPS5_mZN2at6native12_GLOBAL__N_124unique_dim_cuda_templateIbEESt5tupleIJNSA_6TensorESF_SF_EERKSF_lbbbEUlllE_EE10hipError_tT0_T1_T2_jT3_P12ihipStream_tbPNSt15iterator_traitsISL_E10value_typeEPNSR_ISM_E10value_typeEPSN_NS1_7vsmem_tEENKUlT_SL_SM_SN_E_clIS8_S8_S9_S9_EESK_S10_SL_SM_SN_EUlS10_E_NS1_11comp_targetILNS1_3genE9ELNS1_11target_archE1100ELNS1_3gpuE3ELNS1_3repE0EEENS1_48merge_mergepath_partition_config_static_selectorELNS0_4arch9wavefront6targetE1EEEvSM_ ; -- Begin function _ZN7rocprim17ROCPRIM_400000_NS6detail17trampoline_kernelINS0_14default_configENS1_38merge_sort_block_merge_config_selectorIlNS0_10empty_typeEEEZZNS1_27merge_sort_block_merge_implIS3_PlPS5_mZN2at6native12_GLOBAL__N_124unique_dim_cuda_templateIbEESt5tupleIJNSA_6TensorESF_SF_EERKSF_lbbbEUlllE_EE10hipError_tT0_T1_T2_jT3_P12ihipStream_tbPNSt15iterator_traitsISL_E10value_typeEPNSR_ISM_E10value_typeEPSN_NS1_7vsmem_tEENKUlT_SL_SM_SN_E_clIS8_S8_S9_S9_EESK_S10_SL_SM_SN_EUlS10_E_NS1_11comp_targetILNS1_3genE9ELNS1_11target_archE1100ELNS1_3gpuE3ELNS1_3repE0EEENS1_48merge_mergepath_partition_config_static_selectorELNS0_4arch9wavefront6targetE1EEEvSM_
	.p2align	8
	.type	_ZN7rocprim17ROCPRIM_400000_NS6detail17trampoline_kernelINS0_14default_configENS1_38merge_sort_block_merge_config_selectorIlNS0_10empty_typeEEEZZNS1_27merge_sort_block_merge_implIS3_PlPS5_mZN2at6native12_GLOBAL__N_124unique_dim_cuda_templateIbEESt5tupleIJNSA_6TensorESF_SF_EERKSF_lbbbEUlllE_EE10hipError_tT0_T1_T2_jT3_P12ihipStream_tbPNSt15iterator_traitsISL_E10value_typeEPNSR_ISM_E10value_typeEPSN_NS1_7vsmem_tEENKUlT_SL_SM_SN_E_clIS8_S8_S9_S9_EESK_S10_SL_SM_SN_EUlS10_E_NS1_11comp_targetILNS1_3genE9ELNS1_11target_archE1100ELNS1_3gpuE3ELNS1_3repE0EEENS1_48merge_mergepath_partition_config_static_selectorELNS0_4arch9wavefront6targetE1EEEvSM_,@function
_ZN7rocprim17ROCPRIM_400000_NS6detail17trampoline_kernelINS0_14default_configENS1_38merge_sort_block_merge_config_selectorIlNS0_10empty_typeEEEZZNS1_27merge_sort_block_merge_implIS3_PlPS5_mZN2at6native12_GLOBAL__N_124unique_dim_cuda_templateIbEESt5tupleIJNSA_6TensorESF_SF_EERKSF_lbbbEUlllE_EE10hipError_tT0_T1_T2_jT3_P12ihipStream_tbPNSt15iterator_traitsISL_E10value_typeEPNSR_ISM_E10value_typeEPSN_NS1_7vsmem_tEENKUlT_SL_SM_SN_E_clIS8_S8_S9_S9_EESK_S10_SL_SM_SN_EUlS10_E_NS1_11comp_targetILNS1_3genE9ELNS1_11target_archE1100ELNS1_3gpuE3ELNS1_3repE0EEENS1_48merge_mergepath_partition_config_static_selectorELNS0_4arch9wavefront6targetE1EEEvSM_: ; @_ZN7rocprim17ROCPRIM_400000_NS6detail17trampoline_kernelINS0_14default_configENS1_38merge_sort_block_merge_config_selectorIlNS0_10empty_typeEEEZZNS1_27merge_sort_block_merge_implIS3_PlPS5_mZN2at6native12_GLOBAL__N_124unique_dim_cuda_templateIbEESt5tupleIJNSA_6TensorESF_SF_EERKSF_lbbbEUlllE_EE10hipError_tT0_T1_T2_jT3_P12ihipStream_tbPNSt15iterator_traitsISL_E10value_typeEPNSR_ISM_E10value_typeEPSN_NS1_7vsmem_tEENKUlT_SL_SM_SN_E_clIS8_S8_S9_S9_EESK_S10_SL_SM_SN_EUlS10_E_NS1_11comp_targetILNS1_3genE9ELNS1_11target_archE1100ELNS1_3gpuE3ELNS1_3repE0EEENS1_48merge_mergepath_partition_config_static_selectorELNS0_4arch9wavefront6targetE1EEEvSM_
; %bb.0:
	.section	.rodata,"a",@progbits
	.p2align	6, 0x0
	.amdhsa_kernel _ZN7rocprim17ROCPRIM_400000_NS6detail17trampoline_kernelINS0_14default_configENS1_38merge_sort_block_merge_config_selectorIlNS0_10empty_typeEEEZZNS1_27merge_sort_block_merge_implIS3_PlPS5_mZN2at6native12_GLOBAL__N_124unique_dim_cuda_templateIbEESt5tupleIJNSA_6TensorESF_SF_EERKSF_lbbbEUlllE_EE10hipError_tT0_T1_T2_jT3_P12ihipStream_tbPNSt15iterator_traitsISL_E10value_typeEPNSR_ISM_E10value_typeEPSN_NS1_7vsmem_tEENKUlT_SL_SM_SN_E_clIS8_S8_S9_S9_EESK_S10_SL_SM_SN_EUlS10_E_NS1_11comp_targetILNS1_3genE9ELNS1_11target_archE1100ELNS1_3gpuE3ELNS1_3repE0EEENS1_48merge_mergepath_partition_config_static_selectorELNS0_4arch9wavefront6targetE1EEEvSM_
		.amdhsa_group_segment_fixed_size 0
		.amdhsa_private_segment_fixed_size 0
		.amdhsa_kernarg_size 56
		.amdhsa_user_sgpr_count 6
		.amdhsa_user_sgpr_private_segment_buffer 1
		.amdhsa_user_sgpr_dispatch_ptr 0
		.amdhsa_user_sgpr_queue_ptr 0
		.amdhsa_user_sgpr_kernarg_segment_ptr 1
		.amdhsa_user_sgpr_dispatch_id 0
		.amdhsa_user_sgpr_flat_scratch_init 0
		.amdhsa_user_sgpr_kernarg_preload_length 0
		.amdhsa_user_sgpr_kernarg_preload_offset 0
		.amdhsa_user_sgpr_private_segment_size 0
		.amdhsa_uses_dynamic_stack 0
		.amdhsa_system_sgpr_private_segment_wavefront_offset 0
		.amdhsa_system_sgpr_workgroup_id_x 1
		.amdhsa_system_sgpr_workgroup_id_y 0
		.amdhsa_system_sgpr_workgroup_id_z 0
		.amdhsa_system_sgpr_workgroup_info 0
		.amdhsa_system_vgpr_workitem_id 0
		.amdhsa_next_free_vgpr 1
		.amdhsa_next_free_sgpr 0
		.amdhsa_accum_offset 4
		.amdhsa_reserve_vcc 0
		.amdhsa_reserve_flat_scratch 0
		.amdhsa_float_round_mode_32 0
		.amdhsa_float_round_mode_16_64 0
		.amdhsa_float_denorm_mode_32 3
		.amdhsa_float_denorm_mode_16_64 3
		.amdhsa_dx10_clamp 1
		.amdhsa_ieee_mode 1
		.amdhsa_fp16_overflow 0
		.amdhsa_tg_split 0
		.amdhsa_exception_fp_ieee_invalid_op 0
		.amdhsa_exception_fp_denorm_src 0
		.amdhsa_exception_fp_ieee_div_zero 0
		.amdhsa_exception_fp_ieee_overflow 0
		.amdhsa_exception_fp_ieee_underflow 0
		.amdhsa_exception_fp_ieee_inexact 0
		.amdhsa_exception_int_div_zero 0
	.end_amdhsa_kernel
	.section	.text._ZN7rocprim17ROCPRIM_400000_NS6detail17trampoline_kernelINS0_14default_configENS1_38merge_sort_block_merge_config_selectorIlNS0_10empty_typeEEEZZNS1_27merge_sort_block_merge_implIS3_PlPS5_mZN2at6native12_GLOBAL__N_124unique_dim_cuda_templateIbEESt5tupleIJNSA_6TensorESF_SF_EERKSF_lbbbEUlllE_EE10hipError_tT0_T1_T2_jT3_P12ihipStream_tbPNSt15iterator_traitsISL_E10value_typeEPNSR_ISM_E10value_typeEPSN_NS1_7vsmem_tEENKUlT_SL_SM_SN_E_clIS8_S8_S9_S9_EESK_S10_SL_SM_SN_EUlS10_E_NS1_11comp_targetILNS1_3genE9ELNS1_11target_archE1100ELNS1_3gpuE3ELNS1_3repE0EEENS1_48merge_mergepath_partition_config_static_selectorELNS0_4arch9wavefront6targetE1EEEvSM_,"axG",@progbits,_ZN7rocprim17ROCPRIM_400000_NS6detail17trampoline_kernelINS0_14default_configENS1_38merge_sort_block_merge_config_selectorIlNS0_10empty_typeEEEZZNS1_27merge_sort_block_merge_implIS3_PlPS5_mZN2at6native12_GLOBAL__N_124unique_dim_cuda_templateIbEESt5tupleIJNSA_6TensorESF_SF_EERKSF_lbbbEUlllE_EE10hipError_tT0_T1_T2_jT3_P12ihipStream_tbPNSt15iterator_traitsISL_E10value_typeEPNSR_ISM_E10value_typeEPSN_NS1_7vsmem_tEENKUlT_SL_SM_SN_E_clIS8_S8_S9_S9_EESK_S10_SL_SM_SN_EUlS10_E_NS1_11comp_targetILNS1_3genE9ELNS1_11target_archE1100ELNS1_3gpuE3ELNS1_3repE0EEENS1_48merge_mergepath_partition_config_static_selectorELNS0_4arch9wavefront6targetE1EEEvSM_,comdat
.Lfunc_end1008:
	.size	_ZN7rocprim17ROCPRIM_400000_NS6detail17trampoline_kernelINS0_14default_configENS1_38merge_sort_block_merge_config_selectorIlNS0_10empty_typeEEEZZNS1_27merge_sort_block_merge_implIS3_PlPS5_mZN2at6native12_GLOBAL__N_124unique_dim_cuda_templateIbEESt5tupleIJNSA_6TensorESF_SF_EERKSF_lbbbEUlllE_EE10hipError_tT0_T1_T2_jT3_P12ihipStream_tbPNSt15iterator_traitsISL_E10value_typeEPNSR_ISM_E10value_typeEPSN_NS1_7vsmem_tEENKUlT_SL_SM_SN_E_clIS8_S8_S9_S9_EESK_S10_SL_SM_SN_EUlS10_E_NS1_11comp_targetILNS1_3genE9ELNS1_11target_archE1100ELNS1_3gpuE3ELNS1_3repE0EEENS1_48merge_mergepath_partition_config_static_selectorELNS0_4arch9wavefront6targetE1EEEvSM_, .Lfunc_end1008-_ZN7rocprim17ROCPRIM_400000_NS6detail17trampoline_kernelINS0_14default_configENS1_38merge_sort_block_merge_config_selectorIlNS0_10empty_typeEEEZZNS1_27merge_sort_block_merge_implIS3_PlPS5_mZN2at6native12_GLOBAL__N_124unique_dim_cuda_templateIbEESt5tupleIJNSA_6TensorESF_SF_EERKSF_lbbbEUlllE_EE10hipError_tT0_T1_T2_jT3_P12ihipStream_tbPNSt15iterator_traitsISL_E10value_typeEPNSR_ISM_E10value_typeEPSN_NS1_7vsmem_tEENKUlT_SL_SM_SN_E_clIS8_S8_S9_S9_EESK_S10_SL_SM_SN_EUlS10_E_NS1_11comp_targetILNS1_3genE9ELNS1_11target_archE1100ELNS1_3gpuE3ELNS1_3repE0EEENS1_48merge_mergepath_partition_config_static_selectorELNS0_4arch9wavefront6targetE1EEEvSM_
                                        ; -- End function
	.section	.AMDGPU.csdata,"",@progbits
; Kernel info:
; codeLenInByte = 0
; NumSgprs: 4
; NumVgprs: 0
; NumAgprs: 0
; TotalNumVgprs: 0
; ScratchSize: 0
; MemoryBound: 0
; FloatMode: 240
; IeeeMode: 1
; LDSByteSize: 0 bytes/workgroup (compile time only)
; SGPRBlocks: 0
; VGPRBlocks: 0
; NumSGPRsForWavesPerEU: 4
; NumVGPRsForWavesPerEU: 1
; AccumOffset: 4
; Occupancy: 8
; WaveLimiterHint : 0
; COMPUTE_PGM_RSRC2:SCRATCH_EN: 0
; COMPUTE_PGM_RSRC2:USER_SGPR: 6
; COMPUTE_PGM_RSRC2:TRAP_HANDLER: 0
; COMPUTE_PGM_RSRC2:TGID_X_EN: 1
; COMPUTE_PGM_RSRC2:TGID_Y_EN: 0
; COMPUTE_PGM_RSRC2:TGID_Z_EN: 0
; COMPUTE_PGM_RSRC2:TIDIG_COMP_CNT: 0
; COMPUTE_PGM_RSRC3_GFX90A:ACCUM_OFFSET: 0
; COMPUTE_PGM_RSRC3_GFX90A:TG_SPLIT: 0
	.section	.text._ZN7rocprim17ROCPRIM_400000_NS6detail17trampoline_kernelINS0_14default_configENS1_38merge_sort_block_merge_config_selectorIlNS0_10empty_typeEEEZZNS1_27merge_sort_block_merge_implIS3_PlPS5_mZN2at6native12_GLOBAL__N_124unique_dim_cuda_templateIbEESt5tupleIJNSA_6TensorESF_SF_EERKSF_lbbbEUlllE_EE10hipError_tT0_T1_T2_jT3_P12ihipStream_tbPNSt15iterator_traitsISL_E10value_typeEPNSR_ISM_E10value_typeEPSN_NS1_7vsmem_tEENKUlT_SL_SM_SN_E_clIS8_S8_S9_S9_EESK_S10_SL_SM_SN_EUlS10_E_NS1_11comp_targetILNS1_3genE8ELNS1_11target_archE1030ELNS1_3gpuE2ELNS1_3repE0EEENS1_48merge_mergepath_partition_config_static_selectorELNS0_4arch9wavefront6targetE1EEEvSM_,"axG",@progbits,_ZN7rocprim17ROCPRIM_400000_NS6detail17trampoline_kernelINS0_14default_configENS1_38merge_sort_block_merge_config_selectorIlNS0_10empty_typeEEEZZNS1_27merge_sort_block_merge_implIS3_PlPS5_mZN2at6native12_GLOBAL__N_124unique_dim_cuda_templateIbEESt5tupleIJNSA_6TensorESF_SF_EERKSF_lbbbEUlllE_EE10hipError_tT0_T1_T2_jT3_P12ihipStream_tbPNSt15iterator_traitsISL_E10value_typeEPNSR_ISM_E10value_typeEPSN_NS1_7vsmem_tEENKUlT_SL_SM_SN_E_clIS8_S8_S9_S9_EESK_S10_SL_SM_SN_EUlS10_E_NS1_11comp_targetILNS1_3genE8ELNS1_11target_archE1030ELNS1_3gpuE2ELNS1_3repE0EEENS1_48merge_mergepath_partition_config_static_selectorELNS0_4arch9wavefront6targetE1EEEvSM_,comdat
	.globl	_ZN7rocprim17ROCPRIM_400000_NS6detail17trampoline_kernelINS0_14default_configENS1_38merge_sort_block_merge_config_selectorIlNS0_10empty_typeEEEZZNS1_27merge_sort_block_merge_implIS3_PlPS5_mZN2at6native12_GLOBAL__N_124unique_dim_cuda_templateIbEESt5tupleIJNSA_6TensorESF_SF_EERKSF_lbbbEUlllE_EE10hipError_tT0_T1_T2_jT3_P12ihipStream_tbPNSt15iterator_traitsISL_E10value_typeEPNSR_ISM_E10value_typeEPSN_NS1_7vsmem_tEENKUlT_SL_SM_SN_E_clIS8_S8_S9_S9_EESK_S10_SL_SM_SN_EUlS10_E_NS1_11comp_targetILNS1_3genE8ELNS1_11target_archE1030ELNS1_3gpuE2ELNS1_3repE0EEENS1_48merge_mergepath_partition_config_static_selectorELNS0_4arch9wavefront6targetE1EEEvSM_ ; -- Begin function _ZN7rocprim17ROCPRIM_400000_NS6detail17trampoline_kernelINS0_14default_configENS1_38merge_sort_block_merge_config_selectorIlNS0_10empty_typeEEEZZNS1_27merge_sort_block_merge_implIS3_PlPS5_mZN2at6native12_GLOBAL__N_124unique_dim_cuda_templateIbEESt5tupleIJNSA_6TensorESF_SF_EERKSF_lbbbEUlllE_EE10hipError_tT0_T1_T2_jT3_P12ihipStream_tbPNSt15iterator_traitsISL_E10value_typeEPNSR_ISM_E10value_typeEPSN_NS1_7vsmem_tEENKUlT_SL_SM_SN_E_clIS8_S8_S9_S9_EESK_S10_SL_SM_SN_EUlS10_E_NS1_11comp_targetILNS1_3genE8ELNS1_11target_archE1030ELNS1_3gpuE2ELNS1_3repE0EEENS1_48merge_mergepath_partition_config_static_selectorELNS0_4arch9wavefront6targetE1EEEvSM_
	.p2align	8
	.type	_ZN7rocprim17ROCPRIM_400000_NS6detail17trampoline_kernelINS0_14default_configENS1_38merge_sort_block_merge_config_selectorIlNS0_10empty_typeEEEZZNS1_27merge_sort_block_merge_implIS3_PlPS5_mZN2at6native12_GLOBAL__N_124unique_dim_cuda_templateIbEESt5tupleIJNSA_6TensorESF_SF_EERKSF_lbbbEUlllE_EE10hipError_tT0_T1_T2_jT3_P12ihipStream_tbPNSt15iterator_traitsISL_E10value_typeEPNSR_ISM_E10value_typeEPSN_NS1_7vsmem_tEENKUlT_SL_SM_SN_E_clIS8_S8_S9_S9_EESK_S10_SL_SM_SN_EUlS10_E_NS1_11comp_targetILNS1_3genE8ELNS1_11target_archE1030ELNS1_3gpuE2ELNS1_3repE0EEENS1_48merge_mergepath_partition_config_static_selectorELNS0_4arch9wavefront6targetE1EEEvSM_,@function
_ZN7rocprim17ROCPRIM_400000_NS6detail17trampoline_kernelINS0_14default_configENS1_38merge_sort_block_merge_config_selectorIlNS0_10empty_typeEEEZZNS1_27merge_sort_block_merge_implIS3_PlPS5_mZN2at6native12_GLOBAL__N_124unique_dim_cuda_templateIbEESt5tupleIJNSA_6TensorESF_SF_EERKSF_lbbbEUlllE_EE10hipError_tT0_T1_T2_jT3_P12ihipStream_tbPNSt15iterator_traitsISL_E10value_typeEPNSR_ISM_E10value_typeEPSN_NS1_7vsmem_tEENKUlT_SL_SM_SN_E_clIS8_S8_S9_S9_EESK_S10_SL_SM_SN_EUlS10_E_NS1_11comp_targetILNS1_3genE8ELNS1_11target_archE1030ELNS1_3gpuE2ELNS1_3repE0EEENS1_48merge_mergepath_partition_config_static_selectorELNS0_4arch9wavefront6targetE1EEEvSM_: ; @_ZN7rocprim17ROCPRIM_400000_NS6detail17trampoline_kernelINS0_14default_configENS1_38merge_sort_block_merge_config_selectorIlNS0_10empty_typeEEEZZNS1_27merge_sort_block_merge_implIS3_PlPS5_mZN2at6native12_GLOBAL__N_124unique_dim_cuda_templateIbEESt5tupleIJNSA_6TensorESF_SF_EERKSF_lbbbEUlllE_EE10hipError_tT0_T1_T2_jT3_P12ihipStream_tbPNSt15iterator_traitsISL_E10value_typeEPNSR_ISM_E10value_typeEPSN_NS1_7vsmem_tEENKUlT_SL_SM_SN_E_clIS8_S8_S9_S9_EESK_S10_SL_SM_SN_EUlS10_E_NS1_11comp_targetILNS1_3genE8ELNS1_11target_archE1030ELNS1_3gpuE2ELNS1_3repE0EEENS1_48merge_mergepath_partition_config_static_selectorELNS0_4arch9wavefront6targetE1EEEvSM_
; %bb.0:
	.section	.rodata,"a",@progbits
	.p2align	6, 0x0
	.amdhsa_kernel _ZN7rocprim17ROCPRIM_400000_NS6detail17trampoline_kernelINS0_14default_configENS1_38merge_sort_block_merge_config_selectorIlNS0_10empty_typeEEEZZNS1_27merge_sort_block_merge_implIS3_PlPS5_mZN2at6native12_GLOBAL__N_124unique_dim_cuda_templateIbEESt5tupleIJNSA_6TensorESF_SF_EERKSF_lbbbEUlllE_EE10hipError_tT0_T1_T2_jT3_P12ihipStream_tbPNSt15iterator_traitsISL_E10value_typeEPNSR_ISM_E10value_typeEPSN_NS1_7vsmem_tEENKUlT_SL_SM_SN_E_clIS8_S8_S9_S9_EESK_S10_SL_SM_SN_EUlS10_E_NS1_11comp_targetILNS1_3genE8ELNS1_11target_archE1030ELNS1_3gpuE2ELNS1_3repE0EEENS1_48merge_mergepath_partition_config_static_selectorELNS0_4arch9wavefront6targetE1EEEvSM_
		.amdhsa_group_segment_fixed_size 0
		.amdhsa_private_segment_fixed_size 0
		.amdhsa_kernarg_size 56
		.amdhsa_user_sgpr_count 6
		.amdhsa_user_sgpr_private_segment_buffer 1
		.amdhsa_user_sgpr_dispatch_ptr 0
		.amdhsa_user_sgpr_queue_ptr 0
		.amdhsa_user_sgpr_kernarg_segment_ptr 1
		.amdhsa_user_sgpr_dispatch_id 0
		.amdhsa_user_sgpr_flat_scratch_init 0
		.amdhsa_user_sgpr_kernarg_preload_length 0
		.amdhsa_user_sgpr_kernarg_preload_offset 0
		.amdhsa_user_sgpr_private_segment_size 0
		.amdhsa_uses_dynamic_stack 0
		.amdhsa_system_sgpr_private_segment_wavefront_offset 0
		.amdhsa_system_sgpr_workgroup_id_x 1
		.amdhsa_system_sgpr_workgroup_id_y 0
		.amdhsa_system_sgpr_workgroup_id_z 0
		.amdhsa_system_sgpr_workgroup_info 0
		.amdhsa_system_vgpr_workitem_id 0
		.amdhsa_next_free_vgpr 1
		.amdhsa_next_free_sgpr 0
		.amdhsa_accum_offset 4
		.amdhsa_reserve_vcc 0
		.amdhsa_reserve_flat_scratch 0
		.amdhsa_float_round_mode_32 0
		.amdhsa_float_round_mode_16_64 0
		.amdhsa_float_denorm_mode_32 3
		.amdhsa_float_denorm_mode_16_64 3
		.amdhsa_dx10_clamp 1
		.amdhsa_ieee_mode 1
		.amdhsa_fp16_overflow 0
		.amdhsa_tg_split 0
		.amdhsa_exception_fp_ieee_invalid_op 0
		.amdhsa_exception_fp_denorm_src 0
		.amdhsa_exception_fp_ieee_div_zero 0
		.amdhsa_exception_fp_ieee_overflow 0
		.amdhsa_exception_fp_ieee_underflow 0
		.amdhsa_exception_fp_ieee_inexact 0
		.amdhsa_exception_int_div_zero 0
	.end_amdhsa_kernel
	.section	.text._ZN7rocprim17ROCPRIM_400000_NS6detail17trampoline_kernelINS0_14default_configENS1_38merge_sort_block_merge_config_selectorIlNS0_10empty_typeEEEZZNS1_27merge_sort_block_merge_implIS3_PlPS5_mZN2at6native12_GLOBAL__N_124unique_dim_cuda_templateIbEESt5tupleIJNSA_6TensorESF_SF_EERKSF_lbbbEUlllE_EE10hipError_tT0_T1_T2_jT3_P12ihipStream_tbPNSt15iterator_traitsISL_E10value_typeEPNSR_ISM_E10value_typeEPSN_NS1_7vsmem_tEENKUlT_SL_SM_SN_E_clIS8_S8_S9_S9_EESK_S10_SL_SM_SN_EUlS10_E_NS1_11comp_targetILNS1_3genE8ELNS1_11target_archE1030ELNS1_3gpuE2ELNS1_3repE0EEENS1_48merge_mergepath_partition_config_static_selectorELNS0_4arch9wavefront6targetE1EEEvSM_,"axG",@progbits,_ZN7rocprim17ROCPRIM_400000_NS6detail17trampoline_kernelINS0_14default_configENS1_38merge_sort_block_merge_config_selectorIlNS0_10empty_typeEEEZZNS1_27merge_sort_block_merge_implIS3_PlPS5_mZN2at6native12_GLOBAL__N_124unique_dim_cuda_templateIbEESt5tupleIJNSA_6TensorESF_SF_EERKSF_lbbbEUlllE_EE10hipError_tT0_T1_T2_jT3_P12ihipStream_tbPNSt15iterator_traitsISL_E10value_typeEPNSR_ISM_E10value_typeEPSN_NS1_7vsmem_tEENKUlT_SL_SM_SN_E_clIS8_S8_S9_S9_EESK_S10_SL_SM_SN_EUlS10_E_NS1_11comp_targetILNS1_3genE8ELNS1_11target_archE1030ELNS1_3gpuE2ELNS1_3repE0EEENS1_48merge_mergepath_partition_config_static_selectorELNS0_4arch9wavefront6targetE1EEEvSM_,comdat
.Lfunc_end1009:
	.size	_ZN7rocprim17ROCPRIM_400000_NS6detail17trampoline_kernelINS0_14default_configENS1_38merge_sort_block_merge_config_selectorIlNS0_10empty_typeEEEZZNS1_27merge_sort_block_merge_implIS3_PlPS5_mZN2at6native12_GLOBAL__N_124unique_dim_cuda_templateIbEESt5tupleIJNSA_6TensorESF_SF_EERKSF_lbbbEUlllE_EE10hipError_tT0_T1_T2_jT3_P12ihipStream_tbPNSt15iterator_traitsISL_E10value_typeEPNSR_ISM_E10value_typeEPSN_NS1_7vsmem_tEENKUlT_SL_SM_SN_E_clIS8_S8_S9_S9_EESK_S10_SL_SM_SN_EUlS10_E_NS1_11comp_targetILNS1_3genE8ELNS1_11target_archE1030ELNS1_3gpuE2ELNS1_3repE0EEENS1_48merge_mergepath_partition_config_static_selectorELNS0_4arch9wavefront6targetE1EEEvSM_, .Lfunc_end1009-_ZN7rocprim17ROCPRIM_400000_NS6detail17trampoline_kernelINS0_14default_configENS1_38merge_sort_block_merge_config_selectorIlNS0_10empty_typeEEEZZNS1_27merge_sort_block_merge_implIS3_PlPS5_mZN2at6native12_GLOBAL__N_124unique_dim_cuda_templateIbEESt5tupleIJNSA_6TensorESF_SF_EERKSF_lbbbEUlllE_EE10hipError_tT0_T1_T2_jT3_P12ihipStream_tbPNSt15iterator_traitsISL_E10value_typeEPNSR_ISM_E10value_typeEPSN_NS1_7vsmem_tEENKUlT_SL_SM_SN_E_clIS8_S8_S9_S9_EESK_S10_SL_SM_SN_EUlS10_E_NS1_11comp_targetILNS1_3genE8ELNS1_11target_archE1030ELNS1_3gpuE2ELNS1_3repE0EEENS1_48merge_mergepath_partition_config_static_selectorELNS0_4arch9wavefront6targetE1EEEvSM_
                                        ; -- End function
	.section	.AMDGPU.csdata,"",@progbits
; Kernel info:
; codeLenInByte = 0
; NumSgprs: 4
; NumVgprs: 0
; NumAgprs: 0
; TotalNumVgprs: 0
; ScratchSize: 0
; MemoryBound: 0
; FloatMode: 240
; IeeeMode: 1
; LDSByteSize: 0 bytes/workgroup (compile time only)
; SGPRBlocks: 0
; VGPRBlocks: 0
; NumSGPRsForWavesPerEU: 4
; NumVGPRsForWavesPerEU: 1
; AccumOffset: 4
; Occupancy: 8
; WaveLimiterHint : 0
; COMPUTE_PGM_RSRC2:SCRATCH_EN: 0
; COMPUTE_PGM_RSRC2:USER_SGPR: 6
; COMPUTE_PGM_RSRC2:TRAP_HANDLER: 0
; COMPUTE_PGM_RSRC2:TGID_X_EN: 1
; COMPUTE_PGM_RSRC2:TGID_Y_EN: 0
; COMPUTE_PGM_RSRC2:TGID_Z_EN: 0
; COMPUTE_PGM_RSRC2:TIDIG_COMP_CNT: 0
; COMPUTE_PGM_RSRC3_GFX90A:ACCUM_OFFSET: 0
; COMPUTE_PGM_RSRC3_GFX90A:TG_SPLIT: 0
	.section	.text._ZN7rocprim17ROCPRIM_400000_NS6detail17trampoline_kernelINS0_14default_configENS1_38merge_sort_block_merge_config_selectorIlNS0_10empty_typeEEEZZNS1_27merge_sort_block_merge_implIS3_PlPS5_mZN2at6native12_GLOBAL__N_124unique_dim_cuda_templateIbEESt5tupleIJNSA_6TensorESF_SF_EERKSF_lbbbEUlllE_EE10hipError_tT0_T1_T2_jT3_P12ihipStream_tbPNSt15iterator_traitsISL_E10value_typeEPNSR_ISM_E10value_typeEPSN_NS1_7vsmem_tEENKUlT_SL_SM_SN_E_clIS8_S8_S9_S9_EESK_S10_SL_SM_SN_EUlS10_E0_NS1_11comp_targetILNS1_3genE0ELNS1_11target_archE4294967295ELNS1_3gpuE0ELNS1_3repE0EEENS1_38merge_mergepath_config_static_selectorELNS0_4arch9wavefront6targetE1EEEvSM_,"axG",@progbits,_ZN7rocprim17ROCPRIM_400000_NS6detail17trampoline_kernelINS0_14default_configENS1_38merge_sort_block_merge_config_selectorIlNS0_10empty_typeEEEZZNS1_27merge_sort_block_merge_implIS3_PlPS5_mZN2at6native12_GLOBAL__N_124unique_dim_cuda_templateIbEESt5tupleIJNSA_6TensorESF_SF_EERKSF_lbbbEUlllE_EE10hipError_tT0_T1_T2_jT3_P12ihipStream_tbPNSt15iterator_traitsISL_E10value_typeEPNSR_ISM_E10value_typeEPSN_NS1_7vsmem_tEENKUlT_SL_SM_SN_E_clIS8_S8_S9_S9_EESK_S10_SL_SM_SN_EUlS10_E0_NS1_11comp_targetILNS1_3genE0ELNS1_11target_archE4294967295ELNS1_3gpuE0ELNS1_3repE0EEENS1_38merge_mergepath_config_static_selectorELNS0_4arch9wavefront6targetE1EEEvSM_,comdat
	.globl	_ZN7rocprim17ROCPRIM_400000_NS6detail17trampoline_kernelINS0_14default_configENS1_38merge_sort_block_merge_config_selectorIlNS0_10empty_typeEEEZZNS1_27merge_sort_block_merge_implIS3_PlPS5_mZN2at6native12_GLOBAL__N_124unique_dim_cuda_templateIbEESt5tupleIJNSA_6TensorESF_SF_EERKSF_lbbbEUlllE_EE10hipError_tT0_T1_T2_jT3_P12ihipStream_tbPNSt15iterator_traitsISL_E10value_typeEPNSR_ISM_E10value_typeEPSN_NS1_7vsmem_tEENKUlT_SL_SM_SN_E_clIS8_S8_S9_S9_EESK_S10_SL_SM_SN_EUlS10_E0_NS1_11comp_targetILNS1_3genE0ELNS1_11target_archE4294967295ELNS1_3gpuE0ELNS1_3repE0EEENS1_38merge_mergepath_config_static_selectorELNS0_4arch9wavefront6targetE1EEEvSM_ ; -- Begin function _ZN7rocprim17ROCPRIM_400000_NS6detail17trampoline_kernelINS0_14default_configENS1_38merge_sort_block_merge_config_selectorIlNS0_10empty_typeEEEZZNS1_27merge_sort_block_merge_implIS3_PlPS5_mZN2at6native12_GLOBAL__N_124unique_dim_cuda_templateIbEESt5tupleIJNSA_6TensorESF_SF_EERKSF_lbbbEUlllE_EE10hipError_tT0_T1_T2_jT3_P12ihipStream_tbPNSt15iterator_traitsISL_E10value_typeEPNSR_ISM_E10value_typeEPSN_NS1_7vsmem_tEENKUlT_SL_SM_SN_E_clIS8_S8_S9_S9_EESK_S10_SL_SM_SN_EUlS10_E0_NS1_11comp_targetILNS1_3genE0ELNS1_11target_archE4294967295ELNS1_3gpuE0ELNS1_3repE0EEENS1_38merge_mergepath_config_static_selectorELNS0_4arch9wavefront6targetE1EEEvSM_
	.p2align	8
	.type	_ZN7rocprim17ROCPRIM_400000_NS6detail17trampoline_kernelINS0_14default_configENS1_38merge_sort_block_merge_config_selectorIlNS0_10empty_typeEEEZZNS1_27merge_sort_block_merge_implIS3_PlPS5_mZN2at6native12_GLOBAL__N_124unique_dim_cuda_templateIbEESt5tupleIJNSA_6TensorESF_SF_EERKSF_lbbbEUlllE_EE10hipError_tT0_T1_T2_jT3_P12ihipStream_tbPNSt15iterator_traitsISL_E10value_typeEPNSR_ISM_E10value_typeEPSN_NS1_7vsmem_tEENKUlT_SL_SM_SN_E_clIS8_S8_S9_S9_EESK_S10_SL_SM_SN_EUlS10_E0_NS1_11comp_targetILNS1_3genE0ELNS1_11target_archE4294967295ELNS1_3gpuE0ELNS1_3repE0EEENS1_38merge_mergepath_config_static_selectorELNS0_4arch9wavefront6targetE1EEEvSM_,@function
_ZN7rocprim17ROCPRIM_400000_NS6detail17trampoline_kernelINS0_14default_configENS1_38merge_sort_block_merge_config_selectorIlNS0_10empty_typeEEEZZNS1_27merge_sort_block_merge_implIS3_PlPS5_mZN2at6native12_GLOBAL__N_124unique_dim_cuda_templateIbEESt5tupleIJNSA_6TensorESF_SF_EERKSF_lbbbEUlllE_EE10hipError_tT0_T1_T2_jT3_P12ihipStream_tbPNSt15iterator_traitsISL_E10value_typeEPNSR_ISM_E10value_typeEPSN_NS1_7vsmem_tEENKUlT_SL_SM_SN_E_clIS8_S8_S9_S9_EESK_S10_SL_SM_SN_EUlS10_E0_NS1_11comp_targetILNS1_3genE0ELNS1_11target_archE4294967295ELNS1_3gpuE0ELNS1_3repE0EEENS1_38merge_mergepath_config_static_selectorELNS0_4arch9wavefront6targetE1EEEvSM_: ; @_ZN7rocprim17ROCPRIM_400000_NS6detail17trampoline_kernelINS0_14default_configENS1_38merge_sort_block_merge_config_selectorIlNS0_10empty_typeEEEZZNS1_27merge_sort_block_merge_implIS3_PlPS5_mZN2at6native12_GLOBAL__N_124unique_dim_cuda_templateIbEESt5tupleIJNSA_6TensorESF_SF_EERKSF_lbbbEUlllE_EE10hipError_tT0_T1_T2_jT3_P12ihipStream_tbPNSt15iterator_traitsISL_E10value_typeEPNSR_ISM_E10value_typeEPSN_NS1_7vsmem_tEENKUlT_SL_SM_SN_E_clIS8_S8_S9_S9_EESK_S10_SL_SM_SN_EUlS10_E0_NS1_11comp_targetILNS1_3genE0ELNS1_11target_archE4294967295ELNS1_3gpuE0ELNS1_3repE0EEENS1_38merge_mergepath_config_static_selectorELNS0_4arch9wavefront6targetE1EEEvSM_
; %bb.0:
	.section	.rodata,"a",@progbits
	.p2align	6, 0x0
	.amdhsa_kernel _ZN7rocprim17ROCPRIM_400000_NS6detail17trampoline_kernelINS0_14default_configENS1_38merge_sort_block_merge_config_selectorIlNS0_10empty_typeEEEZZNS1_27merge_sort_block_merge_implIS3_PlPS5_mZN2at6native12_GLOBAL__N_124unique_dim_cuda_templateIbEESt5tupleIJNSA_6TensorESF_SF_EERKSF_lbbbEUlllE_EE10hipError_tT0_T1_T2_jT3_P12ihipStream_tbPNSt15iterator_traitsISL_E10value_typeEPNSR_ISM_E10value_typeEPSN_NS1_7vsmem_tEENKUlT_SL_SM_SN_E_clIS8_S8_S9_S9_EESK_S10_SL_SM_SN_EUlS10_E0_NS1_11comp_targetILNS1_3genE0ELNS1_11target_archE4294967295ELNS1_3gpuE0ELNS1_3repE0EEENS1_38merge_mergepath_config_static_selectorELNS0_4arch9wavefront6targetE1EEEvSM_
		.amdhsa_group_segment_fixed_size 0
		.amdhsa_private_segment_fixed_size 0
		.amdhsa_kernarg_size 88
		.amdhsa_user_sgpr_count 6
		.amdhsa_user_sgpr_private_segment_buffer 1
		.amdhsa_user_sgpr_dispatch_ptr 0
		.amdhsa_user_sgpr_queue_ptr 0
		.amdhsa_user_sgpr_kernarg_segment_ptr 1
		.amdhsa_user_sgpr_dispatch_id 0
		.amdhsa_user_sgpr_flat_scratch_init 0
		.amdhsa_user_sgpr_kernarg_preload_length 0
		.amdhsa_user_sgpr_kernarg_preload_offset 0
		.amdhsa_user_sgpr_private_segment_size 0
		.amdhsa_uses_dynamic_stack 0
		.amdhsa_system_sgpr_private_segment_wavefront_offset 0
		.amdhsa_system_sgpr_workgroup_id_x 1
		.amdhsa_system_sgpr_workgroup_id_y 0
		.amdhsa_system_sgpr_workgroup_id_z 0
		.amdhsa_system_sgpr_workgroup_info 0
		.amdhsa_system_vgpr_workitem_id 0
		.amdhsa_next_free_vgpr 1
		.amdhsa_next_free_sgpr 0
		.amdhsa_accum_offset 4
		.amdhsa_reserve_vcc 0
		.amdhsa_reserve_flat_scratch 0
		.amdhsa_float_round_mode_32 0
		.amdhsa_float_round_mode_16_64 0
		.amdhsa_float_denorm_mode_32 3
		.amdhsa_float_denorm_mode_16_64 3
		.amdhsa_dx10_clamp 1
		.amdhsa_ieee_mode 1
		.amdhsa_fp16_overflow 0
		.amdhsa_tg_split 0
		.amdhsa_exception_fp_ieee_invalid_op 0
		.amdhsa_exception_fp_denorm_src 0
		.amdhsa_exception_fp_ieee_div_zero 0
		.amdhsa_exception_fp_ieee_overflow 0
		.amdhsa_exception_fp_ieee_underflow 0
		.amdhsa_exception_fp_ieee_inexact 0
		.amdhsa_exception_int_div_zero 0
	.end_amdhsa_kernel
	.section	.text._ZN7rocprim17ROCPRIM_400000_NS6detail17trampoline_kernelINS0_14default_configENS1_38merge_sort_block_merge_config_selectorIlNS0_10empty_typeEEEZZNS1_27merge_sort_block_merge_implIS3_PlPS5_mZN2at6native12_GLOBAL__N_124unique_dim_cuda_templateIbEESt5tupleIJNSA_6TensorESF_SF_EERKSF_lbbbEUlllE_EE10hipError_tT0_T1_T2_jT3_P12ihipStream_tbPNSt15iterator_traitsISL_E10value_typeEPNSR_ISM_E10value_typeEPSN_NS1_7vsmem_tEENKUlT_SL_SM_SN_E_clIS8_S8_S9_S9_EESK_S10_SL_SM_SN_EUlS10_E0_NS1_11comp_targetILNS1_3genE0ELNS1_11target_archE4294967295ELNS1_3gpuE0ELNS1_3repE0EEENS1_38merge_mergepath_config_static_selectorELNS0_4arch9wavefront6targetE1EEEvSM_,"axG",@progbits,_ZN7rocprim17ROCPRIM_400000_NS6detail17trampoline_kernelINS0_14default_configENS1_38merge_sort_block_merge_config_selectorIlNS0_10empty_typeEEEZZNS1_27merge_sort_block_merge_implIS3_PlPS5_mZN2at6native12_GLOBAL__N_124unique_dim_cuda_templateIbEESt5tupleIJNSA_6TensorESF_SF_EERKSF_lbbbEUlllE_EE10hipError_tT0_T1_T2_jT3_P12ihipStream_tbPNSt15iterator_traitsISL_E10value_typeEPNSR_ISM_E10value_typeEPSN_NS1_7vsmem_tEENKUlT_SL_SM_SN_E_clIS8_S8_S9_S9_EESK_S10_SL_SM_SN_EUlS10_E0_NS1_11comp_targetILNS1_3genE0ELNS1_11target_archE4294967295ELNS1_3gpuE0ELNS1_3repE0EEENS1_38merge_mergepath_config_static_selectorELNS0_4arch9wavefront6targetE1EEEvSM_,comdat
.Lfunc_end1010:
	.size	_ZN7rocprim17ROCPRIM_400000_NS6detail17trampoline_kernelINS0_14default_configENS1_38merge_sort_block_merge_config_selectorIlNS0_10empty_typeEEEZZNS1_27merge_sort_block_merge_implIS3_PlPS5_mZN2at6native12_GLOBAL__N_124unique_dim_cuda_templateIbEESt5tupleIJNSA_6TensorESF_SF_EERKSF_lbbbEUlllE_EE10hipError_tT0_T1_T2_jT3_P12ihipStream_tbPNSt15iterator_traitsISL_E10value_typeEPNSR_ISM_E10value_typeEPSN_NS1_7vsmem_tEENKUlT_SL_SM_SN_E_clIS8_S8_S9_S9_EESK_S10_SL_SM_SN_EUlS10_E0_NS1_11comp_targetILNS1_3genE0ELNS1_11target_archE4294967295ELNS1_3gpuE0ELNS1_3repE0EEENS1_38merge_mergepath_config_static_selectorELNS0_4arch9wavefront6targetE1EEEvSM_, .Lfunc_end1010-_ZN7rocprim17ROCPRIM_400000_NS6detail17trampoline_kernelINS0_14default_configENS1_38merge_sort_block_merge_config_selectorIlNS0_10empty_typeEEEZZNS1_27merge_sort_block_merge_implIS3_PlPS5_mZN2at6native12_GLOBAL__N_124unique_dim_cuda_templateIbEESt5tupleIJNSA_6TensorESF_SF_EERKSF_lbbbEUlllE_EE10hipError_tT0_T1_T2_jT3_P12ihipStream_tbPNSt15iterator_traitsISL_E10value_typeEPNSR_ISM_E10value_typeEPSN_NS1_7vsmem_tEENKUlT_SL_SM_SN_E_clIS8_S8_S9_S9_EESK_S10_SL_SM_SN_EUlS10_E0_NS1_11comp_targetILNS1_3genE0ELNS1_11target_archE4294967295ELNS1_3gpuE0ELNS1_3repE0EEENS1_38merge_mergepath_config_static_selectorELNS0_4arch9wavefront6targetE1EEEvSM_
                                        ; -- End function
	.section	.AMDGPU.csdata,"",@progbits
; Kernel info:
; codeLenInByte = 0
; NumSgprs: 4
; NumVgprs: 0
; NumAgprs: 0
; TotalNumVgprs: 0
; ScratchSize: 0
; MemoryBound: 0
; FloatMode: 240
; IeeeMode: 1
; LDSByteSize: 0 bytes/workgroup (compile time only)
; SGPRBlocks: 0
; VGPRBlocks: 0
; NumSGPRsForWavesPerEU: 4
; NumVGPRsForWavesPerEU: 1
; AccumOffset: 4
; Occupancy: 8
; WaveLimiterHint : 0
; COMPUTE_PGM_RSRC2:SCRATCH_EN: 0
; COMPUTE_PGM_RSRC2:USER_SGPR: 6
; COMPUTE_PGM_RSRC2:TRAP_HANDLER: 0
; COMPUTE_PGM_RSRC2:TGID_X_EN: 1
; COMPUTE_PGM_RSRC2:TGID_Y_EN: 0
; COMPUTE_PGM_RSRC2:TGID_Z_EN: 0
; COMPUTE_PGM_RSRC2:TIDIG_COMP_CNT: 0
; COMPUTE_PGM_RSRC3_GFX90A:ACCUM_OFFSET: 0
; COMPUTE_PGM_RSRC3_GFX90A:TG_SPLIT: 0
	.section	.text._ZN7rocprim17ROCPRIM_400000_NS6detail17trampoline_kernelINS0_14default_configENS1_38merge_sort_block_merge_config_selectorIlNS0_10empty_typeEEEZZNS1_27merge_sort_block_merge_implIS3_PlPS5_mZN2at6native12_GLOBAL__N_124unique_dim_cuda_templateIbEESt5tupleIJNSA_6TensorESF_SF_EERKSF_lbbbEUlllE_EE10hipError_tT0_T1_T2_jT3_P12ihipStream_tbPNSt15iterator_traitsISL_E10value_typeEPNSR_ISM_E10value_typeEPSN_NS1_7vsmem_tEENKUlT_SL_SM_SN_E_clIS8_S8_S9_S9_EESK_S10_SL_SM_SN_EUlS10_E0_NS1_11comp_targetILNS1_3genE10ELNS1_11target_archE1201ELNS1_3gpuE5ELNS1_3repE0EEENS1_38merge_mergepath_config_static_selectorELNS0_4arch9wavefront6targetE1EEEvSM_,"axG",@progbits,_ZN7rocprim17ROCPRIM_400000_NS6detail17trampoline_kernelINS0_14default_configENS1_38merge_sort_block_merge_config_selectorIlNS0_10empty_typeEEEZZNS1_27merge_sort_block_merge_implIS3_PlPS5_mZN2at6native12_GLOBAL__N_124unique_dim_cuda_templateIbEESt5tupleIJNSA_6TensorESF_SF_EERKSF_lbbbEUlllE_EE10hipError_tT0_T1_T2_jT3_P12ihipStream_tbPNSt15iterator_traitsISL_E10value_typeEPNSR_ISM_E10value_typeEPSN_NS1_7vsmem_tEENKUlT_SL_SM_SN_E_clIS8_S8_S9_S9_EESK_S10_SL_SM_SN_EUlS10_E0_NS1_11comp_targetILNS1_3genE10ELNS1_11target_archE1201ELNS1_3gpuE5ELNS1_3repE0EEENS1_38merge_mergepath_config_static_selectorELNS0_4arch9wavefront6targetE1EEEvSM_,comdat
	.globl	_ZN7rocprim17ROCPRIM_400000_NS6detail17trampoline_kernelINS0_14default_configENS1_38merge_sort_block_merge_config_selectorIlNS0_10empty_typeEEEZZNS1_27merge_sort_block_merge_implIS3_PlPS5_mZN2at6native12_GLOBAL__N_124unique_dim_cuda_templateIbEESt5tupleIJNSA_6TensorESF_SF_EERKSF_lbbbEUlllE_EE10hipError_tT0_T1_T2_jT3_P12ihipStream_tbPNSt15iterator_traitsISL_E10value_typeEPNSR_ISM_E10value_typeEPSN_NS1_7vsmem_tEENKUlT_SL_SM_SN_E_clIS8_S8_S9_S9_EESK_S10_SL_SM_SN_EUlS10_E0_NS1_11comp_targetILNS1_3genE10ELNS1_11target_archE1201ELNS1_3gpuE5ELNS1_3repE0EEENS1_38merge_mergepath_config_static_selectorELNS0_4arch9wavefront6targetE1EEEvSM_ ; -- Begin function _ZN7rocprim17ROCPRIM_400000_NS6detail17trampoline_kernelINS0_14default_configENS1_38merge_sort_block_merge_config_selectorIlNS0_10empty_typeEEEZZNS1_27merge_sort_block_merge_implIS3_PlPS5_mZN2at6native12_GLOBAL__N_124unique_dim_cuda_templateIbEESt5tupleIJNSA_6TensorESF_SF_EERKSF_lbbbEUlllE_EE10hipError_tT0_T1_T2_jT3_P12ihipStream_tbPNSt15iterator_traitsISL_E10value_typeEPNSR_ISM_E10value_typeEPSN_NS1_7vsmem_tEENKUlT_SL_SM_SN_E_clIS8_S8_S9_S9_EESK_S10_SL_SM_SN_EUlS10_E0_NS1_11comp_targetILNS1_3genE10ELNS1_11target_archE1201ELNS1_3gpuE5ELNS1_3repE0EEENS1_38merge_mergepath_config_static_selectorELNS0_4arch9wavefront6targetE1EEEvSM_
	.p2align	8
	.type	_ZN7rocprim17ROCPRIM_400000_NS6detail17trampoline_kernelINS0_14default_configENS1_38merge_sort_block_merge_config_selectorIlNS0_10empty_typeEEEZZNS1_27merge_sort_block_merge_implIS3_PlPS5_mZN2at6native12_GLOBAL__N_124unique_dim_cuda_templateIbEESt5tupleIJNSA_6TensorESF_SF_EERKSF_lbbbEUlllE_EE10hipError_tT0_T1_T2_jT3_P12ihipStream_tbPNSt15iterator_traitsISL_E10value_typeEPNSR_ISM_E10value_typeEPSN_NS1_7vsmem_tEENKUlT_SL_SM_SN_E_clIS8_S8_S9_S9_EESK_S10_SL_SM_SN_EUlS10_E0_NS1_11comp_targetILNS1_3genE10ELNS1_11target_archE1201ELNS1_3gpuE5ELNS1_3repE0EEENS1_38merge_mergepath_config_static_selectorELNS0_4arch9wavefront6targetE1EEEvSM_,@function
_ZN7rocprim17ROCPRIM_400000_NS6detail17trampoline_kernelINS0_14default_configENS1_38merge_sort_block_merge_config_selectorIlNS0_10empty_typeEEEZZNS1_27merge_sort_block_merge_implIS3_PlPS5_mZN2at6native12_GLOBAL__N_124unique_dim_cuda_templateIbEESt5tupleIJNSA_6TensorESF_SF_EERKSF_lbbbEUlllE_EE10hipError_tT0_T1_T2_jT3_P12ihipStream_tbPNSt15iterator_traitsISL_E10value_typeEPNSR_ISM_E10value_typeEPSN_NS1_7vsmem_tEENKUlT_SL_SM_SN_E_clIS8_S8_S9_S9_EESK_S10_SL_SM_SN_EUlS10_E0_NS1_11comp_targetILNS1_3genE10ELNS1_11target_archE1201ELNS1_3gpuE5ELNS1_3repE0EEENS1_38merge_mergepath_config_static_selectorELNS0_4arch9wavefront6targetE1EEEvSM_: ; @_ZN7rocprim17ROCPRIM_400000_NS6detail17trampoline_kernelINS0_14default_configENS1_38merge_sort_block_merge_config_selectorIlNS0_10empty_typeEEEZZNS1_27merge_sort_block_merge_implIS3_PlPS5_mZN2at6native12_GLOBAL__N_124unique_dim_cuda_templateIbEESt5tupleIJNSA_6TensorESF_SF_EERKSF_lbbbEUlllE_EE10hipError_tT0_T1_T2_jT3_P12ihipStream_tbPNSt15iterator_traitsISL_E10value_typeEPNSR_ISM_E10value_typeEPSN_NS1_7vsmem_tEENKUlT_SL_SM_SN_E_clIS8_S8_S9_S9_EESK_S10_SL_SM_SN_EUlS10_E0_NS1_11comp_targetILNS1_3genE10ELNS1_11target_archE1201ELNS1_3gpuE5ELNS1_3repE0EEENS1_38merge_mergepath_config_static_selectorELNS0_4arch9wavefront6targetE1EEEvSM_
; %bb.0:
	.section	.rodata,"a",@progbits
	.p2align	6, 0x0
	.amdhsa_kernel _ZN7rocprim17ROCPRIM_400000_NS6detail17trampoline_kernelINS0_14default_configENS1_38merge_sort_block_merge_config_selectorIlNS0_10empty_typeEEEZZNS1_27merge_sort_block_merge_implIS3_PlPS5_mZN2at6native12_GLOBAL__N_124unique_dim_cuda_templateIbEESt5tupleIJNSA_6TensorESF_SF_EERKSF_lbbbEUlllE_EE10hipError_tT0_T1_T2_jT3_P12ihipStream_tbPNSt15iterator_traitsISL_E10value_typeEPNSR_ISM_E10value_typeEPSN_NS1_7vsmem_tEENKUlT_SL_SM_SN_E_clIS8_S8_S9_S9_EESK_S10_SL_SM_SN_EUlS10_E0_NS1_11comp_targetILNS1_3genE10ELNS1_11target_archE1201ELNS1_3gpuE5ELNS1_3repE0EEENS1_38merge_mergepath_config_static_selectorELNS0_4arch9wavefront6targetE1EEEvSM_
		.amdhsa_group_segment_fixed_size 0
		.amdhsa_private_segment_fixed_size 0
		.amdhsa_kernarg_size 88
		.amdhsa_user_sgpr_count 6
		.amdhsa_user_sgpr_private_segment_buffer 1
		.amdhsa_user_sgpr_dispatch_ptr 0
		.amdhsa_user_sgpr_queue_ptr 0
		.amdhsa_user_sgpr_kernarg_segment_ptr 1
		.amdhsa_user_sgpr_dispatch_id 0
		.amdhsa_user_sgpr_flat_scratch_init 0
		.amdhsa_user_sgpr_kernarg_preload_length 0
		.amdhsa_user_sgpr_kernarg_preload_offset 0
		.amdhsa_user_sgpr_private_segment_size 0
		.amdhsa_uses_dynamic_stack 0
		.amdhsa_system_sgpr_private_segment_wavefront_offset 0
		.amdhsa_system_sgpr_workgroup_id_x 1
		.amdhsa_system_sgpr_workgroup_id_y 0
		.amdhsa_system_sgpr_workgroup_id_z 0
		.amdhsa_system_sgpr_workgroup_info 0
		.amdhsa_system_vgpr_workitem_id 0
		.amdhsa_next_free_vgpr 1
		.amdhsa_next_free_sgpr 0
		.amdhsa_accum_offset 4
		.amdhsa_reserve_vcc 0
		.amdhsa_reserve_flat_scratch 0
		.amdhsa_float_round_mode_32 0
		.amdhsa_float_round_mode_16_64 0
		.amdhsa_float_denorm_mode_32 3
		.amdhsa_float_denorm_mode_16_64 3
		.amdhsa_dx10_clamp 1
		.amdhsa_ieee_mode 1
		.amdhsa_fp16_overflow 0
		.amdhsa_tg_split 0
		.amdhsa_exception_fp_ieee_invalid_op 0
		.amdhsa_exception_fp_denorm_src 0
		.amdhsa_exception_fp_ieee_div_zero 0
		.amdhsa_exception_fp_ieee_overflow 0
		.amdhsa_exception_fp_ieee_underflow 0
		.amdhsa_exception_fp_ieee_inexact 0
		.amdhsa_exception_int_div_zero 0
	.end_amdhsa_kernel
	.section	.text._ZN7rocprim17ROCPRIM_400000_NS6detail17trampoline_kernelINS0_14default_configENS1_38merge_sort_block_merge_config_selectorIlNS0_10empty_typeEEEZZNS1_27merge_sort_block_merge_implIS3_PlPS5_mZN2at6native12_GLOBAL__N_124unique_dim_cuda_templateIbEESt5tupleIJNSA_6TensorESF_SF_EERKSF_lbbbEUlllE_EE10hipError_tT0_T1_T2_jT3_P12ihipStream_tbPNSt15iterator_traitsISL_E10value_typeEPNSR_ISM_E10value_typeEPSN_NS1_7vsmem_tEENKUlT_SL_SM_SN_E_clIS8_S8_S9_S9_EESK_S10_SL_SM_SN_EUlS10_E0_NS1_11comp_targetILNS1_3genE10ELNS1_11target_archE1201ELNS1_3gpuE5ELNS1_3repE0EEENS1_38merge_mergepath_config_static_selectorELNS0_4arch9wavefront6targetE1EEEvSM_,"axG",@progbits,_ZN7rocprim17ROCPRIM_400000_NS6detail17trampoline_kernelINS0_14default_configENS1_38merge_sort_block_merge_config_selectorIlNS0_10empty_typeEEEZZNS1_27merge_sort_block_merge_implIS3_PlPS5_mZN2at6native12_GLOBAL__N_124unique_dim_cuda_templateIbEESt5tupleIJNSA_6TensorESF_SF_EERKSF_lbbbEUlllE_EE10hipError_tT0_T1_T2_jT3_P12ihipStream_tbPNSt15iterator_traitsISL_E10value_typeEPNSR_ISM_E10value_typeEPSN_NS1_7vsmem_tEENKUlT_SL_SM_SN_E_clIS8_S8_S9_S9_EESK_S10_SL_SM_SN_EUlS10_E0_NS1_11comp_targetILNS1_3genE10ELNS1_11target_archE1201ELNS1_3gpuE5ELNS1_3repE0EEENS1_38merge_mergepath_config_static_selectorELNS0_4arch9wavefront6targetE1EEEvSM_,comdat
.Lfunc_end1011:
	.size	_ZN7rocprim17ROCPRIM_400000_NS6detail17trampoline_kernelINS0_14default_configENS1_38merge_sort_block_merge_config_selectorIlNS0_10empty_typeEEEZZNS1_27merge_sort_block_merge_implIS3_PlPS5_mZN2at6native12_GLOBAL__N_124unique_dim_cuda_templateIbEESt5tupleIJNSA_6TensorESF_SF_EERKSF_lbbbEUlllE_EE10hipError_tT0_T1_T2_jT3_P12ihipStream_tbPNSt15iterator_traitsISL_E10value_typeEPNSR_ISM_E10value_typeEPSN_NS1_7vsmem_tEENKUlT_SL_SM_SN_E_clIS8_S8_S9_S9_EESK_S10_SL_SM_SN_EUlS10_E0_NS1_11comp_targetILNS1_3genE10ELNS1_11target_archE1201ELNS1_3gpuE5ELNS1_3repE0EEENS1_38merge_mergepath_config_static_selectorELNS0_4arch9wavefront6targetE1EEEvSM_, .Lfunc_end1011-_ZN7rocprim17ROCPRIM_400000_NS6detail17trampoline_kernelINS0_14default_configENS1_38merge_sort_block_merge_config_selectorIlNS0_10empty_typeEEEZZNS1_27merge_sort_block_merge_implIS3_PlPS5_mZN2at6native12_GLOBAL__N_124unique_dim_cuda_templateIbEESt5tupleIJNSA_6TensorESF_SF_EERKSF_lbbbEUlllE_EE10hipError_tT0_T1_T2_jT3_P12ihipStream_tbPNSt15iterator_traitsISL_E10value_typeEPNSR_ISM_E10value_typeEPSN_NS1_7vsmem_tEENKUlT_SL_SM_SN_E_clIS8_S8_S9_S9_EESK_S10_SL_SM_SN_EUlS10_E0_NS1_11comp_targetILNS1_3genE10ELNS1_11target_archE1201ELNS1_3gpuE5ELNS1_3repE0EEENS1_38merge_mergepath_config_static_selectorELNS0_4arch9wavefront6targetE1EEEvSM_
                                        ; -- End function
	.section	.AMDGPU.csdata,"",@progbits
; Kernel info:
; codeLenInByte = 0
; NumSgprs: 4
; NumVgprs: 0
; NumAgprs: 0
; TotalNumVgprs: 0
; ScratchSize: 0
; MemoryBound: 0
; FloatMode: 240
; IeeeMode: 1
; LDSByteSize: 0 bytes/workgroup (compile time only)
; SGPRBlocks: 0
; VGPRBlocks: 0
; NumSGPRsForWavesPerEU: 4
; NumVGPRsForWavesPerEU: 1
; AccumOffset: 4
; Occupancy: 8
; WaveLimiterHint : 0
; COMPUTE_PGM_RSRC2:SCRATCH_EN: 0
; COMPUTE_PGM_RSRC2:USER_SGPR: 6
; COMPUTE_PGM_RSRC2:TRAP_HANDLER: 0
; COMPUTE_PGM_RSRC2:TGID_X_EN: 1
; COMPUTE_PGM_RSRC2:TGID_Y_EN: 0
; COMPUTE_PGM_RSRC2:TGID_Z_EN: 0
; COMPUTE_PGM_RSRC2:TIDIG_COMP_CNT: 0
; COMPUTE_PGM_RSRC3_GFX90A:ACCUM_OFFSET: 0
; COMPUTE_PGM_RSRC3_GFX90A:TG_SPLIT: 0
	.section	.text._ZN7rocprim17ROCPRIM_400000_NS6detail17trampoline_kernelINS0_14default_configENS1_38merge_sort_block_merge_config_selectorIlNS0_10empty_typeEEEZZNS1_27merge_sort_block_merge_implIS3_PlPS5_mZN2at6native12_GLOBAL__N_124unique_dim_cuda_templateIbEESt5tupleIJNSA_6TensorESF_SF_EERKSF_lbbbEUlllE_EE10hipError_tT0_T1_T2_jT3_P12ihipStream_tbPNSt15iterator_traitsISL_E10value_typeEPNSR_ISM_E10value_typeEPSN_NS1_7vsmem_tEENKUlT_SL_SM_SN_E_clIS8_S8_S9_S9_EESK_S10_SL_SM_SN_EUlS10_E0_NS1_11comp_targetILNS1_3genE5ELNS1_11target_archE942ELNS1_3gpuE9ELNS1_3repE0EEENS1_38merge_mergepath_config_static_selectorELNS0_4arch9wavefront6targetE1EEEvSM_,"axG",@progbits,_ZN7rocprim17ROCPRIM_400000_NS6detail17trampoline_kernelINS0_14default_configENS1_38merge_sort_block_merge_config_selectorIlNS0_10empty_typeEEEZZNS1_27merge_sort_block_merge_implIS3_PlPS5_mZN2at6native12_GLOBAL__N_124unique_dim_cuda_templateIbEESt5tupleIJNSA_6TensorESF_SF_EERKSF_lbbbEUlllE_EE10hipError_tT0_T1_T2_jT3_P12ihipStream_tbPNSt15iterator_traitsISL_E10value_typeEPNSR_ISM_E10value_typeEPSN_NS1_7vsmem_tEENKUlT_SL_SM_SN_E_clIS8_S8_S9_S9_EESK_S10_SL_SM_SN_EUlS10_E0_NS1_11comp_targetILNS1_3genE5ELNS1_11target_archE942ELNS1_3gpuE9ELNS1_3repE0EEENS1_38merge_mergepath_config_static_selectorELNS0_4arch9wavefront6targetE1EEEvSM_,comdat
	.globl	_ZN7rocprim17ROCPRIM_400000_NS6detail17trampoline_kernelINS0_14default_configENS1_38merge_sort_block_merge_config_selectorIlNS0_10empty_typeEEEZZNS1_27merge_sort_block_merge_implIS3_PlPS5_mZN2at6native12_GLOBAL__N_124unique_dim_cuda_templateIbEESt5tupleIJNSA_6TensorESF_SF_EERKSF_lbbbEUlllE_EE10hipError_tT0_T1_T2_jT3_P12ihipStream_tbPNSt15iterator_traitsISL_E10value_typeEPNSR_ISM_E10value_typeEPSN_NS1_7vsmem_tEENKUlT_SL_SM_SN_E_clIS8_S8_S9_S9_EESK_S10_SL_SM_SN_EUlS10_E0_NS1_11comp_targetILNS1_3genE5ELNS1_11target_archE942ELNS1_3gpuE9ELNS1_3repE0EEENS1_38merge_mergepath_config_static_selectorELNS0_4arch9wavefront6targetE1EEEvSM_ ; -- Begin function _ZN7rocprim17ROCPRIM_400000_NS6detail17trampoline_kernelINS0_14default_configENS1_38merge_sort_block_merge_config_selectorIlNS0_10empty_typeEEEZZNS1_27merge_sort_block_merge_implIS3_PlPS5_mZN2at6native12_GLOBAL__N_124unique_dim_cuda_templateIbEESt5tupleIJNSA_6TensorESF_SF_EERKSF_lbbbEUlllE_EE10hipError_tT0_T1_T2_jT3_P12ihipStream_tbPNSt15iterator_traitsISL_E10value_typeEPNSR_ISM_E10value_typeEPSN_NS1_7vsmem_tEENKUlT_SL_SM_SN_E_clIS8_S8_S9_S9_EESK_S10_SL_SM_SN_EUlS10_E0_NS1_11comp_targetILNS1_3genE5ELNS1_11target_archE942ELNS1_3gpuE9ELNS1_3repE0EEENS1_38merge_mergepath_config_static_selectorELNS0_4arch9wavefront6targetE1EEEvSM_
	.p2align	8
	.type	_ZN7rocprim17ROCPRIM_400000_NS6detail17trampoline_kernelINS0_14default_configENS1_38merge_sort_block_merge_config_selectorIlNS0_10empty_typeEEEZZNS1_27merge_sort_block_merge_implIS3_PlPS5_mZN2at6native12_GLOBAL__N_124unique_dim_cuda_templateIbEESt5tupleIJNSA_6TensorESF_SF_EERKSF_lbbbEUlllE_EE10hipError_tT0_T1_T2_jT3_P12ihipStream_tbPNSt15iterator_traitsISL_E10value_typeEPNSR_ISM_E10value_typeEPSN_NS1_7vsmem_tEENKUlT_SL_SM_SN_E_clIS8_S8_S9_S9_EESK_S10_SL_SM_SN_EUlS10_E0_NS1_11comp_targetILNS1_3genE5ELNS1_11target_archE942ELNS1_3gpuE9ELNS1_3repE0EEENS1_38merge_mergepath_config_static_selectorELNS0_4arch9wavefront6targetE1EEEvSM_,@function
_ZN7rocprim17ROCPRIM_400000_NS6detail17trampoline_kernelINS0_14default_configENS1_38merge_sort_block_merge_config_selectorIlNS0_10empty_typeEEEZZNS1_27merge_sort_block_merge_implIS3_PlPS5_mZN2at6native12_GLOBAL__N_124unique_dim_cuda_templateIbEESt5tupleIJNSA_6TensorESF_SF_EERKSF_lbbbEUlllE_EE10hipError_tT0_T1_T2_jT3_P12ihipStream_tbPNSt15iterator_traitsISL_E10value_typeEPNSR_ISM_E10value_typeEPSN_NS1_7vsmem_tEENKUlT_SL_SM_SN_E_clIS8_S8_S9_S9_EESK_S10_SL_SM_SN_EUlS10_E0_NS1_11comp_targetILNS1_3genE5ELNS1_11target_archE942ELNS1_3gpuE9ELNS1_3repE0EEENS1_38merge_mergepath_config_static_selectorELNS0_4arch9wavefront6targetE1EEEvSM_: ; @_ZN7rocprim17ROCPRIM_400000_NS6detail17trampoline_kernelINS0_14default_configENS1_38merge_sort_block_merge_config_selectorIlNS0_10empty_typeEEEZZNS1_27merge_sort_block_merge_implIS3_PlPS5_mZN2at6native12_GLOBAL__N_124unique_dim_cuda_templateIbEESt5tupleIJNSA_6TensorESF_SF_EERKSF_lbbbEUlllE_EE10hipError_tT0_T1_T2_jT3_P12ihipStream_tbPNSt15iterator_traitsISL_E10value_typeEPNSR_ISM_E10value_typeEPSN_NS1_7vsmem_tEENKUlT_SL_SM_SN_E_clIS8_S8_S9_S9_EESK_S10_SL_SM_SN_EUlS10_E0_NS1_11comp_targetILNS1_3genE5ELNS1_11target_archE942ELNS1_3gpuE9ELNS1_3repE0EEENS1_38merge_mergepath_config_static_selectorELNS0_4arch9wavefront6targetE1EEEvSM_
; %bb.0:
	.section	.rodata,"a",@progbits
	.p2align	6, 0x0
	.amdhsa_kernel _ZN7rocprim17ROCPRIM_400000_NS6detail17trampoline_kernelINS0_14default_configENS1_38merge_sort_block_merge_config_selectorIlNS0_10empty_typeEEEZZNS1_27merge_sort_block_merge_implIS3_PlPS5_mZN2at6native12_GLOBAL__N_124unique_dim_cuda_templateIbEESt5tupleIJNSA_6TensorESF_SF_EERKSF_lbbbEUlllE_EE10hipError_tT0_T1_T2_jT3_P12ihipStream_tbPNSt15iterator_traitsISL_E10value_typeEPNSR_ISM_E10value_typeEPSN_NS1_7vsmem_tEENKUlT_SL_SM_SN_E_clIS8_S8_S9_S9_EESK_S10_SL_SM_SN_EUlS10_E0_NS1_11comp_targetILNS1_3genE5ELNS1_11target_archE942ELNS1_3gpuE9ELNS1_3repE0EEENS1_38merge_mergepath_config_static_selectorELNS0_4arch9wavefront6targetE1EEEvSM_
		.amdhsa_group_segment_fixed_size 0
		.amdhsa_private_segment_fixed_size 0
		.amdhsa_kernarg_size 88
		.amdhsa_user_sgpr_count 6
		.amdhsa_user_sgpr_private_segment_buffer 1
		.amdhsa_user_sgpr_dispatch_ptr 0
		.amdhsa_user_sgpr_queue_ptr 0
		.amdhsa_user_sgpr_kernarg_segment_ptr 1
		.amdhsa_user_sgpr_dispatch_id 0
		.amdhsa_user_sgpr_flat_scratch_init 0
		.amdhsa_user_sgpr_kernarg_preload_length 0
		.amdhsa_user_sgpr_kernarg_preload_offset 0
		.amdhsa_user_sgpr_private_segment_size 0
		.amdhsa_uses_dynamic_stack 0
		.amdhsa_system_sgpr_private_segment_wavefront_offset 0
		.amdhsa_system_sgpr_workgroup_id_x 1
		.amdhsa_system_sgpr_workgroup_id_y 0
		.amdhsa_system_sgpr_workgroup_id_z 0
		.amdhsa_system_sgpr_workgroup_info 0
		.amdhsa_system_vgpr_workitem_id 0
		.amdhsa_next_free_vgpr 1
		.amdhsa_next_free_sgpr 0
		.amdhsa_accum_offset 4
		.amdhsa_reserve_vcc 0
		.amdhsa_reserve_flat_scratch 0
		.amdhsa_float_round_mode_32 0
		.amdhsa_float_round_mode_16_64 0
		.amdhsa_float_denorm_mode_32 3
		.amdhsa_float_denorm_mode_16_64 3
		.amdhsa_dx10_clamp 1
		.amdhsa_ieee_mode 1
		.amdhsa_fp16_overflow 0
		.amdhsa_tg_split 0
		.amdhsa_exception_fp_ieee_invalid_op 0
		.amdhsa_exception_fp_denorm_src 0
		.amdhsa_exception_fp_ieee_div_zero 0
		.amdhsa_exception_fp_ieee_overflow 0
		.amdhsa_exception_fp_ieee_underflow 0
		.amdhsa_exception_fp_ieee_inexact 0
		.amdhsa_exception_int_div_zero 0
	.end_amdhsa_kernel
	.section	.text._ZN7rocprim17ROCPRIM_400000_NS6detail17trampoline_kernelINS0_14default_configENS1_38merge_sort_block_merge_config_selectorIlNS0_10empty_typeEEEZZNS1_27merge_sort_block_merge_implIS3_PlPS5_mZN2at6native12_GLOBAL__N_124unique_dim_cuda_templateIbEESt5tupleIJNSA_6TensorESF_SF_EERKSF_lbbbEUlllE_EE10hipError_tT0_T1_T2_jT3_P12ihipStream_tbPNSt15iterator_traitsISL_E10value_typeEPNSR_ISM_E10value_typeEPSN_NS1_7vsmem_tEENKUlT_SL_SM_SN_E_clIS8_S8_S9_S9_EESK_S10_SL_SM_SN_EUlS10_E0_NS1_11comp_targetILNS1_3genE5ELNS1_11target_archE942ELNS1_3gpuE9ELNS1_3repE0EEENS1_38merge_mergepath_config_static_selectorELNS0_4arch9wavefront6targetE1EEEvSM_,"axG",@progbits,_ZN7rocprim17ROCPRIM_400000_NS6detail17trampoline_kernelINS0_14default_configENS1_38merge_sort_block_merge_config_selectorIlNS0_10empty_typeEEEZZNS1_27merge_sort_block_merge_implIS3_PlPS5_mZN2at6native12_GLOBAL__N_124unique_dim_cuda_templateIbEESt5tupleIJNSA_6TensorESF_SF_EERKSF_lbbbEUlllE_EE10hipError_tT0_T1_T2_jT3_P12ihipStream_tbPNSt15iterator_traitsISL_E10value_typeEPNSR_ISM_E10value_typeEPSN_NS1_7vsmem_tEENKUlT_SL_SM_SN_E_clIS8_S8_S9_S9_EESK_S10_SL_SM_SN_EUlS10_E0_NS1_11comp_targetILNS1_3genE5ELNS1_11target_archE942ELNS1_3gpuE9ELNS1_3repE0EEENS1_38merge_mergepath_config_static_selectorELNS0_4arch9wavefront6targetE1EEEvSM_,comdat
.Lfunc_end1012:
	.size	_ZN7rocprim17ROCPRIM_400000_NS6detail17trampoline_kernelINS0_14default_configENS1_38merge_sort_block_merge_config_selectorIlNS0_10empty_typeEEEZZNS1_27merge_sort_block_merge_implIS3_PlPS5_mZN2at6native12_GLOBAL__N_124unique_dim_cuda_templateIbEESt5tupleIJNSA_6TensorESF_SF_EERKSF_lbbbEUlllE_EE10hipError_tT0_T1_T2_jT3_P12ihipStream_tbPNSt15iterator_traitsISL_E10value_typeEPNSR_ISM_E10value_typeEPSN_NS1_7vsmem_tEENKUlT_SL_SM_SN_E_clIS8_S8_S9_S9_EESK_S10_SL_SM_SN_EUlS10_E0_NS1_11comp_targetILNS1_3genE5ELNS1_11target_archE942ELNS1_3gpuE9ELNS1_3repE0EEENS1_38merge_mergepath_config_static_selectorELNS0_4arch9wavefront6targetE1EEEvSM_, .Lfunc_end1012-_ZN7rocprim17ROCPRIM_400000_NS6detail17trampoline_kernelINS0_14default_configENS1_38merge_sort_block_merge_config_selectorIlNS0_10empty_typeEEEZZNS1_27merge_sort_block_merge_implIS3_PlPS5_mZN2at6native12_GLOBAL__N_124unique_dim_cuda_templateIbEESt5tupleIJNSA_6TensorESF_SF_EERKSF_lbbbEUlllE_EE10hipError_tT0_T1_T2_jT3_P12ihipStream_tbPNSt15iterator_traitsISL_E10value_typeEPNSR_ISM_E10value_typeEPSN_NS1_7vsmem_tEENKUlT_SL_SM_SN_E_clIS8_S8_S9_S9_EESK_S10_SL_SM_SN_EUlS10_E0_NS1_11comp_targetILNS1_3genE5ELNS1_11target_archE942ELNS1_3gpuE9ELNS1_3repE0EEENS1_38merge_mergepath_config_static_selectorELNS0_4arch9wavefront6targetE1EEEvSM_
                                        ; -- End function
	.section	.AMDGPU.csdata,"",@progbits
; Kernel info:
; codeLenInByte = 0
; NumSgprs: 4
; NumVgprs: 0
; NumAgprs: 0
; TotalNumVgprs: 0
; ScratchSize: 0
; MemoryBound: 0
; FloatMode: 240
; IeeeMode: 1
; LDSByteSize: 0 bytes/workgroup (compile time only)
; SGPRBlocks: 0
; VGPRBlocks: 0
; NumSGPRsForWavesPerEU: 4
; NumVGPRsForWavesPerEU: 1
; AccumOffset: 4
; Occupancy: 8
; WaveLimiterHint : 0
; COMPUTE_PGM_RSRC2:SCRATCH_EN: 0
; COMPUTE_PGM_RSRC2:USER_SGPR: 6
; COMPUTE_PGM_RSRC2:TRAP_HANDLER: 0
; COMPUTE_PGM_RSRC2:TGID_X_EN: 1
; COMPUTE_PGM_RSRC2:TGID_Y_EN: 0
; COMPUTE_PGM_RSRC2:TGID_Z_EN: 0
; COMPUTE_PGM_RSRC2:TIDIG_COMP_CNT: 0
; COMPUTE_PGM_RSRC3_GFX90A:ACCUM_OFFSET: 0
; COMPUTE_PGM_RSRC3_GFX90A:TG_SPLIT: 0
	.section	.text._ZN7rocprim17ROCPRIM_400000_NS6detail17trampoline_kernelINS0_14default_configENS1_38merge_sort_block_merge_config_selectorIlNS0_10empty_typeEEEZZNS1_27merge_sort_block_merge_implIS3_PlPS5_mZN2at6native12_GLOBAL__N_124unique_dim_cuda_templateIbEESt5tupleIJNSA_6TensorESF_SF_EERKSF_lbbbEUlllE_EE10hipError_tT0_T1_T2_jT3_P12ihipStream_tbPNSt15iterator_traitsISL_E10value_typeEPNSR_ISM_E10value_typeEPSN_NS1_7vsmem_tEENKUlT_SL_SM_SN_E_clIS8_S8_S9_S9_EESK_S10_SL_SM_SN_EUlS10_E0_NS1_11comp_targetILNS1_3genE4ELNS1_11target_archE910ELNS1_3gpuE8ELNS1_3repE0EEENS1_38merge_mergepath_config_static_selectorELNS0_4arch9wavefront6targetE1EEEvSM_,"axG",@progbits,_ZN7rocprim17ROCPRIM_400000_NS6detail17trampoline_kernelINS0_14default_configENS1_38merge_sort_block_merge_config_selectorIlNS0_10empty_typeEEEZZNS1_27merge_sort_block_merge_implIS3_PlPS5_mZN2at6native12_GLOBAL__N_124unique_dim_cuda_templateIbEESt5tupleIJNSA_6TensorESF_SF_EERKSF_lbbbEUlllE_EE10hipError_tT0_T1_T2_jT3_P12ihipStream_tbPNSt15iterator_traitsISL_E10value_typeEPNSR_ISM_E10value_typeEPSN_NS1_7vsmem_tEENKUlT_SL_SM_SN_E_clIS8_S8_S9_S9_EESK_S10_SL_SM_SN_EUlS10_E0_NS1_11comp_targetILNS1_3genE4ELNS1_11target_archE910ELNS1_3gpuE8ELNS1_3repE0EEENS1_38merge_mergepath_config_static_selectorELNS0_4arch9wavefront6targetE1EEEvSM_,comdat
	.globl	_ZN7rocprim17ROCPRIM_400000_NS6detail17trampoline_kernelINS0_14default_configENS1_38merge_sort_block_merge_config_selectorIlNS0_10empty_typeEEEZZNS1_27merge_sort_block_merge_implIS3_PlPS5_mZN2at6native12_GLOBAL__N_124unique_dim_cuda_templateIbEESt5tupleIJNSA_6TensorESF_SF_EERKSF_lbbbEUlllE_EE10hipError_tT0_T1_T2_jT3_P12ihipStream_tbPNSt15iterator_traitsISL_E10value_typeEPNSR_ISM_E10value_typeEPSN_NS1_7vsmem_tEENKUlT_SL_SM_SN_E_clIS8_S8_S9_S9_EESK_S10_SL_SM_SN_EUlS10_E0_NS1_11comp_targetILNS1_3genE4ELNS1_11target_archE910ELNS1_3gpuE8ELNS1_3repE0EEENS1_38merge_mergepath_config_static_selectorELNS0_4arch9wavefront6targetE1EEEvSM_ ; -- Begin function _ZN7rocprim17ROCPRIM_400000_NS6detail17trampoline_kernelINS0_14default_configENS1_38merge_sort_block_merge_config_selectorIlNS0_10empty_typeEEEZZNS1_27merge_sort_block_merge_implIS3_PlPS5_mZN2at6native12_GLOBAL__N_124unique_dim_cuda_templateIbEESt5tupleIJNSA_6TensorESF_SF_EERKSF_lbbbEUlllE_EE10hipError_tT0_T1_T2_jT3_P12ihipStream_tbPNSt15iterator_traitsISL_E10value_typeEPNSR_ISM_E10value_typeEPSN_NS1_7vsmem_tEENKUlT_SL_SM_SN_E_clIS8_S8_S9_S9_EESK_S10_SL_SM_SN_EUlS10_E0_NS1_11comp_targetILNS1_3genE4ELNS1_11target_archE910ELNS1_3gpuE8ELNS1_3repE0EEENS1_38merge_mergepath_config_static_selectorELNS0_4arch9wavefront6targetE1EEEvSM_
	.p2align	8
	.type	_ZN7rocprim17ROCPRIM_400000_NS6detail17trampoline_kernelINS0_14default_configENS1_38merge_sort_block_merge_config_selectorIlNS0_10empty_typeEEEZZNS1_27merge_sort_block_merge_implIS3_PlPS5_mZN2at6native12_GLOBAL__N_124unique_dim_cuda_templateIbEESt5tupleIJNSA_6TensorESF_SF_EERKSF_lbbbEUlllE_EE10hipError_tT0_T1_T2_jT3_P12ihipStream_tbPNSt15iterator_traitsISL_E10value_typeEPNSR_ISM_E10value_typeEPSN_NS1_7vsmem_tEENKUlT_SL_SM_SN_E_clIS8_S8_S9_S9_EESK_S10_SL_SM_SN_EUlS10_E0_NS1_11comp_targetILNS1_3genE4ELNS1_11target_archE910ELNS1_3gpuE8ELNS1_3repE0EEENS1_38merge_mergepath_config_static_selectorELNS0_4arch9wavefront6targetE1EEEvSM_,@function
_ZN7rocprim17ROCPRIM_400000_NS6detail17trampoline_kernelINS0_14default_configENS1_38merge_sort_block_merge_config_selectorIlNS0_10empty_typeEEEZZNS1_27merge_sort_block_merge_implIS3_PlPS5_mZN2at6native12_GLOBAL__N_124unique_dim_cuda_templateIbEESt5tupleIJNSA_6TensorESF_SF_EERKSF_lbbbEUlllE_EE10hipError_tT0_T1_T2_jT3_P12ihipStream_tbPNSt15iterator_traitsISL_E10value_typeEPNSR_ISM_E10value_typeEPSN_NS1_7vsmem_tEENKUlT_SL_SM_SN_E_clIS8_S8_S9_S9_EESK_S10_SL_SM_SN_EUlS10_E0_NS1_11comp_targetILNS1_3genE4ELNS1_11target_archE910ELNS1_3gpuE8ELNS1_3repE0EEENS1_38merge_mergepath_config_static_selectorELNS0_4arch9wavefront6targetE1EEEvSM_: ; @_ZN7rocprim17ROCPRIM_400000_NS6detail17trampoline_kernelINS0_14default_configENS1_38merge_sort_block_merge_config_selectorIlNS0_10empty_typeEEEZZNS1_27merge_sort_block_merge_implIS3_PlPS5_mZN2at6native12_GLOBAL__N_124unique_dim_cuda_templateIbEESt5tupleIJNSA_6TensorESF_SF_EERKSF_lbbbEUlllE_EE10hipError_tT0_T1_T2_jT3_P12ihipStream_tbPNSt15iterator_traitsISL_E10value_typeEPNSR_ISM_E10value_typeEPSN_NS1_7vsmem_tEENKUlT_SL_SM_SN_E_clIS8_S8_S9_S9_EESK_S10_SL_SM_SN_EUlS10_E0_NS1_11comp_targetILNS1_3genE4ELNS1_11target_archE910ELNS1_3gpuE8ELNS1_3repE0EEENS1_38merge_mergepath_config_static_selectorELNS0_4arch9wavefront6targetE1EEEvSM_
; %bb.0:
	s_load_dwordx2 s[22:23], s[4:5], 0x58
	s_load_dword s0, s[4:5], 0x38
	s_add_u32 s18, s4, 0x58
	s_addc_u32 s19, s5, 0
	s_waitcnt lgkmcnt(0)
	s_mul_i32 s1, s23, s8
	s_add_i32 s1, s1, s7
	s_mul_i32 s1, s1, s22
	s_add_i32 s20, s1, s6
	s_cmp_ge_u32 s20, s0
	s_cbranch_scc1 .LBB1013_71
; %bb.1:
	s_load_dwordx2 s[0:1], s[4:5], 0x50
	s_load_dwordx4 s[12:15], s[4:5], 0x8
	s_load_dwordx4 s[8:11], s[4:5], 0x28
	s_mov_b32 s21, 0
	s_lshl_b64 s[2:3], s[20:21], 3
	s_waitcnt lgkmcnt(0)
	s_add_u32 s0, s0, s2
	s_addc_u32 s1, s1, s3
	v_mov_b32_e32 v1, s10
	v_alignbit_b32 v1, s11, v1, 9
	v_readfirstlane_b32 s7, v1
	s_and_b32 s7, s7, -2
	s_sub_i32 s33, 0, s7
	s_and_b32 s26, s20, s33
	s_mov_b32 s27, s21
	s_lshl_b64 s[24:25], s[26:27], 10
	s_lshl_b64 s[16:17], s[20:21], 10
	s_sub_u32 s7, s16, s24
	s_load_dwordx4 s[0:3], s[0:1], 0x0
	s_subb_u32 s23, s17, s25
	s_lshl_b64 s[26:27], s[26:27], 11
	s_add_u32 s26, s26, s10
	s_addc_u32 s27, s27, s11
	s_add_u32 s7, s26, s7
	s_addc_u32 s23, s27, s23
	s_waitcnt lgkmcnt(0)
	s_sub_u32 s28, s7, s2
	s_subb_u32 s3, s23, s3
	s_add_u32 s28, s28, 0x400
	s_addc_u32 s29, s3, 0
	v_pk_mov_b32 v[2:3], s[28:29], s[28:29] op_sel:[0,1]
	v_cmp_lt_u64_e32 vcc, s[8:9], v[2:3]
	s_and_b64 s[30:31], vcc, exec
	s_cselect_b32 s3, s8, s28
	s_or_b32 s28, s20, s33
	s_cmp_lg_u32 s28, -1
	s_cbranch_scc1 .LBB1013_3
; %bb.2:
	s_sub_u32 s24, s26, s24
	s_subb_u32 s25, s27, s25
	v_pk_mov_b32 v[2:3], s[24:25], s[24:25] op_sel:[0,1]
	v_cmp_lt_u64_e32 vcc, s[8:9], v[2:3]
	s_and_b64 s[2:3], vcc, exec
	s_cselect_b32 s2, s8, s24
	s_add_u32 s10, s24, s10
	s_addc_u32 s11, s25, s11
	v_pk_mov_b32 v[2:3], s[10:11], s[10:11] op_sel:[0,1]
	v_cmp_lt_u64_e32 vcc, s[8:9], v[2:3]
	s_and_b64 s[24:25], vcc, exec
	s_cselect_b32 s3, s8, s10
.LBB1013_3:
	s_lshr_b64 s[26:27], s[8:9], 10
	s_cmp_lg_u64 s[26:27], s[20:21]
	s_cselect_b64 s[10:11], -1, 0
	s_sub_u32 s24, s7, s0
	s_subb_u32 s25, s23, s1
	v_pk_mov_b32 v[2:3], s[24:25], s[24:25] op_sel:[0,1]
	v_cmp_lt_u64_e32 vcc, s[8:9], v[2:3]
	s_and_b64 s[28:29], vcc, exec
	s_cselect_b32 s28, s8, s24
	s_cselect_b32 s29, s9, s25
	s_sub_i32 s9, s2, s0
	s_sub_i32 s23, s3, s28
	s_lshl_b64 s[0:1], s[0:1], 3
	s_add_u32 s24, s12, s0
	s_addc_u32 s25, s13, s1
	s_lshl_b64 s[0:1], s[28:29], 3
	s_add_u32 s7, s12, s0
	s_addc_u32 s12, s13, s1
	s_cmp_lt_u32 s6, s22
	v_mov_b32_e32 v9, 0
	s_cselect_b32 s0, 12, 18
	global_load_dword v1, v9, s[18:19] offset:14
	s_add_u32 s0, s18, s0
	s_addc_u32 s1, s19, 0
	global_load_ushort v2, v9, s[0:1]
	s_cmp_eq_u64 s[26:27], s[20:21]
	s_waitcnt vmcnt(1)
	v_lshrrev_b32_e32 v3, 16, v1
	v_and_b32_e32 v1, 0xffff, v1
	v_mul_lo_u32 v1, v1, v3
	s_waitcnt vmcnt(0)
	v_mul_lo_u32 v12, v1, v2
	v_lshlrev_b32_e32 v1, 3, v0
	s_cbranch_scc1 .LBB1013_5
; %bb.4:
	v_mov_b32_e32 v2, s25
	v_add_co_u32_e32 v4, vcc, s24, v1
	v_subrev_u32_e32 v8, s9, v0
	v_addc_co_u32_e32 v5, vcc, 0, v2, vcc
	v_lshlrev_b64 v[2:3], 3, v[8:9]
	v_mov_b32_e32 v6, s12
	v_add_co_u32_e32 v2, vcc, s7, v2
	v_addc_co_u32_e32 v3, vcc, v6, v3, vcc
	v_cmp_gt_u32_e32 vcc, s9, v0
	v_add_u32_e32 v8, v12, v0
	v_cndmask_b32_e32 v3, v3, v5, vcc
	v_cndmask_b32_e32 v2, v2, v4, vcc
	v_lshlrev_b64 v[4:5], 3, v[8:9]
	v_mov_b32_e32 v6, s25
	v_add_co_u32_e32 v7, vcc, s24, v4
	v_addc_co_u32_e32 v6, vcc, v6, v5, vcc
	v_subrev_u32_e32 v4, s9, v8
	v_mov_b32_e32 v5, v9
	v_lshlrev_b64 v[4:5], 3, v[4:5]
	v_mov_b32_e32 v10, s12
	v_add_co_u32_e32 v4, vcc, s7, v4
	v_addc_co_u32_e32 v5, vcc, v10, v5, vcc
	v_cmp_gt_u32_e32 vcc, s9, v8
	v_add_u32_e32 v8, v8, v12
	v_cndmask_b32_e32 v5, v5, v6, vcc
	v_cndmask_b32_e32 v4, v4, v7, vcc
	v_lshlrev_b64 v[6:7], 3, v[8:9]
	v_mov_b32_e32 v10, s25
	v_add_co_u32_e32 v11, vcc, s24, v6
	v_addc_co_u32_e32 v10, vcc, v10, v7, vcc
	v_subrev_u32_e32 v6, s9, v8
	v_mov_b32_e32 v7, v9
	v_lshlrev_b64 v[6:7], 3, v[6:7]
	v_mov_b32_e32 v13, s12
	v_add_co_u32_e32 v6, vcc, s7, v6
	v_addc_co_u32_e32 v7, vcc, v13, v7, vcc
	v_cmp_gt_u32_e32 vcc, s9, v8
	v_add_u32_e32 v8, v8, v12
	v_cndmask_b32_e32 v7, v7, v10, vcc
	v_cndmask_b32_e32 v6, v6, v11, vcc
	v_lshlrev_b64 v[10:11], 3, v[8:9]
	v_mov_b32_e32 v13, s25
	v_add_co_u32_e32 v10, vcc, s24, v10
	v_addc_co_u32_e32 v11, vcc, v13, v11, vcc
	v_cmp_gt_u32_e32 vcc, s9, v8
	v_subrev_u32_e32 v8, s9, v8
	v_lshlrev_b64 v[8:9], 3, v[8:9]
	v_mov_b32_e32 v13, s12
	v_add_co_u32_e64 v8, s[0:1], s7, v8
	v_addc_co_u32_e64 v9, s[0:1], v13, v9, s[0:1]
	v_cndmask_b32_e32 v9, v9, v11, vcc
	v_cndmask_b32_e32 v8, v8, v10, vcc
	global_load_dwordx2 v[2:3], v[2:3], off
	s_add_i32 s33, s9, s23
	global_load_dwordx2 v[4:5], v[4:5], off
	s_nop 0
	global_load_dwordx2 v[6:7], v[6:7], off
	s_nop 0
	global_load_dwordx2 v[8:9], v[8:9], off
	s_cbranch_execz .LBB1013_6
	s_branch .LBB1013_15
.LBB1013_5:
                                        ; implicit-def: $vgpr2_vgpr3_vgpr4_vgpr5_vgpr6_vgpr7_vgpr8_vgpr9
                                        ; implicit-def: $sgpr33
.LBB1013_6:
	s_add_i32 s33, s9, s23
	v_cmp_gt_u32_e32 vcc, s33, v0
                                        ; implicit-def: $vgpr2_vgpr3_vgpr4_vgpr5_vgpr6_vgpr7_vgpr8_vgpr9
	s_and_saveexec_b64 s[0:1], vcc
	s_cbranch_execz .LBB1013_8
; %bb.7:
	s_waitcnt vmcnt(3)
	v_mov_b32_e32 v2, s25
	s_waitcnt vmcnt(2)
	v_add_co_u32_e32 v4, vcc, s24, v1
	v_mov_b32_e32 v3, 0
	v_addc_co_u32_e32 v5, vcc, 0, v2, vcc
	v_subrev_u32_e32 v2, s9, v0
	v_lshlrev_b64 v[2:3], 3, v[2:3]
	s_waitcnt vmcnt(1)
	v_mov_b32_e32 v6, s12
	v_add_co_u32_e32 v2, vcc, s7, v2
	v_addc_co_u32_e32 v3, vcc, v6, v3, vcc
	v_cmp_gt_u32_e32 vcc, s9, v0
	v_cndmask_b32_e32 v3, v3, v5, vcc
	v_cndmask_b32_e32 v2, v2, v4, vcc
	global_load_dwordx2 v[2:3], v[2:3], off
.LBB1013_8:
	s_or_b64 exec, exec, s[0:1]
	v_add_u32_e32 v10, v12, v0
	v_cmp_gt_u32_e32 vcc, s33, v10
	s_and_saveexec_b64 s[0:1], vcc
	s_cbranch_execz .LBB1013_10
; %bb.9:
	v_mov_b32_e32 v11, 0
	s_waitcnt vmcnt(2)
	v_lshlrev_b64 v[4:5], 3, v[10:11]
	v_mov_b32_e32 v13, s25
	v_add_co_u32_e32 v14, vcc, s24, v4
	v_addc_co_u32_e32 v13, vcc, v13, v5, vcc
	v_subrev_u32_e32 v4, s9, v10
	v_mov_b32_e32 v5, v11
	v_lshlrev_b64 v[4:5], 3, v[4:5]
	v_mov_b32_e32 v11, s12
	v_add_co_u32_e32 v4, vcc, s7, v4
	v_addc_co_u32_e32 v5, vcc, v11, v5, vcc
	v_cmp_gt_u32_e32 vcc, s9, v10
	v_cndmask_b32_e32 v5, v5, v13, vcc
	v_cndmask_b32_e32 v4, v4, v14, vcc
	global_load_dwordx2 v[4:5], v[4:5], off
.LBB1013_10:
	s_or_b64 exec, exec, s[0:1]
	v_add_u32_e32 v10, v10, v12
	v_cmp_gt_u32_e32 vcc, s33, v10
	s_and_saveexec_b64 s[0:1], vcc
	s_cbranch_execz .LBB1013_12
; %bb.11:
	v_mov_b32_e32 v11, 0
	s_waitcnt vmcnt(1)
	v_lshlrev_b64 v[6:7], 3, v[10:11]
	v_mov_b32_e32 v13, s25
	v_add_co_u32_e32 v14, vcc, s24, v6
	v_addc_co_u32_e32 v13, vcc, v13, v7, vcc
	v_subrev_u32_e32 v6, s9, v10
	v_mov_b32_e32 v7, v11
	v_lshlrev_b64 v[6:7], 3, v[6:7]
	v_mov_b32_e32 v11, s12
	v_add_co_u32_e32 v6, vcc, s7, v6
	v_addc_co_u32_e32 v7, vcc, v11, v7, vcc
	v_cmp_gt_u32_e32 vcc, s9, v10
	v_cndmask_b32_e32 v7, v7, v13, vcc
	v_cndmask_b32_e32 v6, v6, v14, vcc
	global_load_dwordx2 v[6:7], v[6:7], off
.LBB1013_12:
	s_or_b64 exec, exec, s[0:1]
	v_add_u32_e32 v10, v10, v12
	v_cmp_gt_u32_e32 vcc, s33, v10
	s_and_saveexec_b64 s[2:3], vcc
	s_cbranch_execz .LBB1013_14
; %bb.13:
	v_mov_b32_e32 v11, 0
	s_waitcnt vmcnt(0)
	v_lshlrev_b64 v[8:9], 3, v[10:11]
	v_mov_b32_e32 v12, s25
	v_add_co_u32_e32 v13, vcc, s24, v8
	v_addc_co_u32_e32 v12, vcc, v12, v9, vcc
	v_cmp_gt_u32_e32 vcc, s9, v10
	v_subrev_u32_e32 v10, s9, v10
	v_lshlrev_b64 v[8:9], 3, v[10:11]
	v_mov_b32_e32 v10, s12
	v_add_co_u32_e64 v8, s[0:1], s7, v8
	v_addc_co_u32_e64 v9, s[0:1], v10, v9, s[0:1]
	v_cndmask_b32_e32 v9, v9, v12, vcc
	v_cndmask_b32_e32 v8, v8, v13, vcc
	global_load_dwordx2 v[8:9], v[8:9], off
.LBB1013_14:
	s_or_b64 exec, exec, s[2:3]
.LBB1013_15:
	s_load_dwordx4 s[4:7], s[4:5], 0x40
	v_lshlrev_b32_e32 v14, 2, v0
	v_min_u32_e32 v16, s33, v14
	v_sub_u32_e64 v15, v16, s23 clamp
	v_min_u32_e32 v17, s9, v16
	v_cmp_lt_u32_e32 vcc, v15, v17
	s_waitcnt vmcnt(0)
	ds_write2st64_b64 v1, v[2:3], v[4:5] offset1:4
	ds_write2st64_b64 v1, v[6:7], v[8:9] offset0:8 offset1:12
	s_waitcnt lgkmcnt(0)
	s_barrier
	s_and_saveexec_b64 s[12:13], vcc
	s_cbranch_execz .LBB1013_25
; %bb.16:
	v_lshlrev_b32_e32 v10, 3, v16
	v_cmp_gt_i64_e64 s[0:1], s[4:5], 0
	v_lshl_add_u32 v18, s9, 3, v10
	v_cndmask_b32_e64 v10, 0, 1, s[0:1]
	s_mov_b64 s[18:19], 0
	v_cmp_ne_u32_e64 s[0:1], 1, v10
	s_branch .LBB1013_19
.LBB1013_17:                            ;   in Loop: Header=BB1013_19 Depth=1
	s_or_b64 exec, exec, s[22:23]
.LBB1013_18:                            ;   in Loop: Header=BB1013_19 Depth=1
	v_add_u32_e32 v10, 1, v19
	v_cndmask_b32_e64 v17, v17, v19, s[20:21]
	v_cndmask_b32_e64 v15, v10, v15, s[20:21]
	v_cmp_ge_u32_e32 vcc, v15, v17
	s_or_b64 s[18:19], vcc, s[18:19]
	s_andn2_b64 exec, exec, s[18:19]
	s_cbranch_execz .LBB1013_24
.LBB1013_19:                            ; =>This Loop Header: Depth=1
                                        ;     Child Loop BB1013_22 Depth 2
	v_add_u32_e32 v10, v17, v15
	v_lshrrev_b32_e32 v19, 1, v10
	s_and_b64 vcc, exec, s[0:1]
	s_mov_b64 s[20:21], 0
	s_cbranch_vccnz .LBB1013_18
; %bb.20:                               ;   in Loop: Header=BB1013_19 Depth=1
	v_not_b32_e32 v10, v19
	v_lshl_add_u32 v10, v10, 3, v18
	ds_read_b64 v[10:11], v10
	v_lshlrev_b32_e32 v20, 3, v19
	ds_read_b64 v[20:21], v20
	v_pk_mov_b32 v[12:13], s[6:7], s[6:7] op_sel:[0,1]
	s_mov_b64 s[22:23], 0
	s_waitcnt lgkmcnt(1)
	v_mul_lo_u32 v22, v10, s5
	v_mul_lo_u32 v23, v11, s4
	v_mad_u64_u32 v[10:11], s[2:3], v10, s4, v[12:13]
	v_add3_u32 v11, v23, v11, v22
	s_waitcnt lgkmcnt(0)
	v_mul_lo_u32 v22, v20, s5
	v_mul_lo_u32 v21, v21, s4
	v_mad_u64_u32 v[12:13], s[2:3], v20, s4, v[12:13]
	v_add3_u32 v13, v21, v13, v22
	s_mov_b64 s[28:29], s[4:5]
                                        ; implicit-def: $sgpr20_sgpr21
                                        ; implicit-def: $sgpr24_sgpr25
                                        ; implicit-def: $sgpr26_sgpr27
                                        ; implicit-def: $sgpr2_sgpr3
                                        ; implicit-def: $sgpr30_sgpr31
	s_branch .LBB1013_22
.LBB1013_21:                            ;   in Loop: Header=BB1013_22 Depth=2
	s_or_b64 exec, exec, s[34:35]
	s_and_b64 s[34:35], exec, s[24:25]
	s_or_b64 s[22:23], s[34:35], s[22:23]
	s_andn2_b64 s[30:31], s[30:31], exec
	s_and_b64 s[34:35], s[26:27], exec
	s_or_b64 s[30:31], s[30:31], s[34:35]
	s_andn2_b64 s[20:21], s[20:21], exec
	s_and_b64 s[34:35], s[2:3], exec
	s_or_b64 s[20:21], s[20:21], s[34:35]
	s_andn2_b64 exec, exec, s[22:23]
	s_cbranch_execz .LBB1013_17
.LBB1013_22:                            ;   Parent Loop BB1013_19 Depth=1
                                        ; =>  This Inner Loop Header: Depth=2
	global_load_ubyte v20, v[10:11], off
	global_load_ubyte v21, v[12:13], off
	s_andn2_b64 s[34:35], s[2:3], exec
	s_andn2_b64 s[26:27], s[26:27], exec
	s_or_b64 s[24:25], s[24:25], exec
	s_waitcnt vmcnt(1)
	v_cmp_eq_u16_e32 vcc, 0, v20
	s_waitcnt vmcnt(0)
	v_cmp_ne_u16_e64 s[2:3], 0, v21
	s_or_b64 s[38:39], vcc, s[2:3]
	s_and_b64 s[36:37], vcc, s[2:3]
	s_xor_b64 s[40:41], vcc, s[2:3]
	s_and_b64 s[2:3], s[38:39], s[30:31]
	s_or_b64 s[36:37], s[36:37], s[2:3]
	s_and_b64 s[2:3], s[36:37], exec
	s_or_b64 s[2:3], s[34:35], s[2:3]
	s_and_saveexec_b64 s[34:35], s[40:41]
	s_cbranch_execz .LBB1013_21
; %bb.23:                               ;   in Loop: Header=BB1013_22 Depth=2
	s_add_u32 s28, s28, -1
	s_addc_u32 s29, s29, -1
	v_add_co_u32_e32 v10, vcc, 1, v10
	s_cmp_eq_u64 s[28:29], 0
	v_addc_co_u32_e32 v11, vcc, 0, v11, vcc
	s_cselect_b64 s[30:31], -1, 0
	v_add_co_u32_e32 v12, vcc, 1, v12
	s_andn2_b64 s[26:27], s[26:27], exec
	s_and_b64 s[36:37], s[36:37], exec
	s_andn2_b64 s[24:25], s[24:25], exec
	s_and_b64 s[30:31], s[30:31], exec
	v_addc_co_u32_e32 v13, vcc, 0, v13, vcc
	s_andn2_b64 s[2:3], s[2:3], exec
	s_or_b64 s[26:27], s[26:27], s[36:37]
	s_or_b64 s[24:25], s[24:25], s[30:31]
                                        ; implicit-def: $sgpr30_sgpr31
	s_branch .LBB1013_21
.LBB1013_24:
	s_or_b64 exec, exec, s[18:19]
.LBB1013_25:
	s_or_b64 exec, exec, s[12:13]
	v_sub_u32_e32 v10, v16, v15
	v_add_u32_e32 v16, s9, v10
	v_cmp_ge_u32_e32 vcc, s9, v15
	v_cmp_ge_u32_e64 s[0:1], s33, v16
	s_or_b64 s[0:1], vcc, s[0:1]
	s_and_saveexec_b64 s[12:13], s[0:1]
	s_cbranch_execz .LBB1013_61
; %bb.26:
	v_cmp_le_u32_e32 vcc, s9, v15
	v_cmp_gt_u32_e64 s[0:1], s9, v15
                                        ; implicit-def: $vgpr2_vgpr3
	s_and_saveexec_b64 s[2:3], s[0:1]
	s_cbranch_execz .LBB1013_28
; %bb.27:
	v_lshlrev_b32_e32 v2, 3, v15
	ds_read_b64 v[2:3], v2
.LBB1013_28:
	s_or_b64 exec, exec, s[2:3]
	v_cmp_le_u32_e64 s[0:1], s33, v16
	v_cmp_gt_u32_e64 s[2:3], s33, v16
                                        ; implicit-def: $vgpr8_vgpr9
	s_and_saveexec_b64 s[18:19], s[2:3]
	s_cbranch_execz .LBB1013_30
; %bb.29:
	v_lshlrev_b32_e32 v4, 3, v16
	ds_read_b64 v[8:9], v4
.LBB1013_30:
	s_or_b64 exec, exec, s[18:19]
	v_cmp_lt_i64_e64 s[18:19], s[4:5], 1
	s_or_b64 s[2:3], vcc, s[0:1]
	s_or_b64 s[2:3], s[2:3], s[18:19]
	s_xor_b64 s[22:23], s[2:3], -1
	s_xor_b64 s[2:3], vcc, -1
	s_or_b64 s[2:3], s[0:1], s[2:3]
	s_and_saveexec_b64 s[20:21], s[22:23]
	s_cbranch_execz .LBB1013_36
; %bb.31:
	v_pk_mov_b32 v[6:7], s[6:7], s[6:7] op_sel:[0,1]
	s_waitcnt lgkmcnt(0)
	v_mad_u64_u32 v[4:5], s[0:1], v8, s4, v[6:7]
	v_mul_lo_u32 v10, v8, s5
	v_mul_lo_u32 v11, v9, s4
	v_add3_u32 v5, v11, v5, v10
	v_mad_u64_u32 v[6:7], s[0:1], v2, s4, v[6:7]
	v_mul_lo_u32 v10, v2, s5
	v_mul_lo_u32 v11, v3, s4
	v_add3_u32 v7, v11, v7, v10
	s_mov_b64 s[22:23], 0
	s_mov_b64 s[30:31], s[4:5]
                                        ; implicit-def: $sgpr24_sgpr25
                                        ; implicit-def: $sgpr26_sgpr27
                                        ; implicit-def: $sgpr0_sgpr1
                                        ; implicit-def: $sgpr28_sgpr29
                                        ; implicit-def: $sgpr34_sgpr35
	s_branch .LBB1013_33
.LBB1013_32:                            ;   in Loop: Header=BB1013_33 Depth=1
	s_or_b64 exec, exec, s[36:37]
	s_and_b64 s[36:37], exec, s[26:27]
	s_or_b64 s[22:23], s[36:37], s[22:23]
	s_andn2_b64 s[34:35], s[34:35], exec
	s_and_b64 s[36:37], s[28:29], exec
	s_or_b64 s[34:35], s[34:35], s[36:37]
	s_andn2_b64 s[24:25], s[24:25], exec
	s_and_b64 s[36:37], s[0:1], exec
	s_or_b64 s[24:25], s[24:25], s[36:37]
	s_andn2_b64 exec, exec, s[22:23]
	s_cbranch_execz .LBB1013_35
.LBB1013_33:                            ; =>This Inner Loop Header: Depth=1
	global_load_ubyte v10, v[4:5], off
	global_load_ubyte v11, v[6:7], off
	s_andn2_b64 s[36:37], s[0:1], exec
	s_andn2_b64 s[28:29], s[28:29], exec
	s_or_b64 s[26:27], s[26:27], exec
	s_waitcnt vmcnt(1)
	v_cmp_eq_u16_e32 vcc, 0, v10
	s_waitcnt vmcnt(0)
	v_cmp_ne_u16_e64 s[0:1], 0, v11
	s_or_b64 s[40:41], vcc, s[0:1]
	s_and_b64 s[38:39], vcc, s[0:1]
	s_xor_b64 s[42:43], vcc, s[0:1]
	s_and_b64 s[0:1], s[40:41], s[34:35]
	s_or_b64 s[38:39], s[38:39], s[0:1]
	s_and_b64 s[0:1], s[38:39], exec
	s_or_b64 s[0:1], s[36:37], s[0:1]
	s_and_saveexec_b64 s[36:37], s[42:43]
	s_cbranch_execz .LBB1013_32
; %bb.34:                               ;   in Loop: Header=BB1013_33 Depth=1
	s_add_u32 s30, s30, -1
	s_addc_u32 s31, s31, -1
	v_add_co_u32_e32 v4, vcc, 1, v4
	s_cmp_eq_u64 s[30:31], 0
	v_addc_co_u32_e32 v5, vcc, 0, v5, vcc
	s_cselect_b64 s[34:35], -1, 0
	v_add_co_u32_e32 v6, vcc, 1, v6
	s_andn2_b64 s[28:29], s[28:29], exec
	s_and_b64 s[38:39], s[38:39], exec
	s_andn2_b64 s[26:27], s[26:27], exec
	s_and_b64 s[34:35], s[34:35], exec
	v_addc_co_u32_e32 v7, vcc, 0, v7, vcc
	s_or_b64 s[28:29], s[28:29], s[38:39]
	s_andn2_b64 s[0:1], s[0:1], exec
	s_or_b64 s[26:27], s[26:27], s[34:35]
                                        ; implicit-def: $sgpr34_sgpr35
	s_branch .LBB1013_32
.LBB1013_35:
	s_or_b64 exec, exec, s[22:23]
	s_xor_b64 s[0:1], s[24:25], -1
	s_andn2_b64 s[2:3], s[2:3], exec
	s_and_b64 s[0:1], s[0:1], exec
	s_or_b64 s[2:3], s[2:3], s[0:1]
.LBB1013_36:
	s_or_b64 exec, exec, s[20:21]
	v_mov_b32_e32 v5, s33
	v_mov_b32_e32 v6, s9
	v_cndmask_b32_e64 v4, v16, v15, s[2:3]
	v_cndmask_b32_e64 v5, v5, v6, s[2:3]
	v_add_u32_e32 v6, 1, v4
	v_add_u32_e32 v4, -1, v5
	v_min_u32_e32 v4, v6, v4
	v_lshlrev_b32_e32 v4, 3, v4
	ds_read_b64 v[4:5], v4
	v_cndmask_b32_e64 v19, v6, v16, s[2:3]
	v_cndmask_b32_e64 v20, v15, v6, s[2:3]
	v_cmp_gt_u32_e32 vcc, s33, v19
	s_mov_b64 s[22:23], -1
	s_waitcnt lgkmcnt(0)
	v_cndmask_b32_e64 v10, v5, v9, s[2:3]
	v_cndmask_b32_e64 v11, v4, v8, s[2:3]
	;; [unrolled: 1-line block ×4, first 2 shown]
	s_mov_b64 s[20:21], -1
	s_and_saveexec_b64 s[24:25], vcc
	s_cbranch_execz .LBB1013_44
; %bb.37:
	v_cmp_gt_u32_e64 s[20:21], s9, v20
	s_xor_b64 s[0:1], s[18:19], -1
	s_and_b64 s[0:1], s[20:21], s[0:1]
	s_and_saveexec_b64 s[26:27], s[0:1]
	s_cbranch_execz .LBB1013_43
; %bb.38:
	v_pk_mov_b32 v[6:7], s[6:7], s[6:7] op_sel:[0,1]
	v_mad_u64_u32 v[4:5], s[0:1], v11, s4, v[6:7]
	v_mul_lo_u32 v15, v11, s5
	v_mul_lo_u32 v16, v10, s4
	v_add3_u32 v5, v16, v5, v15
	v_mad_u64_u32 v[6:7], s[0:1], v13, s4, v[6:7]
	v_mul_lo_u32 v15, v13, s5
	v_mul_lo_u32 v16, v12, s4
	v_add3_u32 v7, v16, v7, v15
	s_mov_b64 s[28:29], 0
	s_mov_b64 s[38:39], s[4:5]
                                        ; implicit-def: $sgpr30_sgpr31
                                        ; implicit-def: $sgpr34_sgpr35
                                        ; implicit-def: $sgpr0_sgpr1
                                        ; implicit-def: $sgpr36_sgpr37
                                        ; implicit-def: $sgpr40_sgpr41
	s_branch .LBB1013_40
.LBB1013_39:                            ;   in Loop: Header=BB1013_40 Depth=1
	s_or_b64 exec, exec, s[42:43]
	s_and_b64 s[42:43], exec, s[34:35]
	s_or_b64 s[28:29], s[42:43], s[28:29]
	s_andn2_b64 s[40:41], s[40:41], exec
	s_and_b64 s[42:43], s[36:37], exec
	s_or_b64 s[40:41], s[40:41], s[42:43]
	s_andn2_b64 s[30:31], s[30:31], exec
	s_and_b64 s[42:43], s[0:1], exec
	s_or_b64 s[30:31], s[30:31], s[42:43]
	s_andn2_b64 exec, exec, s[28:29]
	s_cbranch_execz .LBB1013_42
.LBB1013_40:                            ; =>This Inner Loop Header: Depth=1
	global_load_ubyte v15, v[4:5], off
	global_load_ubyte v16, v[6:7], off
	s_andn2_b64 s[42:43], s[0:1], exec
	s_andn2_b64 s[36:37], s[36:37], exec
	s_or_b64 s[34:35], s[34:35], exec
	s_waitcnt vmcnt(1)
	v_cmp_eq_u16_e32 vcc, 0, v15
	s_waitcnt vmcnt(0)
	v_cmp_ne_u16_e64 s[0:1], 0, v16
	s_or_b64 s[46:47], vcc, s[0:1]
	s_and_b64 s[44:45], vcc, s[0:1]
	s_xor_b64 s[48:49], vcc, s[0:1]
	s_and_b64 s[0:1], s[46:47], s[40:41]
	s_or_b64 s[44:45], s[44:45], s[0:1]
	s_and_b64 s[0:1], s[44:45], exec
	s_or_b64 s[0:1], s[42:43], s[0:1]
	s_and_saveexec_b64 s[42:43], s[48:49]
	s_cbranch_execz .LBB1013_39
; %bb.41:                               ;   in Loop: Header=BB1013_40 Depth=1
	s_add_u32 s38, s38, -1
	s_addc_u32 s39, s39, -1
	v_add_co_u32_e32 v4, vcc, 1, v4
	s_cmp_eq_u64 s[38:39], 0
	v_addc_co_u32_e32 v5, vcc, 0, v5, vcc
	s_cselect_b64 s[40:41], -1, 0
	v_add_co_u32_e32 v6, vcc, 1, v6
	s_andn2_b64 s[36:37], s[36:37], exec
	s_and_b64 s[44:45], s[44:45], exec
	s_andn2_b64 s[34:35], s[34:35], exec
	s_and_b64 s[40:41], s[40:41], exec
	v_addc_co_u32_e32 v7, vcc, 0, v7, vcc
	s_or_b64 s[36:37], s[36:37], s[44:45]
	s_andn2_b64 s[0:1], s[0:1], exec
	s_or_b64 s[34:35], s[34:35], s[40:41]
                                        ; implicit-def: $sgpr40_sgpr41
	s_branch .LBB1013_39
.LBB1013_42:
	s_or_b64 exec, exec, s[28:29]
	s_xor_b64 s[0:1], s[30:31], -1
	s_andn2_b64 s[20:21], s[20:21], exec
	s_and_b64 s[0:1], s[0:1], exec
	s_or_b64 s[20:21], s[20:21], s[0:1]
.LBB1013_43:
	s_or_b64 exec, exec, s[26:27]
	s_orn2_b64 s[20:21], s[20:21], exec
.LBB1013_44:
	s_or_b64 exec, exec, s[24:25]
	v_mov_b32_e32 v5, s33
	v_mov_b32_e32 v6, s9
	v_cndmask_b32_e64 v4, v19, v20, s[20:21]
	v_cndmask_b32_e64 v5, v5, v6, s[20:21]
	v_add_u32_e32 v6, 1, v4
	v_add_u32_e32 v4, -1, v5
	v_min_u32_e32 v4, v6, v4
	v_lshlrev_b32_e32 v4, 3, v4
	ds_read_b64 v[4:5], v4
	v_cndmask_b32_e64 v24, v6, v19, s[20:21]
	v_cndmask_b32_e64 v19, v20, v6, s[20:21]
	v_cmp_gt_u32_e32 vcc, s33, v24
	s_waitcnt lgkmcnt(0)
	v_cndmask_b32_e64 v15, v5, v10, s[20:21]
	v_cndmask_b32_e64 v16, v4, v11, s[20:21]
	;; [unrolled: 1-line block ×4, first 2 shown]
	s_and_saveexec_b64 s[24:25], vcc
	s_cbranch_execz .LBB1013_52
; %bb.45:
	v_cmp_gt_u32_e64 s[22:23], s9, v19
	s_xor_b64 s[0:1], s[18:19], -1
	s_and_b64 s[0:1], s[22:23], s[0:1]
	s_and_saveexec_b64 s[26:27], s[0:1]
	s_cbranch_execz .LBB1013_51
; %bb.46:
	v_pk_mov_b32 v[6:7], s[6:7], s[6:7] op_sel:[0,1]
	v_mad_u64_u32 v[4:5], s[0:1], v16, s4, v[6:7]
	v_mul_lo_u32 v20, v16, s5
	v_mul_lo_u32 v21, v15, s4
	v_add3_u32 v5, v21, v5, v20
	v_mad_u64_u32 v[6:7], s[0:1], v18, s4, v[6:7]
	v_mul_lo_u32 v20, v18, s5
	v_mul_lo_u32 v21, v17, s4
	v_add3_u32 v7, v21, v7, v20
	s_mov_b64 s[28:29], 0
	s_mov_b64 s[38:39], s[4:5]
                                        ; implicit-def: $sgpr30_sgpr31
                                        ; implicit-def: $sgpr34_sgpr35
                                        ; implicit-def: $sgpr0_sgpr1
                                        ; implicit-def: $sgpr36_sgpr37
                                        ; implicit-def: $sgpr40_sgpr41
	s_branch .LBB1013_48
.LBB1013_47:                            ;   in Loop: Header=BB1013_48 Depth=1
	s_or_b64 exec, exec, s[42:43]
	s_and_b64 s[42:43], exec, s[34:35]
	s_or_b64 s[28:29], s[42:43], s[28:29]
	s_andn2_b64 s[40:41], s[40:41], exec
	s_and_b64 s[42:43], s[36:37], exec
	s_or_b64 s[40:41], s[40:41], s[42:43]
	s_andn2_b64 s[30:31], s[30:31], exec
	s_and_b64 s[42:43], s[0:1], exec
	s_or_b64 s[30:31], s[30:31], s[42:43]
	s_andn2_b64 exec, exec, s[28:29]
	s_cbranch_execz .LBB1013_50
.LBB1013_48:                            ; =>This Inner Loop Header: Depth=1
	global_load_ubyte v20, v[4:5], off
	global_load_ubyte v21, v[6:7], off
	s_andn2_b64 s[42:43], s[0:1], exec
	s_andn2_b64 s[36:37], s[36:37], exec
	s_or_b64 s[34:35], s[34:35], exec
	s_waitcnt vmcnt(1)
	v_cmp_eq_u16_e32 vcc, 0, v20
	s_waitcnt vmcnt(0)
	v_cmp_ne_u16_e64 s[0:1], 0, v21
	s_or_b64 s[46:47], vcc, s[0:1]
	s_and_b64 s[44:45], vcc, s[0:1]
	s_xor_b64 s[48:49], vcc, s[0:1]
	s_and_b64 s[0:1], s[46:47], s[40:41]
	s_or_b64 s[44:45], s[44:45], s[0:1]
	s_and_b64 s[0:1], s[44:45], exec
	s_or_b64 s[0:1], s[42:43], s[0:1]
	s_and_saveexec_b64 s[42:43], s[48:49]
	s_cbranch_execz .LBB1013_47
; %bb.49:                               ;   in Loop: Header=BB1013_48 Depth=1
	s_add_u32 s38, s38, -1
	s_addc_u32 s39, s39, -1
	v_add_co_u32_e32 v4, vcc, 1, v4
	s_cmp_eq_u64 s[38:39], 0
	v_addc_co_u32_e32 v5, vcc, 0, v5, vcc
	s_cselect_b64 s[40:41], -1, 0
	v_add_co_u32_e32 v6, vcc, 1, v6
	s_andn2_b64 s[36:37], s[36:37], exec
	s_and_b64 s[44:45], s[44:45], exec
	s_andn2_b64 s[34:35], s[34:35], exec
	s_and_b64 s[40:41], s[40:41], exec
	v_addc_co_u32_e32 v7, vcc, 0, v7, vcc
	s_or_b64 s[36:37], s[36:37], s[44:45]
	s_andn2_b64 s[0:1], s[0:1], exec
	s_or_b64 s[34:35], s[34:35], s[40:41]
                                        ; implicit-def: $sgpr40_sgpr41
	s_branch .LBB1013_47
.LBB1013_50:
	s_or_b64 exec, exec, s[28:29]
	s_xor_b64 s[0:1], s[30:31], -1
	s_andn2_b64 s[22:23], s[22:23], exec
	s_and_b64 s[0:1], s[0:1], exec
	s_or_b64 s[22:23], s[22:23], s[0:1]
.LBB1013_51:
	s_or_b64 exec, exec, s[26:27]
	s_orn2_b64 s[22:23], s[22:23], exec
.LBB1013_52:
	s_or_b64 exec, exec, s[24:25]
	v_mov_b32_e32 v5, s33
	v_mov_b32_e32 v6, s9
	v_cndmask_b32_e64 v4, v24, v19, s[22:23]
	v_cndmask_b32_e64 v5, v5, v6, s[22:23]
	v_add_u32_e32 v4, 1, v4
	v_add_u32_e32 v5, -1, v5
	v_min_u32_e32 v5, v4, v5
	v_lshlrev_b32_e32 v5, 3, v5
	ds_read_b64 v[6:7], v5
	v_cndmask_b32_e64 v5, v4, v24, s[22:23]
	v_cmp_gt_u32_e32 vcc, s33, v5
	s_mov_b64 s[0:1], -1
	s_waitcnt lgkmcnt(0)
	v_cndmask_b32_e64 v20, v7, v15, s[22:23]
	v_cndmask_b32_e64 v21, v6, v16, s[22:23]
	;; [unrolled: 1-line block ×4, first 2 shown]
	s_and_saveexec_b64 s[24:25], vcc
	s_cbranch_execz .LBB1013_60
; %bb.53:
	v_cndmask_b32_e64 v4, v19, v4, s[22:23]
	v_cmp_gt_u32_e64 s[26:27], s9, v4
	s_xor_b64 s[0:1], s[18:19], -1
	s_and_b64 s[0:1], s[26:27], s[0:1]
	s_and_saveexec_b64 s[18:19], s[0:1]
	s_cbranch_execz .LBB1013_59
; %bb.54:
	v_pk_mov_b32 v[6:7], s[6:7], s[6:7] op_sel:[0,1]
	v_mad_u64_u32 v[4:5], s[0:1], v21, s4, v[6:7]
	v_mul_lo_u32 v19, v21, s5
	v_mul_lo_u32 v24, v20, s4
	v_add3_u32 v5, v24, v5, v19
	v_mad_u64_u32 v[6:7], s[0:1], v23, s4, v[6:7]
	v_mul_lo_u32 v19, v23, s5
	v_mul_lo_u32 v24, v22, s4
	v_add3_u32 v7, v24, v7, v19
	s_mov_b64 s[6:7], 0
                                        ; implicit-def: $sgpr28_sgpr29
                                        ; implicit-def: $sgpr30_sgpr31
                                        ; implicit-def: $sgpr0_sgpr1
                                        ; implicit-def: $sgpr34_sgpr35
                                        ; implicit-def: $sgpr36_sgpr37
	s_branch .LBB1013_56
.LBB1013_55:                            ;   in Loop: Header=BB1013_56 Depth=1
	s_or_b64 exec, exec, s[38:39]
	s_and_b64 s[38:39], exec, s[30:31]
	s_or_b64 s[6:7], s[38:39], s[6:7]
	s_andn2_b64 s[36:37], s[36:37], exec
	s_and_b64 s[38:39], s[34:35], exec
	s_or_b64 s[36:37], s[36:37], s[38:39]
	s_andn2_b64 s[28:29], s[28:29], exec
	s_and_b64 s[38:39], s[0:1], exec
	s_or_b64 s[28:29], s[28:29], s[38:39]
	s_andn2_b64 exec, exec, s[6:7]
	s_cbranch_execz .LBB1013_58
.LBB1013_56:                            ; =>This Inner Loop Header: Depth=1
	global_load_ubyte v19, v[4:5], off
	global_load_ubyte v24, v[6:7], off
	s_andn2_b64 s[38:39], s[0:1], exec
	s_andn2_b64 s[34:35], s[34:35], exec
	s_or_b64 s[30:31], s[30:31], exec
	s_waitcnt vmcnt(1)
	v_cmp_eq_u16_e32 vcc, 0, v19
	s_waitcnt vmcnt(0)
	v_cmp_ne_u16_e64 s[0:1], 0, v24
	s_or_b64 s[42:43], vcc, s[0:1]
	s_and_b64 s[40:41], vcc, s[0:1]
	s_xor_b64 s[44:45], vcc, s[0:1]
	s_and_b64 s[0:1], s[42:43], s[36:37]
	s_or_b64 s[40:41], s[40:41], s[0:1]
	s_and_b64 s[0:1], s[40:41], exec
	s_or_b64 s[0:1], s[38:39], s[0:1]
	s_and_saveexec_b64 s[38:39], s[44:45]
	s_cbranch_execz .LBB1013_55
; %bb.57:                               ;   in Loop: Header=BB1013_56 Depth=1
	s_add_u32 s4, s4, -1
	s_addc_u32 s5, s5, -1
	v_add_co_u32_e32 v4, vcc, 1, v4
	s_cmp_eq_u64 s[4:5], 0
	v_addc_co_u32_e32 v5, vcc, 0, v5, vcc
	s_cselect_b64 s[36:37], -1, 0
	v_add_co_u32_e32 v6, vcc, 1, v6
	s_andn2_b64 s[34:35], s[34:35], exec
	s_and_b64 s[40:41], s[40:41], exec
	s_andn2_b64 s[30:31], s[30:31], exec
	s_and_b64 s[36:37], s[36:37], exec
	v_addc_co_u32_e32 v7, vcc, 0, v7, vcc
	s_or_b64 s[34:35], s[34:35], s[40:41]
	s_andn2_b64 s[0:1], s[0:1], exec
	s_or_b64 s[30:31], s[30:31], s[36:37]
                                        ; implicit-def: $sgpr36_sgpr37
	s_branch .LBB1013_55
.LBB1013_58:
	s_or_b64 exec, exec, s[6:7]
	s_xor_b64 s[0:1], s[28:29], -1
	s_andn2_b64 s[4:5], s[26:27], exec
	s_and_b64 s[0:1], s[0:1], exec
	s_or_b64 s[26:27], s[4:5], s[0:1]
.LBB1013_59:
	s_or_b64 exec, exec, s[18:19]
	s_orn2_b64 s[0:1], s[26:27], exec
.LBB1013_60:
	s_or_b64 exec, exec, s[24:25]
	v_cndmask_b32_e64 v7, v15, v17, s[22:23]
	v_cndmask_b32_e64 v6, v16, v18, s[22:23]
	v_cndmask_b32_e64 v5, v10, v12, s[20:21]
	v_cndmask_b32_e64 v4, v11, v13, s[20:21]
	v_cndmask_b32_e64 v3, v9, v3, s[2:3]
	v_cndmask_b32_e64 v2, v8, v2, s[2:3]
	v_cndmask_b32_e64 v9, v20, v22, s[0:1]
	v_cndmask_b32_e64 v8, v21, v23, s[0:1]
.LBB1013_61:
	s_or_b64 exec, exec, s[12:13]
	v_and_b32_e32 v10, 0xf8, v0
	v_lshl_add_u32 v10, v14, 3, v10
	s_barrier
	s_barrier
	ds_write2_b64 v10, v[2:3], v[4:5] offset1:1
	ds_write2_b64 v10, v[6:7], v[8:9] offset0:2 offset1:3
	v_lshrrev_b32_e32 v2, 2, v0
	v_and_b32_e32 v2, 56, v2
	v_or_b32_e32 v12, 0x100, v0
	v_add_u32_e32 v13, v1, v2
	v_lshrrev_b32_e32 v2, 2, v12
	v_and_b32_e32 v2, 0x78, v2
	v_or_b32_e32 v11, 0x200, v0
	v_add_u32_e32 v6, v1, v2
	v_lshrrev_b32_e32 v2, 2, v11
	s_lshl_b64 s[0:1], s[16:17], 3
	v_and_b32_e32 v2, 0xb8, v2
	v_or_b32_e32 v10, 0x300, v0
	s_add_u32 s0, s14, s0
	v_add_u32_e32 v7, v1, v2
	v_lshrrev_b32_e32 v2, 2, v10
	s_addc_u32 s1, s15, s1
	v_and_b32_e32 v2, 0xf8, v2
	v_add_u32_e32 v14, v1, v2
	v_mov_b32_e32 v3, s1
	v_add_co_u32_e32 v2, vcc, s0, v1
	v_addc_co_u32_e32 v3, vcc, 0, v3, vcc
	s_and_b64 vcc, exec, s[10:11]
	s_waitcnt lgkmcnt(0)
	s_cbranch_vccz .LBB1013_63
; %bb.62:
	s_barrier
	ds_read_b64 v[8:9], v13
	ds_read_b64 v[16:17], v6 offset:2048
	ds_read_b64 v[18:19], v7 offset:4096
	;; [unrolled: 1-line block ×3, first 2 shown]
	s_waitcnt lgkmcnt(3)
	global_store_dwordx2 v[2:3], v[8:9], off
	s_waitcnt lgkmcnt(2)
	global_store_dwordx2 v[2:3], v[16:17], off offset:2048
	v_add_co_u32_e32 v8, vcc, 0x1000, v2
	v_addc_co_u32_e32 v9, vcc, 0, v3, vcc
	s_waitcnt lgkmcnt(1)
	global_store_dwordx2 v[8:9], v[18:19], off
	s_mov_b64 s[0:1], -1
	s_cbranch_execz .LBB1013_64
	s_branch .LBB1013_69
.LBB1013_63:
	s_mov_b64 s[0:1], 0
                                        ; implicit-def: $vgpr4_vgpr5
.LBB1013_64:
	s_barrier
	s_waitcnt lgkmcnt(0)
	ds_read_b64 v[8:9], v6 offset:2048
	ds_read_b64 v[6:7], v7 offset:4096
	;; [unrolled: 1-line block ×3, first 2 shown]
	s_sub_i32 s2, s8, s16
	v_cmp_gt_u32_e32 vcc, s2, v0
	s_and_saveexec_b64 s[0:1], vcc
	s_cbranch_execnz .LBB1013_72
; %bb.65:
	s_or_b64 exec, exec, s[0:1]
	v_cmp_gt_u32_e32 vcc, s2, v12
	s_and_saveexec_b64 s[0:1], vcc
	s_cbranch_execnz .LBB1013_73
.LBB1013_66:
	s_or_b64 exec, exec, s[0:1]
	v_cmp_gt_u32_e32 vcc, s2, v11
	s_and_saveexec_b64 s[0:1], vcc
	s_cbranch_execz .LBB1013_68
.LBB1013_67:
	v_add_co_u32_e32 v0, vcc, 0x1000, v2
	v_addc_co_u32_e32 v1, vcc, 0, v3, vcc
	s_waitcnt lgkmcnt(1)
	global_store_dwordx2 v[0:1], v[6:7], off
.LBB1013_68:
	s_or_b64 exec, exec, s[0:1]
	v_cmp_gt_u32_e64 s[0:1], s2, v10
.LBB1013_69:
	s_and_saveexec_b64 s[2:3], s[0:1]
	s_cbranch_execz .LBB1013_71
; %bb.70:
	v_add_co_u32_e32 v0, vcc, 0x1000, v2
	v_addc_co_u32_e32 v1, vcc, 0, v3, vcc
	s_waitcnt lgkmcnt(0)
	global_store_dwordx2 v[0:1], v[4:5], off offset:2048
.LBB1013_71:
	s_endpgm
.LBB1013_72:
	ds_read_b64 v[0:1], v13
	s_waitcnt lgkmcnt(0)
	global_store_dwordx2 v[2:3], v[0:1], off
	s_or_b64 exec, exec, s[0:1]
	v_cmp_gt_u32_e32 vcc, s2, v12
	s_and_saveexec_b64 s[0:1], vcc
	s_cbranch_execz .LBB1013_66
.LBB1013_73:
	s_waitcnt lgkmcnt(2)
	global_store_dwordx2 v[2:3], v[8:9], off offset:2048
	s_or_b64 exec, exec, s[0:1]
	v_cmp_gt_u32_e32 vcc, s2, v11
	s_and_saveexec_b64 s[0:1], vcc
	s_cbranch_execnz .LBB1013_67
	s_branch .LBB1013_68
	.section	.rodata,"a",@progbits
	.p2align	6, 0x0
	.amdhsa_kernel _ZN7rocprim17ROCPRIM_400000_NS6detail17trampoline_kernelINS0_14default_configENS1_38merge_sort_block_merge_config_selectorIlNS0_10empty_typeEEEZZNS1_27merge_sort_block_merge_implIS3_PlPS5_mZN2at6native12_GLOBAL__N_124unique_dim_cuda_templateIbEESt5tupleIJNSA_6TensorESF_SF_EERKSF_lbbbEUlllE_EE10hipError_tT0_T1_T2_jT3_P12ihipStream_tbPNSt15iterator_traitsISL_E10value_typeEPNSR_ISM_E10value_typeEPSN_NS1_7vsmem_tEENKUlT_SL_SM_SN_E_clIS8_S8_S9_S9_EESK_S10_SL_SM_SN_EUlS10_E0_NS1_11comp_targetILNS1_3genE4ELNS1_11target_archE910ELNS1_3gpuE8ELNS1_3repE0EEENS1_38merge_mergepath_config_static_selectorELNS0_4arch9wavefront6targetE1EEEvSM_
		.amdhsa_group_segment_fixed_size 8448
		.amdhsa_private_segment_fixed_size 0
		.amdhsa_kernarg_size 344
		.amdhsa_user_sgpr_count 6
		.amdhsa_user_sgpr_private_segment_buffer 1
		.amdhsa_user_sgpr_dispatch_ptr 0
		.amdhsa_user_sgpr_queue_ptr 0
		.amdhsa_user_sgpr_kernarg_segment_ptr 1
		.amdhsa_user_sgpr_dispatch_id 0
		.amdhsa_user_sgpr_flat_scratch_init 0
		.amdhsa_user_sgpr_kernarg_preload_length 0
		.amdhsa_user_sgpr_kernarg_preload_offset 0
		.amdhsa_user_sgpr_private_segment_size 0
		.amdhsa_uses_dynamic_stack 0
		.amdhsa_system_sgpr_private_segment_wavefront_offset 0
		.amdhsa_system_sgpr_workgroup_id_x 1
		.amdhsa_system_sgpr_workgroup_id_y 1
		.amdhsa_system_sgpr_workgroup_id_z 1
		.amdhsa_system_sgpr_workgroup_info 0
		.amdhsa_system_vgpr_workitem_id 0
		.amdhsa_next_free_vgpr 25
		.amdhsa_next_free_sgpr 50
		.amdhsa_accum_offset 28
		.amdhsa_reserve_vcc 1
		.amdhsa_reserve_flat_scratch 0
		.amdhsa_float_round_mode_32 0
		.amdhsa_float_round_mode_16_64 0
		.amdhsa_float_denorm_mode_32 3
		.amdhsa_float_denorm_mode_16_64 3
		.amdhsa_dx10_clamp 1
		.amdhsa_ieee_mode 1
		.amdhsa_fp16_overflow 0
		.amdhsa_tg_split 0
		.amdhsa_exception_fp_ieee_invalid_op 0
		.amdhsa_exception_fp_denorm_src 0
		.amdhsa_exception_fp_ieee_div_zero 0
		.amdhsa_exception_fp_ieee_overflow 0
		.amdhsa_exception_fp_ieee_underflow 0
		.amdhsa_exception_fp_ieee_inexact 0
		.amdhsa_exception_int_div_zero 0
	.end_amdhsa_kernel
	.section	.text._ZN7rocprim17ROCPRIM_400000_NS6detail17trampoline_kernelINS0_14default_configENS1_38merge_sort_block_merge_config_selectorIlNS0_10empty_typeEEEZZNS1_27merge_sort_block_merge_implIS3_PlPS5_mZN2at6native12_GLOBAL__N_124unique_dim_cuda_templateIbEESt5tupleIJNSA_6TensorESF_SF_EERKSF_lbbbEUlllE_EE10hipError_tT0_T1_T2_jT3_P12ihipStream_tbPNSt15iterator_traitsISL_E10value_typeEPNSR_ISM_E10value_typeEPSN_NS1_7vsmem_tEENKUlT_SL_SM_SN_E_clIS8_S8_S9_S9_EESK_S10_SL_SM_SN_EUlS10_E0_NS1_11comp_targetILNS1_3genE4ELNS1_11target_archE910ELNS1_3gpuE8ELNS1_3repE0EEENS1_38merge_mergepath_config_static_selectorELNS0_4arch9wavefront6targetE1EEEvSM_,"axG",@progbits,_ZN7rocprim17ROCPRIM_400000_NS6detail17trampoline_kernelINS0_14default_configENS1_38merge_sort_block_merge_config_selectorIlNS0_10empty_typeEEEZZNS1_27merge_sort_block_merge_implIS3_PlPS5_mZN2at6native12_GLOBAL__N_124unique_dim_cuda_templateIbEESt5tupleIJNSA_6TensorESF_SF_EERKSF_lbbbEUlllE_EE10hipError_tT0_T1_T2_jT3_P12ihipStream_tbPNSt15iterator_traitsISL_E10value_typeEPNSR_ISM_E10value_typeEPSN_NS1_7vsmem_tEENKUlT_SL_SM_SN_E_clIS8_S8_S9_S9_EESK_S10_SL_SM_SN_EUlS10_E0_NS1_11comp_targetILNS1_3genE4ELNS1_11target_archE910ELNS1_3gpuE8ELNS1_3repE0EEENS1_38merge_mergepath_config_static_selectorELNS0_4arch9wavefront6targetE1EEEvSM_,comdat
.Lfunc_end1013:
	.size	_ZN7rocprim17ROCPRIM_400000_NS6detail17trampoline_kernelINS0_14default_configENS1_38merge_sort_block_merge_config_selectorIlNS0_10empty_typeEEEZZNS1_27merge_sort_block_merge_implIS3_PlPS5_mZN2at6native12_GLOBAL__N_124unique_dim_cuda_templateIbEESt5tupleIJNSA_6TensorESF_SF_EERKSF_lbbbEUlllE_EE10hipError_tT0_T1_T2_jT3_P12ihipStream_tbPNSt15iterator_traitsISL_E10value_typeEPNSR_ISM_E10value_typeEPSN_NS1_7vsmem_tEENKUlT_SL_SM_SN_E_clIS8_S8_S9_S9_EESK_S10_SL_SM_SN_EUlS10_E0_NS1_11comp_targetILNS1_3genE4ELNS1_11target_archE910ELNS1_3gpuE8ELNS1_3repE0EEENS1_38merge_mergepath_config_static_selectorELNS0_4arch9wavefront6targetE1EEEvSM_, .Lfunc_end1013-_ZN7rocprim17ROCPRIM_400000_NS6detail17trampoline_kernelINS0_14default_configENS1_38merge_sort_block_merge_config_selectorIlNS0_10empty_typeEEEZZNS1_27merge_sort_block_merge_implIS3_PlPS5_mZN2at6native12_GLOBAL__N_124unique_dim_cuda_templateIbEESt5tupleIJNSA_6TensorESF_SF_EERKSF_lbbbEUlllE_EE10hipError_tT0_T1_T2_jT3_P12ihipStream_tbPNSt15iterator_traitsISL_E10value_typeEPNSR_ISM_E10value_typeEPSN_NS1_7vsmem_tEENKUlT_SL_SM_SN_E_clIS8_S8_S9_S9_EESK_S10_SL_SM_SN_EUlS10_E0_NS1_11comp_targetILNS1_3genE4ELNS1_11target_archE910ELNS1_3gpuE8ELNS1_3repE0EEENS1_38merge_mergepath_config_static_selectorELNS0_4arch9wavefront6targetE1EEEvSM_
                                        ; -- End function
	.section	.AMDGPU.csdata,"",@progbits
; Kernel info:
; codeLenInByte = 3960
; NumSgprs: 54
; NumVgprs: 25
; NumAgprs: 0
; TotalNumVgprs: 25
; ScratchSize: 0
; MemoryBound: 0
; FloatMode: 240
; IeeeMode: 1
; LDSByteSize: 8448 bytes/workgroup (compile time only)
; SGPRBlocks: 6
; VGPRBlocks: 3
; NumSGPRsForWavesPerEU: 54
; NumVGPRsForWavesPerEU: 25
; AccumOffset: 28
; Occupancy: 7
; WaveLimiterHint : 1
; COMPUTE_PGM_RSRC2:SCRATCH_EN: 0
; COMPUTE_PGM_RSRC2:USER_SGPR: 6
; COMPUTE_PGM_RSRC2:TRAP_HANDLER: 0
; COMPUTE_PGM_RSRC2:TGID_X_EN: 1
; COMPUTE_PGM_RSRC2:TGID_Y_EN: 1
; COMPUTE_PGM_RSRC2:TGID_Z_EN: 1
; COMPUTE_PGM_RSRC2:TIDIG_COMP_CNT: 0
; COMPUTE_PGM_RSRC3_GFX90A:ACCUM_OFFSET: 6
; COMPUTE_PGM_RSRC3_GFX90A:TG_SPLIT: 0
	.section	.text._ZN7rocprim17ROCPRIM_400000_NS6detail17trampoline_kernelINS0_14default_configENS1_38merge_sort_block_merge_config_selectorIlNS0_10empty_typeEEEZZNS1_27merge_sort_block_merge_implIS3_PlPS5_mZN2at6native12_GLOBAL__N_124unique_dim_cuda_templateIbEESt5tupleIJNSA_6TensorESF_SF_EERKSF_lbbbEUlllE_EE10hipError_tT0_T1_T2_jT3_P12ihipStream_tbPNSt15iterator_traitsISL_E10value_typeEPNSR_ISM_E10value_typeEPSN_NS1_7vsmem_tEENKUlT_SL_SM_SN_E_clIS8_S8_S9_S9_EESK_S10_SL_SM_SN_EUlS10_E0_NS1_11comp_targetILNS1_3genE3ELNS1_11target_archE908ELNS1_3gpuE7ELNS1_3repE0EEENS1_38merge_mergepath_config_static_selectorELNS0_4arch9wavefront6targetE1EEEvSM_,"axG",@progbits,_ZN7rocprim17ROCPRIM_400000_NS6detail17trampoline_kernelINS0_14default_configENS1_38merge_sort_block_merge_config_selectorIlNS0_10empty_typeEEEZZNS1_27merge_sort_block_merge_implIS3_PlPS5_mZN2at6native12_GLOBAL__N_124unique_dim_cuda_templateIbEESt5tupleIJNSA_6TensorESF_SF_EERKSF_lbbbEUlllE_EE10hipError_tT0_T1_T2_jT3_P12ihipStream_tbPNSt15iterator_traitsISL_E10value_typeEPNSR_ISM_E10value_typeEPSN_NS1_7vsmem_tEENKUlT_SL_SM_SN_E_clIS8_S8_S9_S9_EESK_S10_SL_SM_SN_EUlS10_E0_NS1_11comp_targetILNS1_3genE3ELNS1_11target_archE908ELNS1_3gpuE7ELNS1_3repE0EEENS1_38merge_mergepath_config_static_selectorELNS0_4arch9wavefront6targetE1EEEvSM_,comdat
	.globl	_ZN7rocprim17ROCPRIM_400000_NS6detail17trampoline_kernelINS0_14default_configENS1_38merge_sort_block_merge_config_selectorIlNS0_10empty_typeEEEZZNS1_27merge_sort_block_merge_implIS3_PlPS5_mZN2at6native12_GLOBAL__N_124unique_dim_cuda_templateIbEESt5tupleIJNSA_6TensorESF_SF_EERKSF_lbbbEUlllE_EE10hipError_tT0_T1_T2_jT3_P12ihipStream_tbPNSt15iterator_traitsISL_E10value_typeEPNSR_ISM_E10value_typeEPSN_NS1_7vsmem_tEENKUlT_SL_SM_SN_E_clIS8_S8_S9_S9_EESK_S10_SL_SM_SN_EUlS10_E0_NS1_11comp_targetILNS1_3genE3ELNS1_11target_archE908ELNS1_3gpuE7ELNS1_3repE0EEENS1_38merge_mergepath_config_static_selectorELNS0_4arch9wavefront6targetE1EEEvSM_ ; -- Begin function _ZN7rocprim17ROCPRIM_400000_NS6detail17trampoline_kernelINS0_14default_configENS1_38merge_sort_block_merge_config_selectorIlNS0_10empty_typeEEEZZNS1_27merge_sort_block_merge_implIS3_PlPS5_mZN2at6native12_GLOBAL__N_124unique_dim_cuda_templateIbEESt5tupleIJNSA_6TensorESF_SF_EERKSF_lbbbEUlllE_EE10hipError_tT0_T1_T2_jT3_P12ihipStream_tbPNSt15iterator_traitsISL_E10value_typeEPNSR_ISM_E10value_typeEPSN_NS1_7vsmem_tEENKUlT_SL_SM_SN_E_clIS8_S8_S9_S9_EESK_S10_SL_SM_SN_EUlS10_E0_NS1_11comp_targetILNS1_3genE3ELNS1_11target_archE908ELNS1_3gpuE7ELNS1_3repE0EEENS1_38merge_mergepath_config_static_selectorELNS0_4arch9wavefront6targetE1EEEvSM_
	.p2align	8
	.type	_ZN7rocprim17ROCPRIM_400000_NS6detail17trampoline_kernelINS0_14default_configENS1_38merge_sort_block_merge_config_selectorIlNS0_10empty_typeEEEZZNS1_27merge_sort_block_merge_implIS3_PlPS5_mZN2at6native12_GLOBAL__N_124unique_dim_cuda_templateIbEESt5tupleIJNSA_6TensorESF_SF_EERKSF_lbbbEUlllE_EE10hipError_tT0_T1_T2_jT3_P12ihipStream_tbPNSt15iterator_traitsISL_E10value_typeEPNSR_ISM_E10value_typeEPSN_NS1_7vsmem_tEENKUlT_SL_SM_SN_E_clIS8_S8_S9_S9_EESK_S10_SL_SM_SN_EUlS10_E0_NS1_11comp_targetILNS1_3genE3ELNS1_11target_archE908ELNS1_3gpuE7ELNS1_3repE0EEENS1_38merge_mergepath_config_static_selectorELNS0_4arch9wavefront6targetE1EEEvSM_,@function
_ZN7rocprim17ROCPRIM_400000_NS6detail17trampoline_kernelINS0_14default_configENS1_38merge_sort_block_merge_config_selectorIlNS0_10empty_typeEEEZZNS1_27merge_sort_block_merge_implIS3_PlPS5_mZN2at6native12_GLOBAL__N_124unique_dim_cuda_templateIbEESt5tupleIJNSA_6TensorESF_SF_EERKSF_lbbbEUlllE_EE10hipError_tT0_T1_T2_jT3_P12ihipStream_tbPNSt15iterator_traitsISL_E10value_typeEPNSR_ISM_E10value_typeEPSN_NS1_7vsmem_tEENKUlT_SL_SM_SN_E_clIS8_S8_S9_S9_EESK_S10_SL_SM_SN_EUlS10_E0_NS1_11comp_targetILNS1_3genE3ELNS1_11target_archE908ELNS1_3gpuE7ELNS1_3repE0EEENS1_38merge_mergepath_config_static_selectorELNS0_4arch9wavefront6targetE1EEEvSM_: ; @_ZN7rocprim17ROCPRIM_400000_NS6detail17trampoline_kernelINS0_14default_configENS1_38merge_sort_block_merge_config_selectorIlNS0_10empty_typeEEEZZNS1_27merge_sort_block_merge_implIS3_PlPS5_mZN2at6native12_GLOBAL__N_124unique_dim_cuda_templateIbEESt5tupleIJNSA_6TensorESF_SF_EERKSF_lbbbEUlllE_EE10hipError_tT0_T1_T2_jT3_P12ihipStream_tbPNSt15iterator_traitsISL_E10value_typeEPNSR_ISM_E10value_typeEPSN_NS1_7vsmem_tEENKUlT_SL_SM_SN_E_clIS8_S8_S9_S9_EESK_S10_SL_SM_SN_EUlS10_E0_NS1_11comp_targetILNS1_3genE3ELNS1_11target_archE908ELNS1_3gpuE7ELNS1_3repE0EEENS1_38merge_mergepath_config_static_selectorELNS0_4arch9wavefront6targetE1EEEvSM_
; %bb.0:
	.section	.rodata,"a",@progbits
	.p2align	6, 0x0
	.amdhsa_kernel _ZN7rocprim17ROCPRIM_400000_NS6detail17trampoline_kernelINS0_14default_configENS1_38merge_sort_block_merge_config_selectorIlNS0_10empty_typeEEEZZNS1_27merge_sort_block_merge_implIS3_PlPS5_mZN2at6native12_GLOBAL__N_124unique_dim_cuda_templateIbEESt5tupleIJNSA_6TensorESF_SF_EERKSF_lbbbEUlllE_EE10hipError_tT0_T1_T2_jT3_P12ihipStream_tbPNSt15iterator_traitsISL_E10value_typeEPNSR_ISM_E10value_typeEPSN_NS1_7vsmem_tEENKUlT_SL_SM_SN_E_clIS8_S8_S9_S9_EESK_S10_SL_SM_SN_EUlS10_E0_NS1_11comp_targetILNS1_3genE3ELNS1_11target_archE908ELNS1_3gpuE7ELNS1_3repE0EEENS1_38merge_mergepath_config_static_selectorELNS0_4arch9wavefront6targetE1EEEvSM_
		.amdhsa_group_segment_fixed_size 0
		.amdhsa_private_segment_fixed_size 0
		.amdhsa_kernarg_size 88
		.amdhsa_user_sgpr_count 6
		.amdhsa_user_sgpr_private_segment_buffer 1
		.amdhsa_user_sgpr_dispatch_ptr 0
		.amdhsa_user_sgpr_queue_ptr 0
		.amdhsa_user_sgpr_kernarg_segment_ptr 1
		.amdhsa_user_sgpr_dispatch_id 0
		.amdhsa_user_sgpr_flat_scratch_init 0
		.amdhsa_user_sgpr_kernarg_preload_length 0
		.amdhsa_user_sgpr_kernarg_preload_offset 0
		.amdhsa_user_sgpr_private_segment_size 0
		.amdhsa_uses_dynamic_stack 0
		.amdhsa_system_sgpr_private_segment_wavefront_offset 0
		.amdhsa_system_sgpr_workgroup_id_x 1
		.amdhsa_system_sgpr_workgroup_id_y 0
		.amdhsa_system_sgpr_workgroup_id_z 0
		.amdhsa_system_sgpr_workgroup_info 0
		.amdhsa_system_vgpr_workitem_id 0
		.amdhsa_next_free_vgpr 1
		.amdhsa_next_free_sgpr 0
		.amdhsa_accum_offset 4
		.amdhsa_reserve_vcc 0
		.amdhsa_reserve_flat_scratch 0
		.amdhsa_float_round_mode_32 0
		.amdhsa_float_round_mode_16_64 0
		.amdhsa_float_denorm_mode_32 3
		.amdhsa_float_denorm_mode_16_64 3
		.amdhsa_dx10_clamp 1
		.amdhsa_ieee_mode 1
		.amdhsa_fp16_overflow 0
		.amdhsa_tg_split 0
		.amdhsa_exception_fp_ieee_invalid_op 0
		.amdhsa_exception_fp_denorm_src 0
		.amdhsa_exception_fp_ieee_div_zero 0
		.amdhsa_exception_fp_ieee_overflow 0
		.amdhsa_exception_fp_ieee_underflow 0
		.amdhsa_exception_fp_ieee_inexact 0
		.amdhsa_exception_int_div_zero 0
	.end_amdhsa_kernel
	.section	.text._ZN7rocprim17ROCPRIM_400000_NS6detail17trampoline_kernelINS0_14default_configENS1_38merge_sort_block_merge_config_selectorIlNS0_10empty_typeEEEZZNS1_27merge_sort_block_merge_implIS3_PlPS5_mZN2at6native12_GLOBAL__N_124unique_dim_cuda_templateIbEESt5tupleIJNSA_6TensorESF_SF_EERKSF_lbbbEUlllE_EE10hipError_tT0_T1_T2_jT3_P12ihipStream_tbPNSt15iterator_traitsISL_E10value_typeEPNSR_ISM_E10value_typeEPSN_NS1_7vsmem_tEENKUlT_SL_SM_SN_E_clIS8_S8_S9_S9_EESK_S10_SL_SM_SN_EUlS10_E0_NS1_11comp_targetILNS1_3genE3ELNS1_11target_archE908ELNS1_3gpuE7ELNS1_3repE0EEENS1_38merge_mergepath_config_static_selectorELNS0_4arch9wavefront6targetE1EEEvSM_,"axG",@progbits,_ZN7rocprim17ROCPRIM_400000_NS6detail17trampoline_kernelINS0_14default_configENS1_38merge_sort_block_merge_config_selectorIlNS0_10empty_typeEEEZZNS1_27merge_sort_block_merge_implIS3_PlPS5_mZN2at6native12_GLOBAL__N_124unique_dim_cuda_templateIbEESt5tupleIJNSA_6TensorESF_SF_EERKSF_lbbbEUlllE_EE10hipError_tT0_T1_T2_jT3_P12ihipStream_tbPNSt15iterator_traitsISL_E10value_typeEPNSR_ISM_E10value_typeEPSN_NS1_7vsmem_tEENKUlT_SL_SM_SN_E_clIS8_S8_S9_S9_EESK_S10_SL_SM_SN_EUlS10_E0_NS1_11comp_targetILNS1_3genE3ELNS1_11target_archE908ELNS1_3gpuE7ELNS1_3repE0EEENS1_38merge_mergepath_config_static_selectorELNS0_4arch9wavefront6targetE1EEEvSM_,comdat
.Lfunc_end1014:
	.size	_ZN7rocprim17ROCPRIM_400000_NS6detail17trampoline_kernelINS0_14default_configENS1_38merge_sort_block_merge_config_selectorIlNS0_10empty_typeEEEZZNS1_27merge_sort_block_merge_implIS3_PlPS5_mZN2at6native12_GLOBAL__N_124unique_dim_cuda_templateIbEESt5tupleIJNSA_6TensorESF_SF_EERKSF_lbbbEUlllE_EE10hipError_tT0_T1_T2_jT3_P12ihipStream_tbPNSt15iterator_traitsISL_E10value_typeEPNSR_ISM_E10value_typeEPSN_NS1_7vsmem_tEENKUlT_SL_SM_SN_E_clIS8_S8_S9_S9_EESK_S10_SL_SM_SN_EUlS10_E0_NS1_11comp_targetILNS1_3genE3ELNS1_11target_archE908ELNS1_3gpuE7ELNS1_3repE0EEENS1_38merge_mergepath_config_static_selectorELNS0_4arch9wavefront6targetE1EEEvSM_, .Lfunc_end1014-_ZN7rocprim17ROCPRIM_400000_NS6detail17trampoline_kernelINS0_14default_configENS1_38merge_sort_block_merge_config_selectorIlNS0_10empty_typeEEEZZNS1_27merge_sort_block_merge_implIS3_PlPS5_mZN2at6native12_GLOBAL__N_124unique_dim_cuda_templateIbEESt5tupleIJNSA_6TensorESF_SF_EERKSF_lbbbEUlllE_EE10hipError_tT0_T1_T2_jT3_P12ihipStream_tbPNSt15iterator_traitsISL_E10value_typeEPNSR_ISM_E10value_typeEPSN_NS1_7vsmem_tEENKUlT_SL_SM_SN_E_clIS8_S8_S9_S9_EESK_S10_SL_SM_SN_EUlS10_E0_NS1_11comp_targetILNS1_3genE3ELNS1_11target_archE908ELNS1_3gpuE7ELNS1_3repE0EEENS1_38merge_mergepath_config_static_selectorELNS0_4arch9wavefront6targetE1EEEvSM_
                                        ; -- End function
	.section	.AMDGPU.csdata,"",@progbits
; Kernel info:
; codeLenInByte = 0
; NumSgprs: 4
; NumVgprs: 0
; NumAgprs: 0
; TotalNumVgprs: 0
; ScratchSize: 0
; MemoryBound: 0
; FloatMode: 240
; IeeeMode: 1
; LDSByteSize: 0 bytes/workgroup (compile time only)
; SGPRBlocks: 0
; VGPRBlocks: 0
; NumSGPRsForWavesPerEU: 4
; NumVGPRsForWavesPerEU: 1
; AccumOffset: 4
; Occupancy: 8
; WaveLimiterHint : 0
; COMPUTE_PGM_RSRC2:SCRATCH_EN: 0
; COMPUTE_PGM_RSRC2:USER_SGPR: 6
; COMPUTE_PGM_RSRC2:TRAP_HANDLER: 0
; COMPUTE_PGM_RSRC2:TGID_X_EN: 1
; COMPUTE_PGM_RSRC2:TGID_Y_EN: 0
; COMPUTE_PGM_RSRC2:TGID_Z_EN: 0
; COMPUTE_PGM_RSRC2:TIDIG_COMP_CNT: 0
; COMPUTE_PGM_RSRC3_GFX90A:ACCUM_OFFSET: 0
; COMPUTE_PGM_RSRC3_GFX90A:TG_SPLIT: 0
	.section	.text._ZN7rocprim17ROCPRIM_400000_NS6detail17trampoline_kernelINS0_14default_configENS1_38merge_sort_block_merge_config_selectorIlNS0_10empty_typeEEEZZNS1_27merge_sort_block_merge_implIS3_PlPS5_mZN2at6native12_GLOBAL__N_124unique_dim_cuda_templateIbEESt5tupleIJNSA_6TensorESF_SF_EERKSF_lbbbEUlllE_EE10hipError_tT0_T1_T2_jT3_P12ihipStream_tbPNSt15iterator_traitsISL_E10value_typeEPNSR_ISM_E10value_typeEPSN_NS1_7vsmem_tEENKUlT_SL_SM_SN_E_clIS8_S8_S9_S9_EESK_S10_SL_SM_SN_EUlS10_E0_NS1_11comp_targetILNS1_3genE2ELNS1_11target_archE906ELNS1_3gpuE6ELNS1_3repE0EEENS1_38merge_mergepath_config_static_selectorELNS0_4arch9wavefront6targetE1EEEvSM_,"axG",@progbits,_ZN7rocprim17ROCPRIM_400000_NS6detail17trampoline_kernelINS0_14default_configENS1_38merge_sort_block_merge_config_selectorIlNS0_10empty_typeEEEZZNS1_27merge_sort_block_merge_implIS3_PlPS5_mZN2at6native12_GLOBAL__N_124unique_dim_cuda_templateIbEESt5tupleIJNSA_6TensorESF_SF_EERKSF_lbbbEUlllE_EE10hipError_tT0_T1_T2_jT3_P12ihipStream_tbPNSt15iterator_traitsISL_E10value_typeEPNSR_ISM_E10value_typeEPSN_NS1_7vsmem_tEENKUlT_SL_SM_SN_E_clIS8_S8_S9_S9_EESK_S10_SL_SM_SN_EUlS10_E0_NS1_11comp_targetILNS1_3genE2ELNS1_11target_archE906ELNS1_3gpuE6ELNS1_3repE0EEENS1_38merge_mergepath_config_static_selectorELNS0_4arch9wavefront6targetE1EEEvSM_,comdat
	.globl	_ZN7rocprim17ROCPRIM_400000_NS6detail17trampoline_kernelINS0_14default_configENS1_38merge_sort_block_merge_config_selectorIlNS0_10empty_typeEEEZZNS1_27merge_sort_block_merge_implIS3_PlPS5_mZN2at6native12_GLOBAL__N_124unique_dim_cuda_templateIbEESt5tupleIJNSA_6TensorESF_SF_EERKSF_lbbbEUlllE_EE10hipError_tT0_T1_T2_jT3_P12ihipStream_tbPNSt15iterator_traitsISL_E10value_typeEPNSR_ISM_E10value_typeEPSN_NS1_7vsmem_tEENKUlT_SL_SM_SN_E_clIS8_S8_S9_S9_EESK_S10_SL_SM_SN_EUlS10_E0_NS1_11comp_targetILNS1_3genE2ELNS1_11target_archE906ELNS1_3gpuE6ELNS1_3repE0EEENS1_38merge_mergepath_config_static_selectorELNS0_4arch9wavefront6targetE1EEEvSM_ ; -- Begin function _ZN7rocprim17ROCPRIM_400000_NS6detail17trampoline_kernelINS0_14default_configENS1_38merge_sort_block_merge_config_selectorIlNS0_10empty_typeEEEZZNS1_27merge_sort_block_merge_implIS3_PlPS5_mZN2at6native12_GLOBAL__N_124unique_dim_cuda_templateIbEESt5tupleIJNSA_6TensorESF_SF_EERKSF_lbbbEUlllE_EE10hipError_tT0_T1_T2_jT3_P12ihipStream_tbPNSt15iterator_traitsISL_E10value_typeEPNSR_ISM_E10value_typeEPSN_NS1_7vsmem_tEENKUlT_SL_SM_SN_E_clIS8_S8_S9_S9_EESK_S10_SL_SM_SN_EUlS10_E0_NS1_11comp_targetILNS1_3genE2ELNS1_11target_archE906ELNS1_3gpuE6ELNS1_3repE0EEENS1_38merge_mergepath_config_static_selectorELNS0_4arch9wavefront6targetE1EEEvSM_
	.p2align	8
	.type	_ZN7rocprim17ROCPRIM_400000_NS6detail17trampoline_kernelINS0_14default_configENS1_38merge_sort_block_merge_config_selectorIlNS0_10empty_typeEEEZZNS1_27merge_sort_block_merge_implIS3_PlPS5_mZN2at6native12_GLOBAL__N_124unique_dim_cuda_templateIbEESt5tupleIJNSA_6TensorESF_SF_EERKSF_lbbbEUlllE_EE10hipError_tT0_T1_T2_jT3_P12ihipStream_tbPNSt15iterator_traitsISL_E10value_typeEPNSR_ISM_E10value_typeEPSN_NS1_7vsmem_tEENKUlT_SL_SM_SN_E_clIS8_S8_S9_S9_EESK_S10_SL_SM_SN_EUlS10_E0_NS1_11comp_targetILNS1_3genE2ELNS1_11target_archE906ELNS1_3gpuE6ELNS1_3repE0EEENS1_38merge_mergepath_config_static_selectorELNS0_4arch9wavefront6targetE1EEEvSM_,@function
_ZN7rocprim17ROCPRIM_400000_NS6detail17trampoline_kernelINS0_14default_configENS1_38merge_sort_block_merge_config_selectorIlNS0_10empty_typeEEEZZNS1_27merge_sort_block_merge_implIS3_PlPS5_mZN2at6native12_GLOBAL__N_124unique_dim_cuda_templateIbEESt5tupleIJNSA_6TensorESF_SF_EERKSF_lbbbEUlllE_EE10hipError_tT0_T1_T2_jT3_P12ihipStream_tbPNSt15iterator_traitsISL_E10value_typeEPNSR_ISM_E10value_typeEPSN_NS1_7vsmem_tEENKUlT_SL_SM_SN_E_clIS8_S8_S9_S9_EESK_S10_SL_SM_SN_EUlS10_E0_NS1_11comp_targetILNS1_3genE2ELNS1_11target_archE906ELNS1_3gpuE6ELNS1_3repE0EEENS1_38merge_mergepath_config_static_selectorELNS0_4arch9wavefront6targetE1EEEvSM_: ; @_ZN7rocprim17ROCPRIM_400000_NS6detail17trampoline_kernelINS0_14default_configENS1_38merge_sort_block_merge_config_selectorIlNS0_10empty_typeEEEZZNS1_27merge_sort_block_merge_implIS3_PlPS5_mZN2at6native12_GLOBAL__N_124unique_dim_cuda_templateIbEESt5tupleIJNSA_6TensorESF_SF_EERKSF_lbbbEUlllE_EE10hipError_tT0_T1_T2_jT3_P12ihipStream_tbPNSt15iterator_traitsISL_E10value_typeEPNSR_ISM_E10value_typeEPSN_NS1_7vsmem_tEENKUlT_SL_SM_SN_E_clIS8_S8_S9_S9_EESK_S10_SL_SM_SN_EUlS10_E0_NS1_11comp_targetILNS1_3genE2ELNS1_11target_archE906ELNS1_3gpuE6ELNS1_3repE0EEENS1_38merge_mergepath_config_static_selectorELNS0_4arch9wavefront6targetE1EEEvSM_
; %bb.0:
	.section	.rodata,"a",@progbits
	.p2align	6, 0x0
	.amdhsa_kernel _ZN7rocprim17ROCPRIM_400000_NS6detail17trampoline_kernelINS0_14default_configENS1_38merge_sort_block_merge_config_selectorIlNS0_10empty_typeEEEZZNS1_27merge_sort_block_merge_implIS3_PlPS5_mZN2at6native12_GLOBAL__N_124unique_dim_cuda_templateIbEESt5tupleIJNSA_6TensorESF_SF_EERKSF_lbbbEUlllE_EE10hipError_tT0_T1_T2_jT3_P12ihipStream_tbPNSt15iterator_traitsISL_E10value_typeEPNSR_ISM_E10value_typeEPSN_NS1_7vsmem_tEENKUlT_SL_SM_SN_E_clIS8_S8_S9_S9_EESK_S10_SL_SM_SN_EUlS10_E0_NS1_11comp_targetILNS1_3genE2ELNS1_11target_archE906ELNS1_3gpuE6ELNS1_3repE0EEENS1_38merge_mergepath_config_static_selectorELNS0_4arch9wavefront6targetE1EEEvSM_
		.amdhsa_group_segment_fixed_size 0
		.amdhsa_private_segment_fixed_size 0
		.amdhsa_kernarg_size 88
		.amdhsa_user_sgpr_count 6
		.amdhsa_user_sgpr_private_segment_buffer 1
		.amdhsa_user_sgpr_dispatch_ptr 0
		.amdhsa_user_sgpr_queue_ptr 0
		.amdhsa_user_sgpr_kernarg_segment_ptr 1
		.amdhsa_user_sgpr_dispatch_id 0
		.amdhsa_user_sgpr_flat_scratch_init 0
		.amdhsa_user_sgpr_kernarg_preload_length 0
		.amdhsa_user_sgpr_kernarg_preload_offset 0
		.amdhsa_user_sgpr_private_segment_size 0
		.amdhsa_uses_dynamic_stack 0
		.amdhsa_system_sgpr_private_segment_wavefront_offset 0
		.amdhsa_system_sgpr_workgroup_id_x 1
		.amdhsa_system_sgpr_workgroup_id_y 0
		.amdhsa_system_sgpr_workgroup_id_z 0
		.amdhsa_system_sgpr_workgroup_info 0
		.amdhsa_system_vgpr_workitem_id 0
		.amdhsa_next_free_vgpr 1
		.amdhsa_next_free_sgpr 0
		.amdhsa_accum_offset 4
		.amdhsa_reserve_vcc 0
		.amdhsa_reserve_flat_scratch 0
		.amdhsa_float_round_mode_32 0
		.amdhsa_float_round_mode_16_64 0
		.amdhsa_float_denorm_mode_32 3
		.amdhsa_float_denorm_mode_16_64 3
		.amdhsa_dx10_clamp 1
		.amdhsa_ieee_mode 1
		.amdhsa_fp16_overflow 0
		.amdhsa_tg_split 0
		.amdhsa_exception_fp_ieee_invalid_op 0
		.amdhsa_exception_fp_denorm_src 0
		.amdhsa_exception_fp_ieee_div_zero 0
		.amdhsa_exception_fp_ieee_overflow 0
		.amdhsa_exception_fp_ieee_underflow 0
		.amdhsa_exception_fp_ieee_inexact 0
		.amdhsa_exception_int_div_zero 0
	.end_amdhsa_kernel
	.section	.text._ZN7rocprim17ROCPRIM_400000_NS6detail17trampoline_kernelINS0_14default_configENS1_38merge_sort_block_merge_config_selectorIlNS0_10empty_typeEEEZZNS1_27merge_sort_block_merge_implIS3_PlPS5_mZN2at6native12_GLOBAL__N_124unique_dim_cuda_templateIbEESt5tupleIJNSA_6TensorESF_SF_EERKSF_lbbbEUlllE_EE10hipError_tT0_T1_T2_jT3_P12ihipStream_tbPNSt15iterator_traitsISL_E10value_typeEPNSR_ISM_E10value_typeEPSN_NS1_7vsmem_tEENKUlT_SL_SM_SN_E_clIS8_S8_S9_S9_EESK_S10_SL_SM_SN_EUlS10_E0_NS1_11comp_targetILNS1_3genE2ELNS1_11target_archE906ELNS1_3gpuE6ELNS1_3repE0EEENS1_38merge_mergepath_config_static_selectorELNS0_4arch9wavefront6targetE1EEEvSM_,"axG",@progbits,_ZN7rocprim17ROCPRIM_400000_NS6detail17trampoline_kernelINS0_14default_configENS1_38merge_sort_block_merge_config_selectorIlNS0_10empty_typeEEEZZNS1_27merge_sort_block_merge_implIS3_PlPS5_mZN2at6native12_GLOBAL__N_124unique_dim_cuda_templateIbEESt5tupleIJNSA_6TensorESF_SF_EERKSF_lbbbEUlllE_EE10hipError_tT0_T1_T2_jT3_P12ihipStream_tbPNSt15iterator_traitsISL_E10value_typeEPNSR_ISM_E10value_typeEPSN_NS1_7vsmem_tEENKUlT_SL_SM_SN_E_clIS8_S8_S9_S9_EESK_S10_SL_SM_SN_EUlS10_E0_NS1_11comp_targetILNS1_3genE2ELNS1_11target_archE906ELNS1_3gpuE6ELNS1_3repE0EEENS1_38merge_mergepath_config_static_selectorELNS0_4arch9wavefront6targetE1EEEvSM_,comdat
.Lfunc_end1015:
	.size	_ZN7rocprim17ROCPRIM_400000_NS6detail17trampoline_kernelINS0_14default_configENS1_38merge_sort_block_merge_config_selectorIlNS0_10empty_typeEEEZZNS1_27merge_sort_block_merge_implIS3_PlPS5_mZN2at6native12_GLOBAL__N_124unique_dim_cuda_templateIbEESt5tupleIJNSA_6TensorESF_SF_EERKSF_lbbbEUlllE_EE10hipError_tT0_T1_T2_jT3_P12ihipStream_tbPNSt15iterator_traitsISL_E10value_typeEPNSR_ISM_E10value_typeEPSN_NS1_7vsmem_tEENKUlT_SL_SM_SN_E_clIS8_S8_S9_S9_EESK_S10_SL_SM_SN_EUlS10_E0_NS1_11comp_targetILNS1_3genE2ELNS1_11target_archE906ELNS1_3gpuE6ELNS1_3repE0EEENS1_38merge_mergepath_config_static_selectorELNS0_4arch9wavefront6targetE1EEEvSM_, .Lfunc_end1015-_ZN7rocprim17ROCPRIM_400000_NS6detail17trampoline_kernelINS0_14default_configENS1_38merge_sort_block_merge_config_selectorIlNS0_10empty_typeEEEZZNS1_27merge_sort_block_merge_implIS3_PlPS5_mZN2at6native12_GLOBAL__N_124unique_dim_cuda_templateIbEESt5tupleIJNSA_6TensorESF_SF_EERKSF_lbbbEUlllE_EE10hipError_tT0_T1_T2_jT3_P12ihipStream_tbPNSt15iterator_traitsISL_E10value_typeEPNSR_ISM_E10value_typeEPSN_NS1_7vsmem_tEENKUlT_SL_SM_SN_E_clIS8_S8_S9_S9_EESK_S10_SL_SM_SN_EUlS10_E0_NS1_11comp_targetILNS1_3genE2ELNS1_11target_archE906ELNS1_3gpuE6ELNS1_3repE0EEENS1_38merge_mergepath_config_static_selectorELNS0_4arch9wavefront6targetE1EEEvSM_
                                        ; -- End function
	.section	.AMDGPU.csdata,"",@progbits
; Kernel info:
; codeLenInByte = 0
; NumSgprs: 4
; NumVgprs: 0
; NumAgprs: 0
; TotalNumVgprs: 0
; ScratchSize: 0
; MemoryBound: 0
; FloatMode: 240
; IeeeMode: 1
; LDSByteSize: 0 bytes/workgroup (compile time only)
; SGPRBlocks: 0
; VGPRBlocks: 0
; NumSGPRsForWavesPerEU: 4
; NumVGPRsForWavesPerEU: 1
; AccumOffset: 4
; Occupancy: 8
; WaveLimiterHint : 0
; COMPUTE_PGM_RSRC2:SCRATCH_EN: 0
; COMPUTE_PGM_RSRC2:USER_SGPR: 6
; COMPUTE_PGM_RSRC2:TRAP_HANDLER: 0
; COMPUTE_PGM_RSRC2:TGID_X_EN: 1
; COMPUTE_PGM_RSRC2:TGID_Y_EN: 0
; COMPUTE_PGM_RSRC2:TGID_Z_EN: 0
; COMPUTE_PGM_RSRC2:TIDIG_COMP_CNT: 0
; COMPUTE_PGM_RSRC3_GFX90A:ACCUM_OFFSET: 0
; COMPUTE_PGM_RSRC3_GFX90A:TG_SPLIT: 0
	.section	.text._ZN7rocprim17ROCPRIM_400000_NS6detail17trampoline_kernelINS0_14default_configENS1_38merge_sort_block_merge_config_selectorIlNS0_10empty_typeEEEZZNS1_27merge_sort_block_merge_implIS3_PlPS5_mZN2at6native12_GLOBAL__N_124unique_dim_cuda_templateIbEESt5tupleIJNSA_6TensorESF_SF_EERKSF_lbbbEUlllE_EE10hipError_tT0_T1_T2_jT3_P12ihipStream_tbPNSt15iterator_traitsISL_E10value_typeEPNSR_ISM_E10value_typeEPSN_NS1_7vsmem_tEENKUlT_SL_SM_SN_E_clIS8_S8_S9_S9_EESK_S10_SL_SM_SN_EUlS10_E0_NS1_11comp_targetILNS1_3genE9ELNS1_11target_archE1100ELNS1_3gpuE3ELNS1_3repE0EEENS1_38merge_mergepath_config_static_selectorELNS0_4arch9wavefront6targetE1EEEvSM_,"axG",@progbits,_ZN7rocprim17ROCPRIM_400000_NS6detail17trampoline_kernelINS0_14default_configENS1_38merge_sort_block_merge_config_selectorIlNS0_10empty_typeEEEZZNS1_27merge_sort_block_merge_implIS3_PlPS5_mZN2at6native12_GLOBAL__N_124unique_dim_cuda_templateIbEESt5tupleIJNSA_6TensorESF_SF_EERKSF_lbbbEUlllE_EE10hipError_tT0_T1_T2_jT3_P12ihipStream_tbPNSt15iterator_traitsISL_E10value_typeEPNSR_ISM_E10value_typeEPSN_NS1_7vsmem_tEENKUlT_SL_SM_SN_E_clIS8_S8_S9_S9_EESK_S10_SL_SM_SN_EUlS10_E0_NS1_11comp_targetILNS1_3genE9ELNS1_11target_archE1100ELNS1_3gpuE3ELNS1_3repE0EEENS1_38merge_mergepath_config_static_selectorELNS0_4arch9wavefront6targetE1EEEvSM_,comdat
	.globl	_ZN7rocprim17ROCPRIM_400000_NS6detail17trampoline_kernelINS0_14default_configENS1_38merge_sort_block_merge_config_selectorIlNS0_10empty_typeEEEZZNS1_27merge_sort_block_merge_implIS3_PlPS5_mZN2at6native12_GLOBAL__N_124unique_dim_cuda_templateIbEESt5tupleIJNSA_6TensorESF_SF_EERKSF_lbbbEUlllE_EE10hipError_tT0_T1_T2_jT3_P12ihipStream_tbPNSt15iterator_traitsISL_E10value_typeEPNSR_ISM_E10value_typeEPSN_NS1_7vsmem_tEENKUlT_SL_SM_SN_E_clIS8_S8_S9_S9_EESK_S10_SL_SM_SN_EUlS10_E0_NS1_11comp_targetILNS1_3genE9ELNS1_11target_archE1100ELNS1_3gpuE3ELNS1_3repE0EEENS1_38merge_mergepath_config_static_selectorELNS0_4arch9wavefront6targetE1EEEvSM_ ; -- Begin function _ZN7rocprim17ROCPRIM_400000_NS6detail17trampoline_kernelINS0_14default_configENS1_38merge_sort_block_merge_config_selectorIlNS0_10empty_typeEEEZZNS1_27merge_sort_block_merge_implIS3_PlPS5_mZN2at6native12_GLOBAL__N_124unique_dim_cuda_templateIbEESt5tupleIJNSA_6TensorESF_SF_EERKSF_lbbbEUlllE_EE10hipError_tT0_T1_T2_jT3_P12ihipStream_tbPNSt15iterator_traitsISL_E10value_typeEPNSR_ISM_E10value_typeEPSN_NS1_7vsmem_tEENKUlT_SL_SM_SN_E_clIS8_S8_S9_S9_EESK_S10_SL_SM_SN_EUlS10_E0_NS1_11comp_targetILNS1_3genE9ELNS1_11target_archE1100ELNS1_3gpuE3ELNS1_3repE0EEENS1_38merge_mergepath_config_static_selectorELNS0_4arch9wavefront6targetE1EEEvSM_
	.p2align	8
	.type	_ZN7rocprim17ROCPRIM_400000_NS6detail17trampoline_kernelINS0_14default_configENS1_38merge_sort_block_merge_config_selectorIlNS0_10empty_typeEEEZZNS1_27merge_sort_block_merge_implIS3_PlPS5_mZN2at6native12_GLOBAL__N_124unique_dim_cuda_templateIbEESt5tupleIJNSA_6TensorESF_SF_EERKSF_lbbbEUlllE_EE10hipError_tT0_T1_T2_jT3_P12ihipStream_tbPNSt15iterator_traitsISL_E10value_typeEPNSR_ISM_E10value_typeEPSN_NS1_7vsmem_tEENKUlT_SL_SM_SN_E_clIS8_S8_S9_S9_EESK_S10_SL_SM_SN_EUlS10_E0_NS1_11comp_targetILNS1_3genE9ELNS1_11target_archE1100ELNS1_3gpuE3ELNS1_3repE0EEENS1_38merge_mergepath_config_static_selectorELNS0_4arch9wavefront6targetE1EEEvSM_,@function
_ZN7rocprim17ROCPRIM_400000_NS6detail17trampoline_kernelINS0_14default_configENS1_38merge_sort_block_merge_config_selectorIlNS0_10empty_typeEEEZZNS1_27merge_sort_block_merge_implIS3_PlPS5_mZN2at6native12_GLOBAL__N_124unique_dim_cuda_templateIbEESt5tupleIJNSA_6TensorESF_SF_EERKSF_lbbbEUlllE_EE10hipError_tT0_T1_T2_jT3_P12ihipStream_tbPNSt15iterator_traitsISL_E10value_typeEPNSR_ISM_E10value_typeEPSN_NS1_7vsmem_tEENKUlT_SL_SM_SN_E_clIS8_S8_S9_S9_EESK_S10_SL_SM_SN_EUlS10_E0_NS1_11comp_targetILNS1_3genE9ELNS1_11target_archE1100ELNS1_3gpuE3ELNS1_3repE0EEENS1_38merge_mergepath_config_static_selectorELNS0_4arch9wavefront6targetE1EEEvSM_: ; @_ZN7rocprim17ROCPRIM_400000_NS6detail17trampoline_kernelINS0_14default_configENS1_38merge_sort_block_merge_config_selectorIlNS0_10empty_typeEEEZZNS1_27merge_sort_block_merge_implIS3_PlPS5_mZN2at6native12_GLOBAL__N_124unique_dim_cuda_templateIbEESt5tupleIJNSA_6TensorESF_SF_EERKSF_lbbbEUlllE_EE10hipError_tT0_T1_T2_jT3_P12ihipStream_tbPNSt15iterator_traitsISL_E10value_typeEPNSR_ISM_E10value_typeEPSN_NS1_7vsmem_tEENKUlT_SL_SM_SN_E_clIS8_S8_S9_S9_EESK_S10_SL_SM_SN_EUlS10_E0_NS1_11comp_targetILNS1_3genE9ELNS1_11target_archE1100ELNS1_3gpuE3ELNS1_3repE0EEENS1_38merge_mergepath_config_static_selectorELNS0_4arch9wavefront6targetE1EEEvSM_
; %bb.0:
	.section	.rodata,"a",@progbits
	.p2align	6, 0x0
	.amdhsa_kernel _ZN7rocprim17ROCPRIM_400000_NS6detail17trampoline_kernelINS0_14default_configENS1_38merge_sort_block_merge_config_selectorIlNS0_10empty_typeEEEZZNS1_27merge_sort_block_merge_implIS3_PlPS5_mZN2at6native12_GLOBAL__N_124unique_dim_cuda_templateIbEESt5tupleIJNSA_6TensorESF_SF_EERKSF_lbbbEUlllE_EE10hipError_tT0_T1_T2_jT3_P12ihipStream_tbPNSt15iterator_traitsISL_E10value_typeEPNSR_ISM_E10value_typeEPSN_NS1_7vsmem_tEENKUlT_SL_SM_SN_E_clIS8_S8_S9_S9_EESK_S10_SL_SM_SN_EUlS10_E0_NS1_11comp_targetILNS1_3genE9ELNS1_11target_archE1100ELNS1_3gpuE3ELNS1_3repE0EEENS1_38merge_mergepath_config_static_selectorELNS0_4arch9wavefront6targetE1EEEvSM_
		.amdhsa_group_segment_fixed_size 0
		.amdhsa_private_segment_fixed_size 0
		.amdhsa_kernarg_size 88
		.amdhsa_user_sgpr_count 6
		.amdhsa_user_sgpr_private_segment_buffer 1
		.amdhsa_user_sgpr_dispatch_ptr 0
		.amdhsa_user_sgpr_queue_ptr 0
		.amdhsa_user_sgpr_kernarg_segment_ptr 1
		.amdhsa_user_sgpr_dispatch_id 0
		.amdhsa_user_sgpr_flat_scratch_init 0
		.amdhsa_user_sgpr_kernarg_preload_length 0
		.amdhsa_user_sgpr_kernarg_preload_offset 0
		.amdhsa_user_sgpr_private_segment_size 0
		.amdhsa_uses_dynamic_stack 0
		.amdhsa_system_sgpr_private_segment_wavefront_offset 0
		.amdhsa_system_sgpr_workgroup_id_x 1
		.amdhsa_system_sgpr_workgroup_id_y 0
		.amdhsa_system_sgpr_workgroup_id_z 0
		.amdhsa_system_sgpr_workgroup_info 0
		.amdhsa_system_vgpr_workitem_id 0
		.amdhsa_next_free_vgpr 1
		.amdhsa_next_free_sgpr 0
		.amdhsa_accum_offset 4
		.amdhsa_reserve_vcc 0
		.amdhsa_reserve_flat_scratch 0
		.amdhsa_float_round_mode_32 0
		.amdhsa_float_round_mode_16_64 0
		.amdhsa_float_denorm_mode_32 3
		.amdhsa_float_denorm_mode_16_64 3
		.amdhsa_dx10_clamp 1
		.amdhsa_ieee_mode 1
		.amdhsa_fp16_overflow 0
		.amdhsa_tg_split 0
		.amdhsa_exception_fp_ieee_invalid_op 0
		.amdhsa_exception_fp_denorm_src 0
		.amdhsa_exception_fp_ieee_div_zero 0
		.amdhsa_exception_fp_ieee_overflow 0
		.amdhsa_exception_fp_ieee_underflow 0
		.amdhsa_exception_fp_ieee_inexact 0
		.amdhsa_exception_int_div_zero 0
	.end_amdhsa_kernel
	.section	.text._ZN7rocprim17ROCPRIM_400000_NS6detail17trampoline_kernelINS0_14default_configENS1_38merge_sort_block_merge_config_selectorIlNS0_10empty_typeEEEZZNS1_27merge_sort_block_merge_implIS3_PlPS5_mZN2at6native12_GLOBAL__N_124unique_dim_cuda_templateIbEESt5tupleIJNSA_6TensorESF_SF_EERKSF_lbbbEUlllE_EE10hipError_tT0_T1_T2_jT3_P12ihipStream_tbPNSt15iterator_traitsISL_E10value_typeEPNSR_ISM_E10value_typeEPSN_NS1_7vsmem_tEENKUlT_SL_SM_SN_E_clIS8_S8_S9_S9_EESK_S10_SL_SM_SN_EUlS10_E0_NS1_11comp_targetILNS1_3genE9ELNS1_11target_archE1100ELNS1_3gpuE3ELNS1_3repE0EEENS1_38merge_mergepath_config_static_selectorELNS0_4arch9wavefront6targetE1EEEvSM_,"axG",@progbits,_ZN7rocprim17ROCPRIM_400000_NS6detail17trampoline_kernelINS0_14default_configENS1_38merge_sort_block_merge_config_selectorIlNS0_10empty_typeEEEZZNS1_27merge_sort_block_merge_implIS3_PlPS5_mZN2at6native12_GLOBAL__N_124unique_dim_cuda_templateIbEESt5tupleIJNSA_6TensorESF_SF_EERKSF_lbbbEUlllE_EE10hipError_tT0_T1_T2_jT3_P12ihipStream_tbPNSt15iterator_traitsISL_E10value_typeEPNSR_ISM_E10value_typeEPSN_NS1_7vsmem_tEENKUlT_SL_SM_SN_E_clIS8_S8_S9_S9_EESK_S10_SL_SM_SN_EUlS10_E0_NS1_11comp_targetILNS1_3genE9ELNS1_11target_archE1100ELNS1_3gpuE3ELNS1_3repE0EEENS1_38merge_mergepath_config_static_selectorELNS0_4arch9wavefront6targetE1EEEvSM_,comdat
.Lfunc_end1016:
	.size	_ZN7rocprim17ROCPRIM_400000_NS6detail17trampoline_kernelINS0_14default_configENS1_38merge_sort_block_merge_config_selectorIlNS0_10empty_typeEEEZZNS1_27merge_sort_block_merge_implIS3_PlPS5_mZN2at6native12_GLOBAL__N_124unique_dim_cuda_templateIbEESt5tupleIJNSA_6TensorESF_SF_EERKSF_lbbbEUlllE_EE10hipError_tT0_T1_T2_jT3_P12ihipStream_tbPNSt15iterator_traitsISL_E10value_typeEPNSR_ISM_E10value_typeEPSN_NS1_7vsmem_tEENKUlT_SL_SM_SN_E_clIS8_S8_S9_S9_EESK_S10_SL_SM_SN_EUlS10_E0_NS1_11comp_targetILNS1_3genE9ELNS1_11target_archE1100ELNS1_3gpuE3ELNS1_3repE0EEENS1_38merge_mergepath_config_static_selectorELNS0_4arch9wavefront6targetE1EEEvSM_, .Lfunc_end1016-_ZN7rocprim17ROCPRIM_400000_NS6detail17trampoline_kernelINS0_14default_configENS1_38merge_sort_block_merge_config_selectorIlNS0_10empty_typeEEEZZNS1_27merge_sort_block_merge_implIS3_PlPS5_mZN2at6native12_GLOBAL__N_124unique_dim_cuda_templateIbEESt5tupleIJNSA_6TensorESF_SF_EERKSF_lbbbEUlllE_EE10hipError_tT0_T1_T2_jT3_P12ihipStream_tbPNSt15iterator_traitsISL_E10value_typeEPNSR_ISM_E10value_typeEPSN_NS1_7vsmem_tEENKUlT_SL_SM_SN_E_clIS8_S8_S9_S9_EESK_S10_SL_SM_SN_EUlS10_E0_NS1_11comp_targetILNS1_3genE9ELNS1_11target_archE1100ELNS1_3gpuE3ELNS1_3repE0EEENS1_38merge_mergepath_config_static_selectorELNS0_4arch9wavefront6targetE1EEEvSM_
                                        ; -- End function
	.section	.AMDGPU.csdata,"",@progbits
; Kernel info:
; codeLenInByte = 0
; NumSgprs: 4
; NumVgprs: 0
; NumAgprs: 0
; TotalNumVgprs: 0
; ScratchSize: 0
; MemoryBound: 0
; FloatMode: 240
; IeeeMode: 1
; LDSByteSize: 0 bytes/workgroup (compile time only)
; SGPRBlocks: 0
; VGPRBlocks: 0
; NumSGPRsForWavesPerEU: 4
; NumVGPRsForWavesPerEU: 1
; AccumOffset: 4
; Occupancy: 8
; WaveLimiterHint : 0
; COMPUTE_PGM_RSRC2:SCRATCH_EN: 0
; COMPUTE_PGM_RSRC2:USER_SGPR: 6
; COMPUTE_PGM_RSRC2:TRAP_HANDLER: 0
; COMPUTE_PGM_RSRC2:TGID_X_EN: 1
; COMPUTE_PGM_RSRC2:TGID_Y_EN: 0
; COMPUTE_PGM_RSRC2:TGID_Z_EN: 0
; COMPUTE_PGM_RSRC2:TIDIG_COMP_CNT: 0
; COMPUTE_PGM_RSRC3_GFX90A:ACCUM_OFFSET: 0
; COMPUTE_PGM_RSRC3_GFX90A:TG_SPLIT: 0
	.section	.text._ZN7rocprim17ROCPRIM_400000_NS6detail17trampoline_kernelINS0_14default_configENS1_38merge_sort_block_merge_config_selectorIlNS0_10empty_typeEEEZZNS1_27merge_sort_block_merge_implIS3_PlPS5_mZN2at6native12_GLOBAL__N_124unique_dim_cuda_templateIbEESt5tupleIJNSA_6TensorESF_SF_EERKSF_lbbbEUlllE_EE10hipError_tT0_T1_T2_jT3_P12ihipStream_tbPNSt15iterator_traitsISL_E10value_typeEPNSR_ISM_E10value_typeEPSN_NS1_7vsmem_tEENKUlT_SL_SM_SN_E_clIS8_S8_S9_S9_EESK_S10_SL_SM_SN_EUlS10_E0_NS1_11comp_targetILNS1_3genE8ELNS1_11target_archE1030ELNS1_3gpuE2ELNS1_3repE0EEENS1_38merge_mergepath_config_static_selectorELNS0_4arch9wavefront6targetE1EEEvSM_,"axG",@progbits,_ZN7rocprim17ROCPRIM_400000_NS6detail17trampoline_kernelINS0_14default_configENS1_38merge_sort_block_merge_config_selectorIlNS0_10empty_typeEEEZZNS1_27merge_sort_block_merge_implIS3_PlPS5_mZN2at6native12_GLOBAL__N_124unique_dim_cuda_templateIbEESt5tupleIJNSA_6TensorESF_SF_EERKSF_lbbbEUlllE_EE10hipError_tT0_T1_T2_jT3_P12ihipStream_tbPNSt15iterator_traitsISL_E10value_typeEPNSR_ISM_E10value_typeEPSN_NS1_7vsmem_tEENKUlT_SL_SM_SN_E_clIS8_S8_S9_S9_EESK_S10_SL_SM_SN_EUlS10_E0_NS1_11comp_targetILNS1_3genE8ELNS1_11target_archE1030ELNS1_3gpuE2ELNS1_3repE0EEENS1_38merge_mergepath_config_static_selectorELNS0_4arch9wavefront6targetE1EEEvSM_,comdat
	.globl	_ZN7rocprim17ROCPRIM_400000_NS6detail17trampoline_kernelINS0_14default_configENS1_38merge_sort_block_merge_config_selectorIlNS0_10empty_typeEEEZZNS1_27merge_sort_block_merge_implIS3_PlPS5_mZN2at6native12_GLOBAL__N_124unique_dim_cuda_templateIbEESt5tupleIJNSA_6TensorESF_SF_EERKSF_lbbbEUlllE_EE10hipError_tT0_T1_T2_jT3_P12ihipStream_tbPNSt15iterator_traitsISL_E10value_typeEPNSR_ISM_E10value_typeEPSN_NS1_7vsmem_tEENKUlT_SL_SM_SN_E_clIS8_S8_S9_S9_EESK_S10_SL_SM_SN_EUlS10_E0_NS1_11comp_targetILNS1_3genE8ELNS1_11target_archE1030ELNS1_3gpuE2ELNS1_3repE0EEENS1_38merge_mergepath_config_static_selectorELNS0_4arch9wavefront6targetE1EEEvSM_ ; -- Begin function _ZN7rocprim17ROCPRIM_400000_NS6detail17trampoline_kernelINS0_14default_configENS1_38merge_sort_block_merge_config_selectorIlNS0_10empty_typeEEEZZNS1_27merge_sort_block_merge_implIS3_PlPS5_mZN2at6native12_GLOBAL__N_124unique_dim_cuda_templateIbEESt5tupleIJNSA_6TensorESF_SF_EERKSF_lbbbEUlllE_EE10hipError_tT0_T1_T2_jT3_P12ihipStream_tbPNSt15iterator_traitsISL_E10value_typeEPNSR_ISM_E10value_typeEPSN_NS1_7vsmem_tEENKUlT_SL_SM_SN_E_clIS8_S8_S9_S9_EESK_S10_SL_SM_SN_EUlS10_E0_NS1_11comp_targetILNS1_3genE8ELNS1_11target_archE1030ELNS1_3gpuE2ELNS1_3repE0EEENS1_38merge_mergepath_config_static_selectorELNS0_4arch9wavefront6targetE1EEEvSM_
	.p2align	8
	.type	_ZN7rocprim17ROCPRIM_400000_NS6detail17trampoline_kernelINS0_14default_configENS1_38merge_sort_block_merge_config_selectorIlNS0_10empty_typeEEEZZNS1_27merge_sort_block_merge_implIS3_PlPS5_mZN2at6native12_GLOBAL__N_124unique_dim_cuda_templateIbEESt5tupleIJNSA_6TensorESF_SF_EERKSF_lbbbEUlllE_EE10hipError_tT0_T1_T2_jT3_P12ihipStream_tbPNSt15iterator_traitsISL_E10value_typeEPNSR_ISM_E10value_typeEPSN_NS1_7vsmem_tEENKUlT_SL_SM_SN_E_clIS8_S8_S9_S9_EESK_S10_SL_SM_SN_EUlS10_E0_NS1_11comp_targetILNS1_3genE8ELNS1_11target_archE1030ELNS1_3gpuE2ELNS1_3repE0EEENS1_38merge_mergepath_config_static_selectorELNS0_4arch9wavefront6targetE1EEEvSM_,@function
_ZN7rocprim17ROCPRIM_400000_NS6detail17trampoline_kernelINS0_14default_configENS1_38merge_sort_block_merge_config_selectorIlNS0_10empty_typeEEEZZNS1_27merge_sort_block_merge_implIS3_PlPS5_mZN2at6native12_GLOBAL__N_124unique_dim_cuda_templateIbEESt5tupleIJNSA_6TensorESF_SF_EERKSF_lbbbEUlllE_EE10hipError_tT0_T1_T2_jT3_P12ihipStream_tbPNSt15iterator_traitsISL_E10value_typeEPNSR_ISM_E10value_typeEPSN_NS1_7vsmem_tEENKUlT_SL_SM_SN_E_clIS8_S8_S9_S9_EESK_S10_SL_SM_SN_EUlS10_E0_NS1_11comp_targetILNS1_3genE8ELNS1_11target_archE1030ELNS1_3gpuE2ELNS1_3repE0EEENS1_38merge_mergepath_config_static_selectorELNS0_4arch9wavefront6targetE1EEEvSM_: ; @_ZN7rocprim17ROCPRIM_400000_NS6detail17trampoline_kernelINS0_14default_configENS1_38merge_sort_block_merge_config_selectorIlNS0_10empty_typeEEEZZNS1_27merge_sort_block_merge_implIS3_PlPS5_mZN2at6native12_GLOBAL__N_124unique_dim_cuda_templateIbEESt5tupleIJNSA_6TensorESF_SF_EERKSF_lbbbEUlllE_EE10hipError_tT0_T1_T2_jT3_P12ihipStream_tbPNSt15iterator_traitsISL_E10value_typeEPNSR_ISM_E10value_typeEPSN_NS1_7vsmem_tEENKUlT_SL_SM_SN_E_clIS8_S8_S9_S9_EESK_S10_SL_SM_SN_EUlS10_E0_NS1_11comp_targetILNS1_3genE8ELNS1_11target_archE1030ELNS1_3gpuE2ELNS1_3repE0EEENS1_38merge_mergepath_config_static_selectorELNS0_4arch9wavefront6targetE1EEEvSM_
; %bb.0:
	.section	.rodata,"a",@progbits
	.p2align	6, 0x0
	.amdhsa_kernel _ZN7rocprim17ROCPRIM_400000_NS6detail17trampoline_kernelINS0_14default_configENS1_38merge_sort_block_merge_config_selectorIlNS0_10empty_typeEEEZZNS1_27merge_sort_block_merge_implIS3_PlPS5_mZN2at6native12_GLOBAL__N_124unique_dim_cuda_templateIbEESt5tupleIJNSA_6TensorESF_SF_EERKSF_lbbbEUlllE_EE10hipError_tT0_T1_T2_jT3_P12ihipStream_tbPNSt15iterator_traitsISL_E10value_typeEPNSR_ISM_E10value_typeEPSN_NS1_7vsmem_tEENKUlT_SL_SM_SN_E_clIS8_S8_S9_S9_EESK_S10_SL_SM_SN_EUlS10_E0_NS1_11comp_targetILNS1_3genE8ELNS1_11target_archE1030ELNS1_3gpuE2ELNS1_3repE0EEENS1_38merge_mergepath_config_static_selectorELNS0_4arch9wavefront6targetE1EEEvSM_
		.amdhsa_group_segment_fixed_size 0
		.amdhsa_private_segment_fixed_size 0
		.amdhsa_kernarg_size 88
		.amdhsa_user_sgpr_count 6
		.amdhsa_user_sgpr_private_segment_buffer 1
		.amdhsa_user_sgpr_dispatch_ptr 0
		.amdhsa_user_sgpr_queue_ptr 0
		.amdhsa_user_sgpr_kernarg_segment_ptr 1
		.amdhsa_user_sgpr_dispatch_id 0
		.amdhsa_user_sgpr_flat_scratch_init 0
		.amdhsa_user_sgpr_kernarg_preload_length 0
		.amdhsa_user_sgpr_kernarg_preload_offset 0
		.amdhsa_user_sgpr_private_segment_size 0
		.amdhsa_uses_dynamic_stack 0
		.amdhsa_system_sgpr_private_segment_wavefront_offset 0
		.amdhsa_system_sgpr_workgroup_id_x 1
		.amdhsa_system_sgpr_workgroup_id_y 0
		.amdhsa_system_sgpr_workgroup_id_z 0
		.amdhsa_system_sgpr_workgroup_info 0
		.amdhsa_system_vgpr_workitem_id 0
		.amdhsa_next_free_vgpr 1
		.amdhsa_next_free_sgpr 0
		.amdhsa_accum_offset 4
		.amdhsa_reserve_vcc 0
		.amdhsa_reserve_flat_scratch 0
		.amdhsa_float_round_mode_32 0
		.amdhsa_float_round_mode_16_64 0
		.amdhsa_float_denorm_mode_32 3
		.amdhsa_float_denorm_mode_16_64 3
		.amdhsa_dx10_clamp 1
		.amdhsa_ieee_mode 1
		.amdhsa_fp16_overflow 0
		.amdhsa_tg_split 0
		.amdhsa_exception_fp_ieee_invalid_op 0
		.amdhsa_exception_fp_denorm_src 0
		.amdhsa_exception_fp_ieee_div_zero 0
		.amdhsa_exception_fp_ieee_overflow 0
		.amdhsa_exception_fp_ieee_underflow 0
		.amdhsa_exception_fp_ieee_inexact 0
		.amdhsa_exception_int_div_zero 0
	.end_amdhsa_kernel
	.section	.text._ZN7rocprim17ROCPRIM_400000_NS6detail17trampoline_kernelINS0_14default_configENS1_38merge_sort_block_merge_config_selectorIlNS0_10empty_typeEEEZZNS1_27merge_sort_block_merge_implIS3_PlPS5_mZN2at6native12_GLOBAL__N_124unique_dim_cuda_templateIbEESt5tupleIJNSA_6TensorESF_SF_EERKSF_lbbbEUlllE_EE10hipError_tT0_T1_T2_jT3_P12ihipStream_tbPNSt15iterator_traitsISL_E10value_typeEPNSR_ISM_E10value_typeEPSN_NS1_7vsmem_tEENKUlT_SL_SM_SN_E_clIS8_S8_S9_S9_EESK_S10_SL_SM_SN_EUlS10_E0_NS1_11comp_targetILNS1_3genE8ELNS1_11target_archE1030ELNS1_3gpuE2ELNS1_3repE0EEENS1_38merge_mergepath_config_static_selectorELNS0_4arch9wavefront6targetE1EEEvSM_,"axG",@progbits,_ZN7rocprim17ROCPRIM_400000_NS6detail17trampoline_kernelINS0_14default_configENS1_38merge_sort_block_merge_config_selectorIlNS0_10empty_typeEEEZZNS1_27merge_sort_block_merge_implIS3_PlPS5_mZN2at6native12_GLOBAL__N_124unique_dim_cuda_templateIbEESt5tupleIJNSA_6TensorESF_SF_EERKSF_lbbbEUlllE_EE10hipError_tT0_T1_T2_jT3_P12ihipStream_tbPNSt15iterator_traitsISL_E10value_typeEPNSR_ISM_E10value_typeEPSN_NS1_7vsmem_tEENKUlT_SL_SM_SN_E_clIS8_S8_S9_S9_EESK_S10_SL_SM_SN_EUlS10_E0_NS1_11comp_targetILNS1_3genE8ELNS1_11target_archE1030ELNS1_3gpuE2ELNS1_3repE0EEENS1_38merge_mergepath_config_static_selectorELNS0_4arch9wavefront6targetE1EEEvSM_,comdat
.Lfunc_end1017:
	.size	_ZN7rocprim17ROCPRIM_400000_NS6detail17trampoline_kernelINS0_14default_configENS1_38merge_sort_block_merge_config_selectorIlNS0_10empty_typeEEEZZNS1_27merge_sort_block_merge_implIS3_PlPS5_mZN2at6native12_GLOBAL__N_124unique_dim_cuda_templateIbEESt5tupleIJNSA_6TensorESF_SF_EERKSF_lbbbEUlllE_EE10hipError_tT0_T1_T2_jT3_P12ihipStream_tbPNSt15iterator_traitsISL_E10value_typeEPNSR_ISM_E10value_typeEPSN_NS1_7vsmem_tEENKUlT_SL_SM_SN_E_clIS8_S8_S9_S9_EESK_S10_SL_SM_SN_EUlS10_E0_NS1_11comp_targetILNS1_3genE8ELNS1_11target_archE1030ELNS1_3gpuE2ELNS1_3repE0EEENS1_38merge_mergepath_config_static_selectorELNS0_4arch9wavefront6targetE1EEEvSM_, .Lfunc_end1017-_ZN7rocprim17ROCPRIM_400000_NS6detail17trampoline_kernelINS0_14default_configENS1_38merge_sort_block_merge_config_selectorIlNS0_10empty_typeEEEZZNS1_27merge_sort_block_merge_implIS3_PlPS5_mZN2at6native12_GLOBAL__N_124unique_dim_cuda_templateIbEESt5tupleIJNSA_6TensorESF_SF_EERKSF_lbbbEUlllE_EE10hipError_tT0_T1_T2_jT3_P12ihipStream_tbPNSt15iterator_traitsISL_E10value_typeEPNSR_ISM_E10value_typeEPSN_NS1_7vsmem_tEENKUlT_SL_SM_SN_E_clIS8_S8_S9_S9_EESK_S10_SL_SM_SN_EUlS10_E0_NS1_11comp_targetILNS1_3genE8ELNS1_11target_archE1030ELNS1_3gpuE2ELNS1_3repE0EEENS1_38merge_mergepath_config_static_selectorELNS0_4arch9wavefront6targetE1EEEvSM_
                                        ; -- End function
	.section	.AMDGPU.csdata,"",@progbits
; Kernel info:
; codeLenInByte = 0
; NumSgprs: 4
; NumVgprs: 0
; NumAgprs: 0
; TotalNumVgprs: 0
; ScratchSize: 0
; MemoryBound: 0
; FloatMode: 240
; IeeeMode: 1
; LDSByteSize: 0 bytes/workgroup (compile time only)
; SGPRBlocks: 0
; VGPRBlocks: 0
; NumSGPRsForWavesPerEU: 4
; NumVGPRsForWavesPerEU: 1
; AccumOffset: 4
; Occupancy: 8
; WaveLimiterHint : 0
; COMPUTE_PGM_RSRC2:SCRATCH_EN: 0
; COMPUTE_PGM_RSRC2:USER_SGPR: 6
; COMPUTE_PGM_RSRC2:TRAP_HANDLER: 0
; COMPUTE_PGM_RSRC2:TGID_X_EN: 1
; COMPUTE_PGM_RSRC2:TGID_Y_EN: 0
; COMPUTE_PGM_RSRC2:TGID_Z_EN: 0
; COMPUTE_PGM_RSRC2:TIDIG_COMP_CNT: 0
; COMPUTE_PGM_RSRC3_GFX90A:ACCUM_OFFSET: 0
; COMPUTE_PGM_RSRC3_GFX90A:TG_SPLIT: 0
	.section	.text._ZN7rocprim17ROCPRIM_400000_NS6detail17trampoline_kernelINS0_14default_configENS1_38merge_sort_block_merge_config_selectorIlNS0_10empty_typeEEEZZNS1_27merge_sort_block_merge_implIS3_PlPS5_mZN2at6native12_GLOBAL__N_124unique_dim_cuda_templateIbEESt5tupleIJNSA_6TensorESF_SF_EERKSF_lbbbEUlllE_EE10hipError_tT0_T1_T2_jT3_P12ihipStream_tbPNSt15iterator_traitsISL_E10value_typeEPNSR_ISM_E10value_typeEPSN_NS1_7vsmem_tEENKUlT_SL_SM_SN_E_clIS8_S8_S9_S9_EESK_S10_SL_SM_SN_EUlS10_E1_NS1_11comp_targetILNS1_3genE0ELNS1_11target_archE4294967295ELNS1_3gpuE0ELNS1_3repE0EEENS1_36merge_oddeven_config_static_selectorELNS0_4arch9wavefront6targetE1EEEvSM_,"axG",@progbits,_ZN7rocprim17ROCPRIM_400000_NS6detail17trampoline_kernelINS0_14default_configENS1_38merge_sort_block_merge_config_selectorIlNS0_10empty_typeEEEZZNS1_27merge_sort_block_merge_implIS3_PlPS5_mZN2at6native12_GLOBAL__N_124unique_dim_cuda_templateIbEESt5tupleIJNSA_6TensorESF_SF_EERKSF_lbbbEUlllE_EE10hipError_tT0_T1_T2_jT3_P12ihipStream_tbPNSt15iterator_traitsISL_E10value_typeEPNSR_ISM_E10value_typeEPSN_NS1_7vsmem_tEENKUlT_SL_SM_SN_E_clIS8_S8_S9_S9_EESK_S10_SL_SM_SN_EUlS10_E1_NS1_11comp_targetILNS1_3genE0ELNS1_11target_archE4294967295ELNS1_3gpuE0ELNS1_3repE0EEENS1_36merge_oddeven_config_static_selectorELNS0_4arch9wavefront6targetE1EEEvSM_,comdat
	.globl	_ZN7rocprim17ROCPRIM_400000_NS6detail17trampoline_kernelINS0_14default_configENS1_38merge_sort_block_merge_config_selectorIlNS0_10empty_typeEEEZZNS1_27merge_sort_block_merge_implIS3_PlPS5_mZN2at6native12_GLOBAL__N_124unique_dim_cuda_templateIbEESt5tupleIJNSA_6TensorESF_SF_EERKSF_lbbbEUlllE_EE10hipError_tT0_T1_T2_jT3_P12ihipStream_tbPNSt15iterator_traitsISL_E10value_typeEPNSR_ISM_E10value_typeEPSN_NS1_7vsmem_tEENKUlT_SL_SM_SN_E_clIS8_S8_S9_S9_EESK_S10_SL_SM_SN_EUlS10_E1_NS1_11comp_targetILNS1_3genE0ELNS1_11target_archE4294967295ELNS1_3gpuE0ELNS1_3repE0EEENS1_36merge_oddeven_config_static_selectorELNS0_4arch9wavefront6targetE1EEEvSM_ ; -- Begin function _ZN7rocprim17ROCPRIM_400000_NS6detail17trampoline_kernelINS0_14default_configENS1_38merge_sort_block_merge_config_selectorIlNS0_10empty_typeEEEZZNS1_27merge_sort_block_merge_implIS3_PlPS5_mZN2at6native12_GLOBAL__N_124unique_dim_cuda_templateIbEESt5tupleIJNSA_6TensorESF_SF_EERKSF_lbbbEUlllE_EE10hipError_tT0_T1_T2_jT3_P12ihipStream_tbPNSt15iterator_traitsISL_E10value_typeEPNSR_ISM_E10value_typeEPSN_NS1_7vsmem_tEENKUlT_SL_SM_SN_E_clIS8_S8_S9_S9_EESK_S10_SL_SM_SN_EUlS10_E1_NS1_11comp_targetILNS1_3genE0ELNS1_11target_archE4294967295ELNS1_3gpuE0ELNS1_3repE0EEENS1_36merge_oddeven_config_static_selectorELNS0_4arch9wavefront6targetE1EEEvSM_
	.p2align	8
	.type	_ZN7rocprim17ROCPRIM_400000_NS6detail17trampoline_kernelINS0_14default_configENS1_38merge_sort_block_merge_config_selectorIlNS0_10empty_typeEEEZZNS1_27merge_sort_block_merge_implIS3_PlPS5_mZN2at6native12_GLOBAL__N_124unique_dim_cuda_templateIbEESt5tupleIJNSA_6TensorESF_SF_EERKSF_lbbbEUlllE_EE10hipError_tT0_T1_T2_jT3_P12ihipStream_tbPNSt15iterator_traitsISL_E10value_typeEPNSR_ISM_E10value_typeEPSN_NS1_7vsmem_tEENKUlT_SL_SM_SN_E_clIS8_S8_S9_S9_EESK_S10_SL_SM_SN_EUlS10_E1_NS1_11comp_targetILNS1_3genE0ELNS1_11target_archE4294967295ELNS1_3gpuE0ELNS1_3repE0EEENS1_36merge_oddeven_config_static_selectorELNS0_4arch9wavefront6targetE1EEEvSM_,@function
_ZN7rocprim17ROCPRIM_400000_NS6detail17trampoline_kernelINS0_14default_configENS1_38merge_sort_block_merge_config_selectorIlNS0_10empty_typeEEEZZNS1_27merge_sort_block_merge_implIS3_PlPS5_mZN2at6native12_GLOBAL__N_124unique_dim_cuda_templateIbEESt5tupleIJNSA_6TensorESF_SF_EERKSF_lbbbEUlllE_EE10hipError_tT0_T1_T2_jT3_P12ihipStream_tbPNSt15iterator_traitsISL_E10value_typeEPNSR_ISM_E10value_typeEPSN_NS1_7vsmem_tEENKUlT_SL_SM_SN_E_clIS8_S8_S9_S9_EESK_S10_SL_SM_SN_EUlS10_E1_NS1_11comp_targetILNS1_3genE0ELNS1_11target_archE4294967295ELNS1_3gpuE0ELNS1_3repE0EEENS1_36merge_oddeven_config_static_selectorELNS0_4arch9wavefront6targetE1EEEvSM_: ; @_ZN7rocprim17ROCPRIM_400000_NS6detail17trampoline_kernelINS0_14default_configENS1_38merge_sort_block_merge_config_selectorIlNS0_10empty_typeEEEZZNS1_27merge_sort_block_merge_implIS3_PlPS5_mZN2at6native12_GLOBAL__N_124unique_dim_cuda_templateIbEESt5tupleIJNSA_6TensorESF_SF_EERKSF_lbbbEUlllE_EE10hipError_tT0_T1_T2_jT3_P12ihipStream_tbPNSt15iterator_traitsISL_E10value_typeEPNSR_ISM_E10value_typeEPSN_NS1_7vsmem_tEENKUlT_SL_SM_SN_E_clIS8_S8_S9_S9_EESK_S10_SL_SM_SN_EUlS10_E1_NS1_11comp_targetILNS1_3genE0ELNS1_11target_archE4294967295ELNS1_3gpuE0ELNS1_3repE0EEENS1_36merge_oddeven_config_static_selectorELNS0_4arch9wavefront6targetE1EEEvSM_
; %bb.0:
	.section	.rodata,"a",@progbits
	.p2align	6, 0x0
	.amdhsa_kernel _ZN7rocprim17ROCPRIM_400000_NS6detail17trampoline_kernelINS0_14default_configENS1_38merge_sort_block_merge_config_selectorIlNS0_10empty_typeEEEZZNS1_27merge_sort_block_merge_implIS3_PlPS5_mZN2at6native12_GLOBAL__N_124unique_dim_cuda_templateIbEESt5tupleIJNSA_6TensorESF_SF_EERKSF_lbbbEUlllE_EE10hipError_tT0_T1_T2_jT3_P12ihipStream_tbPNSt15iterator_traitsISL_E10value_typeEPNSR_ISM_E10value_typeEPSN_NS1_7vsmem_tEENKUlT_SL_SM_SN_E_clIS8_S8_S9_S9_EESK_S10_SL_SM_SN_EUlS10_E1_NS1_11comp_targetILNS1_3genE0ELNS1_11target_archE4294967295ELNS1_3gpuE0ELNS1_3repE0EEENS1_36merge_oddeven_config_static_selectorELNS0_4arch9wavefront6targetE1EEEvSM_
		.amdhsa_group_segment_fixed_size 0
		.amdhsa_private_segment_fixed_size 0
		.amdhsa_kernarg_size 64
		.amdhsa_user_sgpr_count 6
		.amdhsa_user_sgpr_private_segment_buffer 1
		.amdhsa_user_sgpr_dispatch_ptr 0
		.amdhsa_user_sgpr_queue_ptr 0
		.amdhsa_user_sgpr_kernarg_segment_ptr 1
		.amdhsa_user_sgpr_dispatch_id 0
		.amdhsa_user_sgpr_flat_scratch_init 0
		.amdhsa_user_sgpr_kernarg_preload_length 0
		.amdhsa_user_sgpr_kernarg_preload_offset 0
		.amdhsa_user_sgpr_private_segment_size 0
		.amdhsa_uses_dynamic_stack 0
		.amdhsa_system_sgpr_private_segment_wavefront_offset 0
		.amdhsa_system_sgpr_workgroup_id_x 1
		.amdhsa_system_sgpr_workgroup_id_y 0
		.amdhsa_system_sgpr_workgroup_id_z 0
		.amdhsa_system_sgpr_workgroup_info 0
		.amdhsa_system_vgpr_workitem_id 0
		.amdhsa_next_free_vgpr 1
		.amdhsa_next_free_sgpr 0
		.amdhsa_accum_offset 4
		.amdhsa_reserve_vcc 0
		.amdhsa_reserve_flat_scratch 0
		.amdhsa_float_round_mode_32 0
		.amdhsa_float_round_mode_16_64 0
		.amdhsa_float_denorm_mode_32 3
		.amdhsa_float_denorm_mode_16_64 3
		.amdhsa_dx10_clamp 1
		.amdhsa_ieee_mode 1
		.amdhsa_fp16_overflow 0
		.amdhsa_tg_split 0
		.amdhsa_exception_fp_ieee_invalid_op 0
		.amdhsa_exception_fp_denorm_src 0
		.amdhsa_exception_fp_ieee_div_zero 0
		.amdhsa_exception_fp_ieee_overflow 0
		.amdhsa_exception_fp_ieee_underflow 0
		.amdhsa_exception_fp_ieee_inexact 0
		.amdhsa_exception_int_div_zero 0
	.end_amdhsa_kernel
	.section	.text._ZN7rocprim17ROCPRIM_400000_NS6detail17trampoline_kernelINS0_14default_configENS1_38merge_sort_block_merge_config_selectorIlNS0_10empty_typeEEEZZNS1_27merge_sort_block_merge_implIS3_PlPS5_mZN2at6native12_GLOBAL__N_124unique_dim_cuda_templateIbEESt5tupleIJNSA_6TensorESF_SF_EERKSF_lbbbEUlllE_EE10hipError_tT0_T1_T2_jT3_P12ihipStream_tbPNSt15iterator_traitsISL_E10value_typeEPNSR_ISM_E10value_typeEPSN_NS1_7vsmem_tEENKUlT_SL_SM_SN_E_clIS8_S8_S9_S9_EESK_S10_SL_SM_SN_EUlS10_E1_NS1_11comp_targetILNS1_3genE0ELNS1_11target_archE4294967295ELNS1_3gpuE0ELNS1_3repE0EEENS1_36merge_oddeven_config_static_selectorELNS0_4arch9wavefront6targetE1EEEvSM_,"axG",@progbits,_ZN7rocprim17ROCPRIM_400000_NS6detail17trampoline_kernelINS0_14default_configENS1_38merge_sort_block_merge_config_selectorIlNS0_10empty_typeEEEZZNS1_27merge_sort_block_merge_implIS3_PlPS5_mZN2at6native12_GLOBAL__N_124unique_dim_cuda_templateIbEESt5tupleIJNSA_6TensorESF_SF_EERKSF_lbbbEUlllE_EE10hipError_tT0_T1_T2_jT3_P12ihipStream_tbPNSt15iterator_traitsISL_E10value_typeEPNSR_ISM_E10value_typeEPSN_NS1_7vsmem_tEENKUlT_SL_SM_SN_E_clIS8_S8_S9_S9_EESK_S10_SL_SM_SN_EUlS10_E1_NS1_11comp_targetILNS1_3genE0ELNS1_11target_archE4294967295ELNS1_3gpuE0ELNS1_3repE0EEENS1_36merge_oddeven_config_static_selectorELNS0_4arch9wavefront6targetE1EEEvSM_,comdat
.Lfunc_end1018:
	.size	_ZN7rocprim17ROCPRIM_400000_NS6detail17trampoline_kernelINS0_14default_configENS1_38merge_sort_block_merge_config_selectorIlNS0_10empty_typeEEEZZNS1_27merge_sort_block_merge_implIS3_PlPS5_mZN2at6native12_GLOBAL__N_124unique_dim_cuda_templateIbEESt5tupleIJNSA_6TensorESF_SF_EERKSF_lbbbEUlllE_EE10hipError_tT0_T1_T2_jT3_P12ihipStream_tbPNSt15iterator_traitsISL_E10value_typeEPNSR_ISM_E10value_typeEPSN_NS1_7vsmem_tEENKUlT_SL_SM_SN_E_clIS8_S8_S9_S9_EESK_S10_SL_SM_SN_EUlS10_E1_NS1_11comp_targetILNS1_3genE0ELNS1_11target_archE4294967295ELNS1_3gpuE0ELNS1_3repE0EEENS1_36merge_oddeven_config_static_selectorELNS0_4arch9wavefront6targetE1EEEvSM_, .Lfunc_end1018-_ZN7rocprim17ROCPRIM_400000_NS6detail17trampoline_kernelINS0_14default_configENS1_38merge_sort_block_merge_config_selectorIlNS0_10empty_typeEEEZZNS1_27merge_sort_block_merge_implIS3_PlPS5_mZN2at6native12_GLOBAL__N_124unique_dim_cuda_templateIbEESt5tupleIJNSA_6TensorESF_SF_EERKSF_lbbbEUlllE_EE10hipError_tT0_T1_T2_jT3_P12ihipStream_tbPNSt15iterator_traitsISL_E10value_typeEPNSR_ISM_E10value_typeEPSN_NS1_7vsmem_tEENKUlT_SL_SM_SN_E_clIS8_S8_S9_S9_EESK_S10_SL_SM_SN_EUlS10_E1_NS1_11comp_targetILNS1_3genE0ELNS1_11target_archE4294967295ELNS1_3gpuE0ELNS1_3repE0EEENS1_36merge_oddeven_config_static_selectorELNS0_4arch9wavefront6targetE1EEEvSM_
                                        ; -- End function
	.section	.AMDGPU.csdata,"",@progbits
; Kernel info:
; codeLenInByte = 0
; NumSgprs: 4
; NumVgprs: 0
; NumAgprs: 0
; TotalNumVgprs: 0
; ScratchSize: 0
; MemoryBound: 0
; FloatMode: 240
; IeeeMode: 1
; LDSByteSize: 0 bytes/workgroup (compile time only)
; SGPRBlocks: 0
; VGPRBlocks: 0
; NumSGPRsForWavesPerEU: 4
; NumVGPRsForWavesPerEU: 1
; AccumOffset: 4
; Occupancy: 8
; WaveLimiterHint : 0
; COMPUTE_PGM_RSRC2:SCRATCH_EN: 0
; COMPUTE_PGM_RSRC2:USER_SGPR: 6
; COMPUTE_PGM_RSRC2:TRAP_HANDLER: 0
; COMPUTE_PGM_RSRC2:TGID_X_EN: 1
; COMPUTE_PGM_RSRC2:TGID_Y_EN: 0
; COMPUTE_PGM_RSRC2:TGID_Z_EN: 0
; COMPUTE_PGM_RSRC2:TIDIG_COMP_CNT: 0
; COMPUTE_PGM_RSRC3_GFX90A:ACCUM_OFFSET: 0
; COMPUTE_PGM_RSRC3_GFX90A:TG_SPLIT: 0
	.section	.text._ZN7rocprim17ROCPRIM_400000_NS6detail17trampoline_kernelINS0_14default_configENS1_38merge_sort_block_merge_config_selectorIlNS0_10empty_typeEEEZZNS1_27merge_sort_block_merge_implIS3_PlPS5_mZN2at6native12_GLOBAL__N_124unique_dim_cuda_templateIbEESt5tupleIJNSA_6TensorESF_SF_EERKSF_lbbbEUlllE_EE10hipError_tT0_T1_T2_jT3_P12ihipStream_tbPNSt15iterator_traitsISL_E10value_typeEPNSR_ISM_E10value_typeEPSN_NS1_7vsmem_tEENKUlT_SL_SM_SN_E_clIS8_S8_S9_S9_EESK_S10_SL_SM_SN_EUlS10_E1_NS1_11comp_targetILNS1_3genE10ELNS1_11target_archE1201ELNS1_3gpuE5ELNS1_3repE0EEENS1_36merge_oddeven_config_static_selectorELNS0_4arch9wavefront6targetE1EEEvSM_,"axG",@progbits,_ZN7rocprim17ROCPRIM_400000_NS6detail17trampoline_kernelINS0_14default_configENS1_38merge_sort_block_merge_config_selectorIlNS0_10empty_typeEEEZZNS1_27merge_sort_block_merge_implIS3_PlPS5_mZN2at6native12_GLOBAL__N_124unique_dim_cuda_templateIbEESt5tupleIJNSA_6TensorESF_SF_EERKSF_lbbbEUlllE_EE10hipError_tT0_T1_T2_jT3_P12ihipStream_tbPNSt15iterator_traitsISL_E10value_typeEPNSR_ISM_E10value_typeEPSN_NS1_7vsmem_tEENKUlT_SL_SM_SN_E_clIS8_S8_S9_S9_EESK_S10_SL_SM_SN_EUlS10_E1_NS1_11comp_targetILNS1_3genE10ELNS1_11target_archE1201ELNS1_3gpuE5ELNS1_3repE0EEENS1_36merge_oddeven_config_static_selectorELNS0_4arch9wavefront6targetE1EEEvSM_,comdat
	.globl	_ZN7rocprim17ROCPRIM_400000_NS6detail17trampoline_kernelINS0_14default_configENS1_38merge_sort_block_merge_config_selectorIlNS0_10empty_typeEEEZZNS1_27merge_sort_block_merge_implIS3_PlPS5_mZN2at6native12_GLOBAL__N_124unique_dim_cuda_templateIbEESt5tupleIJNSA_6TensorESF_SF_EERKSF_lbbbEUlllE_EE10hipError_tT0_T1_T2_jT3_P12ihipStream_tbPNSt15iterator_traitsISL_E10value_typeEPNSR_ISM_E10value_typeEPSN_NS1_7vsmem_tEENKUlT_SL_SM_SN_E_clIS8_S8_S9_S9_EESK_S10_SL_SM_SN_EUlS10_E1_NS1_11comp_targetILNS1_3genE10ELNS1_11target_archE1201ELNS1_3gpuE5ELNS1_3repE0EEENS1_36merge_oddeven_config_static_selectorELNS0_4arch9wavefront6targetE1EEEvSM_ ; -- Begin function _ZN7rocprim17ROCPRIM_400000_NS6detail17trampoline_kernelINS0_14default_configENS1_38merge_sort_block_merge_config_selectorIlNS0_10empty_typeEEEZZNS1_27merge_sort_block_merge_implIS3_PlPS5_mZN2at6native12_GLOBAL__N_124unique_dim_cuda_templateIbEESt5tupleIJNSA_6TensorESF_SF_EERKSF_lbbbEUlllE_EE10hipError_tT0_T1_T2_jT3_P12ihipStream_tbPNSt15iterator_traitsISL_E10value_typeEPNSR_ISM_E10value_typeEPSN_NS1_7vsmem_tEENKUlT_SL_SM_SN_E_clIS8_S8_S9_S9_EESK_S10_SL_SM_SN_EUlS10_E1_NS1_11comp_targetILNS1_3genE10ELNS1_11target_archE1201ELNS1_3gpuE5ELNS1_3repE0EEENS1_36merge_oddeven_config_static_selectorELNS0_4arch9wavefront6targetE1EEEvSM_
	.p2align	8
	.type	_ZN7rocprim17ROCPRIM_400000_NS6detail17trampoline_kernelINS0_14default_configENS1_38merge_sort_block_merge_config_selectorIlNS0_10empty_typeEEEZZNS1_27merge_sort_block_merge_implIS3_PlPS5_mZN2at6native12_GLOBAL__N_124unique_dim_cuda_templateIbEESt5tupleIJNSA_6TensorESF_SF_EERKSF_lbbbEUlllE_EE10hipError_tT0_T1_T2_jT3_P12ihipStream_tbPNSt15iterator_traitsISL_E10value_typeEPNSR_ISM_E10value_typeEPSN_NS1_7vsmem_tEENKUlT_SL_SM_SN_E_clIS8_S8_S9_S9_EESK_S10_SL_SM_SN_EUlS10_E1_NS1_11comp_targetILNS1_3genE10ELNS1_11target_archE1201ELNS1_3gpuE5ELNS1_3repE0EEENS1_36merge_oddeven_config_static_selectorELNS0_4arch9wavefront6targetE1EEEvSM_,@function
_ZN7rocprim17ROCPRIM_400000_NS6detail17trampoline_kernelINS0_14default_configENS1_38merge_sort_block_merge_config_selectorIlNS0_10empty_typeEEEZZNS1_27merge_sort_block_merge_implIS3_PlPS5_mZN2at6native12_GLOBAL__N_124unique_dim_cuda_templateIbEESt5tupleIJNSA_6TensorESF_SF_EERKSF_lbbbEUlllE_EE10hipError_tT0_T1_T2_jT3_P12ihipStream_tbPNSt15iterator_traitsISL_E10value_typeEPNSR_ISM_E10value_typeEPSN_NS1_7vsmem_tEENKUlT_SL_SM_SN_E_clIS8_S8_S9_S9_EESK_S10_SL_SM_SN_EUlS10_E1_NS1_11comp_targetILNS1_3genE10ELNS1_11target_archE1201ELNS1_3gpuE5ELNS1_3repE0EEENS1_36merge_oddeven_config_static_selectorELNS0_4arch9wavefront6targetE1EEEvSM_: ; @_ZN7rocprim17ROCPRIM_400000_NS6detail17trampoline_kernelINS0_14default_configENS1_38merge_sort_block_merge_config_selectorIlNS0_10empty_typeEEEZZNS1_27merge_sort_block_merge_implIS3_PlPS5_mZN2at6native12_GLOBAL__N_124unique_dim_cuda_templateIbEESt5tupleIJNSA_6TensorESF_SF_EERKSF_lbbbEUlllE_EE10hipError_tT0_T1_T2_jT3_P12ihipStream_tbPNSt15iterator_traitsISL_E10value_typeEPNSR_ISM_E10value_typeEPSN_NS1_7vsmem_tEENKUlT_SL_SM_SN_E_clIS8_S8_S9_S9_EESK_S10_SL_SM_SN_EUlS10_E1_NS1_11comp_targetILNS1_3genE10ELNS1_11target_archE1201ELNS1_3gpuE5ELNS1_3repE0EEENS1_36merge_oddeven_config_static_selectorELNS0_4arch9wavefront6targetE1EEEvSM_
; %bb.0:
	.section	.rodata,"a",@progbits
	.p2align	6, 0x0
	.amdhsa_kernel _ZN7rocprim17ROCPRIM_400000_NS6detail17trampoline_kernelINS0_14default_configENS1_38merge_sort_block_merge_config_selectorIlNS0_10empty_typeEEEZZNS1_27merge_sort_block_merge_implIS3_PlPS5_mZN2at6native12_GLOBAL__N_124unique_dim_cuda_templateIbEESt5tupleIJNSA_6TensorESF_SF_EERKSF_lbbbEUlllE_EE10hipError_tT0_T1_T2_jT3_P12ihipStream_tbPNSt15iterator_traitsISL_E10value_typeEPNSR_ISM_E10value_typeEPSN_NS1_7vsmem_tEENKUlT_SL_SM_SN_E_clIS8_S8_S9_S9_EESK_S10_SL_SM_SN_EUlS10_E1_NS1_11comp_targetILNS1_3genE10ELNS1_11target_archE1201ELNS1_3gpuE5ELNS1_3repE0EEENS1_36merge_oddeven_config_static_selectorELNS0_4arch9wavefront6targetE1EEEvSM_
		.amdhsa_group_segment_fixed_size 0
		.amdhsa_private_segment_fixed_size 0
		.amdhsa_kernarg_size 64
		.amdhsa_user_sgpr_count 6
		.amdhsa_user_sgpr_private_segment_buffer 1
		.amdhsa_user_sgpr_dispatch_ptr 0
		.amdhsa_user_sgpr_queue_ptr 0
		.amdhsa_user_sgpr_kernarg_segment_ptr 1
		.amdhsa_user_sgpr_dispatch_id 0
		.amdhsa_user_sgpr_flat_scratch_init 0
		.amdhsa_user_sgpr_kernarg_preload_length 0
		.amdhsa_user_sgpr_kernarg_preload_offset 0
		.amdhsa_user_sgpr_private_segment_size 0
		.amdhsa_uses_dynamic_stack 0
		.amdhsa_system_sgpr_private_segment_wavefront_offset 0
		.amdhsa_system_sgpr_workgroup_id_x 1
		.amdhsa_system_sgpr_workgroup_id_y 0
		.amdhsa_system_sgpr_workgroup_id_z 0
		.amdhsa_system_sgpr_workgroup_info 0
		.amdhsa_system_vgpr_workitem_id 0
		.amdhsa_next_free_vgpr 1
		.amdhsa_next_free_sgpr 0
		.amdhsa_accum_offset 4
		.amdhsa_reserve_vcc 0
		.amdhsa_reserve_flat_scratch 0
		.amdhsa_float_round_mode_32 0
		.amdhsa_float_round_mode_16_64 0
		.amdhsa_float_denorm_mode_32 3
		.amdhsa_float_denorm_mode_16_64 3
		.amdhsa_dx10_clamp 1
		.amdhsa_ieee_mode 1
		.amdhsa_fp16_overflow 0
		.amdhsa_tg_split 0
		.amdhsa_exception_fp_ieee_invalid_op 0
		.amdhsa_exception_fp_denorm_src 0
		.amdhsa_exception_fp_ieee_div_zero 0
		.amdhsa_exception_fp_ieee_overflow 0
		.amdhsa_exception_fp_ieee_underflow 0
		.amdhsa_exception_fp_ieee_inexact 0
		.amdhsa_exception_int_div_zero 0
	.end_amdhsa_kernel
	.section	.text._ZN7rocprim17ROCPRIM_400000_NS6detail17trampoline_kernelINS0_14default_configENS1_38merge_sort_block_merge_config_selectorIlNS0_10empty_typeEEEZZNS1_27merge_sort_block_merge_implIS3_PlPS5_mZN2at6native12_GLOBAL__N_124unique_dim_cuda_templateIbEESt5tupleIJNSA_6TensorESF_SF_EERKSF_lbbbEUlllE_EE10hipError_tT0_T1_T2_jT3_P12ihipStream_tbPNSt15iterator_traitsISL_E10value_typeEPNSR_ISM_E10value_typeEPSN_NS1_7vsmem_tEENKUlT_SL_SM_SN_E_clIS8_S8_S9_S9_EESK_S10_SL_SM_SN_EUlS10_E1_NS1_11comp_targetILNS1_3genE10ELNS1_11target_archE1201ELNS1_3gpuE5ELNS1_3repE0EEENS1_36merge_oddeven_config_static_selectorELNS0_4arch9wavefront6targetE1EEEvSM_,"axG",@progbits,_ZN7rocprim17ROCPRIM_400000_NS6detail17trampoline_kernelINS0_14default_configENS1_38merge_sort_block_merge_config_selectorIlNS0_10empty_typeEEEZZNS1_27merge_sort_block_merge_implIS3_PlPS5_mZN2at6native12_GLOBAL__N_124unique_dim_cuda_templateIbEESt5tupleIJNSA_6TensorESF_SF_EERKSF_lbbbEUlllE_EE10hipError_tT0_T1_T2_jT3_P12ihipStream_tbPNSt15iterator_traitsISL_E10value_typeEPNSR_ISM_E10value_typeEPSN_NS1_7vsmem_tEENKUlT_SL_SM_SN_E_clIS8_S8_S9_S9_EESK_S10_SL_SM_SN_EUlS10_E1_NS1_11comp_targetILNS1_3genE10ELNS1_11target_archE1201ELNS1_3gpuE5ELNS1_3repE0EEENS1_36merge_oddeven_config_static_selectorELNS0_4arch9wavefront6targetE1EEEvSM_,comdat
.Lfunc_end1019:
	.size	_ZN7rocprim17ROCPRIM_400000_NS6detail17trampoline_kernelINS0_14default_configENS1_38merge_sort_block_merge_config_selectorIlNS0_10empty_typeEEEZZNS1_27merge_sort_block_merge_implIS3_PlPS5_mZN2at6native12_GLOBAL__N_124unique_dim_cuda_templateIbEESt5tupleIJNSA_6TensorESF_SF_EERKSF_lbbbEUlllE_EE10hipError_tT0_T1_T2_jT3_P12ihipStream_tbPNSt15iterator_traitsISL_E10value_typeEPNSR_ISM_E10value_typeEPSN_NS1_7vsmem_tEENKUlT_SL_SM_SN_E_clIS8_S8_S9_S9_EESK_S10_SL_SM_SN_EUlS10_E1_NS1_11comp_targetILNS1_3genE10ELNS1_11target_archE1201ELNS1_3gpuE5ELNS1_3repE0EEENS1_36merge_oddeven_config_static_selectorELNS0_4arch9wavefront6targetE1EEEvSM_, .Lfunc_end1019-_ZN7rocprim17ROCPRIM_400000_NS6detail17trampoline_kernelINS0_14default_configENS1_38merge_sort_block_merge_config_selectorIlNS0_10empty_typeEEEZZNS1_27merge_sort_block_merge_implIS3_PlPS5_mZN2at6native12_GLOBAL__N_124unique_dim_cuda_templateIbEESt5tupleIJNSA_6TensorESF_SF_EERKSF_lbbbEUlllE_EE10hipError_tT0_T1_T2_jT3_P12ihipStream_tbPNSt15iterator_traitsISL_E10value_typeEPNSR_ISM_E10value_typeEPSN_NS1_7vsmem_tEENKUlT_SL_SM_SN_E_clIS8_S8_S9_S9_EESK_S10_SL_SM_SN_EUlS10_E1_NS1_11comp_targetILNS1_3genE10ELNS1_11target_archE1201ELNS1_3gpuE5ELNS1_3repE0EEENS1_36merge_oddeven_config_static_selectorELNS0_4arch9wavefront6targetE1EEEvSM_
                                        ; -- End function
	.section	.AMDGPU.csdata,"",@progbits
; Kernel info:
; codeLenInByte = 0
; NumSgprs: 4
; NumVgprs: 0
; NumAgprs: 0
; TotalNumVgprs: 0
; ScratchSize: 0
; MemoryBound: 0
; FloatMode: 240
; IeeeMode: 1
; LDSByteSize: 0 bytes/workgroup (compile time only)
; SGPRBlocks: 0
; VGPRBlocks: 0
; NumSGPRsForWavesPerEU: 4
; NumVGPRsForWavesPerEU: 1
; AccumOffset: 4
; Occupancy: 8
; WaveLimiterHint : 0
; COMPUTE_PGM_RSRC2:SCRATCH_EN: 0
; COMPUTE_PGM_RSRC2:USER_SGPR: 6
; COMPUTE_PGM_RSRC2:TRAP_HANDLER: 0
; COMPUTE_PGM_RSRC2:TGID_X_EN: 1
; COMPUTE_PGM_RSRC2:TGID_Y_EN: 0
; COMPUTE_PGM_RSRC2:TGID_Z_EN: 0
; COMPUTE_PGM_RSRC2:TIDIG_COMP_CNT: 0
; COMPUTE_PGM_RSRC3_GFX90A:ACCUM_OFFSET: 0
; COMPUTE_PGM_RSRC3_GFX90A:TG_SPLIT: 0
	.section	.text._ZN7rocprim17ROCPRIM_400000_NS6detail17trampoline_kernelINS0_14default_configENS1_38merge_sort_block_merge_config_selectorIlNS0_10empty_typeEEEZZNS1_27merge_sort_block_merge_implIS3_PlPS5_mZN2at6native12_GLOBAL__N_124unique_dim_cuda_templateIbEESt5tupleIJNSA_6TensorESF_SF_EERKSF_lbbbEUlllE_EE10hipError_tT0_T1_T2_jT3_P12ihipStream_tbPNSt15iterator_traitsISL_E10value_typeEPNSR_ISM_E10value_typeEPSN_NS1_7vsmem_tEENKUlT_SL_SM_SN_E_clIS8_S8_S9_S9_EESK_S10_SL_SM_SN_EUlS10_E1_NS1_11comp_targetILNS1_3genE5ELNS1_11target_archE942ELNS1_3gpuE9ELNS1_3repE0EEENS1_36merge_oddeven_config_static_selectorELNS0_4arch9wavefront6targetE1EEEvSM_,"axG",@progbits,_ZN7rocprim17ROCPRIM_400000_NS6detail17trampoline_kernelINS0_14default_configENS1_38merge_sort_block_merge_config_selectorIlNS0_10empty_typeEEEZZNS1_27merge_sort_block_merge_implIS3_PlPS5_mZN2at6native12_GLOBAL__N_124unique_dim_cuda_templateIbEESt5tupleIJNSA_6TensorESF_SF_EERKSF_lbbbEUlllE_EE10hipError_tT0_T1_T2_jT3_P12ihipStream_tbPNSt15iterator_traitsISL_E10value_typeEPNSR_ISM_E10value_typeEPSN_NS1_7vsmem_tEENKUlT_SL_SM_SN_E_clIS8_S8_S9_S9_EESK_S10_SL_SM_SN_EUlS10_E1_NS1_11comp_targetILNS1_3genE5ELNS1_11target_archE942ELNS1_3gpuE9ELNS1_3repE0EEENS1_36merge_oddeven_config_static_selectorELNS0_4arch9wavefront6targetE1EEEvSM_,comdat
	.globl	_ZN7rocprim17ROCPRIM_400000_NS6detail17trampoline_kernelINS0_14default_configENS1_38merge_sort_block_merge_config_selectorIlNS0_10empty_typeEEEZZNS1_27merge_sort_block_merge_implIS3_PlPS5_mZN2at6native12_GLOBAL__N_124unique_dim_cuda_templateIbEESt5tupleIJNSA_6TensorESF_SF_EERKSF_lbbbEUlllE_EE10hipError_tT0_T1_T2_jT3_P12ihipStream_tbPNSt15iterator_traitsISL_E10value_typeEPNSR_ISM_E10value_typeEPSN_NS1_7vsmem_tEENKUlT_SL_SM_SN_E_clIS8_S8_S9_S9_EESK_S10_SL_SM_SN_EUlS10_E1_NS1_11comp_targetILNS1_3genE5ELNS1_11target_archE942ELNS1_3gpuE9ELNS1_3repE0EEENS1_36merge_oddeven_config_static_selectorELNS0_4arch9wavefront6targetE1EEEvSM_ ; -- Begin function _ZN7rocprim17ROCPRIM_400000_NS6detail17trampoline_kernelINS0_14default_configENS1_38merge_sort_block_merge_config_selectorIlNS0_10empty_typeEEEZZNS1_27merge_sort_block_merge_implIS3_PlPS5_mZN2at6native12_GLOBAL__N_124unique_dim_cuda_templateIbEESt5tupleIJNSA_6TensorESF_SF_EERKSF_lbbbEUlllE_EE10hipError_tT0_T1_T2_jT3_P12ihipStream_tbPNSt15iterator_traitsISL_E10value_typeEPNSR_ISM_E10value_typeEPSN_NS1_7vsmem_tEENKUlT_SL_SM_SN_E_clIS8_S8_S9_S9_EESK_S10_SL_SM_SN_EUlS10_E1_NS1_11comp_targetILNS1_3genE5ELNS1_11target_archE942ELNS1_3gpuE9ELNS1_3repE0EEENS1_36merge_oddeven_config_static_selectorELNS0_4arch9wavefront6targetE1EEEvSM_
	.p2align	8
	.type	_ZN7rocprim17ROCPRIM_400000_NS6detail17trampoline_kernelINS0_14default_configENS1_38merge_sort_block_merge_config_selectorIlNS0_10empty_typeEEEZZNS1_27merge_sort_block_merge_implIS3_PlPS5_mZN2at6native12_GLOBAL__N_124unique_dim_cuda_templateIbEESt5tupleIJNSA_6TensorESF_SF_EERKSF_lbbbEUlllE_EE10hipError_tT0_T1_T2_jT3_P12ihipStream_tbPNSt15iterator_traitsISL_E10value_typeEPNSR_ISM_E10value_typeEPSN_NS1_7vsmem_tEENKUlT_SL_SM_SN_E_clIS8_S8_S9_S9_EESK_S10_SL_SM_SN_EUlS10_E1_NS1_11comp_targetILNS1_3genE5ELNS1_11target_archE942ELNS1_3gpuE9ELNS1_3repE0EEENS1_36merge_oddeven_config_static_selectorELNS0_4arch9wavefront6targetE1EEEvSM_,@function
_ZN7rocprim17ROCPRIM_400000_NS6detail17trampoline_kernelINS0_14default_configENS1_38merge_sort_block_merge_config_selectorIlNS0_10empty_typeEEEZZNS1_27merge_sort_block_merge_implIS3_PlPS5_mZN2at6native12_GLOBAL__N_124unique_dim_cuda_templateIbEESt5tupleIJNSA_6TensorESF_SF_EERKSF_lbbbEUlllE_EE10hipError_tT0_T1_T2_jT3_P12ihipStream_tbPNSt15iterator_traitsISL_E10value_typeEPNSR_ISM_E10value_typeEPSN_NS1_7vsmem_tEENKUlT_SL_SM_SN_E_clIS8_S8_S9_S9_EESK_S10_SL_SM_SN_EUlS10_E1_NS1_11comp_targetILNS1_3genE5ELNS1_11target_archE942ELNS1_3gpuE9ELNS1_3repE0EEENS1_36merge_oddeven_config_static_selectorELNS0_4arch9wavefront6targetE1EEEvSM_: ; @_ZN7rocprim17ROCPRIM_400000_NS6detail17trampoline_kernelINS0_14default_configENS1_38merge_sort_block_merge_config_selectorIlNS0_10empty_typeEEEZZNS1_27merge_sort_block_merge_implIS3_PlPS5_mZN2at6native12_GLOBAL__N_124unique_dim_cuda_templateIbEESt5tupleIJNSA_6TensorESF_SF_EERKSF_lbbbEUlllE_EE10hipError_tT0_T1_T2_jT3_P12ihipStream_tbPNSt15iterator_traitsISL_E10value_typeEPNSR_ISM_E10value_typeEPSN_NS1_7vsmem_tEENKUlT_SL_SM_SN_E_clIS8_S8_S9_S9_EESK_S10_SL_SM_SN_EUlS10_E1_NS1_11comp_targetILNS1_3genE5ELNS1_11target_archE942ELNS1_3gpuE9ELNS1_3repE0EEENS1_36merge_oddeven_config_static_selectorELNS0_4arch9wavefront6targetE1EEEvSM_
; %bb.0:
	.section	.rodata,"a",@progbits
	.p2align	6, 0x0
	.amdhsa_kernel _ZN7rocprim17ROCPRIM_400000_NS6detail17trampoline_kernelINS0_14default_configENS1_38merge_sort_block_merge_config_selectorIlNS0_10empty_typeEEEZZNS1_27merge_sort_block_merge_implIS3_PlPS5_mZN2at6native12_GLOBAL__N_124unique_dim_cuda_templateIbEESt5tupleIJNSA_6TensorESF_SF_EERKSF_lbbbEUlllE_EE10hipError_tT0_T1_T2_jT3_P12ihipStream_tbPNSt15iterator_traitsISL_E10value_typeEPNSR_ISM_E10value_typeEPSN_NS1_7vsmem_tEENKUlT_SL_SM_SN_E_clIS8_S8_S9_S9_EESK_S10_SL_SM_SN_EUlS10_E1_NS1_11comp_targetILNS1_3genE5ELNS1_11target_archE942ELNS1_3gpuE9ELNS1_3repE0EEENS1_36merge_oddeven_config_static_selectorELNS0_4arch9wavefront6targetE1EEEvSM_
		.amdhsa_group_segment_fixed_size 0
		.amdhsa_private_segment_fixed_size 0
		.amdhsa_kernarg_size 64
		.amdhsa_user_sgpr_count 6
		.amdhsa_user_sgpr_private_segment_buffer 1
		.amdhsa_user_sgpr_dispatch_ptr 0
		.amdhsa_user_sgpr_queue_ptr 0
		.amdhsa_user_sgpr_kernarg_segment_ptr 1
		.amdhsa_user_sgpr_dispatch_id 0
		.amdhsa_user_sgpr_flat_scratch_init 0
		.amdhsa_user_sgpr_kernarg_preload_length 0
		.amdhsa_user_sgpr_kernarg_preload_offset 0
		.amdhsa_user_sgpr_private_segment_size 0
		.amdhsa_uses_dynamic_stack 0
		.amdhsa_system_sgpr_private_segment_wavefront_offset 0
		.amdhsa_system_sgpr_workgroup_id_x 1
		.amdhsa_system_sgpr_workgroup_id_y 0
		.amdhsa_system_sgpr_workgroup_id_z 0
		.amdhsa_system_sgpr_workgroup_info 0
		.amdhsa_system_vgpr_workitem_id 0
		.amdhsa_next_free_vgpr 1
		.amdhsa_next_free_sgpr 0
		.amdhsa_accum_offset 4
		.amdhsa_reserve_vcc 0
		.amdhsa_reserve_flat_scratch 0
		.amdhsa_float_round_mode_32 0
		.amdhsa_float_round_mode_16_64 0
		.amdhsa_float_denorm_mode_32 3
		.amdhsa_float_denorm_mode_16_64 3
		.amdhsa_dx10_clamp 1
		.amdhsa_ieee_mode 1
		.amdhsa_fp16_overflow 0
		.amdhsa_tg_split 0
		.amdhsa_exception_fp_ieee_invalid_op 0
		.amdhsa_exception_fp_denorm_src 0
		.amdhsa_exception_fp_ieee_div_zero 0
		.amdhsa_exception_fp_ieee_overflow 0
		.amdhsa_exception_fp_ieee_underflow 0
		.amdhsa_exception_fp_ieee_inexact 0
		.amdhsa_exception_int_div_zero 0
	.end_amdhsa_kernel
	.section	.text._ZN7rocprim17ROCPRIM_400000_NS6detail17trampoline_kernelINS0_14default_configENS1_38merge_sort_block_merge_config_selectorIlNS0_10empty_typeEEEZZNS1_27merge_sort_block_merge_implIS3_PlPS5_mZN2at6native12_GLOBAL__N_124unique_dim_cuda_templateIbEESt5tupleIJNSA_6TensorESF_SF_EERKSF_lbbbEUlllE_EE10hipError_tT0_T1_T2_jT3_P12ihipStream_tbPNSt15iterator_traitsISL_E10value_typeEPNSR_ISM_E10value_typeEPSN_NS1_7vsmem_tEENKUlT_SL_SM_SN_E_clIS8_S8_S9_S9_EESK_S10_SL_SM_SN_EUlS10_E1_NS1_11comp_targetILNS1_3genE5ELNS1_11target_archE942ELNS1_3gpuE9ELNS1_3repE0EEENS1_36merge_oddeven_config_static_selectorELNS0_4arch9wavefront6targetE1EEEvSM_,"axG",@progbits,_ZN7rocprim17ROCPRIM_400000_NS6detail17trampoline_kernelINS0_14default_configENS1_38merge_sort_block_merge_config_selectorIlNS0_10empty_typeEEEZZNS1_27merge_sort_block_merge_implIS3_PlPS5_mZN2at6native12_GLOBAL__N_124unique_dim_cuda_templateIbEESt5tupleIJNSA_6TensorESF_SF_EERKSF_lbbbEUlllE_EE10hipError_tT0_T1_T2_jT3_P12ihipStream_tbPNSt15iterator_traitsISL_E10value_typeEPNSR_ISM_E10value_typeEPSN_NS1_7vsmem_tEENKUlT_SL_SM_SN_E_clIS8_S8_S9_S9_EESK_S10_SL_SM_SN_EUlS10_E1_NS1_11comp_targetILNS1_3genE5ELNS1_11target_archE942ELNS1_3gpuE9ELNS1_3repE0EEENS1_36merge_oddeven_config_static_selectorELNS0_4arch9wavefront6targetE1EEEvSM_,comdat
.Lfunc_end1020:
	.size	_ZN7rocprim17ROCPRIM_400000_NS6detail17trampoline_kernelINS0_14default_configENS1_38merge_sort_block_merge_config_selectorIlNS0_10empty_typeEEEZZNS1_27merge_sort_block_merge_implIS3_PlPS5_mZN2at6native12_GLOBAL__N_124unique_dim_cuda_templateIbEESt5tupleIJNSA_6TensorESF_SF_EERKSF_lbbbEUlllE_EE10hipError_tT0_T1_T2_jT3_P12ihipStream_tbPNSt15iterator_traitsISL_E10value_typeEPNSR_ISM_E10value_typeEPSN_NS1_7vsmem_tEENKUlT_SL_SM_SN_E_clIS8_S8_S9_S9_EESK_S10_SL_SM_SN_EUlS10_E1_NS1_11comp_targetILNS1_3genE5ELNS1_11target_archE942ELNS1_3gpuE9ELNS1_3repE0EEENS1_36merge_oddeven_config_static_selectorELNS0_4arch9wavefront6targetE1EEEvSM_, .Lfunc_end1020-_ZN7rocprim17ROCPRIM_400000_NS6detail17trampoline_kernelINS0_14default_configENS1_38merge_sort_block_merge_config_selectorIlNS0_10empty_typeEEEZZNS1_27merge_sort_block_merge_implIS3_PlPS5_mZN2at6native12_GLOBAL__N_124unique_dim_cuda_templateIbEESt5tupleIJNSA_6TensorESF_SF_EERKSF_lbbbEUlllE_EE10hipError_tT0_T1_T2_jT3_P12ihipStream_tbPNSt15iterator_traitsISL_E10value_typeEPNSR_ISM_E10value_typeEPSN_NS1_7vsmem_tEENKUlT_SL_SM_SN_E_clIS8_S8_S9_S9_EESK_S10_SL_SM_SN_EUlS10_E1_NS1_11comp_targetILNS1_3genE5ELNS1_11target_archE942ELNS1_3gpuE9ELNS1_3repE0EEENS1_36merge_oddeven_config_static_selectorELNS0_4arch9wavefront6targetE1EEEvSM_
                                        ; -- End function
	.section	.AMDGPU.csdata,"",@progbits
; Kernel info:
; codeLenInByte = 0
; NumSgprs: 4
; NumVgprs: 0
; NumAgprs: 0
; TotalNumVgprs: 0
; ScratchSize: 0
; MemoryBound: 0
; FloatMode: 240
; IeeeMode: 1
; LDSByteSize: 0 bytes/workgroup (compile time only)
; SGPRBlocks: 0
; VGPRBlocks: 0
; NumSGPRsForWavesPerEU: 4
; NumVGPRsForWavesPerEU: 1
; AccumOffset: 4
; Occupancy: 8
; WaveLimiterHint : 0
; COMPUTE_PGM_RSRC2:SCRATCH_EN: 0
; COMPUTE_PGM_RSRC2:USER_SGPR: 6
; COMPUTE_PGM_RSRC2:TRAP_HANDLER: 0
; COMPUTE_PGM_RSRC2:TGID_X_EN: 1
; COMPUTE_PGM_RSRC2:TGID_Y_EN: 0
; COMPUTE_PGM_RSRC2:TGID_Z_EN: 0
; COMPUTE_PGM_RSRC2:TIDIG_COMP_CNT: 0
; COMPUTE_PGM_RSRC3_GFX90A:ACCUM_OFFSET: 0
; COMPUTE_PGM_RSRC3_GFX90A:TG_SPLIT: 0
	.section	.text._ZN7rocprim17ROCPRIM_400000_NS6detail17trampoline_kernelINS0_14default_configENS1_38merge_sort_block_merge_config_selectorIlNS0_10empty_typeEEEZZNS1_27merge_sort_block_merge_implIS3_PlPS5_mZN2at6native12_GLOBAL__N_124unique_dim_cuda_templateIbEESt5tupleIJNSA_6TensorESF_SF_EERKSF_lbbbEUlllE_EE10hipError_tT0_T1_T2_jT3_P12ihipStream_tbPNSt15iterator_traitsISL_E10value_typeEPNSR_ISM_E10value_typeEPSN_NS1_7vsmem_tEENKUlT_SL_SM_SN_E_clIS8_S8_S9_S9_EESK_S10_SL_SM_SN_EUlS10_E1_NS1_11comp_targetILNS1_3genE4ELNS1_11target_archE910ELNS1_3gpuE8ELNS1_3repE0EEENS1_36merge_oddeven_config_static_selectorELNS0_4arch9wavefront6targetE1EEEvSM_,"axG",@progbits,_ZN7rocprim17ROCPRIM_400000_NS6detail17trampoline_kernelINS0_14default_configENS1_38merge_sort_block_merge_config_selectorIlNS0_10empty_typeEEEZZNS1_27merge_sort_block_merge_implIS3_PlPS5_mZN2at6native12_GLOBAL__N_124unique_dim_cuda_templateIbEESt5tupleIJNSA_6TensorESF_SF_EERKSF_lbbbEUlllE_EE10hipError_tT0_T1_T2_jT3_P12ihipStream_tbPNSt15iterator_traitsISL_E10value_typeEPNSR_ISM_E10value_typeEPSN_NS1_7vsmem_tEENKUlT_SL_SM_SN_E_clIS8_S8_S9_S9_EESK_S10_SL_SM_SN_EUlS10_E1_NS1_11comp_targetILNS1_3genE4ELNS1_11target_archE910ELNS1_3gpuE8ELNS1_3repE0EEENS1_36merge_oddeven_config_static_selectorELNS0_4arch9wavefront6targetE1EEEvSM_,comdat
	.globl	_ZN7rocprim17ROCPRIM_400000_NS6detail17trampoline_kernelINS0_14default_configENS1_38merge_sort_block_merge_config_selectorIlNS0_10empty_typeEEEZZNS1_27merge_sort_block_merge_implIS3_PlPS5_mZN2at6native12_GLOBAL__N_124unique_dim_cuda_templateIbEESt5tupleIJNSA_6TensorESF_SF_EERKSF_lbbbEUlllE_EE10hipError_tT0_T1_T2_jT3_P12ihipStream_tbPNSt15iterator_traitsISL_E10value_typeEPNSR_ISM_E10value_typeEPSN_NS1_7vsmem_tEENKUlT_SL_SM_SN_E_clIS8_S8_S9_S9_EESK_S10_SL_SM_SN_EUlS10_E1_NS1_11comp_targetILNS1_3genE4ELNS1_11target_archE910ELNS1_3gpuE8ELNS1_3repE0EEENS1_36merge_oddeven_config_static_selectorELNS0_4arch9wavefront6targetE1EEEvSM_ ; -- Begin function _ZN7rocprim17ROCPRIM_400000_NS6detail17trampoline_kernelINS0_14default_configENS1_38merge_sort_block_merge_config_selectorIlNS0_10empty_typeEEEZZNS1_27merge_sort_block_merge_implIS3_PlPS5_mZN2at6native12_GLOBAL__N_124unique_dim_cuda_templateIbEESt5tupleIJNSA_6TensorESF_SF_EERKSF_lbbbEUlllE_EE10hipError_tT0_T1_T2_jT3_P12ihipStream_tbPNSt15iterator_traitsISL_E10value_typeEPNSR_ISM_E10value_typeEPSN_NS1_7vsmem_tEENKUlT_SL_SM_SN_E_clIS8_S8_S9_S9_EESK_S10_SL_SM_SN_EUlS10_E1_NS1_11comp_targetILNS1_3genE4ELNS1_11target_archE910ELNS1_3gpuE8ELNS1_3repE0EEENS1_36merge_oddeven_config_static_selectorELNS0_4arch9wavefront6targetE1EEEvSM_
	.p2align	8
	.type	_ZN7rocprim17ROCPRIM_400000_NS6detail17trampoline_kernelINS0_14default_configENS1_38merge_sort_block_merge_config_selectorIlNS0_10empty_typeEEEZZNS1_27merge_sort_block_merge_implIS3_PlPS5_mZN2at6native12_GLOBAL__N_124unique_dim_cuda_templateIbEESt5tupleIJNSA_6TensorESF_SF_EERKSF_lbbbEUlllE_EE10hipError_tT0_T1_T2_jT3_P12ihipStream_tbPNSt15iterator_traitsISL_E10value_typeEPNSR_ISM_E10value_typeEPSN_NS1_7vsmem_tEENKUlT_SL_SM_SN_E_clIS8_S8_S9_S9_EESK_S10_SL_SM_SN_EUlS10_E1_NS1_11comp_targetILNS1_3genE4ELNS1_11target_archE910ELNS1_3gpuE8ELNS1_3repE0EEENS1_36merge_oddeven_config_static_selectorELNS0_4arch9wavefront6targetE1EEEvSM_,@function
_ZN7rocprim17ROCPRIM_400000_NS6detail17trampoline_kernelINS0_14default_configENS1_38merge_sort_block_merge_config_selectorIlNS0_10empty_typeEEEZZNS1_27merge_sort_block_merge_implIS3_PlPS5_mZN2at6native12_GLOBAL__N_124unique_dim_cuda_templateIbEESt5tupleIJNSA_6TensorESF_SF_EERKSF_lbbbEUlllE_EE10hipError_tT0_T1_T2_jT3_P12ihipStream_tbPNSt15iterator_traitsISL_E10value_typeEPNSR_ISM_E10value_typeEPSN_NS1_7vsmem_tEENKUlT_SL_SM_SN_E_clIS8_S8_S9_S9_EESK_S10_SL_SM_SN_EUlS10_E1_NS1_11comp_targetILNS1_3genE4ELNS1_11target_archE910ELNS1_3gpuE8ELNS1_3repE0EEENS1_36merge_oddeven_config_static_selectorELNS0_4arch9wavefront6targetE1EEEvSM_: ; @_ZN7rocprim17ROCPRIM_400000_NS6detail17trampoline_kernelINS0_14default_configENS1_38merge_sort_block_merge_config_selectorIlNS0_10empty_typeEEEZZNS1_27merge_sort_block_merge_implIS3_PlPS5_mZN2at6native12_GLOBAL__N_124unique_dim_cuda_templateIbEESt5tupleIJNSA_6TensorESF_SF_EERKSF_lbbbEUlllE_EE10hipError_tT0_T1_T2_jT3_P12ihipStream_tbPNSt15iterator_traitsISL_E10value_typeEPNSR_ISM_E10value_typeEPSN_NS1_7vsmem_tEENKUlT_SL_SM_SN_E_clIS8_S8_S9_S9_EESK_S10_SL_SM_SN_EUlS10_E1_NS1_11comp_targetILNS1_3genE4ELNS1_11target_archE910ELNS1_3gpuE8ELNS1_3repE0EEENS1_36merge_oddeven_config_static_selectorELNS0_4arch9wavefront6targetE1EEEvSM_
; %bb.0:
	s_load_dword s20, s[4:5], 0x20
	s_waitcnt lgkmcnt(0)
	s_lshr_b32 s0, s20, 8
	s_cmp_lg_u32 s6, s0
	s_cselect_b64 s[12:13], -1, 0
	s_cmp_eq_u32 s6, s0
	s_cselect_b64 s[2:3], -1, 0
	s_lshl_b32 s18, s6, 8
	s_sub_i32 s0, s20, s18
	v_cmp_gt_u32_e64 s[0:1], s0, v0
	s_or_b64 s[8:9], s[12:13], s[0:1]
	s_and_saveexec_b64 s[10:11], s[8:9]
	s_cbranch_execz .LBB1021_54
; %bb.1:
	s_load_dwordx4 s[8:11], s[4:5], 0x0
	s_load_dword s21, s[4:5], 0x28
	s_mov_b32 s19, 0
	s_lshl_b64 s[14:15], s[18:19], 3
	v_lshlrev_b32_e32 v1, 3, v0
	s_waitcnt lgkmcnt(0)
	s_add_u32 s14, s8, s14
	s_addc_u32 s15, s9, s15
	global_load_dwordx2 v[2:3], v1, s[14:15]
	s_lshr_b32 s7, s21, 8
	s_sub_i32 s14, 0, s7
	s_and_b32 s14, s6, s14
	s_and_b32 s15, s14, s7
	s_cmp_lg_u32 s15, 0
	s_cselect_b64 s[6:7], -1, 0
	s_lshl_b32 s19, s14, 8
	s_sub_i32 s14, 0, s21
	s_cmp_eq_u32 s15, 0
	s_cselect_b32 s33, s21, s14
	s_add_i32 s33, s33, s19
	s_cmp_lt_u32 s33, s20
	s_cbranch_scc1 .LBB1021_3
; %bb.2:
	v_add_u32_e32 v4, s18, v0
	v_cmp_gt_u32_e32 vcc, s20, v4
	s_or_b64 s[14:15], vcc, s[12:13]
	s_and_b64 s[16:17], s[14:15], exec
	s_cbranch_execz .LBB1021_4
	s_branch .LBB1021_52
.LBB1021_3:
	s_mov_b64 s[16:17], 0
                                        ; implicit-def: $vgpr4
.LBB1021_4:
	s_load_dwordx4 s[12:15], s[4:5], 0x30
	s_min_u32 s40, s33, s20
	s_add_i32 s4, s40, s21
	s_min_u32 s41, s4, s20
	s_min_u32 s4, s19, s40
	v_add_u32_e32 v0, s18, v0
	s_add_i32 s19, s19, s40
	v_subrev_u32_e32 v0, s19, v0
	v_add_u32_e32 v14, s4, v0
	s_and_b64 vcc, exec, s[2:3]
	s_cbranch_vccz .LBB1021_26
; %bb.5:
                                        ; implicit-def: $vgpr4
	s_and_saveexec_b64 s[18:19], s[0:1]
	s_cbranch_execz .LBB1021_29
; %bb.6:
	s_cmp_ge_u32 s33, s41
	v_mov_b32_e32 v15, s40
	s_cbranch_scc1 .LBB1021_28
; %bb.7:
	s_waitcnt lgkmcnt(0)
	v_pk_mov_b32 v[0:1], s[14:15], s[14:15] op_sel:[0,1]
	s_waitcnt vmcnt(0)
	v_mad_u64_u32 v[4:5], s[0:1], v2, s12, v[0:1]
	v_mul_lo_u32 v6, v2, s13
	v_mul_lo_u32 v7, v3, s12
	v_add3_u32 v5, v7, v5, v6
	v_cndmask_b32_e64 v6, 0, 1, s[6:7]
	v_cmp_gt_i64_e64 s[2:3], s[12:13], 0
	v_cmp_ne_u32_e64 s[0:1], 1, v6
	v_cndmask_b32_e64 v6, 0, 1, s[2:3]
	s_mov_b64 s[20:21], 0
	v_mov_b32_e32 v16, s41
	v_mov_b32_e32 v15, s40
	;; [unrolled: 1-line block ×4, first 2 shown]
	v_cmp_ne_u32_e64 s[2:3], 1, v6
	s_branch .LBB1021_10
.LBB1021_8:                             ;   in Loop: Header=BB1021_10 Depth=1
	s_or_b64 exec, exec, s[24:25]
.LBB1021_9:                             ;   in Loop: Header=BB1021_10 Depth=1
	s_waitcnt vmcnt(0)
	v_add_u32_e32 v8, 1, v6
	v_cndmask_b32_e64 v16, v6, v16, s[22:23]
	v_cndmask_b32_e64 v15, v15, v8, s[22:23]
	v_cmp_ge_u32_e32 vcc, v15, v16
	s_or_b64 s[20:21], vcc, s[20:21]
	s_andn2_b64 exec, exec, s[20:21]
	s_cbranch_execz .LBB1021_27
.LBB1021_10:                            ; =>This Loop Header: Depth=1
                                        ;     Child Loop BB1021_14 Depth 2
                                        ;     Child Loop BB1021_23 Depth 2
	v_add_u32_e32 v6, v15, v16
	v_lshrrev_b32_e32 v6, 1, v6
	v_lshlrev_b64 v[8:9], 3, v[6:7]
	v_add_co_u32_e32 v8, vcc, s8, v8
	v_addc_co_u32_e32 v9, vcc, v17, v9, vcc
	global_load_dwordx2 v[8:9], v[8:9], off
	s_and_b64 vcc, exec, s[0:1]
	s_mov_b64 s[4:5], -1
                                        ; implicit-def: $sgpr22_sgpr23
	s_cbranch_vccnz .LBB1021_19
; %bb.11:                               ;   in Loop: Header=BB1021_10 Depth=1
	s_and_b64 vcc, exec, s[2:3]
	s_cbranch_vccnz .LBB1021_17
; %bb.12:                               ;   in Loop: Header=BB1021_10 Depth=1
	s_waitcnt vmcnt(0)
	v_mad_u64_u32 v[10:11], s[4:5], v8, s12, v[0:1]
	v_mul_lo_u32 v12, v8, s13
	v_mul_lo_u32 v13, v9, s12
	v_add3_u32 v11, v13, v11, v12
	s_mov_b64 s[24:25], 0
	s_mov_b64 s[30:31], s[12:13]
	v_pk_mov_b32 v[12:13], v[4:5], v[4:5] op_sel:[0,1]
                                        ; implicit-def: $sgpr22_sgpr23
                                        ; implicit-def: $sgpr26_sgpr27
                                        ; implicit-def: $sgpr28_sgpr29
                                        ; implicit-def: $sgpr4_sgpr5
                                        ; implicit-def: $sgpr34_sgpr35
	s_branch .LBB1021_14
.LBB1021_13:                            ;   in Loop: Header=BB1021_14 Depth=2
	s_or_b64 exec, exec, s[36:37]
	s_and_b64 s[36:37], exec, s[26:27]
	s_or_b64 s[24:25], s[36:37], s[24:25]
	s_andn2_b64 s[34:35], s[34:35], exec
	s_and_b64 s[36:37], s[28:29], exec
	s_or_b64 s[34:35], s[34:35], s[36:37]
	s_andn2_b64 s[22:23], s[22:23], exec
	s_and_b64 s[36:37], s[4:5], exec
	s_or_b64 s[22:23], s[22:23], s[36:37]
	s_andn2_b64 exec, exec, s[24:25]
	s_cbranch_execz .LBB1021_16
.LBB1021_14:                            ;   Parent Loop BB1021_10 Depth=1
                                        ; =>  This Inner Loop Header: Depth=2
	global_load_ubyte v18, v[12:13], off
	global_load_ubyte v19, v[10:11], off
	s_andn2_b64 s[36:37], s[4:5], exec
	s_andn2_b64 s[28:29], s[28:29], exec
	s_or_b64 s[26:27], s[26:27], exec
	s_waitcnt vmcnt(1)
	v_cmp_eq_u16_e32 vcc, 0, v18
	s_waitcnt vmcnt(0)
	v_cmp_ne_u16_e64 s[4:5], 0, v19
	s_or_b64 s[42:43], vcc, s[4:5]
	s_and_b64 s[38:39], vcc, s[4:5]
	s_xor_b64 s[44:45], vcc, s[4:5]
	s_and_b64 s[4:5], s[42:43], s[34:35]
	s_or_b64 s[38:39], s[38:39], s[4:5]
	s_and_b64 s[4:5], s[38:39], exec
	s_or_b64 s[4:5], s[36:37], s[4:5]
	s_and_saveexec_b64 s[36:37], s[44:45]
	s_cbranch_execz .LBB1021_13
; %bb.15:                               ;   in Loop: Header=BB1021_14 Depth=2
	s_add_u32 s30, s30, -1
	s_addc_u32 s31, s31, -1
	v_add_co_u32_e32 v12, vcc, 1, v12
	s_cmp_eq_u64 s[30:31], 0
	v_addc_co_u32_e32 v13, vcc, 0, v13, vcc
	s_cselect_b64 s[34:35], -1, 0
	v_add_co_u32_e32 v10, vcc, 1, v10
	s_andn2_b64 s[28:29], s[28:29], exec
	s_and_b64 s[38:39], s[38:39], exec
	s_andn2_b64 s[26:27], s[26:27], exec
	s_and_b64 s[34:35], s[34:35], exec
	v_addc_co_u32_e32 v11, vcc, 0, v11, vcc
	s_andn2_b64 s[4:5], s[4:5], exec
	s_or_b64 s[28:29], s[28:29], s[38:39]
	s_or_b64 s[26:27], s[26:27], s[34:35]
                                        ; implicit-def: $sgpr34_sgpr35
	s_branch .LBB1021_13
.LBB1021_16:                            ;   in Loop: Header=BB1021_10 Depth=1
	s_or_b64 exec, exec, s[24:25]
	s_branch .LBB1021_18
.LBB1021_17:                            ;   in Loop: Header=BB1021_10 Depth=1
	s_mov_b64 s[22:23], 0
.LBB1021_18:                            ;   in Loop: Header=BB1021_10 Depth=1
	s_xor_b64 s[22:23], s[22:23], -1
	s_mov_b64 s[4:5], 0
.LBB1021_19:                            ;   in Loop: Header=BB1021_10 Depth=1
	s_and_b64 vcc, exec, s[4:5]
	s_cbranch_vccz .LBB1021_9
; %bb.20:                               ;   in Loop: Header=BB1021_10 Depth=1
	s_and_b64 vcc, exec, s[2:3]
	s_cbranch_vccnz .LBB1021_25
; %bb.21:                               ;   in Loop: Header=BB1021_10 Depth=1
	s_waitcnt vmcnt(0)
	v_mad_u64_u32 v[10:11], s[4:5], v8, s12, v[0:1]
	v_mul_lo_u32 v8, v8, s13
	v_mul_lo_u32 v9, v9, s12
	v_add3_u32 v11, v9, v11, v8
	s_mov_b64 s[24:25], 0
	s_mov_b64 s[30:31], s[12:13]
	v_pk_mov_b32 v[8:9], v[4:5], v[4:5] op_sel:[0,1]
                                        ; implicit-def: $sgpr22_sgpr23
                                        ; implicit-def: $sgpr26_sgpr27
                                        ; implicit-def: $sgpr28_sgpr29
                                        ; implicit-def: $sgpr4_sgpr5
                                        ; implicit-def: $sgpr34_sgpr35
	s_branch .LBB1021_23
.LBB1021_22:                            ;   in Loop: Header=BB1021_23 Depth=2
	s_or_b64 exec, exec, s[36:37]
	s_and_b64 s[36:37], exec, s[26:27]
	s_or_b64 s[24:25], s[36:37], s[24:25]
	s_andn2_b64 s[34:35], s[34:35], exec
	s_and_b64 s[36:37], s[28:29], exec
	s_or_b64 s[34:35], s[34:35], s[36:37]
	s_andn2_b64 s[22:23], s[22:23], exec
	s_and_b64 s[36:37], s[4:5], exec
	s_or_b64 s[22:23], s[22:23], s[36:37]
	s_andn2_b64 exec, exec, s[24:25]
	s_cbranch_execz .LBB1021_8
.LBB1021_23:                            ;   Parent Loop BB1021_10 Depth=1
                                        ; =>  This Inner Loop Header: Depth=2
	global_load_ubyte v12, v[10:11], off
	global_load_ubyte v13, v[8:9], off
	s_andn2_b64 s[36:37], s[4:5], exec
	s_andn2_b64 s[28:29], s[28:29], exec
	s_or_b64 s[26:27], s[26:27], exec
	s_waitcnt vmcnt(1)
	v_cmp_eq_u16_e32 vcc, 0, v12
	s_waitcnt vmcnt(0)
	v_cmp_ne_u16_e64 s[4:5], 0, v13
	s_or_b64 s[42:43], vcc, s[4:5]
	s_and_b64 s[38:39], vcc, s[4:5]
	s_xor_b64 s[44:45], vcc, s[4:5]
	s_and_b64 s[4:5], s[42:43], s[34:35]
	s_or_b64 s[38:39], s[38:39], s[4:5]
	s_and_b64 s[4:5], s[38:39], exec
	s_or_b64 s[4:5], s[36:37], s[4:5]
	s_and_saveexec_b64 s[36:37], s[44:45]
	s_cbranch_execz .LBB1021_22
; %bb.24:                               ;   in Loop: Header=BB1021_23 Depth=2
	s_add_u32 s30, s30, -1
	s_addc_u32 s31, s31, -1
	v_add_co_u32_e32 v10, vcc, 1, v10
	s_cmp_eq_u64 s[30:31], 0
	v_addc_co_u32_e32 v11, vcc, 0, v11, vcc
	s_cselect_b64 s[34:35], -1, 0
	v_add_co_u32_e32 v8, vcc, 1, v8
	s_andn2_b64 s[28:29], s[28:29], exec
	s_and_b64 s[38:39], s[38:39], exec
	s_andn2_b64 s[26:27], s[26:27], exec
	s_and_b64 s[34:35], s[34:35], exec
	v_addc_co_u32_e32 v9, vcc, 0, v9, vcc
	s_andn2_b64 s[4:5], s[4:5], exec
	s_or_b64 s[28:29], s[28:29], s[38:39]
	s_or_b64 s[26:27], s[26:27], s[34:35]
                                        ; implicit-def: $sgpr34_sgpr35
	s_branch .LBB1021_22
.LBB1021_25:                            ;   in Loop: Header=BB1021_10 Depth=1
	s_mov_b64 s[22:23], 0
	s_branch .LBB1021_9
.LBB1021_26:
                                        ; implicit-def: $vgpr4
	s_cbranch_execnz .LBB1021_30
	s_branch .LBB1021_52
.LBB1021_27:
	s_or_b64 exec, exec, s[20:21]
.LBB1021_28:
	v_add_u32_e32 v4, v15, v14
	s_or_b64 s[16:17], s[16:17], exec
.LBB1021_29:
	s_or_b64 exec, exec, s[18:19]
	s_branch .LBB1021_52
.LBB1021_30:
	s_cmp_ge_u32 s33, s41
	v_mov_b32_e32 v15, s40
	s_cbranch_scc1 .LBB1021_51
; %bb.31:
	s_waitcnt lgkmcnt(0)
	v_pk_mov_b32 v[0:1], s[14:15], s[14:15] op_sel:[0,1]
	s_waitcnt vmcnt(0)
	v_mad_u64_u32 v[4:5], s[0:1], v2, s12, v[0:1]
	v_mul_lo_u32 v6, v2, s13
	v_mul_lo_u32 v7, v3, s12
	v_add3_u32 v5, v7, v5, v6
	v_cndmask_b32_e64 v6, 0, 1, s[6:7]
	v_cmp_gt_i64_e64 s[2:3], s[12:13], 0
	v_cmp_ne_u32_e64 s[0:1], 1, v6
	v_cndmask_b32_e64 v6, 0, 1, s[2:3]
	s_mov_b64 s[16:17], 0
	v_mov_b32_e32 v16, s41
	v_mov_b32_e32 v15, s40
	;; [unrolled: 1-line block ×4, first 2 shown]
	v_cmp_ne_u32_e64 s[2:3], 1, v6
	s_branch .LBB1021_34
.LBB1021_32:                            ;   in Loop: Header=BB1021_34 Depth=1
	s_or_b64 exec, exec, s[14:15]
.LBB1021_33:                            ;   in Loop: Header=BB1021_34 Depth=1
	s_waitcnt vmcnt(0)
	v_add_u32_e32 v8, 1, v6
	v_cndmask_b32_e64 v16, v6, v16, s[6:7]
	v_cndmask_b32_e64 v15, v15, v8, s[6:7]
	v_cmp_ge_u32_e32 vcc, v15, v16
	s_or_b64 s[16:17], vcc, s[16:17]
	s_andn2_b64 exec, exec, s[16:17]
	s_cbranch_execz .LBB1021_50
.LBB1021_34:                            ; =>This Loop Header: Depth=1
                                        ;     Child Loop BB1021_38 Depth 2
                                        ;     Child Loop BB1021_47 Depth 2
	v_add_u32_e32 v6, v15, v16
	v_lshrrev_b32_e32 v6, 1, v6
	v_lshlrev_b64 v[8:9], 3, v[6:7]
	v_add_co_u32_e32 v8, vcc, s8, v8
	v_addc_co_u32_e32 v9, vcc, v17, v9, vcc
	global_load_dwordx2 v[8:9], v[8:9], off
	s_and_b64 vcc, exec, s[0:1]
	s_mov_b64 s[4:5], -1
                                        ; implicit-def: $sgpr6_sgpr7
	s_cbranch_vccnz .LBB1021_43
; %bb.35:                               ;   in Loop: Header=BB1021_34 Depth=1
	s_and_b64 vcc, exec, s[2:3]
	s_cbranch_vccnz .LBB1021_41
; %bb.36:                               ;   in Loop: Header=BB1021_34 Depth=1
	s_waitcnt vmcnt(0)
	v_mad_u64_u32 v[10:11], s[4:5], v8, s12, v[0:1]
	v_mul_lo_u32 v12, v8, s13
	v_mul_lo_u32 v13, v9, s12
	v_add3_u32 v11, v13, v11, v12
	s_mov_b64 s[14:15], 0
	s_mov_b64 s[22:23], s[12:13]
	v_pk_mov_b32 v[12:13], v[4:5], v[4:5] op_sel:[0,1]
                                        ; implicit-def: $sgpr6_sgpr7
                                        ; implicit-def: $sgpr18_sgpr19
                                        ; implicit-def: $sgpr20_sgpr21
                                        ; implicit-def: $sgpr4_sgpr5
                                        ; implicit-def: $sgpr24_sgpr25
	s_branch .LBB1021_38
.LBB1021_37:                            ;   in Loop: Header=BB1021_38 Depth=2
	s_or_b64 exec, exec, s[26:27]
	s_and_b64 s[26:27], exec, s[18:19]
	s_or_b64 s[14:15], s[26:27], s[14:15]
	s_andn2_b64 s[24:25], s[24:25], exec
	s_and_b64 s[26:27], s[20:21], exec
	s_or_b64 s[24:25], s[24:25], s[26:27]
	s_andn2_b64 s[6:7], s[6:7], exec
	s_and_b64 s[26:27], s[4:5], exec
	s_or_b64 s[6:7], s[6:7], s[26:27]
	s_andn2_b64 exec, exec, s[14:15]
	s_cbranch_execz .LBB1021_40
.LBB1021_38:                            ;   Parent Loop BB1021_34 Depth=1
                                        ; =>  This Inner Loop Header: Depth=2
	global_load_ubyte v18, v[12:13], off
	global_load_ubyte v19, v[10:11], off
	s_andn2_b64 s[26:27], s[4:5], exec
	s_andn2_b64 s[20:21], s[20:21], exec
	s_or_b64 s[18:19], s[18:19], exec
	s_waitcnt vmcnt(1)
	v_cmp_eq_u16_e32 vcc, 0, v18
	s_waitcnt vmcnt(0)
	v_cmp_ne_u16_e64 s[4:5], 0, v19
	s_or_b64 s[30:31], vcc, s[4:5]
	s_and_b64 s[28:29], vcc, s[4:5]
	s_xor_b64 s[34:35], vcc, s[4:5]
	s_and_b64 s[4:5], s[30:31], s[24:25]
	s_or_b64 s[28:29], s[28:29], s[4:5]
	s_and_b64 s[4:5], s[28:29], exec
	s_or_b64 s[4:5], s[26:27], s[4:5]
	s_and_saveexec_b64 s[26:27], s[34:35]
	s_cbranch_execz .LBB1021_37
; %bb.39:                               ;   in Loop: Header=BB1021_38 Depth=2
	s_add_u32 s22, s22, -1
	s_addc_u32 s23, s23, -1
	v_add_co_u32_e32 v12, vcc, 1, v12
	s_cmp_eq_u64 s[22:23], 0
	v_addc_co_u32_e32 v13, vcc, 0, v13, vcc
	s_cselect_b64 s[24:25], -1, 0
	v_add_co_u32_e32 v10, vcc, 1, v10
	s_andn2_b64 s[20:21], s[20:21], exec
	s_and_b64 s[28:29], s[28:29], exec
	s_andn2_b64 s[18:19], s[18:19], exec
	s_and_b64 s[24:25], s[24:25], exec
	v_addc_co_u32_e32 v11, vcc, 0, v11, vcc
	s_andn2_b64 s[4:5], s[4:5], exec
	s_or_b64 s[20:21], s[20:21], s[28:29]
	s_or_b64 s[18:19], s[18:19], s[24:25]
                                        ; implicit-def: $sgpr24_sgpr25
	s_branch .LBB1021_37
.LBB1021_40:                            ;   in Loop: Header=BB1021_34 Depth=1
	s_or_b64 exec, exec, s[14:15]
	s_branch .LBB1021_42
.LBB1021_41:                            ;   in Loop: Header=BB1021_34 Depth=1
	s_mov_b64 s[6:7], 0
.LBB1021_42:                            ;   in Loop: Header=BB1021_34 Depth=1
	s_xor_b64 s[6:7], s[6:7], -1
	s_mov_b64 s[4:5], 0
.LBB1021_43:                            ;   in Loop: Header=BB1021_34 Depth=1
	s_and_b64 vcc, exec, s[4:5]
	s_cbranch_vccz .LBB1021_33
; %bb.44:                               ;   in Loop: Header=BB1021_34 Depth=1
	s_and_b64 vcc, exec, s[2:3]
	s_cbranch_vccnz .LBB1021_49
; %bb.45:                               ;   in Loop: Header=BB1021_34 Depth=1
	s_waitcnt vmcnt(0)
	v_mad_u64_u32 v[10:11], s[4:5], v8, s12, v[0:1]
	v_mul_lo_u32 v8, v8, s13
	v_mul_lo_u32 v9, v9, s12
	v_add3_u32 v11, v9, v11, v8
	s_mov_b64 s[14:15], 0
	s_mov_b64 s[22:23], s[12:13]
	v_pk_mov_b32 v[8:9], v[4:5], v[4:5] op_sel:[0,1]
                                        ; implicit-def: $sgpr6_sgpr7
                                        ; implicit-def: $sgpr18_sgpr19
                                        ; implicit-def: $sgpr20_sgpr21
                                        ; implicit-def: $sgpr4_sgpr5
                                        ; implicit-def: $sgpr24_sgpr25
	s_branch .LBB1021_47
.LBB1021_46:                            ;   in Loop: Header=BB1021_47 Depth=2
	s_or_b64 exec, exec, s[26:27]
	s_and_b64 s[26:27], exec, s[18:19]
	s_or_b64 s[14:15], s[26:27], s[14:15]
	s_andn2_b64 s[24:25], s[24:25], exec
	s_and_b64 s[26:27], s[20:21], exec
	s_or_b64 s[24:25], s[24:25], s[26:27]
	s_andn2_b64 s[6:7], s[6:7], exec
	s_and_b64 s[26:27], s[4:5], exec
	s_or_b64 s[6:7], s[6:7], s[26:27]
	s_andn2_b64 exec, exec, s[14:15]
	s_cbranch_execz .LBB1021_32
.LBB1021_47:                            ;   Parent Loop BB1021_34 Depth=1
                                        ; =>  This Inner Loop Header: Depth=2
	global_load_ubyte v12, v[10:11], off
	global_load_ubyte v13, v[8:9], off
	s_andn2_b64 s[26:27], s[4:5], exec
	s_andn2_b64 s[20:21], s[20:21], exec
	s_or_b64 s[18:19], s[18:19], exec
	s_waitcnt vmcnt(1)
	v_cmp_eq_u16_e32 vcc, 0, v12
	s_waitcnt vmcnt(0)
	v_cmp_ne_u16_e64 s[4:5], 0, v13
	s_or_b64 s[30:31], vcc, s[4:5]
	s_and_b64 s[28:29], vcc, s[4:5]
	s_xor_b64 s[34:35], vcc, s[4:5]
	s_and_b64 s[4:5], s[30:31], s[24:25]
	s_or_b64 s[28:29], s[28:29], s[4:5]
	s_and_b64 s[4:5], s[28:29], exec
	s_or_b64 s[4:5], s[26:27], s[4:5]
	s_and_saveexec_b64 s[26:27], s[34:35]
	s_cbranch_execz .LBB1021_46
; %bb.48:                               ;   in Loop: Header=BB1021_47 Depth=2
	s_add_u32 s22, s22, -1
	s_addc_u32 s23, s23, -1
	v_add_co_u32_e32 v10, vcc, 1, v10
	s_cmp_eq_u64 s[22:23], 0
	v_addc_co_u32_e32 v11, vcc, 0, v11, vcc
	s_cselect_b64 s[24:25], -1, 0
	v_add_co_u32_e32 v8, vcc, 1, v8
	s_andn2_b64 s[20:21], s[20:21], exec
	s_and_b64 s[28:29], s[28:29], exec
	s_andn2_b64 s[18:19], s[18:19], exec
	s_and_b64 s[24:25], s[24:25], exec
	v_addc_co_u32_e32 v9, vcc, 0, v9, vcc
	s_andn2_b64 s[4:5], s[4:5], exec
	s_or_b64 s[20:21], s[20:21], s[28:29]
	s_or_b64 s[18:19], s[18:19], s[24:25]
                                        ; implicit-def: $sgpr24_sgpr25
	s_branch .LBB1021_46
.LBB1021_49:                            ;   in Loop: Header=BB1021_34 Depth=1
	s_mov_b64 s[6:7], 0
	s_branch .LBB1021_33
.LBB1021_50:
	s_or_b64 exec, exec, s[16:17]
.LBB1021_51:
	v_add_u32_e32 v4, v15, v14
	s_mov_b64 s[16:17], -1
.LBB1021_52:
	s_and_b64 exec, exec, s[16:17]
	s_cbranch_execz .LBB1021_54
; %bb.53:
	v_mov_b32_e32 v5, 0
	v_lshlrev_b64 v[0:1], 3, v[4:5]
	v_mov_b32_e32 v4, s11
	v_add_co_u32_e32 v0, vcc, s10, v0
	v_addc_co_u32_e32 v1, vcc, v4, v1, vcc
	s_waitcnt vmcnt(0)
	global_store_dwordx2 v[0:1], v[2:3], off
.LBB1021_54:
	s_endpgm
	.section	.rodata,"a",@progbits
	.p2align	6, 0x0
	.amdhsa_kernel _ZN7rocprim17ROCPRIM_400000_NS6detail17trampoline_kernelINS0_14default_configENS1_38merge_sort_block_merge_config_selectorIlNS0_10empty_typeEEEZZNS1_27merge_sort_block_merge_implIS3_PlPS5_mZN2at6native12_GLOBAL__N_124unique_dim_cuda_templateIbEESt5tupleIJNSA_6TensorESF_SF_EERKSF_lbbbEUlllE_EE10hipError_tT0_T1_T2_jT3_P12ihipStream_tbPNSt15iterator_traitsISL_E10value_typeEPNSR_ISM_E10value_typeEPSN_NS1_7vsmem_tEENKUlT_SL_SM_SN_E_clIS8_S8_S9_S9_EESK_S10_SL_SM_SN_EUlS10_E1_NS1_11comp_targetILNS1_3genE4ELNS1_11target_archE910ELNS1_3gpuE8ELNS1_3repE0EEENS1_36merge_oddeven_config_static_selectorELNS0_4arch9wavefront6targetE1EEEvSM_
		.amdhsa_group_segment_fixed_size 0
		.amdhsa_private_segment_fixed_size 0
		.amdhsa_kernarg_size 64
		.amdhsa_user_sgpr_count 6
		.amdhsa_user_sgpr_private_segment_buffer 1
		.amdhsa_user_sgpr_dispatch_ptr 0
		.amdhsa_user_sgpr_queue_ptr 0
		.amdhsa_user_sgpr_kernarg_segment_ptr 1
		.amdhsa_user_sgpr_dispatch_id 0
		.amdhsa_user_sgpr_flat_scratch_init 0
		.amdhsa_user_sgpr_kernarg_preload_length 0
		.amdhsa_user_sgpr_kernarg_preload_offset 0
		.amdhsa_user_sgpr_private_segment_size 0
		.amdhsa_uses_dynamic_stack 0
		.amdhsa_system_sgpr_private_segment_wavefront_offset 0
		.amdhsa_system_sgpr_workgroup_id_x 1
		.amdhsa_system_sgpr_workgroup_id_y 0
		.amdhsa_system_sgpr_workgroup_id_z 0
		.amdhsa_system_sgpr_workgroup_info 0
		.amdhsa_system_vgpr_workitem_id 0
		.amdhsa_next_free_vgpr 20
		.amdhsa_next_free_sgpr 46
		.amdhsa_accum_offset 20
		.amdhsa_reserve_vcc 1
		.amdhsa_reserve_flat_scratch 0
		.amdhsa_float_round_mode_32 0
		.amdhsa_float_round_mode_16_64 0
		.amdhsa_float_denorm_mode_32 3
		.amdhsa_float_denorm_mode_16_64 3
		.amdhsa_dx10_clamp 1
		.amdhsa_ieee_mode 1
		.amdhsa_fp16_overflow 0
		.amdhsa_tg_split 0
		.amdhsa_exception_fp_ieee_invalid_op 0
		.amdhsa_exception_fp_denorm_src 0
		.amdhsa_exception_fp_ieee_div_zero 0
		.amdhsa_exception_fp_ieee_overflow 0
		.amdhsa_exception_fp_ieee_underflow 0
		.amdhsa_exception_fp_ieee_inexact 0
		.amdhsa_exception_int_div_zero 0
	.end_amdhsa_kernel
	.section	.text._ZN7rocprim17ROCPRIM_400000_NS6detail17trampoline_kernelINS0_14default_configENS1_38merge_sort_block_merge_config_selectorIlNS0_10empty_typeEEEZZNS1_27merge_sort_block_merge_implIS3_PlPS5_mZN2at6native12_GLOBAL__N_124unique_dim_cuda_templateIbEESt5tupleIJNSA_6TensorESF_SF_EERKSF_lbbbEUlllE_EE10hipError_tT0_T1_T2_jT3_P12ihipStream_tbPNSt15iterator_traitsISL_E10value_typeEPNSR_ISM_E10value_typeEPSN_NS1_7vsmem_tEENKUlT_SL_SM_SN_E_clIS8_S8_S9_S9_EESK_S10_SL_SM_SN_EUlS10_E1_NS1_11comp_targetILNS1_3genE4ELNS1_11target_archE910ELNS1_3gpuE8ELNS1_3repE0EEENS1_36merge_oddeven_config_static_selectorELNS0_4arch9wavefront6targetE1EEEvSM_,"axG",@progbits,_ZN7rocprim17ROCPRIM_400000_NS6detail17trampoline_kernelINS0_14default_configENS1_38merge_sort_block_merge_config_selectorIlNS0_10empty_typeEEEZZNS1_27merge_sort_block_merge_implIS3_PlPS5_mZN2at6native12_GLOBAL__N_124unique_dim_cuda_templateIbEESt5tupleIJNSA_6TensorESF_SF_EERKSF_lbbbEUlllE_EE10hipError_tT0_T1_T2_jT3_P12ihipStream_tbPNSt15iterator_traitsISL_E10value_typeEPNSR_ISM_E10value_typeEPSN_NS1_7vsmem_tEENKUlT_SL_SM_SN_E_clIS8_S8_S9_S9_EESK_S10_SL_SM_SN_EUlS10_E1_NS1_11comp_targetILNS1_3genE4ELNS1_11target_archE910ELNS1_3gpuE8ELNS1_3repE0EEENS1_36merge_oddeven_config_static_selectorELNS0_4arch9wavefront6targetE1EEEvSM_,comdat
.Lfunc_end1021:
	.size	_ZN7rocprim17ROCPRIM_400000_NS6detail17trampoline_kernelINS0_14default_configENS1_38merge_sort_block_merge_config_selectorIlNS0_10empty_typeEEEZZNS1_27merge_sort_block_merge_implIS3_PlPS5_mZN2at6native12_GLOBAL__N_124unique_dim_cuda_templateIbEESt5tupleIJNSA_6TensorESF_SF_EERKSF_lbbbEUlllE_EE10hipError_tT0_T1_T2_jT3_P12ihipStream_tbPNSt15iterator_traitsISL_E10value_typeEPNSR_ISM_E10value_typeEPSN_NS1_7vsmem_tEENKUlT_SL_SM_SN_E_clIS8_S8_S9_S9_EESK_S10_SL_SM_SN_EUlS10_E1_NS1_11comp_targetILNS1_3genE4ELNS1_11target_archE910ELNS1_3gpuE8ELNS1_3repE0EEENS1_36merge_oddeven_config_static_selectorELNS0_4arch9wavefront6targetE1EEEvSM_, .Lfunc_end1021-_ZN7rocprim17ROCPRIM_400000_NS6detail17trampoline_kernelINS0_14default_configENS1_38merge_sort_block_merge_config_selectorIlNS0_10empty_typeEEEZZNS1_27merge_sort_block_merge_implIS3_PlPS5_mZN2at6native12_GLOBAL__N_124unique_dim_cuda_templateIbEESt5tupleIJNSA_6TensorESF_SF_EERKSF_lbbbEUlllE_EE10hipError_tT0_T1_T2_jT3_P12ihipStream_tbPNSt15iterator_traitsISL_E10value_typeEPNSR_ISM_E10value_typeEPSN_NS1_7vsmem_tEENKUlT_SL_SM_SN_E_clIS8_S8_S9_S9_EESK_S10_SL_SM_SN_EUlS10_E1_NS1_11comp_targetILNS1_3genE4ELNS1_11target_archE910ELNS1_3gpuE8ELNS1_3repE0EEENS1_36merge_oddeven_config_static_selectorELNS0_4arch9wavefront6targetE1EEEvSM_
                                        ; -- End function
	.section	.AMDGPU.csdata,"",@progbits
; Kernel info:
; codeLenInByte = 1852
; NumSgprs: 50
; NumVgprs: 20
; NumAgprs: 0
; TotalNumVgprs: 20
; ScratchSize: 0
; MemoryBound: 0
; FloatMode: 240
; IeeeMode: 1
; LDSByteSize: 0 bytes/workgroup (compile time only)
; SGPRBlocks: 6
; VGPRBlocks: 2
; NumSGPRsForWavesPerEU: 50
; NumVGPRsForWavesPerEU: 20
; AccumOffset: 20
; Occupancy: 8
; WaveLimiterHint : 0
; COMPUTE_PGM_RSRC2:SCRATCH_EN: 0
; COMPUTE_PGM_RSRC2:USER_SGPR: 6
; COMPUTE_PGM_RSRC2:TRAP_HANDLER: 0
; COMPUTE_PGM_RSRC2:TGID_X_EN: 1
; COMPUTE_PGM_RSRC2:TGID_Y_EN: 0
; COMPUTE_PGM_RSRC2:TGID_Z_EN: 0
; COMPUTE_PGM_RSRC2:TIDIG_COMP_CNT: 0
; COMPUTE_PGM_RSRC3_GFX90A:ACCUM_OFFSET: 4
; COMPUTE_PGM_RSRC3_GFX90A:TG_SPLIT: 0
	.section	.text._ZN7rocprim17ROCPRIM_400000_NS6detail17trampoline_kernelINS0_14default_configENS1_38merge_sort_block_merge_config_selectorIlNS0_10empty_typeEEEZZNS1_27merge_sort_block_merge_implIS3_PlPS5_mZN2at6native12_GLOBAL__N_124unique_dim_cuda_templateIbEESt5tupleIJNSA_6TensorESF_SF_EERKSF_lbbbEUlllE_EE10hipError_tT0_T1_T2_jT3_P12ihipStream_tbPNSt15iterator_traitsISL_E10value_typeEPNSR_ISM_E10value_typeEPSN_NS1_7vsmem_tEENKUlT_SL_SM_SN_E_clIS8_S8_S9_S9_EESK_S10_SL_SM_SN_EUlS10_E1_NS1_11comp_targetILNS1_3genE3ELNS1_11target_archE908ELNS1_3gpuE7ELNS1_3repE0EEENS1_36merge_oddeven_config_static_selectorELNS0_4arch9wavefront6targetE1EEEvSM_,"axG",@progbits,_ZN7rocprim17ROCPRIM_400000_NS6detail17trampoline_kernelINS0_14default_configENS1_38merge_sort_block_merge_config_selectorIlNS0_10empty_typeEEEZZNS1_27merge_sort_block_merge_implIS3_PlPS5_mZN2at6native12_GLOBAL__N_124unique_dim_cuda_templateIbEESt5tupleIJNSA_6TensorESF_SF_EERKSF_lbbbEUlllE_EE10hipError_tT0_T1_T2_jT3_P12ihipStream_tbPNSt15iterator_traitsISL_E10value_typeEPNSR_ISM_E10value_typeEPSN_NS1_7vsmem_tEENKUlT_SL_SM_SN_E_clIS8_S8_S9_S9_EESK_S10_SL_SM_SN_EUlS10_E1_NS1_11comp_targetILNS1_3genE3ELNS1_11target_archE908ELNS1_3gpuE7ELNS1_3repE0EEENS1_36merge_oddeven_config_static_selectorELNS0_4arch9wavefront6targetE1EEEvSM_,comdat
	.globl	_ZN7rocprim17ROCPRIM_400000_NS6detail17trampoline_kernelINS0_14default_configENS1_38merge_sort_block_merge_config_selectorIlNS0_10empty_typeEEEZZNS1_27merge_sort_block_merge_implIS3_PlPS5_mZN2at6native12_GLOBAL__N_124unique_dim_cuda_templateIbEESt5tupleIJNSA_6TensorESF_SF_EERKSF_lbbbEUlllE_EE10hipError_tT0_T1_T2_jT3_P12ihipStream_tbPNSt15iterator_traitsISL_E10value_typeEPNSR_ISM_E10value_typeEPSN_NS1_7vsmem_tEENKUlT_SL_SM_SN_E_clIS8_S8_S9_S9_EESK_S10_SL_SM_SN_EUlS10_E1_NS1_11comp_targetILNS1_3genE3ELNS1_11target_archE908ELNS1_3gpuE7ELNS1_3repE0EEENS1_36merge_oddeven_config_static_selectorELNS0_4arch9wavefront6targetE1EEEvSM_ ; -- Begin function _ZN7rocprim17ROCPRIM_400000_NS6detail17trampoline_kernelINS0_14default_configENS1_38merge_sort_block_merge_config_selectorIlNS0_10empty_typeEEEZZNS1_27merge_sort_block_merge_implIS3_PlPS5_mZN2at6native12_GLOBAL__N_124unique_dim_cuda_templateIbEESt5tupleIJNSA_6TensorESF_SF_EERKSF_lbbbEUlllE_EE10hipError_tT0_T1_T2_jT3_P12ihipStream_tbPNSt15iterator_traitsISL_E10value_typeEPNSR_ISM_E10value_typeEPSN_NS1_7vsmem_tEENKUlT_SL_SM_SN_E_clIS8_S8_S9_S9_EESK_S10_SL_SM_SN_EUlS10_E1_NS1_11comp_targetILNS1_3genE3ELNS1_11target_archE908ELNS1_3gpuE7ELNS1_3repE0EEENS1_36merge_oddeven_config_static_selectorELNS0_4arch9wavefront6targetE1EEEvSM_
	.p2align	8
	.type	_ZN7rocprim17ROCPRIM_400000_NS6detail17trampoline_kernelINS0_14default_configENS1_38merge_sort_block_merge_config_selectorIlNS0_10empty_typeEEEZZNS1_27merge_sort_block_merge_implIS3_PlPS5_mZN2at6native12_GLOBAL__N_124unique_dim_cuda_templateIbEESt5tupleIJNSA_6TensorESF_SF_EERKSF_lbbbEUlllE_EE10hipError_tT0_T1_T2_jT3_P12ihipStream_tbPNSt15iterator_traitsISL_E10value_typeEPNSR_ISM_E10value_typeEPSN_NS1_7vsmem_tEENKUlT_SL_SM_SN_E_clIS8_S8_S9_S9_EESK_S10_SL_SM_SN_EUlS10_E1_NS1_11comp_targetILNS1_3genE3ELNS1_11target_archE908ELNS1_3gpuE7ELNS1_3repE0EEENS1_36merge_oddeven_config_static_selectorELNS0_4arch9wavefront6targetE1EEEvSM_,@function
_ZN7rocprim17ROCPRIM_400000_NS6detail17trampoline_kernelINS0_14default_configENS1_38merge_sort_block_merge_config_selectorIlNS0_10empty_typeEEEZZNS1_27merge_sort_block_merge_implIS3_PlPS5_mZN2at6native12_GLOBAL__N_124unique_dim_cuda_templateIbEESt5tupleIJNSA_6TensorESF_SF_EERKSF_lbbbEUlllE_EE10hipError_tT0_T1_T2_jT3_P12ihipStream_tbPNSt15iterator_traitsISL_E10value_typeEPNSR_ISM_E10value_typeEPSN_NS1_7vsmem_tEENKUlT_SL_SM_SN_E_clIS8_S8_S9_S9_EESK_S10_SL_SM_SN_EUlS10_E1_NS1_11comp_targetILNS1_3genE3ELNS1_11target_archE908ELNS1_3gpuE7ELNS1_3repE0EEENS1_36merge_oddeven_config_static_selectorELNS0_4arch9wavefront6targetE1EEEvSM_: ; @_ZN7rocprim17ROCPRIM_400000_NS6detail17trampoline_kernelINS0_14default_configENS1_38merge_sort_block_merge_config_selectorIlNS0_10empty_typeEEEZZNS1_27merge_sort_block_merge_implIS3_PlPS5_mZN2at6native12_GLOBAL__N_124unique_dim_cuda_templateIbEESt5tupleIJNSA_6TensorESF_SF_EERKSF_lbbbEUlllE_EE10hipError_tT0_T1_T2_jT3_P12ihipStream_tbPNSt15iterator_traitsISL_E10value_typeEPNSR_ISM_E10value_typeEPSN_NS1_7vsmem_tEENKUlT_SL_SM_SN_E_clIS8_S8_S9_S9_EESK_S10_SL_SM_SN_EUlS10_E1_NS1_11comp_targetILNS1_3genE3ELNS1_11target_archE908ELNS1_3gpuE7ELNS1_3repE0EEENS1_36merge_oddeven_config_static_selectorELNS0_4arch9wavefront6targetE1EEEvSM_
; %bb.0:
	.section	.rodata,"a",@progbits
	.p2align	6, 0x0
	.amdhsa_kernel _ZN7rocprim17ROCPRIM_400000_NS6detail17trampoline_kernelINS0_14default_configENS1_38merge_sort_block_merge_config_selectorIlNS0_10empty_typeEEEZZNS1_27merge_sort_block_merge_implIS3_PlPS5_mZN2at6native12_GLOBAL__N_124unique_dim_cuda_templateIbEESt5tupleIJNSA_6TensorESF_SF_EERKSF_lbbbEUlllE_EE10hipError_tT0_T1_T2_jT3_P12ihipStream_tbPNSt15iterator_traitsISL_E10value_typeEPNSR_ISM_E10value_typeEPSN_NS1_7vsmem_tEENKUlT_SL_SM_SN_E_clIS8_S8_S9_S9_EESK_S10_SL_SM_SN_EUlS10_E1_NS1_11comp_targetILNS1_3genE3ELNS1_11target_archE908ELNS1_3gpuE7ELNS1_3repE0EEENS1_36merge_oddeven_config_static_selectorELNS0_4arch9wavefront6targetE1EEEvSM_
		.amdhsa_group_segment_fixed_size 0
		.amdhsa_private_segment_fixed_size 0
		.amdhsa_kernarg_size 64
		.amdhsa_user_sgpr_count 6
		.amdhsa_user_sgpr_private_segment_buffer 1
		.amdhsa_user_sgpr_dispatch_ptr 0
		.amdhsa_user_sgpr_queue_ptr 0
		.amdhsa_user_sgpr_kernarg_segment_ptr 1
		.amdhsa_user_sgpr_dispatch_id 0
		.amdhsa_user_sgpr_flat_scratch_init 0
		.amdhsa_user_sgpr_kernarg_preload_length 0
		.amdhsa_user_sgpr_kernarg_preload_offset 0
		.amdhsa_user_sgpr_private_segment_size 0
		.amdhsa_uses_dynamic_stack 0
		.amdhsa_system_sgpr_private_segment_wavefront_offset 0
		.amdhsa_system_sgpr_workgroup_id_x 1
		.amdhsa_system_sgpr_workgroup_id_y 0
		.amdhsa_system_sgpr_workgroup_id_z 0
		.amdhsa_system_sgpr_workgroup_info 0
		.amdhsa_system_vgpr_workitem_id 0
		.amdhsa_next_free_vgpr 1
		.amdhsa_next_free_sgpr 0
		.amdhsa_accum_offset 4
		.amdhsa_reserve_vcc 0
		.amdhsa_reserve_flat_scratch 0
		.amdhsa_float_round_mode_32 0
		.amdhsa_float_round_mode_16_64 0
		.amdhsa_float_denorm_mode_32 3
		.amdhsa_float_denorm_mode_16_64 3
		.amdhsa_dx10_clamp 1
		.amdhsa_ieee_mode 1
		.amdhsa_fp16_overflow 0
		.amdhsa_tg_split 0
		.amdhsa_exception_fp_ieee_invalid_op 0
		.amdhsa_exception_fp_denorm_src 0
		.amdhsa_exception_fp_ieee_div_zero 0
		.amdhsa_exception_fp_ieee_overflow 0
		.amdhsa_exception_fp_ieee_underflow 0
		.amdhsa_exception_fp_ieee_inexact 0
		.amdhsa_exception_int_div_zero 0
	.end_amdhsa_kernel
	.section	.text._ZN7rocprim17ROCPRIM_400000_NS6detail17trampoline_kernelINS0_14default_configENS1_38merge_sort_block_merge_config_selectorIlNS0_10empty_typeEEEZZNS1_27merge_sort_block_merge_implIS3_PlPS5_mZN2at6native12_GLOBAL__N_124unique_dim_cuda_templateIbEESt5tupleIJNSA_6TensorESF_SF_EERKSF_lbbbEUlllE_EE10hipError_tT0_T1_T2_jT3_P12ihipStream_tbPNSt15iterator_traitsISL_E10value_typeEPNSR_ISM_E10value_typeEPSN_NS1_7vsmem_tEENKUlT_SL_SM_SN_E_clIS8_S8_S9_S9_EESK_S10_SL_SM_SN_EUlS10_E1_NS1_11comp_targetILNS1_3genE3ELNS1_11target_archE908ELNS1_3gpuE7ELNS1_3repE0EEENS1_36merge_oddeven_config_static_selectorELNS0_4arch9wavefront6targetE1EEEvSM_,"axG",@progbits,_ZN7rocprim17ROCPRIM_400000_NS6detail17trampoline_kernelINS0_14default_configENS1_38merge_sort_block_merge_config_selectorIlNS0_10empty_typeEEEZZNS1_27merge_sort_block_merge_implIS3_PlPS5_mZN2at6native12_GLOBAL__N_124unique_dim_cuda_templateIbEESt5tupleIJNSA_6TensorESF_SF_EERKSF_lbbbEUlllE_EE10hipError_tT0_T1_T2_jT3_P12ihipStream_tbPNSt15iterator_traitsISL_E10value_typeEPNSR_ISM_E10value_typeEPSN_NS1_7vsmem_tEENKUlT_SL_SM_SN_E_clIS8_S8_S9_S9_EESK_S10_SL_SM_SN_EUlS10_E1_NS1_11comp_targetILNS1_3genE3ELNS1_11target_archE908ELNS1_3gpuE7ELNS1_3repE0EEENS1_36merge_oddeven_config_static_selectorELNS0_4arch9wavefront6targetE1EEEvSM_,comdat
.Lfunc_end1022:
	.size	_ZN7rocprim17ROCPRIM_400000_NS6detail17trampoline_kernelINS0_14default_configENS1_38merge_sort_block_merge_config_selectorIlNS0_10empty_typeEEEZZNS1_27merge_sort_block_merge_implIS3_PlPS5_mZN2at6native12_GLOBAL__N_124unique_dim_cuda_templateIbEESt5tupleIJNSA_6TensorESF_SF_EERKSF_lbbbEUlllE_EE10hipError_tT0_T1_T2_jT3_P12ihipStream_tbPNSt15iterator_traitsISL_E10value_typeEPNSR_ISM_E10value_typeEPSN_NS1_7vsmem_tEENKUlT_SL_SM_SN_E_clIS8_S8_S9_S9_EESK_S10_SL_SM_SN_EUlS10_E1_NS1_11comp_targetILNS1_3genE3ELNS1_11target_archE908ELNS1_3gpuE7ELNS1_3repE0EEENS1_36merge_oddeven_config_static_selectorELNS0_4arch9wavefront6targetE1EEEvSM_, .Lfunc_end1022-_ZN7rocprim17ROCPRIM_400000_NS6detail17trampoline_kernelINS0_14default_configENS1_38merge_sort_block_merge_config_selectorIlNS0_10empty_typeEEEZZNS1_27merge_sort_block_merge_implIS3_PlPS5_mZN2at6native12_GLOBAL__N_124unique_dim_cuda_templateIbEESt5tupleIJNSA_6TensorESF_SF_EERKSF_lbbbEUlllE_EE10hipError_tT0_T1_T2_jT3_P12ihipStream_tbPNSt15iterator_traitsISL_E10value_typeEPNSR_ISM_E10value_typeEPSN_NS1_7vsmem_tEENKUlT_SL_SM_SN_E_clIS8_S8_S9_S9_EESK_S10_SL_SM_SN_EUlS10_E1_NS1_11comp_targetILNS1_3genE3ELNS1_11target_archE908ELNS1_3gpuE7ELNS1_3repE0EEENS1_36merge_oddeven_config_static_selectorELNS0_4arch9wavefront6targetE1EEEvSM_
                                        ; -- End function
	.section	.AMDGPU.csdata,"",@progbits
; Kernel info:
; codeLenInByte = 0
; NumSgprs: 4
; NumVgprs: 0
; NumAgprs: 0
; TotalNumVgprs: 0
; ScratchSize: 0
; MemoryBound: 0
; FloatMode: 240
; IeeeMode: 1
; LDSByteSize: 0 bytes/workgroup (compile time only)
; SGPRBlocks: 0
; VGPRBlocks: 0
; NumSGPRsForWavesPerEU: 4
; NumVGPRsForWavesPerEU: 1
; AccumOffset: 4
; Occupancy: 8
; WaveLimiterHint : 0
; COMPUTE_PGM_RSRC2:SCRATCH_EN: 0
; COMPUTE_PGM_RSRC2:USER_SGPR: 6
; COMPUTE_PGM_RSRC2:TRAP_HANDLER: 0
; COMPUTE_PGM_RSRC2:TGID_X_EN: 1
; COMPUTE_PGM_RSRC2:TGID_Y_EN: 0
; COMPUTE_PGM_RSRC2:TGID_Z_EN: 0
; COMPUTE_PGM_RSRC2:TIDIG_COMP_CNT: 0
; COMPUTE_PGM_RSRC3_GFX90A:ACCUM_OFFSET: 0
; COMPUTE_PGM_RSRC3_GFX90A:TG_SPLIT: 0
	.section	.text._ZN7rocprim17ROCPRIM_400000_NS6detail17trampoline_kernelINS0_14default_configENS1_38merge_sort_block_merge_config_selectorIlNS0_10empty_typeEEEZZNS1_27merge_sort_block_merge_implIS3_PlPS5_mZN2at6native12_GLOBAL__N_124unique_dim_cuda_templateIbEESt5tupleIJNSA_6TensorESF_SF_EERKSF_lbbbEUlllE_EE10hipError_tT0_T1_T2_jT3_P12ihipStream_tbPNSt15iterator_traitsISL_E10value_typeEPNSR_ISM_E10value_typeEPSN_NS1_7vsmem_tEENKUlT_SL_SM_SN_E_clIS8_S8_S9_S9_EESK_S10_SL_SM_SN_EUlS10_E1_NS1_11comp_targetILNS1_3genE2ELNS1_11target_archE906ELNS1_3gpuE6ELNS1_3repE0EEENS1_36merge_oddeven_config_static_selectorELNS0_4arch9wavefront6targetE1EEEvSM_,"axG",@progbits,_ZN7rocprim17ROCPRIM_400000_NS6detail17trampoline_kernelINS0_14default_configENS1_38merge_sort_block_merge_config_selectorIlNS0_10empty_typeEEEZZNS1_27merge_sort_block_merge_implIS3_PlPS5_mZN2at6native12_GLOBAL__N_124unique_dim_cuda_templateIbEESt5tupleIJNSA_6TensorESF_SF_EERKSF_lbbbEUlllE_EE10hipError_tT0_T1_T2_jT3_P12ihipStream_tbPNSt15iterator_traitsISL_E10value_typeEPNSR_ISM_E10value_typeEPSN_NS1_7vsmem_tEENKUlT_SL_SM_SN_E_clIS8_S8_S9_S9_EESK_S10_SL_SM_SN_EUlS10_E1_NS1_11comp_targetILNS1_3genE2ELNS1_11target_archE906ELNS1_3gpuE6ELNS1_3repE0EEENS1_36merge_oddeven_config_static_selectorELNS0_4arch9wavefront6targetE1EEEvSM_,comdat
	.globl	_ZN7rocprim17ROCPRIM_400000_NS6detail17trampoline_kernelINS0_14default_configENS1_38merge_sort_block_merge_config_selectorIlNS0_10empty_typeEEEZZNS1_27merge_sort_block_merge_implIS3_PlPS5_mZN2at6native12_GLOBAL__N_124unique_dim_cuda_templateIbEESt5tupleIJNSA_6TensorESF_SF_EERKSF_lbbbEUlllE_EE10hipError_tT0_T1_T2_jT3_P12ihipStream_tbPNSt15iterator_traitsISL_E10value_typeEPNSR_ISM_E10value_typeEPSN_NS1_7vsmem_tEENKUlT_SL_SM_SN_E_clIS8_S8_S9_S9_EESK_S10_SL_SM_SN_EUlS10_E1_NS1_11comp_targetILNS1_3genE2ELNS1_11target_archE906ELNS1_3gpuE6ELNS1_3repE0EEENS1_36merge_oddeven_config_static_selectorELNS0_4arch9wavefront6targetE1EEEvSM_ ; -- Begin function _ZN7rocprim17ROCPRIM_400000_NS6detail17trampoline_kernelINS0_14default_configENS1_38merge_sort_block_merge_config_selectorIlNS0_10empty_typeEEEZZNS1_27merge_sort_block_merge_implIS3_PlPS5_mZN2at6native12_GLOBAL__N_124unique_dim_cuda_templateIbEESt5tupleIJNSA_6TensorESF_SF_EERKSF_lbbbEUlllE_EE10hipError_tT0_T1_T2_jT3_P12ihipStream_tbPNSt15iterator_traitsISL_E10value_typeEPNSR_ISM_E10value_typeEPSN_NS1_7vsmem_tEENKUlT_SL_SM_SN_E_clIS8_S8_S9_S9_EESK_S10_SL_SM_SN_EUlS10_E1_NS1_11comp_targetILNS1_3genE2ELNS1_11target_archE906ELNS1_3gpuE6ELNS1_3repE0EEENS1_36merge_oddeven_config_static_selectorELNS0_4arch9wavefront6targetE1EEEvSM_
	.p2align	8
	.type	_ZN7rocprim17ROCPRIM_400000_NS6detail17trampoline_kernelINS0_14default_configENS1_38merge_sort_block_merge_config_selectorIlNS0_10empty_typeEEEZZNS1_27merge_sort_block_merge_implIS3_PlPS5_mZN2at6native12_GLOBAL__N_124unique_dim_cuda_templateIbEESt5tupleIJNSA_6TensorESF_SF_EERKSF_lbbbEUlllE_EE10hipError_tT0_T1_T2_jT3_P12ihipStream_tbPNSt15iterator_traitsISL_E10value_typeEPNSR_ISM_E10value_typeEPSN_NS1_7vsmem_tEENKUlT_SL_SM_SN_E_clIS8_S8_S9_S9_EESK_S10_SL_SM_SN_EUlS10_E1_NS1_11comp_targetILNS1_3genE2ELNS1_11target_archE906ELNS1_3gpuE6ELNS1_3repE0EEENS1_36merge_oddeven_config_static_selectorELNS0_4arch9wavefront6targetE1EEEvSM_,@function
_ZN7rocprim17ROCPRIM_400000_NS6detail17trampoline_kernelINS0_14default_configENS1_38merge_sort_block_merge_config_selectorIlNS0_10empty_typeEEEZZNS1_27merge_sort_block_merge_implIS3_PlPS5_mZN2at6native12_GLOBAL__N_124unique_dim_cuda_templateIbEESt5tupleIJNSA_6TensorESF_SF_EERKSF_lbbbEUlllE_EE10hipError_tT0_T1_T2_jT3_P12ihipStream_tbPNSt15iterator_traitsISL_E10value_typeEPNSR_ISM_E10value_typeEPSN_NS1_7vsmem_tEENKUlT_SL_SM_SN_E_clIS8_S8_S9_S9_EESK_S10_SL_SM_SN_EUlS10_E1_NS1_11comp_targetILNS1_3genE2ELNS1_11target_archE906ELNS1_3gpuE6ELNS1_3repE0EEENS1_36merge_oddeven_config_static_selectorELNS0_4arch9wavefront6targetE1EEEvSM_: ; @_ZN7rocprim17ROCPRIM_400000_NS6detail17trampoline_kernelINS0_14default_configENS1_38merge_sort_block_merge_config_selectorIlNS0_10empty_typeEEEZZNS1_27merge_sort_block_merge_implIS3_PlPS5_mZN2at6native12_GLOBAL__N_124unique_dim_cuda_templateIbEESt5tupleIJNSA_6TensorESF_SF_EERKSF_lbbbEUlllE_EE10hipError_tT0_T1_T2_jT3_P12ihipStream_tbPNSt15iterator_traitsISL_E10value_typeEPNSR_ISM_E10value_typeEPSN_NS1_7vsmem_tEENKUlT_SL_SM_SN_E_clIS8_S8_S9_S9_EESK_S10_SL_SM_SN_EUlS10_E1_NS1_11comp_targetILNS1_3genE2ELNS1_11target_archE906ELNS1_3gpuE6ELNS1_3repE0EEENS1_36merge_oddeven_config_static_selectorELNS0_4arch9wavefront6targetE1EEEvSM_
; %bb.0:
	.section	.rodata,"a",@progbits
	.p2align	6, 0x0
	.amdhsa_kernel _ZN7rocprim17ROCPRIM_400000_NS6detail17trampoline_kernelINS0_14default_configENS1_38merge_sort_block_merge_config_selectorIlNS0_10empty_typeEEEZZNS1_27merge_sort_block_merge_implIS3_PlPS5_mZN2at6native12_GLOBAL__N_124unique_dim_cuda_templateIbEESt5tupleIJNSA_6TensorESF_SF_EERKSF_lbbbEUlllE_EE10hipError_tT0_T1_T2_jT3_P12ihipStream_tbPNSt15iterator_traitsISL_E10value_typeEPNSR_ISM_E10value_typeEPSN_NS1_7vsmem_tEENKUlT_SL_SM_SN_E_clIS8_S8_S9_S9_EESK_S10_SL_SM_SN_EUlS10_E1_NS1_11comp_targetILNS1_3genE2ELNS1_11target_archE906ELNS1_3gpuE6ELNS1_3repE0EEENS1_36merge_oddeven_config_static_selectorELNS0_4arch9wavefront6targetE1EEEvSM_
		.amdhsa_group_segment_fixed_size 0
		.amdhsa_private_segment_fixed_size 0
		.amdhsa_kernarg_size 64
		.amdhsa_user_sgpr_count 6
		.amdhsa_user_sgpr_private_segment_buffer 1
		.amdhsa_user_sgpr_dispatch_ptr 0
		.amdhsa_user_sgpr_queue_ptr 0
		.amdhsa_user_sgpr_kernarg_segment_ptr 1
		.amdhsa_user_sgpr_dispatch_id 0
		.amdhsa_user_sgpr_flat_scratch_init 0
		.amdhsa_user_sgpr_kernarg_preload_length 0
		.amdhsa_user_sgpr_kernarg_preload_offset 0
		.amdhsa_user_sgpr_private_segment_size 0
		.amdhsa_uses_dynamic_stack 0
		.amdhsa_system_sgpr_private_segment_wavefront_offset 0
		.amdhsa_system_sgpr_workgroup_id_x 1
		.amdhsa_system_sgpr_workgroup_id_y 0
		.amdhsa_system_sgpr_workgroup_id_z 0
		.amdhsa_system_sgpr_workgroup_info 0
		.amdhsa_system_vgpr_workitem_id 0
		.amdhsa_next_free_vgpr 1
		.amdhsa_next_free_sgpr 0
		.amdhsa_accum_offset 4
		.amdhsa_reserve_vcc 0
		.amdhsa_reserve_flat_scratch 0
		.amdhsa_float_round_mode_32 0
		.amdhsa_float_round_mode_16_64 0
		.amdhsa_float_denorm_mode_32 3
		.amdhsa_float_denorm_mode_16_64 3
		.amdhsa_dx10_clamp 1
		.amdhsa_ieee_mode 1
		.amdhsa_fp16_overflow 0
		.amdhsa_tg_split 0
		.amdhsa_exception_fp_ieee_invalid_op 0
		.amdhsa_exception_fp_denorm_src 0
		.amdhsa_exception_fp_ieee_div_zero 0
		.amdhsa_exception_fp_ieee_overflow 0
		.amdhsa_exception_fp_ieee_underflow 0
		.amdhsa_exception_fp_ieee_inexact 0
		.amdhsa_exception_int_div_zero 0
	.end_amdhsa_kernel
	.section	.text._ZN7rocprim17ROCPRIM_400000_NS6detail17trampoline_kernelINS0_14default_configENS1_38merge_sort_block_merge_config_selectorIlNS0_10empty_typeEEEZZNS1_27merge_sort_block_merge_implIS3_PlPS5_mZN2at6native12_GLOBAL__N_124unique_dim_cuda_templateIbEESt5tupleIJNSA_6TensorESF_SF_EERKSF_lbbbEUlllE_EE10hipError_tT0_T1_T2_jT3_P12ihipStream_tbPNSt15iterator_traitsISL_E10value_typeEPNSR_ISM_E10value_typeEPSN_NS1_7vsmem_tEENKUlT_SL_SM_SN_E_clIS8_S8_S9_S9_EESK_S10_SL_SM_SN_EUlS10_E1_NS1_11comp_targetILNS1_3genE2ELNS1_11target_archE906ELNS1_3gpuE6ELNS1_3repE0EEENS1_36merge_oddeven_config_static_selectorELNS0_4arch9wavefront6targetE1EEEvSM_,"axG",@progbits,_ZN7rocprim17ROCPRIM_400000_NS6detail17trampoline_kernelINS0_14default_configENS1_38merge_sort_block_merge_config_selectorIlNS0_10empty_typeEEEZZNS1_27merge_sort_block_merge_implIS3_PlPS5_mZN2at6native12_GLOBAL__N_124unique_dim_cuda_templateIbEESt5tupleIJNSA_6TensorESF_SF_EERKSF_lbbbEUlllE_EE10hipError_tT0_T1_T2_jT3_P12ihipStream_tbPNSt15iterator_traitsISL_E10value_typeEPNSR_ISM_E10value_typeEPSN_NS1_7vsmem_tEENKUlT_SL_SM_SN_E_clIS8_S8_S9_S9_EESK_S10_SL_SM_SN_EUlS10_E1_NS1_11comp_targetILNS1_3genE2ELNS1_11target_archE906ELNS1_3gpuE6ELNS1_3repE0EEENS1_36merge_oddeven_config_static_selectorELNS0_4arch9wavefront6targetE1EEEvSM_,comdat
.Lfunc_end1023:
	.size	_ZN7rocprim17ROCPRIM_400000_NS6detail17trampoline_kernelINS0_14default_configENS1_38merge_sort_block_merge_config_selectorIlNS0_10empty_typeEEEZZNS1_27merge_sort_block_merge_implIS3_PlPS5_mZN2at6native12_GLOBAL__N_124unique_dim_cuda_templateIbEESt5tupleIJNSA_6TensorESF_SF_EERKSF_lbbbEUlllE_EE10hipError_tT0_T1_T2_jT3_P12ihipStream_tbPNSt15iterator_traitsISL_E10value_typeEPNSR_ISM_E10value_typeEPSN_NS1_7vsmem_tEENKUlT_SL_SM_SN_E_clIS8_S8_S9_S9_EESK_S10_SL_SM_SN_EUlS10_E1_NS1_11comp_targetILNS1_3genE2ELNS1_11target_archE906ELNS1_3gpuE6ELNS1_3repE0EEENS1_36merge_oddeven_config_static_selectorELNS0_4arch9wavefront6targetE1EEEvSM_, .Lfunc_end1023-_ZN7rocprim17ROCPRIM_400000_NS6detail17trampoline_kernelINS0_14default_configENS1_38merge_sort_block_merge_config_selectorIlNS0_10empty_typeEEEZZNS1_27merge_sort_block_merge_implIS3_PlPS5_mZN2at6native12_GLOBAL__N_124unique_dim_cuda_templateIbEESt5tupleIJNSA_6TensorESF_SF_EERKSF_lbbbEUlllE_EE10hipError_tT0_T1_T2_jT3_P12ihipStream_tbPNSt15iterator_traitsISL_E10value_typeEPNSR_ISM_E10value_typeEPSN_NS1_7vsmem_tEENKUlT_SL_SM_SN_E_clIS8_S8_S9_S9_EESK_S10_SL_SM_SN_EUlS10_E1_NS1_11comp_targetILNS1_3genE2ELNS1_11target_archE906ELNS1_3gpuE6ELNS1_3repE0EEENS1_36merge_oddeven_config_static_selectorELNS0_4arch9wavefront6targetE1EEEvSM_
                                        ; -- End function
	.section	.AMDGPU.csdata,"",@progbits
; Kernel info:
; codeLenInByte = 0
; NumSgprs: 4
; NumVgprs: 0
; NumAgprs: 0
; TotalNumVgprs: 0
; ScratchSize: 0
; MemoryBound: 0
; FloatMode: 240
; IeeeMode: 1
; LDSByteSize: 0 bytes/workgroup (compile time only)
; SGPRBlocks: 0
; VGPRBlocks: 0
; NumSGPRsForWavesPerEU: 4
; NumVGPRsForWavesPerEU: 1
; AccumOffset: 4
; Occupancy: 8
; WaveLimiterHint : 0
; COMPUTE_PGM_RSRC2:SCRATCH_EN: 0
; COMPUTE_PGM_RSRC2:USER_SGPR: 6
; COMPUTE_PGM_RSRC2:TRAP_HANDLER: 0
; COMPUTE_PGM_RSRC2:TGID_X_EN: 1
; COMPUTE_PGM_RSRC2:TGID_Y_EN: 0
; COMPUTE_PGM_RSRC2:TGID_Z_EN: 0
; COMPUTE_PGM_RSRC2:TIDIG_COMP_CNT: 0
; COMPUTE_PGM_RSRC3_GFX90A:ACCUM_OFFSET: 0
; COMPUTE_PGM_RSRC3_GFX90A:TG_SPLIT: 0
	.section	.text._ZN7rocprim17ROCPRIM_400000_NS6detail17trampoline_kernelINS0_14default_configENS1_38merge_sort_block_merge_config_selectorIlNS0_10empty_typeEEEZZNS1_27merge_sort_block_merge_implIS3_PlPS5_mZN2at6native12_GLOBAL__N_124unique_dim_cuda_templateIbEESt5tupleIJNSA_6TensorESF_SF_EERKSF_lbbbEUlllE_EE10hipError_tT0_T1_T2_jT3_P12ihipStream_tbPNSt15iterator_traitsISL_E10value_typeEPNSR_ISM_E10value_typeEPSN_NS1_7vsmem_tEENKUlT_SL_SM_SN_E_clIS8_S8_S9_S9_EESK_S10_SL_SM_SN_EUlS10_E1_NS1_11comp_targetILNS1_3genE9ELNS1_11target_archE1100ELNS1_3gpuE3ELNS1_3repE0EEENS1_36merge_oddeven_config_static_selectorELNS0_4arch9wavefront6targetE1EEEvSM_,"axG",@progbits,_ZN7rocprim17ROCPRIM_400000_NS6detail17trampoline_kernelINS0_14default_configENS1_38merge_sort_block_merge_config_selectorIlNS0_10empty_typeEEEZZNS1_27merge_sort_block_merge_implIS3_PlPS5_mZN2at6native12_GLOBAL__N_124unique_dim_cuda_templateIbEESt5tupleIJNSA_6TensorESF_SF_EERKSF_lbbbEUlllE_EE10hipError_tT0_T1_T2_jT3_P12ihipStream_tbPNSt15iterator_traitsISL_E10value_typeEPNSR_ISM_E10value_typeEPSN_NS1_7vsmem_tEENKUlT_SL_SM_SN_E_clIS8_S8_S9_S9_EESK_S10_SL_SM_SN_EUlS10_E1_NS1_11comp_targetILNS1_3genE9ELNS1_11target_archE1100ELNS1_3gpuE3ELNS1_3repE0EEENS1_36merge_oddeven_config_static_selectorELNS0_4arch9wavefront6targetE1EEEvSM_,comdat
	.globl	_ZN7rocprim17ROCPRIM_400000_NS6detail17trampoline_kernelINS0_14default_configENS1_38merge_sort_block_merge_config_selectorIlNS0_10empty_typeEEEZZNS1_27merge_sort_block_merge_implIS3_PlPS5_mZN2at6native12_GLOBAL__N_124unique_dim_cuda_templateIbEESt5tupleIJNSA_6TensorESF_SF_EERKSF_lbbbEUlllE_EE10hipError_tT0_T1_T2_jT3_P12ihipStream_tbPNSt15iterator_traitsISL_E10value_typeEPNSR_ISM_E10value_typeEPSN_NS1_7vsmem_tEENKUlT_SL_SM_SN_E_clIS8_S8_S9_S9_EESK_S10_SL_SM_SN_EUlS10_E1_NS1_11comp_targetILNS1_3genE9ELNS1_11target_archE1100ELNS1_3gpuE3ELNS1_3repE0EEENS1_36merge_oddeven_config_static_selectorELNS0_4arch9wavefront6targetE1EEEvSM_ ; -- Begin function _ZN7rocprim17ROCPRIM_400000_NS6detail17trampoline_kernelINS0_14default_configENS1_38merge_sort_block_merge_config_selectorIlNS0_10empty_typeEEEZZNS1_27merge_sort_block_merge_implIS3_PlPS5_mZN2at6native12_GLOBAL__N_124unique_dim_cuda_templateIbEESt5tupleIJNSA_6TensorESF_SF_EERKSF_lbbbEUlllE_EE10hipError_tT0_T1_T2_jT3_P12ihipStream_tbPNSt15iterator_traitsISL_E10value_typeEPNSR_ISM_E10value_typeEPSN_NS1_7vsmem_tEENKUlT_SL_SM_SN_E_clIS8_S8_S9_S9_EESK_S10_SL_SM_SN_EUlS10_E1_NS1_11comp_targetILNS1_3genE9ELNS1_11target_archE1100ELNS1_3gpuE3ELNS1_3repE0EEENS1_36merge_oddeven_config_static_selectorELNS0_4arch9wavefront6targetE1EEEvSM_
	.p2align	8
	.type	_ZN7rocprim17ROCPRIM_400000_NS6detail17trampoline_kernelINS0_14default_configENS1_38merge_sort_block_merge_config_selectorIlNS0_10empty_typeEEEZZNS1_27merge_sort_block_merge_implIS3_PlPS5_mZN2at6native12_GLOBAL__N_124unique_dim_cuda_templateIbEESt5tupleIJNSA_6TensorESF_SF_EERKSF_lbbbEUlllE_EE10hipError_tT0_T1_T2_jT3_P12ihipStream_tbPNSt15iterator_traitsISL_E10value_typeEPNSR_ISM_E10value_typeEPSN_NS1_7vsmem_tEENKUlT_SL_SM_SN_E_clIS8_S8_S9_S9_EESK_S10_SL_SM_SN_EUlS10_E1_NS1_11comp_targetILNS1_3genE9ELNS1_11target_archE1100ELNS1_3gpuE3ELNS1_3repE0EEENS1_36merge_oddeven_config_static_selectorELNS0_4arch9wavefront6targetE1EEEvSM_,@function
_ZN7rocprim17ROCPRIM_400000_NS6detail17trampoline_kernelINS0_14default_configENS1_38merge_sort_block_merge_config_selectorIlNS0_10empty_typeEEEZZNS1_27merge_sort_block_merge_implIS3_PlPS5_mZN2at6native12_GLOBAL__N_124unique_dim_cuda_templateIbEESt5tupleIJNSA_6TensorESF_SF_EERKSF_lbbbEUlllE_EE10hipError_tT0_T1_T2_jT3_P12ihipStream_tbPNSt15iterator_traitsISL_E10value_typeEPNSR_ISM_E10value_typeEPSN_NS1_7vsmem_tEENKUlT_SL_SM_SN_E_clIS8_S8_S9_S9_EESK_S10_SL_SM_SN_EUlS10_E1_NS1_11comp_targetILNS1_3genE9ELNS1_11target_archE1100ELNS1_3gpuE3ELNS1_3repE0EEENS1_36merge_oddeven_config_static_selectorELNS0_4arch9wavefront6targetE1EEEvSM_: ; @_ZN7rocprim17ROCPRIM_400000_NS6detail17trampoline_kernelINS0_14default_configENS1_38merge_sort_block_merge_config_selectorIlNS0_10empty_typeEEEZZNS1_27merge_sort_block_merge_implIS3_PlPS5_mZN2at6native12_GLOBAL__N_124unique_dim_cuda_templateIbEESt5tupleIJNSA_6TensorESF_SF_EERKSF_lbbbEUlllE_EE10hipError_tT0_T1_T2_jT3_P12ihipStream_tbPNSt15iterator_traitsISL_E10value_typeEPNSR_ISM_E10value_typeEPSN_NS1_7vsmem_tEENKUlT_SL_SM_SN_E_clIS8_S8_S9_S9_EESK_S10_SL_SM_SN_EUlS10_E1_NS1_11comp_targetILNS1_3genE9ELNS1_11target_archE1100ELNS1_3gpuE3ELNS1_3repE0EEENS1_36merge_oddeven_config_static_selectorELNS0_4arch9wavefront6targetE1EEEvSM_
; %bb.0:
	.section	.rodata,"a",@progbits
	.p2align	6, 0x0
	.amdhsa_kernel _ZN7rocprim17ROCPRIM_400000_NS6detail17trampoline_kernelINS0_14default_configENS1_38merge_sort_block_merge_config_selectorIlNS0_10empty_typeEEEZZNS1_27merge_sort_block_merge_implIS3_PlPS5_mZN2at6native12_GLOBAL__N_124unique_dim_cuda_templateIbEESt5tupleIJNSA_6TensorESF_SF_EERKSF_lbbbEUlllE_EE10hipError_tT0_T1_T2_jT3_P12ihipStream_tbPNSt15iterator_traitsISL_E10value_typeEPNSR_ISM_E10value_typeEPSN_NS1_7vsmem_tEENKUlT_SL_SM_SN_E_clIS8_S8_S9_S9_EESK_S10_SL_SM_SN_EUlS10_E1_NS1_11comp_targetILNS1_3genE9ELNS1_11target_archE1100ELNS1_3gpuE3ELNS1_3repE0EEENS1_36merge_oddeven_config_static_selectorELNS0_4arch9wavefront6targetE1EEEvSM_
		.amdhsa_group_segment_fixed_size 0
		.amdhsa_private_segment_fixed_size 0
		.amdhsa_kernarg_size 64
		.amdhsa_user_sgpr_count 6
		.amdhsa_user_sgpr_private_segment_buffer 1
		.amdhsa_user_sgpr_dispatch_ptr 0
		.amdhsa_user_sgpr_queue_ptr 0
		.amdhsa_user_sgpr_kernarg_segment_ptr 1
		.amdhsa_user_sgpr_dispatch_id 0
		.amdhsa_user_sgpr_flat_scratch_init 0
		.amdhsa_user_sgpr_kernarg_preload_length 0
		.amdhsa_user_sgpr_kernarg_preload_offset 0
		.amdhsa_user_sgpr_private_segment_size 0
		.amdhsa_uses_dynamic_stack 0
		.amdhsa_system_sgpr_private_segment_wavefront_offset 0
		.amdhsa_system_sgpr_workgroup_id_x 1
		.amdhsa_system_sgpr_workgroup_id_y 0
		.amdhsa_system_sgpr_workgroup_id_z 0
		.amdhsa_system_sgpr_workgroup_info 0
		.amdhsa_system_vgpr_workitem_id 0
		.amdhsa_next_free_vgpr 1
		.amdhsa_next_free_sgpr 0
		.amdhsa_accum_offset 4
		.amdhsa_reserve_vcc 0
		.amdhsa_reserve_flat_scratch 0
		.amdhsa_float_round_mode_32 0
		.amdhsa_float_round_mode_16_64 0
		.amdhsa_float_denorm_mode_32 3
		.amdhsa_float_denorm_mode_16_64 3
		.amdhsa_dx10_clamp 1
		.amdhsa_ieee_mode 1
		.amdhsa_fp16_overflow 0
		.amdhsa_tg_split 0
		.amdhsa_exception_fp_ieee_invalid_op 0
		.amdhsa_exception_fp_denorm_src 0
		.amdhsa_exception_fp_ieee_div_zero 0
		.amdhsa_exception_fp_ieee_overflow 0
		.amdhsa_exception_fp_ieee_underflow 0
		.amdhsa_exception_fp_ieee_inexact 0
		.amdhsa_exception_int_div_zero 0
	.end_amdhsa_kernel
	.section	.text._ZN7rocprim17ROCPRIM_400000_NS6detail17trampoline_kernelINS0_14default_configENS1_38merge_sort_block_merge_config_selectorIlNS0_10empty_typeEEEZZNS1_27merge_sort_block_merge_implIS3_PlPS5_mZN2at6native12_GLOBAL__N_124unique_dim_cuda_templateIbEESt5tupleIJNSA_6TensorESF_SF_EERKSF_lbbbEUlllE_EE10hipError_tT0_T1_T2_jT3_P12ihipStream_tbPNSt15iterator_traitsISL_E10value_typeEPNSR_ISM_E10value_typeEPSN_NS1_7vsmem_tEENKUlT_SL_SM_SN_E_clIS8_S8_S9_S9_EESK_S10_SL_SM_SN_EUlS10_E1_NS1_11comp_targetILNS1_3genE9ELNS1_11target_archE1100ELNS1_3gpuE3ELNS1_3repE0EEENS1_36merge_oddeven_config_static_selectorELNS0_4arch9wavefront6targetE1EEEvSM_,"axG",@progbits,_ZN7rocprim17ROCPRIM_400000_NS6detail17trampoline_kernelINS0_14default_configENS1_38merge_sort_block_merge_config_selectorIlNS0_10empty_typeEEEZZNS1_27merge_sort_block_merge_implIS3_PlPS5_mZN2at6native12_GLOBAL__N_124unique_dim_cuda_templateIbEESt5tupleIJNSA_6TensorESF_SF_EERKSF_lbbbEUlllE_EE10hipError_tT0_T1_T2_jT3_P12ihipStream_tbPNSt15iterator_traitsISL_E10value_typeEPNSR_ISM_E10value_typeEPSN_NS1_7vsmem_tEENKUlT_SL_SM_SN_E_clIS8_S8_S9_S9_EESK_S10_SL_SM_SN_EUlS10_E1_NS1_11comp_targetILNS1_3genE9ELNS1_11target_archE1100ELNS1_3gpuE3ELNS1_3repE0EEENS1_36merge_oddeven_config_static_selectorELNS0_4arch9wavefront6targetE1EEEvSM_,comdat
.Lfunc_end1024:
	.size	_ZN7rocprim17ROCPRIM_400000_NS6detail17trampoline_kernelINS0_14default_configENS1_38merge_sort_block_merge_config_selectorIlNS0_10empty_typeEEEZZNS1_27merge_sort_block_merge_implIS3_PlPS5_mZN2at6native12_GLOBAL__N_124unique_dim_cuda_templateIbEESt5tupleIJNSA_6TensorESF_SF_EERKSF_lbbbEUlllE_EE10hipError_tT0_T1_T2_jT3_P12ihipStream_tbPNSt15iterator_traitsISL_E10value_typeEPNSR_ISM_E10value_typeEPSN_NS1_7vsmem_tEENKUlT_SL_SM_SN_E_clIS8_S8_S9_S9_EESK_S10_SL_SM_SN_EUlS10_E1_NS1_11comp_targetILNS1_3genE9ELNS1_11target_archE1100ELNS1_3gpuE3ELNS1_3repE0EEENS1_36merge_oddeven_config_static_selectorELNS0_4arch9wavefront6targetE1EEEvSM_, .Lfunc_end1024-_ZN7rocprim17ROCPRIM_400000_NS6detail17trampoline_kernelINS0_14default_configENS1_38merge_sort_block_merge_config_selectorIlNS0_10empty_typeEEEZZNS1_27merge_sort_block_merge_implIS3_PlPS5_mZN2at6native12_GLOBAL__N_124unique_dim_cuda_templateIbEESt5tupleIJNSA_6TensorESF_SF_EERKSF_lbbbEUlllE_EE10hipError_tT0_T1_T2_jT3_P12ihipStream_tbPNSt15iterator_traitsISL_E10value_typeEPNSR_ISM_E10value_typeEPSN_NS1_7vsmem_tEENKUlT_SL_SM_SN_E_clIS8_S8_S9_S9_EESK_S10_SL_SM_SN_EUlS10_E1_NS1_11comp_targetILNS1_3genE9ELNS1_11target_archE1100ELNS1_3gpuE3ELNS1_3repE0EEENS1_36merge_oddeven_config_static_selectorELNS0_4arch9wavefront6targetE1EEEvSM_
                                        ; -- End function
	.section	.AMDGPU.csdata,"",@progbits
; Kernel info:
; codeLenInByte = 0
; NumSgprs: 4
; NumVgprs: 0
; NumAgprs: 0
; TotalNumVgprs: 0
; ScratchSize: 0
; MemoryBound: 0
; FloatMode: 240
; IeeeMode: 1
; LDSByteSize: 0 bytes/workgroup (compile time only)
; SGPRBlocks: 0
; VGPRBlocks: 0
; NumSGPRsForWavesPerEU: 4
; NumVGPRsForWavesPerEU: 1
; AccumOffset: 4
; Occupancy: 8
; WaveLimiterHint : 0
; COMPUTE_PGM_RSRC2:SCRATCH_EN: 0
; COMPUTE_PGM_RSRC2:USER_SGPR: 6
; COMPUTE_PGM_RSRC2:TRAP_HANDLER: 0
; COMPUTE_PGM_RSRC2:TGID_X_EN: 1
; COMPUTE_PGM_RSRC2:TGID_Y_EN: 0
; COMPUTE_PGM_RSRC2:TGID_Z_EN: 0
; COMPUTE_PGM_RSRC2:TIDIG_COMP_CNT: 0
; COMPUTE_PGM_RSRC3_GFX90A:ACCUM_OFFSET: 0
; COMPUTE_PGM_RSRC3_GFX90A:TG_SPLIT: 0
	.section	.text._ZN7rocprim17ROCPRIM_400000_NS6detail17trampoline_kernelINS0_14default_configENS1_38merge_sort_block_merge_config_selectorIlNS0_10empty_typeEEEZZNS1_27merge_sort_block_merge_implIS3_PlPS5_mZN2at6native12_GLOBAL__N_124unique_dim_cuda_templateIbEESt5tupleIJNSA_6TensorESF_SF_EERKSF_lbbbEUlllE_EE10hipError_tT0_T1_T2_jT3_P12ihipStream_tbPNSt15iterator_traitsISL_E10value_typeEPNSR_ISM_E10value_typeEPSN_NS1_7vsmem_tEENKUlT_SL_SM_SN_E_clIS8_S8_S9_S9_EESK_S10_SL_SM_SN_EUlS10_E1_NS1_11comp_targetILNS1_3genE8ELNS1_11target_archE1030ELNS1_3gpuE2ELNS1_3repE0EEENS1_36merge_oddeven_config_static_selectorELNS0_4arch9wavefront6targetE1EEEvSM_,"axG",@progbits,_ZN7rocprim17ROCPRIM_400000_NS6detail17trampoline_kernelINS0_14default_configENS1_38merge_sort_block_merge_config_selectorIlNS0_10empty_typeEEEZZNS1_27merge_sort_block_merge_implIS3_PlPS5_mZN2at6native12_GLOBAL__N_124unique_dim_cuda_templateIbEESt5tupleIJNSA_6TensorESF_SF_EERKSF_lbbbEUlllE_EE10hipError_tT0_T1_T2_jT3_P12ihipStream_tbPNSt15iterator_traitsISL_E10value_typeEPNSR_ISM_E10value_typeEPSN_NS1_7vsmem_tEENKUlT_SL_SM_SN_E_clIS8_S8_S9_S9_EESK_S10_SL_SM_SN_EUlS10_E1_NS1_11comp_targetILNS1_3genE8ELNS1_11target_archE1030ELNS1_3gpuE2ELNS1_3repE0EEENS1_36merge_oddeven_config_static_selectorELNS0_4arch9wavefront6targetE1EEEvSM_,comdat
	.globl	_ZN7rocprim17ROCPRIM_400000_NS6detail17trampoline_kernelINS0_14default_configENS1_38merge_sort_block_merge_config_selectorIlNS0_10empty_typeEEEZZNS1_27merge_sort_block_merge_implIS3_PlPS5_mZN2at6native12_GLOBAL__N_124unique_dim_cuda_templateIbEESt5tupleIJNSA_6TensorESF_SF_EERKSF_lbbbEUlllE_EE10hipError_tT0_T1_T2_jT3_P12ihipStream_tbPNSt15iterator_traitsISL_E10value_typeEPNSR_ISM_E10value_typeEPSN_NS1_7vsmem_tEENKUlT_SL_SM_SN_E_clIS8_S8_S9_S9_EESK_S10_SL_SM_SN_EUlS10_E1_NS1_11comp_targetILNS1_3genE8ELNS1_11target_archE1030ELNS1_3gpuE2ELNS1_3repE0EEENS1_36merge_oddeven_config_static_selectorELNS0_4arch9wavefront6targetE1EEEvSM_ ; -- Begin function _ZN7rocprim17ROCPRIM_400000_NS6detail17trampoline_kernelINS0_14default_configENS1_38merge_sort_block_merge_config_selectorIlNS0_10empty_typeEEEZZNS1_27merge_sort_block_merge_implIS3_PlPS5_mZN2at6native12_GLOBAL__N_124unique_dim_cuda_templateIbEESt5tupleIJNSA_6TensorESF_SF_EERKSF_lbbbEUlllE_EE10hipError_tT0_T1_T2_jT3_P12ihipStream_tbPNSt15iterator_traitsISL_E10value_typeEPNSR_ISM_E10value_typeEPSN_NS1_7vsmem_tEENKUlT_SL_SM_SN_E_clIS8_S8_S9_S9_EESK_S10_SL_SM_SN_EUlS10_E1_NS1_11comp_targetILNS1_3genE8ELNS1_11target_archE1030ELNS1_3gpuE2ELNS1_3repE0EEENS1_36merge_oddeven_config_static_selectorELNS0_4arch9wavefront6targetE1EEEvSM_
	.p2align	8
	.type	_ZN7rocprim17ROCPRIM_400000_NS6detail17trampoline_kernelINS0_14default_configENS1_38merge_sort_block_merge_config_selectorIlNS0_10empty_typeEEEZZNS1_27merge_sort_block_merge_implIS3_PlPS5_mZN2at6native12_GLOBAL__N_124unique_dim_cuda_templateIbEESt5tupleIJNSA_6TensorESF_SF_EERKSF_lbbbEUlllE_EE10hipError_tT0_T1_T2_jT3_P12ihipStream_tbPNSt15iterator_traitsISL_E10value_typeEPNSR_ISM_E10value_typeEPSN_NS1_7vsmem_tEENKUlT_SL_SM_SN_E_clIS8_S8_S9_S9_EESK_S10_SL_SM_SN_EUlS10_E1_NS1_11comp_targetILNS1_3genE8ELNS1_11target_archE1030ELNS1_3gpuE2ELNS1_3repE0EEENS1_36merge_oddeven_config_static_selectorELNS0_4arch9wavefront6targetE1EEEvSM_,@function
_ZN7rocprim17ROCPRIM_400000_NS6detail17trampoline_kernelINS0_14default_configENS1_38merge_sort_block_merge_config_selectorIlNS0_10empty_typeEEEZZNS1_27merge_sort_block_merge_implIS3_PlPS5_mZN2at6native12_GLOBAL__N_124unique_dim_cuda_templateIbEESt5tupleIJNSA_6TensorESF_SF_EERKSF_lbbbEUlllE_EE10hipError_tT0_T1_T2_jT3_P12ihipStream_tbPNSt15iterator_traitsISL_E10value_typeEPNSR_ISM_E10value_typeEPSN_NS1_7vsmem_tEENKUlT_SL_SM_SN_E_clIS8_S8_S9_S9_EESK_S10_SL_SM_SN_EUlS10_E1_NS1_11comp_targetILNS1_3genE8ELNS1_11target_archE1030ELNS1_3gpuE2ELNS1_3repE0EEENS1_36merge_oddeven_config_static_selectorELNS0_4arch9wavefront6targetE1EEEvSM_: ; @_ZN7rocprim17ROCPRIM_400000_NS6detail17trampoline_kernelINS0_14default_configENS1_38merge_sort_block_merge_config_selectorIlNS0_10empty_typeEEEZZNS1_27merge_sort_block_merge_implIS3_PlPS5_mZN2at6native12_GLOBAL__N_124unique_dim_cuda_templateIbEESt5tupleIJNSA_6TensorESF_SF_EERKSF_lbbbEUlllE_EE10hipError_tT0_T1_T2_jT3_P12ihipStream_tbPNSt15iterator_traitsISL_E10value_typeEPNSR_ISM_E10value_typeEPSN_NS1_7vsmem_tEENKUlT_SL_SM_SN_E_clIS8_S8_S9_S9_EESK_S10_SL_SM_SN_EUlS10_E1_NS1_11comp_targetILNS1_3genE8ELNS1_11target_archE1030ELNS1_3gpuE2ELNS1_3repE0EEENS1_36merge_oddeven_config_static_selectorELNS0_4arch9wavefront6targetE1EEEvSM_
; %bb.0:
	.section	.rodata,"a",@progbits
	.p2align	6, 0x0
	.amdhsa_kernel _ZN7rocprim17ROCPRIM_400000_NS6detail17trampoline_kernelINS0_14default_configENS1_38merge_sort_block_merge_config_selectorIlNS0_10empty_typeEEEZZNS1_27merge_sort_block_merge_implIS3_PlPS5_mZN2at6native12_GLOBAL__N_124unique_dim_cuda_templateIbEESt5tupleIJNSA_6TensorESF_SF_EERKSF_lbbbEUlllE_EE10hipError_tT0_T1_T2_jT3_P12ihipStream_tbPNSt15iterator_traitsISL_E10value_typeEPNSR_ISM_E10value_typeEPSN_NS1_7vsmem_tEENKUlT_SL_SM_SN_E_clIS8_S8_S9_S9_EESK_S10_SL_SM_SN_EUlS10_E1_NS1_11comp_targetILNS1_3genE8ELNS1_11target_archE1030ELNS1_3gpuE2ELNS1_3repE0EEENS1_36merge_oddeven_config_static_selectorELNS0_4arch9wavefront6targetE1EEEvSM_
		.amdhsa_group_segment_fixed_size 0
		.amdhsa_private_segment_fixed_size 0
		.amdhsa_kernarg_size 64
		.amdhsa_user_sgpr_count 6
		.amdhsa_user_sgpr_private_segment_buffer 1
		.amdhsa_user_sgpr_dispatch_ptr 0
		.amdhsa_user_sgpr_queue_ptr 0
		.amdhsa_user_sgpr_kernarg_segment_ptr 1
		.amdhsa_user_sgpr_dispatch_id 0
		.amdhsa_user_sgpr_flat_scratch_init 0
		.amdhsa_user_sgpr_kernarg_preload_length 0
		.amdhsa_user_sgpr_kernarg_preload_offset 0
		.amdhsa_user_sgpr_private_segment_size 0
		.amdhsa_uses_dynamic_stack 0
		.amdhsa_system_sgpr_private_segment_wavefront_offset 0
		.amdhsa_system_sgpr_workgroup_id_x 1
		.amdhsa_system_sgpr_workgroup_id_y 0
		.amdhsa_system_sgpr_workgroup_id_z 0
		.amdhsa_system_sgpr_workgroup_info 0
		.amdhsa_system_vgpr_workitem_id 0
		.amdhsa_next_free_vgpr 1
		.amdhsa_next_free_sgpr 0
		.amdhsa_accum_offset 4
		.amdhsa_reserve_vcc 0
		.amdhsa_reserve_flat_scratch 0
		.amdhsa_float_round_mode_32 0
		.amdhsa_float_round_mode_16_64 0
		.amdhsa_float_denorm_mode_32 3
		.amdhsa_float_denorm_mode_16_64 3
		.amdhsa_dx10_clamp 1
		.amdhsa_ieee_mode 1
		.amdhsa_fp16_overflow 0
		.amdhsa_tg_split 0
		.amdhsa_exception_fp_ieee_invalid_op 0
		.amdhsa_exception_fp_denorm_src 0
		.amdhsa_exception_fp_ieee_div_zero 0
		.amdhsa_exception_fp_ieee_overflow 0
		.amdhsa_exception_fp_ieee_underflow 0
		.amdhsa_exception_fp_ieee_inexact 0
		.amdhsa_exception_int_div_zero 0
	.end_amdhsa_kernel
	.section	.text._ZN7rocprim17ROCPRIM_400000_NS6detail17trampoline_kernelINS0_14default_configENS1_38merge_sort_block_merge_config_selectorIlNS0_10empty_typeEEEZZNS1_27merge_sort_block_merge_implIS3_PlPS5_mZN2at6native12_GLOBAL__N_124unique_dim_cuda_templateIbEESt5tupleIJNSA_6TensorESF_SF_EERKSF_lbbbEUlllE_EE10hipError_tT0_T1_T2_jT3_P12ihipStream_tbPNSt15iterator_traitsISL_E10value_typeEPNSR_ISM_E10value_typeEPSN_NS1_7vsmem_tEENKUlT_SL_SM_SN_E_clIS8_S8_S9_S9_EESK_S10_SL_SM_SN_EUlS10_E1_NS1_11comp_targetILNS1_3genE8ELNS1_11target_archE1030ELNS1_3gpuE2ELNS1_3repE0EEENS1_36merge_oddeven_config_static_selectorELNS0_4arch9wavefront6targetE1EEEvSM_,"axG",@progbits,_ZN7rocprim17ROCPRIM_400000_NS6detail17trampoline_kernelINS0_14default_configENS1_38merge_sort_block_merge_config_selectorIlNS0_10empty_typeEEEZZNS1_27merge_sort_block_merge_implIS3_PlPS5_mZN2at6native12_GLOBAL__N_124unique_dim_cuda_templateIbEESt5tupleIJNSA_6TensorESF_SF_EERKSF_lbbbEUlllE_EE10hipError_tT0_T1_T2_jT3_P12ihipStream_tbPNSt15iterator_traitsISL_E10value_typeEPNSR_ISM_E10value_typeEPSN_NS1_7vsmem_tEENKUlT_SL_SM_SN_E_clIS8_S8_S9_S9_EESK_S10_SL_SM_SN_EUlS10_E1_NS1_11comp_targetILNS1_3genE8ELNS1_11target_archE1030ELNS1_3gpuE2ELNS1_3repE0EEENS1_36merge_oddeven_config_static_selectorELNS0_4arch9wavefront6targetE1EEEvSM_,comdat
.Lfunc_end1025:
	.size	_ZN7rocprim17ROCPRIM_400000_NS6detail17trampoline_kernelINS0_14default_configENS1_38merge_sort_block_merge_config_selectorIlNS0_10empty_typeEEEZZNS1_27merge_sort_block_merge_implIS3_PlPS5_mZN2at6native12_GLOBAL__N_124unique_dim_cuda_templateIbEESt5tupleIJNSA_6TensorESF_SF_EERKSF_lbbbEUlllE_EE10hipError_tT0_T1_T2_jT3_P12ihipStream_tbPNSt15iterator_traitsISL_E10value_typeEPNSR_ISM_E10value_typeEPSN_NS1_7vsmem_tEENKUlT_SL_SM_SN_E_clIS8_S8_S9_S9_EESK_S10_SL_SM_SN_EUlS10_E1_NS1_11comp_targetILNS1_3genE8ELNS1_11target_archE1030ELNS1_3gpuE2ELNS1_3repE0EEENS1_36merge_oddeven_config_static_selectorELNS0_4arch9wavefront6targetE1EEEvSM_, .Lfunc_end1025-_ZN7rocprim17ROCPRIM_400000_NS6detail17trampoline_kernelINS0_14default_configENS1_38merge_sort_block_merge_config_selectorIlNS0_10empty_typeEEEZZNS1_27merge_sort_block_merge_implIS3_PlPS5_mZN2at6native12_GLOBAL__N_124unique_dim_cuda_templateIbEESt5tupleIJNSA_6TensorESF_SF_EERKSF_lbbbEUlllE_EE10hipError_tT0_T1_T2_jT3_P12ihipStream_tbPNSt15iterator_traitsISL_E10value_typeEPNSR_ISM_E10value_typeEPSN_NS1_7vsmem_tEENKUlT_SL_SM_SN_E_clIS8_S8_S9_S9_EESK_S10_SL_SM_SN_EUlS10_E1_NS1_11comp_targetILNS1_3genE8ELNS1_11target_archE1030ELNS1_3gpuE2ELNS1_3repE0EEENS1_36merge_oddeven_config_static_selectorELNS0_4arch9wavefront6targetE1EEEvSM_
                                        ; -- End function
	.section	.AMDGPU.csdata,"",@progbits
; Kernel info:
; codeLenInByte = 0
; NumSgprs: 4
; NumVgprs: 0
; NumAgprs: 0
; TotalNumVgprs: 0
; ScratchSize: 0
; MemoryBound: 0
; FloatMode: 240
; IeeeMode: 1
; LDSByteSize: 0 bytes/workgroup (compile time only)
; SGPRBlocks: 0
; VGPRBlocks: 0
; NumSGPRsForWavesPerEU: 4
; NumVGPRsForWavesPerEU: 1
; AccumOffset: 4
; Occupancy: 8
; WaveLimiterHint : 0
; COMPUTE_PGM_RSRC2:SCRATCH_EN: 0
; COMPUTE_PGM_RSRC2:USER_SGPR: 6
; COMPUTE_PGM_RSRC2:TRAP_HANDLER: 0
; COMPUTE_PGM_RSRC2:TGID_X_EN: 1
; COMPUTE_PGM_RSRC2:TGID_Y_EN: 0
; COMPUTE_PGM_RSRC2:TGID_Z_EN: 0
; COMPUTE_PGM_RSRC2:TIDIG_COMP_CNT: 0
; COMPUTE_PGM_RSRC3_GFX90A:ACCUM_OFFSET: 0
; COMPUTE_PGM_RSRC3_GFX90A:TG_SPLIT: 0
	.section	.text._ZN7rocprim17ROCPRIM_400000_NS6detail17trampoline_kernelINS0_14default_configENS1_35adjacent_difference_config_selectorILb0ElEEZNS1_24adjacent_difference_implIS3_Lb0ELb0EPlS7_ZN2at6native12_GLOBAL__N_124unique_dim_cuda_templateIbEESt5tupleIJNS8_6TensorESD_SD_EERKSD_lbbbEUlllE1_EE10hipError_tPvRmT2_T3_mT4_P12ihipStream_tbEUlT_E_NS1_11comp_targetILNS1_3genE0ELNS1_11target_archE4294967295ELNS1_3gpuE0ELNS1_3repE0EEENS1_30default_config_static_selectorELNS0_4arch9wavefront6targetE1EEEvT1_,"axG",@progbits,_ZN7rocprim17ROCPRIM_400000_NS6detail17trampoline_kernelINS0_14default_configENS1_35adjacent_difference_config_selectorILb0ElEEZNS1_24adjacent_difference_implIS3_Lb0ELb0EPlS7_ZN2at6native12_GLOBAL__N_124unique_dim_cuda_templateIbEESt5tupleIJNS8_6TensorESD_SD_EERKSD_lbbbEUlllE1_EE10hipError_tPvRmT2_T3_mT4_P12ihipStream_tbEUlT_E_NS1_11comp_targetILNS1_3genE0ELNS1_11target_archE4294967295ELNS1_3gpuE0ELNS1_3repE0EEENS1_30default_config_static_selectorELNS0_4arch9wavefront6targetE1EEEvT1_,comdat
	.globl	_ZN7rocprim17ROCPRIM_400000_NS6detail17trampoline_kernelINS0_14default_configENS1_35adjacent_difference_config_selectorILb0ElEEZNS1_24adjacent_difference_implIS3_Lb0ELb0EPlS7_ZN2at6native12_GLOBAL__N_124unique_dim_cuda_templateIbEESt5tupleIJNS8_6TensorESD_SD_EERKSD_lbbbEUlllE1_EE10hipError_tPvRmT2_T3_mT4_P12ihipStream_tbEUlT_E_NS1_11comp_targetILNS1_3genE0ELNS1_11target_archE4294967295ELNS1_3gpuE0ELNS1_3repE0EEENS1_30default_config_static_selectorELNS0_4arch9wavefront6targetE1EEEvT1_ ; -- Begin function _ZN7rocprim17ROCPRIM_400000_NS6detail17trampoline_kernelINS0_14default_configENS1_35adjacent_difference_config_selectorILb0ElEEZNS1_24adjacent_difference_implIS3_Lb0ELb0EPlS7_ZN2at6native12_GLOBAL__N_124unique_dim_cuda_templateIbEESt5tupleIJNS8_6TensorESD_SD_EERKSD_lbbbEUlllE1_EE10hipError_tPvRmT2_T3_mT4_P12ihipStream_tbEUlT_E_NS1_11comp_targetILNS1_3genE0ELNS1_11target_archE4294967295ELNS1_3gpuE0ELNS1_3repE0EEENS1_30default_config_static_selectorELNS0_4arch9wavefront6targetE1EEEvT1_
	.p2align	8
	.type	_ZN7rocprim17ROCPRIM_400000_NS6detail17trampoline_kernelINS0_14default_configENS1_35adjacent_difference_config_selectorILb0ElEEZNS1_24adjacent_difference_implIS3_Lb0ELb0EPlS7_ZN2at6native12_GLOBAL__N_124unique_dim_cuda_templateIbEESt5tupleIJNS8_6TensorESD_SD_EERKSD_lbbbEUlllE1_EE10hipError_tPvRmT2_T3_mT4_P12ihipStream_tbEUlT_E_NS1_11comp_targetILNS1_3genE0ELNS1_11target_archE4294967295ELNS1_3gpuE0ELNS1_3repE0EEENS1_30default_config_static_selectorELNS0_4arch9wavefront6targetE1EEEvT1_,@function
_ZN7rocprim17ROCPRIM_400000_NS6detail17trampoline_kernelINS0_14default_configENS1_35adjacent_difference_config_selectorILb0ElEEZNS1_24adjacent_difference_implIS3_Lb0ELb0EPlS7_ZN2at6native12_GLOBAL__N_124unique_dim_cuda_templateIbEESt5tupleIJNS8_6TensorESD_SD_EERKSD_lbbbEUlllE1_EE10hipError_tPvRmT2_T3_mT4_P12ihipStream_tbEUlT_E_NS1_11comp_targetILNS1_3genE0ELNS1_11target_archE4294967295ELNS1_3gpuE0ELNS1_3repE0EEENS1_30default_config_static_selectorELNS0_4arch9wavefront6targetE1EEEvT1_: ; @_ZN7rocprim17ROCPRIM_400000_NS6detail17trampoline_kernelINS0_14default_configENS1_35adjacent_difference_config_selectorILb0ElEEZNS1_24adjacent_difference_implIS3_Lb0ELb0EPlS7_ZN2at6native12_GLOBAL__N_124unique_dim_cuda_templateIbEESt5tupleIJNS8_6TensorESD_SD_EERKSD_lbbbEUlllE1_EE10hipError_tPvRmT2_T3_mT4_P12ihipStream_tbEUlT_E_NS1_11comp_targetILNS1_3genE0ELNS1_11target_archE4294967295ELNS1_3gpuE0ELNS1_3repE0EEENS1_30default_config_static_selectorELNS0_4arch9wavefront6targetE1EEEvT1_
; %bb.0:
	.section	.rodata,"a",@progbits
	.p2align	6, 0x0
	.amdhsa_kernel _ZN7rocprim17ROCPRIM_400000_NS6detail17trampoline_kernelINS0_14default_configENS1_35adjacent_difference_config_selectorILb0ElEEZNS1_24adjacent_difference_implIS3_Lb0ELb0EPlS7_ZN2at6native12_GLOBAL__N_124unique_dim_cuda_templateIbEESt5tupleIJNS8_6TensorESD_SD_EERKSD_lbbbEUlllE1_EE10hipError_tPvRmT2_T3_mT4_P12ihipStream_tbEUlT_E_NS1_11comp_targetILNS1_3genE0ELNS1_11target_archE4294967295ELNS1_3gpuE0ELNS1_3repE0EEENS1_30default_config_static_selectorELNS0_4arch9wavefront6targetE1EEEvT1_
		.amdhsa_group_segment_fixed_size 0
		.amdhsa_private_segment_fixed_size 0
		.amdhsa_kernarg_size 64
		.amdhsa_user_sgpr_count 6
		.amdhsa_user_sgpr_private_segment_buffer 1
		.amdhsa_user_sgpr_dispatch_ptr 0
		.amdhsa_user_sgpr_queue_ptr 0
		.amdhsa_user_sgpr_kernarg_segment_ptr 1
		.amdhsa_user_sgpr_dispatch_id 0
		.amdhsa_user_sgpr_flat_scratch_init 0
		.amdhsa_user_sgpr_kernarg_preload_length 0
		.amdhsa_user_sgpr_kernarg_preload_offset 0
		.amdhsa_user_sgpr_private_segment_size 0
		.amdhsa_uses_dynamic_stack 0
		.amdhsa_system_sgpr_private_segment_wavefront_offset 0
		.amdhsa_system_sgpr_workgroup_id_x 1
		.amdhsa_system_sgpr_workgroup_id_y 0
		.amdhsa_system_sgpr_workgroup_id_z 0
		.amdhsa_system_sgpr_workgroup_info 0
		.amdhsa_system_vgpr_workitem_id 0
		.amdhsa_next_free_vgpr 1
		.amdhsa_next_free_sgpr 0
		.amdhsa_accum_offset 4
		.amdhsa_reserve_vcc 0
		.amdhsa_reserve_flat_scratch 0
		.amdhsa_float_round_mode_32 0
		.amdhsa_float_round_mode_16_64 0
		.amdhsa_float_denorm_mode_32 3
		.amdhsa_float_denorm_mode_16_64 3
		.amdhsa_dx10_clamp 1
		.amdhsa_ieee_mode 1
		.amdhsa_fp16_overflow 0
		.amdhsa_tg_split 0
		.amdhsa_exception_fp_ieee_invalid_op 0
		.amdhsa_exception_fp_denorm_src 0
		.amdhsa_exception_fp_ieee_div_zero 0
		.amdhsa_exception_fp_ieee_overflow 0
		.amdhsa_exception_fp_ieee_underflow 0
		.amdhsa_exception_fp_ieee_inexact 0
		.amdhsa_exception_int_div_zero 0
	.end_amdhsa_kernel
	.section	.text._ZN7rocprim17ROCPRIM_400000_NS6detail17trampoline_kernelINS0_14default_configENS1_35adjacent_difference_config_selectorILb0ElEEZNS1_24adjacent_difference_implIS3_Lb0ELb0EPlS7_ZN2at6native12_GLOBAL__N_124unique_dim_cuda_templateIbEESt5tupleIJNS8_6TensorESD_SD_EERKSD_lbbbEUlllE1_EE10hipError_tPvRmT2_T3_mT4_P12ihipStream_tbEUlT_E_NS1_11comp_targetILNS1_3genE0ELNS1_11target_archE4294967295ELNS1_3gpuE0ELNS1_3repE0EEENS1_30default_config_static_selectorELNS0_4arch9wavefront6targetE1EEEvT1_,"axG",@progbits,_ZN7rocprim17ROCPRIM_400000_NS6detail17trampoline_kernelINS0_14default_configENS1_35adjacent_difference_config_selectorILb0ElEEZNS1_24adjacent_difference_implIS3_Lb0ELb0EPlS7_ZN2at6native12_GLOBAL__N_124unique_dim_cuda_templateIbEESt5tupleIJNS8_6TensorESD_SD_EERKSD_lbbbEUlllE1_EE10hipError_tPvRmT2_T3_mT4_P12ihipStream_tbEUlT_E_NS1_11comp_targetILNS1_3genE0ELNS1_11target_archE4294967295ELNS1_3gpuE0ELNS1_3repE0EEENS1_30default_config_static_selectorELNS0_4arch9wavefront6targetE1EEEvT1_,comdat
.Lfunc_end1026:
	.size	_ZN7rocprim17ROCPRIM_400000_NS6detail17trampoline_kernelINS0_14default_configENS1_35adjacent_difference_config_selectorILb0ElEEZNS1_24adjacent_difference_implIS3_Lb0ELb0EPlS7_ZN2at6native12_GLOBAL__N_124unique_dim_cuda_templateIbEESt5tupleIJNS8_6TensorESD_SD_EERKSD_lbbbEUlllE1_EE10hipError_tPvRmT2_T3_mT4_P12ihipStream_tbEUlT_E_NS1_11comp_targetILNS1_3genE0ELNS1_11target_archE4294967295ELNS1_3gpuE0ELNS1_3repE0EEENS1_30default_config_static_selectorELNS0_4arch9wavefront6targetE1EEEvT1_, .Lfunc_end1026-_ZN7rocprim17ROCPRIM_400000_NS6detail17trampoline_kernelINS0_14default_configENS1_35adjacent_difference_config_selectorILb0ElEEZNS1_24adjacent_difference_implIS3_Lb0ELb0EPlS7_ZN2at6native12_GLOBAL__N_124unique_dim_cuda_templateIbEESt5tupleIJNS8_6TensorESD_SD_EERKSD_lbbbEUlllE1_EE10hipError_tPvRmT2_T3_mT4_P12ihipStream_tbEUlT_E_NS1_11comp_targetILNS1_3genE0ELNS1_11target_archE4294967295ELNS1_3gpuE0ELNS1_3repE0EEENS1_30default_config_static_selectorELNS0_4arch9wavefront6targetE1EEEvT1_
                                        ; -- End function
	.section	.AMDGPU.csdata,"",@progbits
; Kernel info:
; codeLenInByte = 0
; NumSgprs: 4
; NumVgprs: 0
; NumAgprs: 0
; TotalNumVgprs: 0
; ScratchSize: 0
; MemoryBound: 0
; FloatMode: 240
; IeeeMode: 1
; LDSByteSize: 0 bytes/workgroup (compile time only)
; SGPRBlocks: 0
; VGPRBlocks: 0
; NumSGPRsForWavesPerEU: 4
; NumVGPRsForWavesPerEU: 1
; AccumOffset: 4
; Occupancy: 8
; WaveLimiterHint : 0
; COMPUTE_PGM_RSRC2:SCRATCH_EN: 0
; COMPUTE_PGM_RSRC2:USER_SGPR: 6
; COMPUTE_PGM_RSRC2:TRAP_HANDLER: 0
; COMPUTE_PGM_RSRC2:TGID_X_EN: 1
; COMPUTE_PGM_RSRC2:TGID_Y_EN: 0
; COMPUTE_PGM_RSRC2:TGID_Z_EN: 0
; COMPUTE_PGM_RSRC2:TIDIG_COMP_CNT: 0
; COMPUTE_PGM_RSRC3_GFX90A:ACCUM_OFFSET: 0
; COMPUTE_PGM_RSRC3_GFX90A:TG_SPLIT: 0
	.section	.text._ZN7rocprim17ROCPRIM_400000_NS6detail17trampoline_kernelINS0_14default_configENS1_35adjacent_difference_config_selectorILb0ElEEZNS1_24adjacent_difference_implIS3_Lb0ELb0EPlS7_ZN2at6native12_GLOBAL__N_124unique_dim_cuda_templateIbEESt5tupleIJNS8_6TensorESD_SD_EERKSD_lbbbEUlllE1_EE10hipError_tPvRmT2_T3_mT4_P12ihipStream_tbEUlT_E_NS1_11comp_targetILNS1_3genE10ELNS1_11target_archE1201ELNS1_3gpuE5ELNS1_3repE0EEENS1_30default_config_static_selectorELNS0_4arch9wavefront6targetE1EEEvT1_,"axG",@progbits,_ZN7rocprim17ROCPRIM_400000_NS6detail17trampoline_kernelINS0_14default_configENS1_35adjacent_difference_config_selectorILb0ElEEZNS1_24adjacent_difference_implIS3_Lb0ELb0EPlS7_ZN2at6native12_GLOBAL__N_124unique_dim_cuda_templateIbEESt5tupleIJNS8_6TensorESD_SD_EERKSD_lbbbEUlllE1_EE10hipError_tPvRmT2_T3_mT4_P12ihipStream_tbEUlT_E_NS1_11comp_targetILNS1_3genE10ELNS1_11target_archE1201ELNS1_3gpuE5ELNS1_3repE0EEENS1_30default_config_static_selectorELNS0_4arch9wavefront6targetE1EEEvT1_,comdat
	.globl	_ZN7rocprim17ROCPRIM_400000_NS6detail17trampoline_kernelINS0_14default_configENS1_35adjacent_difference_config_selectorILb0ElEEZNS1_24adjacent_difference_implIS3_Lb0ELb0EPlS7_ZN2at6native12_GLOBAL__N_124unique_dim_cuda_templateIbEESt5tupleIJNS8_6TensorESD_SD_EERKSD_lbbbEUlllE1_EE10hipError_tPvRmT2_T3_mT4_P12ihipStream_tbEUlT_E_NS1_11comp_targetILNS1_3genE10ELNS1_11target_archE1201ELNS1_3gpuE5ELNS1_3repE0EEENS1_30default_config_static_selectorELNS0_4arch9wavefront6targetE1EEEvT1_ ; -- Begin function _ZN7rocprim17ROCPRIM_400000_NS6detail17trampoline_kernelINS0_14default_configENS1_35adjacent_difference_config_selectorILb0ElEEZNS1_24adjacent_difference_implIS3_Lb0ELb0EPlS7_ZN2at6native12_GLOBAL__N_124unique_dim_cuda_templateIbEESt5tupleIJNS8_6TensorESD_SD_EERKSD_lbbbEUlllE1_EE10hipError_tPvRmT2_T3_mT4_P12ihipStream_tbEUlT_E_NS1_11comp_targetILNS1_3genE10ELNS1_11target_archE1201ELNS1_3gpuE5ELNS1_3repE0EEENS1_30default_config_static_selectorELNS0_4arch9wavefront6targetE1EEEvT1_
	.p2align	8
	.type	_ZN7rocprim17ROCPRIM_400000_NS6detail17trampoline_kernelINS0_14default_configENS1_35adjacent_difference_config_selectorILb0ElEEZNS1_24adjacent_difference_implIS3_Lb0ELb0EPlS7_ZN2at6native12_GLOBAL__N_124unique_dim_cuda_templateIbEESt5tupleIJNS8_6TensorESD_SD_EERKSD_lbbbEUlllE1_EE10hipError_tPvRmT2_T3_mT4_P12ihipStream_tbEUlT_E_NS1_11comp_targetILNS1_3genE10ELNS1_11target_archE1201ELNS1_3gpuE5ELNS1_3repE0EEENS1_30default_config_static_selectorELNS0_4arch9wavefront6targetE1EEEvT1_,@function
_ZN7rocprim17ROCPRIM_400000_NS6detail17trampoline_kernelINS0_14default_configENS1_35adjacent_difference_config_selectorILb0ElEEZNS1_24adjacent_difference_implIS3_Lb0ELb0EPlS7_ZN2at6native12_GLOBAL__N_124unique_dim_cuda_templateIbEESt5tupleIJNS8_6TensorESD_SD_EERKSD_lbbbEUlllE1_EE10hipError_tPvRmT2_T3_mT4_P12ihipStream_tbEUlT_E_NS1_11comp_targetILNS1_3genE10ELNS1_11target_archE1201ELNS1_3gpuE5ELNS1_3repE0EEENS1_30default_config_static_selectorELNS0_4arch9wavefront6targetE1EEEvT1_: ; @_ZN7rocprim17ROCPRIM_400000_NS6detail17trampoline_kernelINS0_14default_configENS1_35adjacent_difference_config_selectorILb0ElEEZNS1_24adjacent_difference_implIS3_Lb0ELb0EPlS7_ZN2at6native12_GLOBAL__N_124unique_dim_cuda_templateIbEESt5tupleIJNS8_6TensorESD_SD_EERKSD_lbbbEUlllE1_EE10hipError_tPvRmT2_T3_mT4_P12ihipStream_tbEUlT_E_NS1_11comp_targetILNS1_3genE10ELNS1_11target_archE1201ELNS1_3gpuE5ELNS1_3repE0EEENS1_30default_config_static_selectorELNS0_4arch9wavefront6targetE1EEEvT1_
; %bb.0:
	.section	.rodata,"a",@progbits
	.p2align	6, 0x0
	.amdhsa_kernel _ZN7rocprim17ROCPRIM_400000_NS6detail17trampoline_kernelINS0_14default_configENS1_35adjacent_difference_config_selectorILb0ElEEZNS1_24adjacent_difference_implIS3_Lb0ELb0EPlS7_ZN2at6native12_GLOBAL__N_124unique_dim_cuda_templateIbEESt5tupleIJNS8_6TensorESD_SD_EERKSD_lbbbEUlllE1_EE10hipError_tPvRmT2_T3_mT4_P12ihipStream_tbEUlT_E_NS1_11comp_targetILNS1_3genE10ELNS1_11target_archE1201ELNS1_3gpuE5ELNS1_3repE0EEENS1_30default_config_static_selectorELNS0_4arch9wavefront6targetE1EEEvT1_
		.amdhsa_group_segment_fixed_size 0
		.amdhsa_private_segment_fixed_size 0
		.amdhsa_kernarg_size 64
		.amdhsa_user_sgpr_count 6
		.amdhsa_user_sgpr_private_segment_buffer 1
		.amdhsa_user_sgpr_dispatch_ptr 0
		.amdhsa_user_sgpr_queue_ptr 0
		.amdhsa_user_sgpr_kernarg_segment_ptr 1
		.amdhsa_user_sgpr_dispatch_id 0
		.amdhsa_user_sgpr_flat_scratch_init 0
		.amdhsa_user_sgpr_kernarg_preload_length 0
		.amdhsa_user_sgpr_kernarg_preload_offset 0
		.amdhsa_user_sgpr_private_segment_size 0
		.amdhsa_uses_dynamic_stack 0
		.amdhsa_system_sgpr_private_segment_wavefront_offset 0
		.amdhsa_system_sgpr_workgroup_id_x 1
		.amdhsa_system_sgpr_workgroup_id_y 0
		.amdhsa_system_sgpr_workgroup_id_z 0
		.amdhsa_system_sgpr_workgroup_info 0
		.amdhsa_system_vgpr_workitem_id 0
		.amdhsa_next_free_vgpr 1
		.amdhsa_next_free_sgpr 0
		.amdhsa_accum_offset 4
		.amdhsa_reserve_vcc 0
		.amdhsa_reserve_flat_scratch 0
		.amdhsa_float_round_mode_32 0
		.amdhsa_float_round_mode_16_64 0
		.amdhsa_float_denorm_mode_32 3
		.amdhsa_float_denorm_mode_16_64 3
		.amdhsa_dx10_clamp 1
		.amdhsa_ieee_mode 1
		.amdhsa_fp16_overflow 0
		.amdhsa_tg_split 0
		.amdhsa_exception_fp_ieee_invalid_op 0
		.amdhsa_exception_fp_denorm_src 0
		.amdhsa_exception_fp_ieee_div_zero 0
		.amdhsa_exception_fp_ieee_overflow 0
		.amdhsa_exception_fp_ieee_underflow 0
		.amdhsa_exception_fp_ieee_inexact 0
		.amdhsa_exception_int_div_zero 0
	.end_amdhsa_kernel
	.section	.text._ZN7rocprim17ROCPRIM_400000_NS6detail17trampoline_kernelINS0_14default_configENS1_35adjacent_difference_config_selectorILb0ElEEZNS1_24adjacent_difference_implIS3_Lb0ELb0EPlS7_ZN2at6native12_GLOBAL__N_124unique_dim_cuda_templateIbEESt5tupleIJNS8_6TensorESD_SD_EERKSD_lbbbEUlllE1_EE10hipError_tPvRmT2_T3_mT4_P12ihipStream_tbEUlT_E_NS1_11comp_targetILNS1_3genE10ELNS1_11target_archE1201ELNS1_3gpuE5ELNS1_3repE0EEENS1_30default_config_static_selectorELNS0_4arch9wavefront6targetE1EEEvT1_,"axG",@progbits,_ZN7rocprim17ROCPRIM_400000_NS6detail17trampoline_kernelINS0_14default_configENS1_35adjacent_difference_config_selectorILb0ElEEZNS1_24adjacent_difference_implIS3_Lb0ELb0EPlS7_ZN2at6native12_GLOBAL__N_124unique_dim_cuda_templateIbEESt5tupleIJNS8_6TensorESD_SD_EERKSD_lbbbEUlllE1_EE10hipError_tPvRmT2_T3_mT4_P12ihipStream_tbEUlT_E_NS1_11comp_targetILNS1_3genE10ELNS1_11target_archE1201ELNS1_3gpuE5ELNS1_3repE0EEENS1_30default_config_static_selectorELNS0_4arch9wavefront6targetE1EEEvT1_,comdat
.Lfunc_end1027:
	.size	_ZN7rocprim17ROCPRIM_400000_NS6detail17trampoline_kernelINS0_14default_configENS1_35adjacent_difference_config_selectorILb0ElEEZNS1_24adjacent_difference_implIS3_Lb0ELb0EPlS7_ZN2at6native12_GLOBAL__N_124unique_dim_cuda_templateIbEESt5tupleIJNS8_6TensorESD_SD_EERKSD_lbbbEUlllE1_EE10hipError_tPvRmT2_T3_mT4_P12ihipStream_tbEUlT_E_NS1_11comp_targetILNS1_3genE10ELNS1_11target_archE1201ELNS1_3gpuE5ELNS1_3repE0EEENS1_30default_config_static_selectorELNS0_4arch9wavefront6targetE1EEEvT1_, .Lfunc_end1027-_ZN7rocprim17ROCPRIM_400000_NS6detail17trampoline_kernelINS0_14default_configENS1_35adjacent_difference_config_selectorILb0ElEEZNS1_24adjacent_difference_implIS3_Lb0ELb0EPlS7_ZN2at6native12_GLOBAL__N_124unique_dim_cuda_templateIbEESt5tupleIJNS8_6TensorESD_SD_EERKSD_lbbbEUlllE1_EE10hipError_tPvRmT2_T3_mT4_P12ihipStream_tbEUlT_E_NS1_11comp_targetILNS1_3genE10ELNS1_11target_archE1201ELNS1_3gpuE5ELNS1_3repE0EEENS1_30default_config_static_selectorELNS0_4arch9wavefront6targetE1EEEvT1_
                                        ; -- End function
	.section	.AMDGPU.csdata,"",@progbits
; Kernel info:
; codeLenInByte = 0
; NumSgprs: 4
; NumVgprs: 0
; NumAgprs: 0
; TotalNumVgprs: 0
; ScratchSize: 0
; MemoryBound: 0
; FloatMode: 240
; IeeeMode: 1
; LDSByteSize: 0 bytes/workgroup (compile time only)
; SGPRBlocks: 0
; VGPRBlocks: 0
; NumSGPRsForWavesPerEU: 4
; NumVGPRsForWavesPerEU: 1
; AccumOffset: 4
; Occupancy: 8
; WaveLimiterHint : 0
; COMPUTE_PGM_RSRC2:SCRATCH_EN: 0
; COMPUTE_PGM_RSRC2:USER_SGPR: 6
; COMPUTE_PGM_RSRC2:TRAP_HANDLER: 0
; COMPUTE_PGM_RSRC2:TGID_X_EN: 1
; COMPUTE_PGM_RSRC2:TGID_Y_EN: 0
; COMPUTE_PGM_RSRC2:TGID_Z_EN: 0
; COMPUTE_PGM_RSRC2:TIDIG_COMP_CNT: 0
; COMPUTE_PGM_RSRC3_GFX90A:ACCUM_OFFSET: 0
; COMPUTE_PGM_RSRC3_GFX90A:TG_SPLIT: 0
	.section	.text._ZN7rocprim17ROCPRIM_400000_NS6detail17trampoline_kernelINS0_14default_configENS1_35adjacent_difference_config_selectorILb0ElEEZNS1_24adjacent_difference_implIS3_Lb0ELb0EPlS7_ZN2at6native12_GLOBAL__N_124unique_dim_cuda_templateIbEESt5tupleIJNS8_6TensorESD_SD_EERKSD_lbbbEUlllE1_EE10hipError_tPvRmT2_T3_mT4_P12ihipStream_tbEUlT_E_NS1_11comp_targetILNS1_3genE5ELNS1_11target_archE942ELNS1_3gpuE9ELNS1_3repE0EEENS1_30default_config_static_selectorELNS0_4arch9wavefront6targetE1EEEvT1_,"axG",@progbits,_ZN7rocprim17ROCPRIM_400000_NS6detail17trampoline_kernelINS0_14default_configENS1_35adjacent_difference_config_selectorILb0ElEEZNS1_24adjacent_difference_implIS3_Lb0ELb0EPlS7_ZN2at6native12_GLOBAL__N_124unique_dim_cuda_templateIbEESt5tupleIJNS8_6TensorESD_SD_EERKSD_lbbbEUlllE1_EE10hipError_tPvRmT2_T3_mT4_P12ihipStream_tbEUlT_E_NS1_11comp_targetILNS1_3genE5ELNS1_11target_archE942ELNS1_3gpuE9ELNS1_3repE0EEENS1_30default_config_static_selectorELNS0_4arch9wavefront6targetE1EEEvT1_,comdat
	.globl	_ZN7rocprim17ROCPRIM_400000_NS6detail17trampoline_kernelINS0_14default_configENS1_35adjacent_difference_config_selectorILb0ElEEZNS1_24adjacent_difference_implIS3_Lb0ELb0EPlS7_ZN2at6native12_GLOBAL__N_124unique_dim_cuda_templateIbEESt5tupleIJNS8_6TensorESD_SD_EERKSD_lbbbEUlllE1_EE10hipError_tPvRmT2_T3_mT4_P12ihipStream_tbEUlT_E_NS1_11comp_targetILNS1_3genE5ELNS1_11target_archE942ELNS1_3gpuE9ELNS1_3repE0EEENS1_30default_config_static_selectorELNS0_4arch9wavefront6targetE1EEEvT1_ ; -- Begin function _ZN7rocprim17ROCPRIM_400000_NS6detail17trampoline_kernelINS0_14default_configENS1_35adjacent_difference_config_selectorILb0ElEEZNS1_24adjacent_difference_implIS3_Lb0ELb0EPlS7_ZN2at6native12_GLOBAL__N_124unique_dim_cuda_templateIbEESt5tupleIJNS8_6TensorESD_SD_EERKSD_lbbbEUlllE1_EE10hipError_tPvRmT2_T3_mT4_P12ihipStream_tbEUlT_E_NS1_11comp_targetILNS1_3genE5ELNS1_11target_archE942ELNS1_3gpuE9ELNS1_3repE0EEENS1_30default_config_static_selectorELNS0_4arch9wavefront6targetE1EEEvT1_
	.p2align	8
	.type	_ZN7rocprim17ROCPRIM_400000_NS6detail17trampoline_kernelINS0_14default_configENS1_35adjacent_difference_config_selectorILb0ElEEZNS1_24adjacent_difference_implIS3_Lb0ELb0EPlS7_ZN2at6native12_GLOBAL__N_124unique_dim_cuda_templateIbEESt5tupleIJNS8_6TensorESD_SD_EERKSD_lbbbEUlllE1_EE10hipError_tPvRmT2_T3_mT4_P12ihipStream_tbEUlT_E_NS1_11comp_targetILNS1_3genE5ELNS1_11target_archE942ELNS1_3gpuE9ELNS1_3repE0EEENS1_30default_config_static_selectorELNS0_4arch9wavefront6targetE1EEEvT1_,@function
_ZN7rocprim17ROCPRIM_400000_NS6detail17trampoline_kernelINS0_14default_configENS1_35adjacent_difference_config_selectorILb0ElEEZNS1_24adjacent_difference_implIS3_Lb0ELb0EPlS7_ZN2at6native12_GLOBAL__N_124unique_dim_cuda_templateIbEESt5tupleIJNS8_6TensorESD_SD_EERKSD_lbbbEUlllE1_EE10hipError_tPvRmT2_T3_mT4_P12ihipStream_tbEUlT_E_NS1_11comp_targetILNS1_3genE5ELNS1_11target_archE942ELNS1_3gpuE9ELNS1_3repE0EEENS1_30default_config_static_selectorELNS0_4arch9wavefront6targetE1EEEvT1_: ; @_ZN7rocprim17ROCPRIM_400000_NS6detail17trampoline_kernelINS0_14default_configENS1_35adjacent_difference_config_selectorILb0ElEEZNS1_24adjacent_difference_implIS3_Lb0ELb0EPlS7_ZN2at6native12_GLOBAL__N_124unique_dim_cuda_templateIbEESt5tupleIJNS8_6TensorESD_SD_EERKSD_lbbbEUlllE1_EE10hipError_tPvRmT2_T3_mT4_P12ihipStream_tbEUlT_E_NS1_11comp_targetILNS1_3genE5ELNS1_11target_archE942ELNS1_3gpuE9ELNS1_3repE0EEENS1_30default_config_static_selectorELNS0_4arch9wavefront6targetE1EEEvT1_
; %bb.0:
	.section	.rodata,"a",@progbits
	.p2align	6, 0x0
	.amdhsa_kernel _ZN7rocprim17ROCPRIM_400000_NS6detail17trampoline_kernelINS0_14default_configENS1_35adjacent_difference_config_selectorILb0ElEEZNS1_24adjacent_difference_implIS3_Lb0ELb0EPlS7_ZN2at6native12_GLOBAL__N_124unique_dim_cuda_templateIbEESt5tupleIJNS8_6TensorESD_SD_EERKSD_lbbbEUlllE1_EE10hipError_tPvRmT2_T3_mT4_P12ihipStream_tbEUlT_E_NS1_11comp_targetILNS1_3genE5ELNS1_11target_archE942ELNS1_3gpuE9ELNS1_3repE0EEENS1_30default_config_static_selectorELNS0_4arch9wavefront6targetE1EEEvT1_
		.amdhsa_group_segment_fixed_size 0
		.amdhsa_private_segment_fixed_size 0
		.amdhsa_kernarg_size 64
		.amdhsa_user_sgpr_count 6
		.amdhsa_user_sgpr_private_segment_buffer 1
		.amdhsa_user_sgpr_dispatch_ptr 0
		.amdhsa_user_sgpr_queue_ptr 0
		.amdhsa_user_sgpr_kernarg_segment_ptr 1
		.amdhsa_user_sgpr_dispatch_id 0
		.amdhsa_user_sgpr_flat_scratch_init 0
		.amdhsa_user_sgpr_kernarg_preload_length 0
		.amdhsa_user_sgpr_kernarg_preload_offset 0
		.amdhsa_user_sgpr_private_segment_size 0
		.amdhsa_uses_dynamic_stack 0
		.amdhsa_system_sgpr_private_segment_wavefront_offset 0
		.amdhsa_system_sgpr_workgroup_id_x 1
		.amdhsa_system_sgpr_workgroup_id_y 0
		.amdhsa_system_sgpr_workgroup_id_z 0
		.amdhsa_system_sgpr_workgroup_info 0
		.amdhsa_system_vgpr_workitem_id 0
		.amdhsa_next_free_vgpr 1
		.amdhsa_next_free_sgpr 0
		.amdhsa_accum_offset 4
		.amdhsa_reserve_vcc 0
		.amdhsa_reserve_flat_scratch 0
		.amdhsa_float_round_mode_32 0
		.amdhsa_float_round_mode_16_64 0
		.amdhsa_float_denorm_mode_32 3
		.amdhsa_float_denorm_mode_16_64 3
		.amdhsa_dx10_clamp 1
		.amdhsa_ieee_mode 1
		.amdhsa_fp16_overflow 0
		.amdhsa_tg_split 0
		.amdhsa_exception_fp_ieee_invalid_op 0
		.amdhsa_exception_fp_denorm_src 0
		.amdhsa_exception_fp_ieee_div_zero 0
		.amdhsa_exception_fp_ieee_overflow 0
		.amdhsa_exception_fp_ieee_underflow 0
		.amdhsa_exception_fp_ieee_inexact 0
		.amdhsa_exception_int_div_zero 0
	.end_amdhsa_kernel
	.section	.text._ZN7rocprim17ROCPRIM_400000_NS6detail17trampoline_kernelINS0_14default_configENS1_35adjacent_difference_config_selectorILb0ElEEZNS1_24adjacent_difference_implIS3_Lb0ELb0EPlS7_ZN2at6native12_GLOBAL__N_124unique_dim_cuda_templateIbEESt5tupleIJNS8_6TensorESD_SD_EERKSD_lbbbEUlllE1_EE10hipError_tPvRmT2_T3_mT4_P12ihipStream_tbEUlT_E_NS1_11comp_targetILNS1_3genE5ELNS1_11target_archE942ELNS1_3gpuE9ELNS1_3repE0EEENS1_30default_config_static_selectorELNS0_4arch9wavefront6targetE1EEEvT1_,"axG",@progbits,_ZN7rocprim17ROCPRIM_400000_NS6detail17trampoline_kernelINS0_14default_configENS1_35adjacent_difference_config_selectorILb0ElEEZNS1_24adjacent_difference_implIS3_Lb0ELb0EPlS7_ZN2at6native12_GLOBAL__N_124unique_dim_cuda_templateIbEESt5tupleIJNS8_6TensorESD_SD_EERKSD_lbbbEUlllE1_EE10hipError_tPvRmT2_T3_mT4_P12ihipStream_tbEUlT_E_NS1_11comp_targetILNS1_3genE5ELNS1_11target_archE942ELNS1_3gpuE9ELNS1_3repE0EEENS1_30default_config_static_selectorELNS0_4arch9wavefront6targetE1EEEvT1_,comdat
.Lfunc_end1028:
	.size	_ZN7rocprim17ROCPRIM_400000_NS6detail17trampoline_kernelINS0_14default_configENS1_35adjacent_difference_config_selectorILb0ElEEZNS1_24adjacent_difference_implIS3_Lb0ELb0EPlS7_ZN2at6native12_GLOBAL__N_124unique_dim_cuda_templateIbEESt5tupleIJNS8_6TensorESD_SD_EERKSD_lbbbEUlllE1_EE10hipError_tPvRmT2_T3_mT4_P12ihipStream_tbEUlT_E_NS1_11comp_targetILNS1_3genE5ELNS1_11target_archE942ELNS1_3gpuE9ELNS1_3repE0EEENS1_30default_config_static_selectorELNS0_4arch9wavefront6targetE1EEEvT1_, .Lfunc_end1028-_ZN7rocprim17ROCPRIM_400000_NS6detail17trampoline_kernelINS0_14default_configENS1_35adjacent_difference_config_selectorILb0ElEEZNS1_24adjacent_difference_implIS3_Lb0ELb0EPlS7_ZN2at6native12_GLOBAL__N_124unique_dim_cuda_templateIbEESt5tupleIJNS8_6TensorESD_SD_EERKSD_lbbbEUlllE1_EE10hipError_tPvRmT2_T3_mT4_P12ihipStream_tbEUlT_E_NS1_11comp_targetILNS1_3genE5ELNS1_11target_archE942ELNS1_3gpuE9ELNS1_3repE0EEENS1_30default_config_static_selectorELNS0_4arch9wavefront6targetE1EEEvT1_
                                        ; -- End function
	.section	.AMDGPU.csdata,"",@progbits
; Kernel info:
; codeLenInByte = 0
; NumSgprs: 4
; NumVgprs: 0
; NumAgprs: 0
; TotalNumVgprs: 0
; ScratchSize: 0
; MemoryBound: 0
; FloatMode: 240
; IeeeMode: 1
; LDSByteSize: 0 bytes/workgroup (compile time only)
; SGPRBlocks: 0
; VGPRBlocks: 0
; NumSGPRsForWavesPerEU: 4
; NumVGPRsForWavesPerEU: 1
; AccumOffset: 4
; Occupancy: 8
; WaveLimiterHint : 0
; COMPUTE_PGM_RSRC2:SCRATCH_EN: 0
; COMPUTE_PGM_RSRC2:USER_SGPR: 6
; COMPUTE_PGM_RSRC2:TRAP_HANDLER: 0
; COMPUTE_PGM_RSRC2:TGID_X_EN: 1
; COMPUTE_PGM_RSRC2:TGID_Y_EN: 0
; COMPUTE_PGM_RSRC2:TGID_Z_EN: 0
; COMPUTE_PGM_RSRC2:TIDIG_COMP_CNT: 0
; COMPUTE_PGM_RSRC3_GFX90A:ACCUM_OFFSET: 0
; COMPUTE_PGM_RSRC3_GFX90A:TG_SPLIT: 0
	.section	.text._ZN7rocprim17ROCPRIM_400000_NS6detail17trampoline_kernelINS0_14default_configENS1_35adjacent_difference_config_selectorILb0ElEEZNS1_24adjacent_difference_implIS3_Lb0ELb0EPlS7_ZN2at6native12_GLOBAL__N_124unique_dim_cuda_templateIbEESt5tupleIJNS8_6TensorESD_SD_EERKSD_lbbbEUlllE1_EE10hipError_tPvRmT2_T3_mT4_P12ihipStream_tbEUlT_E_NS1_11comp_targetILNS1_3genE4ELNS1_11target_archE910ELNS1_3gpuE8ELNS1_3repE0EEENS1_30default_config_static_selectorELNS0_4arch9wavefront6targetE1EEEvT1_,"axG",@progbits,_ZN7rocprim17ROCPRIM_400000_NS6detail17trampoline_kernelINS0_14default_configENS1_35adjacent_difference_config_selectorILb0ElEEZNS1_24adjacent_difference_implIS3_Lb0ELb0EPlS7_ZN2at6native12_GLOBAL__N_124unique_dim_cuda_templateIbEESt5tupleIJNS8_6TensorESD_SD_EERKSD_lbbbEUlllE1_EE10hipError_tPvRmT2_T3_mT4_P12ihipStream_tbEUlT_E_NS1_11comp_targetILNS1_3genE4ELNS1_11target_archE910ELNS1_3gpuE8ELNS1_3repE0EEENS1_30default_config_static_selectorELNS0_4arch9wavefront6targetE1EEEvT1_,comdat
	.globl	_ZN7rocprim17ROCPRIM_400000_NS6detail17trampoline_kernelINS0_14default_configENS1_35adjacent_difference_config_selectorILb0ElEEZNS1_24adjacent_difference_implIS3_Lb0ELb0EPlS7_ZN2at6native12_GLOBAL__N_124unique_dim_cuda_templateIbEESt5tupleIJNS8_6TensorESD_SD_EERKSD_lbbbEUlllE1_EE10hipError_tPvRmT2_T3_mT4_P12ihipStream_tbEUlT_E_NS1_11comp_targetILNS1_3genE4ELNS1_11target_archE910ELNS1_3gpuE8ELNS1_3repE0EEENS1_30default_config_static_selectorELNS0_4arch9wavefront6targetE1EEEvT1_ ; -- Begin function _ZN7rocprim17ROCPRIM_400000_NS6detail17trampoline_kernelINS0_14default_configENS1_35adjacent_difference_config_selectorILb0ElEEZNS1_24adjacent_difference_implIS3_Lb0ELb0EPlS7_ZN2at6native12_GLOBAL__N_124unique_dim_cuda_templateIbEESt5tupleIJNS8_6TensorESD_SD_EERKSD_lbbbEUlllE1_EE10hipError_tPvRmT2_T3_mT4_P12ihipStream_tbEUlT_E_NS1_11comp_targetILNS1_3genE4ELNS1_11target_archE910ELNS1_3gpuE8ELNS1_3repE0EEENS1_30default_config_static_selectorELNS0_4arch9wavefront6targetE1EEEvT1_
	.p2align	8
	.type	_ZN7rocprim17ROCPRIM_400000_NS6detail17trampoline_kernelINS0_14default_configENS1_35adjacent_difference_config_selectorILb0ElEEZNS1_24adjacent_difference_implIS3_Lb0ELb0EPlS7_ZN2at6native12_GLOBAL__N_124unique_dim_cuda_templateIbEESt5tupleIJNS8_6TensorESD_SD_EERKSD_lbbbEUlllE1_EE10hipError_tPvRmT2_T3_mT4_P12ihipStream_tbEUlT_E_NS1_11comp_targetILNS1_3genE4ELNS1_11target_archE910ELNS1_3gpuE8ELNS1_3repE0EEENS1_30default_config_static_selectorELNS0_4arch9wavefront6targetE1EEEvT1_,@function
_ZN7rocprim17ROCPRIM_400000_NS6detail17trampoline_kernelINS0_14default_configENS1_35adjacent_difference_config_selectorILb0ElEEZNS1_24adjacent_difference_implIS3_Lb0ELb0EPlS7_ZN2at6native12_GLOBAL__N_124unique_dim_cuda_templateIbEESt5tupleIJNS8_6TensorESD_SD_EERKSD_lbbbEUlllE1_EE10hipError_tPvRmT2_T3_mT4_P12ihipStream_tbEUlT_E_NS1_11comp_targetILNS1_3genE4ELNS1_11target_archE910ELNS1_3gpuE8ELNS1_3repE0EEENS1_30default_config_static_selectorELNS0_4arch9wavefront6targetE1EEEvT1_: ; @_ZN7rocprim17ROCPRIM_400000_NS6detail17trampoline_kernelINS0_14default_configENS1_35adjacent_difference_config_selectorILb0ElEEZNS1_24adjacent_difference_implIS3_Lb0ELb0EPlS7_ZN2at6native12_GLOBAL__N_124unique_dim_cuda_templateIbEESt5tupleIJNS8_6TensorESD_SD_EERKSD_lbbbEUlllE1_EE10hipError_tPvRmT2_T3_mT4_P12ihipStream_tbEUlT_E_NS1_11comp_targetILNS1_3genE4ELNS1_11target_archE910ELNS1_3gpuE8ELNS1_3repE0EEENS1_30default_config_static_selectorELNS0_4arch9wavefront6targetE1EEEvT1_
; %bb.0:
	s_load_dwordx8 s[8:15], s[4:5], 0x0
	s_load_dwordx4 s[16:19], s[4:5], 0x20
	s_load_dwordx2 s[0:1], s[4:5], 0x38
	s_mov_b32 s5, 0
	s_waitcnt lgkmcnt(0)
	s_lshl_b64 s[10:11], s[10:11], 3
	s_add_u32 s24, s8, s10
	s_addc_u32 s25, s9, s11
	s_lshl_b32 s4, s6, 9
	s_lshr_b64 s[2:3], s[14:15], 9
	s_and_b32 s8, s14, 0x1ff
	s_mov_b32 s9, s5
	s_cmp_lg_u64 s[8:9], 0
	s_cselect_b64 s[8:9], -1, 0
	v_cndmask_b32_e64 v1, 0, 1, s[8:9]
	v_readfirstlane_b32 s7, v1
	s_add_u32 s20, s2, s7
	s_addc_u32 s21, s3, 0
	s_add_u32 s22, s0, s6
	s_addc_u32 s23, s1, 0
	s_add_u32 s6, s20, -1
	s_addc_u32 s7, s21, -1
	v_pk_mov_b32 v[2:3], s[6:7], s[6:7] op_sel:[0,1]
	v_cmp_ge_u64_e64 s[0:1], s[22:23], v[2:3]
	s_mov_b64 s[2:3], -1
	s_and_b64 vcc, exec, s[0:1]
	s_cbranch_vccz .LBB1029_6
; %bb.1:
	s_lshl_b32 s2, s6, 9
	s_sub_i32 s15, s14, s2
	s_lshl_b64 s[2:3], s[4:5], 3
	s_add_u32 s2, s24, s2
	s_addc_u32 s3, s25, s3
	v_cmp_gt_u32_e32 vcc, s15, v0
                                        ; implicit-def: $vgpr2_vgpr3_vgpr4_vgpr5
	s_and_saveexec_b64 s[8:9], vcc
	s_cbranch_execz .LBB1029_3
; %bb.2:
	v_lshlrev_b32_e32 v1, 3, v0
	global_load_dwordx2 v[2:3], v1, s[2:3]
.LBB1029_3:
	s_or_b64 exec, exec, s[8:9]
	v_or_b32_e32 v1, 0x100, v0
	v_cmp_gt_u32_e32 vcc, s15, v1
	s_and_saveexec_b64 s[8:9], vcc
	s_cbranch_execz .LBB1029_5
; %bb.4:
	v_lshlrev_b32_e32 v4, 3, v0
	global_load_dwordx2 v[4:5], v4, s[2:3] offset:2048
.LBB1029_5:
	s_or_b64 exec, exec, s[8:9]
	v_lshrrev_b32_e32 v6, 2, v0
	v_lshrrev_b32_e32 v1, 2, v1
	v_and_b32_e32 v6, 56, v6
	v_lshlrev_b32_e32 v7, 3, v0
	v_and_b32_e32 v1, 0x78, v1
	v_add_u32_e32 v6, v6, v7
	v_add_u32_e32 v1, v1, v7
	s_mov_b64 s[2:3], 0
	s_waitcnt vmcnt(0)
	ds_write_b64 v6, v[2:3]
	ds_write_b64 v1, v[4:5] offset:2048
	s_waitcnt lgkmcnt(0)
	s_barrier
.LBB1029_6:
	s_and_b64 vcc, exec, s[2:3]
	v_lshlrev_b32_e32 v1, 3, v0
	s_cbranch_vccz .LBB1029_8
; %bb.7:
	s_lshl_b64 s[2:3], s[4:5], 3
	s_add_u32 s2, s24, s2
	s_addc_u32 s3, s25, s3
	global_load_dwordx2 v[2:3], v1, s[2:3]
	global_load_dwordx2 v[4:5], v1, s[2:3] offset:2048
	v_lshrrev_b32_e32 v6, 2, v0
	v_or_b32_e32 v7, 0x100, v0
	v_and_b32_e32 v6, 56, v6
	v_lshrrev_b32_e32 v7, 2, v7
	v_add_u32_e32 v6, v6, v1
	v_and_b32_e32 v7, 0x78, v7
	v_add_u32_e32 v7, v7, v1
	s_waitcnt vmcnt(1)
	ds_write_b64 v6, v[2:3]
	s_waitcnt vmcnt(0)
	ds_write_b64 v7, v[4:5] offset:2048
	s_waitcnt lgkmcnt(0)
	s_barrier
.LBB1029_8:
	v_lshlrev_b32_e32 v2, 1, v0
	v_lshrrev_b32_e32 v3, 4, v0
	v_add_lshl_u32 v2, v3, v2, 3
	ds_read2_b64 v[2:5], v2 offset1:1
	s_cmp_eq_u64 s[22:23], 0
	s_mov_b64 s[8:9], 0
	s_waitcnt lgkmcnt(0)
	s_barrier
	s_cbranch_scc1 .LBB1029_17
; %bb.9:
	s_lshl_b64 s[2:3], s[4:5], 3
	s_add_u32 s2, s24, s2
	s_addc_u32 s3, s25, s3
	s_add_u32 s2, s2, -8
	s_addc_u32 s3, s3, -1
	s_load_dwordx2 s[24:25], s[2:3], 0x0
	s_cmp_lg_u64 s[22:23], s[6:7]
	s_cbranch_scc0 .LBB1029_18
; %bb.10:
	v_cmp_lt_i64_e64 s[2:3], s[16:17], 1
	v_pk_mov_b32 v[8:9], 0, 0
	v_cmp_gt_i64_e64 s[8:9], s[16:17], 0
	s_and_b64 vcc, exec, s[2:3]
	ds_write_b64 v1, v[4:5]
	s_cbranch_vccnz .LBB1029_21
; %bb.11:
	v_pk_mov_b32 v[8:9], s[18:19], s[18:19] op_sel:[0,1]
	v_mad_u64_u32 v[6:7], s[2:3], v4, s16, v[8:9]
	v_mul_lo_u32 v10, v4, s17
	v_mul_lo_u32 v11, v5, s16
	v_add3_u32 v7, v11, v7, v10
	v_mad_u64_u32 v[10:11], s[2:3], v2, s16, v[8:9]
	v_mul_lo_u32 v8, v2, s17
	v_mul_lo_u32 v9, v3, s16
	v_add3_u32 v11, v9, v11, v8
	global_load_ubyte v8, v[6:7], off
	global_load_ubyte v9, v[10:11], off
	s_waitcnt vmcnt(1)
	v_cmp_ne_u16_e32 vcc, 0, v8
	s_waitcnt vmcnt(0)
	v_cmp_ne_u16_e64 s[2:3], 0, v9
	s_xor_b64 s[2:3], vcc, s[2:3]
	v_mov_b32_e32 v8, 1
	s_xor_b64 s[2:3], s[2:3], -1
	v_mov_b32_e32 v9, 0
	s_and_saveexec_b64 s[26:27], s[2:3]
	s_cbranch_execz .LBB1029_20
; %bb.12:
	s_mov_b64 s[34:35], 1
	s_mov_b64 s[28:29], 0
                                        ; implicit-def: $sgpr30_sgpr31
	s_branch .LBB1029_15
.LBB1029_13:                            ;   in Loop: Header=BB1029_15 Depth=1
	v_mov_b32_e32 v13, s35
	v_add_co_u32_e32 v8, vcc, s34, v6
	v_addc_co_u32_e32 v9, vcc, v7, v13, vcc
	v_add_co_u32_e32 v12, vcc, s34, v10
	v_addc_co_u32_e32 v13, vcc, v11, v13, vcc
	global_load_ubyte v14, v[8:9], off
	global_load_ubyte v15, v[12:13], off
	s_waitcnt vmcnt(1)
	v_cmp_ne_u16_e32 vcc, 0, v14
	s_waitcnt vmcnt(0)
	v_cmp_ne_u16_e64 s[2:3], 0, v15
	s_xor_b64 s[36:37], vcc, s[2:3]
	s_add_u32 s2, s34, 1
	s_addc_u32 s3, s35, 0
	s_andn2_b64 s[30:31], s[30:31], exec
	s_and_b64 s[36:37], s[36:37], exec
	s_or_b64 s[30:31], s[30:31], s[36:37]
.LBB1029_14:                            ;   in Loop: Header=BB1029_15 Depth=1
	s_and_b64 s[36:37], exec, s[30:31]
	s_or_b64 s[28:29], s[36:37], s[28:29]
	v_pk_mov_b32 v[8:9], s[34:35], s[34:35] op_sel:[0,1]
	s_mov_b64 s[34:35], s[2:3]
	s_andn2_b64 exec, exec, s[28:29]
	s_cbranch_execz .LBB1029_19
.LBB1029_15:                            ; =>This Inner Loop Header: Depth=1
	s_or_b64 s[30:31], s[30:31], exec
	s_cmp_eq_u64 s[16:17], s[34:35]
	s_cbranch_scc0 .LBB1029_13
; %bb.16:                               ;   in Loop: Header=BB1029_15 Depth=1
                                        ; implicit-def: $sgpr2_sgpr3
	s_mov_b64 s[34:35], s[16:17]
	s_branch .LBB1029_14
.LBB1029_17:
                                        ; implicit-def: $sgpr2_sgpr3
                                        ; implicit-def: $vgpr8_vgpr9
	s_cbranch_execnz .LBB1029_60
	s_branch .LBB1029_108
.LBB1029_18:
                                        ; implicit-def: $sgpr2_sgpr3
                                        ; implicit-def: $vgpr8_vgpr9
	s_cbranch_execnz .LBB1029_33
	s_branch .LBB1029_59
.LBB1029_19:
	s_or_b64 exec, exec, s[28:29]
	v_cmp_gt_i64_e32 vcc, s[16:17], v[8:9]
	s_mov_b32 s2, 0
	v_cndmask_b32_e64 v8, 0, 1, vcc
	v_mov_b32_e32 v9, s2
.LBB1029_20:
	s_or_b64 exec, exec, s[26:27]
.LBB1029_21:
	v_cmp_ne_u32_e32 vcc, 0, v0
	s_waitcnt lgkmcnt(0)
	v_pk_mov_b32 v[12:13], s[24:25], s[24:25] op_sel:[0,1]
	s_barrier
	s_and_saveexec_b64 s[2:3], vcc
	s_cbranch_execz .LBB1029_23
; %bb.22:
	v_add_u32_e32 v6, -8, v1
	ds_read_b64 v[12:13], v6
.LBB1029_23:
	s_or_b64 exec, exec, s[2:3]
	s_mov_b64 s[26:27], 0
	s_andn2_b64 vcc, exec, s[8:9]
	s_mov_b64 s[2:3], 0
	s_cbranch_vccnz .LBB1029_32
; %bb.24:
	v_pk_mov_b32 v[10:11], s[18:19], s[18:19] op_sel:[0,1]
	v_mad_u64_u32 v[6:7], s[2:3], v2, s16, v[10:11]
	v_mul_lo_u32 v14, v2, s17
	v_mul_lo_u32 v15, v3, s16
	v_add3_u32 v7, v15, v7, v14
	s_waitcnt lgkmcnt(0)
	v_mad_u64_u32 v[10:11], s[2:3], v12, s16, v[10:11]
	v_mul_lo_u32 v12, v12, s17
	v_mul_lo_u32 v13, v13, s16
	v_add3_u32 v11, v13, v11, v12
	global_load_ubyte v12, v[6:7], off
	global_load_ubyte v13, v[10:11], off
	s_waitcnt vmcnt(1)
	v_cmp_ne_u16_e32 vcc, 0, v12
	s_waitcnt vmcnt(0)
	v_cmp_ne_u16_e64 s[2:3], 0, v13
	s_xor_b64 s[8:9], vcc, s[2:3]
	s_mov_b64 s[2:3], -1
	s_xor_b64 s[28:29], s[8:9], -1
	s_and_saveexec_b64 s[8:9], s[28:29]
	s_cbranch_execz .LBB1029_31
; %bb.25:
	s_mov_b64 s[34:35], 1
	s_mov_b64 s[28:29], 0
                                        ; implicit-def: $sgpr30_sgpr31
	s_branch .LBB1029_28
.LBB1029_26:                            ;   in Loop: Header=BB1029_28 Depth=1
	v_mov_b32_e32 v15, s35
	v_add_co_u32_e32 v12, vcc, s34, v6
	v_addc_co_u32_e32 v13, vcc, v7, v15, vcc
	v_add_co_u32_e32 v14, vcc, s34, v10
	v_addc_co_u32_e32 v15, vcc, v11, v15, vcc
	global_load_ubyte v16, v[12:13], off
	global_load_ubyte v17, v[14:15], off
	s_waitcnt vmcnt(1)
	v_cmp_ne_u16_e32 vcc, 0, v16
	s_waitcnt vmcnt(0)
	v_cmp_ne_u16_e64 s[2:3], 0, v17
	s_xor_b64 s[36:37], vcc, s[2:3]
	s_add_u32 s2, s34, 1
	s_addc_u32 s3, s35, 0
	s_andn2_b64 s[30:31], s[30:31], exec
	s_and_b64 s[36:37], s[36:37], exec
	s_or_b64 s[30:31], s[30:31], s[36:37]
.LBB1029_27:                            ;   in Loop: Header=BB1029_28 Depth=1
	s_and_b64 s[36:37], exec, s[30:31]
	s_or_b64 s[28:29], s[36:37], s[28:29]
	v_pk_mov_b32 v[12:13], s[34:35], s[34:35] op_sel:[0,1]
	s_mov_b64 s[34:35], s[2:3]
	s_andn2_b64 exec, exec, s[28:29]
	s_cbranch_execz .LBB1029_30
.LBB1029_28:                            ; =>This Inner Loop Header: Depth=1
	s_or_b64 s[30:31], s[30:31], exec
	s_cmp_eq_u64 s[16:17], s[34:35]
	s_cbranch_scc0 .LBB1029_26
; %bb.29:                               ;   in Loop: Header=BB1029_28 Depth=1
                                        ; implicit-def: $sgpr2_sgpr3
	s_mov_b64 s[34:35], s[16:17]
	s_branch .LBB1029_27
.LBB1029_30:
	s_or_b64 exec, exec, s[28:29]
	v_cmp_gt_i64_e32 vcc, s[16:17], v[12:13]
	s_orn2_b64 s[2:3], vcc, exec
.LBB1029_31:
	s_or_b64 exec, exec, s[8:9]
.LBB1029_32:
	s_mov_b64 s[8:9], -1
	s_and_b64 vcc, exec, s[26:27]
	s_cbranch_vccz .LBB1029_59
.LBB1029_33:
	s_lshl_b32 s2, s22, 9
	v_lshlrev_b32_e32 v14, 1, v0
	s_sub_i32 s5, s14, s2
	v_or_b32_e32 v6, 1, v14
	v_cmp_gt_u32_e32 vcc, s5, v6
	v_pk_mov_b32 v[8:9], v[4:5], v[4:5] op_sel:[0,1]
	ds_write_b64 v1, v[4:5]
	v_pk_mov_b32 v[6:7], v[2:3], v[2:3] op_sel:[0,1]
	s_and_saveexec_b64 s[22:23], vcc
	s_cbranch_execz .LBB1029_44
; %bb.34:
	v_cmp_lt_i64_e64 s[2:3], s[16:17], 1
	s_and_b64 vcc, exec, s[2:3]
	s_cbranch_vccnz .LBB1029_41
; %bb.35:
	v_pk_mov_b32 v[8:9], s[18:19], s[18:19] op_sel:[0,1]
	v_mad_u64_u32 v[6:7], s[2:3], v4, s16, v[8:9]
	v_mul_lo_u32 v10, v4, s17
	v_mul_lo_u32 v11, v5, s16
	v_add3_u32 v7, v11, v7, v10
	v_mad_u64_u32 v[10:11], s[2:3], v2, s16, v[8:9]
	v_mul_lo_u32 v8, v2, s17
	v_mul_lo_u32 v9, v3, s16
	v_add3_u32 v11, v9, v11, v8
	global_load_ubyte v8, v[6:7], off
	global_load_ubyte v9, v[10:11], off
	s_waitcnt vmcnt(1)
	v_cmp_ne_u16_e32 vcc, 0, v8
	s_waitcnt vmcnt(0)
	v_cmp_ne_u16_e64 s[2:3], 0, v9
	s_xor_b64 s[2:3], vcc, s[2:3]
	v_mov_b32_e32 v8, 1
	s_xor_b64 s[2:3], s[2:3], -1
	v_mov_b32_e32 v9, 0
	s_and_saveexec_b64 s[26:27], s[2:3]
	s_cbranch_execz .LBB1029_43
; %bb.36:
	s_mov_b64 s[34:35], 1
	s_mov_b64 s[28:29], 0
                                        ; implicit-def: $sgpr30_sgpr31
	s_branch .LBB1029_39
.LBB1029_37:                            ;   in Loop: Header=BB1029_39 Depth=1
	s_waitcnt lgkmcnt(0)
	v_mov_b32_e32 v13, s35
	v_add_co_u32_e32 v8, vcc, s34, v6
	v_addc_co_u32_e32 v9, vcc, v7, v13, vcc
	v_add_co_u32_e32 v12, vcc, s34, v10
	v_addc_co_u32_e32 v13, vcc, v11, v13, vcc
	global_load_ubyte v15, v[8:9], off
	global_load_ubyte v16, v[12:13], off
	s_waitcnt vmcnt(1)
	v_cmp_ne_u16_e32 vcc, 0, v15
	s_waitcnt vmcnt(0)
	v_cmp_ne_u16_e64 s[2:3], 0, v16
	s_xor_b64 s[36:37], vcc, s[2:3]
	s_add_u32 s2, s34, 1
	s_addc_u32 s3, s35, 0
	s_andn2_b64 s[30:31], s[30:31], exec
	s_and_b64 s[36:37], s[36:37], exec
	s_or_b64 s[30:31], s[30:31], s[36:37]
.LBB1029_38:                            ;   in Loop: Header=BB1029_39 Depth=1
	s_and_b64 s[36:37], exec, s[30:31]
	s_or_b64 s[28:29], s[36:37], s[28:29]
	v_pk_mov_b32 v[8:9], s[34:35], s[34:35] op_sel:[0,1]
	s_mov_b64 s[34:35], s[2:3]
	s_andn2_b64 exec, exec, s[28:29]
	s_cbranch_execz .LBB1029_42
.LBB1029_39:                            ; =>This Inner Loop Header: Depth=1
	s_or_b64 s[30:31], s[30:31], exec
	s_cmp_eq_u64 s[16:17], s[34:35]
	s_cbranch_scc0 .LBB1029_37
; %bb.40:                               ;   in Loop: Header=BB1029_39 Depth=1
                                        ; implicit-def: $sgpr2_sgpr3
	s_mov_b64 s[34:35], s[16:17]
	s_branch .LBB1029_38
.LBB1029_41:
	v_pk_mov_b32 v[8:9], 0, 0
	s_branch .LBB1029_44
.LBB1029_42:
	s_or_b64 exec, exec, s[28:29]
	v_cmp_gt_i64_e32 vcc, s[16:17], v[8:9]
	s_mov_b32 s2, 0
	v_cndmask_b32_e64 v8, 0, 1, vcc
	v_mov_b32_e32 v9, s2
.LBB1029_43:
	s_or_b64 exec, exec, s[26:27]
.LBB1029_44:
	s_or_b64 exec, exec, s[22:23]
	v_cmp_ne_u32_e32 vcc, 0, v0
	s_waitcnt lgkmcnt(0)
	v_pk_mov_b32 v[12:13], s[24:25], s[24:25] op_sel:[0,1]
	s_barrier
	s_and_saveexec_b64 s[2:3], vcc
	s_cbranch_execz .LBB1029_46
; %bb.45:
	v_add_u32_e32 v6, -8, v1
	ds_read_b64 v[12:13], v6
.LBB1029_46:
	s_or_b64 exec, exec, s[2:3]
	v_cmp_gt_u32_e32 vcc, s5, v14
                                        ; implicit-def: $sgpr2_sgpr3
	s_and_saveexec_b64 s[22:23], vcc
	s_cbranch_execz .LBB1029_58
; %bb.47:
	v_cmp_lt_i64_e64 s[2:3], s[16:17], 1
	s_and_b64 vcc, exec, s[2:3]
	s_cbranch_vccnz .LBB1029_54
; %bb.48:
	v_pk_mov_b32 v[10:11], s[18:19], s[18:19] op_sel:[0,1]
	v_mad_u64_u32 v[6:7], s[2:3], v2, s16, v[10:11]
	v_mul_lo_u32 v14, v2, s17
	v_mul_lo_u32 v15, v3, s16
	v_add3_u32 v7, v15, v7, v14
	s_waitcnt lgkmcnt(0)
	v_mad_u64_u32 v[10:11], s[2:3], v12, s16, v[10:11]
	v_mul_lo_u32 v12, v12, s17
	v_mul_lo_u32 v13, v13, s16
	v_add3_u32 v11, v13, v11, v12
	global_load_ubyte v12, v[6:7], off
	global_load_ubyte v13, v[10:11], off
	s_waitcnt vmcnt(1)
	v_cmp_ne_u16_e32 vcc, 0, v12
	s_waitcnt vmcnt(0)
	v_cmp_ne_u16_e64 s[2:3], 0, v13
	s_xor_b64 s[24:25], vcc, s[2:3]
	s_mov_b64 s[2:3], -1
	s_xor_b64 s[26:27], s[24:25], -1
	s_and_saveexec_b64 s[24:25], s[26:27]
	s_cbranch_execz .LBB1029_56
; %bb.49:
	s_mov_b64 s[30:31], 1
	s_mov_b64 s[26:27], 0
                                        ; implicit-def: $sgpr28_sgpr29
	s_branch .LBB1029_52
.LBB1029_50:                            ;   in Loop: Header=BB1029_52 Depth=1
	v_mov_b32_e32 v15, s31
	v_add_co_u32_e32 v12, vcc, s30, v6
	v_addc_co_u32_e32 v13, vcc, v7, v15, vcc
	v_add_co_u32_e32 v14, vcc, s30, v10
	v_addc_co_u32_e32 v15, vcc, v11, v15, vcc
	global_load_ubyte v16, v[12:13], off
	global_load_ubyte v17, v[14:15], off
	s_waitcnt vmcnt(1)
	v_cmp_ne_u16_e32 vcc, 0, v16
	s_waitcnt vmcnt(0)
	v_cmp_ne_u16_e64 s[2:3], 0, v17
	s_xor_b64 s[34:35], vcc, s[2:3]
	s_add_u32 s2, s30, 1
	s_addc_u32 s3, s31, 0
	s_andn2_b64 s[28:29], s[28:29], exec
	s_and_b64 s[34:35], s[34:35], exec
	s_or_b64 s[28:29], s[28:29], s[34:35]
.LBB1029_51:                            ;   in Loop: Header=BB1029_52 Depth=1
	s_and_b64 s[34:35], exec, s[28:29]
	s_or_b64 s[26:27], s[34:35], s[26:27]
	v_pk_mov_b32 v[12:13], s[30:31], s[30:31] op_sel:[0,1]
	s_mov_b64 s[30:31], s[2:3]
	s_andn2_b64 exec, exec, s[26:27]
	s_cbranch_execz .LBB1029_55
.LBB1029_52:                            ; =>This Inner Loop Header: Depth=1
	s_or_b64 s[28:29], s[28:29], exec
	s_cmp_eq_u64 s[16:17], s[30:31]
	s_cbranch_scc0 .LBB1029_50
; %bb.53:                               ;   in Loop: Header=BB1029_52 Depth=1
                                        ; implicit-def: $sgpr2_sgpr3
	s_mov_b64 s[30:31], s[16:17]
	s_branch .LBB1029_51
.LBB1029_54:
	s_mov_b64 s[2:3], 0
	s_branch .LBB1029_57
.LBB1029_55:
	s_or_b64 exec, exec, s[26:27]
	v_cmp_gt_i64_e32 vcc, s[16:17], v[12:13]
	s_orn2_b64 s[2:3], vcc, exec
.LBB1029_56:
	s_or_b64 exec, exec, s[24:25]
.LBB1029_57:
	s_and_b64 s[2:3], s[2:3], exec
	s_or_b64 s[8:9], s[8:9], exec
.LBB1029_58:
	s_or_b64 exec, exec, s[22:23]
.LBB1029_59:
	s_branch .LBB1029_108
.LBB1029_60:
	s_cmp_lg_u64 s[20:21], 1
	s_cbranch_scc0 .LBB1029_68
; %bb.61:
	v_cmp_lt_i64_e64 s[2:3], s[16:17], 1
	v_pk_mov_b32 v[8:9], 0, 0
	v_cmp_gt_i64_e64 s[20:21], s[16:17], 0
	s_and_b64 vcc, exec, s[2:3]
	ds_write_b64 v1, v[4:5]
	s_cbranch_vccnz .LBB1029_71
; %bb.62:
	v_pk_mov_b32 v[8:9], s[18:19], s[18:19] op_sel:[0,1]
	v_mad_u64_u32 v[6:7], s[2:3], v4, s16, v[8:9]
	v_mul_lo_u32 v10, v4, s17
	v_mul_lo_u32 v11, v5, s16
	v_add3_u32 v7, v11, v7, v10
	v_mad_u64_u32 v[10:11], s[2:3], v2, s16, v[8:9]
	v_mul_lo_u32 v8, v2, s17
	v_mul_lo_u32 v9, v3, s16
	v_add3_u32 v11, v9, v11, v8
	global_load_ubyte v8, v[6:7], off
	global_load_ubyte v9, v[10:11], off
	s_waitcnt vmcnt(1)
	v_cmp_ne_u16_e32 vcc, 0, v8
	s_waitcnt vmcnt(0)
	v_cmp_ne_u16_e64 s[2:3], 0, v9
	s_xor_b64 s[2:3], vcc, s[2:3]
	v_mov_b32_e32 v8, 1
	s_xor_b64 s[2:3], s[2:3], -1
	v_mov_b32_e32 v9, 0
	s_and_saveexec_b64 s[22:23], s[2:3]
	s_cbranch_execz .LBB1029_70
; %bb.63:
	s_mov_b64 s[28:29], 1
	s_waitcnt lgkmcnt(0)
	s_mov_b64 s[24:25], 0
                                        ; implicit-def: $sgpr26_sgpr27
	s_branch .LBB1029_66
.LBB1029_64:                            ;   in Loop: Header=BB1029_66 Depth=1
	v_mov_b32_e32 v13, s29
	v_add_co_u32_e32 v8, vcc, s28, v6
	v_addc_co_u32_e32 v9, vcc, v7, v13, vcc
	v_add_co_u32_e32 v12, vcc, s28, v10
	v_addc_co_u32_e32 v13, vcc, v11, v13, vcc
	global_load_ubyte v14, v[8:9], off
	global_load_ubyte v15, v[12:13], off
	s_waitcnt vmcnt(1)
	v_cmp_ne_u16_e32 vcc, 0, v14
	s_waitcnt vmcnt(0)
	v_cmp_ne_u16_e64 s[2:3], 0, v15
	s_xor_b64 s[30:31], vcc, s[2:3]
	s_add_u32 s2, s28, 1
	s_addc_u32 s3, s29, 0
	s_andn2_b64 s[26:27], s[26:27], exec
	s_and_b64 s[30:31], s[30:31], exec
	s_or_b64 s[26:27], s[26:27], s[30:31]
.LBB1029_65:                            ;   in Loop: Header=BB1029_66 Depth=1
	s_and_b64 s[30:31], exec, s[26:27]
	s_or_b64 s[24:25], s[30:31], s[24:25]
	v_pk_mov_b32 v[8:9], s[28:29], s[28:29] op_sel:[0,1]
	s_mov_b64 s[28:29], s[2:3]
	s_andn2_b64 exec, exec, s[24:25]
	s_cbranch_execz .LBB1029_69
.LBB1029_66:                            ; =>This Inner Loop Header: Depth=1
	s_or_b64 s[26:27], s[26:27], exec
	s_cmp_eq_u64 s[16:17], s[28:29]
	s_cbranch_scc0 .LBB1029_64
; %bb.67:                               ;   in Loop: Header=BB1029_66 Depth=1
                                        ; implicit-def: $sgpr2_sgpr3
	s_mov_b64 s[28:29], s[16:17]
	s_branch .LBB1029_65
.LBB1029_68:
                                        ; implicit-def: $sgpr2_sgpr3
                                        ; implicit-def: $vgpr8_vgpr9
	s_cbranch_execnz .LBB1029_84
	s_branch .LBB1029_108
.LBB1029_69:
	s_or_b64 exec, exec, s[24:25]
	v_cmp_gt_i64_e32 vcc, s[16:17], v[8:9]
	s_mov_b32 s2, 0
	v_cndmask_b32_e64 v8, 0, 1, vcc
	v_mov_b32_e32 v9, s2
.LBB1029_70:
	s_or_b64 exec, exec, s[22:23]
.LBB1029_71:
	v_cmp_ne_u32_e32 vcc, 0, v0
	s_waitcnt lgkmcnt(0)
	s_barrier
	s_waitcnt lgkmcnt(0)
                                        ; implicit-def: $sgpr2_sgpr3
	s_and_saveexec_b64 s[22:23], vcc
	s_cbranch_execz .LBB1029_83
; %bb.72:
	s_andn2_b64 vcc, exec, s[20:21]
	s_cbranch_vccnz .LBB1029_79
; %bb.73:
	v_add_u32_e32 v6, -8, v1
	ds_read_b64 v[10:11], v6
	v_pk_mov_b32 v[12:13], s[18:19], s[18:19] op_sel:[0,1]
	v_mad_u64_u32 v[6:7], s[2:3], v2, s16, v[12:13]
	v_mul_lo_u32 v14, v2, s17
	v_mul_lo_u32 v15, v3, s16
	v_add3_u32 v7, v15, v7, v14
	s_waitcnt lgkmcnt(0)
	v_mul_lo_u32 v14, v10, s17
	v_mul_lo_u32 v15, v11, s16
	v_mad_u64_u32 v[10:11], s[2:3], v10, s16, v[12:13]
	v_add3_u32 v11, v15, v11, v14
	global_load_ubyte v12, v[6:7], off
	global_load_ubyte v13, v[10:11], off
	s_waitcnt vmcnt(1)
	v_cmp_ne_u16_e32 vcc, 0, v12
	s_waitcnt vmcnt(0)
	v_cmp_ne_u16_e64 s[2:3], 0, v13
	s_xor_b64 s[20:21], vcc, s[2:3]
	s_mov_b64 s[2:3], -1
	s_xor_b64 s[24:25], s[20:21], -1
	s_and_saveexec_b64 s[20:21], s[24:25]
	s_cbranch_execz .LBB1029_81
; %bb.74:
	s_mov_b64 s[28:29], 1
	s_mov_b64 s[24:25], 0
                                        ; implicit-def: $sgpr26_sgpr27
	s_branch .LBB1029_77
.LBB1029_75:                            ;   in Loop: Header=BB1029_77 Depth=1
	v_mov_b32_e32 v15, s29
	v_add_co_u32_e32 v12, vcc, s28, v6
	v_addc_co_u32_e32 v13, vcc, v7, v15, vcc
	v_add_co_u32_e32 v14, vcc, s28, v10
	v_addc_co_u32_e32 v15, vcc, v11, v15, vcc
	global_load_ubyte v16, v[12:13], off
	global_load_ubyte v17, v[14:15], off
	s_waitcnt vmcnt(1)
	v_cmp_ne_u16_e32 vcc, 0, v16
	s_waitcnt vmcnt(0)
	v_cmp_ne_u16_e64 s[2:3], 0, v17
	s_xor_b64 s[30:31], vcc, s[2:3]
	s_add_u32 s2, s28, 1
	s_addc_u32 s3, s29, 0
	s_andn2_b64 s[26:27], s[26:27], exec
	s_and_b64 s[30:31], s[30:31], exec
	s_or_b64 s[26:27], s[26:27], s[30:31]
.LBB1029_76:                            ;   in Loop: Header=BB1029_77 Depth=1
	s_and_b64 s[30:31], exec, s[26:27]
	s_or_b64 s[24:25], s[30:31], s[24:25]
	v_pk_mov_b32 v[12:13], s[28:29], s[28:29] op_sel:[0,1]
	s_mov_b64 s[28:29], s[2:3]
	s_andn2_b64 exec, exec, s[24:25]
	s_cbranch_execz .LBB1029_80
.LBB1029_77:                            ; =>This Inner Loop Header: Depth=1
	s_or_b64 s[26:27], s[26:27], exec
	s_cmp_eq_u64 s[16:17], s[28:29]
	s_cbranch_scc0 .LBB1029_75
; %bb.78:                               ;   in Loop: Header=BB1029_77 Depth=1
                                        ; implicit-def: $sgpr2_sgpr3
	s_mov_b64 s[28:29], s[16:17]
	s_branch .LBB1029_76
.LBB1029_79:
	s_mov_b64 s[2:3], 0
	s_branch .LBB1029_82
.LBB1029_80:
	s_or_b64 exec, exec, s[24:25]
	v_cmp_gt_i64_e32 vcc, s[16:17], v[12:13]
	s_orn2_b64 s[2:3], vcc, exec
.LBB1029_81:
	s_or_b64 exec, exec, s[20:21]
.LBB1029_82:
	s_and_b64 s[2:3], s[2:3], exec
	s_or_b64 s[8:9], s[8:9], exec
.LBB1029_83:
	s_or_b64 exec, exec, s[22:23]
	s_branch .LBB1029_108
.LBB1029_84:
	v_lshlrev_b32_e32 v10, 1, v0
	v_or_b32_e32 v6, 1, v10
	v_cmp_gt_u32_e32 vcc, s14, v6
	v_cmp_lt_i64_e64 s[20:21], s[16:17], 1
	v_pk_mov_b32 v[8:9], v[4:5], v[4:5] op_sel:[0,1]
	ds_write_b64 v1, v[4:5]
	v_pk_mov_b32 v[6:7], v[2:3], v[2:3] op_sel:[0,1]
	s_and_saveexec_b64 s[22:23], vcc
	s_cbranch_execz .LBB1029_95
; %bb.85:
	s_and_b64 vcc, exec, s[20:21]
	s_cbranch_vccnz .LBB1029_92
; %bb.86:
	v_pk_mov_b32 v[8:9], s[18:19], s[18:19] op_sel:[0,1]
	v_mad_u64_u32 v[6:7], s[2:3], v4, s16, v[8:9]
	v_mul_lo_u32 v4, v4, s17
	v_mul_lo_u32 v5, v5, s16
	v_add3_u32 v7, v5, v7, v4
	v_mad_u64_u32 v[4:5], s[2:3], v2, s16, v[8:9]
	v_mul_lo_u32 v8, v2, s17
	v_mul_lo_u32 v9, v3, s16
	v_add3_u32 v5, v9, v5, v8
	global_load_ubyte v8, v[6:7], off
	global_load_ubyte v9, v[4:5], off
	s_waitcnt vmcnt(1)
	v_cmp_ne_u16_e32 vcc, 0, v8
	s_waitcnt vmcnt(0)
	v_cmp_ne_u16_e64 s[2:3], 0, v9
	s_xor_b64 s[2:3], vcc, s[2:3]
	v_mov_b32_e32 v8, 1
	s_xor_b64 s[2:3], s[2:3], -1
	v_mov_b32_e32 v9, 0
	s_waitcnt lgkmcnt(0)
	s_and_saveexec_b64 s[24:25], s[2:3]
	s_cbranch_execz .LBB1029_94
; %bb.87:
	s_mov_b64 s[30:31], 1
	s_mov_b64 s[26:27], 0
                                        ; implicit-def: $sgpr28_sgpr29
	s_branch .LBB1029_90
.LBB1029_88:                            ;   in Loop: Header=BB1029_90 Depth=1
	v_mov_b32_e32 v11, s31
	v_add_co_u32_e32 v8, vcc, s30, v6
	v_addc_co_u32_e32 v9, vcc, v7, v11, vcc
	v_add_co_u32_e32 v12, vcc, s30, v4
	v_addc_co_u32_e32 v13, vcc, v5, v11, vcc
	global_load_ubyte v11, v[8:9], off
	global_load_ubyte v14, v[12:13], off
	s_waitcnt vmcnt(1)
	v_cmp_ne_u16_e32 vcc, 0, v11
	s_waitcnt vmcnt(0)
	v_cmp_ne_u16_e64 s[2:3], 0, v14
	s_xor_b64 s[34:35], vcc, s[2:3]
	s_add_u32 s2, s30, 1
	s_addc_u32 s3, s31, 0
	s_andn2_b64 s[28:29], s[28:29], exec
	s_and_b64 s[34:35], s[34:35], exec
	s_or_b64 s[28:29], s[28:29], s[34:35]
.LBB1029_89:                            ;   in Loop: Header=BB1029_90 Depth=1
	s_and_b64 s[34:35], exec, s[28:29]
	s_or_b64 s[26:27], s[34:35], s[26:27]
	v_pk_mov_b32 v[8:9], s[30:31], s[30:31] op_sel:[0,1]
	s_mov_b64 s[30:31], s[2:3]
	s_andn2_b64 exec, exec, s[26:27]
	s_cbranch_execz .LBB1029_93
.LBB1029_90:                            ; =>This Inner Loop Header: Depth=1
	s_or_b64 s[28:29], s[28:29], exec
	s_cmp_eq_u64 s[16:17], s[30:31]
	s_cbranch_scc0 .LBB1029_88
; %bb.91:                               ;   in Loop: Header=BB1029_90 Depth=1
                                        ; implicit-def: $sgpr2_sgpr3
	s_mov_b64 s[30:31], s[16:17]
	s_branch .LBB1029_89
.LBB1029_92:
	v_pk_mov_b32 v[8:9], 0, 0
	s_branch .LBB1029_95
.LBB1029_93:
	s_or_b64 exec, exec, s[26:27]
	v_cmp_gt_i64_e32 vcc, s[16:17], v[8:9]
	s_mov_b32 s2, 0
	v_cndmask_b32_e64 v8, 0, 1, vcc
	v_mov_b32_e32 v9, s2
.LBB1029_94:
	s_or_b64 exec, exec, s[24:25]
.LBB1029_95:
	s_or_b64 exec, exec, s[22:23]
	v_cmp_ne_u32_e32 vcc, 0, v0
	v_cmp_gt_u32_e64 s[2:3], s14, v10
	s_waitcnt lgkmcnt(0)
	s_and_b64 s[24:25], vcc, s[2:3]
	s_barrier
	s_waitcnt lgkmcnt(0)
                                        ; implicit-def: $sgpr2_sgpr3
	s_and_saveexec_b64 s[22:23], s[24:25]
	s_cbranch_execz .LBB1029_107
; %bb.96:
	s_and_b64 vcc, exec, s[20:21]
	s_cbranch_vccnz .LBB1029_103
; %bb.97:
	v_add_u32_e32 v4, -8, v1
	ds_read_b64 v[6:7], v4
	v_pk_mov_b32 v[10:11], s[18:19], s[18:19] op_sel:[0,1]
	v_mad_u64_u32 v[4:5], s[2:3], v2, s16, v[10:11]
	v_mul_lo_u32 v2, v2, s17
	v_mul_lo_u32 v3, v3, s16
	v_add3_u32 v5, v3, v5, v2
	s_waitcnt lgkmcnt(0)
	v_mul_lo_u32 v12, v6, s17
	v_mul_lo_u32 v7, v7, s16
	v_mad_u64_u32 v[2:3], s[2:3], v6, s16, v[10:11]
	v_add3_u32 v3, v7, v3, v12
	global_load_ubyte v6, v[4:5], off
	global_load_ubyte v7, v[2:3], off
	s_waitcnt vmcnt(1)
	v_cmp_ne_u16_e32 vcc, 0, v6
	s_waitcnt vmcnt(0)
	v_cmp_ne_u16_e64 s[2:3], 0, v7
	s_xor_b64 s[18:19], vcc, s[2:3]
	s_mov_b64 s[2:3], -1
	s_xor_b64 s[20:21], s[18:19], -1
	s_and_saveexec_b64 s[18:19], s[20:21]
	s_cbranch_execz .LBB1029_105
; %bb.98:
	s_mov_b64 s[26:27], 1
	s_mov_b64 s[20:21], 0
                                        ; implicit-def: $sgpr24_sgpr25
	s_branch .LBB1029_101
.LBB1029_99:                            ;   in Loop: Header=BB1029_101 Depth=1
	v_mov_b32_e32 v11, s27
	v_add_co_u32_e32 v6, vcc, s26, v4
	v_addc_co_u32_e32 v7, vcc, v5, v11, vcc
	v_add_co_u32_e32 v10, vcc, s26, v2
	v_addc_co_u32_e32 v11, vcc, v3, v11, vcc
	global_load_ubyte v12, v[6:7], off
	global_load_ubyte v13, v[10:11], off
	s_waitcnt vmcnt(1)
	v_cmp_ne_u16_e32 vcc, 0, v12
	s_waitcnt vmcnt(0)
	v_cmp_ne_u16_e64 s[2:3], 0, v13
	s_xor_b64 s[28:29], vcc, s[2:3]
	s_add_u32 s2, s26, 1
	s_addc_u32 s3, s27, 0
	s_andn2_b64 s[24:25], s[24:25], exec
	s_and_b64 s[28:29], s[28:29], exec
	s_or_b64 s[24:25], s[24:25], s[28:29]
.LBB1029_100:                           ;   in Loop: Header=BB1029_101 Depth=1
	s_and_b64 s[28:29], exec, s[24:25]
	s_or_b64 s[20:21], s[28:29], s[20:21]
	v_pk_mov_b32 v[6:7], s[26:27], s[26:27] op_sel:[0,1]
	s_mov_b64 s[26:27], s[2:3]
	s_andn2_b64 exec, exec, s[20:21]
	s_cbranch_execz .LBB1029_104
.LBB1029_101:                           ; =>This Inner Loop Header: Depth=1
	s_or_b64 s[24:25], s[24:25], exec
	s_cmp_eq_u64 s[16:17], s[26:27]
	s_cbranch_scc0 .LBB1029_99
; %bb.102:                              ;   in Loop: Header=BB1029_101 Depth=1
                                        ; implicit-def: $sgpr2_sgpr3
	s_mov_b64 s[26:27], s[16:17]
	s_branch .LBB1029_100
.LBB1029_103:
	s_mov_b64 s[2:3], 0
	s_branch .LBB1029_106
.LBB1029_104:
	s_or_b64 exec, exec, s[20:21]
	v_cmp_gt_i64_e32 vcc, s[16:17], v[6:7]
	s_orn2_b64 s[2:3], vcc, exec
.LBB1029_105:
	s_or_b64 exec, exec, s[18:19]
.LBB1029_106:
	s_and_b64 s[2:3], s[2:3], exec
	s_or_b64 s[8:9], s[8:9], exec
                                        ; implicit-def: $vgpr2_vgpr3
.LBB1029_107:
	s_or_b64 exec, exec, s[22:23]
.LBB1029_108:
	s_and_saveexec_b64 s[16:17], s[8:9]
; %bb.109:
	v_cndmask_b32_e64 v2, 0, 1, s[2:3]
	s_mov_b32 s2, 0
	v_mov_b32_e32 v3, s2
; %bb.110:
	s_or_b64 exec, exec, s[16:17]
	s_add_u32 s7, s12, s10
	s_addc_u32 s8, s13, s11
	s_and_b64 vcc, exec, s[0:1]
	v_lshrrev_b32_e32 v10, 1, v0
	s_waitcnt lgkmcnt(0)
	s_barrier
	s_cbranch_vccz .LBB1029_114
; %bb.111:
	v_and_b32_e32 v4, 0x78, v10
	v_lshl_add_u32 v6, v0, 4, v4
	v_mov_b32_e32 v4, v8
	v_mov_b32_e32 v5, v9
	v_or_b32_e32 v11, 0x100, v0
	s_lshl_b32 s0, s6, 9
	s_mov_b32 s5, 0
	ds_write2_b64 v6, v[2:3], v[4:5] offset1:1
	v_lshrrev_b32_e32 v4, 5, v11
	s_sub_i32 s2, s14, s0
	s_lshl_b64 s[0:1], s[4:5], 3
	v_add_lshl_u32 v4, v4, v0, 3
	s_add_u32 s0, s7, s0
	s_waitcnt lgkmcnt(0)
	s_barrier
	ds_read_b64 v[4:5], v4 offset:2048
	s_addc_u32 s1, s8, s1
	v_mov_b32_e32 v7, s1
	v_add_co_u32_e32 v6, vcc, s0, v1
	v_addc_co_u32_e32 v7, vcc, 0, v7, vcc
	v_cmp_gt_u32_e32 vcc, s2, v0
	s_and_saveexec_b64 s[0:1], vcc
	s_cbranch_execz .LBB1029_113
; %bb.112:
	v_lshrrev_b32_e32 v12, 5, v0
	v_add_lshl_u32 v12, v12, v0, 3
	ds_read_b64 v[12:13], v12
	s_waitcnt lgkmcnt(0)
	global_store_dwordx2 v[6:7], v[12:13], off
.LBB1029_113:
	s_or_b64 exec, exec, s[0:1]
	v_cmp_gt_u32_e64 s[0:1], s2, v11
	s_branch .LBB1029_116
.LBB1029_114:
	s_mov_b64 s[0:1], 0
                                        ; implicit-def: $vgpr4_vgpr5
                                        ; implicit-def: $vgpr6_vgpr7
	s_cbranch_execz .LBB1029_116
; %bb.115:
	s_waitcnt lgkmcnt(0)
	v_and_b32_e32 v4, 0x78, v10
	v_lshl_add_u32 v6, v0, 4, v4
	v_mov_b32_e32 v4, v8
	v_mov_b32_e32 v5, v9
	s_mov_b32 s5, 0
	ds_write2_b64 v6, v[2:3], v[4:5] offset1:1
	v_lshrrev_b32_e32 v2, 5, v0
	v_or_b32_e32 v3, 0x100, v0
	s_lshl_b64 s[2:3], s[4:5], 3
	v_add_lshl_u32 v2, v2, v0, 3
	v_lshrrev_b32_e32 v3, 5, v3
	s_add_u32 s2, s7, s2
	s_waitcnt lgkmcnt(0)
	s_barrier
	v_add_lshl_u32 v0, v3, v0, 3
	ds_read_b64 v[2:3], v2
	ds_read_b64 v[4:5], v0 offset:2048
	s_addc_u32 s3, s8, s3
	v_mov_b32_e32 v0, s3
	v_add_co_u32_e32 v6, vcc, s2, v1
	v_addc_co_u32_e32 v7, vcc, 0, v0, vcc
	s_or_b64 s[0:1], s[0:1], exec
	s_waitcnt lgkmcnt(1)
	global_store_dwordx2 v1, v[2:3], s[2:3]
.LBB1029_116:
	s_and_saveexec_b64 s[2:3], s[0:1]
	s_cbranch_execnz .LBB1029_118
; %bb.117:
	s_endpgm
.LBB1029_118:
	s_waitcnt lgkmcnt(0)
	global_store_dwordx2 v[6:7], v[4:5], off offset:2048
	s_endpgm
	.section	.rodata,"a",@progbits
	.p2align	6, 0x0
	.amdhsa_kernel _ZN7rocprim17ROCPRIM_400000_NS6detail17trampoline_kernelINS0_14default_configENS1_35adjacent_difference_config_selectorILb0ElEEZNS1_24adjacent_difference_implIS3_Lb0ELb0EPlS7_ZN2at6native12_GLOBAL__N_124unique_dim_cuda_templateIbEESt5tupleIJNS8_6TensorESD_SD_EERKSD_lbbbEUlllE1_EE10hipError_tPvRmT2_T3_mT4_P12ihipStream_tbEUlT_E_NS1_11comp_targetILNS1_3genE4ELNS1_11target_archE910ELNS1_3gpuE8ELNS1_3repE0EEENS1_30default_config_static_selectorELNS0_4arch9wavefront6targetE1EEEvT1_
		.amdhsa_group_segment_fixed_size 4224
		.amdhsa_private_segment_fixed_size 0
		.amdhsa_kernarg_size 64
		.amdhsa_user_sgpr_count 6
		.amdhsa_user_sgpr_private_segment_buffer 1
		.amdhsa_user_sgpr_dispatch_ptr 0
		.amdhsa_user_sgpr_queue_ptr 0
		.amdhsa_user_sgpr_kernarg_segment_ptr 1
		.amdhsa_user_sgpr_dispatch_id 0
		.amdhsa_user_sgpr_flat_scratch_init 0
		.amdhsa_user_sgpr_kernarg_preload_length 0
		.amdhsa_user_sgpr_kernarg_preload_offset 0
		.amdhsa_user_sgpr_private_segment_size 0
		.amdhsa_uses_dynamic_stack 0
		.amdhsa_system_sgpr_private_segment_wavefront_offset 0
		.amdhsa_system_sgpr_workgroup_id_x 1
		.amdhsa_system_sgpr_workgroup_id_y 0
		.amdhsa_system_sgpr_workgroup_id_z 0
		.amdhsa_system_sgpr_workgroup_info 0
		.amdhsa_system_vgpr_workitem_id 0
		.amdhsa_next_free_vgpr 18
		.amdhsa_next_free_sgpr 38
		.amdhsa_accum_offset 20
		.amdhsa_reserve_vcc 1
		.amdhsa_reserve_flat_scratch 0
		.amdhsa_float_round_mode_32 0
		.amdhsa_float_round_mode_16_64 0
		.amdhsa_float_denorm_mode_32 3
		.amdhsa_float_denorm_mode_16_64 3
		.amdhsa_dx10_clamp 1
		.amdhsa_ieee_mode 1
		.amdhsa_fp16_overflow 0
		.amdhsa_tg_split 0
		.amdhsa_exception_fp_ieee_invalid_op 0
		.amdhsa_exception_fp_denorm_src 0
		.amdhsa_exception_fp_ieee_div_zero 0
		.amdhsa_exception_fp_ieee_overflow 0
		.amdhsa_exception_fp_ieee_underflow 0
		.amdhsa_exception_fp_ieee_inexact 0
		.amdhsa_exception_int_div_zero 0
	.end_amdhsa_kernel
	.section	.text._ZN7rocprim17ROCPRIM_400000_NS6detail17trampoline_kernelINS0_14default_configENS1_35adjacent_difference_config_selectorILb0ElEEZNS1_24adjacent_difference_implIS3_Lb0ELb0EPlS7_ZN2at6native12_GLOBAL__N_124unique_dim_cuda_templateIbEESt5tupleIJNS8_6TensorESD_SD_EERKSD_lbbbEUlllE1_EE10hipError_tPvRmT2_T3_mT4_P12ihipStream_tbEUlT_E_NS1_11comp_targetILNS1_3genE4ELNS1_11target_archE910ELNS1_3gpuE8ELNS1_3repE0EEENS1_30default_config_static_selectorELNS0_4arch9wavefront6targetE1EEEvT1_,"axG",@progbits,_ZN7rocprim17ROCPRIM_400000_NS6detail17trampoline_kernelINS0_14default_configENS1_35adjacent_difference_config_selectorILb0ElEEZNS1_24adjacent_difference_implIS3_Lb0ELb0EPlS7_ZN2at6native12_GLOBAL__N_124unique_dim_cuda_templateIbEESt5tupleIJNS8_6TensorESD_SD_EERKSD_lbbbEUlllE1_EE10hipError_tPvRmT2_T3_mT4_P12ihipStream_tbEUlT_E_NS1_11comp_targetILNS1_3genE4ELNS1_11target_archE910ELNS1_3gpuE8ELNS1_3repE0EEENS1_30default_config_static_selectorELNS0_4arch9wavefront6targetE1EEEvT1_,comdat
.Lfunc_end1029:
	.size	_ZN7rocprim17ROCPRIM_400000_NS6detail17trampoline_kernelINS0_14default_configENS1_35adjacent_difference_config_selectorILb0ElEEZNS1_24adjacent_difference_implIS3_Lb0ELb0EPlS7_ZN2at6native12_GLOBAL__N_124unique_dim_cuda_templateIbEESt5tupleIJNS8_6TensorESD_SD_EERKSD_lbbbEUlllE1_EE10hipError_tPvRmT2_T3_mT4_P12ihipStream_tbEUlT_E_NS1_11comp_targetILNS1_3genE4ELNS1_11target_archE910ELNS1_3gpuE8ELNS1_3repE0EEENS1_30default_config_static_selectorELNS0_4arch9wavefront6targetE1EEEvT1_, .Lfunc_end1029-_ZN7rocprim17ROCPRIM_400000_NS6detail17trampoline_kernelINS0_14default_configENS1_35adjacent_difference_config_selectorILb0ElEEZNS1_24adjacent_difference_implIS3_Lb0ELb0EPlS7_ZN2at6native12_GLOBAL__N_124unique_dim_cuda_templateIbEESt5tupleIJNS8_6TensorESD_SD_EERKSD_lbbbEUlllE1_EE10hipError_tPvRmT2_T3_mT4_P12ihipStream_tbEUlT_E_NS1_11comp_targetILNS1_3genE4ELNS1_11target_archE910ELNS1_3gpuE8ELNS1_3repE0EEENS1_30default_config_static_selectorELNS0_4arch9wavefront6targetE1EEEvT1_
                                        ; -- End function
	.section	.AMDGPU.csdata,"",@progbits
; Kernel info:
; codeLenInByte = 3808
; NumSgprs: 42
; NumVgprs: 18
; NumAgprs: 0
; TotalNumVgprs: 18
; ScratchSize: 0
; MemoryBound: 0
; FloatMode: 240
; IeeeMode: 1
; LDSByteSize: 4224 bytes/workgroup (compile time only)
; SGPRBlocks: 5
; VGPRBlocks: 2
; NumSGPRsForWavesPerEU: 42
; NumVGPRsForWavesPerEU: 18
; AccumOffset: 20
; Occupancy: 8
; WaveLimiterHint : 1
; COMPUTE_PGM_RSRC2:SCRATCH_EN: 0
; COMPUTE_PGM_RSRC2:USER_SGPR: 6
; COMPUTE_PGM_RSRC2:TRAP_HANDLER: 0
; COMPUTE_PGM_RSRC2:TGID_X_EN: 1
; COMPUTE_PGM_RSRC2:TGID_Y_EN: 0
; COMPUTE_PGM_RSRC2:TGID_Z_EN: 0
; COMPUTE_PGM_RSRC2:TIDIG_COMP_CNT: 0
; COMPUTE_PGM_RSRC3_GFX90A:ACCUM_OFFSET: 4
; COMPUTE_PGM_RSRC3_GFX90A:TG_SPLIT: 0
	.section	.text._ZN7rocprim17ROCPRIM_400000_NS6detail17trampoline_kernelINS0_14default_configENS1_35adjacent_difference_config_selectorILb0ElEEZNS1_24adjacent_difference_implIS3_Lb0ELb0EPlS7_ZN2at6native12_GLOBAL__N_124unique_dim_cuda_templateIbEESt5tupleIJNS8_6TensorESD_SD_EERKSD_lbbbEUlllE1_EE10hipError_tPvRmT2_T3_mT4_P12ihipStream_tbEUlT_E_NS1_11comp_targetILNS1_3genE3ELNS1_11target_archE908ELNS1_3gpuE7ELNS1_3repE0EEENS1_30default_config_static_selectorELNS0_4arch9wavefront6targetE1EEEvT1_,"axG",@progbits,_ZN7rocprim17ROCPRIM_400000_NS6detail17trampoline_kernelINS0_14default_configENS1_35adjacent_difference_config_selectorILb0ElEEZNS1_24adjacent_difference_implIS3_Lb0ELb0EPlS7_ZN2at6native12_GLOBAL__N_124unique_dim_cuda_templateIbEESt5tupleIJNS8_6TensorESD_SD_EERKSD_lbbbEUlllE1_EE10hipError_tPvRmT2_T3_mT4_P12ihipStream_tbEUlT_E_NS1_11comp_targetILNS1_3genE3ELNS1_11target_archE908ELNS1_3gpuE7ELNS1_3repE0EEENS1_30default_config_static_selectorELNS0_4arch9wavefront6targetE1EEEvT1_,comdat
	.globl	_ZN7rocprim17ROCPRIM_400000_NS6detail17trampoline_kernelINS0_14default_configENS1_35adjacent_difference_config_selectorILb0ElEEZNS1_24adjacent_difference_implIS3_Lb0ELb0EPlS7_ZN2at6native12_GLOBAL__N_124unique_dim_cuda_templateIbEESt5tupleIJNS8_6TensorESD_SD_EERKSD_lbbbEUlllE1_EE10hipError_tPvRmT2_T3_mT4_P12ihipStream_tbEUlT_E_NS1_11comp_targetILNS1_3genE3ELNS1_11target_archE908ELNS1_3gpuE7ELNS1_3repE0EEENS1_30default_config_static_selectorELNS0_4arch9wavefront6targetE1EEEvT1_ ; -- Begin function _ZN7rocprim17ROCPRIM_400000_NS6detail17trampoline_kernelINS0_14default_configENS1_35adjacent_difference_config_selectorILb0ElEEZNS1_24adjacent_difference_implIS3_Lb0ELb0EPlS7_ZN2at6native12_GLOBAL__N_124unique_dim_cuda_templateIbEESt5tupleIJNS8_6TensorESD_SD_EERKSD_lbbbEUlllE1_EE10hipError_tPvRmT2_T3_mT4_P12ihipStream_tbEUlT_E_NS1_11comp_targetILNS1_3genE3ELNS1_11target_archE908ELNS1_3gpuE7ELNS1_3repE0EEENS1_30default_config_static_selectorELNS0_4arch9wavefront6targetE1EEEvT1_
	.p2align	8
	.type	_ZN7rocprim17ROCPRIM_400000_NS6detail17trampoline_kernelINS0_14default_configENS1_35adjacent_difference_config_selectorILb0ElEEZNS1_24adjacent_difference_implIS3_Lb0ELb0EPlS7_ZN2at6native12_GLOBAL__N_124unique_dim_cuda_templateIbEESt5tupleIJNS8_6TensorESD_SD_EERKSD_lbbbEUlllE1_EE10hipError_tPvRmT2_T3_mT4_P12ihipStream_tbEUlT_E_NS1_11comp_targetILNS1_3genE3ELNS1_11target_archE908ELNS1_3gpuE7ELNS1_3repE0EEENS1_30default_config_static_selectorELNS0_4arch9wavefront6targetE1EEEvT1_,@function
_ZN7rocprim17ROCPRIM_400000_NS6detail17trampoline_kernelINS0_14default_configENS1_35adjacent_difference_config_selectorILb0ElEEZNS1_24adjacent_difference_implIS3_Lb0ELb0EPlS7_ZN2at6native12_GLOBAL__N_124unique_dim_cuda_templateIbEESt5tupleIJNS8_6TensorESD_SD_EERKSD_lbbbEUlllE1_EE10hipError_tPvRmT2_T3_mT4_P12ihipStream_tbEUlT_E_NS1_11comp_targetILNS1_3genE3ELNS1_11target_archE908ELNS1_3gpuE7ELNS1_3repE0EEENS1_30default_config_static_selectorELNS0_4arch9wavefront6targetE1EEEvT1_: ; @_ZN7rocprim17ROCPRIM_400000_NS6detail17trampoline_kernelINS0_14default_configENS1_35adjacent_difference_config_selectorILb0ElEEZNS1_24adjacent_difference_implIS3_Lb0ELb0EPlS7_ZN2at6native12_GLOBAL__N_124unique_dim_cuda_templateIbEESt5tupleIJNS8_6TensorESD_SD_EERKSD_lbbbEUlllE1_EE10hipError_tPvRmT2_T3_mT4_P12ihipStream_tbEUlT_E_NS1_11comp_targetILNS1_3genE3ELNS1_11target_archE908ELNS1_3gpuE7ELNS1_3repE0EEENS1_30default_config_static_selectorELNS0_4arch9wavefront6targetE1EEEvT1_
; %bb.0:
	.section	.rodata,"a",@progbits
	.p2align	6, 0x0
	.amdhsa_kernel _ZN7rocprim17ROCPRIM_400000_NS6detail17trampoline_kernelINS0_14default_configENS1_35adjacent_difference_config_selectorILb0ElEEZNS1_24adjacent_difference_implIS3_Lb0ELb0EPlS7_ZN2at6native12_GLOBAL__N_124unique_dim_cuda_templateIbEESt5tupleIJNS8_6TensorESD_SD_EERKSD_lbbbEUlllE1_EE10hipError_tPvRmT2_T3_mT4_P12ihipStream_tbEUlT_E_NS1_11comp_targetILNS1_3genE3ELNS1_11target_archE908ELNS1_3gpuE7ELNS1_3repE0EEENS1_30default_config_static_selectorELNS0_4arch9wavefront6targetE1EEEvT1_
		.amdhsa_group_segment_fixed_size 0
		.amdhsa_private_segment_fixed_size 0
		.amdhsa_kernarg_size 64
		.amdhsa_user_sgpr_count 6
		.amdhsa_user_sgpr_private_segment_buffer 1
		.amdhsa_user_sgpr_dispatch_ptr 0
		.amdhsa_user_sgpr_queue_ptr 0
		.amdhsa_user_sgpr_kernarg_segment_ptr 1
		.amdhsa_user_sgpr_dispatch_id 0
		.amdhsa_user_sgpr_flat_scratch_init 0
		.amdhsa_user_sgpr_kernarg_preload_length 0
		.amdhsa_user_sgpr_kernarg_preload_offset 0
		.amdhsa_user_sgpr_private_segment_size 0
		.amdhsa_uses_dynamic_stack 0
		.amdhsa_system_sgpr_private_segment_wavefront_offset 0
		.amdhsa_system_sgpr_workgroup_id_x 1
		.amdhsa_system_sgpr_workgroup_id_y 0
		.amdhsa_system_sgpr_workgroup_id_z 0
		.amdhsa_system_sgpr_workgroup_info 0
		.amdhsa_system_vgpr_workitem_id 0
		.amdhsa_next_free_vgpr 1
		.amdhsa_next_free_sgpr 0
		.amdhsa_accum_offset 4
		.amdhsa_reserve_vcc 0
		.amdhsa_reserve_flat_scratch 0
		.amdhsa_float_round_mode_32 0
		.amdhsa_float_round_mode_16_64 0
		.amdhsa_float_denorm_mode_32 3
		.amdhsa_float_denorm_mode_16_64 3
		.amdhsa_dx10_clamp 1
		.amdhsa_ieee_mode 1
		.amdhsa_fp16_overflow 0
		.amdhsa_tg_split 0
		.amdhsa_exception_fp_ieee_invalid_op 0
		.amdhsa_exception_fp_denorm_src 0
		.amdhsa_exception_fp_ieee_div_zero 0
		.amdhsa_exception_fp_ieee_overflow 0
		.amdhsa_exception_fp_ieee_underflow 0
		.amdhsa_exception_fp_ieee_inexact 0
		.amdhsa_exception_int_div_zero 0
	.end_amdhsa_kernel
	.section	.text._ZN7rocprim17ROCPRIM_400000_NS6detail17trampoline_kernelINS0_14default_configENS1_35adjacent_difference_config_selectorILb0ElEEZNS1_24adjacent_difference_implIS3_Lb0ELb0EPlS7_ZN2at6native12_GLOBAL__N_124unique_dim_cuda_templateIbEESt5tupleIJNS8_6TensorESD_SD_EERKSD_lbbbEUlllE1_EE10hipError_tPvRmT2_T3_mT4_P12ihipStream_tbEUlT_E_NS1_11comp_targetILNS1_3genE3ELNS1_11target_archE908ELNS1_3gpuE7ELNS1_3repE0EEENS1_30default_config_static_selectorELNS0_4arch9wavefront6targetE1EEEvT1_,"axG",@progbits,_ZN7rocprim17ROCPRIM_400000_NS6detail17trampoline_kernelINS0_14default_configENS1_35adjacent_difference_config_selectorILb0ElEEZNS1_24adjacent_difference_implIS3_Lb0ELb0EPlS7_ZN2at6native12_GLOBAL__N_124unique_dim_cuda_templateIbEESt5tupleIJNS8_6TensorESD_SD_EERKSD_lbbbEUlllE1_EE10hipError_tPvRmT2_T3_mT4_P12ihipStream_tbEUlT_E_NS1_11comp_targetILNS1_3genE3ELNS1_11target_archE908ELNS1_3gpuE7ELNS1_3repE0EEENS1_30default_config_static_selectorELNS0_4arch9wavefront6targetE1EEEvT1_,comdat
.Lfunc_end1030:
	.size	_ZN7rocprim17ROCPRIM_400000_NS6detail17trampoline_kernelINS0_14default_configENS1_35adjacent_difference_config_selectorILb0ElEEZNS1_24adjacent_difference_implIS3_Lb0ELb0EPlS7_ZN2at6native12_GLOBAL__N_124unique_dim_cuda_templateIbEESt5tupleIJNS8_6TensorESD_SD_EERKSD_lbbbEUlllE1_EE10hipError_tPvRmT2_T3_mT4_P12ihipStream_tbEUlT_E_NS1_11comp_targetILNS1_3genE3ELNS1_11target_archE908ELNS1_3gpuE7ELNS1_3repE0EEENS1_30default_config_static_selectorELNS0_4arch9wavefront6targetE1EEEvT1_, .Lfunc_end1030-_ZN7rocprim17ROCPRIM_400000_NS6detail17trampoline_kernelINS0_14default_configENS1_35adjacent_difference_config_selectorILb0ElEEZNS1_24adjacent_difference_implIS3_Lb0ELb0EPlS7_ZN2at6native12_GLOBAL__N_124unique_dim_cuda_templateIbEESt5tupleIJNS8_6TensorESD_SD_EERKSD_lbbbEUlllE1_EE10hipError_tPvRmT2_T3_mT4_P12ihipStream_tbEUlT_E_NS1_11comp_targetILNS1_3genE3ELNS1_11target_archE908ELNS1_3gpuE7ELNS1_3repE0EEENS1_30default_config_static_selectorELNS0_4arch9wavefront6targetE1EEEvT1_
                                        ; -- End function
	.section	.AMDGPU.csdata,"",@progbits
; Kernel info:
; codeLenInByte = 0
; NumSgprs: 4
; NumVgprs: 0
; NumAgprs: 0
; TotalNumVgprs: 0
; ScratchSize: 0
; MemoryBound: 0
; FloatMode: 240
; IeeeMode: 1
; LDSByteSize: 0 bytes/workgroup (compile time only)
; SGPRBlocks: 0
; VGPRBlocks: 0
; NumSGPRsForWavesPerEU: 4
; NumVGPRsForWavesPerEU: 1
; AccumOffset: 4
; Occupancy: 8
; WaveLimiterHint : 0
; COMPUTE_PGM_RSRC2:SCRATCH_EN: 0
; COMPUTE_PGM_RSRC2:USER_SGPR: 6
; COMPUTE_PGM_RSRC2:TRAP_HANDLER: 0
; COMPUTE_PGM_RSRC2:TGID_X_EN: 1
; COMPUTE_PGM_RSRC2:TGID_Y_EN: 0
; COMPUTE_PGM_RSRC2:TGID_Z_EN: 0
; COMPUTE_PGM_RSRC2:TIDIG_COMP_CNT: 0
; COMPUTE_PGM_RSRC3_GFX90A:ACCUM_OFFSET: 0
; COMPUTE_PGM_RSRC3_GFX90A:TG_SPLIT: 0
	.section	.text._ZN7rocprim17ROCPRIM_400000_NS6detail17trampoline_kernelINS0_14default_configENS1_35adjacent_difference_config_selectorILb0ElEEZNS1_24adjacent_difference_implIS3_Lb0ELb0EPlS7_ZN2at6native12_GLOBAL__N_124unique_dim_cuda_templateIbEESt5tupleIJNS8_6TensorESD_SD_EERKSD_lbbbEUlllE1_EE10hipError_tPvRmT2_T3_mT4_P12ihipStream_tbEUlT_E_NS1_11comp_targetILNS1_3genE2ELNS1_11target_archE906ELNS1_3gpuE6ELNS1_3repE0EEENS1_30default_config_static_selectorELNS0_4arch9wavefront6targetE1EEEvT1_,"axG",@progbits,_ZN7rocprim17ROCPRIM_400000_NS6detail17trampoline_kernelINS0_14default_configENS1_35adjacent_difference_config_selectorILb0ElEEZNS1_24adjacent_difference_implIS3_Lb0ELb0EPlS7_ZN2at6native12_GLOBAL__N_124unique_dim_cuda_templateIbEESt5tupleIJNS8_6TensorESD_SD_EERKSD_lbbbEUlllE1_EE10hipError_tPvRmT2_T3_mT4_P12ihipStream_tbEUlT_E_NS1_11comp_targetILNS1_3genE2ELNS1_11target_archE906ELNS1_3gpuE6ELNS1_3repE0EEENS1_30default_config_static_selectorELNS0_4arch9wavefront6targetE1EEEvT1_,comdat
	.globl	_ZN7rocprim17ROCPRIM_400000_NS6detail17trampoline_kernelINS0_14default_configENS1_35adjacent_difference_config_selectorILb0ElEEZNS1_24adjacent_difference_implIS3_Lb0ELb0EPlS7_ZN2at6native12_GLOBAL__N_124unique_dim_cuda_templateIbEESt5tupleIJNS8_6TensorESD_SD_EERKSD_lbbbEUlllE1_EE10hipError_tPvRmT2_T3_mT4_P12ihipStream_tbEUlT_E_NS1_11comp_targetILNS1_3genE2ELNS1_11target_archE906ELNS1_3gpuE6ELNS1_3repE0EEENS1_30default_config_static_selectorELNS0_4arch9wavefront6targetE1EEEvT1_ ; -- Begin function _ZN7rocprim17ROCPRIM_400000_NS6detail17trampoline_kernelINS0_14default_configENS1_35adjacent_difference_config_selectorILb0ElEEZNS1_24adjacent_difference_implIS3_Lb0ELb0EPlS7_ZN2at6native12_GLOBAL__N_124unique_dim_cuda_templateIbEESt5tupleIJNS8_6TensorESD_SD_EERKSD_lbbbEUlllE1_EE10hipError_tPvRmT2_T3_mT4_P12ihipStream_tbEUlT_E_NS1_11comp_targetILNS1_3genE2ELNS1_11target_archE906ELNS1_3gpuE6ELNS1_3repE0EEENS1_30default_config_static_selectorELNS0_4arch9wavefront6targetE1EEEvT1_
	.p2align	8
	.type	_ZN7rocprim17ROCPRIM_400000_NS6detail17trampoline_kernelINS0_14default_configENS1_35adjacent_difference_config_selectorILb0ElEEZNS1_24adjacent_difference_implIS3_Lb0ELb0EPlS7_ZN2at6native12_GLOBAL__N_124unique_dim_cuda_templateIbEESt5tupleIJNS8_6TensorESD_SD_EERKSD_lbbbEUlllE1_EE10hipError_tPvRmT2_T3_mT4_P12ihipStream_tbEUlT_E_NS1_11comp_targetILNS1_3genE2ELNS1_11target_archE906ELNS1_3gpuE6ELNS1_3repE0EEENS1_30default_config_static_selectorELNS0_4arch9wavefront6targetE1EEEvT1_,@function
_ZN7rocprim17ROCPRIM_400000_NS6detail17trampoline_kernelINS0_14default_configENS1_35adjacent_difference_config_selectorILb0ElEEZNS1_24adjacent_difference_implIS3_Lb0ELb0EPlS7_ZN2at6native12_GLOBAL__N_124unique_dim_cuda_templateIbEESt5tupleIJNS8_6TensorESD_SD_EERKSD_lbbbEUlllE1_EE10hipError_tPvRmT2_T3_mT4_P12ihipStream_tbEUlT_E_NS1_11comp_targetILNS1_3genE2ELNS1_11target_archE906ELNS1_3gpuE6ELNS1_3repE0EEENS1_30default_config_static_selectorELNS0_4arch9wavefront6targetE1EEEvT1_: ; @_ZN7rocprim17ROCPRIM_400000_NS6detail17trampoline_kernelINS0_14default_configENS1_35adjacent_difference_config_selectorILb0ElEEZNS1_24adjacent_difference_implIS3_Lb0ELb0EPlS7_ZN2at6native12_GLOBAL__N_124unique_dim_cuda_templateIbEESt5tupleIJNS8_6TensorESD_SD_EERKSD_lbbbEUlllE1_EE10hipError_tPvRmT2_T3_mT4_P12ihipStream_tbEUlT_E_NS1_11comp_targetILNS1_3genE2ELNS1_11target_archE906ELNS1_3gpuE6ELNS1_3repE0EEENS1_30default_config_static_selectorELNS0_4arch9wavefront6targetE1EEEvT1_
; %bb.0:
	.section	.rodata,"a",@progbits
	.p2align	6, 0x0
	.amdhsa_kernel _ZN7rocprim17ROCPRIM_400000_NS6detail17trampoline_kernelINS0_14default_configENS1_35adjacent_difference_config_selectorILb0ElEEZNS1_24adjacent_difference_implIS3_Lb0ELb0EPlS7_ZN2at6native12_GLOBAL__N_124unique_dim_cuda_templateIbEESt5tupleIJNS8_6TensorESD_SD_EERKSD_lbbbEUlllE1_EE10hipError_tPvRmT2_T3_mT4_P12ihipStream_tbEUlT_E_NS1_11comp_targetILNS1_3genE2ELNS1_11target_archE906ELNS1_3gpuE6ELNS1_3repE0EEENS1_30default_config_static_selectorELNS0_4arch9wavefront6targetE1EEEvT1_
		.amdhsa_group_segment_fixed_size 0
		.amdhsa_private_segment_fixed_size 0
		.amdhsa_kernarg_size 64
		.amdhsa_user_sgpr_count 6
		.amdhsa_user_sgpr_private_segment_buffer 1
		.amdhsa_user_sgpr_dispatch_ptr 0
		.amdhsa_user_sgpr_queue_ptr 0
		.amdhsa_user_sgpr_kernarg_segment_ptr 1
		.amdhsa_user_sgpr_dispatch_id 0
		.amdhsa_user_sgpr_flat_scratch_init 0
		.amdhsa_user_sgpr_kernarg_preload_length 0
		.amdhsa_user_sgpr_kernarg_preload_offset 0
		.amdhsa_user_sgpr_private_segment_size 0
		.amdhsa_uses_dynamic_stack 0
		.amdhsa_system_sgpr_private_segment_wavefront_offset 0
		.amdhsa_system_sgpr_workgroup_id_x 1
		.amdhsa_system_sgpr_workgroup_id_y 0
		.amdhsa_system_sgpr_workgroup_id_z 0
		.amdhsa_system_sgpr_workgroup_info 0
		.amdhsa_system_vgpr_workitem_id 0
		.amdhsa_next_free_vgpr 1
		.amdhsa_next_free_sgpr 0
		.amdhsa_accum_offset 4
		.amdhsa_reserve_vcc 0
		.amdhsa_reserve_flat_scratch 0
		.amdhsa_float_round_mode_32 0
		.amdhsa_float_round_mode_16_64 0
		.amdhsa_float_denorm_mode_32 3
		.amdhsa_float_denorm_mode_16_64 3
		.amdhsa_dx10_clamp 1
		.amdhsa_ieee_mode 1
		.amdhsa_fp16_overflow 0
		.amdhsa_tg_split 0
		.amdhsa_exception_fp_ieee_invalid_op 0
		.amdhsa_exception_fp_denorm_src 0
		.amdhsa_exception_fp_ieee_div_zero 0
		.amdhsa_exception_fp_ieee_overflow 0
		.amdhsa_exception_fp_ieee_underflow 0
		.amdhsa_exception_fp_ieee_inexact 0
		.amdhsa_exception_int_div_zero 0
	.end_amdhsa_kernel
	.section	.text._ZN7rocprim17ROCPRIM_400000_NS6detail17trampoline_kernelINS0_14default_configENS1_35adjacent_difference_config_selectorILb0ElEEZNS1_24adjacent_difference_implIS3_Lb0ELb0EPlS7_ZN2at6native12_GLOBAL__N_124unique_dim_cuda_templateIbEESt5tupleIJNS8_6TensorESD_SD_EERKSD_lbbbEUlllE1_EE10hipError_tPvRmT2_T3_mT4_P12ihipStream_tbEUlT_E_NS1_11comp_targetILNS1_3genE2ELNS1_11target_archE906ELNS1_3gpuE6ELNS1_3repE0EEENS1_30default_config_static_selectorELNS0_4arch9wavefront6targetE1EEEvT1_,"axG",@progbits,_ZN7rocprim17ROCPRIM_400000_NS6detail17trampoline_kernelINS0_14default_configENS1_35adjacent_difference_config_selectorILb0ElEEZNS1_24adjacent_difference_implIS3_Lb0ELb0EPlS7_ZN2at6native12_GLOBAL__N_124unique_dim_cuda_templateIbEESt5tupleIJNS8_6TensorESD_SD_EERKSD_lbbbEUlllE1_EE10hipError_tPvRmT2_T3_mT4_P12ihipStream_tbEUlT_E_NS1_11comp_targetILNS1_3genE2ELNS1_11target_archE906ELNS1_3gpuE6ELNS1_3repE0EEENS1_30default_config_static_selectorELNS0_4arch9wavefront6targetE1EEEvT1_,comdat
.Lfunc_end1031:
	.size	_ZN7rocprim17ROCPRIM_400000_NS6detail17trampoline_kernelINS0_14default_configENS1_35adjacent_difference_config_selectorILb0ElEEZNS1_24adjacent_difference_implIS3_Lb0ELb0EPlS7_ZN2at6native12_GLOBAL__N_124unique_dim_cuda_templateIbEESt5tupleIJNS8_6TensorESD_SD_EERKSD_lbbbEUlllE1_EE10hipError_tPvRmT2_T3_mT4_P12ihipStream_tbEUlT_E_NS1_11comp_targetILNS1_3genE2ELNS1_11target_archE906ELNS1_3gpuE6ELNS1_3repE0EEENS1_30default_config_static_selectorELNS0_4arch9wavefront6targetE1EEEvT1_, .Lfunc_end1031-_ZN7rocprim17ROCPRIM_400000_NS6detail17trampoline_kernelINS0_14default_configENS1_35adjacent_difference_config_selectorILb0ElEEZNS1_24adjacent_difference_implIS3_Lb0ELb0EPlS7_ZN2at6native12_GLOBAL__N_124unique_dim_cuda_templateIbEESt5tupleIJNS8_6TensorESD_SD_EERKSD_lbbbEUlllE1_EE10hipError_tPvRmT2_T3_mT4_P12ihipStream_tbEUlT_E_NS1_11comp_targetILNS1_3genE2ELNS1_11target_archE906ELNS1_3gpuE6ELNS1_3repE0EEENS1_30default_config_static_selectorELNS0_4arch9wavefront6targetE1EEEvT1_
                                        ; -- End function
	.section	.AMDGPU.csdata,"",@progbits
; Kernel info:
; codeLenInByte = 0
; NumSgprs: 4
; NumVgprs: 0
; NumAgprs: 0
; TotalNumVgprs: 0
; ScratchSize: 0
; MemoryBound: 0
; FloatMode: 240
; IeeeMode: 1
; LDSByteSize: 0 bytes/workgroup (compile time only)
; SGPRBlocks: 0
; VGPRBlocks: 0
; NumSGPRsForWavesPerEU: 4
; NumVGPRsForWavesPerEU: 1
; AccumOffset: 4
; Occupancy: 8
; WaveLimiterHint : 0
; COMPUTE_PGM_RSRC2:SCRATCH_EN: 0
; COMPUTE_PGM_RSRC2:USER_SGPR: 6
; COMPUTE_PGM_RSRC2:TRAP_HANDLER: 0
; COMPUTE_PGM_RSRC2:TGID_X_EN: 1
; COMPUTE_PGM_RSRC2:TGID_Y_EN: 0
; COMPUTE_PGM_RSRC2:TGID_Z_EN: 0
; COMPUTE_PGM_RSRC2:TIDIG_COMP_CNT: 0
; COMPUTE_PGM_RSRC3_GFX90A:ACCUM_OFFSET: 0
; COMPUTE_PGM_RSRC3_GFX90A:TG_SPLIT: 0
	.section	.text._ZN7rocprim17ROCPRIM_400000_NS6detail17trampoline_kernelINS0_14default_configENS1_35adjacent_difference_config_selectorILb0ElEEZNS1_24adjacent_difference_implIS3_Lb0ELb0EPlS7_ZN2at6native12_GLOBAL__N_124unique_dim_cuda_templateIbEESt5tupleIJNS8_6TensorESD_SD_EERKSD_lbbbEUlllE1_EE10hipError_tPvRmT2_T3_mT4_P12ihipStream_tbEUlT_E_NS1_11comp_targetILNS1_3genE9ELNS1_11target_archE1100ELNS1_3gpuE3ELNS1_3repE0EEENS1_30default_config_static_selectorELNS0_4arch9wavefront6targetE1EEEvT1_,"axG",@progbits,_ZN7rocprim17ROCPRIM_400000_NS6detail17trampoline_kernelINS0_14default_configENS1_35adjacent_difference_config_selectorILb0ElEEZNS1_24adjacent_difference_implIS3_Lb0ELb0EPlS7_ZN2at6native12_GLOBAL__N_124unique_dim_cuda_templateIbEESt5tupleIJNS8_6TensorESD_SD_EERKSD_lbbbEUlllE1_EE10hipError_tPvRmT2_T3_mT4_P12ihipStream_tbEUlT_E_NS1_11comp_targetILNS1_3genE9ELNS1_11target_archE1100ELNS1_3gpuE3ELNS1_3repE0EEENS1_30default_config_static_selectorELNS0_4arch9wavefront6targetE1EEEvT1_,comdat
	.globl	_ZN7rocprim17ROCPRIM_400000_NS6detail17trampoline_kernelINS0_14default_configENS1_35adjacent_difference_config_selectorILb0ElEEZNS1_24adjacent_difference_implIS3_Lb0ELb0EPlS7_ZN2at6native12_GLOBAL__N_124unique_dim_cuda_templateIbEESt5tupleIJNS8_6TensorESD_SD_EERKSD_lbbbEUlllE1_EE10hipError_tPvRmT2_T3_mT4_P12ihipStream_tbEUlT_E_NS1_11comp_targetILNS1_3genE9ELNS1_11target_archE1100ELNS1_3gpuE3ELNS1_3repE0EEENS1_30default_config_static_selectorELNS0_4arch9wavefront6targetE1EEEvT1_ ; -- Begin function _ZN7rocprim17ROCPRIM_400000_NS6detail17trampoline_kernelINS0_14default_configENS1_35adjacent_difference_config_selectorILb0ElEEZNS1_24adjacent_difference_implIS3_Lb0ELb0EPlS7_ZN2at6native12_GLOBAL__N_124unique_dim_cuda_templateIbEESt5tupleIJNS8_6TensorESD_SD_EERKSD_lbbbEUlllE1_EE10hipError_tPvRmT2_T3_mT4_P12ihipStream_tbEUlT_E_NS1_11comp_targetILNS1_3genE9ELNS1_11target_archE1100ELNS1_3gpuE3ELNS1_3repE0EEENS1_30default_config_static_selectorELNS0_4arch9wavefront6targetE1EEEvT1_
	.p2align	8
	.type	_ZN7rocprim17ROCPRIM_400000_NS6detail17trampoline_kernelINS0_14default_configENS1_35adjacent_difference_config_selectorILb0ElEEZNS1_24adjacent_difference_implIS3_Lb0ELb0EPlS7_ZN2at6native12_GLOBAL__N_124unique_dim_cuda_templateIbEESt5tupleIJNS8_6TensorESD_SD_EERKSD_lbbbEUlllE1_EE10hipError_tPvRmT2_T3_mT4_P12ihipStream_tbEUlT_E_NS1_11comp_targetILNS1_3genE9ELNS1_11target_archE1100ELNS1_3gpuE3ELNS1_3repE0EEENS1_30default_config_static_selectorELNS0_4arch9wavefront6targetE1EEEvT1_,@function
_ZN7rocprim17ROCPRIM_400000_NS6detail17trampoline_kernelINS0_14default_configENS1_35adjacent_difference_config_selectorILb0ElEEZNS1_24adjacent_difference_implIS3_Lb0ELb0EPlS7_ZN2at6native12_GLOBAL__N_124unique_dim_cuda_templateIbEESt5tupleIJNS8_6TensorESD_SD_EERKSD_lbbbEUlllE1_EE10hipError_tPvRmT2_T3_mT4_P12ihipStream_tbEUlT_E_NS1_11comp_targetILNS1_3genE9ELNS1_11target_archE1100ELNS1_3gpuE3ELNS1_3repE0EEENS1_30default_config_static_selectorELNS0_4arch9wavefront6targetE1EEEvT1_: ; @_ZN7rocprim17ROCPRIM_400000_NS6detail17trampoline_kernelINS0_14default_configENS1_35adjacent_difference_config_selectorILb0ElEEZNS1_24adjacent_difference_implIS3_Lb0ELb0EPlS7_ZN2at6native12_GLOBAL__N_124unique_dim_cuda_templateIbEESt5tupleIJNS8_6TensorESD_SD_EERKSD_lbbbEUlllE1_EE10hipError_tPvRmT2_T3_mT4_P12ihipStream_tbEUlT_E_NS1_11comp_targetILNS1_3genE9ELNS1_11target_archE1100ELNS1_3gpuE3ELNS1_3repE0EEENS1_30default_config_static_selectorELNS0_4arch9wavefront6targetE1EEEvT1_
; %bb.0:
	.section	.rodata,"a",@progbits
	.p2align	6, 0x0
	.amdhsa_kernel _ZN7rocprim17ROCPRIM_400000_NS6detail17trampoline_kernelINS0_14default_configENS1_35adjacent_difference_config_selectorILb0ElEEZNS1_24adjacent_difference_implIS3_Lb0ELb0EPlS7_ZN2at6native12_GLOBAL__N_124unique_dim_cuda_templateIbEESt5tupleIJNS8_6TensorESD_SD_EERKSD_lbbbEUlllE1_EE10hipError_tPvRmT2_T3_mT4_P12ihipStream_tbEUlT_E_NS1_11comp_targetILNS1_3genE9ELNS1_11target_archE1100ELNS1_3gpuE3ELNS1_3repE0EEENS1_30default_config_static_selectorELNS0_4arch9wavefront6targetE1EEEvT1_
		.amdhsa_group_segment_fixed_size 0
		.amdhsa_private_segment_fixed_size 0
		.amdhsa_kernarg_size 64
		.amdhsa_user_sgpr_count 6
		.amdhsa_user_sgpr_private_segment_buffer 1
		.amdhsa_user_sgpr_dispatch_ptr 0
		.amdhsa_user_sgpr_queue_ptr 0
		.amdhsa_user_sgpr_kernarg_segment_ptr 1
		.amdhsa_user_sgpr_dispatch_id 0
		.amdhsa_user_sgpr_flat_scratch_init 0
		.amdhsa_user_sgpr_kernarg_preload_length 0
		.amdhsa_user_sgpr_kernarg_preload_offset 0
		.amdhsa_user_sgpr_private_segment_size 0
		.amdhsa_uses_dynamic_stack 0
		.amdhsa_system_sgpr_private_segment_wavefront_offset 0
		.amdhsa_system_sgpr_workgroup_id_x 1
		.amdhsa_system_sgpr_workgroup_id_y 0
		.amdhsa_system_sgpr_workgroup_id_z 0
		.amdhsa_system_sgpr_workgroup_info 0
		.amdhsa_system_vgpr_workitem_id 0
		.amdhsa_next_free_vgpr 1
		.amdhsa_next_free_sgpr 0
		.amdhsa_accum_offset 4
		.amdhsa_reserve_vcc 0
		.amdhsa_reserve_flat_scratch 0
		.amdhsa_float_round_mode_32 0
		.amdhsa_float_round_mode_16_64 0
		.amdhsa_float_denorm_mode_32 3
		.amdhsa_float_denorm_mode_16_64 3
		.amdhsa_dx10_clamp 1
		.amdhsa_ieee_mode 1
		.amdhsa_fp16_overflow 0
		.amdhsa_tg_split 0
		.amdhsa_exception_fp_ieee_invalid_op 0
		.amdhsa_exception_fp_denorm_src 0
		.amdhsa_exception_fp_ieee_div_zero 0
		.amdhsa_exception_fp_ieee_overflow 0
		.amdhsa_exception_fp_ieee_underflow 0
		.amdhsa_exception_fp_ieee_inexact 0
		.amdhsa_exception_int_div_zero 0
	.end_amdhsa_kernel
	.section	.text._ZN7rocprim17ROCPRIM_400000_NS6detail17trampoline_kernelINS0_14default_configENS1_35adjacent_difference_config_selectorILb0ElEEZNS1_24adjacent_difference_implIS3_Lb0ELb0EPlS7_ZN2at6native12_GLOBAL__N_124unique_dim_cuda_templateIbEESt5tupleIJNS8_6TensorESD_SD_EERKSD_lbbbEUlllE1_EE10hipError_tPvRmT2_T3_mT4_P12ihipStream_tbEUlT_E_NS1_11comp_targetILNS1_3genE9ELNS1_11target_archE1100ELNS1_3gpuE3ELNS1_3repE0EEENS1_30default_config_static_selectorELNS0_4arch9wavefront6targetE1EEEvT1_,"axG",@progbits,_ZN7rocprim17ROCPRIM_400000_NS6detail17trampoline_kernelINS0_14default_configENS1_35adjacent_difference_config_selectorILb0ElEEZNS1_24adjacent_difference_implIS3_Lb0ELb0EPlS7_ZN2at6native12_GLOBAL__N_124unique_dim_cuda_templateIbEESt5tupleIJNS8_6TensorESD_SD_EERKSD_lbbbEUlllE1_EE10hipError_tPvRmT2_T3_mT4_P12ihipStream_tbEUlT_E_NS1_11comp_targetILNS1_3genE9ELNS1_11target_archE1100ELNS1_3gpuE3ELNS1_3repE0EEENS1_30default_config_static_selectorELNS0_4arch9wavefront6targetE1EEEvT1_,comdat
.Lfunc_end1032:
	.size	_ZN7rocprim17ROCPRIM_400000_NS6detail17trampoline_kernelINS0_14default_configENS1_35adjacent_difference_config_selectorILb0ElEEZNS1_24adjacent_difference_implIS3_Lb0ELb0EPlS7_ZN2at6native12_GLOBAL__N_124unique_dim_cuda_templateIbEESt5tupleIJNS8_6TensorESD_SD_EERKSD_lbbbEUlllE1_EE10hipError_tPvRmT2_T3_mT4_P12ihipStream_tbEUlT_E_NS1_11comp_targetILNS1_3genE9ELNS1_11target_archE1100ELNS1_3gpuE3ELNS1_3repE0EEENS1_30default_config_static_selectorELNS0_4arch9wavefront6targetE1EEEvT1_, .Lfunc_end1032-_ZN7rocprim17ROCPRIM_400000_NS6detail17trampoline_kernelINS0_14default_configENS1_35adjacent_difference_config_selectorILb0ElEEZNS1_24adjacent_difference_implIS3_Lb0ELb0EPlS7_ZN2at6native12_GLOBAL__N_124unique_dim_cuda_templateIbEESt5tupleIJNS8_6TensorESD_SD_EERKSD_lbbbEUlllE1_EE10hipError_tPvRmT2_T3_mT4_P12ihipStream_tbEUlT_E_NS1_11comp_targetILNS1_3genE9ELNS1_11target_archE1100ELNS1_3gpuE3ELNS1_3repE0EEENS1_30default_config_static_selectorELNS0_4arch9wavefront6targetE1EEEvT1_
                                        ; -- End function
	.section	.AMDGPU.csdata,"",@progbits
; Kernel info:
; codeLenInByte = 0
; NumSgprs: 4
; NumVgprs: 0
; NumAgprs: 0
; TotalNumVgprs: 0
; ScratchSize: 0
; MemoryBound: 0
; FloatMode: 240
; IeeeMode: 1
; LDSByteSize: 0 bytes/workgroup (compile time only)
; SGPRBlocks: 0
; VGPRBlocks: 0
; NumSGPRsForWavesPerEU: 4
; NumVGPRsForWavesPerEU: 1
; AccumOffset: 4
; Occupancy: 8
; WaveLimiterHint : 0
; COMPUTE_PGM_RSRC2:SCRATCH_EN: 0
; COMPUTE_PGM_RSRC2:USER_SGPR: 6
; COMPUTE_PGM_RSRC2:TRAP_HANDLER: 0
; COMPUTE_PGM_RSRC2:TGID_X_EN: 1
; COMPUTE_PGM_RSRC2:TGID_Y_EN: 0
; COMPUTE_PGM_RSRC2:TGID_Z_EN: 0
; COMPUTE_PGM_RSRC2:TIDIG_COMP_CNT: 0
; COMPUTE_PGM_RSRC3_GFX90A:ACCUM_OFFSET: 0
; COMPUTE_PGM_RSRC3_GFX90A:TG_SPLIT: 0
	.section	.text._ZN7rocprim17ROCPRIM_400000_NS6detail17trampoline_kernelINS0_14default_configENS1_35adjacent_difference_config_selectorILb0ElEEZNS1_24adjacent_difference_implIS3_Lb0ELb0EPlS7_ZN2at6native12_GLOBAL__N_124unique_dim_cuda_templateIbEESt5tupleIJNS8_6TensorESD_SD_EERKSD_lbbbEUlllE1_EE10hipError_tPvRmT2_T3_mT4_P12ihipStream_tbEUlT_E_NS1_11comp_targetILNS1_3genE8ELNS1_11target_archE1030ELNS1_3gpuE2ELNS1_3repE0EEENS1_30default_config_static_selectorELNS0_4arch9wavefront6targetE1EEEvT1_,"axG",@progbits,_ZN7rocprim17ROCPRIM_400000_NS6detail17trampoline_kernelINS0_14default_configENS1_35adjacent_difference_config_selectorILb0ElEEZNS1_24adjacent_difference_implIS3_Lb0ELb0EPlS7_ZN2at6native12_GLOBAL__N_124unique_dim_cuda_templateIbEESt5tupleIJNS8_6TensorESD_SD_EERKSD_lbbbEUlllE1_EE10hipError_tPvRmT2_T3_mT4_P12ihipStream_tbEUlT_E_NS1_11comp_targetILNS1_3genE8ELNS1_11target_archE1030ELNS1_3gpuE2ELNS1_3repE0EEENS1_30default_config_static_selectorELNS0_4arch9wavefront6targetE1EEEvT1_,comdat
	.globl	_ZN7rocprim17ROCPRIM_400000_NS6detail17trampoline_kernelINS0_14default_configENS1_35adjacent_difference_config_selectorILb0ElEEZNS1_24adjacent_difference_implIS3_Lb0ELb0EPlS7_ZN2at6native12_GLOBAL__N_124unique_dim_cuda_templateIbEESt5tupleIJNS8_6TensorESD_SD_EERKSD_lbbbEUlllE1_EE10hipError_tPvRmT2_T3_mT4_P12ihipStream_tbEUlT_E_NS1_11comp_targetILNS1_3genE8ELNS1_11target_archE1030ELNS1_3gpuE2ELNS1_3repE0EEENS1_30default_config_static_selectorELNS0_4arch9wavefront6targetE1EEEvT1_ ; -- Begin function _ZN7rocprim17ROCPRIM_400000_NS6detail17trampoline_kernelINS0_14default_configENS1_35adjacent_difference_config_selectorILb0ElEEZNS1_24adjacent_difference_implIS3_Lb0ELb0EPlS7_ZN2at6native12_GLOBAL__N_124unique_dim_cuda_templateIbEESt5tupleIJNS8_6TensorESD_SD_EERKSD_lbbbEUlllE1_EE10hipError_tPvRmT2_T3_mT4_P12ihipStream_tbEUlT_E_NS1_11comp_targetILNS1_3genE8ELNS1_11target_archE1030ELNS1_3gpuE2ELNS1_3repE0EEENS1_30default_config_static_selectorELNS0_4arch9wavefront6targetE1EEEvT1_
	.p2align	8
	.type	_ZN7rocprim17ROCPRIM_400000_NS6detail17trampoline_kernelINS0_14default_configENS1_35adjacent_difference_config_selectorILb0ElEEZNS1_24adjacent_difference_implIS3_Lb0ELb0EPlS7_ZN2at6native12_GLOBAL__N_124unique_dim_cuda_templateIbEESt5tupleIJNS8_6TensorESD_SD_EERKSD_lbbbEUlllE1_EE10hipError_tPvRmT2_T3_mT4_P12ihipStream_tbEUlT_E_NS1_11comp_targetILNS1_3genE8ELNS1_11target_archE1030ELNS1_3gpuE2ELNS1_3repE0EEENS1_30default_config_static_selectorELNS0_4arch9wavefront6targetE1EEEvT1_,@function
_ZN7rocprim17ROCPRIM_400000_NS6detail17trampoline_kernelINS0_14default_configENS1_35adjacent_difference_config_selectorILb0ElEEZNS1_24adjacent_difference_implIS3_Lb0ELb0EPlS7_ZN2at6native12_GLOBAL__N_124unique_dim_cuda_templateIbEESt5tupleIJNS8_6TensorESD_SD_EERKSD_lbbbEUlllE1_EE10hipError_tPvRmT2_T3_mT4_P12ihipStream_tbEUlT_E_NS1_11comp_targetILNS1_3genE8ELNS1_11target_archE1030ELNS1_3gpuE2ELNS1_3repE0EEENS1_30default_config_static_selectorELNS0_4arch9wavefront6targetE1EEEvT1_: ; @_ZN7rocprim17ROCPRIM_400000_NS6detail17trampoline_kernelINS0_14default_configENS1_35adjacent_difference_config_selectorILb0ElEEZNS1_24adjacent_difference_implIS3_Lb0ELb0EPlS7_ZN2at6native12_GLOBAL__N_124unique_dim_cuda_templateIbEESt5tupleIJNS8_6TensorESD_SD_EERKSD_lbbbEUlllE1_EE10hipError_tPvRmT2_T3_mT4_P12ihipStream_tbEUlT_E_NS1_11comp_targetILNS1_3genE8ELNS1_11target_archE1030ELNS1_3gpuE2ELNS1_3repE0EEENS1_30default_config_static_selectorELNS0_4arch9wavefront6targetE1EEEvT1_
; %bb.0:
	.section	.rodata,"a",@progbits
	.p2align	6, 0x0
	.amdhsa_kernel _ZN7rocprim17ROCPRIM_400000_NS6detail17trampoline_kernelINS0_14default_configENS1_35adjacent_difference_config_selectorILb0ElEEZNS1_24adjacent_difference_implIS3_Lb0ELb0EPlS7_ZN2at6native12_GLOBAL__N_124unique_dim_cuda_templateIbEESt5tupleIJNS8_6TensorESD_SD_EERKSD_lbbbEUlllE1_EE10hipError_tPvRmT2_T3_mT4_P12ihipStream_tbEUlT_E_NS1_11comp_targetILNS1_3genE8ELNS1_11target_archE1030ELNS1_3gpuE2ELNS1_3repE0EEENS1_30default_config_static_selectorELNS0_4arch9wavefront6targetE1EEEvT1_
		.amdhsa_group_segment_fixed_size 0
		.amdhsa_private_segment_fixed_size 0
		.amdhsa_kernarg_size 64
		.amdhsa_user_sgpr_count 6
		.amdhsa_user_sgpr_private_segment_buffer 1
		.amdhsa_user_sgpr_dispatch_ptr 0
		.amdhsa_user_sgpr_queue_ptr 0
		.amdhsa_user_sgpr_kernarg_segment_ptr 1
		.amdhsa_user_sgpr_dispatch_id 0
		.amdhsa_user_sgpr_flat_scratch_init 0
		.amdhsa_user_sgpr_kernarg_preload_length 0
		.amdhsa_user_sgpr_kernarg_preload_offset 0
		.amdhsa_user_sgpr_private_segment_size 0
		.amdhsa_uses_dynamic_stack 0
		.amdhsa_system_sgpr_private_segment_wavefront_offset 0
		.amdhsa_system_sgpr_workgroup_id_x 1
		.amdhsa_system_sgpr_workgroup_id_y 0
		.amdhsa_system_sgpr_workgroup_id_z 0
		.amdhsa_system_sgpr_workgroup_info 0
		.amdhsa_system_vgpr_workitem_id 0
		.amdhsa_next_free_vgpr 1
		.amdhsa_next_free_sgpr 0
		.amdhsa_accum_offset 4
		.amdhsa_reserve_vcc 0
		.amdhsa_reserve_flat_scratch 0
		.amdhsa_float_round_mode_32 0
		.amdhsa_float_round_mode_16_64 0
		.amdhsa_float_denorm_mode_32 3
		.amdhsa_float_denorm_mode_16_64 3
		.amdhsa_dx10_clamp 1
		.amdhsa_ieee_mode 1
		.amdhsa_fp16_overflow 0
		.amdhsa_tg_split 0
		.amdhsa_exception_fp_ieee_invalid_op 0
		.amdhsa_exception_fp_denorm_src 0
		.amdhsa_exception_fp_ieee_div_zero 0
		.amdhsa_exception_fp_ieee_overflow 0
		.amdhsa_exception_fp_ieee_underflow 0
		.amdhsa_exception_fp_ieee_inexact 0
		.amdhsa_exception_int_div_zero 0
	.end_amdhsa_kernel
	.section	.text._ZN7rocprim17ROCPRIM_400000_NS6detail17trampoline_kernelINS0_14default_configENS1_35adjacent_difference_config_selectorILb0ElEEZNS1_24adjacent_difference_implIS3_Lb0ELb0EPlS7_ZN2at6native12_GLOBAL__N_124unique_dim_cuda_templateIbEESt5tupleIJNS8_6TensorESD_SD_EERKSD_lbbbEUlllE1_EE10hipError_tPvRmT2_T3_mT4_P12ihipStream_tbEUlT_E_NS1_11comp_targetILNS1_3genE8ELNS1_11target_archE1030ELNS1_3gpuE2ELNS1_3repE0EEENS1_30default_config_static_selectorELNS0_4arch9wavefront6targetE1EEEvT1_,"axG",@progbits,_ZN7rocprim17ROCPRIM_400000_NS6detail17trampoline_kernelINS0_14default_configENS1_35adjacent_difference_config_selectorILb0ElEEZNS1_24adjacent_difference_implIS3_Lb0ELb0EPlS7_ZN2at6native12_GLOBAL__N_124unique_dim_cuda_templateIbEESt5tupleIJNS8_6TensorESD_SD_EERKSD_lbbbEUlllE1_EE10hipError_tPvRmT2_T3_mT4_P12ihipStream_tbEUlT_E_NS1_11comp_targetILNS1_3genE8ELNS1_11target_archE1030ELNS1_3gpuE2ELNS1_3repE0EEENS1_30default_config_static_selectorELNS0_4arch9wavefront6targetE1EEEvT1_,comdat
.Lfunc_end1033:
	.size	_ZN7rocprim17ROCPRIM_400000_NS6detail17trampoline_kernelINS0_14default_configENS1_35adjacent_difference_config_selectorILb0ElEEZNS1_24adjacent_difference_implIS3_Lb0ELb0EPlS7_ZN2at6native12_GLOBAL__N_124unique_dim_cuda_templateIbEESt5tupleIJNS8_6TensorESD_SD_EERKSD_lbbbEUlllE1_EE10hipError_tPvRmT2_T3_mT4_P12ihipStream_tbEUlT_E_NS1_11comp_targetILNS1_3genE8ELNS1_11target_archE1030ELNS1_3gpuE2ELNS1_3repE0EEENS1_30default_config_static_selectorELNS0_4arch9wavefront6targetE1EEEvT1_, .Lfunc_end1033-_ZN7rocprim17ROCPRIM_400000_NS6detail17trampoline_kernelINS0_14default_configENS1_35adjacent_difference_config_selectorILb0ElEEZNS1_24adjacent_difference_implIS3_Lb0ELb0EPlS7_ZN2at6native12_GLOBAL__N_124unique_dim_cuda_templateIbEESt5tupleIJNS8_6TensorESD_SD_EERKSD_lbbbEUlllE1_EE10hipError_tPvRmT2_T3_mT4_P12ihipStream_tbEUlT_E_NS1_11comp_targetILNS1_3genE8ELNS1_11target_archE1030ELNS1_3gpuE2ELNS1_3repE0EEENS1_30default_config_static_selectorELNS0_4arch9wavefront6targetE1EEEvT1_
                                        ; -- End function
	.section	.AMDGPU.csdata,"",@progbits
; Kernel info:
; codeLenInByte = 0
; NumSgprs: 4
; NumVgprs: 0
; NumAgprs: 0
; TotalNumVgprs: 0
; ScratchSize: 0
; MemoryBound: 0
; FloatMode: 240
; IeeeMode: 1
; LDSByteSize: 0 bytes/workgroup (compile time only)
; SGPRBlocks: 0
; VGPRBlocks: 0
; NumSGPRsForWavesPerEU: 4
; NumVGPRsForWavesPerEU: 1
; AccumOffset: 4
; Occupancy: 8
; WaveLimiterHint : 0
; COMPUTE_PGM_RSRC2:SCRATCH_EN: 0
; COMPUTE_PGM_RSRC2:USER_SGPR: 6
; COMPUTE_PGM_RSRC2:TRAP_HANDLER: 0
; COMPUTE_PGM_RSRC2:TGID_X_EN: 1
; COMPUTE_PGM_RSRC2:TGID_Y_EN: 0
; COMPUTE_PGM_RSRC2:TGID_Z_EN: 0
; COMPUTE_PGM_RSRC2:TIDIG_COMP_CNT: 0
; COMPUTE_PGM_RSRC3_GFX90A:ACCUM_OFFSET: 0
; COMPUTE_PGM_RSRC3_GFX90A:TG_SPLIT: 0
	.section	.text._ZN7rocprim17ROCPRIM_400000_NS6detail17trampoline_kernelINS0_14default_configENS1_25transform_config_selectorIlLb0EEEZNS1_14transform_implILb0ES3_S5_NS0_18transform_iteratorINS0_17counting_iteratorImlEEZNS1_24adjacent_difference_implIS3_Lb1ELb0EPlSB_ZN2at6native12_GLOBAL__N_124unique_dim_cuda_templateIbEESt5tupleIJNSC_6TensorESH_SH_EERKSH_lbbbEUlllE1_EE10hipError_tPvRmT2_T3_mT4_P12ihipStream_tbEUlmE_lEESB_NS0_8identityIvEEEESM_SP_SQ_mSR_ST_bEUlT_E_NS1_11comp_targetILNS1_3genE0ELNS1_11target_archE4294967295ELNS1_3gpuE0ELNS1_3repE0EEENS1_30default_config_static_selectorELNS0_4arch9wavefront6targetE1EEEvT1_,"axG",@progbits,_ZN7rocprim17ROCPRIM_400000_NS6detail17trampoline_kernelINS0_14default_configENS1_25transform_config_selectorIlLb0EEEZNS1_14transform_implILb0ES3_S5_NS0_18transform_iteratorINS0_17counting_iteratorImlEEZNS1_24adjacent_difference_implIS3_Lb1ELb0EPlSB_ZN2at6native12_GLOBAL__N_124unique_dim_cuda_templateIbEESt5tupleIJNSC_6TensorESH_SH_EERKSH_lbbbEUlllE1_EE10hipError_tPvRmT2_T3_mT4_P12ihipStream_tbEUlmE_lEESB_NS0_8identityIvEEEESM_SP_SQ_mSR_ST_bEUlT_E_NS1_11comp_targetILNS1_3genE0ELNS1_11target_archE4294967295ELNS1_3gpuE0ELNS1_3repE0EEENS1_30default_config_static_selectorELNS0_4arch9wavefront6targetE1EEEvT1_,comdat
	.globl	_ZN7rocprim17ROCPRIM_400000_NS6detail17trampoline_kernelINS0_14default_configENS1_25transform_config_selectorIlLb0EEEZNS1_14transform_implILb0ES3_S5_NS0_18transform_iteratorINS0_17counting_iteratorImlEEZNS1_24adjacent_difference_implIS3_Lb1ELb0EPlSB_ZN2at6native12_GLOBAL__N_124unique_dim_cuda_templateIbEESt5tupleIJNSC_6TensorESH_SH_EERKSH_lbbbEUlllE1_EE10hipError_tPvRmT2_T3_mT4_P12ihipStream_tbEUlmE_lEESB_NS0_8identityIvEEEESM_SP_SQ_mSR_ST_bEUlT_E_NS1_11comp_targetILNS1_3genE0ELNS1_11target_archE4294967295ELNS1_3gpuE0ELNS1_3repE0EEENS1_30default_config_static_selectorELNS0_4arch9wavefront6targetE1EEEvT1_ ; -- Begin function _ZN7rocprim17ROCPRIM_400000_NS6detail17trampoline_kernelINS0_14default_configENS1_25transform_config_selectorIlLb0EEEZNS1_14transform_implILb0ES3_S5_NS0_18transform_iteratorINS0_17counting_iteratorImlEEZNS1_24adjacent_difference_implIS3_Lb1ELb0EPlSB_ZN2at6native12_GLOBAL__N_124unique_dim_cuda_templateIbEESt5tupleIJNSC_6TensorESH_SH_EERKSH_lbbbEUlllE1_EE10hipError_tPvRmT2_T3_mT4_P12ihipStream_tbEUlmE_lEESB_NS0_8identityIvEEEESM_SP_SQ_mSR_ST_bEUlT_E_NS1_11comp_targetILNS1_3genE0ELNS1_11target_archE4294967295ELNS1_3gpuE0ELNS1_3repE0EEENS1_30default_config_static_selectorELNS0_4arch9wavefront6targetE1EEEvT1_
	.p2align	8
	.type	_ZN7rocprim17ROCPRIM_400000_NS6detail17trampoline_kernelINS0_14default_configENS1_25transform_config_selectorIlLb0EEEZNS1_14transform_implILb0ES3_S5_NS0_18transform_iteratorINS0_17counting_iteratorImlEEZNS1_24adjacent_difference_implIS3_Lb1ELb0EPlSB_ZN2at6native12_GLOBAL__N_124unique_dim_cuda_templateIbEESt5tupleIJNSC_6TensorESH_SH_EERKSH_lbbbEUlllE1_EE10hipError_tPvRmT2_T3_mT4_P12ihipStream_tbEUlmE_lEESB_NS0_8identityIvEEEESM_SP_SQ_mSR_ST_bEUlT_E_NS1_11comp_targetILNS1_3genE0ELNS1_11target_archE4294967295ELNS1_3gpuE0ELNS1_3repE0EEENS1_30default_config_static_selectorELNS0_4arch9wavefront6targetE1EEEvT1_,@function
_ZN7rocprim17ROCPRIM_400000_NS6detail17trampoline_kernelINS0_14default_configENS1_25transform_config_selectorIlLb0EEEZNS1_14transform_implILb0ES3_S5_NS0_18transform_iteratorINS0_17counting_iteratorImlEEZNS1_24adjacent_difference_implIS3_Lb1ELb0EPlSB_ZN2at6native12_GLOBAL__N_124unique_dim_cuda_templateIbEESt5tupleIJNSC_6TensorESH_SH_EERKSH_lbbbEUlllE1_EE10hipError_tPvRmT2_T3_mT4_P12ihipStream_tbEUlmE_lEESB_NS0_8identityIvEEEESM_SP_SQ_mSR_ST_bEUlT_E_NS1_11comp_targetILNS1_3genE0ELNS1_11target_archE4294967295ELNS1_3gpuE0ELNS1_3repE0EEENS1_30default_config_static_selectorELNS0_4arch9wavefront6targetE1EEEvT1_: ; @_ZN7rocprim17ROCPRIM_400000_NS6detail17trampoline_kernelINS0_14default_configENS1_25transform_config_selectorIlLb0EEEZNS1_14transform_implILb0ES3_S5_NS0_18transform_iteratorINS0_17counting_iteratorImlEEZNS1_24adjacent_difference_implIS3_Lb1ELb0EPlSB_ZN2at6native12_GLOBAL__N_124unique_dim_cuda_templateIbEESt5tupleIJNSC_6TensorESH_SH_EERKSH_lbbbEUlllE1_EE10hipError_tPvRmT2_T3_mT4_P12ihipStream_tbEUlmE_lEESB_NS0_8identityIvEEEESM_SP_SQ_mSR_ST_bEUlT_E_NS1_11comp_targetILNS1_3genE0ELNS1_11target_archE4294967295ELNS1_3gpuE0ELNS1_3repE0EEENS1_30default_config_static_selectorELNS0_4arch9wavefront6targetE1EEEvT1_
; %bb.0:
	.section	.rodata,"a",@progbits
	.p2align	6, 0x0
	.amdhsa_kernel _ZN7rocprim17ROCPRIM_400000_NS6detail17trampoline_kernelINS0_14default_configENS1_25transform_config_selectorIlLb0EEEZNS1_14transform_implILb0ES3_S5_NS0_18transform_iteratorINS0_17counting_iteratorImlEEZNS1_24adjacent_difference_implIS3_Lb1ELb0EPlSB_ZN2at6native12_GLOBAL__N_124unique_dim_cuda_templateIbEESt5tupleIJNSC_6TensorESH_SH_EERKSH_lbbbEUlllE1_EE10hipError_tPvRmT2_T3_mT4_P12ihipStream_tbEUlmE_lEESB_NS0_8identityIvEEEESM_SP_SQ_mSR_ST_bEUlT_E_NS1_11comp_targetILNS1_3genE0ELNS1_11target_archE4294967295ELNS1_3gpuE0ELNS1_3repE0EEENS1_30default_config_static_selectorELNS0_4arch9wavefront6targetE1EEEvT1_
		.amdhsa_group_segment_fixed_size 0
		.amdhsa_private_segment_fixed_size 0
		.amdhsa_kernarg_size 56
		.amdhsa_user_sgpr_count 6
		.amdhsa_user_sgpr_private_segment_buffer 1
		.amdhsa_user_sgpr_dispatch_ptr 0
		.amdhsa_user_sgpr_queue_ptr 0
		.amdhsa_user_sgpr_kernarg_segment_ptr 1
		.amdhsa_user_sgpr_dispatch_id 0
		.amdhsa_user_sgpr_flat_scratch_init 0
		.amdhsa_user_sgpr_kernarg_preload_length 0
		.amdhsa_user_sgpr_kernarg_preload_offset 0
		.amdhsa_user_sgpr_private_segment_size 0
		.amdhsa_uses_dynamic_stack 0
		.amdhsa_system_sgpr_private_segment_wavefront_offset 0
		.amdhsa_system_sgpr_workgroup_id_x 1
		.amdhsa_system_sgpr_workgroup_id_y 0
		.amdhsa_system_sgpr_workgroup_id_z 0
		.amdhsa_system_sgpr_workgroup_info 0
		.amdhsa_system_vgpr_workitem_id 0
		.amdhsa_next_free_vgpr 1
		.amdhsa_next_free_sgpr 0
		.amdhsa_accum_offset 4
		.amdhsa_reserve_vcc 0
		.amdhsa_reserve_flat_scratch 0
		.amdhsa_float_round_mode_32 0
		.amdhsa_float_round_mode_16_64 0
		.amdhsa_float_denorm_mode_32 3
		.amdhsa_float_denorm_mode_16_64 3
		.amdhsa_dx10_clamp 1
		.amdhsa_ieee_mode 1
		.amdhsa_fp16_overflow 0
		.amdhsa_tg_split 0
		.amdhsa_exception_fp_ieee_invalid_op 0
		.amdhsa_exception_fp_denorm_src 0
		.amdhsa_exception_fp_ieee_div_zero 0
		.amdhsa_exception_fp_ieee_overflow 0
		.amdhsa_exception_fp_ieee_underflow 0
		.amdhsa_exception_fp_ieee_inexact 0
		.amdhsa_exception_int_div_zero 0
	.end_amdhsa_kernel
	.section	.text._ZN7rocprim17ROCPRIM_400000_NS6detail17trampoline_kernelINS0_14default_configENS1_25transform_config_selectorIlLb0EEEZNS1_14transform_implILb0ES3_S5_NS0_18transform_iteratorINS0_17counting_iteratorImlEEZNS1_24adjacent_difference_implIS3_Lb1ELb0EPlSB_ZN2at6native12_GLOBAL__N_124unique_dim_cuda_templateIbEESt5tupleIJNSC_6TensorESH_SH_EERKSH_lbbbEUlllE1_EE10hipError_tPvRmT2_T3_mT4_P12ihipStream_tbEUlmE_lEESB_NS0_8identityIvEEEESM_SP_SQ_mSR_ST_bEUlT_E_NS1_11comp_targetILNS1_3genE0ELNS1_11target_archE4294967295ELNS1_3gpuE0ELNS1_3repE0EEENS1_30default_config_static_selectorELNS0_4arch9wavefront6targetE1EEEvT1_,"axG",@progbits,_ZN7rocprim17ROCPRIM_400000_NS6detail17trampoline_kernelINS0_14default_configENS1_25transform_config_selectorIlLb0EEEZNS1_14transform_implILb0ES3_S5_NS0_18transform_iteratorINS0_17counting_iteratorImlEEZNS1_24adjacent_difference_implIS3_Lb1ELb0EPlSB_ZN2at6native12_GLOBAL__N_124unique_dim_cuda_templateIbEESt5tupleIJNSC_6TensorESH_SH_EERKSH_lbbbEUlllE1_EE10hipError_tPvRmT2_T3_mT4_P12ihipStream_tbEUlmE_lEESB_NS0_8identityIvEEEESM_SP_SQ_mSR_ST_bEUlT_E_NS1_11comp_targetILNS1_3genE0ELNS1_11target_archE4294967295ELNS1_3gpuE0ELNS1_3repE0EEENS1_30default_config_static_selectorELNS0_4arch9wavefront6targetE1EEEvT1_,comdat
.Lfunc_end1034:
	.size	_ZN7rocprim17ROCPRIM_400000_NS6detail17trampoline_kernelINS0_14default_configENS1_25transform_config_selectorIlLb0EEEZNS1_14transform_implILb0ES3_S5_NS0_18transform_iteratorINS0_17counting_iteratorImlEEZNS1_24adjacent_difference_implIS3_Lb1ELb0EPlSB_ZN2at6native12_GLOBAL__N_124unique_dim_cuda_templateIbEESt5tupleIJNSC_6TensorESH_SH_EERKSH_lbbbEUlllE1_EE10hipError_tPvRmT2_T3_mT4_P12ihipStream_tbEUlmE_lEESB_NS0_8identityIvEEEESM_SP_SQ_mSR_ST_bEUlT_E_NS1_11comp_targetILNS1_3genE0ELNS1_11target_archE4294967295ELNS1_3gpuE0ELNS1_3repE0EEENS1_30default_config_static_selectorELNS0_4arch9wavefront6targetE1EEEvT1_, .Lfunc_end1034-_ZN7rocprim17ROCPRIM_400000_NS6detail17trampoline_kernelINS0_14default_configENS1_25transform_config_selectorIlLb0EEEZNS1_14transform_implILb0ES3_S5_NS0_18transform_iteratorINS0_17counting_iteratorImlEEZNS1_24adjacent_difference_implIS3_Lb1ELb0EPlSB_ZN2at6native12_GLOBAL__N_124unique_dim_cuda_templateIbEESt5tupleIJNSC_6TensorESH_SH_EERKSH_lbbbEUlllE1_EE10hipError_tPvRmT2_T3_mT4_P12ihipStream_tbEUlmE_lEESB_NS0_8identityIvEEEESM_SP_SQ_mSR_ST_bEUlT_E_NS1_11comp_targetILNS1_3genE0ELNS1_11target_archE4294967295ELNS1_3gpuE0ELNS1_3repE0EEENS1_30default_config_static_selectorELNS0_4arch9wavefront6targetE1EEEvT1_
                                        ; -- End function
	.section	.AMDGPU.csdata,"",@progbits
; Kernel info:
; codeLenInByte = 0
; NumSgprs: 4
; NumVgprs: 0
; NumAgprs: 0
; TotalNumVgprs: 0
; ScratchSize: 0
; MemoryBound: 0
; FloatMode: 240
; IeeeMode: 1
; LDSByteSize: 0 bytes/workgroup (compile time only)
; SGPRBlocks: 0
; VGPRBlocks: 0
; NumSGPRsForWavesPerEU: 4
; NumVGPRsForWavesPerEU: 1
; AccumOffset: 4
; Occupancy: 8
; WaveLimiterHint : 0
; COMPUTE_PGM_RSRC2:SCRATCH_EN: 0
; COMPUTE_PGM_RSRC2:USER_SGPR: 6
; COMPUTE_PGM_RSRC2:TRAP_HANDLER: 0
; COMPUTE_PGM_RSRC2:TGID_X_EN: 1
; COMPUTE_PGM_RSRC2:TGID_Y_EN: 0
; COMPUTE_PGM_RSRC2:TGID_Z_EN: 0
; COMPUTE_PGM_RSRC2:TIDIG_COMP_CNT: 0
; COMPUTE_PGM_RSRC3_GFX90A:ACCUM_OFFSET: 0
; COMPUTE_PGM_RSRC3_GFX90A:TG_SPLIT: 0
	.section	.text._ZN7rocprim17ROCPRIM_400000_NS6detail17trampoline_kernelINS0_14default_configENS1_25transform_config_selectorIlLb0EEEZNS1_14transform_implILb0ES3_S5_NS0_18transform_iteratorINS0_17counting_iteratorImlEEZNS1_24adjacent_difference_implIS3_Lb1ELb0EPlSB_ZN2at6native12_GLOBAL__N_124unique_dim_cuda_templateIbEESt5tupleIJNSC_6TensorESH_SH_EERKSH_lbbbEUlllE1_EE10hipError_tPvRmT2_T3_mT4_P12ihipStream_tbEUlmE_lEESB_NS0_8identityIvEEEESM_SP_SQ_mSR_ST_bEUlT_E_NS1_11comp_targetILNS1_3genE5ELNS1_11target_archE942ELNS1_3gpuE9ELNS1_3repE0EEENS1_30default_config_static_selectorELNS0_4arch9wavefront6targetE1EEEvT1_,"axG",@progbits,_ZN7rocprim17ROCPRIM_400000_NS6detail17trampoline_kernelINS0_14default_configENS1_25transform_config_selectorIlLb0EEEZNS1_14transform_implILb0ES3_S5_NS0_18transform_iteratorINS0_17counting_iteratorImlEEZNS1_24adjacent_difference_implIS3_Lb1ELb0EPlSB_ZN2at6native12_GLOBAL__N_124unique_dim_cuda_templateIbEESt5tupleIJNSC_6TensorESH_SH_EERKSH_lbbbEUlllE1_EE10hipError_tPvRmT2_T3_mT4_P12ihipStream_tbEUlmE_lEESB_NS0_8identityIvEEEESM_SP_SQ_mSR_ST_bEUlT_E_NS1_11comp_targetILNS1_3genE5ELNS1_11target_archE942ELNS1_3gpuE9ELNS1_3repE0EEENS1_30default_config_static_selectorELNS0_4arch9wavefront6targetE1EEEvT1_,comdat
	.globl	_ZN7rocprim17ROCPRIM_400000_NS6detail17trampoline_kernelINS0_14default_configENS1_25transform_config_selectorIlLb0EEEZNS1_14transform_implILb0ES3_S5_NS0_18transform_iteratorINS0_17counting_iteratorImlEEZNS1_24adjacent_difference_implIS3_Lb1ELb0EPlSB_ZN2at6native12_GLOBAL__N_124unique_dim_cuda_templateIbEESt5tupleIJNSC_6TensorESH_SH_EERKSH_lbbbEUlllE1_EE10hipError_tPvRmT2_T3_mT4_P12ihipStream_tbEUlmE_lEESB_NS0_8identityIvEEEESM_SP_SQ_mSR_ST_bEUlT_E_NS1_11comp_targetILNS1_3genE5ELNS1_11target_archE942ELNS1_3gpuE9ELNS1_3repE0EEENS1_30default_config_static_selectorELNS0_4arch9wavefront6targetE1EEEvT1_ ; -- Begin function _ZN7rocprim17ROCPRIM_400000_NS6detail17trampoline_kernelINS0_14default_configENS1_25transform_config_selectorIlLb0EEEZNS1_14transform_implILb0ES3_S5_NS0_18transform_iteratorINS0_17counting_iteratorImlEEZNS1_24adjacent_difference_implIS3_Lb1ELb0EPlSB_ZN2at6native12_GLOBAL__N_124unique_dim_cuda_templateIbEESt5tupleIJNSC_6TensorESH_SH_EERKSH_lbbbEUlllE1_EE10hipError_tPvRmT2_T3_mT4_P12ihipStream_tbEUlmE_lEESB_NS0_8identityIvEEEESM_SP_SQ_mSR_ST_bEUlT_E_NS1_11comp_targetILNS1_3genE5ELNS1_11target_archE942ELNS1_3gpuE9ELNS1_3repE0EEENS1_30default_config_static_selectorELNS0_4arch9wavefront6targetE1EEEvT1_
	.p2align	8
	.type	_ZN7rocprim17ROCPRIM_400000_NS6detail17trampoline_kernelINS0_14default_configENS1_25transform_config_selectorIlLb0EEEZNS1_14transform_implILb0ES3_S5_NS0_18transform_iteratorINS0_17counting_iteratorImlEEZNS1_24adjacent_difference_implIS3_Lb1ELb0EPlSB_ZN2at6native12_GLOBAL__N_124unique_dim_cuda_templateIbEESt5tupleIJNSC_6TensorESH_SH_EERKSH_lbbbEUlllE1_EE10hipError_tPvRmT2_T3_mT4_P12ihipStream_tbEUlmE_lEESB_NS0_8identityIvEEEESM_SP_SQ_mSR_ST_bEUlT_E_NS1_11comp_targetILNS1_3genE5ELNS1_11target_archE942ELNS1_3gpuE9ELNS1_3repE0EEENS1_30default_config_static_selectorELNS0_4arch9wavefront6targetE1EEEvT1_,@function
_ZN7rocprim17ROCPRIM_400000_NS6detail17trampoline_kernelINS0_14default_configENS1_25transform_config_selectorIlLb0EEEZNS1_14transform_implILb0ES3_S5_NS0_18transform_iteratorINS0_17counting_iteratorImlEEZNS1_24adjacent_difference_implIS3_Lb1ELb0EPlSB_ZN2at6native12_GLOBAL__N_124unique_dim_cuda_templateIbEESt5tupleIJNSC_6TensorESH_SH_EERKSH_lbbbEUlllE1_EE10hipError_tPvRmT2_T3_mT4_P12ihipStream_tbEUlmE_lEESB_NS0_8identityIvEEEESM_SP_SQ_mSR_ST_bEUlT_E_NS1_11comp_targetILNS1_3genE5ELNS1_11target_archE942ELNS1_3gpuE9ELNS1_3repE0EEENS1_30default_config_static_selectorELNS0_4arch9wavefront6targetE1EEEvT1_: ; @_ZN7rocprim17ROCPRIM_400000_NS6detail17trampoline_kernelINS0_14default_configENS1_25transform_config_selectorIlLb0EEEZNS1_14transform_implILb0ES3_S5_NS0_18transform_iteratorINS0_17counting_iteratorImlEEZNS1_24adjacent_difference_implIS3_Lb1ELb0EPlSB_ZN2at6native12_GLOBAL__N_124unique_dim_cuda_templateIbEESt5tupleIJNSC_6TensorESH_SH_EERKSH_lbbbEUlllE1_EE10hipError_tPvRmT2_T3_mT4_P12ihipStream_tbEUlmE_lEESB_NS0_8identityIvEEEESM_SP_SQ_mSR_ST_bEUlT_E_NS1_11comp_targetILNS1_3genE5ELNS1_11target_archE942ELNS1_3gpuE9ELNS1_3repE0EEENS1_30default_config_static_selectorELNS0_4arch9wavefront6targetE1EEEvT1_
; %bb.0:
	.section	.rodata,"a",@progbits
	.p2align	6, 0x0
	.amdhsa_kernel _ZN7rocprim17ROCPRIM_400000_NS6detail17trampoline_kernelINS0_14default_configENS1_25transform_config_selectorIlLb0EEEZNS1_14transform_implILb0ES3_S5_NS0_18transform_iteratorINS0_17counting_iteratorImlEEZNS1_24adjacent_difference_implIS3_Lb1ELb0EPlSB_ZN2at6native12_GLOBAL__N_124unique_dim_cuda_templateIbEESt5tupleIJNSC_6TensorESH_SH_EERKSH_lbbbEUlllE1_EE10hipError_tPvRmT2_T3_mT4_P12ihipStream_tbEUlmE_lEESB_NS0_8identityIvEEEESM_SP_SQ_mSR_ST_bEUlT_E_NS1_11comp_targetILNS1_3genE5ELNS1_11target_archE942ELNS1_3gpuE9ELNS1_3repE0EEENS1_30default_config_static_selectorELNS0_4arch9wavefront6targetE1EEEvT1_
		.amdhsa_group_segment_fixed_size 0
		.amdhsa_private_segment_fixed_size 0
		.amdhsa_kernarg_size 56
		.amdhsa_user_sgpr_count 6
		.amdhsa_user_sgpr_private_segment_buffer 1
		.amdhsa_user_sgpr_dispatch_ptr 0
		.amdhsa_user_sgpr_queue_ptr 0
		.amdhsa_user_sgpr_kernarg_segment_ptr 1
		.amdhsa_user_sgpr_dispatch_id 0
		.amdhsa_user_sgpr_flat_scratch_init 0
		.amdhsa_user_sgpr_kernarg_preload_length 0
		.amdhsa_user_sgpr_kernarg_preload_offset 0
		.amdhsa_user_sgpr_private_segment_size 0
		.amdhsa_uses_dynamic_stack 0
		.amdhsa_system_sgpr_private_segment_wavefront_offset 0
		.amdhsa_system_sgpr_workgroup_id_x 1
		.amdhsa_system_sgpr_workgroup_id_y 0
		.amdhsa_system_sgpr_workgroup_id_z 0
		.amdhsa_system_sgpr_workgroup_info 0
		.amdhsa_system_vgpr_workitem_id 0
		.amdhsa_next_free_vgpr 1
		.amdhsa_next_free_sgpr 0
		.amdhsa_accum_offset 4
		.amdhsa_reserve_vcc 0
		.amdhsa_reserve_flat_scratch 0
		.amdhsa_float_round_mode_32 0
		.amdhsa_float_round_mode_16_64 0
		.amdhsa_float_denorm_mode_32 3
		.amdhsa_float_denorm_mode_16_64 3
		.amdhsa_dx10_clamp 1
		.amdhsa_ieee_mode 1
		.amdhsa_fp16_overflow 0
		.amdhsa_tg_split 0
		.amdhsa_exception_fp_ieee_invalid_op 0
		.amdhsa_exception_fp_denorm_src 0
		.amdhsa_exception_fp_ieee_div_zero 0
		.amdhsa_exception_fp_ieee_overflow 0
		.amdhsa_exception_fp_ieee_underflow 0
		.amdhsa_exception_fp_ieee_inexact 0
		.amdhsa_exception_int_div_zero 0
	.end_amdhsa_kernel
	.section	.text._ZN7rocprim17ROCPRIM_400000_NS6detail17trampoline_kernelINS0_14default_configENS1_25transform_config_selectorIlLb0EEEZNS1_14transform_implILb0ES3_S5_NS0_18transform_iteratorINS0_17counting_iteratorImlEEZNS1_24adjacent_difference_implIS3_Lb1ELb0EPlSB_ZN2at6native12_GLOBAL__N_124unique_dim_cuda_templateIbEESt5tupleIJNSC_6TensorESH_SH_EERKSH_lbbbEUlllE1_EE10hipError_tPvRmT2_T3_mT4_P12ihipStream_tbEUlmE_lEESB_NS0_8identityIvEEEESM_SP_SQ_mSR_ST_bEUlT_E_NS1_11comp_targetILNS1_3genE5ELNS1_11target_archE942ELNS1_3gpuE9ELNS1_3repE0EEENS1_30default_config_static_selectorELNS0_4arch9wavefront6targetE1EEEvT1_,"axG",@progbits,_ZN7rocprim17ROCPRIM_400000_NS6detail17trampoline_kernelINS0_14default_configENS1_25transform_config_selectorIlLb0EEEZNS1_14transform_implILb0ES3_S5_NS0_18transform_iteratorINS0_17counting_iteratorImlEEZNS1_24adjacent_difference_implIS3_Lb1ELb0EPlSB_ZN2at6native12_GLOBAL__N_124unique_dim_cuda_templateIbEESt5tupleIJNSC_6TensorESH_SH_EERKSH_lbbbEUlllE1_EE10hipError_tPvRmT2_T3_mT4_P12ihipStream_tbEUlmE_lEESB_NS0_8identityIvEEEESM_SP_SQ_mSR_ST_bEUlT_E_NS1_11comp_targetILNS1_3genE5ELNS1_11target_archE942ELNS1_3gpuE9ELNS1_3repE0EEENS1_30default_config_static_selectorELNS0_4arch9wavefront6targetE1EEEvT1_,comdat
.Lfunc_end1035:
	.size	_ZN7rocprim17ROCPRIM_400000_NS6detail17trampoline_kernelINS0_14default_configENS1_25transform_config_selectorIlLb0EEEZNS1_14transform_implILb0ES3_S5_NS0_18transform_iteratorINS0_17counting_iteratorImlEEZNS1_24adjacent_difference_implIS3_Lb1ELb0EPlSB_ZN2at6native12_GLOBAL__N_124unique_dim_cuda_templateIbEESt5tupleIJNSC_6TensorESH_SH_EERKSH_lbbbEUlllE1_EE10hipError_tPvRmT2_T3_mT4_P12ihipStream_tbEUlmE_lEESB_NS0_8identityIvEEEESM_SP_SQ_mSR_ST_bEUlT_E_NS1_11comp_targetILNS1_3genE5ELNS1_11target_archE942ELNS1_3gpuE9ELNS1_3repE0EEENS1_30default_config_static_selectorELNS0_4arch9wavefront6targetE1EEEvT1_, .Lfunc_end1035-_ZN7rocprim17ROCPRIM_400000_NS6detail17trampoline_kernelINS0_14default_configENS1_25transform_config_selectorIlLb0EEEZNS1_14transform_implILb0ES3_S5_NS0_18transform_iteratorINS0_17counting_iteratorImlEEZNS1_24adjacent_difference_implIS3_Lb1ELb0EPlSB_ZN2at6native12_GLOBAL__N_124unique_dim_cuda_templateIbEESt5tupleIJNSC_6TensorESH_SH_EERKSH_lbbbEUlllE1_EE10hipError_tPvRmT2_T3_mT4_P12ihipStream_tbEUlmE_lEESB_NS0_8identityIvEEEESM_SP_SQ_mSR_ST_bEUlT_E_NS1_11comp_targetILNS1_3genE5ELNS1_11target_archE942ELNS1_3gpuE9ELNS1_3repE0EEENS1_30default_config_static_selectorELNS0_4arch9wavefront6targetE1EEEvT1_
                                        ; -- End function
	.section	.AMDGPU.csdata,"",@progbits
; Kernel info:
; codeLenInByte = 0
; NumSgprs: 4
; NumVgprs: 0
; NumAgprs: 0
; TotalNumVgprs: 0
; ScratchSize: 0
; MemoryBound: 0
; FloatMode: 240
; IeeeMode: 1
; LDSByteSize: 0 bytes/workgroup (compile time only)
; SGPRBlocks: 0
; VGPRBlocks: 0
; NumSGPRsForWavesPerEU: 4
; NumVGPRsForWavesPerEU: 1
; AccumOffset: 4
; Occupancy: 8
; WaveLimiterHint : 0
; COMPUTE_PGM_RSRC2:SCRATCH_EN: 0
; COMPUTE_PGM_RSRC2:USER_SGPR: 6
; COMPUTE_PGM_RSRC2:TRAP_HANDLER: 0
; COMPUTE_PGM_RSRC2:TGID_X_EN: 1
; COMPUTE_PGM_RSRC2:TGID_Y_EN: 0
; COMPUTE_PGM_RSRC2:TGID_Z_EN: 0
; COMPUTE_PGM_RSRC2:TIDIG_COMP_CNT: 0
; COMPUTE_PGM_RSRC3_GFX90A:ACCUM_OFFSET: 0
; COMPUTE_PGM_RSRC3_GFX90A:TG_SPLIT: 0
	.section	.text._ZN7rocprim17ROCPRIM_400000_NS6detail17trampoline_kernelINS0_14default_configENS1_25transform_config_selectorIlLb0EEEZNS1_14transform_implILb0ES3_S5_NS0_18transform_iteratorINS0_17counting_iteratorImlEEZNS1_24adjacent_difference_implIS3_Lb1ELb0EPlSB_ZN2at6native12_GLOBAL__N_124unique_dim_cuda_templateIbEESt5tupleIJNSC_6TensorESH_SH_EERKSH_lbbbEUlllE1_EE10hipError_tPvRmT2_T3_mT4_P12ihipStream_tbEUlmE_lEESB_NS0_8identityIvEEEESM_SP_SQ_mSR_ST_bEUlT_E_NS1_11comp_targetILNS1_3genE4ELNS1_11target_archE910ELNS1_3gpuE8ELNS1_3repE0EEENS1_30default_config_static_selectorELNS0_4arch9wavefront6targetE1EEEvT1_,"axG",@progbits,_ZN7rocprim17ROCPRIM_400000_NS6detail17trampoline_kernelINS0_14default_configENS1_25transform_config_selectorIlLb0EEEZNS1_14transform_implILb0ES3_S5_NS0_18transform_iteratorINS0_17counting_iteratorImlEEZNS1_24adjacent_difference_implIS3_Lb1ELb0EPlSB_ZN2at6native12_GLOBAL__N_124unique_dim_cuda_templateIbEESt5tupleIJNSC_6TensorESH_SH_EERKSH_lbbbEUlllE1_EE10hipError_tPvRmT2_T3_mT4_P12ihipStream_tbEUlmE_lEESB_NS0_8identityIvEEEESM_SP_SQ_mSR_ST_bEUlT_E_NS1_11comp_targetILNS1_3genE4ELNS1_11target_archE910ELNS1_3gpuE8ELNS1_3repE0EEENS1_30default_config_static_selectorELNS0_4arch9wavefront6targetE1EEEvT1_,comdat
	.globl	_ZN7rocprim17ROCPRIM_400000_NS6detail17trampoline_kernelINS0_14default_configENS1_25transform_config_selectorIlLb0EEEZNS1_14transform_implILb0ES3_S5_NS0_18transform_iteratorINS0_17counting_iteratorImlEEZNS1_24adjacent_difference_implIS3_Lb1ELb0EPlSB_ZN2at6native12_GLOBAL__N_124unique_dim_cuda_templateIbEESt5tupleIJNSC_6TensorESH_SH_EERKSH_lbbbEUlllE1_EE10hipError_tPvRmT2_T3_mT4_P12ihipStream_tbEUlmE_lEESB_NS0_8identityIvEEEESM_SP_SQ_mSR_ST_bEUlT_E_NS1_11comp_targetILNS1_3genE4ELNS1_11target_archE910ELNS1_3gpuE8ELNS1_3repE0EEENS1_30default_config_static_selectorELNS0_4arch9wavefront6targetE1EEEvT1_ ; -- Begin function _ZN7rocprim17ROCPRIM_400000_NS6detail17trampoline_kernelINS0_14default_configENS1_25transform_config_selectorIlLb0EEEZNS1_14transform_implILb0ES3_S5_NS0_18transform_iteratorINS0_17counting_iteratorImlEEZNS1_24adjacent_difference_implIS3_Lb1ELb0EPlSB_ZN2at6native12_GLOBAL__N_124unique_dim_cuda_templateIbEESt5tupleIJNSC_6TensorESH_SH_EERKSH_lbbbEUlllE1_EE10hipError_tPvRmT2_T3_mT4_P12ihipStream_tbEUlmE_lEESB_NS0_8identityIvEEEESM_SP_SQ_mSR_ST_bEUlT_E_NS1_11comp_targetILNS1_3genE4ELNS1_11target_archE910ELNS1_3gpuE8ELNS1_3repE0EEENS1_30default_config_static_selectorELNS0_4arch9wavefront6targetE1EEEvT1_
	.p2align	8
	.type	_ZN7rocprim17ROCPRIM_400000_NS6detail17trampoline_kernelINS0_14default_configENS1_25transform_config_selectorIlLb0EEEZNS1_14transform_implILb0ES3_S5_NS0_18transform_iteratorINS0_17counting_iteratorImlEEZNS1_24adjacent_difference_implIS3_Lb1ELb0EPlSB_ZN2at6native12_GLOBAL__N_124unique_dim_cuda_templateIbEESt5tupleIJNSC_6TensorESH_SH_EERKSH_lbbbEUlllE1_EE10hipError_tPvRmT2_T3_mT4_P12ihipStream_tbEUlmE_lEESB_NS0_8identityIvEEEESM_SP_SQ_mSR_ST_bEUlT_E_NS1_11comp_targetILNS1_3genE4ELNS1_11target_archE910ELNS1_3gpuE8ELNS1_3repE0EEENS1_30default_config_static_selectorELNS0_4arch9wavefront6targetE1EEEvT1_,@function
_ZN7rocprim17ROCPRIM_400000_NS6detail17trampoline_kernelINS0_14default_configENS1_25transform_config_selectorIlLb0EEEZNS1_14transform_implILb0ES3_S5_NS0_18transform_iteratorINS0_17counting_iteratorImlEEZNS1_24adjacent_difference_implIS3_Lb1ELb0EPlSB_ZN2at6native12_GLOBAL__N_124unique_dim_cuda_templateIbEESt5tupleIJNSC_6TensorESH_SH_EERKSH_lbbbEUlllE1_EE10hipError_tPvRmT2_T3_mT4_P12ihipStream_tbEUlmE_lEESB_NS0_8identityIvEEEESM_SP_SQ_mSR_ST_bEUlT_E_NS1_11comp_targetILNS1_3genE4ELNS1_11target_archE910ELNS1_3gpuE8ELNS1_3repE0EEENS1_30default_config_static_selectorELNS0_4arch9wavefront6targetE1EEEvT1_: ; @_ZN7rocprim17ROCPRIM_400000_NS6detail17trampoline_kernelINS0_14default_configENS1_25transform_config_selectorIlLb0EEEZNS1_14transform_implILb0ES3_S5_NS0_18transform_iteratorINS0_17counting_iteratorImlEEZNS1_24adjacent_difference_implIS3_Lb1ELb0EPlSB_ZN2at6native12_GLOBAL__N_124unique_dim_cuda_templateIbEESt5tupleIJNSC_6TensorESH_SH_EERKSH_lbbbEUlllE1_EE10hipError_tPvRmT2_T3_mT4_P12ihipStream_tbEUlmE_lEESB_NS0_8identityIvEEEESM_SP_SQ_mSR_ST_bEUlT_E_NS1_11comp_targetILNS1_3genE4ELNS1_11target_archE910ELNS1_3gpuE8ELNS1_3repE0EEENS1_30default_config_static_selectorELNS0_4arch9wavefront6targetE1EEEvT1_
; %bb.0:
	s_load_dwordx4 s[0:3], s[4:5], 0x18
	s_load_dwordx2 s[14:15], s[4:5], 0x28
	s_load_dwordx4 s[8:11], s[4:5], 0x0
	s_load_dword s12, s[4:5], 0x10
	s_waitcnt lgkmcnt(0)
	s_load_dword s3, s[4:5], 0x38
                                        ; kill: killed $sgpr4_sgpr5
	s_lshl_b64 s[4:5], s[0:1], 3
	s_add_u32 s14, s14, s4
	s_addc_u32 s15, s15, s5
	s_lshl_b32 s4, s6, 9
	s_waitcnt lgkmcnt(0)
	s_add_i32 s3, s3, -1
	s_add_u32 s7, s8, s4
	s_addc_u32 s8, s9, 0
	s_add_u32 s16, s7, s0
	s_addc_u32 s17, s8, s1
	s_mov_b32 s5, 0
	s_cmp_lg_u32 s6, s3
	v_lshlrev_b32_e32 v1, 3, v0
	s_cbranch_scc0 .LBB1036_2
; %bb.1:
	v_mov_b32_e32 v2, s17
	v_add_co_u32_e32 v3, vcc, s16, v0
	v_addc_co_u32_e32 v5, vcc, 0, v2, vcc
	v_mad_u64_u32 v[2:3], s[0:1], v3, s12, 0
	v_mov_b32_e32 v4, v3
	v_mad_u64_u32 v[4:5], s[0:1], v5, s12, v[4:5]
	v_mov_b32_e32 v3, v4
	v_lshlrev_b64 v[2:3], 3, v[2:3]
	s_mov_b32 s13, s5
	v_mov_b32_e32 v4, s11
	v_add_co_u32_e32 v2, vcc, s10, v2
	v_addc_co_u32_e32 v3, vcc, v4, v3, vcc
	s_lshl_b64 s[0:1], s[12:13], 11
	global_load_dwordx2 v[8:9], v[2:3], off
	v_mov_b32_e32 v4, s1
	v_add_co_u32_e32 v2, vcc, s0, v2
	v_addc_co_u32_e32 v3, vcc, v3, v4, vcc
	global_load_dwordx2 v[4:5], v[2:3], off
	s_lshl_b64 s[6:7], s[4:5], 3
	s_add_u32 s6, s14, s6
	s_addc_u32 s7, s15, s7
	v_mov_b32_e32 v2, s7
	v_add_co_u32_e32 v6, vcc, s6, v1
	v_addc_co_u32_e32 v7, vcc, 0, v2, vcc
	s_waitcnt vmcnt(1)
	global_store_dwordx2 v1, v[8:9], s[6:7]
	s_mov_b64 s[6:7], -1
	s_cbranch_execz .LBB1036_3
	s_branch .LBB1036_12
.LBB1036_2:
	s_mov_b64 s[6:7], 0
                                        ; implicit-def: $vgpr4_vgpr5
                                        ; implicit-def: $vgpr6_vgpr7
.LBB1036_3:
	s_sub_i32 s8, s2, s4
	v_cmp_gt_u32_e32 vcc, s8, v0
                                        ; implicit-def: $vgpr2_vgpr3_vgpr4_vgpr5
	s_and_saveexec_b64 s[2:3], vcc
	s_cbranch_execz .LBB1036_5
; %bb.4:
	v_mov_b32_e32 v2, s17
	v_add_co_u32_e64 v3, s[0:1], s16, v0
	s_waitcnt vmcnt(1)
	v_addc_co_u32_e64 v5, s[0:1], 0, v2, s[0:1]
	v_mad_u64_u32 v[2:3], s[0:1], v3, s12, 0
	v_mov_b32_e32 v4, v3
	v_mad_u64_u32 v[4:5], s[0:1], v5, s12, v[4:5]
	v_mov_b32_e32 v3, v4
	v_lshlrev_b64 v[2:3], 3, v[2:3]
	v_mov_b32_e32 v4, s11
	v_add_co_u32_e64 v2, s[0:1], s10, v2
	v_addc_co_u32_e64 v3, s[0:1], v4, v3, s[0:1]
	global_load_dwordx2 v[2:3], v[2:3], off
.LBB1036_5:
	s_or_b64 exec, exec, s[2:3]
	v_or_b32_e32 v0, 0x100, v0
	v_cmp_gt_u32_e64 s[0:1], s8, v0
	s_and_saveexec_b64 s[8:9], s[0:1]
	s_cbranch_execz .LBB1036_7
; %bb.6:
	s_waitcnt vmcnt(1)
	v_mov_b32_e32 v4, s17
	v_add_co_u32_e64 v0, s[2:3], s16, v0
	v_addc_co_u32_e64 v6, s[2:3], 0, v4, s[2:3]
	v_mad_u64_u32 v[4:5], s[2:3], v0, s12, 0
	v_mov_b32_e32 v0, v5
	v_mad_u64_u32 v[6:7], s[2:3], v6, s12, v[0:1]
	v_mov_b32_e32 v5, v6
	v_lshlrev_b64 v[4:5], 3, v[4:5]
	v_mov_b32_e32 v0, s11
	v_add_co_u32_e64 v4, s[2:3], s10, v4
	v_addc_co_u32_e64 v5, s[2:3], v0, v5, s[2:3]
	global_load_dwordx2 v[4:5], v[4:5], off
.LBB1036_7:
	s_or_b64 exec, exec, s[8:9]
	s_lshl_b64 s[2:3], s[4:5], 3
	s_add_u32 s2, s14, s2
	s_addc_u32 s3, s15, s3
	v_mov_b32_e32 v0, s3
	v_add_co_u32_e64 v6, s[2:3], s2, v1
	v_addc_co_u32_e64 v7, s[2:3], 0, v0, s[2:3]
	s_and_saveexec_b64 s[2:3], vcc
	s_cbranch_execz .LBB1036_9
; %bb.8:
	s_waitcnt vmcnt(0)
	global_store_dwordx2 v[6:7], v[2:3], off
.LBB1036_9:
	s_or_b64 exec, exec, s[2:3]
	s_and_saveexec_b64 s[2:3], s[0:1]
; %bb.10:
	s_or_b64 s[6:7], s[6:7], exec
; %bb.11:
	s_or_b64 exec, exec, s[2:3]
.LBB1036_12:
	s_and_saveexec_b64 s[0:1], s[6:7]
	s_cbranch_execnz .LBB1036_14
; %bb.13:
	s_endpgm
.LBB1036_14:
	s_waitcnt vmcnt(0)
	global_store_dwordx2 v[6:7], v[4:5], off offset:2048
	s_endpgm
	.section	.rodata,"a",@progbits
	.p2align	6, 0x0
	.amdhsa_kernel _ZN7rocprim17ROCPRIM_400000_NS6detail17trampoline_kernelINS0_14default_configENS1_25transform_config_selectorIlLb0EEEZNS1_14transform_implILb0ES3_S5_NS0_18transform_iteratorINS0_17counting_iteratorImlEEZNS1_24adjacent_difference_implIS3_Lb1ELb0EPlSB_ZN2at6native12_GLOBAL__N_124unique_dim_cuda_templateIbEESt5tupleIJNSC_6TensorESH_SH_EERKSH_lbbbEUlllE1_EE10hipError_tPvRmT2_T3_mT4_P12ihipStream_tbEUlmE_lEESB_NS0_8identityIvEEEESM_SP_SQ_mSR_ST_bEUlT_E_NS1_11comp_targetILNS1_3genE4ELNS1_11target_archE910ELNS1_3gpuE8ELNS1_3repE0EEENS1_30default_config_static_selectorELNS0_4arch9wavefront6targetE1EEEvT1_
		.amdhsa_group_segment_fixed_size 0
		.amdhsa_private_segment_fixed_size 0
		.amdhsa_kernarg_size 312
		.amdhsa_user_sgpr_count 6
		.amdhsa_user_sgpr_private_segment_buffer 1
		.amdhsa_user_sgpr_dispatch_ptr 0
		.amdhsa_user_sgpr_queue_ptr 0
		.amdhsa_user_sgpr_kernarg_segment_ptr 1
		.amdhsa_user_sgpr_dispatch_id 0
		.amdhsa_user_sgpr_flat_scratch_init 0
		.amdhsa_user_sgpr_kernarg_preload_length 0
		.amdhsa_user_sgpr_kernarg_preload_offset 0
		.amdhsa_user_sgpr_private_segment_size 0
		.amdhsa_uses_dynamic_stack 0
		.amdhsa_system_sgpr_private_segment_wavefront_offset 0
		.amdhsa_system_sgpr_workgroup_id_x 1
		.amdhsa_system_sgpr_workgroup_id_y 0
		.amdhsa_system_sgpr_workgroup_id_z 0
		.amdhsa_system_sgpr_workgroup_info 0
		.amdhsa_system_vgpr_workitem_id 0
		.amdhsa_next_free_vgpr 10
		.amdhsa_next_free_sgpr 18
		.amdhsa_accum_offset 12
		.amdhsa_reserve_vcc 1
		.amdhsa_reserve_flat_scratch 0
		.amdhsa_float_round_mode_32 0
		.amdhsa_float_round_mode_16_64 0
		.amdhsa_float_denorm_mode_32 3
		.amdhsa_float_denorm_mode_16_64 3
		.amdhsa_dx10_clamp 1
		.amdhsa_ieee_mode 1
		.amdhsa_fp16_overflow 0
		.amdhsa_tg_split 0
		.amdhsa_exception_fp_ieee_invalid_op 0
		.amdhsa_exception_fp_denorm_src 0
		.amdhsa_exception_fp_ieee_div_zero 0
		.amdhsa_exception_fp_ieee_overflow 0
		.amdhsa_exception_fp_ieee_underflow 0
		.amdhsa_exception_fp_ieee_inexact 0
		.amdhsa_exception_int_div_zero 0
	.end_amdhsa_kernel
	.section	.text._ZN7rocprim17ROCPRIM_400000_NS6detail17trampoline_kernelINS0_14default_configENS1_25transform_config_selectorIlLb0EEEZNS1_14transform_implILb0ES3_S5_NS0_18transform_iteratorINS0_17counting_iteratorImlEEZNS1_24adjacent_difference_implIS3_Lb1ELb0EPlSB_ZN2at6native12_GLOBAL__N_124unique_dim_cuda_templateIbEESt5tupleIJNSC_6TensorESH_SH_EERKSH_lbbbEUlllE1_EE10hipError_tPvRmT2_T3_mT4_P12ihipStream_tbEUlmE_lEESB_NS0_8identityIvEEEESM_SP_SQ_mSR_ST_bEUlT_E_NS1_11comp_targetILNS1_3genE4ELNS1_11target_archE910ELNS1_3gpuE8ELNS1_3repE0EEENS1_30default_config_static_selectorELNS0_4arch9wavefront6targetE1EEEvT1_,"axG",@progbits,_ZN7rocprim17ROCPRIM_400000_NS6detail17trampoline_kernelINS0_14default_configENS1_25transform_config_selectorIlLb0EEEZNS1_14transform_implILb0ES3_S5_NS0_18transform_iteratorINS0_17counting_iteratorImlEEZNS1_24adjacent_difference_implIS3_Lb1ELb0EPlSB_ZN2at6native12_GLOBAL__N_124unique_dim_cuda_templateIbEESt5tupleIJNSC_6TensorESH_SH_EERKSH_lbbbEUlllE1_EE10hipError_tPvRmT2_T3_mT4_P12ihipStream_tbEUlmE_lEESB_NS0_8identityIvEEEESM_SP_SQ_mSR_ST_bEUlT_E_NS1_11comp_targetILNS1_3genE4ELNS1_11target_archE910ELNS1_3gpuE8ELNS1_3repE0EEENS1_30default_config_static_selectorELNS0_4arch9wavefront6targetE1EEEvT1_,comdat
.Lfunc_end1036:
	.size	_ZN7rocprim17ROCPRIM_400000_NS6detail17trampoline_kernelINS0_14default_configENS1_25transform_config_selectorIlLb0EEEZNS1_14transform_implILb0ES3_S5_NS0_18transform_iteratorINS0_17counting_iteratorImlEEZNS1_24adjacent_difference_implIS3_Lb1ELb0EPlSB_ZN2at6native12_GLOBAL__N_124unique_dim_cuda_templateIbEESt5tupleIJNSC_6TensorESH_SH_EERKSH_lbbbEUlllE1_EE10hipError_tPvRmT2_T3_mT4_P12ihipStream_tbEUlmE_lEESB_NS0_8identityIvEEEESM_SP_SQ_mSR_ST_bEUlT_E_NS1_11comp_targetILNS1_3genE4ELNS1_11target_archE910ELNS1_3gpuE8ELNS1_3repE0EEENS1_30default_config_static_selectorELNS0_4arch9wavefront6targetE1EEEvT1_, .Lfunc_end1036-_ZN7rocprim17ROCPRIM_400000_NS6detail17trampoline_kernelINS0_14default_configENS1_25transform_config_selectorIlLb0EEEZNS1_14transform_implILb0ES3_S5_NS0_18transform_iteratorINS0_17counting_iteratorImlEEZNS1_24adjacent_difference_implIS3_Lb1ELb0EPlSB_ZN2at6native12_GLOBAL__N_124unique_dim_cuda_templateIbEESt5tupleIJNSC_6TensorESH_SH_EERKSH_lbbbEUlllE1_EE10hipError_tPvRmT2_T3_mT4_P12ihipStream_tbEUlmE_lEESB_NS0_8identityIvEEEESM_SP_SQ_mSR_ST_bEUlT_E_NS1_11comp_targetILNS1_3genE4ELNS1_11target_archE910ELNS1_3gpuE8ELNS1_3repE0EEENS1_30default_config_static_selectorELNS0_4arch9wavefront6targetE1EEEvT1_
                                        ; -- End function
	.section	.AMDGPU.csdata,"",@progbits
; Kernel info:
; codeLenInByte = 556
; NumSgprs: 22
; NumVgprs: 10
; NumAgprs: 0
; TotalNumVgprs: 10
; ScratchSize: 0
; MemoryBound: 0
; FloatMode: 240
; IeeeMode: 1
; LDSByteSize: 0 bytes/workgroup (compile time only)
; SGPRBlocks: 2
; VGPRBlocks: 1
; NumSGPRsForWavesPerEU: 22
; NumVGPRsForWavesPerEU: 10
; AccumOffset: 12
; Occupancy: 8
; WaveLimiterHint : 0
; COMPUTE_PGM_RSRC2:SCRATCH_EN: 0
; COMPUTE_PGM_RSRC2:USER_SGPR: 6
; COMPUTE_PGM_RSRC2:TRAP_HANDLER: 0
; COMPUTE_PGM_RSRC2:TGID_X_EN: 1
; COMPUTE_PGM_RSRC2:TGID_Y_EN: 0
; COMPUTE_PGM_RSRC2:TGID_Z_EN: 0
; COMPUTE_PGM_RSRC2:TIDIG_COMP_CNT: 0
; COMPUTE_PGM_RSRC3_GFX90A:ACCUM_OFFSET: 2
; COMPUTE_PGM_RSRC3_GFX90A:TG_SPLIT: 0
	.section	.text._ZN7rocprim17ROCPRIM_400000_NS6detail17trampoline_kernelINS0_14default_configENS1_25transform_config_selectorIlLb0EEEZNS1_14transform_implILb0ES3_S5_NS0_18transform_iteratorINS0_17counting_iteratorImlEEZNS1_24adjacent_difference_implIS3_Lb1ELb0EPlSB_ZN2at6native12_GLOBAL__N_124unique_dim_cuda_templateIbEESt5tupleIJNSC_6TensorESH_SH_EERKSH_lbbbEUlllE1_EE10hipError_tPvRmT2_T3_mT4_P12ihipStream_tbEUlmE_lEESB_NS0_8identityIvEEEESM_SP_SQ_mSR_ST_bEUlT_E_NS1_11comp_targetILNS1_3genE3ELNS1_11target_archE908ELNS1_3gpuE7ELNS1_3repE0EEENS1_30default_config_static_selectorELNS0_4arch9wavefront6targetE1EEEvT1_,"axG",@progbits,_ZN7rocprim17ROCPRIM_400000_NS6detail17trampoline_kernelINS0_14default_configENS1_25transform_config_selectorIlLb0EEEZNS1_14transform_implILb0ES3_S5_NS0_18transform_iteratorINS0_17counting_iteratorImlEEZNS1_24adjacent_difference_implIS3_Lb1ELb0EPlSB_ZN2at6native12_GLOBAL__N_124unique_dim_cuda_templateIbEESt5tupleIJNSC_6TensorESH_SH_EERKSH_lbbbEUlllE1_EE10hipError_tPvRmT2_T3_mT4_P12ihipStream_tbEUlmE_lEESB_NS0_8identityIvEEEESM_SP_SQ_mSR_ST_bEUlT_E_NS1_11comp_targetILNS1_3genE3ELNS1_11target_archE908ELNS1_3gpuE7ELNS1_3repE0EEENS1_30default_config_static_selectorELNS0_4arch9wavefront6targetE1EEEvT1_,comdat
	.globl	_ZN7rocprim17ROCPRIM_400000_NS6detail17trampoline_kernelINS0_14default_configENS1_25transform_config_selectorIlLb0EEEZNS1_14transform_implILb0ES3_S5_NS0_18transform_iteratorINS0_17counting_iteratorImlEEZNS1_24adjacent_difference_implIS3_Lb1ELb0EPlSB_ZN2at6native12_GLOBAL__N_124unique_dim_cuda_templateIbEESt5tupleIJNSC_6TensorESH_SH_EERKSH_lbbbEUlllE1_EE10hipError_tPvRmT2_T3_mT4_P12ihipStream_tbEUlmE_lEESB_NS0_8identityIvEEEESM_SP_SQ_mSR_ST_bEUlT_E_NS1_11comp_targetILNS1_3genE3ELNS1_11target_archE908ELNS1_3gpuE7ELNS1_3repE0EEENS1_30default_config_static_selectorELNS0_4arch9wavefront6targetE1EEEvT1_ ; -- Begin function _ZN7rocprim17ROCPRIM_400000_NS6detail17trampoline_kernelINS0_14default_configENS1_25transform_config_selectorIlLb0EEEZNS1_14transform_implILb0ES3_S5_NS0_18transform_iteratorINS0_17counting_iteratorImlEEZNS1_24adjacent_difference_implIS3_Lb1ELb0EPlSB_ZN2at6native12_GLOBAL__N_124unique_dim_cuda_templateIbEESt5tupleIJNSC_6TensorESH_SH_EERKSH_lbbbEUlllE1_EE10hipError_tPvRmT2_T3_mT4_P12ihipStream_tbEUlmE_lEESB_NS0_8identityIvEEEESM_SP_SQ_mSR_ST_bEUlT_E_NS1_11comp_targetILNS1_3genE3ELNS1_11target_archE908ELNS1_3gpuE7ELNS1_3repE0EEENS1_30default_config_static_selectorELNS0_4arch9wavefront6targetE1EEEvT1_
	.p2align	8
	.type	_ZN7rocprim17ROCPRIM_400000_NS6detail17trampoline_kernelINS0_14default_configENS1_25transform_config_selectorIlLb0EEEZNS1_14transform_implILb0ES3_S5_NS0_18transform_iteratorINS0_17counting_iteratorImlEEZNS1_24adjacent_difference_implIS3_Lb1ELb0EPlSB_ZN2at6native12_GLOBAL__N_124unique_dim_cuda_templateIbEESt5tupleIJNSC_6TensorESH_SH_EERKSH_lbbbEUlllE1_EE10hipError_tPvRmT2_T3_mT4_P12ihipStream_tbEUlmE_lEESB_NS0_8identityIvEEEESM_SP_SQ_mSR_ST_bEUlT_E_NS1_11comp_targetILNS1_3genE3ELNS1_11target_archE908ELNS1_3gpuE7ELNS1_3repE0EEENS1_30default_config_static_selectorELNS0_4arch9wavefront6targetE1EEEvT1_,@function
_ZN7rocprim17ROCPRIM_400000_NS6detail17trampoline_kernelINS0_14default_configENS1_25transform_config_selectorIlLb0EEEZNS1_14transform_implILb0ES3_S5_NS0_18transform_iteratorINS0_17counting_iteratorImlEEZNS1_24adjacent_difference_implIS3_Lb1ELb0EPlSB_ZN2at6native12_GLOBAL__N_124unique_dim_cuda_templateIbEESt5tupleIJNSC_6TensorESH_SH_EERKSH_lbbbEUlllE1_EE10hipError_tPvRmT2_T3_mT4_P12ihipStream_tbEUlmE_lEESB_NS0_8identityIvEEEESM_SP_SQ_mSR_ST_bEUlT_E_NS1_11comp_targetILNS1_3genE3ELNS1_11target_archE908ELNS1_3gpuE7ELNS1_3repE0EEENS1_30default_config_static_selectorELNS0_4arch9wavefront6targetE1EEEvT1_: ; @_ZN7rocprim17ROCPRIM_400000_NS6detail17trampoline_kernelINS0_14default_configENS1_25transform_config_selectorIlLb0EEEZNS1_14transform_implILb0ES3_S5_NS0_18transform_iteratorINS0_17counting_iteratorImlEEZNS1_24adjacent_difference_implIS3_Lb1ELb0EPlSB_ZN2at6native12_GLOBAL__N_124unique_dim_cuda_templateIbEESt5tupleIJNSC_6TensorESH_SH_EERKSH_lbbbEUlllE1_EE10hipError_tPvRmT2_T3_mT4_P12ihipStream_tbEUlmE_lEESB_NS0_8identityIvEEEESM_SP_SQ_mSR_ST_bEUlT_E_NS1_11comp_targetILNS1_3genE3ELNS1_11target_archE908ELNS1_3gpuE7ELNS1_3repE0EEENS1_30default_config_static_selectorELNS0_4arch9wavefront6targetE1EEEvT1_
; %bb.0:
	.section	.rodata,"a",@progbits
	.p2align	6, 0x0
	.amdhsa_kernel _ZN7rocprim17ROCPRIM_400000_NS6detail17trampoline_kernelINS0_14default_configENS1_25transform_config_selectorIlLb0EEEZNS1_14transform_implILb0ES3_S5_NS0_18transform_iteratorINS0_17counting_iteratorImlEEZNS1_24adjacent_difference_implIS3_Lb1ELb0EPlSB_ZN2at6native12_GLOBAL__N_124unique_dim_cuda_templateIbEESt5tupleIJNSC_6TensorESH_SH_EERKSH_lbbbEUlllE1_EE10hipError_tPvRmT2_T3_mT4_P12ihipStream_tbEUlmE_lEESB_NS0_8identityIvEEEESM_SP_SQ_mSR_ST_bEUlT_E_NS1_11comp_targetILNS1_3genE3ELNS1_11target_archE908ELNS1_3gpuE7ELNS1_3repE0EEENS1_30default_config_static_selectorELNS0_4arch9wavefront6targetE1EEEvT1_
		.amdhsa_group_segment_fixed_size 0
		.amdhsa_private_segment_fixed_size 0
		.amdhsa_kernarg_size 56
		.amdhsa_user_sgpr_count 6
		.amdhsa_user_sgpr_private_segment_buffer 1
		.amdhsa_user_sgpr_dispatch_ptr 0
		.amdhsa_user_sgpr_queue_ptr 0
		.amdhsa_user_sgpr_kernarg_segment_ptr 1
		.amdhsa_user_sgpr_dispatch_id 0
		.amdhsa_user_sgpr_flat_scratch_init 0
		.amdhsa_user_sgpr_kernarg_preload_length 0
		.amdhsa_user_sgpr_kernarg_preload_offset 0
		.amdhsa_user_sgpr_private_segment_size 0
		.amdhsa_uses_dynamic_stack 0
		.amdhsa_system_sgpr_private_segment_wavefront_offset 0
		.amdhsa_system_sgpr_workgroup_id_x 1
		.amdhsa_system_sgpr_workgroup_id_y 0
		.amdhsa_system_sgpr_workgroup_id_z 0
		.amdhsa_system_sgpr_workgroup_info 0
		.amdhsa_system_vgpr_workitem_id 0
		.amdhsa_next_free_vgpr 1
		.amdhsa_next_free_sgpr 0
		.amdhsa_accum_offset 4
		.amdhsa_reserve_vcc 0
		.amdhsa_reserve_flat_scratch 0
		.amdhsa_float_round_mode_32 0
		.amdhsa_float_round_mode_16_64 0
		.amdhsa_float_denorm_mode_32 3
		.amdhsa_float_denorm_mode_16_64 3
		.amdhsa_dx10_clamp 1
		.amdhsa_ieee_mode 1
		.amdhsa_fp16_overflow 0
		.amdhsa_tg_split 0
		.amdhsa_exception_fp_ieee_invalid_op 0
		.amdhsa_exception_fp_denorm_src 0
		.amdhsa_exception_fp_ieee_div_zero 0
		.amdhsa_exception_fp_ieee_overflow 0
		.amdhsa_exception_fp_ieee_underflow 0
		.amdhsa_exception_fp_ieee_inexact 0
		.amdhsa_exception_int_div_zero 0
	.end_amdhsa_kernel
	.section	.text._ZN7rocprim17ROCPRIM_400000_NS6detail17trampoline_kernelINS0_14default_configENS1_25transform_config_selectorIlLb0EEEZNS1_14transform_implILb0ES3_S5_NS0_18transform_iteratorINS0_17counting_iteratorImlEEZNS1_24adjacent_difference_implIS3_Lb1ELb0EPlSB_ZN2at6native12_GLOBAL__N_124unique_dim_cuda_templateIbEESt5tupleIJNSC_6TensorESH_SH_EERKSH_lbbbEUlllE1_EE10hipError_tPvRmT2_T3_mT4_P12ihipStream_tbEUlmE_lEESB_NS0_8identityIvEEEESM_SP_SQ_mSR_ST_bEUlT_E_NS1_11comp_targetILNS1_3genE3ELNS1_11target_archE908ELNS1_3gpuE7ELNS1_3repE0EEENS1_30default_config_static_selectorELNS0_4arch9wavefront6targetE1EEEvT1_,"axG",@progbits,_ZN7rocprim17ROCPRIM_400000_NS6detail17trampoline_kernelINS0_14default_configENS1_25transform_config_selectorIlLb0EEEZNS1_14transform_implILb0ES3_S5_NS0_18transform_iteratorINS0_17counting_iteratorImlEEZNS1_24adjacent_difference_implIS3_Lb1ELb0EPlSB_ZN2at6native12_GLOBAL__N_124unique_dim_cuda_templateIbEESt5tupleIJNSC_6TensorESH_SH_EERKSH_lbbbEUlllE1_EE10hipError_tPvRmT2_T3_mT4_P12ihipStream_tbEUlmE_lEESB_NS0_8identityIvEEEESM_SP_SQ_mSR_ST_bEUlT_E_NS1_11comp_targetILNS1_3genE3ELNS1_11target_archE908ELNS1_3gpuE7ELNS1_3repE0EEENS1_30default_config_static_selectorELNS0_4arch9wavefront6targetE1EEEvT1_,comdat
.Lfunc_end1037:
	.size	_ZN7rocprim17ROCPRIM_400000_NS6detail17trampoline_kernelINS0_14default_configENS1_25transform_config_selectorIlLb0EEEZNS1_14transform_implILb0ES3_S5_NS0_18transform_iteratorINS0_17counting_iteratorImlEEZNS1_24adjacent_difference_implIS3_Lb1ELb0EPlSB_ZN2at6native12_GLOBAL__N_124unique_dim_cuda_templateIbEESt5tupleIJNSC_6TensorESH_SH_EERKSH_lbbbEUlllE1_EE10hipError_tPvRmT2_T3_mT4_P12ihipStream_tbEUlmE_lEESB_NS0_8identityIvEEEESM_SP_SQ_mSR_ST_bEUlT_E_NS1_11comp_targetILNS1_3genE3ELNS1_11target_archE908ELNS1_3gpuE7ELNS1_3repE0EEENS1_30default_config_static_selectorELNS0_4arch9wavefront6targetE1EEEvT1_, .Lfunc_end1037-_ZN7rocprim17ROCPRIM_400000_NS6detail17trampoline_kernelINS0_14default_configENS1_25transform_config_selectorIlLb0EEEZNS1_14transform_implILb0ES3_S5_NS0_18transform_iteratorINS0_17counting_iteratorImlEEZNS1_24adjacent_difference_implIS3_Lb1ELb0EPlSB_ZN2at6native12_GLOBAL__N_124unique_dim_cuda_templateIbEESt5tupleIJNSC_6TensorESH_SH_EERKSH_lbbbEUlllE1_EE10hipError_tPvRmT2_T3_mT4_P12ihipStream_tbEUlmE_lEESB_NS0_8identityIvEEEESM_SP_SQ_mSR_ST_bEUlT_E_NS1_11comp_targetILNS1_3genE3ELNS1_11target_archE908ELNS1_3gpuE7ELNS1_3repE0EEENS1_30default_config_static_selectorELNS0_4arch9wavefront6targetE1EEEvT1_
                                        ; -- End function
	.section	.AMDGPU.csdata,"",@progbits
; Kernel info:
; codeLenInByte = 0
; NumSgprs: 4
; NumVgprs: 0
; NumAgprs: 0
; TotalNumVgprs: 0
; ScratchSize: 0
; MemoryBound: 0
; FloatMode: 240
; IeeeMode: 1
; LDSByteSize: 0 bytes/workgroup (compile time only)
; SGPRBlocks: 0
; VGPRBlocks: 0
; NumSGPRsForWavesPerEU: 4
; NumVGPRsForWavesPerEU: 1
; AccumOffset: 4
; Occupancy: 8
; WaveLimiterHint : 0
; COMPUTE_PGM_RSRC2:SCRATCH_EN: 0
; COMPUTE_PGM_RSRC2:USER_SGPR: 6
; COMPUTE_PGM_RSRC2:TRAP_HANDLER: 0
; COMPUTE_PGM_RSRC2:TGID_X_EN: 1
; COMPUTE_PGM_RSRC2:TGID_Y_EN: 0
; COMPUTE_PGM_RSRC2:TGID_Z_EN: 0
; COMPUTE_PGM_RSRC2:TIDIG_COMP_CNT: 0
; COMPUTE_PGM_RSRC3_GFX90A:ACCUM_OFFSET: 0
; COMPUTE_PGM_RSRC3_GFX90A:TG_SPLIT: 0
	.section	.text._ZN7rocprim17ROCPRIM_400000_NS6detail17trampoline_kernelINS0_14default_configENS1_25transform_config_selectorIlLb0EEEZNS1_14transform_implILb0ES3_S5_NS0_18transform_iteratorINS0_17counting_iteratorImlEEZNS1_24adjacent_difference_implIS3_Lb1ELb0EPlSB_ZN2at6native12_GLOBAL__N_124unique_dim_cuda_templateIbEESt5tupleIJNSC_6TensorESH_SH_EERKSH_lbbbEUlllE1_EE10hipError_tPvRmT2_T3_mT4_P12ihipStream_tbEUlmE_lEESB_NS0_8identityIvEEEESM_SP_SQ_mSR_ST_bEUlT_E_NS1_11comp_targetILNS1_3genE2ELNS1_11target_archE906ELNS1_3gpuE6ELNS1_3repE0EEENS1_30default_config_static_selectorELNS0_4arch9wavefront6targetE1EEEvT1_,"axG",@progbits,_ZN7rocprim17ROCPRIM_400000_NS6detail17trampoline_kernelINS0_14default_configENS1_25transform_config_selectorIlLb0EEEZNS1_14transform_implILb0ES3_S5_NS0_18transform_iteratorINS0_17counting_iteratorImlEEZNS1_24adjacent_difference_implIS3_Lb1ELb0EPlSB_ZN2at6native12_GLOBAL__N_124unique_dim_cuda_templateIbEESt5tupleIJNSC_6TensorESH_SH_EERKSH_lbbbEUlllE1_EE10hipError_tPvRmT2_T3_mT4_P12ihipStream_tbEUlmE_lEESB_NS0_8identityIvEEEESM_SP_SQ_mSR_ST_bEUlT_E_NS1_11comp_targetILNS1_3genE2ELNS1_11target_archE906ELNS1_3gpuE6ELNS1_3repE0EEENS1_30default_config_static_selectorELNS0_4arch9wavefront6targetE1EEEvT1_,comdat
	.globl	_ZN7rocprim17ROCPRIM_400000_NS6detail17trampoline_kernelINS0_14default_configENS1_25transform_config_selectorIlLb0EEEZNS1_14transform_implILb0ES3_S5_NS0_18transform_iteratorINS0_17counting_iteratorImlEEZNS1_24adjacent_difference_implIS3_Lb1ELb0EPlSB_ZN2at6native12_GLOBAL__N_124unique_dim_cuda_templateIbEESt5tupleIJNSC_6TensorESH_SH_EERKSH_lbbbEUlllE1_EE10hipError_tPvRmT2_T3_mT4_P12ihipStream_tbEUlmE_lEESB_NS0_8identityIvEEEESM_SP_SQ_mSR_ST_bEUlT_E_NS1_11comp_targetILNS1_3genE2ELNS1_11target_archE906ELNS1_3gpuE6ELNS1_3repE0EEENS1_30default_config_static_selectorELNS0_4arch9wavefront6targetE1EEEvT1_ ; -- Begin function _ZN7rocprim17ROCPRIM_400000_NS6detail17trampoline_kernelINS0_14default_configENS1_25transform_config_selectorIlLb0EEEZNS1_14transform_implILb0ES3_S5_NS0_18transform_iteratorINS0_17counting_iteratorImlEEZNS1_24adjacent_difference_implIS3_Lb1ELb0EPlSB_ZN2at6native12_GLOBAL__N_124unique_dim_cuda_templateIbEESt5tupleIJNSC_6TensorESH_SH_EERKSH_lbbbEUlllE1_EE10hipError_tPvRmT2_T3_mT4_P12ihipStream_tbEUlmE_lEESB_NS0_8identityIvEEEESM_SP_SQ_mSR_ST_bEUlT_E_NS1_11comp_targetILNS1_3genE2ELNS1_11target_archE906ELNS1_3gpuE6ELNS1_3repE0EEENS1_30default_config_static_selectorELNS0_4arch9wavefront6targetE1EEEvT1_
	.p2align	8
	.type	_ZN7rocprim17ROCPRIM_400000_NS6detail17trampoline_kernelINS0_14default_configENS1_25transform_config_selectorIlLb0EEEZNS1_14transform_implILb0ES3_S5_NS0_18transform_iteratorINS0_17counting_iteratorImlEEZNS1_24adjacent_difference_implIS3_Lb1ELb0EPlSB_ZN2at6native12_GLOBAL__N_124unique_dim_cuda_templateIbEESt5tupleIJNSC_6TensorESH_SH_EERKSH_lbbbEUlllE1_EE10hipError_tPvRmT2_T3_mT4_P12ihipStream_tbEUlmE_lEESB_NS0_8identityIvEEEESM_SP_SQ_mSR_ST_bEUlT_E_NS1_11comp_targetILNS1_3genE2ELNS1_11target_archE906ELNS1_3gpuE6ELNS1_3repE0EEENS1_30default_config_static_selectorELNS0_4arch9wavefront6targetE1EEEvT1_,@function
_ZN7rocprim17ROCPRIM_400000_NS6detail17trampoline_kernelINS0_14default_configENS1_25transform_config_selectorIlLb0EEEZNS1_14transform_implILb0ES3_S5_NS0_18transform_iteratorINS0_17counting_iteratorImlEEZNS1_24adjacent_difference_implIS3_Lb1ELb0EPlSB_ZN2at6native12_GLOBAL__N_124unique_dim_cuda_templateIbEESt5tupleIJNSC_6TensorESH_SH_EERKSH_lbbbEUlllE1_EE10hipError_tPvRmT2_T3_mT4_P12ihipStream_tbEUlmE_lEESB_NS0_8identityIvEEEESM_SP_SQ_mSR_ST_bEUlT_E_NS1_11comp_targetILNS1_3genE2ELNS1_11target_archE906ELNS1_3gpuE6ELNS1_3repE0EEENS1_30default_config_static_selectorELNS0_4arch9wavefront6targetE1EEEvT1_: ; @_ZN7rocprim17ROCPRIM_400000_NS6detail17trampoline_kernelINS0_14default_configENS1_25transform_config_selectorIlLb0EEEZNS1_14transform_implILb0ES3_S5_NS0_18transform_iteratorINS0_17counting_iteratorImlEEZNS1_24adjacent_difference_implIS3_Lb1ELb0EPlSB_ZN2at6native12_GLOBAL__N_124unique_dim_cuda_templateIbEESt5tupleIJNSC_6TensorESH_SH_EERKSH_lbbbEUlllE1_EE10hipError_tPvRmT2_T3_mT4_P12ihipStream_tbEUlmE_lEESB_NS0_8identityIvEEEESM_SP_SQ_mSR_ST_bEUlT_E_NS1_11comp_targetILNS1_3genE2ELNS1_11target_archE906ELNS1_3gpuE6ELNS1_3repE0EEENS1_30default_config_static_selectorELNS0_4arch9wavefront6targetE1EEEvT1_
; %bb.0:
	.section	.rodata,"a",@progbits
	.p2align	6, 0x0
	.amdhsa_kernel _ZN7rocprim17ROCPRIM_400000_NS6detail17trampoline_kernelINS0_14default_configENS1_25transform_config_selectorIlLb0EEEZNS1_14transform_implILb0ES3_S5_NS0_18transform_iteratorINS0_17counting_iteratorImlEEZNS1_24adjacent_difference_implIS3_Lb1ELb0EPlSB_ZN2at6native12_GLOBAL__N_124unique_dim_cuda_templateIbEESt5tupleIJNSC_6TensorESH_SH_EERKSH_lbbbEUlllE1_EE10hipError_tPvRmT2_T3_mT4_P12ihipStream_tbEUlmE_lEESB_NS0_8identityIvEEEESM_SP_SQ_mSR_ST_bEUlT_E_NS1_11comp_targetILNS1_3genE2ELNS1_11target_archE906ELNS1_3gpuE6ELNS1_3repE0EEENS1_30default_config_static_selectorELNS0_4arch9wavefront6targetE1EEEvT1_
		.amdhsa_group_segment_fixed_size 0
		.amdhsa_private_segment_fixed_size 0
		.amdhsa_kernarg_size 56
		.amdhsa_user_sgpr_count 6
		.amdhsa_user_sgpr_private_segment_buffer 1
		.amdhsa_user_sgpr_dispatch_ptr 0
		.amdhsa_user_sgpr_queue_ptr 0
		.amdhsa_user_sgpr_kernarg_segment_ptr 1
		.amdhsa_user_sgpr_dispatch_id 0
		.amdhsa_user_sgpr_flat_scratch_init 0
		.amdhsa_user_sgpr_kernarg_preload_length 0
		.amdhsa_user_sgpr_kernarg_preload_offset 0
		.amdhsa_user_sgpr_private_segment_size 0
		.amdhsa_uses_dynamic_stack 0
		.amdhsa_system_sgpr_private_segment_wavefront_offset 0
		.amdhsa_system_sgpr_workgroup_id_x 1
		.amdhsa_system_sgpr_workgroup_id_y 0
		.amdhsa_system_sgpr_workgroup_id_z 0
		.amdhsa_system_sgpr_workgroup_info 0
		.amdhsa_system_vgpr_workitem_id 0
		.amdhsa_next_free_vgpr 1
		.amdhsa_next_free_sgpr 0
		.amdhsa_accum_offset 4
		.amdhsa_reserve_vcc 0
		.amdhsa_reserve_flat_scratch 0
		.amdhsa_float_round_mode_32 0
		.amdhsa_float_round_mode_16_64 0
		.amdhsa_float_denorm_mode_32 3
		.amdhsa_float_denorm_mode_16_64 3
		.amdhsa_dx10_clamp 1
		.amdhsa_ieee_mode 1
		.amdhsa_fp16_overflow 0
		.amdhsa_tg_split 0
		.amdhsa_exception_fp_ieee_invalid_op 0
		.amdhsa_exception_fp_denorm_src 0
		.amdhsa_exception_fp_ieee_div_zero 0
		.amdhsa_exception_fp_ieee_overflow 0
		.amdhsa_exception_fp_ieee_underflow 0
		.amdhsa_exception_fp_ieee_inexact 0
		.amdhsa_exception_int_div_zero 0
	.end_amdhsa_kernel
	.section	.text._ZN7rocprim17ROCPRIM_400000_NS6detail17trampoline_kernelINS0_14default_configENS1_25transform_config_selectorIlLb0EEEZNS1_14transform_implILb0ES3_S5_NS0_18transform_iteratorINS0_17counting_iteratorImlEEZNS1_24adjacent_difference_implIS3_Lb1ELb0EPlSB_ZN2at6native12_GLOBAL__N_124unique_dim_cuda_templateIbEESt5tupleIJNSC_6TensorESH_SH_EERKSH_lbbbEUlllE1_EE10hipError_tPvRmT2_T3_mT4_P12ihipStream_tbEUlmE_lEESB_NS0_8identityIvEEEESM_SP_SQ_mSR_ST_bEUlT_E_NS1_11comp_targetILNS1_3genE2ELNS1_11target_archE906ELNS1_3gpuE6ELNS1_3repE0EEENS1_30default_config_static_selectorELNS0_4arch9wavefront6targetE1EEEvT1_,"axG",@progbits,_ZN7rocprim17ROCPRIM_400000_NS6detail17trampoline_kernelINS0_14default_configENS1_25transform_config_selectorIlLb0EEEZNS1_14transform_implILb0ES3_S5_NS0_18transform_iteratorINS0_17counting_iteratorImlEEZNS1_24adjacent_difference_implIS3_Lb1ELb0EPlSB_ZN2at6native12_GLOBAL__N_124unique_dim_cuda_templateIbEESt5tupleIJNSC_6TensorESH_SH_EERKSH_lbbbEUlllE1_EE10hipError_tPvRmT2_T3_mT4_P12ihipStream_tbEUlmE_lEESB_NS0_8identityIvEEEESM_SP_SQ_mSR_ST_bEUlT_E_NS1_11comp_targetILNS1_3genE2ELNS1_11target_archE906ELNS1_3gpuE6ELNS1_3repE0EEENS1_30default_config_static_selectorELNS0_4arch9wavefront6targetE1EEEvT1_,comdat
.Lfunc_end1038:
	.size	_ZN7rocprim17ROCPRIM_400000_NS6detail17trampoline_kernelINS0_14default_configENS1_25transform_config_selectorIlLb0EEEZNS1_14transform_implILb0ES3_S5_NS0_18transform_iteratorINS0_17counting_iteratorImlEEZNS1_24adjacent_difference_implIS3_Lb1ELb0EPlSB_ZN2at6native12_GLOBAL__N_124unique_dim_cuda_templateIbEESt5tupleIJNSC_6TensorESH_SH_EERKSH_lbbbEUlllE1_EE10hipError_tPvRmT2_T3_mT4_P12ihipStream_tbEUlmE_lEESB_NS0_8identityIvEEEESM_SP_SQ_mSR_ST_bEUlT_E_NS1_11comp_targetILNS1_3genE2ELNS1_11target_archE906ELNS1_3gpuE6ELNS1_3repE0EEENS1_30default_config_static_selectorELNS0_4arch9wavefront6targetE1EEEvT1_, .Lfunc_end1038-_ZN7rocprim17ROCPRIM_400000_NS6detail17trampoline_kernelINS0_14default_configENS1_25transform_config_selectorIlLb0EEEZNS1_14transform_implILb0ES3_S5_NS0_18transform_iteratorINS0_17counting_iteratorImlEEZNS1_24adjacent_difference_implIS3_Lb1ELb0EPlSB_ZN2at6native12_GLOBAL__N_124unique_dim_cuda_templateIbEESt5tupleIJNSC_6TensorESH_SH_EERKSH_lbbbEUlllE1_EE10hipError_tPvRmT2_T3_mT4_P12ihipStream_tbEUlmE_lEESB_NS0_8identityIvEEEESM_SP_SQ_mSR_ST_bEUlT_E_NS1_11comp_targetILNS1_3genE2ELNS1_11target_archE906ELNS1_3gpuE6ELNS1_3repE0EEENS1_30default_config_static_selectorELNS0_4arch9wavefront6targetE1EEEvT1_
                                        ; -- End function
	.section	.AMDGPU.csdata,"",@progbits
; Kernel info:
; codeLenInByte = 0
; NumSgprs: 4
; NumVgprs: 0
; NumAgprs: 0
; TotalNumVgprs: 0
; ScratchSize: 0
; MemoryBound: 0
; FloatMode: 240
; IeeeMode: 1
; LDSByteSize: 0 bytes/workgroup (compile time only)
; SGPRBlocks: 0
; VGPRBlocks: 0
; NumSGPRsForWavesPerEU: 4
; NumVGPRsForWavesPerEU: 1
; AccumOffset: 4
; Occupancy: 8
; WaveLimiterHint : 0
; COMPUTE_PGM_RSRC2:SCRATCH_EN: 0
; COMPUTE_PGM_RSRC2:USER_SGPR: 6
; COMPUTE_PGM_RSRC2:TRAP_HANDLER: 0
; COMPUTE_PGM_RSRC2:TGID_X_EN: 1
; COMPUTE_PGM_RSRC2:TGID_Y_EN: 0
; COMPUTE_PGM_RSRC2:TGID_Z_EN: 0
; COMPUTE_PGM_RSRC2:TIDIG_COMP_CNT: 0
; COMPUTE_PGM_RSRC3_GFX90A:ACCUM_OFFSET: 0
; COMPUTE_PGM_RSRC3_GFX90A:TG_SPLIT: 0
	.section	.text._ZN7rocprim17ROCPRIM_400000_NS6detail17trampoline_kernelINS0_14default_configENS1_25transform_config_selectorIlLb0EEEZNS1_14transform_implILb0ES3_S5_NS0_18transform_iteratorINS0_17counting_iteratorImlEEZNS1_24adjacent_difference_implIS3_Lb1ELb0EPlSB_ZN2at6native12_GLOBAL__N_124unique_dim_cuda_templateIbEESt5tupleIJNSC_6TensorESH_SH_EERKSH_lbbbEUlllE1_EE10hipError_tPvRmT2_T3_mT4_P12ihipStream_tbEUlmE_lEESB_NS0_8identityIvEEEESM_SP_SQ_mSR_ST_bEUlT_E_NS1_11comp_targetILNS1_3genE10ELNS1_11target_archE1201ELNS1_3gpuE5ELNS1_3repE0EEENS1_30default_config_static_selectorELNS0_4arch9wavefront6targetE1EEEvT1_,"axG",@progbits,_ZN7rocprim17ROCPRIM_400000_NS6detail17trampoline_kernelINS0_14default_configENS1_25transform_config_selectorIlLb0EEEZNS1_14transform_implILb0ES3_S5_NS0_18transform_iteratorINS0_17counting_iteratorImlEEZNS1_24adjacent_difference_implIS3_Lb1ELb0EPlSB_ZN2at6native12_GLOBAL__N_124unique_dim_cuda_templateIbEESt5tupleIJNSC_6TensorESH_SH_EERKSH_lbbbEUlllE1_EE10hipError_tPvRmT2_T3_mT4_P12ihipStream_tbEUlmE_lEESB_NS0_8identityIvEEEESM_SP_SQ_mSR_ST_bEUlT_E_NS1_11comp_targetILNS1_3genE10ELNS1_11target_archE1201ELNS1_3gpuE5ELNS1_3repE0EEENS1_30default_config_static_selectorELNS0_4arch9wavefront6targetE1EEEvT1_,comdat
	.globl	_ZN7rocprim17ROCPRIM_400000_NS6detail17trampoline_kernelINS0_14default_configENS1_25transform_config_selectorIlLb0EEEZNS1_14transform_implILb0ES3_S5_NS0_18transform_iteratorINS0_17counting_iteratorImlEEZNS1_24adjacent_difference_implIS3_Lb1ELb0EPlSB_ZN2at6native12_GLOBAL__N_124unique_dim_cuda_templateIbEESt5tupleIJNSC_6TensorESH_SH_EERKSH_lbbbEUlllE1_EE10hipError_tPvRmT2_T3_mT4_P12ihipStream_tbEUlmE_lEESB_NS0_8identityIvEEEESM_SP_SQ_mSR_ST_bEUlT_E_NS1_11comp_targetILNS1_3genE10ELNS1_11target_archE1201ELNS1_3gpuE5ELNS1_3repE0EEENS1_30default_config_static_selectorELNS0_4arch9wavefront6targetE1EEEvT1_ ; -- Begin function _ZN7rocprim17ROCPRIM_400000_NS6detail17trampoline_kernelINS0_14default_configENS1_25transform_config_selectorIlLb0EEEZNS1_14transform_implILb0ES3_S5_NS0_18transform_iteratorINS0_17counting_iteratorImlEEZNS1_24adjacent_difference_implIS3_Lb1ELb0EPlSB_ZN2at6native12_GLOBAL__N_124unique_dim_cuda_templateIbEESt5tupleIJNSC_6TensorESH_SH_EERKSH_lbbbEUlllE1_EE10hipError_tPvRmT2_T3_mT4_P12ihipStream_tbEUlmE_lEESB_NS0_8identityIvEEEESM_SP_SQ_mSR_ST_bEUlT_E_NS1_11comp_targetILNS1_3genE10ELNS1_11target_archE1201ELNS1_3gpuE5ELNS1_3repE0EEENS1_30default_config_static_selectorELNS0_4arch9wavefront6targetE1EEEvT1_
	.p2align	8
	.type	_ZN7rocprim17ROCPRIM_400000_NS6detail17trampoline_kernelINS0_14default_configENS1_25transform_config_selectorIlLb0EEEZNS1_14transform_implILb0ES3_S5_NS0_18transform_iteratorINS0_17counting_iteratorImlEEZNS1_24adjacent_difference_implIS3_Lb1ELb0EPlSB_ZN2at6native12_GLOBAL__N_124unique_dim_cuda_templateIbEESt5tupleIJNSC_6TensorESH_SH_EERKSH_lbbbEUlllE1_EE10hipError_tPvRmT2_T3_mT4_P12ihipStream_tbEUlmE_lEESB_NS0_8identityIvEEEESM_SP_SQ_mSR_ST_bEUlT_E_NS1_11comp_targetILNS1_3genE10ELNS1_11target_archE1201ELNS1_3gpuE5ELNS1_3repE0EEENS1_30default_config_static_selectorELNS0_4arch9wavefront6targetE1EEEvT1_,@function
_ZN7rocprim17ROCPRIM_400000_NS6detail17trampoline_kernelINS0_14default_configENS1_25transform_config_selectorIlLb0EEEZNS1_14transform_implILb0ES3_S5_NS0_18transform_iteratorINS0_17counting_iteratorImlEEZNS1_24adjacent_difference_implIS3_Lb1ELb0EPlSB_ZN2at6native12_GLOBAL__N_124unique_dim_cuda_templateIbEESt5tupleIJNSC_6TensorESH_SH_EERKSH_lbbbEUlllE1_EE10hipError_tPvRmT2_T3_mT4_P12ihipStream_tbEUlmE_lEESB_NS0_8identityIvEEEESM_SP_SQ_mSR_ST_bEUlT_E_NS1_11comp_targetILNS1_3genE10ELNS1_11target_archE1201ELNS1_3gpuE5ELNS1_3repE0EEENS1_30default_config_static_selectorELNS0_4arch9wavefront6targetE1EEEvT1_: ; @_ZN7rocprim17ROCPRIM_400000_NS6detail17trampoline_kernelINS0_14default_configENS1_25transform_config_selectorIlLb0EEEZNS1_14transform_implILb0ES3_S5_NS0_18transform_iteratorINS0_17counting_iteratorImlEEZNS1_24adjacent_difference_implIS3_Lb1ELb0EPlSB_ZN2at6native12_GLOBAL__N_124unique_dim_cuda_templateIbEESt5tupleIJNSC_6TensorESH_SH_EERKSH_lbbbEUlllE1_EE10hipError_tPvRmT2_T3_mT4_P12ihipStream_tbEUlmE_lEESB_NS0_8identityIvEEEESM_SP_SQ_mSR_ST_bEUlT_E_NS1_11comp_targetILNS1_3genE10ELNS1_11target_archE1201ELNS1_3gpuE5ELNS1_3repE0EEENS1_30default_config_static_selectorELNS0_4arch9wavefront6targetE1EEEvT1_
; %bb.0:
	.section	.rodata,"a",@progbits
	.p2align	6, 0x0
	.amdhsa_kernel _ZN7rocprim17ROCPRIM_400000_NS6detail17trampoline_kernelINS0_14default_configENS1_25transform_config_selectorIlLb0EEEZNS1_14transform_implILb0ES3_S5_NS0_18transform_iteratorINS0_17counting_iteratorImlEEZNS1_24adjacent_difference_implIS3_Lb1ELb0EPlSB_ZN2at6native12_GLOBAL__N_124unique_dim_cuda_templateIbEESt5tupleIJNSC_6TensorESH_SH_EERKSH_lbbbEUlllE1_EE10hipError_tPvRmT2_T3_mT4_P12ihipStream_tbEUlmE_lEESB_NS0_8identityIvEEEESM_SP_SQ_mSR_ST_bEUlT_E_NS1_11comp_targetILNS1_3genE10ELNS1_11target_archE1201ELNS1_3gpuE5ELNS1_3repE0EEENS1_30default_config_static_selectorELNS0_4arch9wavefront6targetE1EEEvT1_
		.amdhsa_group_segment_fixed_size 0
		.amdhsa_private_segment_fixed_size 0
		.amdhsa_kernarg_size 56
		.amdhsa_user_sgpr_count 6
		.amdhsa_user_sgpr_private_segment_buffer 1
		.amdhsa_user_sgpr_dispatch_ptr 0
		.amdhsa_user_sgpr_queue_ptr 0
		.amdhsa_user_sgpr_kernarg_segment_ptr 1
		.amdhsa_user_sgpr_dispatch_id 0
		.amdhsa_user_sgpr_flat_scratch_init 0
		.amdhsa_user_sgpr_kernarg_preload_length 0
		.amdhsa_user_sgpr_kernarg_preload_offset 0
		.amdhsa_user_sgpr_private_segment_size 0
		.amdhsa_uses_dynamic_stack 0
		.amdhsa_system_sgpr_private_segment_wavefront_offset 0
		.amdhsa_system_sgpr_workgroup_id_x 1
		.amdhsa_system_sgpr_workgroup_id_y 0
		.amdhsa_system_sgpr_workgroup_id_z 0
		.amdhsa_system_sgpr_workgroup_info 0
		.amdhsa_system_vgpr_workitem_id 0
		.amdhsa_next_free_vgpr 1
		.amdhsa_next_free_sgpr 0
		.amdhsa_accum_offset 4
		.amdhsa_reserve_vcc 0
		.amdhsa_reserve_flat_scratch 0
		.amdhsa_float_round_mode_32 0
		.amdhsa_float_round_mode_16_64 0
		.amdhsa_float_denorm_mode_32 3
		.amdhsa_float_denorm_mode_16_64 3
		.amdhsa_dx10_clamp 1
		.amdhsa_ieee_mode 1
		.amdhsa_fp16_overflow 0
		.amdhsa_tg_split 0
		.amdhsa_exception_fp_ieee_invalid_op 0
		.amdhsa_exception_fp_denorm_src 0
		.amdhsa_exception_fp_ieee_div_zero 0
		.amdhsa_exception_fp_ieee_overflow 0
		.amdhsa_exception_fp_ieee_underflow 0
		.amdhsa_exception_fp_ieee_inexact 0
		.amdhsa_exception_int_div_zero 0
	.end_amdhsa_kernel
	.section	.text._ZN7rocprim17ROCPRIM_400000_NS6detail17trampoline_kernelINS0_14default_configENS1_25transform_config_selectorIlLb0EEEZNS1_14transform_implILb0ES3_S5_NS0_18transform_iteratorINS0_17counting_iteratorImlEEZNS1_24adjacent_difference_implIS3_Lb1ELb0EPlSB_ZN2at6native12_GLOBAL__N_124unique_dim_cuda_templateIbEESt5tupleIJNSC_6TensorESH_SH_EERKSH_lbbbEUlllE1_EE10hipError_tPvRmT2_T3_mT4_P12ihipStream_tbEUlmE_lEESB_NS0_8identityIvEEEESM_SP_SQ_mSR_ST_bEUlT_E_NS1_11comp_targetILNS1_3genE10ELNS1_11target_archE1201ELNS1_3gpuE5ELNS1_3repE0EEENS1_30default_config_static_selectorELNS0_4arch9wavefront6targetE1EEEvT1_,"axG",@progbits,_ZN7rocprim17ROCPRIM_400000_NS6detail17trampoline_kernelINS0_14default_configENS1_25transform_config_selectorIlLb0EEEZNS1_14transform_implILb0ES3_S5_NS0_18transform_iteratorINS0_17counting_iteratorImlEEZNS1_24adjacent_difference_implIS3_Lb1ELb0EPlSB_ZN2at6native12_GLOBAL__N_124unique_dim_cuda_templateIbEESt5tupleIJNSC_6TensorESH_SH_EERKSH_lbbbEUlllE1_EE10hipError_tPvRmT2_T3_mT4_P12ihipStream_tbEUlmE_lEESB_NS0_8identityIvEEEESM_SP_SQ_mSR_ST_bEUlT_E_NS1_11comp_targetILNS1_3genE10ELNS1_11target_archE1201ELNS1_3gpuE5ELNS1_3repE0EEENS1_30default_config_static_selectorELNS0_4arch9wavefront6targetE1EEEvT1_,comdat
.Lfunc_end1039:
	.size	_ZN7rocprim17ROCPRIM_400000_NS6detail17trampoline_kernelINS0_14default_configENS1_25transform_config_selectorIlLb0EEEZNS1_14transform_implILb0ES3_S5_NS0_18transform_iteratorINS0_17counting_iteratorImlEEZNS1_24adjacent_difference_implIS3_Lb1ELb0EPlSB_ZN2at6native12_GLOBAL__N_124unique_dim_cuda_templateIbEESt5tupleIJNSC_6TensorESH_SH_EERKSH_lbbbEUlllE1_EE10hipError_tPvRmT2_T3_mT4_P12ihipStream_tbEUlmE_lEESB_NS0_8identityIvEEEESM_SP_SQ_mSR_ST_bEUlT_E_NS1_11comp_targetILNS1_3genE10ELNS1_11target_archE1201ELNS1_3gpuE5ELNS1_3repE0EEENS1_30default_config_static_selectorELNS0_4arch9wavefront6targetE1EEEvT1_, .Lfunc_end1039-_ZN7rocprim17ROCPRIM_400000_NS6detail17trampoline_kernelINS0_14default_configENS1_25transform_config_selectorIlLb0EEEZNS1_14transform_implILb0ES3_S5_NS0_18transform_iteratorINS0_17counting_iteratorImlEEZNS1_24adjacent_difference_implIS3_Lb1ELb0EPlSB_ZN2at6native12_GLOBAL__N_124unique_dim_cuda_templateIbEESt5tupleIJNSC_6TensorESH_SH_EERKSH_lbbbEUlllE1_EE10hipError_tPvRmT2_T3_mT4_P12ihipStream_tbEUlmE_lEESB_NS0_8identityIvEEEESM_SP_SQ_mSR_ST_bEUlT_E_NS1_11comp_targetILNS1_3genE10ELNS1_11target_archE1201ELNS1_3gpuE5ELNS1_3repE0EEENS1_30default_config_static_selectorELNS0_4arch9wavefront6targetE1EEEvT1_
                                        ; -- End function
	.section	.AMDGPU.csdata,"",@progbits
; Kernel info:
; codeLenInByte = 0
; NumSgprs: 4
; NumVgprs: 0
; NumAgprs: 0
; TotalNumVgprs: 0
; ScratchSize: 0
; MemoryBound: 0
; FloatMode: 240
; IeeeMode: 1
; LDSByteSize: 0 bytes/workgroup (compile time only)
; SGPRBlocks: 0
; VGPRBlocks: 0
; NumSGPRsForWavesPerEU: 4
; NumVGPRsForWavesPerEU: 1
; AccumOffset: 4
; Occupancy: 8
; WaveLimiterHint : 0
; COMPUTE_PGM_RSRC2:SCRATCH_EN: 0
; COMPUTE_PGM_RSRC2:USER_SGPR: 6
; COMPUTE_PGM_RSRC2:TRAP_HANDLER: 0
; COMPUTE_PGM_RSRC2:TGID_X_EN: 1
; COMPUTE_PGM_RSRC2:TGID_Y_EN: 0
; COMPUTE_PGM_RSRC2:TGID_Z_EN: 0
; COMPUTE_PGM_RSRC2:TIDIG_COMP_CNT: 0
; COMPUTE_PGM_RSRC3_GFX90A:ACCUM_OFFSET: 0
; COMPUTE_PGM_RSRC3_GFX90A:TG_SPLIT: 0
	.section	.text._ZN7rocprim17ROCPRIM_400000_NS6detail17trampoline_kernelINS0_14default_configENS1_25transform_config_selectorIlLb0EEEZNS1_14transform_implILb0ES3_S5_NS0_18transform_iteratorINS0_17counting_iteratorImlEEZNS1_24adjacent_difference_implIS3_Lb1ELb0EPlSB_ZN2at6native12_GLOBAL__N_124unique_dim_cuda_templateIbEESt5tupleIJNSC_6TensorESH_SH_EERKSH_lbbbEUlllE1_EE10hipError_tPvRmT2_T3_mT4_P12ihipStream_tbEUlmE_lEESB_NS0_8identityIvEEEESM_SP_SQ_mSR_ST_bEUlT_E_NS1_11comp_targetILNS1_3genE10ELNS1_11target_archE1200ELNS1_3gpuE4ELNS1_3repE0EEENS1_30default_config_static_selectorELNS0_4arch9wavefront6targetE1EEEvT1_,"axG",@progbits,_ZN7rocprim17ROCPRIM_400000_NS6detail17trampoline_kernelINS0_14default_configENS1_25transform_config_selectorIlLb0EEEZNS1_14transform_implILb0ES3_S5_NS0_18transform_iteratorINS0_17counting_iteratorImlEEZNS1_24adjacent_difference_implIS3_Lb1ELb0EPlSB_ZN2at6native12_GLOBAL__N_124unique_dim_cuda_templateIbEESt5tupleIJNSC_6TensorESH_SH_EERKSH_lbbbEUlllE1_EE10hipError_tPvRmT2_T3_mT4_P12ihipStream_tbEUlmE_lEESB_NS0_8identityIvEEEESM_SP_SQ_mSR_ST_bEUlT_E_NS1_11comp_targetILNS1_3genE10ELNS1_11target_archE1200ELNS1_3gpuE4ELNS1_3repE0EEENS1_30default_config_static_selectorELNS0_4arch9wavefront6targetE1EEEvT1_,comdat
	.globl	_ZN7rocprim17ROCPRIM_400000_NS6detail17trampoline_kernelINS0_14default_configENS1_25transform_config_selectorIlLb0EEEZNS1_14transform_implILb0ES3_S5_NS0_18transform_iteratorINS0_17counting_iteratorImlEEZNS1_24adjacent_difference_implIS3_Lb1ELb0EPlSB_ZN2at6native12_GLOBAL__N_124unique_dim_cuda_templateIbEESt5tupleIJNSC_6TensorESH_SH_EERKSH_lbbbEUlllE1_EE10hipError_tPvRmT2_T3_mT4_P12ihipStream_tbEUlmE_lEESB_NS0_8identityIvEEEESM_SP_SQ_mSR_ST_bEUlT_E_NS1_11comp_targetILNS1_3genE10ELNS1_11target_archE1200ELNS1_3gpuE4ELNS1_3repE0EEENS1_30default_config_static_selectorELNS0_4arch9wavefront6targetE1EEEvT1_ ; -- Begin function _ZN7rocprim17ROCPRIM_400000_NS6detail17trampoline_kernelINS0_14default_configENS1_25transform_config_selectorIlLb0EEEZNS1_14transform_implILb0ES3_S5_NS0_18transform_iteratorINS0_17counting_iteratorImlEEZNS1_24adjacent_difference_implIS3_Lb1ELb0EPlSB_ZN2at6native12_GLOBAL__N_124unique_dim_cuda_templateIbEESt5tupleIJNSC_6TensorESH_SH_EERKSH_lbbbEUlllE1_EE10hipError_tPvRmT2_T3_mT4_P12ihipStream_tbEUlmE_lEESB_NS0_8identityIvEEEESM_SP_SQ_mSR_ST_bEUlT_E_NS1_11comp_targetILNS1_3genE10ELNS1_11target_archE1200ELNS1_3gpuE4ELNS1_3repE0EEENS1_30default_config_static_selectorELNS0_4arch9wavefront6targetE1EEEvT1_
	.p2align	8
	.type	_ZN7rocprim17ROCPRIM_400000_NS6detail17trampoline_kernelINS0_14default_configENS1_25transform_config_selectorIlLb0EEEZNS1_14transform_implILb0ES3_S5_NS0_18transform_iteratorINS0_17counting_iteratorImlEEZNS1_24adjacent_difference_implIS3_Lb1ELb0EPlSB_ZN2at6native12_GLOBAL__N_124unique_dim_cuda_templateIbEESt5tupleIJNSC_6TensorESH_SH_EERKSH_lbbbEUlllE1_EE10hipError_tPvRmT2_T3_mT4_P12ihipStream_tbEUlmE_lEESB_NS0_8identityIvEEEESM_SP_SQ_mSR_ST_bEUlT_E_NS1_11comp_targetILNS1_3genE10ELNS1_11target_archE1200ELNS1_3gpuE4ELNS1_3repE0EEENS1_30default_config_static_selectorELNS0_4arch9wavefront6targetE1EEEvT1_,@function
_ZN7rocprim17ROCPRIM_400000_NS6detail17trampoline_kernelINS0_14default_configENS1_25transform_config_selectorIlLb0EEEZNS1_14transform_implILb0ES3_S5_NS0_18transform_iteratorINS0_17counting_iteratorImlEEZNS1_24adjacent_difference_implIS3_Lb1ELb0EPlSB_ZN2at6native12_GLOBAL__N_124unique_dim_cuda_templateIbEESt5tupleIJNSC_6TensorESH_SH_EERKSH_lbbbEUlllE1_EE10hipError_tPvRmT2_T3_mT4_P12ihipStream_tbEUlmE_lEESB_NS0_8identityIvEEEESM_SP_SQ_mSR_ST_bEUlT_E_NS1_11comp_targetILNS1_3genE10ELNS1_11target_archE1200ELNS1_3gpuE4ELNS1_3repE0EEENS1_30default_config_static_selectorELNS0_4arch9wavefront6targetE1EEEvT1_: ; @_ZN7rocprim17ROCPRIM_400000_NS6detail17trampoline_kernelINS0_14default_configENS1_25transform_config_selectorIlLb0EEEZNS1_14transform_implILb0ES3_S5_NS0_18transform_iteratorINS0_17counting_iteratorImlEEZNS1_24adjacent_difference_implIS3_Lb1ELb0EPlSB_ZN2at6native12_GLOBAL__N_124unique_dim_cuda_templateIbEESt5tupleIJNSC_6TensorESH_SH_EERKSH_lbbbEUlllE1_EE10hipError_tPvRmT2_T3_mT4_P12ihipStream_tbEUlmE_lEESB_NS0_8identityIvEEEESM_SP_SQ_mSR_ST_bEUlT_E_NS1_11comp_targetILNS1_3genE10ELNS1_11target_archE1200ELNS1_3gpuE4ELNS1_3repE0EEENS1_30default_config_static_selectorELNS0_4arch9wavefront6targetE1EEEvT1_
; %bb.0:
	.section	.rodata,"a",@progbits
	.p2align	6, 0x0
	.amdhsa_kernel _ZN7rocprim17ROCPRIM_400000_NS6detail17trampoline_kernelINS0_14default_configENS1_25transform_config_selectorIlLb0EEEZNS1_14transform_implILb0ES3_S5_NS0_18transform_iteratorINS0_17counting_iteratorImlEEZNS1_24adjacent_difference_implIS3_Lb1ELb0EPlSB_ZN2at6native12_GLOBAL__N_124unique_dim_cuda_templateIbEESt5tupleIJNSC_6TensorESH_SH_EERKSH_lbbbEUlllE1_EE10hipError_tPvRmT2_T3_mT4_P12ihipStream_tbEUlmE_lEESB_NS0_8identityIvEEEESM_SP_SQ_mSR_ST_bEUlT_E_NS1_11comp_targetILNS1_3genE10ELNS1_11target_archE1200ELNS1_3gpuE4ELNS1_3repE0EEENS1_30default_config_static_selectorELNS0_4arch9wavefront6targetE1EEEvT1_
		.amdhsa_group_segment_fixed_size 0
		.amdhsa_private_segment_fixed_size 0
		.amdhsa_kernarg_size 56
		.amdhsa_user_sgpr_count 6
		.amdhsa_user_sgpr_private_segment_buffer 1
		.amdhsa_user_sgpr_dispatch_ptr 0
		.amdhsa_user_sgpr_queue_ptr 0
		.amdhsa_user_sgpr_kernarg_segment_ptr 1
		.amdhsa_user_sgpr_dispatch_id 0
		.amdhsa_user_sgpr_flat_scratch_init 0
		.amdhsa_user_sgpr_kernarg_preload_length 0
		.amdhsa_user_sgpr_kernarg_preload_offset 0
		.amdhsa_user_sgpr_private_segment_size 0
		.amdhsa_uses_dynamic_stack 0
		.amdhsa_system_sgpr_private_segment_wavefront_offset 0
		.amdhsa_system_sgpr_workgroup_id_x 1
		.amdhsa_system_sgpr_workgroup_id_y 0
		.amdhsa_system_sgpr_workgroup_id_z 0
		.amdhsa_system_sgpr_workgroup_info 0
		.amdhsa_system_vgpr_workitem_id 0
		.amdhsa_next_free_vgpr 1
		.amdhsa_next_free_sgpr 0
		.amdhsa_accum_offset 4
		.amdhsa_reserve_vcc 0
		.amdhsa_reserve_flat_scratch 0
		.amdhsa_float_round_mode_32 0
		.amdhsa_float_round_mode_16_64 0
		.amdhsa_float_denorm_mode_32 3
		.amdhsa_float_denorm_mode_16_64 3
		.amdhsa_dx10_clamp 1
		.amdhsa_ieee_mode 1
		.amdhsa_fp16_overflow 0
		.amdhsa_tg_split 0
		.amdhsa_exception_fp_ieee_invalid_op 0
		.amdhsa_exception_fp_denorm_src 0
		.amdhsa_exception_fp_ieee_div_zero 0
		.amdhsa_exception_fp_ieee_overflow 0
		.amdhsa_exception_fp_ieee_underflow 0
		.amdhsa_exception_fp_ieee_inexact 0
		.amdhsa_exception_int_div_zero 0
	.end_amdhsa_kernel
	.section	.text._ZN7rocprim17ROCPRIM_400000_NS6detail17trampoline_kernelINS0_14default_configENS1_25transform_config_selectorIlLb0EEEZNS1_14transform_implILb0ES3_S5_NS0_18transform_iteratorINS0_17counting_iteratorImlEEZNS1_24adjacent_difference_implIS3_Lb1ELb0EPlSB_ZN2at6native12_GLOBAL__N_124unique_dim_cuda_templateIbEESt5tupleIJNSC_6TensorESH_SH_EERKSH_lbbbEUlllE1_EE10hipError_tPvRmT2_T3_mT4_P12ihipStream_tbEUlmE_lEESB_NS0_8identityIvEEEESM_SP_SQ_mSR_ST_bEUlT_E_NS1_11comp_targetILNS1_3genE10ELNS1_11target_archE1200ELNS1_3gpuE4ELNS1_3repE0EEENS1_30default_config_static_selectorELNS0_4arch9wavefront6targetE1EEEvT1_,"axG",@progbits,_ZN7rocprim17ROCPRIM_400000_NS6detail17trampoline_kernelINS0_14default_configENS1_25transform_config_selectorIlLb0EEEZNS1_14transform_implILb0ES3_S5_NS0_18transform_iteratorINS0_17counting_iteratorImlEEZNS1_24adjacent_difference_implIS3_Lb1ELb0EPlSB_ZN2at6native12_GLOBAL__N_124unique_dim_cuda_templateIbEESt5tupleIJNSC_6TensorESH_SH_EERKSH_lbbbEUlllE1_EE10hipError_tPvRmT2_T3_mT4_P12ihipStream_tbEUlmE_lEESB_NS0_8identityIvEEEESM_SP_SQ_mSR_ST_bEUlT_E_NS1_11comp_targetILNS1_3genE10ELNS1_11target_archE1200ELNS1_3gpuE4ELNS1_3repE0EEENS1_30default_config_static_selectorELNS0_4arch9wavefront6targetE1EEEvT1_,comdat
.Lfunc_end1040:
	.size	_ZN7rocprim17ROCPRIM_400000_NS6detail17trampoline_kernelINS0_14default_configENS1_25transform_config_selectorIlLb0EEEZNS1_14transform_implILb0ES3_S5_NS0_18transform_iteratorINS0_17counting_iteratorImlEEZNS1_24adjacent_difference_implIS3_Lb1ELb0EPlSB_ZN2at6native12_GLOBAL__N_124unique_dim_cuda_templateIbEESt5tupleIJNSC_6TensorESH_SH_EERKSH_lbbbEUlllE1_EE10hipError_tPvRmT2_T3_mT4_P12ihipStream_tbEUlmE_lEESB_NS0_8identityIvEEEESM_SP_SQ_mSR_ST_bEUlT_E_NS1_11comp_targetILNS1_3genE10ELNS1_11target_archE1200ELNS1_3gpuE4ELNS1_3repE0EEENS1_30default_config_static_selectorELNS0_4arch9wavefront6targetE1EEEvT1_, .Lfunc_end1040-_ZN7rocprim17ROCPRIM_400000_NS6detail17trampoline_kernelINS0_14default_configENS1_25transform_config_selectorIlLb0EEEZNS1_14transform_implILb0ES3_S5_NS0_18transform_iteratorINS0_17counting_iteratorImlEEZNS1_24adjacent_difference_implIS3_Lb1ELb0EPlSB_ZN2at6native12_GLOBAL__N_124unique_dim_cuda_templateIbEESt5tupleIJNSC_6TensorESH_SH_EERKSH_lbbbEUlllE1_EE10hipError_tPvRmT2_T3_mT4_P12ihipStream_tbEUlmE_lEESB_NS0_8identityIvEEEESM_SP_SQ_mSR_ST_bEUlT_E_NS1_11comp_targetILNS1_3genE10ELNS1_11target_archE1200ELNS1_3gpuE4ELNS1_3repE0EEENS1_30default_config_static_selectorELNS0_4arch9wavefront6targetE1EEEvT1_
                                        ; -- End function
	.section	.AMDGPU.csdata,"",@progbits
; Kernel info:
; codeLenInByte = 0
; NumSgprs: 4
; NumVgprs: 0
; NumAgprs: 0
; TotalNumVgprs: 0
; ScratchSize: 0
; MemoryBound: 0
; FloatMode: 240
; IeeeMode: 1
; LDSByteSize: 0 bytes/workgroup (compile time only)
; SGPRBlocks: 0
; VGPRBlocks: 0
; NumSGPRsForWavesPerEU: 4
; NumVGPRsForWavesPerEU: 1
; AccumOffset: 4
; Occupancy: 8
; WaveLimiterHint : 0
; COMPUTE_PGM_RSRC2:SCRATCH_EN: 0
; COMPUTE_PGM_RSRC2:USER_SGPR: 6
; COMPUTE_PGM_RSRC2:TRAP_HANDLER: 0
; COMPUTE_PGM_RSRC2:TGID_X_EN: 1
; COMPUTE_PGM_RSRC2:TGID_Y_EN: 0
; COMPUTE_PGM_RSRC2:TGID_Z_EN: 0
; COMPUTE_PGM_RSRC2:TIDIG_COMP_CNT: 0
; COMPUTE_PGM_RSRC3_GFX90A:ACCUM_OFFSET: 0
; COMPUTE_PGM_RSRC3_GFX90A:TG_SPLIT: 0
	.section	.text._ZN7rocprim17ROCPRIM_400000_NS6detail17trampoline_kernelINS0_14default_configENS1_25transform_config_selectorIlLb0EEEZNS1_14transform_implILb0ES3_S5_NS0_18transform_iteratorINS0_17counting_iteratorImlEEZNS1_24adjacent_difference_implIS3_Lb1ELb0EPlSB_ZN2at6native12_GLOBAL__N_124unique_dim_cuda_templateIbEESt5tupleIJNSC_6TensorESH_SH_EERKSH_lbbbEUlllE1_EE10hipError_tPvRmT2_T3_mT4_P12ihipStream_tbEUlmE_lEESB_NS0_8identityIvEEEESM_SP_SQ_mSR_ST_bEUlT_E_NS1_11comp_targetILNS1_3genE9ELNS1_11target_archE1100ELNS1_3gpuE3ELNS1_3repE0EEENS1_30default_config_static_selectorELNS0_4arch9wavefront6targetE1EEEvT1_,"axG",@progbits,_ZN7rocprim17ROCPRIM_400000_NS6detail17trampoline_kernelINS0_14default_configENS1_25transform_config_selectorIlLb0EEEZNS1_14transform_implILb0ES3_S5_NS0_18transform_iteratorINS0_17counting_iteratorImlEEZNS1_24adjacent_difference_implIS3_Lb1ELb0EPlSB_ZN2at6native12_GLOBAL__N_124unique_dim_cuda_templateIbEESt5tupleIJNSC_6TensorESH_SH_EERKSH_lbbbEUlllE1_EE10hipError_tPvRmT2_T3_mT4_P12ihipStream_tbEUlmE_lEESB_NS0_8identityIvEEEESM_SP_SQ_mSR_ST_bEUlT_E_NS1_11comp_targetILNS1_3genE9ELNS1_11target_archE1100ELNS1_3gpuE3ELNS1_3repE0EEENS1_30default_config_static_selectorELNS0_4arch9wavefront6targetE1EEEvT1_,comdat
	.globl	_ZN7rocprim17ROCPRIM_400000_NS6detail17trampoline_kernelINS0_14default_configENS1_25transform_config_selectorIlLb0EEEZNS1_14transform_implILb0ES3_S5_NS0_18transform_iteratorINS0_17counting_iteratorImlEEZNS1_24adjacent_difference_implIS3_Lb1ELb0EPlSB_ZN2at6native12_GLOBAL__N_124unique_dim_cuda_templateIbEESt5tupleIJNSC_6TensorESH_SH_EERKSH_lbbbEUlllE1_EE10hipError_tPvRmT2_T3_mT4_P12ihipStream_tbEUlmE_lEESB_NS0_8identityIvEEEESM_SP_SQ_mSR_ST_bEUlT_E_NS1_11comp_targetILNS1_3genE9ELNS1_11target_archE1100ELNS1_3gpuE3ELNS1_3repE0EEENS1_30default_config_static_selectorELNS0_4arch9wavefront6targetE1EEEvT1_ ; -- Begin function _ZN7rocprim17ROCPRIM_400000_NS6detail17trampoline_kernelINS0_14default_configENS1_25transform_config_selectorIlLb0EEEZNS1_14transform_implILb0ES3_S5_NS0_18transform_iteratorINS0_17counting_iteratorImlEEZNS1_24adjacent_difference_implIS3_Lb1ELb0EPlSB_ZN2at6native12_GLOBAL__N_124unique_dim_cuda_templateIbEESt5tupleIJNSC_6TensorESH_SH_EERKSH_lbbbEUlllE1_EE10hipError_tPvRmT2_T3_mT4_P12ihipStream_tbEUlmE_lEESB_NS0_8identityIvEEEESM_SP_SQ_mSR_ST_bEUlT_E_NS1_11comp_targetILNS1_3genE9ELNS1_11target_archE1100ELNS1_3gpuE3ELNS1_3repE0EEENS1_30default_config_static_selectorELNS0_4arch9wavefront6targetE1EEEvT1_
	.p2align	8
	.type	_ZN7rocprim17ROCPRIM_400000_NS6detail17trampoline_kernelINS0_14default_configENS1_25transform_config_selectorIlLb0EEEZNS1_14transform_implILb0ES3_S5_NS0_18transform_iteratorINS0_17counting_iteratorImlEEZNS1_24adjacent_difference_implIS3_Lb1ELb0EPlSB_ZN2at6native12_GLOBAL__N_124unique_dim_cuda_templateIbEESt5tupleIJNSC_6TensorESH_SH_EERKSH_lbbbEUlllE1_EE10hipError_tPvRmT2_T3_mT4_P12ihipStream_tbEUlmE_lEESB_NS0_8identityIvEEEESM_SP_SQ_mSR_ST_bEUlT_E_NS1_11comp_targetILNS1_3genE9ELNS1_11target_archE1100ELNS1_3gpuE3ELNS1_3repE0EEENS1_30default_config_static_selectorELNS0_4arch9wavefront6targetE1EEEvT1_,@function
_ZN7rocprim17ROCPRIM_400000_NS6detail17trampoline_kernelINS0_14default_configENS1_25transform_config_selectorIlLb0EEEZNS1_14transform_implILb0ES3_S5_NS0_18transform_iteratorINS0_17counting_iteratorImlEEZNS1_24adjacent_difference_implIS3_Lb1ELb0EPlSB_ZN2at6native12_GLOBAL__N_124unique_dim_cuda_templateIbEESt5tupleIJNSC_6TensorESH_SH_EERKSH_lbbbEUlllE1_EE10hipError_tPvRmT2_T3_mT4_P12ihipStream_tbEUlmE_lEESB_NS0_8identityIvEEEESM_SP_SQ_mSR_ST_bEUlT_E_NS1_11comp_targetILNS1_3genE9ELNS1_11target_archE1100ELNS1_3gpuE3ELNS1_3repE0EEENS1_30default_config_static_selectorELNS0_4arch9wavefront6targetE1EEEvT1_: ; @_ZN7rocprim17ROCPRIM_400000_NS6detail17trampoline_kernelINS0_14default_configENS1_25transform_config_selectorIlLb0EEEZNS1_14transform_implILb0ES3_S5_NS0_18transform_iteratorINS0_17counting_iteratorImlEEZNS1_24adjacent_difference_implIS3_Lb1ELb0EPlSB_ZN2at6native12_GLOBAL__N_124unique_dim_cuda_templateIbEESt5tupleIJNSC_6TensorESH_SH_EERKSH_lbbbEUlllE1_EE10hipError_tPvRmT2_T3_mT4_P12ihipStream_tbEUlmE_lEESB_NS0_8identityIvEEEESM_SP_SQ_mSR_ST_bEUlT_E_NS1_11comp_targetILNS1_3genE9ELNS1_11target_archE1100ELNS1_3gpuE3ELNS1_3repE0EEENS1_30default_config_static_selectorELNS0_4arch9wavefront6targetE1EEEvT1_
; %bb.0:
	.section	.rodata,"a",@progbits
	.p2align	6, 0x0
	.amdhsa_kernel _ZN7rocprim17ROCPRIM_400000_NS6detail17trampoline_kernelINS0_14default_configENS1_25transform_config_selectorIlLb0EEEZNS1_14transform_implILb0ES3_S5_NS0_18transform_iteratorINS0_17counting_iteratorImlEEZNS1_24adjacent_difference_implIS3_Lb1ELb0EPlSB_ZN2at6native12_GLOBAL__N_124unique_dim_cuda_templateIbEESt5tupleIJNSC_6TensorESH_SH_EERKSH_lbbbEUlllE1_EE10hipError_tPvRmT2_T3_mT4_P12ihipStream_tbEUlmE_lEESB_NS0_8identityIvEEEESM_SP_SQ_mSR_ST_bEUlT_E_NS1_11comp_targetILNS1_3genE9ELNS1_11target_archE1100ELNS1_3gpuE3ELNS1_3repE0EEENS1_30default_config_static_selectorELNS0_4arch9wavefront6targetE1EEEvT1_
		.amdhsa_group_segment_fixed_size 0
		.amdhsa_private_segment_fixed_size 0
		.amdhsa_kernarg_size 56
		.amdhsa_user_sgpr_count 6
		.amdhsa_user_sgpr_private_segment_buffer 1
		.amdhsa_user_sgpr_dispatch_ptr 0
		.amdhsa_user_sgpr_queue_ptr 0
		.amdhsa_user_sgpr_kernarg_segment_ptr 1
		.amdhsa_user_sgpr_dispatch_id 0
		.amdhsa_user_sgpr_flat_scratch_init 0
		.amdhsa_user_sgpr_kernarg_preload_length 0
		.amdhsa_user_sgpr_kernarg_preload_offset 0
		.amdhsa_user_sgpr_private_segment_size 0
		.amdhsa_uses_dynamic_stack 0
		.amdhsa_system_sgpr_private_segment_wavefront_offset 0
		.amdhsa_system_sgpr_workgroup_id_x 1
		.amdhsa_system_sgpr_workgroup_id_y 0
		.amdhsa_system_sgpr_workgroup_id_z 0
		.amdhsa_system_sgpr_workgroup_info 0
		.amdhsa_system_vgpr_workitem_id 0
		.amdhsa_next_free_vgpr 1
		.amdhsa_next_free_sgpr 0
		.amdhsa_accum_offset 4
		.amdhsa_reserve_vcc 0
		.amdhsa_reserve_flat_scratch 0
		.amdhsa_float_round_mode_32 0
		.amdhsa_float_round_mode_16_64 0
		.amdhsa_float_denorm_mode_32 3
		.amdhsa_float_denorm_mode_16_64 3
		.amdhsa_dx10_clamp 1
		.amdhsa_ieee_mode 1
		.amdhsa_fp16_overflow 0
		.amdhsa_tg_split 0
		.amdhsa_exception_fp_ieee_invalid_op 0
		.amdhsa_exception_fp_denorm_src 0
		.amdhsa_exception_fp_ieee_div_zero 0
		.amdhsa_exception_fp_ieee_overflow 0
		.amdhsa_exception_fp_ieee_underflow 0
		.amdhsa_exception_fp_ieee_inexact 0
		.amdhsa_exception_int_div_zero 0
	.end_amdhsa_kernel
	.section	.text._ZN7rocprim17ROCPRIM_400000_NS6detail17trampoline_kernelINS0_14default_configENS1_25transform_config_selectorIlLb0EEEZNS1_14transform_implILb0ES3_S5_NS0_18transform_iteratorINS0_17counting_iteratorImlEEZNS1_24adjacent_difference_implIS3_Lb1ELb0EPlSB_ZN2at6native12_GLOBAL__N_124unique_dim_cuda_templateIbEESt5tupleIJNSC_6TensorESH_SH_EERKSH_lbbbEUlllE1_EE10hipError_tPvRmT2_T3_mT4_P12ihipStream_tbEUlmE_lEESB_NS0_8identityIvEEEESM_SP_SQ_mSR_ST_bEUlT_E_NS1_11comp_targetILNS1_3genE9ELNS1_11target_archE1100ELNS1_3gpuE3ELNS1_3repE0EEENS1_30default_config_static_selectorELNS0_4arch9wavefront6targetE1EEEvT1_,"axG",@progbits,_ZN7rocprim17ROCPRIM_400000_NS6detail17trampoline_kernelINS0_14default_configENS1_25transform_config_selectorIlLb0EEEZNS1_14transform_implILb0ES3_S5_NS0_18transform_iteratorINS0_17counting_iteratorImlEEZNS1_24adjacent_difference_implIS3_Lb1ELb0EPlSB_ZN2at6native12_GLOBAL__N_124unique_dim_cuda_templateIbEESt5tupleIJNSC_6TensorESH_SH_EERKSH_lbbbEUlllE1_EE10hipError_tPvRmT2_T3_mT4_P12ihipStream_tbEUlmE_lEESB_NS0_8identityIvEEEESM_SP_SQ_mSR_ST_bEUlT_E_NS1_11comp_targetILNS1_3genE9ELNS1_11target_archE1100ELNS1_3gpuE3ELNS1_3repE0EEENS1_30default_config_static_selectorELNS0_4arch9wavefront6targetE1EEEvT1_,comdat
.Lfunc_end1041:
	.size	_ZN7rocprim17ROCPRIM_400000_NS6detail17trampoline_kernelINS0_14default_configENS1_25transform_config_selectorIlLb0EEEZNS1_14transform_implILb0ES3_S5_NS0_18transform_iteratorINS0_17counting_iteratorImlEEZNS1_24adjacent_difference_implIS3_Lb1ELb0EPlSB_ZN2at6native12_GLOBAL__N_124unique_dim_cuda_templateIbEESt5tupleIJNSC_6TensorESH_SH_EERKSH_lbbbEUlllE1_EE10hipError_tPvRmT2_T3_mT4_P12ihipStream_tbEUlmE_lEESB_NS0_8identityIvEEEESM_SP_SQ_mSR_ST_bEUlT_E_NS1_11comp_targetILNS1_3genE9ELNS1_11target_archE1100ELNS1_3gpuE3ELNS1_3repE0EEENS1_30default_config_static_selectorELNS0_4arch9wavefront6targetE1EEEvT1_, .Lfunc_end1041-_ZN7rocprim17ROCPRIM_400000_NS6detail17trampoline_kernelINS0_14default_configENS1_25transform_config_selectorIlLb0EEEZNS1_14transform_implILb0ES3_S5_NS0_18transform_iteratorINS0_17counting_iteratorImlEEZNS1_24adjacent_difference_implIS3_Lb1ELb0EPlSB_ZN2at6native12_GLOBAL__N_124unique_dim_cuda_templateIbEESt5tupleIJNSC_6TensorESH_SH_EERKSH_lbbbEUlllE1_EE10hipError_tPvRmT2_T3_mT4_P12ihipStream_tbEUlmE_lEESB_NS0_8identityIvEEEESM_SP_SQ_mSR_ST_bEUlT_E_NS1_11comp_targetILNS1_3genE9ELNS1_11target_archE1100ELNS1_3gpuE3ELNS1_3repE0EEENS1_30default_config_static_selectorELNS0_4arch9wavefront6targetE1EEEvT1_
                                        ; -- End function
	.section	.AMDGPU.csdata,"",@progbits
; Kernel info:
; codeLenInByte = 0
; NumSgprs: 4
; NumVgprs: 0
; NumAgprs: 0
; TotalNumVgprs: 0
; ScratchSize: 0
; MemoryBound: 0
; FloatMode: 240
; IeeeMode: 1
; LDSByteSize: 0 bytes/workgroup (compile time only)
; SGPRBlocks: 0
; VGPRBlocks: 0
; NumSGPRsForWavesPerEU: 4
; NumVGPRsForWavesPerEU: 1
; AccumOffset: 4
; Occupancy: 8
; WaveLimiterHint : 0
; COMPUTE_PGM_RSRC2:SCRATCH_EN: 0
; COMPUTE_PGM_RSRC2:USER_SGPR: 6
; COMPUTE_PGM_RSRC2:TRAP_HANDLER: 0
; COMPUTE_PGM_RSRC2:TGID_X_EN: 1
; COMPUTE_PGM_RSRC2:TGID_Y_EN: 0
; COMPUTE_PGM_RSRC2:TGID_Z_EN: 0
; COMPUTE_PGM_RSRC2:TIDIG_COMP_CNT: 0
; COMPUTE_PGM_RSRC3_GFX90A:ACCUM_OFFSET: 0
; COMPUTE_PGM_RSRC3_GFX90A:TG_SPLIT: 0
	.section	.text._ZN7rocprim17ROCPRIM_400000_NS6detail17trampoline_kernelINS0_14default_configENS1_25transform_config_selectorIlLb0EEEZNS1_14transform_implILb0ES3_S5_NS0_18transform_iteratorINS0_17counting_iteratorImlEEZNS1_24adjacent_difference_implIS3_Lb1ELb0EPlSB_ZN2at6native12_GLOBAL__N_124unique_dim_cuda_templateIbEESt5tupleIJNSC_6TensorESH_SH_EERKSH_lbbbEUlllE1_EE10hipError_tPvRmT2_T3_mT4_P12ihipStream_tbEUlmE_lEESB_NS0_8identityIvEEEESM_SP_SQ_mSR_ST_bEUlT_E_NS1_11comp_targetILNS1_3genE8ELNS1_11target_archE1030ELNS1_3gpuE2ELNS1_3repE0EEENS1_30default_config_static_selectorELNS0_4arch9wavefront6targetE1EEEvT1_,"axG",@progbits,_ZN7rocprim17ROCPRIM_400000_NS6detail17trampoline_kernelINS0_14default_configENS1_25transform_config_selectorIlLb0EEEZNS1_14transform_implILb0ES3_S5_NS0_18transform_iteratorINS0_17counting_iteratorImlEEZNS1_24adjacent_difference_implIS3_Lb1ELb0EPlSB_ZN2at6native12_GLOBAL__N_124unique_dim_cuda_templateIbEESt5tupleIJNSC_6TensorESH_SH_EERKSH_lbbbEUlllE1_EE10hipError_tPvRmT2_T3_mT4_P12ihipStream_tbEUlmE_lEESB_NS0_8identityIvEEEESM_SP_SQ_mSR_ST_bEUlT_E_NS1_11comp_targetILNS1_3genE8ELNS1_11target_archE1030ELNS1_3gpuE2ELNS1_3repE0EEENS1_30default_config_static_selectorELNS0_4arch9wavefront6targetE1EEEvT1_,comdat
	.globl	_ZN7rocprim17ROCPRIM_400000_NS6detail17trampoline_kernelINS0_14default_configENS1_25transform_config_selectorIlLb0EEEZNS1_14transform_implILb0ES3_S5_NS0_18transform_iteratorINS0_17counting_iteratorImlEEZNS1_24adjacent_difference_implIS3_Lb1ELb0EPlSB_ZN2at6native12_GLOBAL__N_124unique_dim_cuda_templateIbEESt5tupleIJNSC_6TensorESH_SH_EERKSH_lbbbEUlllE1_EE10hipError_tPvRmT2_T3_mT4_P12ihipStream_tbEUlmE_lEESB_NS0_8identityIvEEEESM_SP_SQ_mSR_ST_bEUlT_E_NS1_11comp_targetILNS1_3genE8ELNS1_11target_archE1030ELNS1_3gpuE2ELNS1_3repE0EEENS1_30default_config_static_selectorELNS0_4arch9wavefront6targetE1EEEvT1_ ; -- Begin function _ZN7rocprim17ROCPRIM_400000_NS6detail17trampoline_kernelINS0_14default_configENS1_25transform_config_selectorIlLb0EEEZNS1_14transform_implILb0ES3_S5_NS0_18transform_iteratorINS0_17counting_iteratorImlEEZNS1_24adjacent_difference_implIS3_Lb1ELb0EPlSB_ZN2at6native12_GLOBAL__N_124unique_dim_cuda_templateIbEESt5tupleIJNSC_6TensorESH_SH_EERKSH_lbbbEUlllE1_EE10hipError_tPvRmT2_T3_mT4_P12ihipStream_tbEUlmE_lEESB_NS0_8identityIvEEEESM_SP_SQ_mSR_ST_bEUlT_E_NS1_11comp_targetILNS1_3genE8ELNS1_11target_archE1030ELNS1_3gpuE2ELNS1_3repE0EEENS1_30default_config_static_selectorELNS0_4arch9wavefront6targetE1EEEvT1_
	.p2align	8
	.type	_ZN7rocprim17ROCPRIM_400000_NS6detail17trampoline_kernelINS0_14default_configENS1_25transform_config_selectorIlLb0EEEZNS1_14transform_implILb0ES3_S5_NS0_18transform_iteratorINS0_17counting_iteratorImlEEZNS1_24adjacent_difference_implIS3_Lb1ELb0EPlSB_ZN2at6native12_GLOBAL__N_124unique_dim_cuda_templateIbEESt5tupleIJNSC_6TensorESH_SH_EERKSH_lbbbEUlllE1_EE10hipError_tPvRmT2_T3_mT4_P12ihipStream_tbEUlmE_lEESB_NS0_8identityIvEEEESM_SP_SQ_mSR_ST_bEUlT_E_NS1_11comp_targetILNS1_3genE8ELNS1_11target_archE1030ELNS1_3gpuE2ELNS1_3repE0EEENS1_30default_config_static_selectorELNS0_4arch9wavefront6targetE1EEEvT1_,@function
_ZN7rocprim17ROCPRIM_400000_NS6detail17trampoline_kernelINS0_14default_configENS1_25transform_config_selectorIlLb0EEEZNS1_14transform_implILb0ES3_S5_NS0_18transform_iteratorINS0_17counting_iteratorImlEEZNS1_24adjacent_difference_implIS3_Lb1ELb0EPlSB_ZN2at6native12_GLOBAL__N_124unique_dim_cuda_templateIbEESt5tupleIJNSC_6TensorESH_SH_EERKSH_lbbbEUlllE1_EE10hipError_tPvRmT2_T3_mT4_P12ihipStream_tbEUlmE_lEESB_NS0_8identityIvEEEESM_SP_SQ_mSR_ST_bEUlT_E_NS1_11comp_targetILNS1_3genE8ELNS1_11target_archE1030ELNS1_3gpuE2ELNS1_3repE0EEENS1_30default_config_static_selectorELNS0_4arch9wavefront6targetE1EEEvT1_: ; @_ZN7rocprim17ROCPRIM_400000_NS6detail17trampoline_kernelINS0_14default_configENS1_25transform_config_selectorIlLb0EEEZNS1_14transform_implILb0ES3_S5_NS0_18transform_iteratorINS0_17counting_iteratorImlEEZNS1_24adjacent_difference_implIS3_Lb1ELb0EPlSB_ZN2at6native12_GLOBAL__N_124unique_dim_cuda_templateIbEESt5tupleIJNSC_6TensorESH_SH_EERKSH_lbbbEUlllE1_EE10hipError_tPvRmT2_T3_mT4_P12ihipStream_tbEUlmE_lEESB_NS0_8identityIvEEEESM_SP_SQ_mSR_ST_bEUlT_E_NS1_11comp_targetILNS1_3genE8ELNS1_11target_archE1030ELNS1_3gpuE2ELNS1_3repE0EEENS1_30default_config_static_selectorELNS0_4arch9wavefront6targetE1EEEvT1_
; %bb.0:
	.section	.rodata,"a",@progbits
	.p2align	6, 0x0
	.amdhsa_kernel _ZN7rocprim17ROCPRIM_400000_NS6detail17trampoline_kernelINS0_14default_configENS1_25transform_config_selectorIlLb0EEEZNS1_14transform_implILb0ES3_S5_NS0_18transform_iteratorINS0_17counting_iteratorImlEEZNS1_24adjacent_difference_implIS3_Lb1ELb0EPlSB_ZN2at6native12_GLOBAL__N_124unique_dim_cuda_templateIbEESt5tupleIJNSC_6TensorESH_SH_EERKSH_lbbbEUlllE1_EE10hipError_tPvRmT2_T3_mT4_P12ihipStream_tbEUlmE_lEESB_NS0_8identityIvEEEESM_SP_SQ_mSR_ST_bEUlT_E_NS1_11comp_targetILNS1_3genE8ELNS1_11target_archE1030ELNS1_3gpuE2ELNS1_3repE0EEENS1_30default_config_static_selectorELNS0_4arch9wavefront6targetE1EEEvT1_
		.amdhsa_group_segment_fixed_size 0
		.amdhsa_private_segment_fixed_size 0
		.amdhsa_kernarg_size 56
		.amdhsa_user_sgpr_count 6
		.amdhsa_user_sgpr_private_segment_buffer 1
		.amdhsa_user_sgpr_dispatch_ptr 0
		.amdhsa_user_sgpr_queue_ptr 0
		.amdhsa_user_sgpr_kernarg_segment_ptr 1
		.amdhsa_user_sgpr_dispatch_id 0
		.amdhsa_user_sgpr_flat_scratch_init 0
		.amdhsa_user_sgpr_kernarg_preload_length 0
		.amdhsa_user_sgpr_kernarg_preload_offset 0
		.amdhsa_user_sgpr_private_segment_size 0
		.amdhsa_uses_dynamic_stack 0
		.amdhsa_system_sgpr_private_segment_wavefront_offset 0
		.amdhsa_system_sgpr_workgroup_id_x 1
		.amdhsa_system_sgpr_workgroup_id_y 0
		.amdhsa_system_sgpr_workgroup_id_z 0
		.amdhsa_system_sgpr_workgroup_info 0
		.amdhsa_system_vgpr_workitem_id 0
		.amdhsa_next_free_vgpr 1
		.amdhsa_next_free_sgpr 0
		.amdhsa_accum_offset 4
		.amdhsa_reserve_vcc 0
		.amdhsa_reserve_flat_scratch 0
		.amdhsa_float_round_mode_32 0
		.amdhsa_float_round_mode_16_64 0
		.amdhsa_float_denorm_mode_32 3
		.amdhsa_float_denorm_mode_16_64 3
		.amdhsa_dx10_clamp 1
		.amdhsa_ieee_mode 1
		.amdhsa_fp16_overflow 0
		.amdhsa_tg_split 0
		.amdhsa_exception_fp_ieee_invalid_op 0
		.amdhsa_exception_fp_denorm_src 0
		.amdhsa_exception_fp_ieee_div_zero 0
		.amdhsa_exception_fp_ieee_overflow 0
		.amdhsa_exception_fp_ieee_underflow 0
		.amdhsa_exception_fp_ieee_inexact 0
		.amdhsa_exception_int_div_zero 0
	.end_amdhsa_kernel
	.section	.text._ZN7rocprim17ROCPRIM_400000_NS6detail17trampoline_kernelINS0_14default_configENS1_25transform_config_selectorIlLb0EEEZNS1_14transform_implILb0ES3_S5_NS0_18transform_iteratorINS0_17counting_iteratorImlEEZNS1_24adjacent_difference_implIS3_Lb1ELb0EPlSB_ZN2at6native12_GLOBAL__N_124unique_dim_cuda_templateIbEESt5tupleIJNSC_6TensorESH_SH_EERKSH_lbbbEUlllE1_EE10hipError_tPvRmT2_T3_mT4_P12ihipStream_tbEUlmE_lEESB_NS0_8identityIvEEEESM_SP_SQ_mSR_ST_bEUlT_E_NS1_11comp_targetILNS1_3genE8ELNS1_11target_archE1030ELNS1_3gpuE2ELNS1_3repE0EEENS1_30default_config_static_selectorELNS0_4arch9wavefront6targetE1EEEvT1_,"axG",@progbits,_ZN7rocprim17ROCPRIM_400000_NS6detail17trampoline_kernelINS0_14default_configENS1_25transform_config_selectorIlLb0EEEZNS1_14transform_implILb0ES3_S5_NS0_18transform_iteratorINS0_17counting_iteratorImlEEZNS1_24adjacent_difference_implIS3_Lb1ELb0EPlSB_ZN2at6native12_GLOBAL__N_124unique_dim_cuda_templateIbEESt5tupleIJNSC_6TensorESH_SH_EERKSH_lbbbEUlllE1_EE10hipError_tPvRmT2_T3_mT4_P12ihipStream_tbEUlmE_lEESB_NS0_8identityIvEEEESM_SP_SQ_mSR_ST_bEUlT_E_NS1_11comp_targetILNS1_3genE8ELNS1_11target_archE1030ELNS1_3gpuE2ELNS1_3repE0EEENS1_30default_config_static_selectorELNS0_4arch9wavefront6targetE1EEEvT1_,comdat
.Lfunc_end1042:
	.size	_ZN7rocprim17ROCPRIM_400000_NS6detail17trampoline_kernelINS0_14default_configENS1_25transform_config_selectorIlLb0EEEZNS1_14transform_implILb0ES3_S5_NS0_18transform_iteratorINS0_17counting_iteratorImlEEZNS1_24adjacent_difference_implIS3_Lb1ELb0EPlSB_ZN2at6native12_GLOBAL__N_124unique_dim_cuda_templateIbEESt5tupleIJNSC_6TensorESH_SH_EERKSH_lbbbEUlllE1_EE10hipError_tPvRmT2_T3_mT4_P12ihipStream_tbEUlmE_lEESB_NS0_8identityIvEEEESM_SP_SQ_mSR_ST_bEUlT_E_NS1_11comp_targetILNS1_3genE8ELNS1_11target_archE1030ELNS1_3gpuE2ELNS1_3repE0EEENS1_30default_config_static_selectorELNS0_4arch9wavefront6targetE1EEEvT1_, .Lfunc_end1042-_ZN7rocprim17ROCPRIM_400000_NS6detail17trampoline_kernelINS0_14default_configENS1_25transform_config_selectorIlLb0EEEZNS1_14transform_implILb0ES3_S5_NS0_18transform_iteratorINS0_17counting_iteratorImlEEZNS1_24adjacent_difference_implIS3_Lb1ELb0EPlSB_ZN2at6native12_GLOBAL__N_124unique_dim_cuda_templateIbEESt5tupleIJNSC_6TensorESH_SH_EERKSH_lbbbEUlllE1_EE10hipError_tPvRmT2_T3_mT4_P12ihipStream_tbEUlmE_lEESB_NS0_8identityIvEEEESM_SP_SQ_mSR_ST_bEUlT_E_NS1_11comp_targetILNS1_3genE8ELNS1_11target_archE1030ELNS1_3gpuE2ELNS1_3repE0EEENS1_30default_config_static_selectorELNS0_4arch9wavefront6targetE1EEEvT1_
                                        ; -- End function
	.section	.AMDGPU.csdata,"",@progbits
; Kernel info:
; codeLenInByte = 0
; NumSgprs: 4
; NumVgprs: 0
; NumAgprs: 0
; TotalNumVgprs: 0
; ScratchSize: 0
; MemoryBound: 0
; FloatMode: 240
; IeeeMode: 1
; LDSByteSize: 0 bytes/workgroup (compile time only)
; SGPRBlocks: 0
; VGPRBlocks: 0
; NumSGPRsForWavesPerEU: 4
; NumVGPRsForWavesPerEU: 1
; AccumOffset: 4
; Occupancy: 8
; WaveLimiterHint : 0
; COMPUTE_PGM_RSRC2:SCRATCH_EN: 0
; COMPUTE_PGM_RSRC2:USER_SGPR: 6
; COMPUTE_PGM_RSRC2:TRAP_HANDLER: 0
; COMPUTE_PGM_RSRC2:TGID_X_EN: 1
; COMPUTE_PGM_RSRC2:TGID_Y_EN: 0
; COMPUTE_PGM_RSRC2:TGID_Z_EN: 0
; COMPUTE_PGM_RSRC2:TIDIG_COMP_CNT: 0
; COMPUTE_PGM_RSRC3_GFX90A:ACCUM_OFFSET: 0
; COMPUTE_PGM_RSRC3_GFX90A:TG_SPLIT: 0
	.section	.text._ZN7rocprim17ROCPRIM_400000_NS6detail17trampoline_kernelINS0_14default_configENS1_35adjacent_difference_config_selectorILb1ElEEZNS1_24adjacent_difference_implIS3_Lb1ELb0EPlS7_ZN2at6native12_GLOBAL__N_124unique_dim_cuda_templateIbEESt5tupleIJNS8_6TensorESD_SD_EERKSD_lbbbEUlllE1_EE10hipError_tPvRmT2_T3_mT4_P12ihipStream_tbEUlT_E_NS1_11comp_targetILNS1_3genE0ELNS1_11target_archE4294967295ELNS1_3gpuE0ELNS1_3repE0EEENS1_30default_config_static_selectorELNS0_4arch9wavefront6targetE1EEEvT1_,"axG",@progbits,_ZN7rocprim17ROCPRIM_400000_NS6detail17trampoline_kernelINS0_14default_configENS1_35adjacent_difference_config_selectorILb1ElEEZNS1_24adjacent_difference_implIS3_Lb1ELb0EPlS7_ZN2at6native12_GLOBAL__N_124unique_dim_cuda_templateIbEESt5tupleIJNS8_6TensorESD_SD_EERKSD_lbbbEUlllE1_EE10hipError_tPvRmT2_T3_mT4_P12ihipStream_tbEUlT_E_NS1_11comp_targetILNS1_3genE0ELNS1_11target_archE4294967295ELNS1_3gpuE0ELNS1_3repE0EEENS1_30default_config_static_selectorELNS0_4arch9wavefront6targetE1EEEvT1_,comdat
	.globl	_ZN7rocprim17ROCPRIM_400000_NS6detail17trampoline_kernelINS0_14default_configENS1_35adjacent_difference_config_selectorILb1ElEEZNS1_24adjacent_difference_implIS3_Lb1ELb0EPlS7_ZN2at6native12_GLOBAL__N_124unique_dim_cuda_templateIbEESt5tupleIJNS8_6TensorESD_SD_EERKSD_lbbbEUlllE1_EE10hipError_tPvRmT2_T3_mT4_P12ihipStream_tbEUlT_E_NS1_11comp_targetILNS1_3genE0ELNS1_11target_archE4294967295ELNS1_3gpuE0ELNS1_3repE0EEENS1_30default_config_static_selectorELNS0_4arch9wavefront6targetE1EEEvT1_ ; -- Begin function _ZN7rocprim17ROCPRIM_400000_NS6detail17trampoline_kernelINS0_14default_configENS1_35adjacent_difference_config_selectorILb1ElEEZNS1_24adjacent_difference_implIS3_Lb1ELb0EPlS7_ZN2at6native12_GLOBAL__N_124unique_dim_cuda_templateIbEESt5tupleIJNS8_6TensorESD_SD_EERKSD_lbbbEUlllE1_EE10hipError_tPvRmT2_T3_mT4_P12ihipStream_tbEUlT_E_NS1_11comp_targetILNS1_3genE0ELNS1_11target_archE4294967295ELNS1_3gpuE0ELNS1_3repE0EEENS1_30default_config_static_selectorELNS0_4arch9wavefront6targetE1EEEvT1_
	.p2align	8
	.type	_ZN7rocprim17ROCPRIM_400000_NS6detail17trampoline_kernelINS0_14default_configENS1_35adjacent_difference_config_selectorILb1ElEEZNS1_24adjacent_difference_implIS3_Lb1ELb0EPlS7_ZN2at6native12_GLOBAL__N_124unique_dim_cuda_templateIbEESt5tupleIJNS8_6TensorESD_SD_EERKSD_lbbbEUlllE1_EE10hipError_tPvRmT2_T3_mT4_P12ihipStream_tbEUlT_E_NS1_11comp_targetILNS1_3genE0ELNS1_11target_archE4294967295ELNS1_3gpuE0ELNS1_3repE0EEENS1_30default_config_static_selectorELNS0_4arch9wavefront6targetE1EEEvT1_,@function
_ZN7rocprim17ROCPRIM_400000_NS6detail17trampoline_kernelINS0_14default_configENS1_35adjacent_difference_config_selectorILb1ElEEZNS1_24adjacent_difference_implIS3_Lb1ELb0EPlS7_ZN2at6native12_GLOBAL__N_124unique_dim_cuda_templateIbEESt5tupleIJNS8_6TensorESD_SD_EERKSD_lbbbEUlllE1_EE10hipError_tPvRmT2_T3_mT4_P12ihipStream_tbEUlT_E_NS1_11comp_targetILNS1_3genE0ELNS1_11target_archE4294967295ELNS1_3gpuE0ELNS1_3repE0EEENS1_30default_config_static_selectorELNS0_4arch9wavefront6targetE1EEEvT1_: ; @_ZN7rocprim17ROCPRIM_400000_NS6detail17trampoline_kernelINS0_14default_configENS1_35adjacent_difference_config_selectorILb1ElEEZNS1_24adjacent_difference_implIS3_Lb1ELb0EPlS7_ZN2at6native12_GLOBAL__N_124unique_dim_cuda_templateIbEESt5tupleIJNS8_6TensorESD_SD_EERKSD_lbbbEUlllE1_EE10hipError_tPvRmT2_T3_mT4_P12ihipStream_tbEUlT_E_NS1_11comp_targetILNS1_3genE0ELNS1_11target_archE4294967295ELNS1_3gpuE0ELNS1_3repE0EEENS1_30default_config_static_selectorELNS0_4arch9wavefront6targetE1EEEvT1_
; %bb.0:
	.section	.rodata,"a",@progbits
	.p2align	6, 0x0
	.amdhsa_kernel _ZN7rocprim17ROCPRIM_400000_NS6detail17trampoline_kernelINS0_14default_configENS1_35adjacent_difference_config_selectorILb1ElEEZNS1_24adjacent_difference_implIS3_Lb1ELb0EPlS7_ZN2at6native12_GLOBAL__N_124unique_dim_cuda_templateIbEESt5tupleIJNS8_6TensorESD_SD_EERKSD_lbbbEUlllE1_EE10hipError_tPvRmT2_T3_mT4_P12ihipStream_tbEUlT_E_NS1_11comp_targetILNS1_3genE0ELNS1_11target_archE4294967295ELNS1_3gpuE0ELNS1_3repE0EEENS1_30default_config_static_selectorELNS0_4arch9wavefront6targetE1EEEvT1_
		.amdhsa_group_segment_fixed_size 0
		.amdhsa_private_segment_fixed_size 0
		.amdhsa_kernarg_size 64
		.amdhsa_user_sgpr_count 6
		.amdhsa_user_sgpr_private_segment_buffer 1
		.amdhsa_user_sgpr_dispatch_ptr 0
		.amdhsa_user_sgpr_queue_ptr 0
		.amdhsa_user_sgpr_kernarg_segment_ptr 1
		.amdhsa_user_sgpr_dispatch_id 0
		.amdhsa_user_sgpr_flat_scratch_init 0
		.amdhsa_user_sgpr_kernarg_preload_length 0
		.amdhsa_user_sgpr_kernarg_preload_offset 0
		.amdhsa_user_sgpr_private_segment_size 0
		.amdhsa_uses_dynamic_stack 0
		.amdhsa_system_sgpr_private_segment_wavefront_offset 0
		.amdhsa_system_sgpr_workgroup_id_x 1
		.amdhsa_system_sgpr_workgroup_id_y 0
		.amdhsa_system_sgpr_workgroup_id_z 0
		.amdhsa_system_sgpr_workgroup_info 0
		.amdhsa_system_vgpr_workitem_id 0
		.amdhsa_next_free_vgpr 1
		.amdhsa_next_free_sgpr 0
		.amdhsa_accum_offset 4
		.amdhsa_reserve_vcc 0
		.amdhsa_reserve_flat_scratch 0
		.amdhsa_float_round_mode_32 0
		.amdhsa_float_round_mode_16_64 0
		.amdhsa_float_denorm_mode_32 3
		.amdhsa_float_denorm_mode_16_64 3
		.amdhsa_dx10_clamp 1
		.amdhsa_ieee_mode 1
		.amdhsa_fp16_overflow 0
		.amdhsa_tg_split 0
		.amdhsa_exception_fp_ieee_invalid_op 0
		.amdhsa_exception_fp_denorm_src 0
		.amdhsa_exception_fp_ieee_div_zero 0
		.amdhsa_exception_fp_ieee_overflow 0
		.amdhsa_exception_fp_ieee_underflow 0
		.amdhsa_exception_fp_ieee_inexact 0
		.amdhsa_exception_int_div_zero 0
	.end_amdhsa_kernel
	.section	.text._ZN7rocprim17ROCPRIM_400000_NS6detail17trampoline_kernelINS0_14default_configENS1_35adjacent_difference_config_selectorILb1ElEEZNS1_24adjacent_difference_implIS3_Lb1ELb0EPlS7_ZN2at6native12_GLOBAL__N_124unique_dim_cuda_templateIbEESt5tupleIJNS8_6TensorESD_SD_EERKSD_lbbbEUlllE1_EE10hipError_tPvRmT2_T3_mT4_P12ihipStream_tbEUlT_E_NS1_11comp_targetILNS1_3genE0ELNS1_11target_archE4294967295ELNS1_3gpuE0ELNS1_3repE0EEENS1_30default_config_static_selectorELNS0_4arch9wavefront6targetE1EEEvT1_,"axG",@progbits,_ZN7rocprim17ROCPRIM_400000_NS6detail17trampoline_kernelINS0_14default_configENS1_35adjacent_difference_config_selectorILb1ElEEZNS1_24adjacent_difference_implIS3_Lb1ELb0EPlS7_ZN2at6native12_GLOBAL__N_124unique_dim_cuda_templateIbEESt5tupleIJNS8_6TensorESD_SD_EERKSD_lbbbEUlllE1_EE10hipError_tPvRmT2_T3_mT4_P12ihipStream_tbEUlT_E_NS1_11comp_targetILNS1_3genE0ELNS1_11target_archE4294967295ELNS1_3gpuE0ELNS1_3repE0EEENS1_30default_config_static_selectorELNS0_4arch9wavefront6targetE1EEEvT1_,comdat
.Lfunc_end1043:
	.size	_ZN7rocprim17ROCPRIM_400000_NS6detail17trampoline_kernelINS0_14default_configENS1_35adjacent_difference_config_selectorILb1ElEEZNS1_24adjacent_difference_implIS3_Lb1ELb0EPlS7_ZN2at6native12_GLOBAL__N_124unique_dim_cuda_templateIbEESt5tupleIJNS8_6TensorESD_SD_EERKSD_lbbbEUlllE1_EE10hipError_tPvRmT2_T3_mT4_P12ihipStream_tbEUlT_E_NS1_11comp_targetILNS1_3genE0ELNS1_11target_archE4294967295ELNS1_3gpuE0ELNS1_3repE0EEENS1_30default_config_static_selectorELNS0_4arch9wavefront6targetE1EEEvT1_, .Lfunc_end1043-_ZN7rocprim17ROCPRIM_400000_NS6detail17trampoline_kernelINS0_14default_configENS1_35adjacent_difference_config_selectorILb1ElEEZNS1_24adjacent_difference_implIS3_Lb1ELb0EPlS7_ZN2at6native12_GLOBAL__N_124unique_dim_cuda_templateIbEESt5tupleIJNS8_6TensorESD_SD_EERKSD_lbbbEUlllE1_EE10hipError_tPvRmT2_T3_mT4_P12ihipStream_tbEUlT_E_NS1_11comp_targetILNS1_3genE0ELNS1_11target_archE4294967295ELNS1_3gpuE0ELNS1_3repE0EEENS1_30default_config_static_selectorELNS0_4arch9wavefront6targetE1EEEvT1_
                                        ; -- End function
	.section	.AMDGPU.csdata,"",@progbits
; Kernel info:
; codeLenInByte = 0
; NumSgprs: 4
; NumVgprs: 0
; NumAgprs: 0
; TotalNumVgprs: 0
; ScratchSize: 0
; MemoryBound: 0
; FloatMode: 240
; IeeeMode: 1
; LDSByteSize: 0 bytes/workgroup (compile time only)
; SGPRBlocks: 0
; VGPRBlocks: 0
; NumSGPRsForWavesPerEU: 4
; NumVGPRsForWavesPerEU: 1
; AccumOffset: 4
; Occupancy: 8
; WaveLimiterHint : 0
; COMPUTE_PGM_RSRC2:SCRATCH_EN: 0
; COMPUTE_PGM_RSRC2:USER_SGPR: 6
; COMPUTE_PGM_RSRC2:TRAP_HANDLER: 0
; COMPUTE_PGM_RSRC2:TGID_X_EN: 1
; COMPUTE_PGM_RSRC2:TGID_Y_EN: 0
; COMPUTE_PGM_RSRC2:TGID_Z_EN: 0
; COMPUTE_PGM_RSRC2:TIDIG_COMP_CNT: 0
; COMPUTE_PGM_RSRC3_GFX90A:ACCUM_OFFSET: 0
; COMPUTE_PGM_RSRC3_GFX90A:TG_SPLIT: 0
	.section	.text._ZN7rocprim17ROCPRIM_400000_NS6detail17trampoline_kernelINS0_14default_configENS1_35adjacent_difference_config_selectorILb1ElEEZNS1_24adjacent_difference_implIS3_Lb1ELb0EPlS7_ZN2at6native12_GLOBAL__N_124unique_dim_cuda_templateIbEESt5tupleIJNS8_6TensorESD_SD_EERKSD_lbbbEUlllE1_EE10hipError_tPvRmT2_T3_mT4_P12ihipStream_tbEUlT_E_NS1_11comp_targetILNS1_3genE10ELNS1_11target_archE1201ELNS1_3gpuE5ELNS1_3repE0EEENS1_30default_config_static_selectorELNS0_4arch9wavefront6targetE1EEEvT1_,"axG",@progbits,_ZN7rocprim17ROCPRIM_400000_NS6detail17trampoline_kernelINS0_14default_configENS1_35adjacent_difference_config_selectorILb1ElEEZNS1_24adjacent_difference_implIS3_Lb1ELb0EPlS7_ZN2at6native12_GLOBAL__N_124unique_dim_cuda_templateIbEESt5tupleIJNS8_6TensorESD_SD_EERKSD_lbbbEUlllE1_EE10hipError_tPvRmT2_T3_mT4_P12ihipStream_tbEUlT_E_NS1_11comp_targetILNS1_3genE10ELNS1_11target_archE1201ELNS1_3gpuE5ELNS1_3repE0EEENS1_30default_config_static_selectorELNS0_4arch9wavefront6targetE1EEEvT1_,comdat
	.globl	_ZN7rocprim17ROCPRIM_400000_NS6detail17trampoline_kernelINS0_14default_configENS1_35adjacent_difference_config_selectorILb1ElEEZNS1_24adjacent_difference_implIS3_Lb1ELb0EPlS7_ZN2at6native12_GLOBAL__N_124unique_dim_cuda_templateIbEESt5tupleIJNS8_6TensorESD_SD_EERKSD_lbbbEUlllE1_EE10hipError_tPvRmT2_T3_mT4_P12ihipStream_tbEUlT_E_NS1_11comp_targetILNS1_3genE10ELNS1_11target_archE1201ELNS1_3gpuE5ELNS1_3repE0EEENS1_30default_config_static_selectorELNS0_4arch9wavefront6targetE1EEEvT1_ ; -- Begin function _ZN7rocprim17ROCPRIM_400000_NS6detail17trampoline_kernelINS0_14default_configENS1_35adjacent_difference_config_selectorILb1ElEEZNS1_24adjacent_difference_implIS3_Lb1ELb0EPlS7_ZN2at6native12_GLOBAL__N_124unique_dim_cuda_templateIbEESt5tupleIJNS8_6TensorESD_SD_EERKSD_lbbbEUlllE1_EE10hipError_tPvRmT2_T3_mT4_P12ihipStream_tbEUlT_E_NS1_11comp_targetILNS1_3genE10ELNS1_11target_archE1201ELNS1_3gpuE5ELNS1_3repE0EEENS1_30default_config_static_selectorELNS0_4arch9wavefront6targetE1EEEvT1_
	.p2align	8
	.type	_ZN7rocprim17ROCPRIM_400000_NS6detail17trampoline_kernelINS0_14default_configENS1_35adjacent_difference_config_selectorILb1ElEEZNS1_24adjacent_difference_implIS3_Lb1ELb0EPlS7_ZN2at6native12_GLOBAL__N_124unique_dim_cuda_templateIbEESt5tupleIJNS8_6TensorESD_SD_EERKSD_lbbbEUlllE1_EE10hipError_tPvRmT2_T3_mT4_P12ihipStream_tbEUlT_E_NS1_11comp_targetILNS1_3genE10ELNS1_11target_archE1201ELNS1_3gpuE5ELNS1_3repE0EEENS1_30default_config_static_selectorELNS0_4arch9wavefront6targetE1EEEvT1_,@function
_ZN7rocprim17ROCPRIM_400000_NS6detail17trampoline_kernelINS0_14default_configENS1_35adjacent_difference_config_selectorILb1ElEEZNS1_24adjacent_difference_implIS3_Lb1ELb0EPlS7_ZN2at6native12_GLOBAL__N_124unique_dim_cuda_templateIbEESt5tupleIJNS8_6TensorESD_SD_EERKSD_lbbbEUlllE1_EE10hipError_tPvRmT2_T3_mT4_P12ihipStream_tbEUlT_E_NS1_11comp_targetILNS1_3genE10ELNS1_11target_archE1201ELNS1_3gpuE5ELNS1_3repE0EEENS1_30default_config_static_selectorELNS0_4arch9wavefront6targetE1EEEvT1_: ; @_ZN7rocprim17ROCPRIM_400000_NS6detail17trampoline_kernelINS0_14default_configENS1_35adjacent_difference_config_selectorILb1ElEEZNS1_24adjacent_difference_implIS3_Lb1ELb0EPlS7_ZN2at6native12_GLOBAL__N_124unique_dim_cuda_templateIbEESt5tupleIJNS8_6TensorESD_SD_EERKSD_lbbbEUlllE1_EE10hipError_tPvRmT2_T3_mT4_P12ihipStream_tbEUlT_E_NS1_11comp_targetILNS1_3genE10ELNS1_11target_archE1201ELNS1_3gpuE5ELNS1_3repE0EEENS1_30default_config_static_selectorELNS0_4arch9wavefront6targetE1EEEvT1_
; %bb.0:
	.section	.rodata,"a",@progbits
	.p2align	6, 0x0
	.amdhsa_kernel _ZN7rocprim17ROCPRIM_400000_NS6detail17trampoline_kernelINS0_14default_configENS1_35adjacent_difference_config_selectorILb1ElEEZNS1_24adjacent_difference_implIS3_Lb1ELb0EPlS7_ZN2at6native12_GLOBAL__N_124unique_dim_cuda_templateIbEESt5tupleIJNS8_6TensorESD_SD_EERKSD_lbbbEUlllE1_EE10hipError_tPvRmT2_T3_mT4_P12ihipStream_tbEUlT_E_NS1_11comp_targetILNS1_3genE10ELNS1_11target_archE1201ELNS1_3gpuE5ELNS1_3repE0EEENS1_30default_config_static_selectorELNS0_4arch9wavefront6targetE1EEEvT1_
		.amdhsa_group_segment_fixed_size 0
		.amdhsa_private_segment_fixed_size 0
		.amdhsa_kernarg_size 64
		.amdhsa_user_sgpr_count 6
		.amdhsa_user_sgpr_private_segment_buffer 1
		.amdhsa_user_sgpr_dispatch_ptr 0
		.amdhsa_user_sgpr_queue_ptr 0
		.amdhsa_user_sgpr_kernarg_segment_ptr 1
		.amdhsa_user_sgpr_dispatch_id 0
		.amdhsa_user_sgpr_flat_scratch_init 0
		.amdhsa_user_sgpr_kernarg_preload_length 0
		.amdhsa_user_sgpr_kernarg_preload_offset 0
		.amdhsa_user_sgpr_private_segment_size 0
		.amdhsa_uses_dynamic_stack 0
		.amdhsa_system_sgpr_private_segment_wavefront_offset 0
		.amdhsa_system_sgpr_workgroup_id_x 1
		.amdhsa_system_sgpr_workgroup_id_y 0
		.amdhsa_system_sgpr_workgroup_id_z 0
		.amdhsa_system_sgpr_workgroup_info 0
		.amdhsa_system_vgpr_workitem_id 0
		.amdhsa_next_free_vgpr 1
		.amdhsa_next_free_sgpr 0
		.amdhsa_accum_offset 4
		.amdhsa_reserve_vcc 0
		.amdhsa_reserve_flat_scratch 0
		.amdhsa_float_round_mode_32 0
		.amdhsa_float_round_mode_16_64 0
		.amdhsa_float_denorm_mode_32 3
		.amdhsa_float_denorm_mode_16_64 3
		.amdhsa_dx10_clamp 1
		.amdhsa_ieee_mode 1
		.amdhsa_fp16_overflow 0
		.amdhsa_tg_split 0
		.amdhsa_exception_fp_ieee_invalid_op 0
		.amdhsa_exception_fp_denorm_src 0
		.amdhsa_exception_fp_ieee_div_zero 0
		.amdhsa_exception_fp_ieee_overflow 0
		.amdhsa_exception_fp_ieee_underflow 0
		.amdhsa_exception_fp_ieee_inexact 0
		.amdhsa_exception_int_div_zero 0
	.end_amdhsa_kernel
	.section	.text._ZN7rocprim17ROCPRIM_400000_NS6detail17trampoline_kernelINS0_14default_configENS1_35adjacent_difference_config_selectorILb1ElEEZNS1_24adjacent_difference_implIS3_Lb1ELb0EPlS7_ZN2at6native12_GLOBAL__N_124unique_dim_cuda_templateIbEESt5tupleIJNS8_6TensorESD_SD_EERKSD_lbbbEUlllE1_EE10hipError_tPvRmT2_T3_mT4_P12ihipStream_tbEUlT_E_NS1_11comp_targetILNS1_3genE10ELNS1_11target_archE1201ELNS1_3gpuE5ELNS1_3repE0EEENS1_30default_config_static_selectorELNS0_4arch9wavefront6targetE1EEEvT1_,"axG",@progbits,_ZN7rocprim17ROCPRIM_400000_NS6detail17trampoline_kernelINS0_14default_configENS1_35adjacent_difference_config_selectorILb1ElEEZNS1_24adjacent_difference_implIS3_Lb1ELb0EPlS7_ZN2at6native12_GLOBAL__N_124unique_dim_cuda_templateIbEESt5tupleIJNS8_6TensorESD_SD_EERKSD_lbbbEUlllE1_EE10hipError_tPvRmT2_T3_mT4_P12ihipStream_tbEUlT_E_NS1_11comp_targetILNS1_3genE10ELNS1_11target_archE1201ELNS1_3gpuE5ELNS1_3repE0EEENS1_30default_config_static_selectorELNS0_4arch9wavefront6targetE1EEEvT1_,comdat
.Lfunc_end1044:
	.size	_ZN7rocprim17ROCPRIM_400000_NS6detail17trampoline_kernelINS0_14default_configENS1_35adjacent_difference_config_selectorILb1ElEEZNS1_24adjacent_difference_implIS3_Lb1ELb0EPlS7_ZN2at6native12_GLOBAL__N_124unique_dim_cuda_templateIbEESt5tupleIJNS8_6TensorESD_SD_EERKSD_lbbbEUlllE1_EE10hipError_tPvRmT2_T3_mT4_P12ihipStream_tbEUlT_E_NS1_11comp_targetILNS1_3genE10ELNS1_11target_archE1201ELNS1_3gpuE5ELNS1_3repE0EEENS1_30default_config_static_selectorELNS0_4arch9wavefront6targetE1EEEvT1_, .Lfunc_end1044-_ZN7rocprim17ROCPRIM_400000_NS6detail17trampoline_kernelINS0_14default_configENS1_35adjacent_difference_config_selectorILb1ElEEZNS1_24adjacent_difference_implIS3_Lb1ELb0EPlS7_ZN2at6native12_GLOBAL__N_124unique_dim_cuda_templateIbEESt5tupleIJNS8_6TensorESD_SD_EERKSD_lbbbEUlllE1_EE10hipError_tPvRmT2_T3_mT4_P12ihipStream_tbEUlT_E_NS1_11comp_targetILNS1_3genE10ELNS1_11target_archE1201ELNS1_3gpuE5ELNS1_3repE0EEENS1_30default_config_static_selectorELNS0_4arch9wavefront6targetE1EEEvT1_
                                        ; -- End function
	.section	.AMDGPU.csdata,"",@progbits
; Kernel info:
; codeLenInByte = 0
; NumSgprs: 4
; NumVgprs: 0
; NumAgprs: 0
; TotalNumVgprs: 0
; ScratchSize: 0
; MemoryBound: 0
; FloatMode: 240
; IeeeMode: 1
; LDSByteSize: 0 bytes/workgroup (compile time only)
; SGPRBlocks: 0
; VGPRBlocks: 0
; NumSGPRsForWavesPerEU: 4
; NumVGPRsForWavesPerEU: 1
; AccumOffset: 4
; Occupancy: 8
; WaveLimiterHint : 0
; COMPUTE_PGM_RSRC2:SCRATCH_EN: 0
; COMPUTE_PGM_RSRC2:USER_SGPR: 6
; COMPUTE_PGM_RSRC2:TRAP_HANDLER: 0
; COMPUTE_PGM_RSRC2:TGID_X_EN: 1
; COMPUTE_PGM_RSRC2:TGID_Y_EN: 0
; COMPUTE_PGM_RSRC2:TGID_Z_EN: 0
; COMPUTE_PGM_RSRC2:TIDIG_COMP_CNT: 0
; COMPUTE_PGM_RSRC3_GFX90A:ACCUM_OFFSET: 0
; COMPUTE_PGM_RSRC3_GFX90A:TG_SPLIT: 0
	.section	.text._ZN7rocprim17ROCPRIM_400000_NS6detail17trampoline_kernelINS0_14default_configENS1_35adjacent_difference_config_selectorILb1ElEEZNS1_24adjacent_difference_implIS3_Lb1ELb0EPlS7_ZN2at6native12_GLOBAL__N_124unique_dim_cuda_templateIbEESt5tupleIJNS8_6TensorESD_SD_EERKSD_lbbbEUlllE1_EE10hipError_tPvRmT2_T3_mT4_P12ihipStream_tbEUlT_E_NS1_11comp_targetILNS1_3genE5ELNS1_11target_archE942ELNS1_3gpuE9ELNS1_3repE0EEENS1_30default_config_static_selectorELNS0_4arch9wavefront6targetE1EEEvT1_,"axG",@progbits,_ZN7rocprim17ROCPRIM_400000_NS6detail17trampoline_kernelINS0_14default_configENS1_35adjacent_difference_config_selectorILb1ElEEZNS1_24adjacent_difference_implIS3_Lb1ELb0EPlS7_ZN2at6native12_GLOBAL__N_124unique_dim_cuda_templateIbEESt5tupleIJNS8_6TensorESD_SD_EERKSD_lbbbEUlllE1_EE10hipError_tPvRmT2_T3_mT4_P12ihipStream_tbEUlT_E_NS1_11comp_targetILNS1_3genE5ELNS1_11target_archE942ELNS1_3gpuE9ELNS1_3repE0EEENS1_30default_config_static_selectorELNS0_4arch9wavefront6targetE1EEEvT1_,comdat
	.globl	_ZN7rocprim17ROCPRIM_400000_NS6detail17trampoline_kernelINS0_14default_configENS1_35adjacent_difference_config_selectorILb1ElEEZNS1_24adjacent_difference_implIS3_Lb1ELb0EPlS7_ZN2at6native12_GLOBAL__N_124unique_dim_cuda_templateIbEESt5tupleIJNS8_6TensorESD_SD_EERKSD_lbbbEUlllE1_EE10hipError_tPvRmT2_T3_mT4_P12ihipStream_tbEUlT_E_NS1_11comp_targetILNS1_3genE5ELNS1_11target_archE942ELNS1_3gpuE9ELNS1_3repE0EEENS1_30default_config_static_selectorELNS0_4arch9wavefront6targetE1EEEvT1_ ; -- Begin function _ZN7rocprim17ROCPRIM_400000_NS6detail17trampoline_kernelINS0_14default_configENS1_35adjacent_difference_config_selectorILb1ElEEZNS1_24adjacent_difference_implIS3_Lb1ELb0EPlS7_ZN2at6native12_GLOBAL__N_124unique_dim_cuda_templateIbEESt5tupleIJNS8_6TensorESD_SD_EERKSD_lbbbEUlllE1_EE10hipError_tPvRmT2_T3_mT4_P12ihipStream_tbEUlT_E_NS1_11comp_targetILNS1_3genE5ELNS1_11target_archE942ELNS1_3gpuE9ELNS1_3repE0EEENS1_30default_config_static_selectorELNS0_4arch9wavefront6targetE1EEEvT1_
	.p2align	8
	.type	_ZN7rocprim17ROCPRIM_400000_NS6detail17trampoline_kernelINS0_14default_configENS1_35adjacent_difference_config_selectorILb1ElEEZNS1_24adjacent_difference_implIS3_Lb1ELb0EPlS7_ZN2at6native12_GLOBAL__N_124unique_dim_cuda_templateIbEESt5tupleIJNS8_6TensorESD_SD_EERKSD_lbbbEUlllE1_EE10hipError_tPvRmT2_T3_mT4_P12ihipStream_tbEUlT_E_NS1_11comp_targetILNS1_3genE5ELNS1_11target_archE942ELNS1_3gpuE9ELNS1_3repE0EEENS1_30default_config_static_selectorELNS0_4arch9wavefront6targetE1EEEvT1_,@function
_ZN7rocprim17ROCPRIM_400000_NS6detail17trampoline_kernelINS0_14default_configENS1_35adjacent_difference_config_selectorILb1ElEEZNS1_24adjacent_difference_implIS3_Lb1ELb0EPlS7_ZN2at6native12_GLOBAL__N_124unique_dim_cuda_templateIbEESt5tupleIJNS8_6TensorESD_SD_EERKSD_lbbbEUlllE1_EE10hipError_tPvRmT2_T3_mT4_P12ihipStream_tbEUlT_E_NS1_11comp_targetILNS1_3genE5ELNS1_11target_archE942ELNS1_3gpuE9ELNS1_3repE0EEENS1_30default_config_static_selectorELNS0_4arch9wavefront6targetE1EEEvT1_: ; @_ZN7rocprim17ROCPRIM_400000_NS6detail17trampoline_kernelINS0_14default_configENS1_35adjacent_difference_config_selectorILb1ElEEZNS1_24adjacent_difference_implIS3_Lb1ELb0EPlS7_ZN2at6native12_GLOBAL__N_124unique_dim_cuda_templateIbEESt5tupleIJNS8_6TensorESD_SD_EERKSD_lbbbEUlllE1_EE10hipError_tPvRmT2_T3_mT4_P12ihipStream_tbEUlT_E_NS1_11comp_targetILNS1_3genE5ELNS1_11target_archE942ELNS1_3gpuE9ELNS1_3repE0EEENS1_30default_config_static_selectorELNS0_4arch9wavefront6targetE1EEEvT1_
; %bb.0:
	.section	.rodata,"a",@progbits
	.p2align	6, 0x0
	.amdhsa_kernel _ZN7rocprim17ROCPRIM_400000_NS6detail17trampoline_kernelINS0_14default_configENS1_35adjacent_difference_config_selectorILb1ElEEZNS1_24adjacent_difference_implIS3_Lb1ELb0EPlS7_ZN2at6native12_GLOBAL__N_124unique_dim_cuda_templateIbEESt5tupleIJNS8_6TensorESD_SD_EERKSD_lbbbEUlllE1_EE10hipError_tPvRmT2_T3_mT4_P12ihipStream_tbEUlT_E_NS1_11comp_targetILNS1_3genE5ELNS1_11target_archE942ELNS1_3gpuE9ELNS1_3repE0EEENS1_30default_config_static_selectorELNS0_4arch9wavefront6targetE1EEEvT1_
		.amdhsa_group_segment_fixed_size 0
		.amdhsa_private_segment_fixed_size 0
		.amdhsa_kernarg_size 64
		.amdhsa_user_sgpr_count 6
		.amdhsa_user_sgpr_private_segment_buffer 1
		.amdhsa_user_sgpr_dispatch_ptr 0
		.amdhsa_user_sgpr_queue_ptr 0
		.amdhsa_user_sgpr_kernarg_segment_ptr 1
		.amdhsa_user_sgpr_dispatch_id 0
		.amdhsa_user_sgpr_flat_scratch_init 0
		.amdhsa_user_sgpr_kernarg_preload_length 0
		.amdhsa_user_sgpr_kernarg_preload_offset 0
		.amdhsa_user_sgpr_private_segment_size 0
		.amdhsa_uses_dynamic_stack 0
		.amdhsa_system_sgpr_private_segment_wavefront_offset 0
		.amdhsa_system_sgpr_workgroup_id_x 1
		.amdhsa_system_sgpr_workgroup_id_y 0
		.amdhsa_system_sgpr_workgroup_id_z 0
		.amdhsa_system_sgpr_workgroup_info 0
		.amdhsa_system_vgpr_workitem_id 0
		.amdhsa_next_free_vgpr 1
		.amdhsa_next_free_sgpr 0
		.amdhsa_accum_offset 4
		.amdhsa_reserve_vcc 0
		.amdhsa_reserve_flat_scratch 0
		.amdhsa_float_round_mode_32 0
		.amdhsa_float_round_mode_16_64 0
		.amdhsa_float_denorm_mode_32 3
		.amdhsa_float_denorm_mode_16_64 3
		.amdhsa_dx10_clamp 1
		.amdhsa_ieee_mode 1
		.amdhsa_fp16_overflow 0
		.amdhsa_tg_split 0
		.amdhsa_exception_fp_ieee_invalid_op 0
		.amdhsa_exception_fp_denorm_src 0
		.amdhsa_exception_fp_ieee_div_zero 0
		.amdhsa_exception_fp_ieee_overflow 0
		.amdhsa_exception_fp_ieee_underflow 0
		.amdhsa_exception_fp_ieee_inexact 0
		.amdhsa_exception_int_div_zero 0
	.end_amdhsa_kernel
	.section	.text._ZN7rocprim17ROCPRIM_400000_NS6detail17trampoline_kernelINS0_14default_configENS1_35adjacent_difference_config_selectorILb1ElEEZNS1_24adjacent_difference_implIS3_Lb1ELb0EPlS7_ZN2at6native12_GLOBAL__N_124unique_dim_cuda_templateIbEESt5tupleIJNS8_6TensorESD_SD_EERKSD_lbbbEUlllE1_EE10hipError_tPvRmT2_T3_mT4_P12ihipStream_tbEUlT_E_NS1_11comp_targetILNS1_3genE5ELNS1_11target_archE942ELNS1_3gpuE9ELNS1_3repE0EEENS1_30default_config_static_selectorELNS0_4arch9wavefront6targetE1EEEvT1_,"axG",@progbits,_ZN7rocprim17ROCPRIM_400000_NS6detail17trampoline_kernelINS0_14default_configENS1_35adjacent_difference_config_selectorILb1ElEEZNS1_24adjacent_difference_implIS3_Lb1ELb0EPlS7_ZN2at6native12_GLOBAL__N_124unique_dim_cuda_templateIbEESt5tupleIJNS8_6TensorESD_SD_EERKSD_lbbbEUlllE1_EE10hipError_tPvRmT2_T3_mT4_P12ihipStream_tbEUlT_E_NS1_11comp_targetILNS1_3genE5ELNS1_11target_archE942ELNS1_3gpuE9ELNS1_3repE0EEENS1_30default_config_static_selectorELNS0_4arch9wavefront6targetE1EEEvT1_,comdat
.Lfunc_end1045:
	.size	_ZN7rocprim17ROCPRIM_400000_NS6detail17trampoline_kernelINS0_14default_configENS1_35adjacent_difference_config_selectorILb1ElEEZNS1_24adjacent_difference_implIS3_Lb1ELb0EPlS7_ZN2at6native12_GLOBAL__N_124unique_dim_cuda_templateIbEESt5tupleIJNS8_6TensorESD_SD_EERKSD_lbbbEUlllE1_EE10hipError_tPvRmT2_T3_mT4_P12ihipStream_tbEUlT_E_NS1_11comp_targetILNS1_3genE5ELNS1_11target_archE942ELNS1_3gpuE9ELNS1_3repE0EEENS1_30default_config_static_selectorELNS0_4arch9wavefront6targetE1EEEvT1_, .Lfunc_end1045-_ZN7rocprim17ROCPRIM_400000_NS6detail17trampoline_kernelINS0_14default_configENS1_35adjacent_difference_config_selectorILb1ElEEZNS1_24adjacent_difference_implIS3_Lb1ELb0EPlS7_ZN2at6native12_GLOBAL__N_124unique_dim_cuda_templateIbEESt5tupleIJNS8_6TensorESD_SD_EERKSD_lbbbEUlllE1_EE10hipError_tPvRmT2_T3_mT4_P12ihipStream_tbEUlT_E_NS1_11comp_targetILNS1_3genE5ELNS1_11target_archE942ELNS1_3gpuE9ELNS1_3repE0EEENS1_30default_config_static_selectorELNS0_4arch9wavefront6targetE1EEEvT1_
                                        ; -- End function
	.section	.AMDGPU.csdata,"",@progbits
; Kernel info:
; codeLenInByte = 0
; NumSgprs: 4
; NumVgprs: 0
; NumAgprs: 0
; TotalNumVgprs: 0
; ScratchSize: 0
; MemoryBound: 0
; FloatMode: 240
; IeeeMode: 1
; LDSByteSize: 0 bytes/workgroup (compile time only)
; SGPRBlocks: 0
; VGPRBlocks: 0
; NumSGPRsForWavesPerEU: 4
; NumVGPRsForWavesPerEU: 1
; AccumOffset: 4
; Occupancy: 8
; WaveLimiterHint : 0
; COMPUTE_PGM_RSRC2:SCRATCH_EN: 0
; COMPUTE_PGM_RSRC2:USER_SGPR: 6
; COMPUTE_PGM_RSRC2:TRAP_HANDLER: 0
; COMPUTE_PGM_RSRC2:TGID_X_EN: 1
; COMPUTE_PGM_RSRC2:TGID_Y_EN: 0
; COMPUTE_PGM_RSRC2:TGID_Z_EN: 0
; COMPUTE_PGM_RSRC2:TIDIG_COMP_CNT: 0
; COMPUTE_PGM_RSRC3_GFX90A:ACCUM_OFFSET: 0
; COMPUTE_PGM_RSRC3_GFX90A:TG_SPLIT: 0
	.section	.text._ZN7rocprim17ROCPRIM_400000_NS6detail17trampoline_kernelINS0_14default_configENS1_35adjacent_difference_config_selectorILb1ElEEZNS1_24adjacent_difference_implIS3_Lb1ELb0EPlS7_ZN2at6native12_GLOBAL__N_124unique_dim_cuda_templateIbEESt5tupleIJNS8_6TensorESD_SD_EERKSD_lbbbEUlllE1_EE10hipError_tPvRmT2_T3_mT4_P12ihipStream_tbEUlT_E_NS1_11comp_targetILNS1_3genE4ELNS1_11target_archE910ELNS1_3gpuE8ELNS1_3repE0EEENS1_30default_config_static_selectorELNS0_4arch9wavefront6targetE1EEEvT1_,"axG",@progbits,_ZN7rocprim17ROCPRIM_400000_NS6detail17trampoline_kernelINS0_14default_configENS1_35adjacent_difference_config_selectorILb1ElEEZNS1_24adjacent_difference_implIS3_Lb1ELb0EPlS7_ZN2at6native12_GLOBAL__N_124unique_dim_cuda_templateIbEESt5tupleIJNS8_6TensorESD_SD_EERKSD_lbbbEUlllE1_EE10hipError_tPvRmT2_T3_mT4_P12ihipStream_tbEUlT_E_NS1_11comp_targetILNS1_3genE4ELNS1_11target_archE910ELNS1_3gpuE8ELNS1_3repE0EEENS1_30default_config_static_selectorELNS0_4arch9wavefront6targetE1EEEvT1_,comdat
	.globl	_ZN7rocprim17ROCPRIM_400000_NS6detail17trampoline_kernelINS0_14default_configENS1_35adjacent_difference_config_selectorILb1ElEEZNS1_24adjacent_difference_implIS3_Lb1ELb0EPlS7_ZN2at6native12_GLOBAL__N_124unique_dim_cuda_templateIbEESt5tupleIJNS8_6TensorESD_SD_EERKSD_lbbbEUlllE1_EE10hipError_tPvRmT2_T3_mT4_P12ihipStream_tbEUlT_E_NS1_11comp_targetILNS1_3genE4ELNS1_11target_archE910ELNS1_3gpuE8ELNS1_3repE0EEENS1_30default_config_static_selectorELNS0_4arch9wavefront6targetE1EEEvT1_ ; -- Begin function _ZN7rocprim17ROCPRIM_400000_NS6detail17trampoline_kernelINS0_14default_configENS1_35adjacent_difference_config_selectorILb1ElEEZNS1_24adjacent_difference_implIS3_Lb1ELb0EPlS7_ZN2at6native12_GLOBAL__N_124unique_dim_cuda_templateIbEESt5tupleIJNS8_6TensorESD_SD_EERKSD_lbbbEUlllE1_EE10hipError_tPvRmT2_T3_mT4_P12ihipStream_tbEUlT_E_NS1_11comp_targetILNS1_3genE4ELNS1_11target_archE910ELNS1_3gpuE8ELNS1_3repE0EEENS1_30default_config_static_selectorELNS0_4arch9wavefront6targetE1EEEvT1_
	.p2align	8
	.type	_ZN7rocprim17ROCPRIM_400000_NS6detail17trampoline_kernelINS0_14default_configENS1_35adjacent_difference_config_selectorILb1ElEEZNS1_24adjacent_difference_implIS3_Lb1ELb0EPlS7_ZN2at6native12_GLOBAL__N_124unique_dim_cuda_templateIbEESt5tupleIJNS8_6TensorESD_SD_EERKSD_lbbbEUlllE1_EE10hipError_tPvRmT2_T3_mT4_P12ihipStream_tbEUlT_E_NS1_11comp_targetILNS1_3genE4ELNS1_11target_archE910ELNS1_3gpuE8ELNS1_3repE0EEENS1_30default_config_static_selectorELNS0_4arch9wavefront6targetE1EEEvT1_,@function
_ZN7rocprim17ROCPRIM_400000_NS6detail17trampoline_kernelINS0_14default_configENS1_35adjacent_difference_config_selectorILb1ElEEZNS1_24adjacent_difference_implIS3_Lb1ELb0EPlS7_ZN2at6native12_GLOBAL__N_124unique_dim_cuda_templateIbEESt5tupleIJNS8_6TensorESD_SD_EERKSD_lbbbEUlllE1_EE10hipError_tPvRmT2_T3_mT4_P12ihipStream_tbEUlT_E_NS1_11comp_targetILNS1_3genE4ELNS1_11target_archE910ELNS1_3gpuE8ELNS1_3repE0EEENS1_30default_config_static_selectorELNS0_4arch9wavefront6targetE1EEEvT1_: ; @_ZN7rocprim17ROCPRIM_400000_NS6detail17trampoline_kernelINS0_14default_configENS1_35adjacent_difference_config_selectorILb1ElEEZNS1_24adjacent_difference_implIS3_Lb1ELb0EPlS7_ZN2at6native12_GLOBAL__N_124unique_dim_cuda_templateIbEESt5tupleIJNS8_6TensorESD_SD_EERKSD_lbbbEUlllE1_EE10hipError_tPvRmT2_T3_mT4_P12ihipStream_tbEUlT_E_NS1_11comp_targetILNS1_3genE4ELNS1_11target_archE910ELNS1_3gpuE8ELNS1_3repE0EEENS1_30default_config_static_selectorELNS0_4arch9wavefront6targetE1EEEvT1_
; %bb.0:
	s_load_dwordx16 s[8:23], s[4:5], 0x0
	s_mov_b32 s3, 0
	s_waitcnt lgkmcnt(0)
	s_lshl_b64 s[10:11], s[10:11], 3
	s_add_u32 s30, s8, s10
	s_addc_u32 s31, s9, s11
	s_lshl_b32 s4, s6, 10
	s_lshr_b64 s[0:1], s[14:15], 10
	s_and_b32 s2, s14, 0x3ff
	s_cmp_lg_u64 s[2:3], 0
	s_cselect_b64 s[8:9], -1, 0
	v_cndmask_b32_e64 v1, 0, 1, s[8:9]
	v_readfirstlane_b32 s2, v1
	s_add_u32 s24, s0, s2
	s_addc_u32 s25, s1, 0
	s_add_u32 s26, s22, s6
	s_addc_u32 s27, s23, 0
	s_mov_b32 s2, s6
	s_add_u32 s6, s24, -1
	s_addc_u32 s7, s25, -1
	v_pk_mov_b32 v[2:3], s[6:7], s[6:7] op_sel:[0,1]
	v_cmp_ge_u64_e64 s[0:1], s[26:27], v[2:3]
	s_mov_b64 s[8:9], -1
	s_and_b64 vcc, exec, s[0:1]
	s_cbranch_vccz .LBB1046_6
; %bb.1:
	s_lshl_b32 s5, s6, 10
	s_sub_i32 s15, s14, s5
	s_mov_b32 s5, s3
	s_lshl_b64 s[8:9], s[4:5], 3
	s_add_u32 s8, s30, s8
	s_addc_u32 s9, s31, s9
	v_cmp_gt_u32_e32 vcc, s15, v0
                                        ; implicit-def: $vgpr2_vgpr3_vgpr4_vgpr5
	s_and_saveexec_b64 s[28:29], vcc
	s_cbranch_execz .LBB1046_3
; %bb.2:
	v_lshlrev_b32_e32 v1, 3, v0
	global_load_dwordx2 v[2:3], v1, s[8:9]
.LBB1046_3:
	s_or_b64 exec, exec, s[28:29]
	v_or_b32_e32 v1, 0x200, v0
	v_cmp_gt_u32_e32 vcc, s15, v1
	s_and_saveexec_b64 s[28:29], vcc
	s_cbranch_execz .LBB1046_5
; %bb.4:
	v_lshlrev_b32_e32 v4, 3, v1
	global_load_dwordx2 v[4:5], v4, s[8:9]
.LBB1046_5:
	s_or_b64 exec, exec, s[28:29]
	v_lshrrev_b32_e32 v6, 2, v0
	v_lshrrev_b32_e32 v1, 2, v1
	v_and_b32_e32 v6, 0x78, v6
	v_lshlrev_b32_e32 v7, 3, v0
	v_and_b32_e32 v1, 0xf8, v1
	v_add_u32_e32 v6, v6, v7
	v_add_u32_e32 v1, v1, v7
	s_mov_b64 s[8:9], 0
	s_waitcnt vmcnt(0)
	ds_write_b64 v6, v[2:3]
	ds_write_b64 v1, v[4:5] offset:4096
	s_waitcnt lgkmcnt(0)
	s_barrier
.LBB1046_6:
	s_and_b64 vcc, exec, s[8:9]
	v_lshlrev_b32_e32 v1, 3, v0
	s_cbranch_vccz .LBB1046_8
; %bb.7:
	s_mov_b32 s5, 0
	s_lshl_b64 s[8:9], s[4:5], 3
	s_add_u32 s8, s30, s8
	s_addc_u32 s9, s31, s9
	v_mov_b32_e32 v2, s9
	v_add_co_u32_e32 v3, vcc, s8, v1
	v_addc_co_u32_e32 v4, vcc, 0, v2, vcc
	v_add_co_u32_e32 v2, vcc, 0x1000, v3
	v_addc_co_u32_e32 v3, vcc, 0, v4, vcc
	global_load_dwordx2 v[4:5], v1, s[8:9]
	global_load_dwordx2 v[6:7], v[2:3], off
	v_lshrrev_b32_e32 v2, 2, v0
	v_or_b32_e32 v3, 0x200, v0
	v_and_b32_e32 v2, 0x78, v2
	v_lshrrev_b32_e32 v3, 2, v3
	v_add_u32_e32 v2, v2, v1
	v_and_b32_e32 v3, 0xf8, v3
	v_add_u32_e32 v3, v3, v1
	s_waitcnt vmcnt(1)
	ds_write_b64 v2, v[4:5]
	s_waitcnt vmcnt(0)
	ds_write_b64 v3, v[6:7] offset:4096
	s_waitcnt lgkmcnt(0)
	s_barrier
.LBB1046_8:
	v_lshlrev_b32_e32 v2, 1, v0
	v_lshrrev_b32_e32 v3, 4, v0
	v_add_lshl_u32 v2, v3, v2, 3
	ds_read2_b64 v[2:5], v2 offset1:1
	s_cmp_eq_u64 s[26:27], 0
	s_mov_b64 s[8:9], 0
	s_waitcnt lgkmcnt(0)
	s_barrier
	s_cbranch_scc1 .LBB1046_17
; %bb.9:
	s_lshl_b64 s[22:23], s[22:23], 3
	s_add_u32 s5, s20, s22
	s_addc_u32 s15, s21, s23
	s_lshl_b64 s[2:3], s[2:3], 3
	s_add_u32 s2, s5, s2
	s_addc_u32 s3, s15, s3
	s_add_u32 s2, s2, -8
	s_addc_u32 s3, s3, -1
	s_load_dwordx2 s[20:21], s[2:3], 0x0
	s_cmp_lg_u64 s[26:27], s[6:7]
	s_cbranch_scc0 .LBB1046_18
; %bb.10:
	v_cmp_lt_i64_e64 s[2:3], s[16:17], 1
	v_pk_mov_b32 v[8:9], 0, 0
	v_cmp_gt_i64_e64 s[8:9], s[16:17], 0
	s_and_b64 vcc, exec, s[2:3]
	ds_write_b64 v1, v[4:5]
	s_cbranch_vccnz .LBB1046_21
; %bb.11:
	v_pk_mov_b32 v[8:9], s[18:19], s[18:19] op_sel:[0,1]
	v_mad_u64_u32 v[6:7], s[2:3], v4, s16, v[8:9]
	v_mul_lo_u32 v10, v4, s17
	v_mul_lo_u32 v11, v5, s16
	v_add3_u32 v7, v11, v7, v10
	v_mad_u64_u32 v[10:11], s[2:3], v2, s16, v[8:9]
	v_mul_lo_u32 v8, v2, s17
	v_mul_lo_u32 v9, v3, s16
	v_add3_u32 v11, v9, v11, v8
	global_load_ubyte v8, v[6:7], off
	global_load_ubyte v9, v[10:11], off
	s_waitcnt vmcnt(1)
	v_cmp_ne_u16_e32 vcc, 0, v8
	s_waitcnt vmcnt(0)
	v_cmp_ne_u16_e64 s[2:3], 0, v9
	s_xor_b64 s[2:3], vcc, s[2:3]
	v_mov_b32_e32 v8, 1
	s_xor_b64 s[2:3], s[2:3], -1
	v_mov_b32_e32 v9, 0
	s_and_saveexec_b64 s[22:23], s[2:3]
	s_cbranch_execz .LBB1046_20
; %bb.12:
	s_mov_b64 s[34:35], 1
	s_mov_b64 s[28:29], 0
                                        ; implicit-def: $sgpr30_sgpr31
	s_branch .LBB1046_15
.LBB1046_13:                            ;   in Loop: Header=BB1046_15 Depth=1
	v_mov_b32_e32 v13, s35
	v_add_co_u32_e32 v8, vcc, s34, v6
	v_addc_co_u32_e32 v9, vcc, v7, v13, vcc
	v_add_co_u32_e32 v12, vcc, s34, v10
	v_addc_co_u32_e32 v13, vcc, v11, v13, vcc
	global_load_ubyte v14, v[8:9], off
	global_load_ubyte v15, v[12:13], off
	s_waitcnt vmcnt(1)
	v_cmp_ne_u16_e32 vcc, 0, v14
	s_waitcnt vmcnt(0)
	v_cmp_ne_u16_e64 s[2:3], 0, v15
	s_xor_b64 s[36:37], vcc, s[2:3]
	s_add_u32 s2, s34, 1
	s_addc_u32 s3, s35, 0
	s_andn2_b64 s[30:31], s[30:31], exec
	s_and_b64 s[36:37], s[36:37], exec
	s_or_b64 s[30:31], s[30:31], s[36:37]
.LBB1046_14:                            ;   in Loop: Header=BB1046_15 Depth=1
	s_and_b64 s[36:37], exec, s[30:31]
	s_or_b64 s[28:29], s[36:37], s[28:29]
	v_pk_mov_b32 v[8:9], s[34:35], s[34:35] op_sel:[0,1]
	s_mov_b64 s[34:35], s[2:3]
	s_andn2_b64 exec, exec, s[28:29]
	s_cbranch_execz .LBB1046_19
.LBB1046_15:                            ; =>This Inner Loop Header: Depth=1
	s_or_b64 s[30:31], s[30:31], exec
	s_cmp_eq_u64 s[16:17], s[34:35]
	s_cbranch_scc0 .LBB1046_13
; %bb.16:                               ;   in Loop: Header=BB1046_15 Depth=1
                                        ; implicit-def: $sgpr2_sgpr3
	s_mov_b64 s[34:35], s[16:17]
	s_branch .LBB1046_14
.LBB1046_17:
                                        ; implicit-def: $sgpr2_sgpr3
                                        ; implicit-def: $vgpr8_vgpr9
	s_cbranch_execnz .LBB1046_60
	s_branch .LBB1046_108
.LBB1046_18:
                                        ; implicit-def: $sgpr2_sgpr3
                                        ; implicit-def: $vgpr8_vgpr9
	s_cbranch_execnz .LBB1046_33
	s_branch .LBB1046_59
.LBB1046_19:
	s_or_b64 exec, exec, s[28:29]
	v_cmp_gt_i64_e32 vcc, s[16:17], v[8:9]
	s_mov_b32 s2, 0
	v_cndmask_b32_e64 v8, 0, 1, vcc
	v_mov_b32_e32 v9, s2
.LBB1046_20:
	s_or_b64 exec, exec, s[22:23]
.LBB1046_21:
	v_cmp_ne_u32_e32 vcc, 0, v0
	s_waitcnt lgkmcnt(0)
	v_pk_mov_b32 v[12:13], s[20:21], s[20:21] op_sel:[0,1]
	s_barrier
	s_and_saveexec_b64 s[2:3], vcc
	s_cbranch_execz .LBB1046_23
; %bb.22:
	v_add_u32_e32 v6, -8, v1
	ds_read_b64 v[12:13], v6
.LBB1046_23:
	s_or_b64 exec, exec, s[2:3]
	s_mov_b64 s[22:23], 0
	s_andn2_b64 vcc, exec, s[8:9]
	s_mov_b64 s[2:3], 0
	s_cbranch_vccnz .LBB1046_32
; %bb.24:
	v_pk_mov_b32 v[10:11], s[18:19], s[18:19] op_sel:[0,1]
	v_mad_u64_u32 v[6:7], s[2:3], v2, s16, v[10:11]
	v_mul_lo_u32 v14, v2, s17
	v_mul_lo_u32 v15, v3, s16
	v_add3_u32 v7, v15, v7, v14
	s_waitcnt lgkmcnt(0)
	v_mad_u64_u32 v[10:11], s[2:3], v12, s16, v[10:11]
	v_mul_lo_u32 v12, v12, s17
	v_mul_lo_u32 v13, v13, s16
	v_add3_u32 v11, v13, v11, v12
	global_load_ubyte v12, v[6:7], off
	global_load_ubyte v13, v[10:11], off
	s_waitcnt vmcnt(1)
	v_cmp_ne_u16_e32 vcc, 0, v12
	s_waitcnt vmcnt(0)
	v_cmp_ne_u16_e64 s[2:3], 0, v13
	s_xor_b64 s[8:9], vcc, s[2:3]
	s_mov_b64 s[2:3], -1
	s_xor_b64 s[28:29], s[8:9], -1
	s_and_saveexec_b64 s[8:9], s[28:29]
	s_cbranch_execz .LBB1046_31
; %bb.25:
	s_mov_b64 s[34:35], 1
	s_mov_b64 s[28:29], 0
                                        ; implicit-def: $sgpr30_sgpr31
	s_branch .LBB1046_28
.LBB1046_26:                            ;   in Loop: Header=BB1046_28 Depth=1
	v_mov_b32_e32 v15, s35
	v_add_co_u32_e32 v12, vcc, s34, v6
	v_addc_co_u32_e32 v13, vcc, v7, v15, vcc
	v_add_co_u32_e32 v14, vcc, s34, v10
	v_addc_co_u32_e32 v15, vcc, v11, v15, vcc
	global_load_ubyte v16, v[12:13], off
	global_load_ubyte v17, v[14:15], off
	s_waitcnt vmcnt(1)
	v_cmp_ne_u16_e32 vcc, 0, v16
	s_waitcnt vmcnt(0)
	v_cmp_ne_u16_e64 s[2:3], 0, v17
	s_xor_b64 s[36:37], vcc, s[2:3]
	s_add_u32 s2, s34, 1
	s_addc_u32 s3, s35, 0
	s_andn2_b64 s[30:31], s[30:31], exec
	s_and_b64 s[36:37], s[36:37], exec
	s_or_b64 s[30:31], s[30:31], s[36:37]
.LBB1046_27:                            ;   in Loop: Header=BB1046_28 Depth=1
	s_and_b64 s[36:37], exec, s[30:31]
	s_or_b64 s[28:29], s[36:37], s[28:29]
	v_pk_mov_b32 v[12:13], s[34:35], s[34:35] op_sel:[0,1]
	s_mov_b64 s[34:35], s[2:3]
	s_andn2_b64 exec, exec, s[28:29]
	s_cbranch_execz .LBB1046_30
.LBB1046_28:                            ; =>This Inner Loop Header: Depth=1
	s_or_b64 s[30:31], s[30:31], exec
	s_cmp_eq_u64 s[16:17], s[34:35]
	s_cbranch_scc0 .LBB1046_26
; %bb.29:                               ;   in Loop: Header=BB1046_28 Depth=1
                                        ; implicit-def: $sgpr2_sgpr3
	s_mov_b64 s[34:35], s[16:17]
	s_branch .LBB1046_27
.LBB1046_30:
	s_or_b64 exec, exec, s[28:29]
	v_cmp_gt_i64_e32 vcc, s[16:17], v[12:13]
	s_orn2_b64 s[2:3], vcc, exec
.LBB1046_31:
	s_or_b64 exec, exec, s[8:9]
.LBB1046_32:
	s_mov_b64 s[8:9], -1
	s_and_b64 vcc, exec, s[22:23]
	s_cbranch_vccz .LBB1046_59
.LBB1046_33:
	s_lshl_b32 s2, s26, 10
	v_lshlrev_b32_e32 v14, 1, v0
	s_sub_i32 s5, s14, s2
	v_or_b32_e32 v6, 1, v14
	v_cmp_gt_u32_e32 vcc, s5, v6
	v_pk_mov_b32 v[8:9], v[4:5], v[4:5] op_sel:[0,1]
	ds_write_b64 v1, v[4:5]
	v_pk_mov_b32 v[6:7], v[2:3], v[2:3] op_sel:[0,1]
	s_and_saveexec_b64 s[22:23], vcc
	s_cbranch_execz .LBB1046_44
; %bb.34:
	v_cmp_lt_i64_e64 s[2:3], s[16:17], 1
	s_and_b64 vcc, exec, s[2:3]
	s_cbranch_vccnz .LBB1046_41
; %bb.35:
	v_pk_mov_b32 v[8:9], s[18:19], s[18:19] op_sel:[0,1]
	v_mad_u64_u32 v[6:7], s[2:3], v4, s16, v[8:9]
	v_mul_lo_u32 v10, v4, s17
	v_mul_lo_u32 v11, v5, s16
	v_add3_u32 v7, v11, v7, v10
	v_mad_u64_u32 v[10:11], s[2:3], v2, s16, v[8:9]
	v_mul_lo_u32 v8, v2, s17
	v_mul_lo_u32 v9, v3, s16
	v_add3_u32 v11, v9, v11, v8
	global_load_ubyte v8, v[6:7], off
	global_load_ubyte v9, v[10:11], off
	s_waitcnt vmcnt(1)
	v_cmp_ne_u16_e32 vcc, 0, v8
	s_waitcnt vmcnt(0)
	v_cmp_ne_u16_e64 s[2:3], 0, v9
	s_xor_b64 s[2:3], vcc, s[2:3]
	v_mov_b32_e32 v8, 1
	s_xor_b64 s[2:3], s[2:3], -1
	v_mov_b32_e32 v9, 0
	s_and_saveexec_b64 s[26:27], s[2:3]
	s_cbranch_execz .LBB1046_43
; %bb.36:
	s_mov_b64 s[34:35], 1
	s_mov_b64 s[28:29], 0
                                        ; implicit-def: $sgpr30_sgpr31
	s_branch .LBB1046_39
.LBB1046_37:                            ;   in Loop: Header=BB1046_39 Depth=1
	s_waitcnt lgkmcnt(0)
	v_mov_b32_e32 v13, s35
	v_add_co_u32_e32 v8, vcc, s34, v6
	v_addc_co_u32_e32 v9, vcc, v7, v13, vcc
	v_add_co_u32_e32 v12, vcc, s34, v10
	v_addc_co_u32_e32 v13, vcc, v11, v13, vcc
	global_load_ubyte v15, v[8:9], off
	global_load_ubyte v16, v[12:13], off
	s_waitcnt vmcnt(1)
	v_cmp_ne_u16_e32 vcc, 0, v15
	s_waitcnt vmcnt(0)
	v_cmp_ne_u16_e64 s[2:3], 0, v16
	s_xor_b64 s[36:37], vcc, s[2:3]
	s_add_u32 s2, s34, 1
	s_addc_u32 s3, s35, 0
	s_andn2_b64 s[30:31], s[30:31], exec
	s_and_b64 s[36:37], s[36:37], exec
	s_or_b64 s[30:31], s[30:31], s[36:37]
.LBB1046_38:                            ;   in Loop: Header=BB1046_39 Depth=1
	s_and_b64 s[36:37], exec, s[30:31]
	s_or_b64 s[28:29], s[36:37], s[28:29]
	v_pk_mov_b32 v[8:9], s[34:35], s[34:35] op_sel:[0,1]
	s_mov_b64 s[34:35], s[2:3]
	s_andn2_b64 exec, exec, s[28:29]
	s_cbranch_execz .LBB1046_42
.LBB1046_39:                            ; =>This Inner Loop Header: Depth=1
	s_or_b64 s[30:31], s[30:31], exec
	s_cmp_eq_u64 s[16:17], s[34:35]
	s_cbranch_scc0 .LBB1046_37
; %bb.40:                               ;   in Loop: Header=BB1046_39 Depth=1
                                        ; implicit-def: $sgpr2_sgpr3
	s_mov_b64 s[34:35], s[16:17]
	s_branch .LBB1046_38
.LBB1046_41:
	v_pk_mov_b32 v[8:9], 0, 0
	s_branch .LBB1046_44
.LBB1046_42:
	s_or_b64 exec, exec, s[28:29]
	v_cmp_gt_i64_e32 vcc, s[16:17], v[8:9]
	s_mov_b32 s2, 0
	v_cndmask_b32_e64 v8, 0, 1, vcc
	v_mov_b32_e32 v9, s2
.LBB1046_43:
	s_or_b64 exec, exec, s[26:27]
.LBB1046_44:
	s_or_b64 exec, exec, s[22:23]
	v_cmp_ne_u32_e32 vcc, 0, v0
	s_waitcnt lgkmcnt(0)
	v_pk_mov_b32 v[12:13], s[20:21], s[20:21] op_sel:[0,1]
	s_barrier
	s_and_saveexec_b64 s[2:3], vcc
	s_cbranch_execz .LBB1046_46
; %bb.45:
	v_add_u32_e32 v6, -8, v1
	ds_read_b64 v[12:13], v6
.LBB1046_46:
	s_or_b64 exec, exec, s[2:3]
	v_cmp_gt_u32_e32 vcc, s5, v14
                                        ; implicit-def: $sgpr2_sgpr3
	s_and_saveexec_b64 s[20:21], vcc
	s_cbranch_execz .LBB1046_58
; %bb.47:
	v_cmp_lt_i64_e64 s[2:3], s[16:17], 1
	s_and_b64 vcc, exec, s[2:3]
	s_cbranch_vccnz .LBB1046_54
; %bb.48:
	v_pk_mov_b32 v[10:11], s[18:19], s[18:19] op_sel:[0,1]
	v_mad_u64_u32 v[6:7], s[2:3], v2, s16, v[10:11]
	v_mul_lo_u32 v14, v2, s17
	v_mul_lo_u32 v15, v3, s16
	v_add3_u32 v7, v15, v7, v14
	s_waitcnt lgkmcnt(0)
	v_mad_u64_u32 v[10:11], s[2:3], v12, s16, v[10:11]
	v_mul_lo_u32 v12, v12, s17
	v_mul_lo_u32 v13, v13, s16
	v_add3_u32 v11, v13, v11, v12
	global_load_ubyte v12, v[6:7], off
	global_load_ubyte v13, v[10:11], off
	s_waitcnt vmcnt(1)
	v_cmp_ne_u16_e32 vcc, 0, v12
	s_waitcnt vmcnt(0)
	v_cmp_ne_u16_e64 s[2:3], 0, v13
	s_xor_b64 s[22:23], vcc, s[2:3]
	s_mov_b64 s[2:3], -1
	s_xor_b64 s[26:27], s[22:23], -1
	s_and_saveexec_b64 s[22:23], s[26:27]
	s_cbranch_execz .LBB1046_56
; %bb.49:
	s_mov_b64 s[30:31], 1
	s_mov_b64 s[26:27], 0
                                        ; implicit-def: $sgpr28_sgpr29
	s_branch .LBB1046_52
.LBB1046_50:                            ;   in Loop: Header=BB1046_52 Depth=1
	v_mov_b32_e32 v15, s31
	v_add_co_u32_e32 v12, vcc, s30, v6
	v_addc_co_u32_e32 v13, vcc, v7, v15, vcc
	v_add_co_u32_e32 v14, vcc, s30, v10
	v_addc_co_u32_e32 v15, vcc, v11, v15, vcc
	global_load_ubyte v16, v[12:13], off
	global_load_ubyte v17, v[14:15], off
	s_waitcnt vmcnt(1)
	v_cmp_ne_u16_e32 vcc, 0, v16
	s_waitcnt vmcnt(0)
	v_cmp_ne_u16_e64 s[2:3], 0, v17
	s_xor_b64 s[34:35], vcc, s[2:3]
	s_add_u32 s2, s30, 1
	s_addc_u32 s3, s31, 0
	s_andn2_b64 s[28:29], s[28:29], exec
	s_and_b64 s[34:35], s[34:35], exec
	s_or_b64 s[28:29], s[28:29], s[34:35]
.LBB1046_51:                            ;   in Loop: Header=BB1046_52 Depth=1
	s_and_b64 s[34:35], exec, s[28:29]
	s_or_b64 s[26:27], s[34:35], s[26:27]
	v_pk_mov_b32 v[12:13], s[30:31], s[30:31] op_sel:[0,1]
	s_mov_b64 s[30:31], s[2:3]
	s_andn2_b64 exec, exec, s[26:27]
	s_cbranch_execz .LBB1046_55
.LBB1046_52:                            ; =>This Inner Loop Header: Depth=1
	s_or_b64 s[28:29], s[28:29], exec
	s_cmp_eq_u64 s[16:17], s[30:31]
	s_cbranch_scc0 .LBB1046_50
; %bb.53:                               ;   in Loop: Header=BB1046_52 Depth=1
                                        ; implicit-def: $sgpr2_sgpr3
	s_mov_b64 s[30:31], s[16:17]
	s_branch .LBB1046_51
.LBB1046_54:
	s_mov_b64 s[2:3], 0
	s_branch .LBB1046_57
.LBB1046_55:
	s_or_b64 exec, exec, s[26:27]
	v_cmp_gt_i64_e32 vcc, s[16:17], v[12:13]
	s_orn2_b64 s[2:3], vcc, exec
.LBB1046_56:
	s_or_b64 exec, exec, s[22:23]
.LBB1046_57:
	s_and_b64 s[2:3], s[2:3], exec
	s_or_b64 s[8:9], s[8:9], exec
.LBB1046_58:
	s_or_b64 exec, exec, s[20:21]
.LBB1046_59:
	s_waitcnt lgkmcnt(0)
	s_branch .LBB1046_108
.LBB1046_60:
	s_cmp_lg_u64 s[24:25], 1
	s_cbranch_scc0 .LBB1046_68
; %bb.61:
	v_cmp_lt_i64_e64 s[2:3], s[16:17], 1
	v_pk_mov_b32 v[8:9], 0, 0
	v_cmp_gt_i64_e64 s[20:21], s[16:17], 0
	s_and_b64 vcc, exec, s[2:3]
	ds_write_b64 v1, v[4:5]
	s_cbranch_vccnz .LBB1046_71
; %bb.62:
	v_pk_mov_b32 v[8:9], s[18:19], s[18:19] op_sel:[0,1]
	v_mad_u64_u32 v[6:7], s[2:3], v4, s16, v[8:9]
	v_mul_lo_u32 v10, v4, s17
	v_mul_lo_u32 v11, v5, s16
	v_add3_u32 v7, v11, v7, v10
	v_mad_u64_u32 v[10:11], s[2:3], v2, s16, v[8:9]
	v_mul_lo_u32 v8, v2, s17
	v_mul_lo_u32 v9, v3, s16
	v_add3_u32 v11, v9, v11, v8
	global_load_ubyte v8, v[6:7], off
	global_load_ubyte v9, v[10:11], off
	s_waitcnt vmcnt(1)
	v_cmp_ne_u16_e32 vcc, 0, v8
	s_waitcnt vmcnt(0)
	v_cmp_ne_u16_e64 s[2:3], 0, v9
	s_xor_b64 s[2:3], vcc, s[2:3]
	v_mov_b32_e32 v8, 1
	s_xor_b64 s[2:3], s[2:3], -1
	v_mov_b32_e32 v9, 0
	s_and_saveexec_b64 s[22:23], s[2:3]
	s_cbranch_execz .LBB1046_70
; %bb.63:
	s_mov_b64 s[28:29], 1
	s_mov_b64 s[24:25], 0
                                        ; implicit-def: $sgpr26_sgpr27
	s_branch .LBB1046_66
.LBB1046_64:                            ;   in Loop: Header=BB1046_66 Depth=1
	v_mov_b32_e32 v13, s29
	v_add_co_u32_e32 v8, vcc, s28, v6
	v_addc_co_u32_e32 v9, vcc, v7, v13, vcc
	v_add_co_u32_e32 v12, vcc, s28, v10
	v_addc_co_u32_e32 v13, vcc, v11, v13, vcc
	global_load_ubyte v14, v[8:9], off
	global_load_ubyte v15, v[12:13], off
	s_waitcnt vmcnt(1)
	v_cmp_ne_u16_e32 vcc, 0, v14
	s_waitcnt vmcnt(0)
	v_cmp_ne_u16_e64 s[2:3], 0, v15
	s_xor_b64 s[30:31], vcc, s[2:3]
	s_add_u32 s2, s28, 1
	s_addc_u32 s3, s29, 0
	s_andn2_b64 s[26:27], s[26:27], exec
	s_and_b64 s[30:31], s[30:31], exec
	s_or_b64 s[26:27], s[26:27], s[30:31]
.LBB1046_65:                            ;   in Loop: Header=BB1046_66 Depth=1
	s_and_b64 s[30:31], exec, s[26:27]
	s_or_b64 s[24:25], s[30:31], s[24:25]
	v_pk_mov_b32 v[8:9], s[28:29], s[28:29] op_sel:[0,1]
	s_mov_b64 s[28:29], s[2:3]
	s_andn2_b64 exec, exec, s[24:25]
	s_cbranch_execz .LBB1046_69
.LBB1046_66:                            ; =>This Inner Loop Header: Depth=1
	s_or_b64 s[26:27], s[26:27], exec
	s_cmp_eq_u64 s[16:17], s[28:29]
	s_cbranch_scc0 .LBB1046_64
; %bb.67:                               ;   in Loop: Header=BB1046_66 Depth=1
                                        ; implicit-def: $sgpr2_sgpr3
	s_mov_b64 s[28:29], s[16:17]
	s_branch .LBB1046_65
.LBB1046_68:
                                        ; implicit-def: $sgpr2_sgpr3
                                        ; implicit-def: $vgpr8_vgpr9
	s_cbranch_execnz .LBB1046_84
	s_branch .LBB1046_108
.LBB1046_69:
	s_or_b64 exec, exec, s[24:25]
	v_cmp_gt_i64_e32 vcc, s[16:17], v[8:9]
	s_mov_b32 s2, 0
	v_cndmask_b32_e64 v8, 0, 1, vcc
	v_mov_b32_e32 v9, s2
.LBB1046_70:
	s_or_b64 exec, exec, s[22:23]
.LBB1046_71:
	v_cmp_ne_u32_e32 vcc, 0, v0
	s_waitcnt lgkmcnt(0)
	s_barrier
	s_waitcnt lgkmcnt(0)
                                        ; implicit-def: $sgpr2_sgpr3
	s_and_saveexec_b64 s[22:23], vcc
	s_cbranch_execz .LBB1046_83
; %bb.72:
	s_andn2_b64 vcc, exec, s[20:21]
	s_cbranch_vccnz .LBB1046_79
; %bb.73:
	v_add_u32_e32 v6, -8, v1
	ds_read_b64 v[10:11], v6
	v_pk_mov_b32 v[12:13], s[18:19], s[18:19] op_sel:[0,1]
	v_mad_u64_u32 v[6:7], s[2:3], v2, s16, v[12:13]
	v_mul_lo_u32 v14, v2, s17
	v_mul_lo_u32 v15, v3, s16
	v_add3_u32 v7, v15, v7, v14
	s_waitcnt lgkmcnt(0)
	v_mul_lo_u32 v14, v10, s17
	v_mul_lo_u32 v15, v11, s16
	v_mad_u64_u32 v[10:11], s[2:3], v10, s16, v[12:13]
	v_add3_u32 v11, v15, v11, v14
	global_load_ubyte v12, v[6:7], off
	global_load_ubyte v13, v[10:11], off
	s_waitcnt vmcnt(1)
	v_cmp_ne_u16_e32 vcc, 0, v12
	s_waitcnt vmcnt(0)
	v_cmp_ne_u16_e64 s[2:3], 0, v13
	s_xor_b64 s[20:21], vcc, s[2:3]
	s_mov_b64 s[2:3], -1
	s_xor_b64 s[24:25], s[20:21], -1
	s_and_saveexec_b64 s[20:21], s[24:25]
	s_cbranch_execz .LBB1046_81
; %bb.74:
	s_mov_b64 s[28:29], 1
	s_mov_b64 s[24:25], 0
                                        ; implicit-def: $sgpr26_sgpr27
	s_branch .LBB1046_77
.LBB1046_75:                            ;   in Loop: Header=BB1046_77 Depth=1
	v_mov_b32_e32 v15, s29
	v_add_co_u32_e32 v12, vcc, s28, v6
	v_addc_co_u32_e32 v13, vcc, v7, v15, vcc
	v_add_co_u32_e32 v14, vcc, s28, v10
	v_addc_co_u32_e32 v15, vcc, v11, v15, vcc
	global_load_ubyte v16, v[12:13], off
	global_load_ubyte v17, v[14:15], off
	s_waitcnt vmcnt(1)
	v_cmp_ne_u16_e32 vcc, 0, v16
	s_waitcnt vmcnt(0)
	v_cmp_ne_u16_e64 s[2:3], 0, v17
	s_xor_b64 s[30:31], vcc, s[2:3]
	s_add_u32 s2, s28, 1
	s_addc_u32 s3, s29, 0
	s_andn2_b64 s[26:27], s[26:27], exec
	s_and_b64 s[30:31], s[30:31], exec
	s_or_b64 s[26:27], s[26:27], s[30:31]
.LBB1046_76:                            ;   in Loop: Header=BB1046_77 Depth=1
	s_and_b64 s[30:31], exec, s[26:27]
	s_or_b64 s[24:25], s[30:31], s[24:25]
	v_pk_mov_b32 v[12:13], s[28:29], s[28:29] op_sel:[0,1]
	s_mov_b64 s[28:29], s[2:3]
	s_andn2_b64 exec, exec, s[24:25]
	s_cbranch_execz .LBB1046_80
.LBB1046_77:                            ; =>This Inner Loop Header: Depth=1
	s_or_b64 s[26:27], s[26:27], exec
	s_cmp_eq_u64 s[16:17], s[28:29]
	s_cbranch_scc0 .LBB1046_75
; %bb.78:                               ;   in Loop: Header=BB1046_77 Depth=1
                                        ; implicit-def: $sgpr2_sgpr3
	s_mov_b64 s[28:29], s[16:17]
	s_branch .LBB1046_76
.LBB1046_79:
	s_mov_b64 s[2:3], 0
	s_branch .LBB1046_82
.LBB1046_80:
	s_or_b64 exec, exec, s[24:25]
	v_cmp_gt_i64_e32 vcc, s[16:17], v[12:13]
	s_orn2_b64 s[2:3], vcc, exec
.LBB1046_81:
	s_or_b64 exec, exec, s[20:21]
.LBB1046_82:
	s_and_b64 s[2:3], s[2:3], exec
	s_or_b64 s[8:9], s[8:9], exec
.LBB1046_83:
	s_or_b64 exec, exec, s[22:23]
	s_branch .LBB1046_108
.LBB1046_84:
	v_lshlrev_b32_e32 v10, 1, v0
	v_or_b32_e32 v6, 1, v10
	v_cmp_gt_u32_e32 vcc, s14, v6
	v_cmp_lt_i64_e64 s[20:21], s[16:17], 1
	v_pk_mov_b32 v[8:9], v[4:5], v[4:5] op_sel:[0,1]
	ds_write_b64 v1, v[4:5]
	v_pk_mov_b32 v[6:7], v[2:3], v[2:3] op_sel:[0,1]
	s_and_saveexec_b64 s[22:23], vcc
	s_cbranch_execz .LBB1046_95
; %bb.85:
	s_and_b64 vcc, exec, s[20:21]
	s_cbranch_vccnz .LBB1046_92
; %bb.86:
	v_pk_mov_b32 v[8:9], s[18:19], s[18:19] op_sel:[0,1]
	v_mad_u64_u32 v[6:7], s[2:3], v4, s16, v[8:9]
	v_mul_lo_u32 v4, v4, s17
	v_mul_lo_u32 v5, v5, s16
	v_add3_u32 v7, v5, v7, v4
	v_mad_u64_u32 v[4:5], s[2:3], v2, s16, v[8:9]
	v_mul_lo_u32 v8, v2, s17
	v_mul_lo_u32 v9, v3, s16
	v_add3_u32 v5, v9, v5, v8
	global_load_ubyte v8, v[6:7], off
	global_load_ubyte v9, v[4:5], off
	s_waitcnt vmcnt(1)
	v_cmp_ne_u16_e32 vcc, 0, v8
	s_waitcnt vmcnt(0)
	v_cmp_ne_u16_e64 s[2:3], 0, v9
	s_xor_b64 s[2:3], vcc, s[2:3]
	v_mov_b32_e32 v8, 1
	s_xor_b64 s[2:3], s[2:3], -1
	v_mov_b32_e32 v9, 0
	s_and_saveexec_b64 s[24:25], s[2:3]
	s_cbranch_execz .LBB1046_94
; %bb.87:
	s_mov_b64 s[30:31], 1
	s_mov_b64 s[26:27], 0
                                        ; implicit-def: $sgpr28_sgpr29
	s_branch .LBB1046_90
.LBB1046_88:                            ;   in Loop: Header=BB1046_90 Depth=1
	v_mov_b32_e32 v11, s31
	v_add_co_u32_e32 v8, vcc, s30, v6
	v_addc_co_u32_e32 v9, vcc, v7, v11, vcc
	v_add_co_u32_e32 v12, vcc, s30, v4
	v_addc_co_u32_e32 v13, vcc, v5, v11, vcc
	global_load_ubyte v11, v[8:9], off
	global_load_ubyte v14, v[12:13], off
	s_waitcnt vmcnt(1)
	v_cmp_ne_u16_e32 vcc, 0, v11
	s_waitcnt vmcnt(0)
	v_cmp_ne_u16_e64 s[2:3], 0, v14
	s_xor_b64 s[34:35], vcc, s[2:3]
	s_add_u32 s2, s30, 1
	s_addc_u32 s3, s31, 0
	s_andn2_b64 s[28:29], s[28:29], exec
	s_and_b64 s[34:35], s[34:35], exec
	s_or_b64 s[28:29], s[28:29], s[34:35]
.LBB1046_89:                            ;   in Loop: Header=BB1046_90 Depth=1
	s_and_b64 s[34:35], exec, s[28:29]
	s_or_b64 s[26:27], s[34:35], s[26:27]
	v_pk_mov_b32 v[8:9], s[30:31], s[30:31] op_sel:[0,1]
	s_mov_b64 s[30:31], s[2:3]
	s_andn2_b64 exec, exec, s[26:27]
	s_cbranch_execz .LBB1046_93
.LBB1046_90:                            ; =>This Inner Loop Header: Depth=1
	s_or_b64 s[28:29], s[28:29], exec
	s_cmp_eq_u64 s[16:17], s[30:31]
	s_cbranch_scc0 .LBB1046_88
; %bb.91:                               ;   in Loop: Header=BB1046_90 Depth=1
                                        ; implicit-def: $sgpr2_sgpr3
	s_mov_b64 s[30:31], s[16:17]
	s_branch .LBB1046_89
.LBB1046_92:
	v_pk_mov_b32 v[8:9], 0, 0
	s_branch .LBB1046_95
.LBB1046_93:
	s_or_b64 exec, exec, s[26:27]
	v_cmp_gt_i64_e32 vcc, s[16:17], v[8:9]
	s_mov_b32 s2, 0
	v_cndmask_b32_e64 v8, 0, 1, vcc
	v_mov_b32_e32 v9, s2
.LBB1046_94:
	s_or_b64 exec, exec, s[24:25]
.LBB1046_95:
	s_or_b64 exec, exec, s[22:23]
	v_cmp_ne_u32_e32 vcc, 0, v0
	v_cmp_gt_u32_e64 s[2:3], s14, v10
	s_and_b64 s[24:25], vcc, s[2:3]
	s_waitcnt lgkmcnt(0)
	s_barrier
	s_waitcnt lgkmcnt(0)
                                        ; implicit-def: $sgpr2_sgpr3
	s_and_saveexec_b64 s[22:23], s[24:25]
	s_cbranch_execz .LBB1046_107
; %bb.96:
	s_and_b64 vcc, exec, s[20:21]
	s_cbranch_vccnz .LBB1046_103
; %bb.97:
	v_add_u32_e32 v4, -8, v1
	ds_read_b64 v[6:7], v4
	v_pk_mov_b32 v[10:11], s[18:19], s[18:19] op_sel:[0,1]
	v_mad_u64_u32 v[4:5], s[2:3], v2, s16, v[10:11]
	v_mul_lo_u32 v2, v2, s17
	v_mul_lo_u32 v3, v3, s16
	v_add3_u32 v5, v3, v5, v2
	s_waitcnt lgkmcnt(0)
	v_mul_lo_u32 v12, v6, s17
	v_mul_lo_u32 v7, v7, s16
	v_mad_u64_u32 v[2:3], s[2:3], v6, s16, v[10:11]
	v_add3_u32 v3, v7, v3, v12
	global_load_ubyte v6, v[4:5], off
	global_load_ubyte v7, v[2:3], off
	s_waitcnt vmcnt(1)
	v_cmp_ne_u16_e32 vcc, 0, v6
	s_waitcnt vmcnt(0)
	v_cmp_ne_u16_e64 s[2:3], 0, v7
	s_xor_b64 s[18:19], vcc, s[2:3]
	s_mov_b64 s[2:3], -1
	s_xor_b64 s[20:21], s[18:19], -1
	s_and_saveexec_b64 s[18:19], s[20:21]
	s_cbranch_execz .LBB1046_105
; %bb.98:
	s_mov_b64 s[26:27], 1
	s_mov_b64 s[20:21], 0
                                        ; implicit-def: $sgpr24_sgpr25
	s_branch .LBB1046_101
.LBB1046_99:                            ;   in Loop: Header=BB1046_101 Depth=1
	v_mov_b32_e32 v11, s27
	v_add_co_u32_e32 v6, vcc, s26, v4
	v_addc_co_u32_e32 v7, vcc, v5, v11, vcc
	v_add_co_u32_e32 v10, vcc, s26, v2
	v_addc_co_u32_e32 v11, vcc, v3, v11, vcc
	global_load_ubyte v12, v[6:7], off
	global_load_ubyte v13, v[10:11], off
	s_waitcnt vmcnt(1)
	v_cmp_ne_u16_e32 vcc, 0, v12
	s_waitcnt vmcnt(0)
	v_cmp_ne_u16_e64 s[2:3], 0, v13
	s_xor_b64 s[28:29], vcc, s[2:3]
	s_add_u32 s2, s26, 1
	s_addc_u32 s3, s27, 0
	s_andn2_b64 s[24:25], s[24:25], exec
	s_and_b64 s[28:29], s[28:29], exec
	s_or_b64 s[24:25], s[24:25], s[28:29]
.LBB1046_100:                           ;   in Loop: Header=BB1046_101 Depth=1
	s_and_b64 s[28:29], exec, s[24:25]
	s_or_b64 s[20:21], s[28:29], s[20:21]
	v_pk_mov_b32 v[6:7], s[26:27], s[26:27] op_sel:[0,1]
	s_mov_b64 s[26:27], s[2:3]
	s_andn2_b64 exec, exec, s[20:21]
	s_cbranch_execz .LBB1046_104
.LBB1046_101:                           ; =>This Inner Loop Header: Depth=1
	s_or_b64 s[24:25], s[24:25], exec
	s_cmp_eq_u64 s[16:17], s[26:27]
	s_cbranch_scc0 .LBB1046_99
; %bb.102:                              ;   in Loop: Header=BB1046_101 Depth=1
                                        ; implicit-def: $sgpr2_sgpr3
	s_mov_b64 s[26:27], s[16:17]
	s_branch .LBB1046_100
.LBB1046_103:
	s_mov_b64 s[2:3], 0
	s_branch .LBB1046_106
.LBB1046_104:
	s_or_b64 exec, exec, s[20:21]
	v_cmp_gt_i64_e32 vcc, s[16:17], v[6:7]
	s_orn2_b64 s[2:3], vcc, exec
.LBB1046_105:
	s_or_b64 exec, exec, s[18:19]
.LBB1046_106:
	s_and_b64 s[2:3], s[2:3], exec
	s_or_b64 s[8:9], s[8:9], exec
                                        ; implicit-def: $vgpr2_vgpr3
.LBB1046_107:
	s_or_b64 exec, exec, s[22:23]
.LBB1046_108:
	s_and_saveexec_b64 s[16:17], s[8:9]
; %bb.109:
	v_cndmask_b32_e64 v2, 0, 1, s[2:3]
	s_mov_b32 s2, 0
	v_mov_b32_e32 v3, s2
; %bb.110:
	s_or_b64 exec, exec, s[16:17]
	s_add_u32 s7, s12, s10
	s_addc_u32 s8, s13, s11
	s_and_b64 vcc, exec, s[0:1]
	v_lshrrev_b32_e32 v10, 1, v0
	s_barrier
	s_cbranch_vccz .LBB1046_114
; %bb.111:
	v_and_b32_e32 v4, 0xf8, v10
	v_lshl_add_u32 v6, v0, 4, v4
	v_mov_b32_e32 v4, v8
	v_mov_b32_e32 v5, v9
	v_or_b32_e32 v11, 0x200, v0
	s_lshl_b32 s0, s6, 10
	s_mov_b32 s5, 0
	ds_write2_b64 v6, v[2:3], v[4:5] offset1:1
	v_lshrrev_b32_e32 v4, 5, v11
	s_sub_i32 s2, s14, s0
	s_lshl_b64 s[0:1], s[4:5], 3
	v_add_lshl_u32 v4, v4, v0, 3
	s_add_u32 s0, s7, s0
	s_waitcnt lgkmcnt(0)
	s_barrier
	ds_read_b64 v[4:5], v4 offset:4096
	s_addc_u32 s1, s8, s1
	v_mov_b32_e32 v7, s1
	v_add_co_u32_e32 v6, vcc, s0, v1
	v_addc_co_u32_e32 v7, vcc, 0, v7, vcc
	v_cmp_gt_u32_e32 vcc, s2, v0
	s_and_saveexec_b64 s[0:1], vcc
	s_cbranch_execz .LBB1046_113
; %bb.112:
	v_lshrrev_b32_e32 v12, 5, v0
	v_add_lshl_u32 v12, v12, v0, 3
	ds_read_b64 v[12:13], v12
	s_waitcnt lgkmcnt(0)
	global_store_dwordx2 v[6:7], v[12:13], off
.LBB1046_113:
	s_or_b64 exec, exec, s[0:1]
	v_cmp_gt_u32_e64 s[0:1], s2, v11
	s_branch .LBB1046_116
.LBB1046_114:
	s_mov_b64 s[0:1], 0
                                        ; implicit-def: $vgpr4_vgpr5
                                        ; implicit-def: $vgpr6_vgpr7
	s_cbranch_execz .LBB1046_116
; %bb.115:
	s_waitcnt lgkmcnt(0)
	v_and_b32_e32 v4, 0xf8, v10
	v_lshl_add_u32 v6, v0, 4, v4
	v_mov_b32_e32 v4, v8
	v_mov_b32_e32 v5, v9
	s_mov_b32 s5, 0
	ds_write2_b64 v6, v[2:3], v[4:5] offset1:1
	v_lshrrev_b32_e32 v2, 5, v0
	v_or_b32_e32 v3, 0x200, v0
	s_lshl_b64 s[2:3], s[4:5], 3
	v_add_lshl_u32 v2, v2, v0, 3
	v_lshrrev_b32_e32 v3, 5, v3
	s_add_u32 s2, s7, s2
	s_waitcnt lgkmcnt(0)
	s_barrier
	v_add_lshl_u32 v0, v3, v0, 3
	ds_read_b64 v[2:3], v2
	ds_read_b64 v[4:5], v0 offset:4096
	s_addc_u32 s3, s8, s3
	v_mov_b32_e32 v0, s3
	v_add_co_u32_e32 v6, vcc, s2, v1
	v_addc_co_u32_e32 v7, vcc, 0, v0, vcc
	s_or_b64 s[0:1], s[0:1], exec
	s_waitcnt lgkmcnt(1)
	global_store_dwordx2 v1, v[2:3], s[2:3]
.LBB1046_116:
	s_and_saveexec_b64 s[2:3], s[0:1]
	s_cbranch_execnz .LBB1046_118
; %bb.117:
	s_endpgm
.LBB1046_118:
	v_add_co_u32_e32 v0, vcc, 0x1000, v6
	v_addc_co_u32_e32 v1, vcc, 0, v7, vcc
	s_waitcnt lgkmcnt(0)
	global_store_dwordx2 v[0:1], v[4:5], off
	s_endpgm
	.section	.rodata,"a",@progbits
	.p2align	6, 0x0
	.amdhsa_kernel _ZN7rocprim17ROCPRIM_400000_NS6detail17trampoline_kernelINS0_14default_configENS1_35adjacent_difference_config_selectorILb1ElEEZNS1_24adjacent_difference_implIS3_Lb1ELb0EPlS7_ZN2at6native12_GLOBAL__N_124unique_dim_cuda_templateIbEESt5tupleIJNS8_6TensorESD_SD_EERKSD_lbbbEUlllE1_EE10hipError_tPvRmT2_T3_mT4_P12ihipStream_tbEUlT_E_NS1_11comp_targetILNS1_3genE4ELNS1_11target_archE910ELNS1_3gpuE8ELNS1_3repE0EEENS1_30default_config_static_selectorELNS0_4arch9wavefront6targetE1EEEvT1_
		.amdhsa_group_segment_fixed_size 8448
		.amdhsa_private_segment_fixed_size 0
		.amdhsa_kernarg_size 64
		.amdhsa_user_sgpr_count 6
		.amdhsa_user_sgpr_private_segment_buffer 1
		.amdhsa_user_sgpr_dispatch_ptr 0
		.amdhsa_user_sgpr_queue_ptr 0
		.amdhsa_user_sgpr_kernarg_segment_ptr 1
		.amdhsa_user_sgpr_dispatch_id 0
		.amdhsa_user_sgpr_flat_scratch_init 0
		.amdhsa_user_sgpr_kernarg_preload_length 0
		.amdhsa_user_sgpr_kernarg_preload_offset 0
		.amdhsa_user_sgpr_private_segment_size 0
		.amdhsa_uses_dynamic_stack 0
		.amdhsa_system_sgpr_private_segment_wavefront_offset 0
		.amdhsa_system_sgpr_workgroup_id_x 1
		.amdhsa_system_sgpr_workgroup_id_y 0
		.amdhsa_system_sgpr_workgroup_id_z 0
		.amdhsa_system_sgpr_workgroup_info 0
		.amdhsa_system_vgpr_workitem_id 0
		.amdhsa_next_free_vgpr 18
		.amdhsa_next_free_sgpr 38
		.amdhsa_accum_offset 20
		.amdhsa_reserve_vcc 1
		.amdhsa_reserve_flat_scratch 0
		.amdhsa_float_round_mode_32 0
		.amdhsa_float_round_mode_16_64 0
		.amdhsa_float_denorm_mode_32 3
		.amdhsa_float_denorm_mode_16_64 3
		.amdhsa_dx10_clamp 1
		.amdhsa_ieee_mode 1
		.amdhsa_fp16_overflow 0
		.amdhsa_tg_split 0
		.amdhsa_exception_fp_ieee_invalid_op 0
		.amdhsa_exception_fp_denorm_src 0
		.amdhsa_exception_fp_ieee_div_zero 0
		.amdhsa_exception_fp_ieee_overflow 0
		.amdhsa_exception_fp_ieee_underflow 0
		.amdhsa_exception_fp_ieee_inexact 0
		.amdhsa_exception_int_div_zero 0
	.end_amdhsa_kernel
	.section	.text._ZN7rocprim17ROCPRIM_400000_NS6detail17trampoline_kernelINS0_14default_configENS1_35adjacent_difference_config_selectorILb1ElEEZNS1_24adjacent_difference_implIS3_Lb1ELb0EPlS7_ZN2at6native12_GLOBAL__N_124unique_dim_cuda_templateIbEESt5tupleIJNS8_6TensorESD_SD_EERKSD_lbbbEUlllE1_EE10hipError_tPvRmT2_T3_mT4_P12ihipStream_tbEUlT_E_NS1_11comp_targetILNS1_3genE4ELNS1_11target_archE910ELNS1_3gpuE8ELNS1_3repE0EEENS1_30default_config_static_selectorELNS0_4arch9wavefront6targetE1EEEvT1_,"axG",@progbits,_ZN7rocprim17ROCPRIM_400000_NS6detail17trampoline_kernelINS0_14default_configENS1_35adjacent_difference_config_selectorILb1ElEEZNS1_24adjacent_difference_implIS3_Lb1ELb0EPlS7_ZN2at6native12_GLOBAL__N_124unique_dim_cuda_templateIbEESt5tupleIJNS8_6TensorESD_SD_EERKSD_lbbbEUlllE1_EE10hipError_tPvRmT2_T3_mT4_P12ihipStream_tbEUlT_E_NS1_11comp_targetILNS1_3genE4ELNS1_11target_archE910ELNS1_3gpuE8ELNS1_3repE0EEENS1_30default_config_static_selectorELNS0_4arch9wavefront6targetE1EEEvT1_,comdat
.Lfunc_end1046:
	.size	_ZN7rocprim17ROCPRIM_400000_NS6detail17trampoline_kernelINS0_14default_configENS1_35adjacent_difference_config_selectorILb1ElEEZNS1_24adjacent_difference_implIS3_Lb1ELb0EPlS7_ZN2at6native12_GLOBAL__N_124unique_dim_cuda_templateIbEESt5tupleIJNS8_6TensorESD_SD_EERKSD_lbbbEUlllE1_EE10hipError_tPvRmT2_T3_mT4_P12ihipStream_tbEUlT_E_NS1_11comp_targetILNS1_3genE4ELNS1_11target_archE910ELNS1_3gpuE8ELNS1_3repE0EEENS1_30default_config_static_selectorELNS0_4arch9wavefront6targetE1EEEvT1_, .Lfunc_end1046-_ZN7rocprim17ROCPRIM_400000_NS6detail17trampoline_kernelINS0_14default_configENS1_35adjacent_difference_config_selectorILb1ElEEZNS1_24adjacent_difference_implIS3_Lb1ELb0EPlS7_ZN2at6native12_GLOBAL__N_124unique_dim_cuda_templateIbEESt5tupleIJNS8_6TensorESD_SD_EERKSD_lbbbEUlllE1_EE10hipError_tPvRmT2_T3_mT4_P12ihipStream_tbEUlT_E_NS1_11comp_targetILNS1_3genE4ELNS1_11target_archE910ELNS1_3gpuE8ELNS1_3repE0EEENS1_30default_config_static_selectorELNS0_4arch9wavefront6targetE1EEEvT1_
                                        ; -- End function
	.section	.AMDGPU.csdata,"",@progbits
; Kernel info:
; codeLenInByte = 3848
; NumSgprs: 42
; NumVgprs: 18
; NumAgprs: 0
; TotalNumVgprs: 18
; ScratchSize: 0
; MemoryBound: 0
; FloatMode: 240
; IeeeMode: 1
; LDSByteSize: 8448 bytes/workgroup (compile time only)
; SGPRBlocks: 5
; VGPRBlocks: 2
; NumSGPRsForWavesPerEU: 42
; NumVGPRsForWavesPerEU: 18
; AccumOffset: 20
; Occupancy: 8
; WaveLimiterHint : 1
; COMPUTE_PGM_RSRC2:SCRATCH_EN: 0
; COMPUTE_PGM_RSRC2:USER_SGPR: 6
; COMPUTE_PGM_RSRC2:TRAP_HANDLER: 0
; COMPUTE_PGM_RSRC2:TGID_X_EN: 1
; COMPUTE_PGM_RSRC2:TGID_Y_EN: 0
; COMPUTE_PGM_RSRC2:TGID_Z_EN: 0
; COMPUTE_PGM_RSRC2:TIDIG_COMP_CNT: 0
; COMPUTE_PGM_RSRC3_GFX90A:ACCUM_OFFSET: 4
; COMPUTE_PGM_RSRC3_GFX90A:TG_SPLIT: 0
	.section	.text._ZN7rocprim17ROCPRIM_400000_NS6detail17trampoline_kernelINS0_14default_configENS1_35adjacent_difference_config_selectorILb1ElEEZNS1_24adjacent_difference_implIS3_Lb1ELb0EPlS7_ZN2at6native12_GLOBAL__N_124unique_dim_cuda_templateIbEESt5tupleIJNS8_6TensorESD_SD_EERKSD_lbbbEUlllE1_EE10hipError_tPvRmT2_T3_mT4_P12ihipStream_tbEUlT_E_NS1_11comp_targetILNS1_3genE3ELNS1_11target_archE908ELNS1_3gpuE7ELNS1_3repE0EEENS1_30default_config_static_selectorELNS0_4arch9wavefront6targetE1EEEvT1_,"axG",@progbits,_ZN7rocprim17ROCPRIM_400000_NS6detail17trampoline_kernelINS0_14default_configENS1_35adjacent_difference_config_selectorILb1ElEEZNS1_24adjacent_difference_implIS3_Lb1ELb0EPlS7_ZN2at6native12_GLOBAL__N_124unique_dim_cuda_templateIbEESt5tupleIJNS8_6TensorESD_SD_EERKSD_lbbbEUlllE1_EE10hipError_tPvRmT2_T3_mT4_P12ihipStream_tbEUlT_E_NS1_11comp_targetILNS1_3genE3ELNS1_11target_archE908ELNS1_3gpuE7ELNS1_3repE0EEENS1_30default_config_static_selectorELNS0_4arch9wavefront6targetE1EEEvT1_,comdat
	.globl	_ZN7rocprim17ROCPRIM_400000_NS6detail17trampoline_kernelINS0_14default_configENS1_35adjacent_difference_config_selectorILb1ElEEZNS1_24adjacent_difference_implIS3_Lb1ELb0EPlS7_ZN2at6native12_GLOBAL__N_124unique_dim_cuda_templateIbEESt5tupleIJNS8_6TensorESD_SD_EERKSD_lbbbEUlllE1_EE10hipError_tPvRmT2_T3_mT4_P12ihipStream_tbEUlT_E_NS1_11comp_targetILNS1_3genE3ELNS1_11target_archE908ELNS1_3gpuE7ELNS1_3repE0EEENS1_30default_config_static_selectorELNS0_4arch9wavefront6targetE1EEEvT1_ ; -- Begin function _ZN7rocprim17ROCPRIM_400000_NS6detail17trampoline_kernelINS0_14default_configENS1_35adjacent_difference_config_selectorILb1ElEEZNS1_24adjacent_difference_implIS3_Lb1ELb0EPlS7_ZN2at6native12_GLOBAL__N_124unique_dim_cuda_templateIbEESt5tupleIJNS8_6TensorESD_SD_EERKSD_lbbbEUlllE1_EE10hipError_tPvRmT2_T3_mT4_P12ihipStream_tbEUlT_E_NS1_11comp_targetILNS1_3genE3ELNS1_11target_archE908ELNS1_3gpuE7ELNS1_3repE0EEENS1_30default_config_static_selectorELNS0_4arch9wavefront6targetE1EEEvT1_
	.p2align	8
	.type	_ZN7rocprim17ROCPRIM_400000_NS6detail17trampoline_kernelINS0_14default_configENS1_35adjacent_difference_config_selectorILb1ElEEZNS1_24adjacent_difference_implIS3_Lb1ELb0EPlS7_ZN2at6native12_GLOBAL__N_124unique_dim_cuda_templateIbEESt5tupleIJNS8_6TensorESD_SD_EERKSD_lbbbEUlllE1_EE10hipError_tPvRmT2_T3_mT4_P12ihipStream_tbEUlT_E_NS1_11comp_targetILNS1_3genE3ELNS1_11target_archE908ELNS1_3gpuE7ELNS1_3repE0EEENS1_30default_config_static_selectorELNS0_4arch9wavefront6targetE1EEEvT1_,@function
_ZN7rocprim17ROCPRIM_400000_NS6detail17trampoline_kernelINS0_14default_configENS1_35adjacent_difference_config_selectorILb1ElEEZNS1_24adjacent_difference_implIS3_Lb1ELb0EPlS7_ZN2at6native12_GLOBAL__N_124unique_dim_cuda_templateIbEESt5tupleIJNS8_6TensorESD_SD_EERKSD_lbbbEUlllE1_EE10hipError_tPvRmT2_T3_mT4_P12ihipStream_tbEUlT_E_NS1_11comp_targetILNS1_3genE3ELNS1_11target_archE908ELNS1_3gpuE7ELNS1_3repE0EEENS1_30default_config_static_selectorELNS0_4arch9wavefront6targetE1EEEvT1_: ; @_ZN7rocprim17ROCPRIM_400000_NS6detail17trampoline_kernelINS0_14default_configENS1_35adjacent_difference_config_selectorILb1ElEEZNS1_24adjacent_difference_implIS3_Lb1ELb0EPlS7_ZN2at6native12_GLOBAL__N_124unique_dim_cuda_templateIbEESt5tupleIJNS8_6TensorESD_SD_EERKSD_lbbbEUlllE1_EE10hipError_tPvRmT2_T3_mT4_P12ihipStream_tbEUlT_E_NS1_11comp_targetILNS1_3genE3ELNS1_11target_archE908ELNS1_3gpuE7ELNS1_3repE0EEENS1_30default_config_static_selectorELNS0_4arch9wavefront6targetE1EEEvT1_
; %bb.0:
	.section	.rodata,"a",@progbits
	.p2align	6, 0x0
	.amdhsa_kernel _ZN7rocprim17ROCPRIM_400000_NS6detail17trampoline_kernelINS0_14default_configENS1_35adjacent_difference_config_selectorILb1ElEEZNS1_24adjacent_difference_implIS3_Lb1ELb0EPlS7_ZN2at6native12_GLOBAL__N_124unique_dim_cuda_templateIbEESt5tupleIJNS8_6TensorESD_SD_EERKSD_lbbbEUlllE1_EE10hipError_tPvRmT2_T3_mT4_P12ihipStream_tbEUlT_E_NS1_11comp_targetILNS1_3genE3ELNS1_11target_archE908ELNS1_3gpuE7ELNS1_3repE0EEENS1_30default_config_static_selectorELNS0_4arch9wavefront6targetE1EEEvT1_
		.amdhsa_group_segment_fixed_size 0
		.amdhsa_private_segment_fixed_size 0
		.amdhsa_kernarg_size 64
		.amdhsa_user_sgpr_count 6
		.amdhsa_user_sgpr_private_segment_buffer 1
		.amdhsa_user_sgpr_dispatch_ptr 0
		.amdhsa_user_sgpr_queue_ptr 0
		.amdhsa_user_sgpr_kernarg_segment_ptr 1
		.amdhsa_user_sgpr_dispatch_id 0
		.amdhsa_user_sgpr_flat_scratch_init 0
		.amdhsa_user_sgpr_kernarg_preload_length 0
		.amdhsa_user_sgpr_kernarg_preload_offset 0
		.amdhsa_user_sgpr_private_segment_size 0
		.amdhsa_uses_dynamic_stack 0
		.amdhsa_system_sgpr_private_segment_wavefront_offset 0
		.amdhsa_system_sgpr_workgroup_id_x 1
		.amdhsa_system_sgpr_workgroup_id_y 0
		.amdhsa_system_sgpr_workgroup_id_z 0
		.amdhsa_system_sgpr_workgroup_info 0
		.amdhsa_system_vgpr_workitem_id 0
		.amdhsa_next_free_vgpr 1
		.amdhsa_next_free_sgpr 0
		.amdhsa_accum_offset 4
		.amdhsa_reserve_vcc 0
		.amdhsa_reserve_flat_scratch 0
		.amdhsa_float_round_mode_32 0
		.amdhsa_float_round_mode_16_64 0
		.amdhsa_float_denorm_mode_32 3
		.amdhsa_float_denorm_mode_16_64 3
		.amdhsa_dx10_clamp 1
		.amdhsa_ieee_mode 1
		.amdhsa_fp16_overflow 0
		.amdhsa_tg_split 0
		.amdhsa_exception_fp_ieee_invalid_op 0
		.amdhsa_exception_fp_denorm_src 0
		.amdhsa_exception_fp_ieee_div_zero 0
		.amdhsa_exception_fp_ieee_overflow 0
		.amdhsa_exception_fp_ieee_underflow 0
		.amdhsa_exception_fp_ieee_inexact 0
		.amdhsa_exception_int_div_zero 0
	.end_amdhsa_kernel
	.section	.text._ZN7rocprim17ROCPRIM_400000_NS6detail17trampoline_kernelINS0_14default_configENS1_35adjacent_difference_config_selectorILb1ElEEZNS1_24adjacent_difference_implIS3_Lb1ELb0EPlS7_ZN2at6native12_GLOBAL__N_124unique_dim_cuda_templateIbEESt5tupleIJNS8_6TensorESD_SD_EERKSD_lbbbEUlllE1_EE10hipError_tPvRmT2_T3_mT4_P12ihipStream_tbEUlT_E_NS1_11comp_targetILNS1_3genE3ELNS1_11target_archE908ELNS1_3gpuE7ELNS1_3repE0EEENS1_30default_config_static_selectorELNS0_4arch9wavefront6targetE1EEEvT1_,"axG",@progbits,_ZN7rocprim17ROCPRIM_400000_NS6detail17trampoline_kernelINS0_14default_configENS1_35adjacent_difference_config_selectorILb1ElEEZNS1_24adjacent_difference_implIS3_Lb1ELb0EPlS7_ZN2at6native12_GLOBAL__N_124unique_dim_cuda_templateIbEESt5tupleIJNS8_6TensorESD_SD_EERKSD_lbbbEUlllE1_EE10hipError_tPvRmT2_T3_mT4_P12ihipStream_tbEUlT_E_NS1_11comp_targetILNS1_3genE3ELNS1_11target_archE908ELNS1_3gpuE7ELNS1_3repE0EEENS1_30default_config_static_selectorELNS0_4arch9wavefront6targetE1EEEvT1_,comdat
.Lfunc_end1047:
	.size	_ZN7rocprim17ROCPRIM_400000_NS6detail17trampoline_kernelINS0_14default_configENS1_35adjacent_difference_config_selectorILb1ElEEZNS1_24adjacent_difference_implIS3_Lb1ELb0EPlS7_ZN2at6native12_GLOBAL__N_124unique_dim_cuda_templateIbEESt5tupleIJNS8_6TensorESD_SD_EERKSD_lbbbEUlllE1_EE10hipError_tPvRmT2_T3_mT4_P12ihipStream_tbEUlT_E_NS1_11comp_targetILNS1_3genE3ELNS1_11target_archE908ELNS1_3gpuE7ELNS1_3repE0EEENS1_30default_config_static_selectorELNS0_4arch9wavefront6targetE1EEEvT1_, .Lfunc_end1047-_ZN7rocprim17ROCPRIM_400000_NS6detail17trampoline_kernelINS0_14default_configENS1_35adjacent_difference_config_selectorILb1ElEEZNS1_24adjacent_difference_implIS3_Lb1ELb0EPlS7_ZN2at6native12_GLOBAL__N_124unique_dim_cuda_templateIbEESt5tupleIJNS8_6TensorESD_SD_EERKSD_lbbbEUlllE1_EE10hipError_tPvRmT2_T3_mT4_P12ihipStream_tbEUlT_E_NS1_11comp_targetILNS1_3genE3ELNS1_11target_archE908ELNS1_3gpuE7ELNS1_3repE0EEENS1_30default_config_static_selectorELNS0_4arch9wavefront6targetE1EEEvT1_
                                        ; -- End function
	.section	.AMDGPU.csdata,"",@progbits
; Kernel info:
; codeLenInByte = 0
; NumSgprs: 4
; NumVgprs: 0
; NumAgprs: 0
; TotalNumVgprs: 0
; ScratchSize: 0
; MemoryBound: 0
; FloatMode: 240
; IeeeMode: 1
; LDSByteSize: 0 bytes/workgroup (compile time only)
; SGPRBlocks: 0
; VGPRBlocks: 0
; NumSGPRsForWavesPerEU: 4
; NumVGPRsForWavesPerEU: 1
; AccumOffset: 4
; Occupancy: 8
; WaveLimiterHint : 0
; COMPUTE_PGM_RSRC2:SCRATCH_EN: 0
; COMPUTE_PGM_RSRC2:USER_SGPR: 6
; COMPUTE_PGM_RSRC2:TRAP_HANDLER: 0
; COMPUTE_PGM_RSRC2:TGID_X_EN: 1
; COMPUTE_PGM_RSRC2:TGID_Y_EN: 0
; COMPUTE_PGM_RSRC2:TGID_Z_EN: 0
; COMPUTE_PGM_RSRC2:TIDIG_COMP_CNT: 0
; COMPUTE_PGM_RSRC3_GFX90A:ACCUM_OFFSET: 0
; COMPUTE_PGM_RSRC3_GFX90A:TG_SPLIT: 0
	.section	.text._ZN7rocprim17ROCPRIM_400000_NS6detail17trampoline_kernelINS0_14default_configENS1_35adjacent_difference_config_selectorILb1ElEEZNS1_24adjacent_difference_implIS3_Lb1ELb0EPlS7_ZN2at6native12_GLOBAL__N_124unique_dim_cuda_templateIbEESt5tupleIJNS8_6TensorESD_SD_EERKSD_lbbbEUlllE1_EE10hipError_tPvRmT2_T3_mT4_P12ihipStream_tbEUlT_E_NS1_11comp_targetILNS1_3genE2ELNS1_11target_archE906ELNS1_3gpuE6ELNS1_3repE0EEENS1_30default_config_static_selectorELNS0_4arch9wavefront6targetE1EEEvT1_,"axG",@progbits,_ZN7rocprim17ROCPRIM_400000_NS6detail17trampoline_kernelINS0_14default_configENS1_35adjacent_difference_config_selectorILb1ElEEZNS1_24adjacent_difference_implIS3_Lb1ELb0EPlS7_ZN2at6native12_GLOBAL__N_124unique_dim_cuda_templateIbEESt5tupleIJNS8_6TensorESD_SD_EERKSD_lbbbEUlllE1_EE10hipError_tPvRmT2_T3_mT4_P12ihipStream_tbEUlT_E_NS1_11comp_targetILNS1_3genE2ELNS1_11target_archE906ELNS1_3gpuE6ELNS1_3repE0EEENS1_30default_config_static_selectorELNS0_4arch9wavefront6targetE1EEEvT1_,comdat
	.globl	_ZN7rocprim17ROCPRIM_400000_NS6detail17trampoline_kernelINS0_14default_configENS1_35adjacent_difference_config_selectorILb1ElEEZNS1_24adjacent_difference_implIS3_Lb1ELb0EPlS7_ZN2at6native12_GLOBAL__N_124unique_dim_cuda_templateIbEESt5tupleIJNS8_6TensorESD_SD_EERKSD_lbbbEUlllE1_EE10hipError_tPvRmT2_T3_mT4_P12ihipStream_tbEUlT_E_NS1_11comp_targetILNS1_3genE2ELNS1_11target_archE906ELNS1_3gpuE6ELNS1_3repE0EEENS1_30default_config_static_selectorELNS0_4arch9wavefront6targetE1EEEvT1_ ; -- Begin function _ZN7rocprim17ROCPRIM_400000_NS6detail17trampoline_kernelINS0_14default_configENS1_35adjacent_difference_config_selectorILb1ElEEZNS1_24adjacent_difference_implIS3_Lb1ELb0EPlS7_ZN2at6native12_GLOBAL__N_124unique_dim_cuda_templateIbEESt5tupleIJNS8_6TensorESD_SD_EERKSD_lbbbEUlllE1_EE10hipError_tPvRmT2_T3_mT4_P12ihipStream_tbEUlT_E_NS1_11comp_targetILNS1_3genE2ELNS1_11target_archE906ELNS1_3gpuE6ELNS1_3repE0EEENS1_30default_config_static_selectorELNS0_4arch9wavefront6targetE1EEEvT1_
	.p2align	8
	.type	_ZN7rocprim17ROCPRIM_400000_NS6detail17trampoline_kernelINS0_14default_configENS1_35adjacent_difference_config_selectorILb1ElEEZNS1_24adjacent_difference_implIS3_Lb1ELb0EPlS7_ZN2at6native12_GLOBAL__N_124unique_dim_cuda_templateIbEESt5tupleIJNS8_6TensorESD_SD_EERKSD_lbbbEUlllE1_EE10hipError_tPvRmT2_T3_mT4_P12ihipStream_tbEUlT_E_NS1_11comp_targetILNS1_3genE2ELNS1_11target_archE906ELNS1_3gpuE6ELNS1_3repE0EEENS1_30default_config_static_selectorELNS0_4arch9wavefront6targetE1EEEvT1_,@function
_ZN7rocprim17ROCPRIM_400000_NS6detail17trampoline_kernelINS0_14default_configENS1_35adjacent_difference_config_selectorILb1ElEEZNS1_24adjacent_difference_implIS3_Lb1ELb0EPlS7_ZN2at6native12_GLOBAL__N_124unique_dim_cuda_templateIbEESt5tupleIJNS8_6TensorESD_SD_EERKSD_lbbbEUlllE1_EE10hipError_tPvRmT2_T3_mT4_P12ihipStream_tbEUlT_E_NS1_11comp_targetILNS1_3genE2ELNS1_11target_archE906ELNS1_3gpuE6ELNS1_3repE0EEENS1_30default_config_static_selectorELNS0_4arch9wavefront6targetE1EEEvT1_: ; @_ZN7rocprim17ROCPRIM_400000_NS6detail17trampoline_kernelINS0_14default_configENS1_35adjacent_difference_config_selectorILb1ElEEZNS1_24adjacent_difference_implIS3_Lb1ELb0EPlS7_ZN2at6native12_GLOBAL__N_124unique_dim_cuda_templateIbEESt5tupleIJNS8_6TensorESD_SD_EERKSD_lbbbEUlllE1_EE10hipError_tPvRmT2_T3_mT4_P12ihipStream_tbEUlT_E_NS1_11comp_targetILNS1_3genE2ELNS1_11target_archE906ELNS1_3gpuE6ELNS1_3repE0EEENS1_30default_config_static_selectorELNS0_4arch9wavefront6targetE1EEEvT1_
; %bb.0:
	.section	.rodata,"a",@progbits
	.p2align	6, 0x0
	.amdhsa_kernel _ZN7rocprim17ROCPRIM_400000_NS6detail17trampoline_kernelINS0_14default_configENS1_35adjacent_difference_config_selectorILb1ElEEZNS1_24adjacent_difference_implIS3_Lb1ELb0EPlS7_ZN2at6native12_GLOBAL__N_124unique_dim_cuda_templateIbEESt5tupleIJNS8_6TensorESD_SD_EERKSD_lbbbEUlllE1_EE10hipError_tPvRmT2_T3_mT4_P12ihipStream_tbEUlT_E_NS1_11comp_targetILNS1_3genE2ELNS1_11target_archE906ELNS1_3gpuE6ELNS1_3repE0EEENS1_30default_config_static_selectorELNS0_4arch9wavefront6targetE1EEEvT1_
		.amdhsa_group_segment_fixed_size 0
		.amdhsa_private_segment_fixed_size 0
		.amdhsa_kernarg_size 64
		.amdhsa_user_sgpr_count 6
		.amdhsa_user_sgpr_private_segment_buffer 1
		.amdhsa_user_sgpr_dispatch_ptr 0
		.amdhsa_user_sgpr_queue_ptr 0
		.amdhsa_user_sgpr_kernarg_segment_ptr 1
		.amdhsa_user_sgpr_dispatch_id 0
		.amdhsa_user_sgpr_flat_scratch_init 0
		.amdhsa_user_sgpr_kernarg_preload_length 0
		.amdhsa_user_sgpr_kernarg_preload_offset 0
		.amdhsa_user_sgpr_private_segment_size 0
		.amdhsa_uses_dynamic_stack 0
		.amdhsa_system_sgpr_private_segment_wavefront_offset 0
		.amdhsa_system_sgpr_workgroup_id_x 1
		.amdhsa_system_sgpr_workgroup_id_y 0
		.amdhsa_system_sgpr_workgroup_id_z 0
		.amdhsa_system_sgpr_workgroup_info 0
		.amdhsa_system_vgpr_workitem_id 0
		.amdhsa_next_free_vgpr 1
		.amdhsa_next_free_sgpr 0
		.amdhsa_accum_offset 4
		.amdhsa_reserve_vcc 0
		.amdhsa_reserve_flat_scratch 0
		.amdhsa_float_round_mode_32 0
		.amdhsa_float_round_mode_16_64 0
		.amdhsa_float_denorm_mode_32 3
		.amdhsa_float_denorm_mode_16_64 3
		.amdhsa_dx10_clamp 1
		.amdhsa_ieee_mode 1
		.amdhsa_fp16_overflow 0
		.amdhsa_tg_split 0
		.amdhsa_exception_fp_ieee_invalid_op 0
		.amdhsa_exception_fp_denorm_src 0
		.amdhsa_exception_fp_ieee_div_zero 0
		.amdhsa_exception_fp_ieee_overflow 0
		.amdhsa_exception_fp_ieee_underflow 0
		.amdhsa_exception_fp_ieee_inexact 0
		.amdhsa_exception_int_div_zero 0
	.end_amdhsa_kernel
	.section	.text._ZN7rocprim17ROCPRIM_400000_NS6detail17trampoline_kernelINS0_14default_configENS1_35adjacent_difference_config_selectorILb1ElEEZNS1_24adjacent_difference_implIS3_Lb1ELb0EPlS7_ZN2at6native12_GLOBAL__N_124unique_dim_cuda_templateIbEESt5tupleIJNS8_6TensorESD_SD_EERKSD_lbbbEUlllE1_EE10hipError_tPvRmT2_T3_mT4_P12ihipStream_tbEUlT_E_NS1_11comp_targetILNS1_3genE2ELNS1_11target_archE906ELNS1_3gpuE6ELNS1_3repE0EEENS1_30default_config_static_selectorELNS0_4arch9wavefront6targetE1EEEvT1_,"axG",@progbits,_ZN7rocprim17ROCPRIM_400000_NS6detail17trampoline_kernelINS0_14default_configENS1_35adjacent_difference_config_selectorILb1ElEEZNS1_24adjacent_difference_implIS3_Lb1ELb0EPlS7_ZN2at6native12_GLOBAL__N_124unique_dim_cuda_templateIbEESt5tupleIJNS8_6TensorESD_SD_EERKSD_lbbbEUlllE1_EE10hipError_tPvRmT2_T3_mT4_P12ihipStream_tbEUlT_E_NS1_11comp_targetILNS1_3genE2ELNS1_11target_archE906ELNS1_3gpuE6ELNS1_3repE0EEENS1_30default_config_static_selectorELNS0_4arch9wavefront6targetE1EEEvT1_,comdat
.Lfunc_end1048:
	.size	_ZN7rocprim17ROCPRIM_400000_NS6detail17trampoline_kernelINS0_14default_configENS1_35adjacent_difference_config_selectorILb1ElEEZNS1_24adjacent_difference_implIS3_Lb1ELb0EPlS7_ZN2at6native12_GLOBAL__N_124unique_dim_cuda_templateIbEESt5tupleIJNS8_6TensorESD_SD_EERKSD_lbbbEUlllE1_EE10hipError_tPvRmT2_T3_mT4_P12ihipStream_tbEUlT_E_NS1_11comp_targetILNS1_3genE2ELNS1_11target_archE906ELNS1_3gpuE6ELNS1_3repE0EEENS1_30default_config_static_selectorELNS0_4arch9wavefront6targetE1EEEvT1_, .Lfunc_end1048-_ZN7rocprim17ROCPRIM_400000_NS6detail17trampoline_kernelINS0_14default_configENS1_35adjacent_difference_config_selectorILb1ElEEZNS1_24adjacent_difference_implIS3_Lb1ELb0EPlS7_ZN2at6native12_GLOBAL__N_124unique_dim_cuda_templateIbEESt5tupleIJNS8_6TensorESD_SD_EERKSD_lbbbEUlllE1_EE10hipError_tPvRmT2_T3_mT4_P12ihipStream_tbEUlT_E_NS1_11comp_targetILNS1_3genE2ELNS1_11target_archE906ELNS1_3gpuE6ELNS1_3repE0EEENS1_30default_config_static_selectorELNS0_4arch9wavefront6targetE1EEEvT1_
                                        ; -- End function
	.section	.AMDGPU.csdata,"",@progbits
; Kernel info:
; codeLenInByte = 0
; NumSgprs: 4
; NumVgprs: 0
; NumAgprs: 0
; TotalNumVgprs: 0
; ScratchSize: 0
; MemoryBound: 0
; FloatMode: 240
; IeeeMode: 1
; LDSByteSize: 0 bytes/workgroup (compile time only)
; SGPRBlocks: 0
; VGPRBlocks: 0
; NumSGPRsForWavesPerEU: 4
; NumVGPRsForWavesPerEU: 1
; AccumOffset: 4
; Occupancy: 8
; WaveLimiterHint : 0
; COMPUTE_PGM_RSRC2:SCRATCH_EN: 0
; COMPUTE_PGM_RSRC2:USER_SGPR: 6
; COMPUTE_PGM_RSRC2:TRAP_HANDLER: 0
; COMPUTE_PGM_RSRC2:TGID_X_EN: 1
; COMPUTE_PGM_RSRC2:TGID_Y_EN: 0
; COMPUTE_PGM_RSRC2:TGID_Z_EN: 0
; COMPUTE_PGM_RSRC2:TIDIG_COMP_CNT: 0
; COMPUTE_PGM_RSRC3_GFX90A:ACCUM_OFFSET: 0
; COMPUTE_PGM_RSRC3_GFX90A:TG_SPLIT: 0
	.section	.text._ZN7rocprim17ROCPRIM_400000_NS6detail17trampoline_kernelINS0_14default_configENS1_35adjacent_difference_config_selectorILb1ElEEZNS1_24adjacent_difference_implIS3_Lb1ELb0EPlS7_ZN2at6native12_GLOBAL__N_124unique_dim_cuda_templateIbEESt5tupleIJNS8_6TensorESD_SD_EERKSD_lbbbEUlllE1_EE10hipError_tPvRmT2_T3_mT4_P12ihipStream_tbEUlT_E_NS1_11comp_targetILNS1_3genE9ELNS1_11target_archE1100ELNS1_3gpuE3ELNS1_3repE0EEENS1_30default_config_static_selectorELNS0_4arch9wavefront6targetE1EEEvT1_,"axG",@progbits,_ZN7rocprim17ROCPRIM_400000_NS6detail17trampoline_kernelINS0_14default_configENS1_35adjacent_difference_config_selectorILb1ElEEZNS1_24adjacent_difference_implIS3_Lb1ELb0EPlS7_ZN2at6native12_GLOBAL__N_124unique_dim_cuda_templateIbEESt5tupleIJNS8_6TensorESD_SD_EERKSD_lbbbEUlllE1_EE10hipError_tPvRmT2_T3_mT4_P12ihipStream_tbEUlT_E_NS1_11comp_targetILNS1_3genE9ELNS1_11target_archE1100ELNS1_3gpuE3ELNS1_3repE0EEENS1_30default_config_static_selectorELNS0_4arch9wavefront6targetE1EEEvT1_,comdat
	.globl	_ZN7rocprim17ROCPRIM_400000_NS6detail17trampoline_kernelINS0_14default_configENS1_35adjacent_difference_config_selectorILb1ElEEZNS1_24adjacent_difference_implIS3_Lb1ELb0EPlS7_ZN2at6native12_GLOBAL__N_124unique_dim_cuda_templateIbEESt5tupleIJNS8_6TensorESD_SD_EERKSD_lbbbEUlllE1_EE10hipError_tPvRmT2_T3_mT4_P12ihipStream_tbEUlT_E_NS1_11comp_targetILNS1_3genE9ELNS1_11target_archE1100ELNS1_3gpuE3ELNS1_3repE0EEENS1_30default_config_static_selectorELNS0_4arch9wavefront6targetE1EEEvT1_ ; -- Begin function _ZN7rocprim17ROCPRIM_400000_NS6detail17trampoline_kernelINS0_14default_configENS1_35adjacent_difference_config_selectorILb1ElEEZNS1_24adjacent_difference_implIS3_Lb1ELb0EPlS7_ZN2at6native12_GLOBAL__N_124unique_dim_cuda_templateIbEESt5tupleIJNS8_6TensorESD_SD_EERKSD_lbbbEUlllE1_EE10hipError_tPvRmT2_T3_mT4_P12ihipStream_tbEUlT_E_NS1_11comp_targetILNS1_3genE9ELNS1_11target_archE1100ELNS1_3gpuE3ELNS1_3repE0EEENS1_30default_config_static_selectorELNS0_4arch9wavefront6targetE1EEEvT1_
	.p2align	8
	.type	_ZN7rocprim17ROCPRIM_400000_NS6detail17trampoline_kernelINS0_14default_configENS1_35adjacent_difference_config_selectorILb1ElEEZNS1_24adjacent_difference_implIS3_Lb1ELb0EPlS7_ZN2at6native12_GLOBAL__N_124unique_dim_cuda_templateIbEESt5tupleIJNS8_6TensorESD_SD_EERKSD_lbbbEUlllE1_EE10hipError_tPvRmT2_T3_mT4_P12ihipStream_tbEUlT_E_NS1_11comp_targetILNS1_3genE9ELNS1_11target_archE1100ELNS1_3gpuE3ELNS1_3repE0EEENS1_30default_config_static_selectorELNS0_4arch9wavefront6targetE1EEEvT1_,@function
_ZN7rocprim17ROCPRIM_400000_NS6detail17trampoline_kernelINS0_14default_configENS1_35adjacent_difference_config_selectorILb1ElEEZNS1_24adjacent_difference_implIS3_Lb1ELb0EPlS7_ZN2at6native12_GLOBAL__N_124unique_dim_cuda_templateIbEESt5tupleIJNS8_6TensorESD_SD_EERKSD_lbbbEUlllE1_EE10hipError_tPvRmT2_T3_mT4_P12ihipStream_tbEUlT_E_NS1_11comp_targetILNS1_3genE9ELNS1_11target_archE1100ELNS1_3gpuE3ELNS1_3repE0EEENS1_30default_config_static_selectorELNS0_4arch9wavefront6targetE1EEEvT1_: ; @_ZN7rocprim17ROCPRIM_400000_NS6detail17trampoline_kernelINS0_14default_configENS1_35adjacent_difference_config_selectorILb1ElEEZNS1_24adjacent_difference_implIS3_Lb1ELb0EPlS7_ZN2at6native12_GLOBAL__N_124unique_dim_cuda_templateIbEESt5tupleIJNS8_6TensorESD_SD_EERKSD_lbbbEUlllE1_EE10hipError_tPvRmT2_T3_mT4_P12ihipStream_tbEUlT_E_NS1_11comp_targetILNS1_3genE9ELNS1_11target_archE1100ELNS1_3gpuE3ELNS1_3repE0EEENS1_30default_config_static_selectorELNS0_4arch9wavefront6targetE1EEEvT1_
; %bb.0:
	.section	.rodata,"a",@progbits
	.p2align	6, 0x0
	.amdhsa_kernel _ZN7rocprim17ROCPRIM_400000_NS6detail17trampoline_kernelINS0_14default_configENS1_35adjacent_difference_config_selectorILb1ElEEZNS1_24adjacent_difference_implIS3_Lb1ELb0EPlS7_ZN2at6native12_GLOBAL__N_124unique_dim_cuda_templateIbEESt5tupleIJNS8_6TensorESD_SD_EERKSD_lbbbEUlllE1_EE10hipError_tPvRmT2_T3_mT4_P12ihipStream_tbEUlT_E_NS1_11comp_targetILNS1_3genE9ELNS1_11target_archE1100ELNS1_3gpuE3ELNS1_3repE0EEENS1_30default_config_static_selectorELNS0_4arch9wavefront6targetE1EEEvT1_
		.amdhsa_group_segment_fixed_size 0
		.amdhsa_private_segment_fixed_size 0
		.amdhsa_kernarg_size 64
		.amdhsa_user_sgpr_count 6
		.amdhsa_user_sgpr_private_segment_buffer 1
		.amdhsa_user_sgpr_dispatch_ptr 0
		.amdhsa_user_sgpr_queue_ptr 0
		.amdhsa_user_sgpr_kernarg_segment_ptr 1
		.amdhsa_user_sgpr_dispatch_id 0
		.amdhsa_user_sgpr_flat_scratch_init 0
		.amdhsa_user_sgpr_kernarg_preload_length 0
		.amdhsa_user_sgpr_kernarg_preload_offset 0
		.amdhsa_user_sgpr_private_segment_size 0
		.amdhsa_uses_dynamic_stack 0
		.amdhsa_system_sgpr_private_segment_wavefront_offset 0
		.amdhsa_system_sgpr_workgroup_id_x 1
		.amdhsa_system_sgpr_workgroup_id_y 0
		.amdhsa_system_sgpr_workgroup_id_z 0
		.amdhsa_system_sgpr_workgroup_info 0
		.amdhsa_system_vgpr_workitem_id 0
		.amdhsa_next_free_vgpr 1
		.amdhsa_next_free_sgpr 0
		.amdhsa_accum_offset 4
		.amdhsa_reserve_vcc 0
		.amdhsa_reserve_flat_scratch 0
		.amdhsa_float_round_mode_32 0
		.amdhsa_float_round_mode_16_64 0
		.amdhsa_float_denorm_mode_32 3
		.amdhsa_float_denorm_mode_16_64 3
		.amdhsa_dx10_clamp 1
		.amdhsa_ieee_mode 1
		.amdhsa_fp16_overflow 0
		.amdhsa_tg_split 0
		.amdhsa_exception_fp_ieee_invalid_op 0
		.amdhsa_exception_fp_denorm_src 0
		.amdhsa_exception_fp_ieee_div_zero 0
		.amdhsa_exception_fp_ieee_overflow 0
		.amdhsa_exception_fp_ieee_underflow 0
		.amdhsa_exception_fp_ieee_inexact 0
		.amdhsa_exception_int_div_zero 0
	.end_amdhsa_kernel
	.section	.text._ZN7rocprim17ROCPRIM_400000_NS6detail17trampoline_kernelINS0_14default_configENS1_35adjacent_difference_config_selectorILb1ElEEZNS1_24adjacent_difference_implIS3_Lb1ELb0EPlS7_ZN2at6native12_GLOBAL__N_124unique_dim_cuda_templateIbEESt5tupleIJNS8_6TensorESD_SD_EERKSD_lbbbEUlllE1_EE10hipError_tPvRmT2_T3_mT4_P12ihipStream_tbEUlT_E_NS1_11comp_targetILNS1_3genE9ELNS1_11target_archE1100ELNS1_3gpuE3ELNS1_3repE0EEENS1_30default_config_static_selectorELNS0_4arch9wavefront6targetE1EEEvT1_,"axG",@progbits,_ZN7rocprim17ROCPRIM_400000_NS6detail17trampoline_kernelINS0_14default_configENS1_35adjacent_difference_config_selectorILb1ElEEZNS1_24adjacent_difference_implIS3_Lb1ELb0EPlS7_ZN2at6native12_GLOBAL__N_124unique_dim_cuda_templateIbEESt5tupleIJNS8_6TensorESD_SD_EERKSD_lbbbEUlllE1_EE10hipError_tPvRmT2_T3_mT4_P12ihipStream_tbEUlT_E_NS1_11comp_targetILNS1_3genE9ELNS1_11target_archE1100ELNS1_3gpuE3ELNS1_3repE0EEENS1_30default_config_static_selectorELNS0_4arch9wavefront6targetE1EEEvT1_,comdat
.Lfunc_end1049:
	.size	_ZN7rocprim17ROCPRIM_400000_NS6detail17trampoline_kernelINS0_14default_configENS1_35adjacent_difference_config_selectorILb1ElEEZNS1_24adjacent_difference_implIS3_Lb1ELb0EPlS7_ZN2at6native12_GLOBAL__N_124unique_dim_cuda_templateIbEESt5tupleIJNS8_6TensorESD_SD_EERKSD_lbbbEUlllE1_EE10hipError_tPvRmT2_T3_mT4_P12ihipStream_tbEUlT_E_NS1_11comp_targetILNS1_3genE9ELNS1_11target_archE1100ELNS1_3gpuE3ELNS1_3repE0EEENS1_30default_config_static_selectorELNS0_4arch9wavefront6targetE1EEEvT1_, .Lfunc_end1049-_ZN7rocprim17ROCPRIM_400000_NS6detail17trampoline_kernelINS0_14default_configENS1_35adjacent_difference_config_selectorILb1ElEEZNS1_24adjacent_difference_implIS3_Lb1ELb0EPlS7_ZN2at6native12_GLOBAL__N_124unique_dim_cuda_templateIbEESt5tupleIJNS8_6TensorESD_SD_EERKSD_lbbbEUlllE1_EE10hipError_tPvRmT2_T3_mT4_P12ihipStream_tbEUlT_E_NS1_11comp_targetILNS1_3genE9ELNS1_11target_archE1100ELNS1_3gpuE3ELNS1_3repE0EEENS1_30default_config_static_selectorELNS0_4arch9wavefront6targetE1EEEvT1_
                                        ; -- End function
	.section	.AMDGPU.csdata,"",@progbits
; Kernel info:
; codeLenInByte = 0
; NumSgprs: 4
; NumVgprs: 0
; NumAgprs: 0
; TotalNumVgprs: 0
; ScratchSize: 0
; MemoryBound: 0
; FloatMode: 240
; IeeeMode: 1
; LDSByteSize: 0 bytes/workgroup (compile time only)
; SGPRBlocks: 0
; VGPRBlocks: 0
; NumSGPRsForWavesPerEU: 4
; NumVGPRsForWavesPerEU: 1
; AccumOffset: 4
; Occupancy: 8
; WaveLimiterHint : 0
; COMPUTE_PGM_RSRC2:SCRATCH_EN: 0
; COMPUTE_PGM_RSRC2:USER_SGPR: 6
; COMPUTE_PGM_RSRC2:TRAP_HANDLER: 0
; COMPUTE_PGM_RSRC2:TGID_X_EN: 1
; COMPUTE_PGM_RSRC2:TGID_Y_EN: 0
; COMPUTE_PGM_RSRC2:TGID_Z_EN: 0
; COMPUTE_PGM_RSRC2:TIDIG_COMP_CNT: 0
; COMPUTE_PGM_RSRC3_GFX90A:ACCUM_OFFSET: 0
; COMPUTE_PGM_RSRC3_GFX90A:TG_SPLIT: 0
	.section	.text._ZN7rocprim17ROCPRIM_400000_NS6detail17trampoline_kernelINS0_14default_configENS1_35adjacent_difference_config_selectorILb1ElEEZNS1_24adjacent_difference_implIS3_Lb1ELb0EPlS7_ZN2at6native12_GLOBAL__N_124unique_dim_cuda_templateIbEESt5tupleIJNS8_6TensorESD_SD_EERKSD_lbbbEUlllE1_EE10hipError_tPvRmT2_T3_mT4_P12ihipStream_tbEUlT_E_NS1_11comp_targetILNS1_3genE8ELNS1_11target_archE1030ELNS1_3gpuE2ELNS1_3repE0EEENS1_30default_config_static_selectorELNS0_4arch9wavefront6targetE1EEEvT1_,"axG",@progbits,_ZN7rocprim17ROCPRIM_400000_NS6detail17trampoline_kernelINS0_14default_configENS1_35adjacent_difference_config_selectorILb1ElEEZNS1_24adjacent_difference_implIS3_Lb1ELb0EPlS7_ZN2at6native12_GLOBAL__N_124unique_dim_cuda_templateIbEESt5tupleIJNS8_6TensorESD_SD_EERKSD_lbbbEUlllE1_EE10hipError_tPvRmT2_T3_mT4_P12ihipStream_tbEUlT_E_NS1_11comp_targetILNS1_3genE8ELNS1_11target_archE1030ELNS1_3gpuE2ELNS1_3repE0EEENS1_30default_config_static_selectorELNS0_4arch9wavefront6targetE1EEEvT1_,comdat
	.globl	_ZN7rocprim17ROCPRIM_400000_NS6detail17trampoline_kernelINS0_14default_configENS1_35adjacent_difference_config_selectorILb1ElEEZNS1_24adjacent_difference_implIS3_Lb1ELb0EPlS7_ZN2at6native12_GLOBAL__N_124unique_dim_cuda_templateIbEESt5tupleIJNS8_6TensorESD_SD_EERKSD_lbbbEUlllE1_EE10hipError_tPvRmT2_T3_mT4_P12ihipStream_tbEUlT_E_NS1_11comp_targetILNS1_3genE8ELNS1_11target_archE1030ELNS1_3gpuE2ELNS1_3repE0EEENS1_30default_config_static_selectorELNS0_4arch9wavefront6targetE1EEEvT1_ ; -- Begin function _ZN7rocprim17ROCPRIM_400000_NS6detail17trampoline_kernelINS0_14default_configENS1_35adjacent_difference_config_selectorILb1ElEEZNS1_24adjacent_difference_implIS3_Lb1ELb0EPlS7_ZN2at6native12_GLOBAL__N_124unique_dim_cuda_templateIbEESt5tupleIJNS8_6TensorESD_SD_EERKSD_lbbbEUlllE1_EE10hipError_tPvRmT2_T3_mT4_P12ihipStream_tbEUlT_E_NS1_11comp_targetILNS1_3genE8ELNS1_11target_archE1030ELNS1_3gpuE2ELNS1_3repE0EEENS1_30default_config_static_selectorELNS0_4arch9wavefront6targetE1EEEvT1_
	.p2align	8
	.type	_ZN7rocprim17ROCPRIM_400000_NS6detail17trampoline_kernelINS0_14default_configENS1_35adjacent_difference_config_selectorILb1ElEEZNS1_24adjacent_difference_implIS3_Lb1ELb0EPlS7_ZN2at6native12_GLOBAL__N_124unique_dim_cuda_templateIbEESt5tupleIJNS8_6TensorESD_SD_EERKSD_lbbbEUlllE1_EE10hipError_tPvRmT2_T3_mT4_P12ihipStream_tbEUlT_E_NS1_11comp_targetILNS1_3genE8ELNS1_11target_archE1030ELNS1_3gpuE2ELNS1_3repE0EEENS1_30default_config_static_selectorELNS0_4arch9wavefront6targetE1EEEvT1_,@function
_ZN7rocprim17ROCPRIM_400000_NS6detail17trampoline_kernelINS0_14default_configENS1_35adjacent_difference_config_selectorILb1ElEEZNS1_24adjacent_difference_implIS3_Lb1ELb0EPlS7_ZN2at6native12_GLOBAL__N_124unique_dim_cuda_templateIbEESt5tupleIJNS8_6TensorESD_SD_EERKSD_lbbbEUlllE1_EE10hipError_tPvRmT2_T3_mT4_P12ihipStream_tbEUlT_E_NS1_11comp_targetILNS1_3genE8ELNS1_11target_archE1030ELNS1_3gpuE2ELNS1_3repE0EEENS1_30default_config_static_selectorELNS0_4arch9wavefront6targetE1EEEvT1_: ; @_ZN7rocprim17ROCPRIM_400000_NS6detail17trampoline_kernelINS0_14default_configENS1_35adjacent_difference_config_selectorILb1ElEEZNS1_24adjacent_difference_implIS3_Lb1ELb0EPlS7_ZN2at6native12_GLOBAL__N_124unique_dim_cuda_templateIbEESt5tupleIJNS8_6TensorESD_SD_EERKSD_lbbbEUlllE1_EE10hipError_tPvRmT2_T3_mT4_P12ihipStream_tbEUlT_E_NS1_11comp_targetILNS1_3genE8ELNS1_11target_archE1030ELNS1_3gpuE2ELNS1_3repE0EEENS1_30default_config_static_selectorELNS0_4arch9wavefront6targetE1EEEvT1_
; %bb.0:
	.section	.rodata,"a",@progbits
	.p2align	6, 0x0
	.amdhsa_kernel _ZN7rocprim17ROCPRIM_400000_NS6detail17trampoline_kernelINS0_14default_configENS1_35adjacent_difference_config_selectorILb1ElEEZNS1_24adjacent_difference_implIS3_Lb1ELb0EPlS7_ZN2at6native12_GLOBAL__N_124unique_dim_cuda_templateIbEESt5tupleIJNS8_6TensorESD_SD_EERKSD_lbbbEUlllE1_EE10hipError_tPvRmT2_T3_mT4_P12ihipStream_tbEUlT_E_NS1_11comp_targetILNS1_3genE8ELNS1_11target_archE1030ELNS1_3gpuE2ELNS1_3repE0EEENS1_30default_config_static_selectorELNS0_4arch9wavefront6targetE1EEEvT1_
		.amdhsa_group_segment_fixed_size 0
		.amdhsa_private_segment_fixed_size 0
		.amdhsa_kernarg_size 64
		.amdhsa_user_sgpr_count 6
		.amdhsa_user_sgpr_private_segment_buffer 1
		.amdhsa_user_sgpr_dispatch_ptr 0
		.amdhsa_user_sgpr_queue_ptr 0
		.amdhsa_user_sgpr_kernarg_segment_ptr 1
		.amdhsa_user_sgpr_dispatch_id 0
		.amdhsa_user_sgpr_flat_scratch_init 0
		.amdhsa_user_sgpr_kernarg_preload_length 0
		.amdhsa_user_sgpr_kernarg_preload_offset 0
		.amdhsa_user_sgpr_private_segment_size 0
		.amdhsa_uses_dynamic_stack 0
		.amdhsa_system_sgpr_private_segment_wavefront_offset 0
		.amdhsa_system_sgpr_workgroup_id_x 1
		.amdhsa_system_sgpr_workgroup_id_y 0
		.amdhsa_system_sgpr_workgroup_id_z 0
		.amdhsa_system_sgpr_workgroup_info 0
		.amdhsa_system_vgpr_workitem_id 0
		.amdhsa_next_free_vgpr 1
		.amdhsa_next_free_sgpr 0
		.amdhsa_accum_offset 4
		.amdhsa_reserve_vcc 0
		.amdhsa_reserve_flat_scratch 0
		.amdhsa_float_round_mode_32 0
		.amdhsa_float_round_mode_16_64 0
		.amdhsa_float_denorm_mode_32 3
		.amdhsa_float_denorm_mode_16_64 3
		.amdhsa_dx10_clamp 1
		.amdhsa_ieee_mode 1
		.amdhsa_fp16_overflow 0
		.amdhsa_tg_split 0
		.amdhsa_exception_fp_ieee_invalid_op 0
		.amdhsa_exception_fp_denorm_src 0
		.amdhsa_exception_fp_ieee_div_zero 0
		.amdhsa_exception_fp_ieee_overflow 0
		.amdhsa_exception_fp_ieee_underflow 0
		.amdhsa_exception_fp_ieee_inexact 0
		.amdhsa_exception_int_div_zero 0
	.end_amdhsa_kernel
	.section	.text._ZN7rocprim17ROCPRIM_400000_NS6detail17trampoline_kernelINS0_14default_configENS1_35adjacent_difference_config_selectorILb1ElEEZNS1_24adjacent_difference_implIS3_Lb1ELb0EPlS7_ZN2at6native12_GLOBAL__N_124unique_dim_cuda_templateIbEESt5tupleIJNS8_6TensorESD_SD_EERKSD_lbbbEUlllE1_EE10hipError_tPvRmT2_T3_mT4_P12ihipStream_tbEUlT_E_NS1_11comp_targetILNS1_3genE8ELNS1_11target_archE1030ELNS1_3gpuE2ELNS1_3repE0EEENS1_30default_config_static_selectorELNS0_4arch9wavefront6targetE1EEEvT1_,"axG",@progbits,_ZN7rocprim17ROCPRIM_400000_NS6detail17trampoline_kernelINS0_14default_configENS1_35adjacent_difference_config_selectorILb1ElEEZNS1_24adjacent_difference_implIS3_Lb1ELb0EPlS7_ZN2at6native12_GLOBAL__N_124unique_dim_cuda_templateIbEESt5tupleIJNS8_6TensorESD_SD_EERKSD_lbbbEUlllE1_EE10hipError_tPvRmT2_T3_mT4_P12ihipStream_tbEUlT_E_NS1_11comp_targetILNS1_3genE8ELNS1_11target_archE1030ELNS1_3gpuE2ELNS1_3repE0EEENS1_30default_config_static_selectorELNS0_4arch9wavefront6targetE1EEEvT1_,comdat
.Lfunc_end1050:
	.size	_ZN7rocprim17ROCPRIM_400000_NS6detail17trampoline_kernelINS0_14default_configENS1_35adjacent_difference_config_selectorILb1ElEEZNS1_24adjacent_difference_implIS3_Lb1ELb0EPlS7_ZN2at6native12_GLOBAL__N_124unique_dim_cuda_templateIbEESt5tupleIJNS8_6TensorESD_SD_EERKSD_lbbbEUlllE1_EE10hipError_tPvRmT2_T3_mT4_P12ihipStream_tbEUlT_E_NS1_11comp_targetILNS1_3genE8ELNS1_11target_archE1030ELNS1_3gpuE2ELNS1_3repE0EEENS1_30default_config_static_selectorELNS0_4arch9wavefront6targetE1EEEvT1_, .Lfunc_end1050-_ZN7rocprim17ROCPRIM_400000_NS6detail17trampoline_kernelINS0_14default_configENS1_35adjacent_difference_config_selectorILb1ElEEZNS1_24adjacent_difference_implIS3_Lb1ELb0EPlS7_ZN2at6native12_GLOBAL__N_124unique_dim_cuda_templateIbEESt5tupleIJNS8_6TensorESD_SD_EERKSD_lbbbEUlllE1_EE10hipError_tPvRmT2_T3_mT4_P12ihipStream_tbEUlT_E_NS1_11comp_targetILNS1_3genE8ELNS1_11target_archE1030ELNS1_3gpuE2ELNS1_3repE0EEENS1_30default_config_static_selectorELNS0_4arch9wavefront6targetE1EEEvT1_
                                        ; -- End function
	.section	.AMDGPU.csdata,"",@progbits
; Kernel info:
; codeLenInByte = 0
; NumSgprs: 4
; NumVgprs: 0
; NumAgprs: 0
; TotalNumVgprs: 0
; ScratchSize: 0
; MemoryBound: 0
; FloatMode: 240
; IeeeMode: 1
; LDSByteSize: 0 bytes/workgroup (compile time only)
; SGPRBlocks: 0
; VGPRBlocks: 0
; NumSGPRsForWavesPerEU: 4
; NumVGPRsForWavesPerEU: 1
; AccumOffset: 4
; Occupancy: 8
; WaveLimiterHint : 0
; COMPUTE_PGM_RSRC2:SCRATCH_EN: 0
; COMPUTE_PGM_RSRC2:USER_SGPR: 6
; COMPUTE_PGM_RSRC2:TRAP_HANDLER: 0
; COMPUTE_PGM_RSRC2:TGID_X_EN: 1
; COMPUTE_PGM_RSRC2:TGID_Y_EN: 0
; COMPUTE_PGM_RSRC2:TGID_Z_EN: 0
; COMPUTE_PGM_RSRC2:TIDIG_COMP_CNT: 0
; COMPUTE_PGM_RSRC3_GFX90A:ACCUM_OFFSET: 0
; COMPUTE_PGM_RSRC3_GFX90A:TG_SPLIT: 0
	.section	.text._ZN7rocprim17ROCPRIM_400000_NS6detail17trampoline_kernelINS0_14default_configENS1_25partition_config_selectorILNS1_17partition_subalgoE8ElNS0_10empty_typeEbEEZZNS1_14partition_implILS5_8ELb0ES3_jPlPS6_PKS6_NS0_5tupleIJS9_S6_EEENSD_IJSA_SA_EEENS0_18inequality_wrapperIZN2at6native12_GLOBAL__N_124unique_dim_cuda_templateIbEESt5tupleIJNSH_6TensorESM_SM_EERKSM_lbbbEUlllE0_EEPmJS6_EEE10hipError_tPvRmT3_T4_T5_T6_T7_T9_mT8_P12ihipStream_tbDpT10_ENKUlT_T0_E_clISt17integral_constantIbLb0EES1C_EEDaS17_S18_EUlS17_E_NS1_11comp_targetILNS1_3genE0ELNS1_11target_archE4294967295ELNS1_3gpuE0ELNS1_3repE0EEENS1_30default_config_static_selectorELNS0_4arch9wavefront6targetE1EEEvT1_,"axG",@progbits,_ZN7rocprim17ROCPRIM_400000_NS6detail17trampoline_kernelINS0_14default_configENS1_25partition_config_selectorILNS1_17partition_subalgoE8ElNS0_10empty_typeEbEEZZNS1_14partition_implILS5_8ELb0ES3_jPlPS6_PKS6_NS0_5tupleIJS9_S6_EEENSD_IJSA_SA_EEENS0_18inequality_wrapperIZN2at6native12_GLOBAL__N_124unique_dim_cuda_templateIbEESt5tupleIJNSH_6TensorESM_SM_EERKSM_lbbbEUlllE0_EEPmJS6_EEE10hipError_tPvRmT3_T4_T5_T6_T7_T9_mT8_P12ihipStream_tbDpT10_ENKUlT_T0_E_clISt17integral_constantIbLb0EES1C_EEDaS17_S18_EUlS17_E_NS1_11comp_targetILNS1_3genE0ELNS1_11target_archE4294967295ELNS1_3gpuE0ELNS1_3repE0EEENS1_30default_config_static_selectorELNS0_4arch9wavefront6targetE1EEEvT1_,comdat
	.globl	_ZN7rocprim17ROCPRIM_400000_NS6detail17trampoline_kernelINS0_14default_configENS1_25partition_config_selectorILNS1_17partition_subalgoE8ElNS0_10empty_typeEbEEZZNS1_14partition_implILS5_8ELb0ES3_jPlPS6_PKS6_NS0_5tupleIJS9_S6_EEENSD_IJSA_SA_EEENS0_18inequality_wrapperIZN2at6native12_GLOBAL__N_124unique_dim_cuda_templateIbEESt5tupleIJNSH_6TensorESM_SM_EERKSM_lbbbEUlllE0_EEPmJS6_EEE10hipError_tPvRmT3_T4_T5_T6_T7_T9_mT8_P12ihipStream_tbDpT10_ENKUlT_T0_E_clISt17integral_constantIbLb0EES1C_EEDaS17_S18_EUlS17_E_NS1_11comp_targetILNS1_3genE0ELNS1_11target_archE4294967295ELNS1_3gpuE0ELNS1_3repE0EEENS1_30default_config_static_selectorELNS0_4arch9wavefront6targetE1EEEvT1_ ; -- Begin function _ZN7rocprim17ROCPRIM_400000_NS6detail17trampoline_kernelINS0_14default_configENS1_25partition_config_selectorILNS1_17partition_subalgoE8ElNS0_10empty_typeEbEEZZNS1_14partition_implILS5_8ELb0ES3_jPlPS6_PKS6_NS0_5tupleIJS9_S6_EEENSD_IJSA_SA_EEENS0_18inequality_wrapperIZN2at6native12_GLOBAL__N_124unique_dim_cuda_templateIbEESt5tupleIJNSH_6TensorESM_SM_EERKSM_lbbbEUlllE0_EEPmJS6_EEE10hipError_tPvRmT3_T4_T5_T6_T7_T9_mT8_P12ihipStream_tbDpT10_ENKUlT_T0_E_clISt17integral_constantIbLb0EES1C_EEDaS17_S18_EUlS17_E_NS1_11comp_targetILNS1_3genE0ELNS1_11target_archE4294967295ELNS1_3gpuE0ELNS1_3repE0EEENS1_30default_config_static_selectorELNS0_4arch9wavefront6targetE1EEEvT1_
	.p2align	8
	.type	_ZN7rocprim17ROCPRIM_400000_NS6detail17trampoline_kernelINS0_14default_configENS1_25partition_config_selectorILNS1_17partition_subalgoE8ElNS0_10empty_typeEbEEZZNS1_14partition_implILS5_8ELb0ES3_jPlPS6_PKS6_NS0_5tupleIJS9_S6_EEENSD_IJSA_SA_EEENS0_18inequality_wrapperIZN2at6native12_GLOBAL__N_124unique_dim_cuda_templateIbEESt5tupleIJNSH_6TensorESM_SM_EERKSM_lbbbEUlllE0_EEPmJS6_EEE10hipError_tPvRmT3_T4_T5_T6_T7_T9_mT8_P12ihipStream_tbDpT10_ENKUlT_T0_E_clISt17integral_constantIbLb0EES1C_EEDaS17_S18_EUlS17_E_NS1_11comp_targetILNS1_3genE0ELNS1_11target_archE4294967295ELNS1_3gpuE0ELNS1_3repE0EEENS1_30default_config_static_selectorELNS0_4arch9wavefront6targetE1EEEvT1_,@function
_ZN7rocprim17ROCPRIM_400000_NS6detail17trampoline_kernelINS0_14default_configENS1_25partition_config_selectorILNS1_17partition_subalgoE8ElNS0_10empty_typeEbEEZZNS1_14partition_implILS5_8ELb0ES3_jPlPS6_PKS6_NS0_5tupleIJS9_S6_EEENSD_IJSA_SA_EEENS0_18inequality_wrapperIZN2at6native12_GLOBAL__N_124unique_dim_cuda_templateIbEESt5tupleIJNSH_6TensorESM_SM_EERKSM_lbbbEUlllE0_EEPmJS6_EEE10hipError_tPvRmT3_T4_T5_T6_T7_T9_mT8_P12ihipStream_tbDpT10_ENKUlT_T0_E_clISt17integral_constantIbLb0EES1C_EEDaS17_S18_EUlS17_E_NS1_11comp_targetILNS1_3genE0ELNS1_11target_archE4294967295ELNS1_3gpuE0ELNS1_3repE0EEENS1_30default_config_static_selectorELNS0_4arch9wavefront6targetE1EEEvT1_: ; @_ZN7rocprim17ROCPRIM_400000_NS6detail17trampoline_kernelINS0_14default_configENS1_25partition_config_selectorILNS1_17partition_subalgoE8ElNS0_10empty_typeEbEEZZNS1_14partition_implILS5_8ELb0ES3_jPlPS6_PKS6_NS0_5tupleIJS9_S6_EEENSD_IJSA_SA_EEENS0_18inequality_wrapperIZN2at6native12_GLOBAL__N_124unique_dim_cuda_templateIbEESt5tupleIJNSH_6TensorESM_SM_EERKSM_lbbbEUlllE0_EEPmJS6_EEE10hipError_tPvRmT3_T4_T5_T6_T7_T9_mT8_P12ihipStream_tbDpT10_ENKUlT_T0_E_clISt17integral_constantIbLb0EES1C_EEDaS17_S18_EUlS17_E_NS1_11comp_targetILNS1_3genE0ELNS1_11target_archE4294967295ELNS1_3gpuE0ELNS1_3repE0EEENS1_30default_config_static_selectorELNS0_4arch9wavefront6targetE1EEEvT1_
; %bb.0:
	.section	.rodata,"a",@progbits
	.p2align	6, 0x0
	.amdhsa_kernel _ZN7rocprim17ROCPRIM_400000_NS6detail17trampoline_kernelINS0_14default_configENS1_25partition_config_selectorILNS1_17partition_subalgoE8ElNS0_10empty_typeEbEEZZNS1_14partition_implILS5_8ELb0ES3_jPlPS6_PKS6_NS0_5tupleIJS9_S6_EEENSD_IJSA_SA_EEENS0_18inequality_wrapperIZN2at6native12_GLOBAL__N_124unique_dim_cuda_templateIbEESt5tupleIJNSH_6TensorESM_SM_EERKSM_lbbbEUlllE0_EEPmJS6_EEE10hipError_tPvRmT3_T4_T5_T6_T7_T9_mT8_P12ihipStream_tbDpT10_ENKUlT_T0_E_clISt17integral_constantIbLb0EES1C_EEDaS17_S18_EUlS17_E_NS1_11comp_targetILNS1_3genE0ELNS1_11target_archE4294967295ELNS1_3gpuE0ELNS1_3repE0EEENS1_30default_config_static_selectorELNS0_4arch9wavefront6targetE1EEEvT1_
		.amdhsa_group_segment_fixed_size 0
		.amdhsa_private_segment_fixed_size 0
		.amdhsa_kernarg_size 120
		.amdhsa_user_sgpr_count 6
		.amdhsa_user_sgpr_private_segment_buffer 1
		.amdhsa_user_sgpr_dispatch_ptr 0
		.amdhsa_user_sgpr_queue_ptr 0
		.amdhsa_user_sgpr_kernarg_segment_ptr 1
		.amdhsa_user_sgpr_dispatch_id 0
		.amdhsa_user_sgpr_flat_scratch_init 0
		.amdhsa_user_sgpr_kernarg_preload_length 0
		.amdhsa_user_sgpr_kernarg_preload_offset 0
		.amdhsa_user_sgpr_private_segment_size 0
		.amdhsa_uses_dynamic_stack 0
		.amdhsa_system_sgpr_private_segment_wavefront_offset 0
		.amdhsa_system_sgpr_workgroup_id_x 1
		.amdhsa_system_sgpr_workgroup_id_y 0
		.amdhsa_system_sgpr_workgroup_id_z 0
		.amdhsa_system_sgpr_workgroup_info 0
		.amdhsa_system_vgpr_workitem_id 0
		.amdhsa_next_free_vgpr 1
		.amdhsa_next_free_sgpr 0
		.amdhsa_accum_offset 4
		.amdhsa_reserve_vcc 0
		.amdhsa_reserve_flat_scratch 0
		.amdhsa_float_round_mode_32 0
		.amdhsa_float_round_mode_16_64 0
		.amdhsa_float_denorm_mode_32 3
		.amdhsa_float_denorm_mode_16_64 3
		.amdhsa_dx10_clamp 1
		.amdhsa_ieee_mode 1
		.amdhsa_fp16_overflow 0
		.amdhsa_tg_split 0
		.amdhsa_exception_fp_ieee_invalid_op 0
		.amdhsa_exception_fp_denorm_src 0
		.amdhsa_exception_fp_ieee_div_zero 0
		.amdhsa_exception_fp_ieee_overflow 0
		.amdhsa_exception_fp_ieee_underflow 0
		.amdhsa_exception_fp_ieee_inexact 0
		.amdhsa_exception_int_div_zero 0
	.end_amdhsa_kernel
	.section	.text._ZN7rocprim17ROCPRIM_400000_NS6detail17trampoline_kernelINS0_14default_configENS1_25partition_config_selectorILNS1_17partition_subalgoE8ElNS0_10empty_typeEbEEZZNS1_14partition_implILS5_8ELb0ES3_jPlPS6_PKS6_NS0_5tupleIJS9_S6_EEENSD_IJSA_SA_EEENS0_18inequality_wrapperIZN2at6native12_GLOBAL__N_124unique_dim_cuda_templateIbEESt5tupleIJNSH_6TensorESM_SM_EERKSM_lbbbEUlllE0_EEPmJS6_EEE10hipError_tPvRmT3_T4_T5_T6_T7_T9_mT8_P12ihipStream_tbDpT10_ENKUlT_T0_E_clISt17integral_constantIbLb0EES1C_EEDaS17_S18_EUlS17_E_NS1_11comp_targetILNS1_3genE0ELNS1_11target_archE4294967295ELNS1_3gpuE0ELNS1_3repE0EEENS1_30default_config_static_selectorELNS0_4arch9wavefront6targetE1EEEvT1_,"axG",@progbits,_ZN7rocprim17ROCPRIM_400000_NS6detail17trampoline_kernelINS0_14default_configENS1_25partition_config_selectorILNS1_17partition_subalgoE8ElNS0_10empty_typeEbEEZZNS1_14partition_implILS5_8ELb0ES3_jPlPS6_PKS6_NS0_5tupleIJS9_S6_EEENSD_IJSA_SA_EEENS0_18inequality_wrapperIZN2at6native12_GLOBAL__N_124unique_dim_cuda_templateIbEESt5tupleIJNSH_6TensorESM_SM_EERKSM_lbbbEUlllE0_EEPmJS6_EEE10hipError_tPvRmT3_T4_T5_T6_T7_T9_mT8_P12ihipStream_tbDpT10_ENKUlT_T0_E_clISt17integral_constantIbLb0EES1C_EEDaS17_S18_EUlS17_E_NS1_11comp_targetILNS1_3genE0ELNS1_11target_archE4294967295ELNS1_3gpuE0ELNS1_3repE0EEENS1_30default_config_static_selectorELNS0_4arch9wavefront6targetE1EEEvT1_,comdat
.Lfunc_end1051:
	.size	_ZN7rocprim17ROCPRIM_400000_NS6detail17trampoline_kernelINS0_14default_configENS1_25partition_config_selectorILNS1_17partition_subalgoE8ElNS0_10empty_typeEbEEZZNS1_14partition_implILS5_8ELb0ES3_jPlPS6_PKS6_NS0_5tupleIJS9_S6_EEENSD_IJSA_SA_EEENS0_18inequality_wrapperIZN2at6native12_GLOBAL__N_124unique_dim_cuda_templateIbEESt5tupleIJNSH_6TensorESM_SM_EERKSM_lbbbEUlllE0_EEPmJS6_EEE10hipError_tPvRmT3_T4_T5_T6_T7_T9_mT8_P12ihipStream_tbDpT10_ENKUlT_T0_E_clISt17integral_constantIbLb0EES1C_EEDaS17_S18_EUlS17_E_NS1_11comp_targetILNS1_3genE0ELNS1_11target_archE4294967295ELNS1_3gpuE0ELNS1_3repE0EEENS1_30default_config_static_selectorELNS0_4arch9wavefront6targetE1EEEvT1_, .Lfunc_end1051-_ZN7rocprim17ROCPRIM_400000_NS6detail17trampoline_kernelINS0_14default_configENS1_25partition_config_selectorILNS1_17partition_subalgoE8ElNS0_10empty_typeEbEEZZNS1_14partition_implILS5_8ELb0ES3_jPlPS6_PKS6_NS0_5tupleIJS9_S6_EEENSD_IJSA_SA_EEENS0_18inequality_wrapperIZN2at6native12_GLOBAL__N_124unique_dim_cuda_templateIbEESt5tupleIJNSH_6TensorESM_SM_EERKSM_lbbbEUlllE0_EEPmJS6_EEE10hipError_tPvRmT3_T4_T5_T6_T7_T9_mT8_P12ihipStream_tbDpT10_ENKUlT_T0_E_clISt17integral_constantIbLb0EES1C_EEDaS17_S18_EUlS17_E_NS1_11comp_targetILNS1_3genE0ELNS1_11target_archE4294967295ELNS1_3gpuE0ELNS1_3repE0EEENS1_30default_config_static_selectorELNS0_4arch9wavefront6targetE1EEEvT1_
                                        ; -- End function
	.section	.AMDGPU.csdata,"",@progbits
; Kernel info:
; codeLenInByte = 0
; NumSgprs: 4
; NumVgprs: 0
; NumAgprs: 0
; TotalNumVgprs: 0
; ScratchSize: 0
; MemoryBound: 0
; FloatMode: 240
; IeeeMode: 1
; LDSByteSize: 0 bytes/workgroup (compile time only)
; SGPRBlocks: 0
; VGPRBlocks: 0
; NumSGPRsForWavesPerEU: 4
; NumVGPRsForWavesPerEU: 1
; AccumOffset: 4
; Occupancy: 8
; WaveLimiterHint : 0
; COMPUTE_PGM_RSRC2:SCRATCH_EN: 0
; COMPUTE_PGM_RSRC2:USER_SGPR: 6
; COMPUTE_PGM_RSRC2:TRAP_HANDLER: 0
; COMPUTE_PGM_RSRC2:TGID_X_EN: 1
; COMPUTE_PGM_RSRC2:TGID_Y_EN: 0
; COMPUTE_PGM_RSRC2:TGID_Z_EN: 0
; COMPUTE_PGM_RSRC2:TIDIG_COMP_CNT: 0
; COMPUTE_PGM_RSRC3_GFX90A:ACCUM_OFFSET: 0
; COMPUTE_PGM_RSRC3_GFX90A:TG_SPLIT: 0
	.section	.text._ZN7rocprim17ROCPRIM_400000_NS6detail17trampoline_kernelINS0_14default_configENS1_25partition_config_selectorILNS1_17partition_subalgoE8ElNS0_10empty_typeEbEEZZNS1_14partition_implILS5_8ELb0ES3_jPlPS6_PKS6_NS0_5tupleIJS9_S6_EEENSD_IJSA_SA_EEENS0_18inequality_wrapperIZN2at6native12_GLOBAL__N_124unique_dim_cuda_templateIbEESt5tupleIJNSH_6TensorESM_SM_EERKSM_lbbbEUlllE0_EEPmJS6_EEE10hipError_tPvRmT3_T4_T5_T6_T7_T9_mT8_P12ihipStream_tbDpT10_ENKUlT_T0_E_clISt17integral_constantIbLb0EES1C_EEDaS17_S18_EUlS17_E_NS1_11comp_targetILNS1_3genE5ELNS1_11target_archE942ELNS1_3gpuE9ELNS1_3repE0EEENS1_30default_config_static_selectorELNS0_4arch9wavefront6targetE1EEEvT1_,"axG",@progbits,_ZN7rocprim17ROCPRIM_400000_NS6detail17trampoline_kernelINS0_14default_configENS1_25partition_config_selectorILNS1_17partition_subalgoE8ElNS0_10empty_typeEbEEZZNS1_14partition_implILS5_8ELb0ES3_jPlPS6_PKS6_NS0_5tupleIJS9_S6_EEENSD_IJSA_SA_EEENS0_18inequality_wrapperIZN2at6native12_GLOBAL__N_124unique_dim_cuda_templateIbEESt5tupleIJNSH_6TensorESM_SM_EERKSM_lbbbEUlllE0_EEPmJS6_EEE10hipError_tPvRmT3_T4_T5_T6_T7_T9_mT8_P12ihipStream_tbDpT10_ENKUlT_T0_E_clISt17integral_constantIbLb0EES1C_EEDaS17_S18_EUlS17_E_NS1_11comp_targetILNS1_3genE5ELNS1_11target_archE942ELNS1_3gpuE9ELNS1_3repE0EEENS1_30default_config_static_selectorELNS0_4arch9wavefront6targetE1EEEvT1_,comdat
	.globl	_ZN7rocprim17ROCPRIM_400000_NS6detail17trampoline_kernelINS0_14default_configENS1_25partition_config_selectorILNS1_17partition_subalgoE8ElNS0_10empty_typeEbEEZZNS1_14partition_implILS5_8ELb0ES3_jPlPS6_PKS6_NS0_5tupleIJS9_S6_EEENSD_IJSA_SA_EEENS0_18inequality_wrapperIZN2at6native12_GLOBAL__N_124unique_dim_cuda_templateIbEESt5tupleIJNSH_6TensorESM_SM_EERKSM_lbbbEUlllE0_EEPmJS6_EEE10hipError_tPvRmT3_T4_T5_T6_T7_T9_mT8_P12ihipStream_tbDpT10_ENKUlT_T0_E_clISt17integral_constantIbLb0EES1C_EEDaS17_S18_EUlS17_E_NS1_11comp_targetILNS1_3genE5ELNS1_11target_archE942ELNS1_3gpuE9ELNS1_3repE0EEENS1_30default_config_static_selectorELNS0_4arch9wavefront6targetE1EEEvT1_ ; -- Begin function _ZN7rocprim17ROCPRIM_400000_NS6detail17trampoline_kernelINS0_14default_configENS1_25partition_config_selectorILNS1_17partition_subalgoE8ElNS0_10empty_typeEbEEZZNS1_14partition_implILS5_8ELb0ES3_jPlPS6_PKS6_NS0_5tupleIJS9_S6_EEENSD_IJSA_SA_EEENS0_18inequality_wrapperIZN2at6native12_GLOBAL__N_124unique_dim_cuda_templateIbEESt5tupleIJNSH_6TensorESM_SM_EERKSM_lbbbEUlllE0_EEPmJS6_EEE10hipError_tPvRmT3_T4_T5_T6_T7_T9_mT8_P12ihipStream_tbDpT10_ENKUlT_T0_E_clISt17integral_constantIbLb0EES1C_EEDaS17_S18_EUlS17_E_NS1_11comp_targetILNS1_3genE5ELNS1_11target_archE942ELNS1_3gpuE9ELNS1_3repE0EEENS1_30default_config_static_selectorELNS0_4arch9wavefront6targetE1EEEvT1_
	.p2align	8
	.type	_ZN7rocprim17ROCPRIM_400000_NS6detail17trampoline_kernelINS0_14default_configENS1_25partition_config_selectorILNS1_17partition_subalgoE8ElNS0_10empty_typeEbEEZZNS1_14partition_implILS5_8ELb0ES3_jPlPS6_PKS6_NS0_5tupleIJS9_S6_EEENSD_IJSA_SA_EEENS0_18inequality_wrapperIZN2at6native12_GLOBAL__N_124unique_dim_cuda_templateIbEESt5tupleIJNSH_6TensorESM_SM_EERKSM_lbbbEUlllE0_EEPmJS6_EEE10hipError_tPvRmT3_T4_T5_T6_T7_T9_mT8_P12ihipStream_tbDpT10_ENKUlT_T0_E_clISt17integral_constantIbLb0EES1C_EEDaS17_S18_EUlS17_E_NS1_11comp_targetILNS1_3genE5ELNS1_11target_archE942ELNS1_3gpuE9ELNS1_3repE0EEENS1_30default_config_static_selectorELNS0_4arch9wavefront6targetE1EEEvT1_,@function
_ZN7rocprim17ROCPRIM_400000_NS6detail17trampoline_kernelINS0_14default_configENS1_25partition_config_selectorILNS1_17partition_subalgoE8ElNS0_10empty_typeEbEEZZNS1_14partition_implILS5_8ELb0ES3_jPlPS6_PKS6_NS0_5tupleIJS9_S6_EEENSD_IJSA_SA_EEENS0_18inequality_wrapperIZN2at6native12_GLOBAL__N_124unique_dim_cuda_templateIbEESt5tupleIJNSH_6TensorESM_SM_EERKSM_lbbbEUlllE0_EEPmJS6_EEE10hipError_tPvRmT3_T4_T5_T6_T7_T9_mT8_P12ihipStream_tbDpT10_ENKUlT_T0_E_clISt17integral_constantIbLb0EES1C_EEDaS17_S18_EUlS17_E_NS1_11comp_targetILNS1_3genE5ELNS1_11target_archE942ELNS1_3gpuE9ELNS1_3repE0EEENS1_30default_config_static_selectorELNS0_4arch9wavefront6targetE1EEEvT1_: ; @_ZN7rocprim17ROCPRIM_400000_NS6detail17trampoline_kernelINS0_14default_configENS1_25partition_config_selectorILNS1_17partition_subalgoE8ElNS0_10empty_typeEbEEZZNS1_14partition_implILS5_8ELb0ES3_jPlPS6_PKS6_NS0_5tupleIJS9_S6_EEENSD_IJSA_SA_EEENS0_18inequality_wrapperIZN2at6native12_GLOBAL__N_124unique_dim_cuda_templateIbEESt5tupleIJNSH_6TensorESM_SM_EERKSM_lbbbEUlllE0_EEPmJS6_EEE10hipError_tPvRmT3_T4_T5_T6_T7_T9_mT8_P12ihipStream_tbDpT10_ENKUlT_T0_E_clISt17integral_constantIbLb0EES1C_EEDaS17_S18_EUlS17_E_NS1_11comp_targetILNS1_3genE5ELNS1_11target_archE942ELNS1_3gpuE9ELNS1_3repE0EEENS1_30default_config_static_selectorELNS0_4arch9wavefront6targetE1EEEvT1_
; %bb.0:
	.section	.rodata,"a",@progbits
	.p2align	6, 0x0
	.amdhsa_kernel _ZN7rocprim17ROCPRIM_400000_NS6detail17trampoline_kernelINS0_14default_configENS1_25partition_config_selectorILNS1_17partition_subalgoE8ElNS0_10empty_typeEbEEZZNS1_14partition_implILS5_8ELb0ES3_jPlPS6_PKS6_NS0_5tupleIJS9_S6_EEENSD_IJSA_SA_EEENS0_18inequality_wrapperIZN2at6native12_GLOBAL__N_124unique_dim_cuda_templateIbEESt5tupleIJNSH_6TensorESM_SM_EERKSM_lbbbEUlllE0_EEPmJS6_EEE10hipError_tPvRmT3_T4_T5_T6_T7_T9_mT8_P12ihipStream_tbDpT10_ENKUlT_T0_E_clISt17integral_constantIbLb0EES1C_EEDaS17_S18_EUlS17_E_NS1_11comp_targetILNS1_3genE5ELNS1_11target_archE942ELNS1_3gpuE9ELNS1_3repE0EEENS1_30default_config_static_selectorELNS0_4arch9wavefront6targetE1EEEvT1_
		.amdhsa_group_segment_fixed_size 0
		.amdhsa_private_segment_fixed_size 0
		.amdhsa_kernarg_size 120
		.amdhsa_user_sgpr_count 6
		.amdhsa_user_sgpr_private_segment_buffer 1
		.amdhsa_user_sgpr_dispatch_ptr 0
		.amdhsa_user_sgpr_queue_ptr 0
		.amdhsa_user_sgpr_kernarg_segment_ptr 1
		.amdhsa_user_sgpr_dispatch_id 0
		.amdhsa_user_sgpr_flat_scratch_init 0
		.amdhsa_user_sgpr_kernarg_preload_length 0
		.amdhsa_user_sgpr_kernarg_preload_offset 0
		.amdhsa_user_sgpr_private_segment_size 0
		.amdhsa_uses_dynamic_stack 0
		.amdhsa_system_sgpr_private_segment_wavefront_offset 0
		.amdhsa_system_sgpr_workgroup_id_x 1
		.amdhsa_system_sgpr_workgroup_id_y 0
		.amdhsa_system_sgpr_workgroup_id_z 0
		.amdhsa_system_sgpr_workgroup_info 0
		.amdhsa_system_vgpr_workitem_id 0
		.amdhsa_next_free_vgpr 1
		.amdhsa_next_free_sgpr 0
		.amdhsa_accum_offset 4
		.amdhsa_reserve_vcc 0
		.amdhsa_reserve_flat_scratch 0
		.amdhsa_float_round_mode_32 0
		.amdhsa_float_round_mode_16_64 0
		.amdhsa_float_denorm_mode_32 3
		.amdhsa_float_denorm_mode_16_64 3
		.amdhsa_dx10_clamp 1
		.amdhsa_ieee_mode 1
		.amdhsa_fp16_overflow 0
		.amdhsa_tg_split 0
		.amdhsa_exception_fp_ieee_invalid_op 0
		.amdhsa_exception_fp_denorm_src 0
		.amdhsa_exception_fp_ieee_div_zero 0
		.amdhsa_exception_fp_ieee_overflow 0
		.amdhsa_exception_fp_ieee_underflow 0
		.amdhsa_exception_fp_ieee_inexact 0
		.amdhsa_exception_int_div_zero 0
	.end_amdhsa_kernel
	.section	.text._ZN7rocprim17ROCPRIM_400000_NS6detail17trampoline_kernelINS0_14default_configENS1_25partition_config_selectorILNS1_17partition_subalgoE8ElNS0_10empty_typeEbEEZZNS1_14partition_implILS5_8ELb0ES3_jPlPS6_PKS6_NS0_5tupleIJS9_S6_EEENSD_IJSA_SA_EEENS0_18inequality_wrapperIZN2at6native12_GLOBAL__N_124unique_dim_cuda_templateIbEESt5tupleIJNSH_6TensorESM_SM_EERKSM_lbbbEUlllE0_EEPmJS6_EEE10hipError_tPvRmT3_T4_T5_T6_T7_T9_mT8_P12ihipStream_tbDpT10_ENKUlT_T0_E_clISt17integral_constantIbLb0EES1C_EEDaS17_S18_EUlS17_E_NS1_11comp_targetILNS1_3genE5ELNS1_11target_archE942ELNS1_3gpuE9ELNS1_3repE0EEENS1_30default_config_static_selectorELNS0_4arch9wavefront6targetE1EEEvT1_,"axG",@progbits,_ZN7rocprim17ROCPRIM_400000_NS6detail17trampoline_kernelINS0_14default_configENS1_25partition_config_selectorILNS1_17partition_subalgoE8ElNS0_10empty_typeEbEEZZNS1_14partition_implILS5_8ELb0ES3_jPlPS6_PKS6_NS0_5tupleIJS9_S6_EEENSD_IJSA_SA_EEENS0_18inequality_wrapperIZN2at6native12_GLOBAL__N_124unique_dim_cuda_templateIbEESt5tupleIJNSH_6TensorESM_SM_EERKSM_lbbbEUlllE0_EEPmJS6_EEE10hipError_tPvRmT3_T4_T5_T6_T7_T9_mT8_P12ihipStream_tbDpT10_ENKUlT_T0_E_clISt17integral_constantIbLb0EES1C_EEDaS17_S18_EUlS17_E_NS1_11comp_targetILNS1_3genE5ELNS1_11target_archE942ELNS1_3gpuE9ELNS1_3repE0EEENS1_30default_config_static_selectorELNS0_4arch9wavefront6targetE1EEEvT1_,comdat
.Lfunc_end1052:
	.size	_ZN7rocprim17ROCPRIM_400000_NS6detail17trampoline_kernelINS0_14default_configENS1_25partition_config_selectorILNS1_17partition_subalgoE8ElNS0_10empty_typeEbEEZZNS1_14partition_implILS5_8ELb0ES3_jPlPS6_PKS6_NS0_5tupleIJS9_S6_EEENSD_IJSA_SA_EEENS0_18inequality_wrapperIZN2at6native12_GLOBAL__N_124unique_dim_cuda_templateIbEESt5tupleIJNSH_6TensorESM_SM_EERKSM_lbbbEUlllE0_EEPmJS6_EEE10hipError_tPvRmT3_T4_T5_T6_T7_T9_mT8_P12ihipStream_tbDpT10_ENKUlT_T0_E_clISt17integral_constantIbLb0EES1C_EEDaS17_S18_EUlS17_E_NS1_11comp_targetILNS1_3genE5ELNS1_11target_archE942ELNS1_3gpuE9ELNS1_3repE0EEENS1_30default_config_static_selectorELNS0_4arch9wavefront6targetE1EEEvT1_, .Lfunc_end1052-_ZN7rocprim17ROCPRIM_400000_NS6detail17trampoline_kernelINS0_14default_configENS1_25partition_config_selectorILNS1_17partition_subalgoE8ElNS0_10empty_typeEbEEZZNS1_14partition_implILS5_8ELb0ES3_jPlPS6_PKS6_NS0_5tupleIJS9_S6_EEENSD_IJSA_SA_EEENS0_18inequality_wrapperIZN2at6native12_GLOBAL__N_124unique_dim_cuda_templateIbEESt5tupleIJNSH_6TensorESM_SM_EERKSM_lbbbEUlllE0_EEPmJS6_EEE10hipError_tPvRmT3_T4_T5_T6_T7_T9_mT8_P12ihipStream_tbDpT10_ENKUlT_T0_E_clISt17integral_constantIbLb0EES1C_EEDaS17_S18_EUlS17_E_NS1_11comp_targetILNS1_3genE5ELNS1_11target_archE942ELNS1_3gpuE9ELNS1_3repE0EEENS1_30default_config_static_selectorELNS0_4arch9wavefront6targetE1EEEvT1_
                                        ; -- End function
	.section	.AMDGPU.csdata,"",@progbits
; Kernel info:
; codeLenInByte = 0
; NumSgprs: 4
; NumVgprs: 0
; NumAgprs: 0
; TotalNumVgprs: 0
; ScratchSize: 0
; MemoryBound: 0
; FloatMode: 240
; IeeeMode: 1
; LDSByteSize: 0 bytes/workgroup (compile time only)
; SGPRBlocks: 0
; VGPRBlocks: 0
; NumSGPRsForWavesPerEU: 4
; NumVGPRsForWavesPerEU: 1
; AccumOffset: 4
; Occupancy: 8
; WaveLimiterHint : 0
; COMPUTE_PGM_RSRC2:SCRATCH_EN: 0
; COMPUTE_PGM_RSRC2:USER_SGPR: 6
; COMPUTE_PGM_RSRC2:TRAP_HANDLER: 0
; COMPUTE_PGM_RSRC2:TGID_X_EN: 1
; COMPUTE_PGM_RSRC2:TGID_Y_EN: 0
; COMPUTE_PGM_RSRC2:TGID_Z_EN: 0
; COMPUTE_PGM_RSRC2:TIDIG_COMP_CNT: 0
; COMPUTE_PGM_RSRC3_GFX90A:ACCUM_OFFSET: 0
; COMPUTE_PGM_RSRC3_GFX90A:TG_SPLIT: 0
	.section	.text._ZN7rocprim17ROCPRIM_400000_NS6detail17trampoline_kernelINS0_14default_configENS1_25partition_config_selectorILNS1_17partition_subalgoE8ElNS0_10empty_typeEbEEZZNS1_14partition_implILS5_8ELb0ES3_jPlPS6_PKS6_NS0_5tupleIJS9_S6_EEENSD_IJSA_SA_EEENS0_18inequality_wrapperIZN2at6native12_GLOBAL__N_124unique_dim_cuda_templateIbEESt5tupleIJNSH_6TensorESM_SM_EERKSM_lbbbEUlllE0_EEPmJS6_EEE10hipError_tPvRmT3_T4_T5_T6_T7_T9_mT8_P12ihipStream_tbDpT10_ENKUlT_T0_E_clISt17integral_constantIbLb0EES1C_EEDaS17_S18_EUlS17_E_NS1_11comp_targetILNS1_3genE4ELNS1_11target_archE910ELNS1_3gpuE8ELNS1_3repE0EEENS1_30default_config_static_selectorELNS0_4arch9wavefront6targetE1EEEvT1_,"axG",@progbits,_ZN7rocprim17ROCPRIM_400000_NS6detail17trampoline_kernelINS0_14default_configENS1_25partition_config_selectorILNS1_17partition_subalgoE8ElNS0_10empty_typeEbEEZZNS1_14partition_implILS5_8ELb0ES3_jPlPS6_PKS6_NS0_5tupleIJS9_S6_EEENSD_IJSA_SA_EEENS0_18inequality_wrapperIZN2at6native12_GLOBAL__N_124unique_dim_cuda_templateIbEESt5tupleIJNSH_6TensorESM_SM_EERKSM_lbbbEUlllE0_EEPmJS6_EEE10hipError_tPvRmT3_T4_T5_T6_T7_T9_mT8_P12ihipStream_tbDpT10_ENKUlT_T0_E_clISt17integral_constantIbLb0EES1C_EEDaS17_S18_EUlS17_E_NS1_11comp_targetILNS1_3genE4ELNS1_11target_archE910ELNS1_3gpuE8ELNS1_3repE0EEENS1_30default_config_static_selectorELNS0_4arch9wavefront6targetE1EEEvT1_,comdat
	.globl	_ZN7rocprim17ROCPRIM_400000_NS6detail17trampoline_kernelINS0_14default_configENS1_25partition_config_selectorILNS1_17partition_subalgoE8ElNS0_10empty_typeEbEEZZNS1_14partition_implILS5_8ELb0ES3_jPlPS6_PKS6_NS0_5tupleIJS9_S6_EEENSD_IJSA_SA_EEENS0_18inequality_wrapperIZN2at6native12_GLOBAL__N_124unique_dim_cuda_templateIbEESt5tupleIJNSH_6TensorESM_SM_EERKSM_lbbbEUlllE0_EEPmJS6_EEE10hipError_tPvRmT3_T4_T5_T6_T7_T9_mT8_P12ihipStream_tbDpT10_ENKUlT_T0_E_clISt17integral_constantIbLb0EES1C_EEDaS17_S18_EUlS17_E_NS1_11comp_targetILNS1_3genE4ELNS1_11target_archE910ELNS1_3gpuE8ELNS1_3repE0EEENS1_30default_config_static_selectorELNS0_4arch9wavefront6targetE1EEEvT1_ ; -- Begin function _ZN7rocprim17ROCPRIM_400000_NS6detail17trampoline_kernelINS0_14default_configENS1_25partition_config_selectorILNS1_17partition_subalgoE8ElNS0_10empty_typeEbEEZZNS1_14partition_implILS5_8ELb0ES3_jPlPS6_PKS6_NS0_5tupleIJS9_S6_EEENSD_IJSA_SA_EEENS0_18inequality_wrapperIZN2at6native12_GLOBAL__N_124unique_dim_cuda_templateIbEESt5tupleIJNSH_6TensorESM_SM_EERKSM_lbbbEUlllE0_EEPmJS6_EEE10hipError_tPvRmT3_T4_T5_T6_T7_T9_mT8_P12ihipStream_tbDpT10_ENKUlT_T0_E_clISt17integral_constantIbLb0EES1C_EEDaS17_S18_EUlS17_E_NS1_11comp_targetILNS1_3genE4ELNS1_11target_archE910ELNS1_3gpuE8ELNS1_3repE0EEENS1_30default_config_static_selectorELNS0_4arch9wavefront6targetE1EEEvT1_
	.p2align	8
	.type	_ZN7rocprim17ROCPRIM_400000_NS6detail17trampoline_kernelINS0_14default_configENS1_25partition_config_selectorILNS1_17partition_subalgoE8ElNS0_10empty_typeEbEEZZNS1_14partition_implILS5_8ELb0ES3_jPlPS6_PKS6_NS0_5tupleIJS9_S6_EEENSD_IJSA_SA_EEENS0_18inequality_wrapperIZN2at6native12_GLOBAL__N_124unique_dim_cuda_templateIbEESt5tupleIJNSH_6TensorESM_SM_EERKSM_lbbbEUlllE0_EEPmJS6_EEE10hipError_tPvRmT3_T4_T5_T6_T7_T9_mT8_P12ihipStream_tbDpT10_ENKUlT_T0_E_clISt17integral_constantIbLb0EES1C_EEDaS17_S18_EUlS17_E_NS1_11comp_targetILNS1_3genE4ELNS1_11target_archE910ELNS1_3gpuE8ELNS1_3repE0EEENS1_30default_config_static_selectorELNS0_4arch9wavefront6targetE1EEEvT1_,@function
_ZN7rocprim17ROCPRIM_400000_NS6detail17trampoline_kernelINS0_14default_configENS1_25partition_config_selectorILNS1_17partition_subalgoE8ElNS0_10empty_typeEbEEZZNS1_14partition_implILS5_8ELb0ES3_jPlPS6_PKS6_NS0_5tupleIJS9_S6_EEENSD_IJSA_SA_EEENS0_18inequality_wrapperIZN2at6native12_GLOBAL__N_124unique_dim_cuda_templateIbEESt5tupleIJNSH_6TensorESM_SM_EERKSM_lbbbEUlllE0_EEPmJS6_EEE10hipError_tPvRmT3_T4_T5_T6_T7_T9_mT8_P12ihipStream_tbDpT10_ENKUlT_T0_E_clISt17integral_constantIbLb0EES1C_EEDaS17_S18_EUlS17_E_NS1_11comp_targetILNS1_3genE4ELNS1_11target_archE910ELNS1_3gpuE8ELNS1_3repE0EEENS1_30default_config_static_selectorELNS0_4arch9wavefront6targetE1EEEvT1_: ; @_ZN7rocprim17ROCPRIM_400000_NS6detail17trampoline_kernelINS0_14default_configENS1_25partition_config_selectorILNS1_17partition_subalgoE8ElNS0_10empty_typeEbEEZZNS1_14partition_implILS5_8ELb0ES3_jPlPS6_PKS6_NS0_5tupleIJS9_S6_EEENSD_IJSA_SA_EEENS0_18inequality_wrapperIZN2at6native12_GLOBAL__N_124unique_dim_cuda_templateIbEESt5tupleIJNSH_6TensorESM_SM_EERKSM_lbbbEUlllE0_EEPmJS6_EEE10hipError_tPvRmT3_T4_T5_T6_T7_T9_mT8_P12ihipStream_tbDpT10_ENKUlT_T0_E_clISt17integral_constantIbLb0EES1C_EEDaS17_S18_EUlS17_E_NS1_11comp_targetILNS1_3genE4ELNS1_11target_archE910ELNS1_3gpuE8ELNS1_3repE0EEENS1_30default_config_static_selectorELNS0_4arch9wavefront6targetE1EEEvT1_
; %bb.0:
	s_load_dwordx8 s[20:27], s[4:5], 0x40
	s_load_dwordx4 s[0:3], s[4:5], 0x8
	s_load_dwordx4 s[28:31], s[4:5], 0x60
	s_load_dword s7, s[4:5], 0x70
	s_waitcnt lgkmcnt(0)
	v_mov_b32_e32 v2, s24
	s_lshl_b64 s[8:9], s[2:3], 3
	s_add_u32 s12, s0, s8
	s_mul_i32 s8, s7, 0x500
	s_addc_u32 s13, s1, s9
	s_add_i32 s1, s8, s2
	s_add_i32 s10, s7, -1
	s_sub_i32 s7, s24, s1
	s_add_u32 s8, s2, s8
	s_addc_u32 s9, s3, 0
	v_mov_b32_e32 v3, s25
	s_cmp_eq_u32 s6, s10
	s_load_dwordx2 s[22:23], s[22:23], 0x0
	v_cmp_ge_u64_e32 vcc, s[8:9], v[2:3]
	s_cselect_b64 s[24:25], -1, 0
	s_mul_i32 s0, s6, 0x500
	s_mov_b32 s1, 0
	s_and_b64 s[10:11], s[24:25], vcc
	s_xor_b64 s[34:35], s[10:11], -1
	s_lshl_b64 s[0:1], s[0:1], 3
	s_add_u32 s0, s12, s0
	s_mov_b64 s[8:9], -1
	s_addc_u32 s1, s13, s1
	s_and_b64 vcc, exec, s[34:35]
	s_cbranch_vccz .LBB1053_2
; %bb.1:
	v_lshlrev_b32_e32 v1, 3, v0
	v_mov_b32_e32 v2, s1
	v_add_co_u32_e32 v12, vcc, s0, v1
	v_addc_co_u32_e32 v13, vcc, 0, v2, vcc
	v_add_co_u32_e32 v2, vcc, 0x1000, v12
	v_addc_co_u32_e32 v3, vcc, 0, v13, vcc
	global_load_dwordx2 v[4:5], v1, s[0:1]
	global_load_dwordx2 v[6:7], v1, s[0:1] offset:2048
	global_load_dwordx2 v[8:9], v[2:3], off
	global_load_dwordx2 v[10:11], v[2:3], off offset:2048
	v_add_co_u32_e32 v2, vcc, 0x2000, v12
	v_addc_co_u32_e32 v3, vcc, 0, v13, vcc
	global_load_dwordx2 v[2:3], v[2:3], off
	s_mov_b64 s[8:9], 0
	s_waitcnt vmcnt(3)
	ds_write2st64_b64 v1, v[4:5], v[6:7] offset1:4
	s_waitcnt vmcnt(1)
	ds_write2st64_b64 v1, v[8:9], v[10:11] offset0:8 offset1:12
	s_waitcnt vmcnt(0)
	ds_write_b64 v1, v[2:3] offset:8192
	s_waitcnt lgkmcnt(0)
	s_barrier
.LBB1053_2:
	s_andn2_b64 vcc, exec, s[8:9]
	s_addk_i32 s7, 0x500
	s_cbranch_vccnz .LBB1053_14
; %bb.3:
	v_cmp_gt_u32_e32 vcc, s7, v0
                                        ; implicit-def: $vgpr2_vgpr3_vgpr4_vgpr5_vgpr6_vgpr7_vgpr8_vgpr9_vgpr10_vgpr11_vgpr12_vgpr13_vgpr14_vgpr15_vgpr16_vgpr17
	s_and_saveexec_b64 s[8:9], vcc
	s_cbranch_execz .LBB1053_5
; %bb.4:
	v_lshlrev_b32_e32 v1, 3, v0
	global_load_dwordx2 v[2:3], v1, s[0:1]
.LBB1053_5:
	s_or_b64 exec, exec, s[8:9]
	v_or_b32_e32 v1, 0x100, v0
	v_cmp_gt_u32_e32 vcc, s7, v1
	s_and_saveexec_b64 s[8:9], vcc
	s_cbranch_execz .LBB1053_7
; %bb.6:
	v_lshlrev_b32_e32 v1, 3, v0
	global_load_dwordx2 v[4:5], v1, s[0:1] offset:2048
.LBB1053_7:
	s_or_b64 exec, exec, s[8:9]
	v_or_b32_e32 v1, 0x200, v0
	v_cmp_gt_u32_e32 vcc, s7, v1
	s_and_saveexec_b64 s[8:9], vcc
	s_cbranch_execz .LBB1053_9
; %bb.8:
	v_lshlrev_b32_e32 v1, 3, v1
	global_load_dwordx2 v[6:7], v1, s[0:1]
.LBB1053_9:
	s_or_b64 exec, exec, s[8:9]
	v_or_b32_e32 v1, 0x300, v0
	v_cmp_gt_u32_e32 vcc, s7, v1
	s_and_saveexec_b64 s[8:9], vcc
	s_cbranch_execz .LBB1053_11
; %bb.10:
	v_lshlrev_b32_e32 v1, 3, v1
	global_load_dwordx2 v[8:9], v1, s[0:1]
.LBB1053_11:
	;; [unrolled: 9-line block ×3, first 2 shown]
	s_or_b64 exec, exec, s[8:9]
	v_lshlrev_b32_e32 v1, 3, v0
	s_waitcnt vmcnt(0)
	ds_write2st64_b64 v1, v[2:3], v[4:5] offset1:4
	ds_write2st64_b64 v1, v[6:7], v[8:9] offset0:8 offset1:12
	ds_write_b64 v1, v[10:11] offset:8192
	s_waitcnt lgkmcnt(0)
	s_barrier
.LBB1053_14:
	v_mul_u32_u24_e32 v1, 5, v0
	v_lshlrev_b32_e32 v24, 3, v1
	s_waitcnt lgkmcnt(0)
	ds_read2_b64 v[6:9], v24 offset1:1
	ds_read2_b64 v[2:5], v24 offset0:2 offset1:3
	ds_read_b64 v[10:11], v24 offset:32
	s_cmp_lg_u32 s6, 0
	s_cselect_b64 s[16:17], -1, 0
	s_cmp_lg_u64 s[2:3], 0
	s_cselect_b64 s[2:3], -1, 0
	s_or_b64 s[2:3], s[16:17], s[2:3]
	v_mad_u32_u24 v22, v0, 5, 1
	v_mad_u32_u24 v20, v0, 5, 2
	;; [unrolled: 1-line block ×4, first 2 shown]
	s_mov_b64 s[12:13], 0
	s_and_b64 vcc, exec, s[2:3]
	v_cmp_lt_i64_e64 s[14:15], s[26:27], 1
	v_cmp_gt_i64_e64 s[8:9], s[26:27], 0
	s_waitcnt lgkmcnt(0)
	s_barrier
	s_cbranch_vccz .LBB1053_23
; %bb.15:
	s_add_u32 s0, s0, -8
	s_addc_u32 s1, s1, -1
	s_load_dwordx2 s[12:13], s[0:1], 0x0
	v_lshlrev_b32_e32 v25, 3, v0
	s_mov_b64 s[2:3], 0
	s_and_b64 vcc, exec, s[34:35]
	ds_write_b64 v25, v[10:11]
	s_cbranch_vccz .LBB1053_24
; %bb.16:
	v_cndmask_b32_e64 v12, 0, 1, s[8:9]
	v_cmp_ne_u32_e64 s[0:1], 1, v12
	s_andn2_b64 vcc, exec, s[8:9]
	s_cbranch_vccnz .LBB1053_25
; %bb.17:
	v_pk_mov_b32 v[14:15], s[28:29], s[28:29] op_sel:[0,1]
	v_mad_u64_u32 v[12:13], s[2:3], v4, s26, v[14:15]
	v_mul_lo_u32 v16, v4, s27
	v_mul_lo_u32 v17, v5, s26
	v_add3_u32 v13, v17, v13, v16
	v_mad_u64_u32 v[14:15], s[2:3], v10, s26, v[14:15]
	v_mul_lo_u32 v16, v10, s27
	v_mul_lo_u32 v17, v11, s26
	v_add3_u32 v15, v17, v15, v16
	global_load_ubyte v16, v[12:13], off
	global_load_ubyte v17, v[14:15], off
	s_mov_b64 s[8:9], -1
	s_waitcnt vmcnt(1)
	v_cmp_ne_u16_e32 vcc, 0, v16
	s_waitcnt vmcnt(0)
	v_cmp_ne_u16_e64 s[2:3], 0, v17
	s_xor_b64 s[2:3], vcc, s[2:3]
	s_xor_b64 s[2:3], s[2:3], -1
	s_and_saveexec_b64 s[18:19], s[2:3]
	s_cbranch_execz .LBB1053_27
; %bb.18:
	s_mov_b64 s[40:41], 1
	s_mov_b64 s[36:37], 0
                                        ; implicit-def: $sgpr38_sgpr39
	s_branch .LBB1053_21
.LBB1053_19:                            ;   in Loop: Header=BB1053_21 Depth=1
	v_mov_b32_e32 v19, s41
	v_add_co_u32_e64 v16, s[2:3], s40, v12
	v_addc_co_u32_e64 v17, s[2:3], v13, v19, s[2:3]
	v_add_co_u32_e64 v18, s[2:3], s40, v14
	v_addc_co_u32_e64 v19, s[2:3], v15, v19, s[2:3]
	global_load_ubyte v26, v[16:17], off
	global_load_ubyte v27, v[18:19], off
	s_waitcnt vmcnt(1)
	v_cmp_ne_u16_e64 s[2:3], 0, v26
	s_waitcnt vmcnt(0)
	v_cmp_ne_u16_e64 s[8:9], 0, v27
	s_xor_b64 s[8:9], s[2:3], s[8:9]
	s_add_u32 s2, s40, 1
	s_addc_u32 s3, s41, 0
	s_andn2_b64 s[38:39], s[38:39], exec
	s_and_b64 s[8:9], s[8:9], exec
	s_or_b64 s[38:39], s[38:39], s[8:9]
.LBB1053_20:                            ;   in Loop: Header=BB1053_21 Depth=1
	s_and_b64 s[8:9], exec, s[38:39]
	s_or_b64 s[36:37], s[8:9], s[36:37]
	v_pk_mov_b32 v[16:17], s[40:41], s[40:41] op_sel:[0,1]
	s_mov_b64 s[40:41], s[2:3]
	s_andn2_b64 exec, exec, s[36:37]
	s_cbranch_execz .LBB1053_26
.LBB1053_21:                            ; =>This Inner Loop Header: Depth=1
	s_or_b64 s[38:39], s[38:39], exec
	s_cmp_eq_u64 s[26:27], s[40:41]
	s_cbranch_scc0 .LBB1053_19
; %bb.22:                               ;   in Loop: Header=BB1053_21 Depth=1
                                        ; implicit-def: $sgpr2_sgpr3
	s_mov_b64 s[40:41], s[26:27]
	s_branch .LBB1053_20
.LBB1053_23:
                                        ; implicit-def: $sgpr8_sgpr9
                                        ; implicit-def: $vgpr13
                                        ; implicit-def: $vgpr14
	s_branch .LBB1053_114
.LBB1053_24:
                                        ; implicit-def: $sgpr8_sgpr9
                                        ; implicit-def: $vgpr13
                                        ; implicit-def: $vgpr14
	s_cbranch_execnz .LBB1053_65
	s_branch .LBB1053_113
.LBB1053_25:
	v_mov_b32_e32 v26, 0
	s_branch .LBB1053_35
.LBB1053_26:
	s_or_b64 exec, exec, s[36:37]
	v_cmp_gt_i64_e64 s[2:3], s[26:27], v[16:17]
	s_orn2_b64 s[8:9], s[2:3], exec
.LBB1053_27:
	s_or_b64 exec, exec, s[18:19]
	v_pk_mov_b32 v[14:15], s[28:29], s[28:29] op_sel:[0,1]
	v_mad_u64_u32 v[14:15], s[2:3], v2, s26, v[14:15]
	v_mul_lo_u32 v16, v2, s27
	v_mul_lo_u32 v17, v3, s26
	v_add3_u32 v15, v17, v15, v16
	global_load_ubyte v16, v[14:15], off
	s_waitcnt vmcnt(0)
	v_cmp_ne_u16_e64 s[2:3], 0, v16
	s_xor_b64 s[18:19], vcc, s[2:3]
	s_mov_b64 s[2:3], -1
	s_xor_b64 s[36:37], s[18:19], -1
	s_and_saveexec_b64 s[18:19], s[36:37]
	s_cbranch_execz .LBB1053_34
; %bb.28:
	s_mov_b64 s[40:41], 1
	s_mov_b64 s[36:37], 0
                                        ; implicit-def: $sgpr38_sgpr39
	s_branch .LBB1053_31
.LBB1053_29:                            ;   in Loop: Header=BB1053_31 Depth=1
	v_mov_b32_e32 v19, s41
	v_add_co_u32_e32 v16, vcc, s40, v14
	v_addc_co_u32_e32 v17, vcc, v15, v19, vcc
	v_add_co_u32_e32 v18, vcc, s40, v12
	v_addc_co_u32_e32 v19, vcc, v13, v19, vcc
	global_load_ubyte v26, v[16:17], off
	global_load_ubyte v27, v[18:19], off
	s_waitcnt vmcnt(1)
	v_cmp_ne_u16_e32 vcc, 0, v26
	s_waitcnt vmcnt(0)
	v_cmp_ne_u16_e64 s[2:3], 0, v27
	s_xor_b64 s[42:43], vcc, s[2:3]
	s_add_u32 s2, s40, 1
	s_addc_u32 s3, s41, 0
	s_andn2_b64 s[38:39], s[38:39], exec
	s_and_b64 s[42:43], s[42:43], exec
	s_or_b64 s[38:39], s[38:39], s[42:43]
.LBB1053_30:                            ;   in Loop: Header=BB1053_31 Depth=1
	s_and_b64 s[42:43], exec, s[38:39]
	s_or_b64 s[36:37], s[42:43], s[36:37]
	v_pk_mov_b32 v[16:17], s[40:41], s[40:41] op_sel:[0,1]
	s_mov_b64 s[40:41], s[2:3]
	s_andn2_b64 exec, exec, s[36:37]
	s_cbranch_execz .LBB1053_33
.LBB1053_31:                            ; =>This Inner Loop Header: Depth=1
	s_or_b64 s[38:39], s[38:39], exec
	s_cmp_eq_u64 s[26:27], s[40:41]
	s_cbranch_scc0 .LBB1053_29
; %bb.32:                               ;   in Loop: Header=BB1053_31 Depth=1
                                        ; implicit-def: $sgpr2_sgpr3
	s_mov_b64 s[40:41], s[26:27]
	s_branch .LBB1053_30
.LBB1053_33:
	s_or_b64 exec, exec, s[36:37]
	v_cmp_gt_i64_e32 vcc, s[26:27], v[16:17]
	s_orn2_b64 s[2:3], vcc, exec
.LBB1053_34:
	s_or_b64 exec, exec, s[18:19]
	v_cndmask_b32_e64 v26, 0, 1, s[8:9]
.LBB1053_35:
	v_lshlrev_b16_e32 v12, 8, v0
	v_cndmask_b32_e64 v13, 0, 1, s[2:3]
	v_mov_b32_e32 v14, 8
	v_lshrrev_b32_sdwa v12, v14, v12 dst_sel:BYTE_1 dst_unused:UNUSED_PAD src0_sel:DWORD src1_sel:DWORD
	v_lshlrev_b16_e32 v13, 8, v13
	v_or_b32_sdwa v12, v0, v12 dst_sel:DWORD dst_unused:UNUSED_PAD src0_sel:BYTE_0 src1_sel:DWORD
	v_or_b32_sdwa v13, v0, v13 dst_sel:WORD_1 dst_unused:UNUSED_PAD src0_sel:BYTE_0 src1_sel:DWORD
	s_and_b64 vcc, exec, s[0:1]
	v_or_b32_sdwa v27, v12, v13 dst_sel:DWORD dst_unused:UNUSED_PAD src0_sel:WORD_0 src1_sel:DWORD
	s_cbranch_vccnz .LBB1053_42
; %bb.36:
	v_pk_mov_b32 v[12:13], s[28:29], s[28:29] op_sel:[0,1]
	v_mad_u64_u32 v[14:15], s[2:3], v8, s26, v[12:13]
	v_mul_lo_u32 v16, v8, s27
	v_mul_lo_u32 v17, v9, s26
	v_add3_u32 v15, v17, v15, v16
	v_mad_u64_u32 v[12:13], s[2:3], v2, s26, v[12:13]
	v_mul_lo_u32 v16, v2, s27
	v_mul_lo_u32 v17, v3, s26
	v_add3_u32 v13, v17, v13, v16
	global_load_ubyte v16, v[14:15], off
	global_load_ubyte v17, v[12:13], off
	s_waitcnt vmcnt(1)
	v_cmp_ne_u16_e32 vcc, 0, v16
	s_waitcnt vmcnt(0)
	v_cmp_ne_u16_e64 s[2:3], 0, v17
	s_xor_b64 s[8:9], vcc, s[2:3]
	s_mov_b64 s[2:3], -1
	s_xor_b64 s[8:9], s[8:9], -1
	s_and_saveexec_b64 s[18:19], s[8:9]
	s_cbranch_execz .LBB1053_44
; %bb.37:
	s_mov_b64 s[40:41], 1
	s_mov_b64 s[36:37], 0
                                        ; implicit-def: $sgpr38_sgpr39
	s_branch .LBB1053_40
.LBB1053_38:                            ;   in Loop: Header=BB1053_40 Depth=1
	v_mov_b32_e32 v19, s41
	v_add_co_u32_e64 v16, s[2:3], s40, v14
	v_addc_co_u32_e64 v17, s[2:3], v15, v19, s[2:3]
	v_add_co_u32_e64 v18, s[2:3], s40, v12
	v_addc_co_u32_e64 v19, s[2:3], v13, v19, s[2:3]
	global_load_ubyte v28, v[16:17], off
	global_load_ubyte v29, v[18:19], off
	s_waitcnt vmcnt(1)
	v_cmp_ne_u16_e64 s[2:3], 0, v28
	s_waitcnt vmcnt(0)
	v_cmp_ne_u16_e64 s[8:9], 0, v29
	s_xor_b64 s[8:9], s[2:3], s[8:9]
	s_add_u32 s2, s40, 1
	s_addc_u32 s3, s41, 0
	s_andn2_b64 s[38:39], s[38:39], exec
	s_and_b64 s[8:9], s[8:9], exec
	s_or_b64 s[38:39], s[38:39], s[8:9]
.LBB1053_39:                            ;   in Loop: Header=BB1053_40 Depth=1
	s_and_b64 s[8:9], exec, s[38:39]
	s_or_b64 s[36:37], s[8:9], s[36:37]
	v_pk_mov_b32 v[16:17], s[40:41], s[40:41] op_sel:[0,1]
	s_mov_b64 s[40:41], s[2:3]
	s_andn2_b64 exec, exec, s[36:37]
	s_cbranch_execz .LBB1053_43
.LBB1053_40:                            ; =>This Inner Loop Header: Depth=1
	s_or_b64 s[38:39], s[38:39], exec
	s_cmp_eq_u64 s[26:27], s[40:41]
	s_cbranch_scc0 .LBB1053_38
; %bb.41:                               ;   in Loop: Header=BB1053_40 Depth=1
                                        ; implicit-def: $sgpr2_sgpr3
	s_mov_b64 s[40:41], s[26:27]
	s_branch .LBB1053_39
.LBB1053_42:
                                        ; implicit-def: $sgpr2_sgpr3
                                        ; implicit-def: $vgpr12_vgpr13
	s_cbranch_execnz .LBB1053_52
	s_branch .LBB1053_53
.LBB1053_43:
	s_or_b64 exec, exec, s[36:37]
	v_cmp_gt_i64_e64 s[2:3], s[26:27], v[16:17]
	s_orn2_b64 s[2:3], s[2:3], exec
.LBB1053_44:
	s_or_b64 exec, exec, s[18:19]
	v_pk_mov_b32 v[12:13], s[28:29], s[28:29] op_sel:[0,1]
	v_mad_u64_u32 v[16:17], s[8:9], v6, s26, v[12:13]
	v_mul_lo_u32 v12, v6, s27
	v_mul_lo_u32 v13, v7, s26
	v_add3_u32 v17, v13, v17, v12
	global_load_ubyte v18, v[16:17], off
	v_cndmask_b32_e64 v12, 0, 1, s[2:3]
	s_movk_i32 s2, 0xff
	v_mov_b32_e32 v13, 8
	v_lshrrev_b32_e32 v19, 24, v27
	v_lshrrev_b32_sdwa v28, v13, v27 dst_sel:BYTE_1 dst_unused:UNUSED_PAD src0_sel:DWORD src1_sel:DWORD
	v_lshlrev_b16_e32 v19, 8, v19
	v_and_b32_sdwa v13, v26, s2 dst_sel:DWORD dst_unused:UNUSED_PAD src0_sel:WORD_0 src1_sel:DWORD
	v_or_b32_sdwa v28, v27, v28 dst_sel:DWORD dst_unused:UNUSED_PAD src0_sel:BYTE_0 src1_sel:DWORD
	v_or_b32_sdwa v12, v12, v19 dst_sel:WORD_1 dst_unused:UNUSED_PAD src0_sel:DWORD src1_sel:DWORD
	v_or_b32_sdwa v12, v28, v12 dst_sel:DWORD dst_unused:UNUSED_PAD src0_sel:WORD_0 src1_sel:DWORD
	s_waitcnt vmcnt(0)
	v_cmp_ne_u16_e64 s[2:3], 0, v18
	s_xor_b64 s[8:9], vcc, s[2:3]
	s_mov_b64 s[2:3], -1
	s_xor_b64 s[18:19], s[8:9], -1
	s_and_saveexec_b64 s[8:9], s[18:19]
	s_cbranch_execz .LBB1053_51
; %bb.45:
	s_mov_b64 s[38:39], 1
	s_mov_b64 s[18:19], 0
                                        ; implicit-def: $sgpr36_sgpr37
	s_branch .LBB1053_48
.LBB1053_46:                            ;   in Loop: Header=BB1053_48 Depth=1
	v_mov_b32_e32 v29, s39
	v_add_co_u32_e32 v18, vcc, s38, v16
	v_addc_co_u32_e32 v19, vcc, v17, v29, vcc
	v_add_co_u32_e32 v28, vcc, s38, v14
	v_addc_co_u32_e32 v29, vcc, v15, v29, vcc
	global_load_ubyte v30, v[18:19], off
	global_load_ubyte v31, v[28:29], off
	s_waitcnt vmcnt(1)
	v_cmp_ne_u16_e32 vcc, 0, v30
	s_waitcnt vmcnt(0)
	v_cmp_ne_u16_e64 s[2:3], 0, v31
	s_xor_b64 s[40:41], vcc, s[2:3]
	s_add_u32 s2, s38, 1
	s_addc_u32 s3, s39, 0
	s_andn2_b64 s[36:37], s[36:37], exec
	s_and_b64 s[40:41], s[40:41], exec
	s_or_b64 s[36:37], s[36:37], s[40:41]
.LBB1053_47:                            ;   in Loop: Header=BB1053_48 Depth=1
	s_and_b64 s[40:41], exec, s[36:37]
	s_or_b64 s[18:19], s[40:41], s[18:19]
	v_pk_mov_b32 v[18:19], s[38:39], s[38:39] op_sel:[0,1]
	s_mov_b64 s[38:39], s[2:3]
	s_andn2_b64 exec, exec, s[18:19]
	s_cbranch_execz .LBB1053_50
.LBB1053_48:                            ; =>This Inner Loop Header: Depth=1
	s_or_b64 s[36:37], s[36:37], exec
	s_cmp_eq_u64 s[26:27], s[38:39]
	s_cbranch_scc0 .LBB1053_46
; %bb.49:                               ;   in Loop: Header=BB1053_48 Depth=1
                                        ; implicit-def: $sgpr2_sgpr3
	s_mov_b64 s[38:39], s[26:27]
	s_branch .LBB1053_47
.LBB1053_50:
	s_or_b64 exec, exec, s[18:19]
	v_cmp_gt_i64_e32 vcc, s[26:27], v[18:19]
	s_orn2_b64 s[2:3], vcc, exec
.LBB1053_51:
	s_or_b64 exec, exec, s[8:9]
	s_branch .LBB1053_53
.LBB1053_52:
	v_mov_b32_e32 v12, 8
	v_lshrrev_b32_sdwa v12, v12, v27 dst_sel:BYTE_1 dst_unused:UNUSED_PAD src0_sel:DWORD src1_sel:DWORD
	v_or_b32_sdwa v12, v27, v12 dst_sel:DWORD dst_unused:UNUSED_PAD src0_sel:BYTE_0 src1_sel:DWORD
	s_movk_i32 s8, 0xff
	v_and_b32_e32 v12, 0xffff, v12
	s_mov_b32 s9, 0xff000000
	v_and_or_b32 v12, v27, s9, v12
	v_and_b32_sdwa v13, v26, s8 dst_sel:DWORD dst_unused:UNUSED_PAD src0_sel:WORD_0 src1_sel:DWORD
	s_andn2_b64 s[2:3], s[2:3], exec
.LBB1053_53:
	v_cmp_ne_u32_e32 vcc, 0, v0
	s_waitcnt lgkmcnt(0)
	v_pk_mov_b32 v[16:17], s[12:13], s[12:13] op_sel:[0,1]
	s_barrier
	s_and_saveexec_b64 s[8:9], vcc
	s_cbranch_execz .LBB1053_55
; %bb.54:
	v_add_u32_e32 v14, -8, v25
	ds_read_b64 v[16:17], v14
.LBB1053_55:
	s_or_b64 exec, exec, s[8:9]
	v_cndmask_b32_e64 v14, 0, 1, s[2:3]
	v_lshlrev_b16_e32 v14, 8, v14
	s_movk_i32 s2, 0xff
	v_or_b32_sdwa v26, v12, v14 dst_sel:DWORD dst_unused:UNUSED_PAD src0_sel:BYTE_0 src1_sel:DWORD
	v_lshrrev_b32_e32 v14, 24, v12
	v_lshlrev_b16_e32 v14, 8, v14
	v_and_b32_sdwa v12, v12, s2 dst_sel:DWORD dst_unused:UNUSED_PAD src0_sel:WORD_1 src1_sel:DWORD
	v_or_b32_sdwa v12, v12, v14 dst_sel:WORD_1 dst_unused:UNUSED_PAD src0_sel:DWORD src1_sel:DWORD
	s_mov_b64 s[2:3], 0
	s_and_b64 vcc, exec, s[0:1]
	s_mov_b64 s[8:9], 0
	s_cbranch_vccnz .LBB1053_64
; %bb.56:
	v_pk_mov_b32 v[18:19], s[28:29], s[28:29] op_sel:[0,1]
	s_waitcnt lgkmcnt(0)
	v_mad_u64_u32 v[14:15], s[0:1], v16, s26, v[18:19]
	v_mul_lo_u32 v16, v16, s27
	v_mul_lo_u32 v17, v17, s26
	v_add3_u32 v15, v17, v15, v16
	v_mad_u64_u32 v[16:17], s[0:1], v6, s26, v[18:19]
	v_mul_lo_u32 v18, v6, s27
	v_mul_lo_u32 v19, v7, s26
	v_add3_u32 v17, v19, v17, v18
	global_load_ubyte v18, v[14:15], off
	global_load_ubyte v19, v[16:17], off
	s_mov_b64 s[8:9], -1
	s_waitcnt vmcnt(1)
	v_cmp_ne_u16_e32 vcc, 0, v18
	s_waitcnt vmcnt(0)
	v_cmp_ne_u16_e64 s[0:1], 0, v19
	s_xor_b64 s[0:1], vcc, s[0:1]
	s_xor_b64 s[0:1], s[0:1], -1
	s_and_saveexec_b64 s[18:19], s[0:1]
	s_cbranch_execz .LBB1053_63
; %bb.57:
	s_mov_b64 s[38:39], 1
	s_mov_b64 s[8:9], 0
                                        ; implicit-def: $sgpr36_sgpr37
	s_branch .LBB1053_60
.LBB1053_58:                            ;   in Loop: Header=BB1053_60 Depth=1
	v_mov_b32_e32 v27, s39
	v_add_co_u32_e32 v18, vcc, s38, v14
	v_addc_co_u32_e32 v19, vcc, v15, v27, vcc
	v_add_co_u32_e32 v28, vcc, s38, v16
	v_addc_co_u32_e32 v29, vcc, v17, v27, vcc
	global_load_ubyte v27, v[18:19], off
	global_load_ubyte v30, v[28:29], off
	s_waitcnt vmcnt(1)
	v_cmp_ne_u16_e32 vcc, 0, v27
	s_waitcnt vmcnt(0)
	v_cmp_ne_u16_e64 s[0:1], 0, v30
	s_xor_b64 s[40:41], vcc, s[0:1]
	s_add_u32 s0, s38, 1
	s_addc_u32 s1, s39, 0
	s_andn2_b64 s[36:37], s[36:37], exec
	s_and_b64 s[40:41], s[40:41], exec
	s_or_b64 s[36:37], s[36:37], s[40:41]
.LBB1053_59:                            ;   in Loop: Header=BB1053_60 Depth=1
	s_and_b64 s[40:41], exec, s[36:37]
	s_or_b64 s[8:9], s[40:41], s[8:9]
	v_pk_mov_b32 v[18:19], s[38:39], s[38:39] op_sel:[0,1]
	s_mov_b64 s[38:39], s[0:1]
	s_andn2_b64 exec, exec, s[8:9]
	s_cbranch_execz .LBB1053_62
.LBB1053_60:                            ; =>This Inner Loop Header: Depth=1
	s_or_b64 s[36:37], s[36:37], exec
	s_cmp_eq_u64 s[26:27], s[38:39]
	s_cbranch_scc0 .LBB1053_58
; %bb.61:                               ;   in Loop: Header=BB1053_60 Depth=1
                                        ; implicit-def: $sgpr0_sgpr1
	s_mov_b64 s[38:39], s[26:27]
	s_branch .LBB1053_59
.LBB1053_62:
	s_or_b64 exec, exec, s[8:9]
	v_cmp_gt_i64_e32 vcc, s[26:27], v[18:19]
	s_orn2_b64 s[8:9], vcc, exec
.LBB1053_63:
	s_or_b64 exec, exec, s[18:19]
.LBB1053_64:
	v_or_b32_sdwa v14, v26, v12 dst_sel:DWORD dst_unused:UNUSED_PAD src0_sel:WORD_0 src1_sel:DWORD
	s_and_b64 vcc, exec, s[2:3]
	s_cbranch_vccz .LBB1053_113
.LBB1053_65:
	v_cmp_gt_u32_e32 vcc, s7, v21
	s_xor_b64 s[8:9], s[14:15], -1
	s_mov_b64 s[36:37], -1
	s_and_b64 s[0:1], vcc, s[8:9]
	s_mov_b64 s[14:15], 0
	s_mov_b64 s[2:3], 0
	s_and_saveexec_b64 s[18:19], s[0:1]
	s_cbranch_execz .LBB1053_74
; %bb.66:
	v_pk_mov_b32 v[14:15], s[28:29], s[28:29] op_sel:[0,1]
	v_mad_u64_u32 v[12:13], s[0:1], v4, s26, v[14:15]
	s_waitcnt lgkmcnt(0)
	v_mul_lo_u32 v16, v4, s27
	v_mul_lo_u32 v17, v5, s26
	v_add3_u32 v13, v17, v13, v16
	v_mad_u64_u32 v[14:15], s[0:1], v10, s26, v[14:15]
	v_mul_lo_u32 v16, v10, s27
	v_mul_lo_u32 v17, v11, s26
	v_add3_u32 v15, v17, v15, v16
	global_load_ubyte v16, v[12:13], off
	global_load_ubyte v17, v[14:15], off
	s_waitcnt vmcnt(1)
	v_cmp_ne_u16_e32 vcc, 0, v16
	s_waitcnt vmcnt(0)
	v_cmp_ne_u16_e64 s[0:1], 0, v17
	s_xor_b64 s[0:1], vcc, s[0:1]
	s_xor_b64 s[0:1], s[0:1], -1
	s_and_saveexec_b64 s[2:3], s[0:1]
	s_cbranch_execz .LBB1053_73
; %bb.67:
	s_mov_b64 s[40:41], 1
	s_mov_b64 s[36:37], 0
                                        ; implicit-def: $sgpr38_sgpr39
	s_branch .LBB1053_70
.LBB1053_68:                            ;   in Loop: Header=BB1053_70 Depth=1
	v_mov_b32_e32 v19, s41
	v_add_co_u32_e32 v16, vcc, s40, v12
	v_addc_co_u32_e32 v17, vcc, v13, v19, vcc
	v_add_co_u32_e32 v18, vcc, s40, v14
	v_addc_co_u32_e32 v19, vcc, v15, v19, vcc
	global_load_ubyte v26, v[16:17], off
	global_load_ubyte v27, v[18:19], off
	s_waitcnt vmcnt(1)
	v_cmp_ne_u16_e32 vcc, 0, v26
	s_waitcnt vmcnt(0)
	v_cmp_ne_u16_e64 s[0:1], 0, v27
	s_xor_b64 s[42:43], vcc, s[0:1]
	s_add_u32 s0, s40, 1
	s_addc_u32 s1, s41, 0
	s_andn2_b64 s[38:39], s[38:39], exec
	s_and_b64 s[42:43], s[42:43], exec
	s_or_b64 s[38:39], s[38:39], s[42:43]
.LBB1053_69:                            ;   in Loop: Header=BB1053_70 Depth=1
	s_and_b64 s[42:43], exec, s[38:39]
	s_or_b64 s[36:37], s[42:43], s[36:37]
	v_pk_mov_b32 v[16:17], s[40:41], s[40:41] op_sel:[0,1]
	s_mov_b64 s[40:41], s[0:1]
	s_andn2_b64 exec, exec, s[36:37]
	s_cbranch_execz .LBB1053_72
.LBB1053_70:                            ; =>This Inner Loop Header: Depth=1
	s_or_b64 s[38:39], s[38:39], exec
	s_cmp_eq_u64 s[26:27], s[40:41]
	s_cbranch_scc0 .LBB1053_68
; %bb.71:                               ;   in Loop: Header=BB1053_70 Depth=1
                                        ; implicit-def: $sgpr0_sgpr1
	s_mov_b64 s[40:41], s[26:27]
	s_branch .LBB1053_69
.LBB1053_72:
	s_or_b64 exec, exec, s[36:37]
	v_cmp_gt_i64_e32 vcc, s[26:27], v[16:17]
	s_orn2_b64 s[36:37], vcc, exec
.LBB1053_73:
	s_or_b64 exec, exec, s[2:3]
	s_and_b64 s[2:3], s[36:37], exec
.LBB1053_74:
	s_or_b64 exec, exec, s[18:19]
	v_cmp_gt_u32_e32 vcc, s7, v23
	s_and_b64 s[0:1], vcc, s[8:9]
	s_and_saveexec_b64 s[18:19], s[0:1]
	s_cbranch_execz .LBB1053_83
; %bb.75:
	v_pk_mov_b32 v[14:15], s[28:29], s[28:29] op_sel:[0,1]
	v_mad_u64_u32 v[12:13], s[0:1], v2, s26, v[14:15]
	s_waitcnt lgkmcnt(0)
	v_mul_lo_u32 v16, v2, s27
	v_mul_lo_u32 v17, v3, s26
	v_add3_u32 v13, v17, v13, v16
	v_mad_u64_u32 v[14:15], s[0:1], v4, s26, v[14:15]
	v_mul_lo_u32 v16, v4, s27
	v_mul_lo_u32 v17, v5, s26
	v_add3_u32 v15, v17, v15, v16
	global_load_ubyte v16, v[12:13], off
	global_load_ubyte v17, v[14:15], off
	s_waitcnt vmcnt(1)
	v_cmp_ne_u16_e32 vcc, 0, v16
	s_waitcnt vmcnt(0)
	v_cmp_ne_u16_e64 s[0:1], 0, v17
	s_xor_b64 s[14:15], vcc, s[0:1]
	s_mov_b64 s[0:1], -1
	s_xor_b64 s[36:37], s[14:15], -1
	s_and_saveexec_b64 s[14:15], s[36:37]
	s_cbranch_execz .LBB1053_82
; %bb.76:
	s_mov_b64 s[40:41], 1
	s_mov_b64 s[36:37], 0
                                        ; implicit-def: $sgpr38_sgpr39
	s_branch .LBB1053_79
.LBB1053_77:                            ;   in Loop: Header=BB1053_79 Depth=1
	v_mov_b32_e32 v19, s41
	v_add_co_u32_e32 v16, vcc, s40, v12
	v_addc_co_u32_e32 v17, vcc, v13, v19, vcc
	v_add_co_u32_e32 v18, vcc, s40, v14
	v_addc_co_u32_e32 v19, vcc, v15, v19, vcc
	global_load_ubyte v26, v[16:17], off
	global_load_ubyte v27, v[18:19], off
	s_waitcnt vmcnt(1)
	v_cmp_ne_u16_e32 vcc, 0, v26
	s_waitcnt vmcnt(0)
	v_cmp_ne_u16_e64 s[0:1], 0, v27
	s_xor_b64 s[42:43], vcc, s[0:1]
	s_add_u32 s0, s40, 1
	s_addc_u32 s1, s41, 0
	s_andn2_b64 s[38:39], s[38:39], exec
	s_and_b64 s[42:43], s[42:43], exec
	s_or_b64 s[38:39], s[38:39], s[42:43]
.LBB1053_78:                            ;   in Loop: Header=BB1053_79 Depth=1
	s_and_b64 s[42:43], exec, s[38:39]
	s_or_b64 s[36:37], s[42:43], s[36:37]
	v_pk_mov_b32 v[16:17], s[40:41], s[40:41] op_sel:[0,1]
	s_mov_b64 s[40:41], s[0:1]
	s_andn2_b64 exec, exec, s[36:37]
	s_cbranch_execz .LBB1053_81
.LBB1053_79:                            ; =>This Inner Loop Header: Depth=1
	s_or_b64 s[38:39], s[38:39], exec
	s_cmp_eq_u64 s[26:27], s[40:41]
	s_cbranch_scc0 .LBB1053_77
; %bb.80:                               ;   in Loop: Header=BB1053_79 Depth=1
                                        ; implicit-def: $sgpr0_sgpr1
	s_mov_b64 s[40:41], s[26:27]
	s_branch .LBB1053_78
.LBB1053_81:
	s_or_b64 exec, exec, s[36:37]
	v_cmp_gt_i64_e32 vcc, s[26:27], v[16:17]
	s_orn2_b64 s[0:1], vcc, exec
.LBB1053_82:
	s_or_b64 exec, exec, s[14:15]
	s_and_b64 s[14:15], s[0:1], exec
.LBB1053_83:
	s_or_b64 exec, exec, s[18:19]
	v_cmp_gt_u32_e32 vcc, s7, v20
	s_mov_b64 s[40:41], -1
	s_and_b64 s[0:1], vcc, s[8:9]
	s_mov_b64 s[18:19], 0
	s_mov_b64 s[36:37], 0
	s_and_saveexec_b64 s[38:39], s[0:1]
	s_cbranch_execz .LBB1053_92
; %bb.84:
	v_pk_mov_b32 v[14:15], s[28:29], s[28:29] op_sel:[0,1]
	v_mad_u64_u32 v[12:13], s[0:1], v8, s26, v[14:15]
	s_waitcnt lgkmcnt(0)
	v_mul_lo_u32 v16, v8, s27
	v_mul_lo_u32 v17, v9, s26
	v_add3_u32 v13, v17, v13, v16
	v_mad_u64_u32 v[14:15], s[0:1], v2, s26, v[14:15]
	v_mul_lo_u32 v16, v2, s27
	v_mul_lo_u32 v17, v3, s26
	v_add3_u32 v15, v17, v15, v16
	global_load_ubyte v16, v[12:13], off
	global_load_ubyte v17, v[14:15], off
	s_waitcnt vmcnt(1)
	v_cmp_ne_u16_e32 vcc, 0, v16
	s_waitcnt vmcnt(0)
	v_cmp_ne_u16_e64 s[0:1], 0, v17
	s_xor_b64 s[0:1], vcc, s[0:1]
	s_xor_b64 s[0:1], s[0:1], -1
	s_and_saveexec_b64 s[36:37], s[0:1]
	s_cbranch_execz .LBB1053_91
; %bb.85:
	s_mov_b64 s[44:45], 1
	s_mov_b64 s[40:41], 0
                                        ; implicit-def: $sgpr42_sgpr43
	s_branch .LBB1053_88
.LBB1053_86:                            ;   in Loop: Header=BB1053_88 Depth=1
	v_mov_b32_e32 v19, s45
	v_add_co_u32_e32 v16, vcc, s44, v12
	v_addc_co_u32_e32 v17, vcc, v13, v19, vcc
	v_add_co_u32_e32 v18, vcc, s44, v14
	v_addc_co_u32_e32 v19, vcc, v15, v19, vcc
	global_load_ubyte v26, v[16:17], off
	global_load_ubyte v27, v[18:19], off
	s_waitcnt vmcnt(1)
	v_cmp_ne_u16_e32 vcc, 0, v26
	s_waitcnt vmcnt(0)
	v_cmp_ne_u16_e64 s[0:1], 0, v27
	s_xor_b64 s[46:47], vcc, s[0:1]
	s_add_u32 s0, s44, 1
	s_addc_u32 s1, s45, 0
	s_andn2_b64 s[42:43], s[42:43], exec
	s_and_b64 s[46:47], s[46:47], exec
	s_or_b64 s[42:43], s[42:43], s[46:47]
.LBB1053_87:                            ;   in Loop: Header=BB1053_88 Depth=1
	s_and_b64 s[46:47], exec, s[42:43]
	s_or_b64 s[40:41], s[46:47], s[40:41]
	v_pk_mov_b32 v[16:17], s[44:45], s[44:45] op_sel:[0,1]
	s_mov_b64 s[44:45], s[0:1]
	s_andn2_b64 exec, exec, s[40:41]
	s_cbranch_execz .LBB1053_90
.LBB1053_88:                            ; =>This Inner Loop Header: Depth=1
	s_or_b64 s[42:43], s[42:43], exec
	s_cmp_eq_u64 s[26:27], s[44:45]
	s_cbranch_scc0 .LBB1053_86
; %bb.89:                               ;   in Loop: Header=BB1053_88 Depth=1
                                        ; implicit-def: $sgpr0_sgpr1
	s_mov_b64 s[44:45], s[26:27]
	s_branch .LBB1053_87
.LBB1053_90:
	s_or_b64 exec, exec, s[40:41]
	v_cmp_gt_i64_e32 vcc, s[26:27], v[16:17]
	s_orn2_b64 s[40:41], vcc, exec
.LBB1053_91:
	s_or_b64 exec, exec, s[36:37]
	s_and_b64 s[36:37], s[40:41], exec
.LBB1053_92:
	s_or_b64 exec, exec, s[38:39]
	v_cmp_gt_u32_e32 vcc, s7, v22
	s_and_b64 s[0:1], vcc, s[8:9]
	s_and_saveexec_b64 s[38:39], s[0:1]
	s_cbranch_execz .LBB1053_101
; %bb.93:
	v_pk_mov_b32 v[14:15], s[28:29], s[28:29] op_sel:[0,1]
	v_mad_u64_u32 v[12:13], s[0:1], v6, s26, v[14:15]
	s_waitcnt lgkmcnt(0)
	v_mul_lo_u32 v16, v6, s27
	v_mul_lo_u32 v17, v7, s26
	v_add3_u32 v13, v17, v13, v16
	v_mad_u64_u32 v[14:15], s[0:1], v8, s26, v[14:15]
	v_mul_lo_u32 v16, v8, s27
	v_mul_lo_u32 v17, v9, s26
	v_add3_u32 v15, v17, v15, v16
	global_load_ubyte v16, v[12:13], off
	global_load_ubyte v17, v[14:15], off
	s_waitcnt vmcnt(1)
	v_cmp_ne_u16_e32 vcc, 0, v16
	s_waitcnt vmcnt(0)
	v_cmp_ne_u16_e64 s[0:1], 0, v17
	s_xor_b64 s[18:19], vcc, s[0:1]
	s_mov_b64 s[0:1], -1
	s_xor_b64 s[40:41], s[18:19], -1
	s_and_saveexec_b64 s[18:19], s[40:41]
	s_cbranch_execz .LBB1053_100
; %bb.94:
	s_mov_b64 s[44:45], 1
	s_mov_b64 s[40:41], 0
                                        ; implicit-def: $sgpr42_sgpr43
	s_branch .LBB1053_97
.LBB1053_95:                            ;   in Loop: Header=BB1053_97 Depth=1
	v_mov_b32_e32 v19, s45
	v_add_co_u32_e32 v16, vcc, s44, v12
	v_addc_co_u32_e32 v17, vcc, v13, v19, vcc
	v_add_co_u32_e32 v18, vcc, s44, v14
	v_addc_co_u32_e32 v19, vcc, v15, v19, vcc
	global_load_ubyte v26, v[16:17], off
	global_load_ubyte v27, v[18:19], off
	s_waitcnt vmcnt(1)
	v_cmp_ne_u16_e32 vcc, 0, v26
	s_waitcnt vmcnt(0)
	v_cmp_ne_u16_e64 s[0:1], 0, v27
	s_xor_b64 s[46:47], vcc, s[0:1]
	s_add_u32 s0, s44, 1
	s_addc_u32 s1, s45, 0
	s_andn2_b64 s[42:43], s[42:43], exec
	s_and_b64 s[46:47], s[46:47], exec
	s_or_b64 s[42:43], s[42:43], s[46:47]
.LBB1053_96:                            ;   in Loop: Header=BB1053_97 Depth=1
	s_and_b64 s[46:47], exec, s[42:43]
	s_or_b64 s[40:41], s[46:47], s[40:41]
	v_pk_mov_b32 v[16:17], s[44:45], s[44:45] op_sel:[0,1]
	s_mov_b64 s[44:45], s[0:1]
	s_andn2_b64 exec, exec, s[40:41]
	s_cbranch_execz .LBB1053_99
.LBB1053_97:                            ; =>This Inner Loop Header: Depth=1
	s_or_b64 s[42:43], s[42:43], exec
	s_cmp_eq_u64 s[26:27], s[44:45]
	s_cbranch_scc0 .LBB1053_95
; %bb.98:                               ;   in Loop: Header=BB1053_97 Depth=1
                                        ; implicit-def: $sgpr0_sgpr1
	s_mov_b64 s[44:45], s[26:27]
	s_branch .LBB1053_96
.LBB1053_99:
	s_or_b64 exec, exec, s[40:41]
	v_cmp_gt_i64_e32 vcc, s[26:27], v[16:17]
	s_orn2_b64 s[0:1], vcc, exec
.LBB1053_100:
	s_or_b64 exec, exec, s[18:19]
	s_and_b64 s[18:19], s[0:1], exec
.LBB1053_101:
	s_or_b64 exec, exec, s[38:39]
	v_cmp_ne_u32_e32 vcc, 0, v0
	s_waitcnt lgkmcnt(0)
	v_pk_mov_b32 v[14:15], s[12:13], s[12:13] op_sel:[0,1]
	s_barrier
	s_and_saveexec_b64 s[0:1], vcc
	s_cbranch_execz .LBB1053_103
; %bb.102:
	v_add_u32_e32 v12, -8, v25
	ds_read_b64 v[14:15], v12
.LBB1053_103:
	s_or_b64 exec, exec, s[0:1]
	v_cndmask_b32_e64 v13, 0, 1, s[14:15]
	v_cndmask_b32_e64 v12, 0, 1, s[36:37]
	;; [unrolled: 1-line block ×3, first 2 shown]
	v_cmp_gt_u32_e32 vcc, s7, v1
	v_lshlrev_b16_e32 v13, 8, v13
	s_mov_b64 s[14:15], -1
	s_and_b64 s[0:1], vcc, s[8:9]
	v_lshlrev_b16_e32 v18, 8, v16
	v_or_b32_sdwa v19, v12, v13 dst_sel:WORD_1 dst_unused:UNUSED_PAD src0_sel:DWORD src1_sel:DWORD
	s_mov_b64 s[8:9], 0
	s_and_saveexec_b64 s[12:13], s[0:1]
	s_cbranch_execz .LBB1053_112
; %bb.104:
	v_pk_mov_b32 v[16:17], s[28:29], s[28:29] op_sel:[0,1]
	s_waitcnt lgkmcnt(0)
	v_mad_u64_u32 v[12:13], s[0:1], v14, s26, v[16:17]
	v_mul_lo_u32 v14, v14, s27
	v_mul_lo_u32 v15, v15, s26
	v_add3_u32 v13, v15, v13, v14
	v_mad_u64_u32 v[14:15], s[0:1], v6, s26, v[16:17]
	v_mul_lo_u32 v16, v6, s27
	v_mul_lo_u32 v17, v7, s26
	v_add3_u32 v15, v17, v15, v16
	global_load_ubyte v16, v[12:13], off
	global_load_ubyte v17, v[14:15], off
	s_waitcnt vmcnt(1)
	v_cmp_ne_u16_e32 vcc, 0, v16
	s_waitcnt vmcnt(0)
	v_cmp_ne_u16_e64 s[0:1], 0, v17
	s_xor_b64 s[0:1], vcc, s[0:1]
	s_xor_b64 s[0:1], s[0:1], -1
	s_and_saveexec_b64 s[8:9], s[0:1]
	s_cbranch_execz .LBB1053_111
; %bb.105:
	s_mov_b64 s[36:37], 1
	s_mov_b64 s[14:15], 0
                                        ; implicit-def: $sgpr18_sgpr19
	s_branch .LBB1053_108
.LBB1053_106:                           ;   in Loop: Header=BB1053_108 Depth=1
	v_mov_b32_e32 v25, s37
	v_add_co_u32_e32 v16, vcc, s36, v12
	v_addc_co_u32_e32 v17, vcc, v13, v25, vcc
	v_add_co_u32_e32 v26, vcc, s36, v14
	v_addc_co_u32_e32 v27, vcc, v15, v25, vcc
	global_load_ubyte v25, v[16:17], off
	global_load_ubyte v28, v[26:27], off
	s_waitcnt vmcnt(1)
	v_cmp_ne_u16_e32 vcc, 0, v25
	s_waitcnt vmcnt(0)
	v_cmp_ne_u16_e64 s[0:1], 0, v28
	s_xor_b64 s[38:39], vcc, s[0:1]
	s_add_u32 s0, s36, 1
	s_addc_u32 s1, s37, 0
	s_andn2_b64 s[18:19], s[18:19], exec
	s_and_b64 s[38:39], s[38:39], exec
	s_or_b64 s[18:19], s[18:19], s[38:39]
.LBB1053_107:                           ;   in Loop: Header=BB1053_108 Depth=1
	s_and_b64 s[38:39], exec, s[18:19]
	s_or_b64 s[14:15], s[38:39], s[14:15]
	v_pk_mov_b32 v[16:17], s[36:37], s[36:37] op_sel:[0,1]
	s_mov_b64 s[36:37], s[0:1]
	s_andn2_b64 exec, exec, s[14:15]
	s_cbranch_execz .LBB1053_110
.LBB1053_108:                           ; =>This Inner Loop Header: Depth=1
	s_or_b64 s[18:19], s[18:19], exec
	s_cmp_eq_u64 s[26:27], s[36:37]
	s_cbranch_scc0 .LBB1053_106
; %bb.109:                              ;   in Loop: Header=BB1053_108 Depth=1
                                        ; implicit-def: $sgpr0_sgpr1
	s_mov_b64 s[36:37], s[26:27]
	s_branch .LBB1053_107
.LBB1053_110:
	s_or_b64 exec, exec, s[14:15]
	v_cmp_gt_i64_e32 vcc, s[26:27], v[16:17]
	s_orn2_b64 s[14:15], vcc, exec
.LBB1053_111:
	s_or_b64 exec, exec, s[8:9]
	s_and_b64 s[8:9], s[14:15], exec
.LBB1053_112:
	s_or_b64 exec, exec, s[12:13]
	v_cndmask_b32_e64 v13, 0, 1, s[2:3]
	s_waitcnt lgkmcnt(0)
	v_or_b32_e32 v14, v18, v19
.LBB1053_113:
	s_waitcnt lgkmcnt(0)
	s_mov_b64 s[12:13], -1
	s_cbranch_execnz .LBB1053_211
.LBB1053_114:
	v_lshlrev_b32_e32 v12, 5, v0
	v_sub_u32_e32 v24, v24, v12
	v_cmp_lt_i64_e64 s[14:15], s[26:27], 1
	s_mov_b64 s[2:3], 0
	v_cmp_gt_i64_e64 s[8:9], s[26:27], 0
	s_and_b64 vcc, exec, s[34:35]
	ds_write_b64 v24, v[10:11]
	s_cbranch_vccz .LBB1053_122
; %bb.115:
	v_cndmask_b32_e64 v12, 0, 1, s[8:9]
	v_cmp_ne_u32_e64 s[0:1], 1, v12
	s_andn2_b64 vcc, exec, s[8:9]
	s_cbranch_vccnz .LBB1053_123
; %bb.116:
	v_pk_mov_b32 v[14:15], s[28:29], s[28:29] op_sel:[0,1]
	v_mad_u64_u32 v[12:13], s[2:3], v4, s26, v[14:15]
	v_mul_lo_u32 v16, v4, s27
	v_mul_lo_u32 v17, v5, s26
	v_add3_u32 v13, v17, v13, v16
	v_mad_u64_u32 v[14:15], s[2:3], v10, s26, v[14:15]
	v_mul_lo_u32 v16, v10, s27
	v_mul_lo_u32 v17, v11, s26
	v_add3_u32 v15, v17, v15, v16
	global_load_ubyte v16, v[12:13], off
	global_load_ubyte v17, v[14:15], off
	s_mov_b64 s[8:9], -1
	s_waitcnt vmcnt(1)
	v_cmp_ne_u16_e32 vcc, 0, v16
	s_waitcnt vmcnt(0)
	v_cmp_ne_u16_e64 s[2:3], 0, v17
	s_xor_b64 s[2:3], vcc, s[2:3]
	s_xor_b64 s[2:3], s[2:3], -1
	s_and_saveexec_b64 s[18:19], s[2:3]
	s_cbranch_execz .LBB1053_125
; %bb.117:
	s_mov_b64 s[40:41], 1
	s_mov_b64 s[36:37], 0
                                        ; implicit-def: $sgpr38_sgpr39
	s_branch .LBB1053_120
.LBB1053_118:                           ;   in Loop: Header=BB1053_120 Depth=1
	v_mov_b32_e32 v19, s41
	v_add_co_u32_e64 v16, s[2:3], s40, v12
	v_addc_co_u32_e64 v17, s[2:3], v13, v19, s[2:3]
	v_add_co_u32_e64 v18, s[2:3], s40, v14
	v_addc_co_u32_e64 v19, s[2:3], v15, v19, s[2:3]
	global_load_ubyte v25, v[16:17], off
	global_load_ubyte v26, v[18:19], off
	s_waitcnt vmcnt(1)
	v_cmp_ne_u16_e64 s[2:3], 0, v25
	s_waitcnt vmcnt(0)
	v_cmp_ne_u16_e64 s[8:9], 0, v26
	s_xor_b64 s[8:9], s[2:3], s[8:9]
	s_add_u32 s2, s40, 1
	s_addc_u32 s3, s41, 0
	s_andn2_b64 s[38:39], s[38:39], exec
	s_and_b64 s[8:9], s[8:9], exec
	s_or_b64 s[38:39], s[38:39], s[8:9]
.LBB1053_119:                           ;   in Loop: Header=BB1053_120 Depth=1
	s_and_b64 s[8:9], exec, s[38:39]
	s_or_b64 s[36:37], s[8:9], s[36:37]
	v_pk_mov_b32 v[16:17], s[40:41], s[40:41] op_sel:[0,1]
	s_mov_b64 s[40:41], s[2:3]
	s_andn2_b64 exec, exec, s[36:37]
	s_cbranch_execz .LBB1053_124
.LBB1053_120:                           ; =>This Inner Loop Header: Depth=1
	s_or_b64 s[38:39], s[38:39], exec
	s_cmp_eq_u64 s[26:27], s[40:41]
	s_cbranch_scc0 .LBB1053_118
; %bb.121:                              ;   in Loop: Header=BB1053_120 Depth=1
                                        ; implicit-def: $sgpr2_sgpr3
	s_mov_b64 s[40:41], s[26:27]
	s_branch .LBB1053_119
.LBB1053_122:
                                        ; implicit-def: $sgpr8_sgpr9
                                        ; implicit-def: $vgpr13
                                        ; implicit-def: $vgpr14
	s_cbranch_execnz .LBB1053_163
	s_branch .LBB1053_211
.LBB1053_123:
	v_mov_b32_e32 v25, 0
	s_branch .LBB1053_133
.LBB1053_124:
	s_or_b64 exec, exec, s[36:37]
	v_cmp_gt_i64_e64 s[2:3], s[26:27], v[16:17]
	s_orn2_b64 s[8:9], s[2:3], exec
.LBB1053_125:
	s_or_b64 exec, exec, s[18:19]
	v_pk_mov_b32 v[14:15], s[28:29], s[28:29] op_sel:[0,1]
	v_mad_u64_u32 v[14:15], s[2:3], v2, s26, v[14:15]
	v_mul_lo_u32 v16, v2, s27
	v_mul_lo_u32 v17, v3, s26
	v_add3_u32 v15, v17, v15, v16
	global_load_ubyte v16, v[14:15], off
	s_waitcnt vmcnt(0)
	v_cmp_ne_u16_e64 s[2:3], 0, v16
	s_xor_b64 s[18:19], vcc, s[2:3]
	s_mov_b64 s[2:3], -1
	s_xor_b64 s[36:37], s[18:19], -1
	s_and_saveexec_b64 s[18:19], s[36:37]
	s_cbranch_execz .LBB1053_132
; %bb.126:
	s_mov_b64 s[40:41], 1
	s_mov_b64 s[36:37], 0
                                        ; implicit-def: $sgpr38_sgpr39
	s_branch .LBB1053_129
.LBB1053_127:                           ;   in Loop: Header=BB1053_129 Depth=1
	v_mov_b32_e32 v19, s41
	v_add_co_u32_e32 v16, vcc, s40, v14
	v_addc_co_u32_e32 v17, vcc, v15, v19, vcc
	v_add_co_u32_e32 v18, vcc, s40, v12
	v_addc_co_u32_e32 v19, vcc, v13, v19, vcc
	global_load_ubyte v25, v[16:17], off
	global_load_ubyte v26, v[18:19], off
	s_waitcnt vmcnt(1)
	v_cmp_ne_u16_e32 vcc, 0, v25
	s_waitcnt vmcnt(0)
	v_cmp_ne_u16_e64 s[2:3], 0, v26
	s_xor_b64 s[42:43], vcc, s[2:3]
	s_add_u32 s2, s40, 1
	s_addc_u32 s3, s41, 0
	s_andn2_b64 s[38:39], s[38:39], exec
	s_and_b64 s[42:43], s[42:43], exec
	s_or_b64 s[38:39], s[38:39], s[42:43]
.LBB1053_128:                           ;   in Loop: Header=BB1053_129 Depth=1
	s_and_b64 s[42:43], exec, s[38:39]
	s_or_b64 s[36:37], s[42:43], s[36:37]
	v_pk_mov_b32 v[16:17], s[40:41], s[40:41] op_sel:[0,1]
	s_mov_b64 s[40:41], s[2:3]
	s_andn2_b64 exec, exec, s[36:37]
	s_cbranch_execz .LBB1053_131
.LBB1053_129:                           ; =>This Inner Loop Header: Depth=1
	s_or_b64 s[38:39], s[38:39], exec
	s_cmp_eq_u64 s[26:27], s[40:41]
	s_cbranch_scc0 .LBB1053_127
; %bb.130:                              ;   in Loop: Header=BB1053_129 Depth=1
                                        ; implicit-def: $sgpr2_sgpr3
	s_mov_b64 s[40:41], s[26:27]
	s_branch .LBB1053_128
.LBB1053_131:
	s_or_b64 exec, exec, s[36:37]
	v_cmp_gt_i64_e32 vcc, s[26:27], v[16:17]
	s_orn2_b64 s[2:3], vcc, exec
.LBB1053_132:
	s_or_b64 exec, exec, s[18:19]
	v_cndmask_b32_e64 v25, 0, 1, s[8:9]
.LBB1053_133:
	v_lshlrev_b16_e32 v12, 8, v0
	v_cndmask_b32_e64 v13, 0, 1, s[2:3]
	v_mov_b32_e32 v14, 8
	v_lshrrev_b32_sdwa v12, v14, v12 dst_sel:BYTE_1 dst_unused:UNUSED_PAD src0_sel:DWORD src1_sel:DWORD
	v_lshlrev_b16_e32 v13, 8, v13
	v_or_b32_sdwa v12, v0, v12 dst_sel:DWORD dst_unused:UNUSED_PAD src0_sel:BYTE_0 src1_sel:DWORD
	v_or_b32_sdwa v13, v0, v13 dst_sel:WORD_1 dst_unused:UNUSED_PAD src0_sel:BYTE_0 src1_sel:DWORD
	s_and_b64 vcc, exec, s[0:1]
	v_or_b32_sdwa v26, v12, v13 dst_sel:DWORD dst_unused:UNUSED_PAD src0_sel:WORD_0 src1_sel:DWORD
	s_cbranch_vccnz .LBB1053_140
; %bb.134:
	v_pk_mov_b32 v[14:15], s[28:29], s[28:29] op_sel:[0,1]
	v_mad_u64_u32 v[12:13], s[2:3], v8, s26, v[14:15]
	v_mul_lo_u32 v16, v8, s27
	v_mul_lo_u32 v17, v9, s26
	v_add3_u32 v13, v17, v13, v16
	v_mad_u64_u32 v[14:15], s[2:3], v2, s26, v[14:15]
	v_mul_lo_u32 v16, v2, s27
	v_mul_lo_u32 v17, v3, s26
	v_add3_u32 v15, v17, v15, v16
	global_load_ubyte v16, v[12:13], off
	global_load_ubyte v17, v[14:15], off
	s_waitcnt vmcnt(1)
	v_cmp_ne_u16_e32 vcc, 0, v16
	s_waitcnt vmcnt(0)
	v_cmp_ne_u16_e64 s[2:3], 0, v17
	s_xor_b64 s[8:9], vcc, s[2:3]
	s_mov_b64 s[2:3], -1
	s_xor_b64 s[8:9], s[8:9], -1
	s_and_saveexec_b64 s[18:19], s[8:9]
	s_cbranch_execz .LBB1053_142
; %bb.135:
	s_mov_b64 s[40:41], 1
	s_mov_b64 s[36:37], 0
                                        ; implicit-def: $sgpr38_sgpr39
	s_branch .LBB1053_138
.LBB1053_136:                           ;   in Loop: Header=BB1053_138 Depth=1
	v_mov_b32_e32 v19, s41
	v_add_co_u32_e64 v16, s[2:3], s40, v12
	v_addc_co_u32_e64 v17, s[2:3], v13, v19, s[2:3]
	v_add_co_u32_e64 v18, s[2:3], s40, v14
	v_addc_co_u32_e64 v19, s[2:3], v15, v19, s[2:3]
	global_load_ubyte v27, v[16:17], off
	global_load_ubyte v28, v[18:19], off
	s_waitcnt vmcnt(1)
	v_cmp_ne_u16_e64 s[2:3], 0, v27
	s_waitcnt vmcnt(0)
	v_cmp_ne_u16_e64 s[8:9], 0, v28
	s_xor_b64 s[8:9], s[2:3], s[8:9]
	s_add_u32 s2, s40, 1
	s_addc_u32 s3, s41, 0
	s_andn2_b64 s[38:39], s[38:39], exec
	s_and_b64 s[8:9], s[8:9], exec
	s_or_b64 s[38:39], s[38:39], s[8:9]
.LBB1053_137:                           ;   in Loop: Header=BB1053_138 Depth=1
	s_and_b64 s[8:9], exec, s[38:39]
	s_or_b64 s[36:37], s[8:9], s[36:37]
	v_pk_mov_b32 v[16:17], s[40:41], s[40:41] op_sel:[0,1]
	s_mov_b64 s[40:41], s[2:3]
	s_andn2_b64 exec, exec, s[36:37]
	s_cbranch_execz .LBB1053_141
.LBB1053_138:                           ; =>This Inner Loop Header: Depth=1
	s_or_b64 s[38:39], s[38:39], exec
	s_cmp_eq_u64 s[26:27], s[40:41]
	s_cbranch_scc0 .LBB1053_136
; %bb.139:                              ;   in Loop: Header=BB1053_138 Depth=1
                                        ; implicit-def: $sgpr2_sgpr3
	s_mov_b64 s[40:41], s[26:27]
	s_branch .LBB1053_137
.LBB1053_140:
                                        ; implicit-def: $sgpr2_sgpr3
                                        ; implicit-def: $vgpr14_vgpr15
	s_cbranch_execnz .LBB1053_150
	s_branch .LBB1053_151
.LBB1053_141:
	s_or_b64 exec, exec, s[36:37]
	v_cmp_gt_i64_e64 s[2:3], s[26:27], v[16:17]
	s_orn2_b64 s[2:3], s[2:3], exec
.LBB1053_142:
	s_or_b64 exec, exec, s[18:19]
	v_pk_mov_b32 v[14:15], s[28:29], s[28:29] op_sel:[0,1]
	v_mad_u64_u32 v[16:17], s[8:9], v6, s26, v[14:15]
	v_mul_lo_u32 v14, v6, s27
	v_mul_lo_u32 v15, v7, s26
	v_add3_u32 v17, v15, v17, v14
	global_load_ubyte v18, v[16:17], off
	v_cndmask_b32_e64 v14, 0, 1, s[2:3]
	s_movk_i32 s2, 0xff
	v_mov_b32_e32 v15, 8
	v_lshrrev_b32_e32 v19, 24, v26
	v_lshrrev_b32_sdwa v27, v15, v26 dst_sel:BYTE_1 dst_unused:UNUSED_PAD src0_sel:DWORD src1_sel:DWORD
	v_lshlrev_b16_e32 v19, 8, v19
	v_and_b32_sdwa v15, v25, s2 dst_sel:DWORD dst_unused:UNUSED_PAD src0_sel:WORD_0 src1_sel:DWORD
	v_or_b32_sdwa v27, v26, v27 dst_sel:DWORD dst_unused:UNUSED_PAD src0_sel:BYTE_0 src1_sel:DWORD
	v_or_b32_sdwa v14, v14, v19 dst_sel:WORD_1 dst_unused:UNUSED_PAD src0_sel:DWORD src1_sel:DWORD
	v_or_b32_sdwa v14, v27, v14 dst_sel:DWORD dst_unused:UNUSED_PAD src0_sel:WORD_0 src1_sel:DWORD
	s_waitcnt vmcnt(0)
	v_cmp_ne_u16_e64 s[2:3], 0, v18
	s_xor_b64 s[8:9], vcc, s[2:3]
	s_mov_b64 s[2:3], -1
	s_xor_b64 s[18:19], s[8:9], -1
	s_and_saveexec_b64 s[8:9], s[18:19]
	s_cbranch_execz .LBB1053_149
; %bb.143:
	s_mov_b64 s[38:39], 1
	s_mov_b64 s[18:19], 0
                                        ; implicit-def: $sgpr36_sgpr37
	s_branch .LBB1053_146
.LBB1053_144:                           ;   in Loop: Header=BB1053_146 Depth=1
	v_mov_b32_e32 v27, s39
	v_add_co_u32_e32 v18, vcc, s38, v16
	v_addc_co_u32_e32 v19, vcc, v17, v27, vcc
	v_add_co_u32_e32 v28, vcc, s38, v12
	v_addc_co_u32_e32 v29, vcc, v13, v27, vcc
	global_load_ubyte v27, v[18:19], off
	global_load_ubyte v30, v[28:29], off
	s_waitcnt vmcnt(1)
	v_cmp_ne_u16_e32 vcc, 0, v27
	s_waitcnt vmcnt(0)
	v_cmp_ne_u16_e64 s[2:3], 0, v30
	s_xor_b64 s[40:41], vcc, s[2:3]
	s_add_u32 s2, s38, 1
	s_addc_u32 s3, s39, 0
	s_andn2_b64 s[36:37], s[36:37], exec
	s_and_b64 s[40:41], s[40:41], exec
	s_or_b64 s[36:37], s[36:37], s[40:41]
.LBB1053_145:                           ;   in Loop: Header=BB1053_146 Depth=1
	s_and_b64 s[40:41], exec, s[36:37]
	s_or_b64 s[18:19], s[40:41], s[18:19]
	v_pk_mov_b32 v[18:19], s[38:39], s[38:39] op_sel:[0,1]
	s_mov_b64 s[38:39], s[2:3]
	s_andn2_b64 exec, exec, s[18:19]
	s_cbranch_execz .LBB1053_148
.LBB1053_146:                           ; =>This Inner Loop Header: Depth=1
	s_or_b64 s[36:37], s[36:37], exec
	s_cmp_eq_u64 s[26:27], s[38:39]
	s_cbranch_scc0 .LBB1053_144
; %bb.147:                              ;   in Loop: Header=BB1053_146 Depth=1
                                        ; implicit-def: $sgpr2_sgpr3
	s_mov_b64 s[38:39], s[26:27]
	s_branch .LBB1053_145
.LBB1053_148:
	s_or_b64 exec, exec, s[18:19]
	v_cmp_gt_i64_e32 vcc, s[26:27], v[18:19]
	s_orn2_b64 s[2:3], vcc, exec
.LBB1053_149:
	s_or_b64 exec, exec, s[8:9]
	s_branch .LBB1053_151
.LBB1053_150:
	v_mov_b32_e32 v12, 8
	v_lshrrev_b32_sdwa v12, v12, v26 dst_sel:BYTE_1 dst_unused:UNUSED_PAD src0_sel:DWORD src1_sel:DWORD
	v_or_b32_sdwa v12, v26, v12 dst_sel:DWORD dst_unused:UNUSED_PAD src0_sel:BYTE_0 src1_sel:DWORD
	s_movk_i32 s8, 0xff
	v_and_b32_e32 v12, 0xffff, v12
	s_mov_b32 s9, 0xff000000
	v_and_or_b32 v14, v26, s9, v12
	v_and_b32_sdwa v15, v25, s8 dst_sel:DWORD dst_unused:UNUSED_PAD src0_sel:WORD_0 src1_sel:DWORD
	s_andn2_b64 s[2:3], s[2:3], exec
.LBB1053_151:
	v_cndmask_b32_e64 v12, 0, 1, s[2:3]
	v_lshrrev_b32_e32 v13, 24, v14
	s_movk_i32 s2, 0xff
	v_lshlrev_b16_e32 v13, 8, v13
	v_and_b32_sdwa v14, v14, s2 dst_sel:DWORD dst_unused:UNUSED_PAD src0_sel:WORD_1 src1_sel:DWORD
	v_lshlrev_b16_e32 v12, 8, v12
	v_or_b32_sdwa v13, v14, v13 dst_sel:WORD_1 dst_unused:UNUSED_PAD src0_sel:DWORD src1_sel:DWORD
	v_or_b32_e32 v12, 1, v12
	v_or_b32_sdwa v12, v12, v13 dst_sel:DWORD dst_unused:UNUSED_PAD src0_sel:WORD_0 src1_sel:DWORD
	v_and_b32_e32 v13, 0xff, v15
	v_cmp_ne_u32_e32 vcc, 0, v0
	s_waitcnt lgkmcnt(0)
	s_barrier
	s_waitcnt lgkmcnt(0)
                                        ; implicit-def: $sgpr8_sgpr9
                                        ; implicit-def: $vgpr14
	s_and_saveexec_b64 s[2:3], vcc
	s_xor_b64 s[2:3], exec, s[2:3]
	s_cbranch_execz .LBB1053_162
; %bb.152:
	s_mov_b32 s33, 0x3020104
	s_and_b64 vcc, exec, s[0:1]
	s_mov_b64 s[0:1], 0
	s_cbranch_vccnz .LBB1053_161
; %bb.153:
	v_add_u32_e32 v14, -8, v24
	ds_read_b64 v[14:15], v14
	v_pk_mov_b32 v[16:17], s[28:29], s[28:29] op_sel:[0,1]
	s_waitcnt lgkmcnt(0)
	v_mul_lo_u32 v18, v14, s27
	v_mul_lo_u32 v19, v15, s26
	v_mad_u64_u32 v[14:15], s[0:1], v14, s26, v[16:17]
	v_add3_u32 v15, v19, v15, v18
	v_mad_u64_u32 v[16:17], s[0:1], v6, s26, v[16:17]
	v_mul_lo_u32 v18, v6, s27
	v_mul_lo_u32 v19, v7, s26
	v_add3_u32 v17, v19, v17, v18
	global_load_ubyte v18, v[14:15], off
	global_load_ubyte v19, v[16:17], off
	s_waitcnt vmcnt(1)
	v_cmp_ne_u16_e32 vcc, 0, v18
	s_waitcnt vmcnt(0)
	v_cmp_ne_u16_e64 s[0:1], 0, v19
	s_xor_b64 s[8:9], vcc, s[0:1]
	s_mov_b64 s[0:1], -1
	s_xor_b64 s[18:19], s[8:9], -1
	s_and_saveexec_b64 s[8:9], s[18:19]
	s_cbranch_execz .LBB1053_160
; %bb.154:
	s_mov_b64 s[38:39], 1
	s_mov_b64 s[18:19], 0
                                        ; implicit-def: $sgpr36_sgpr37
	s_branch .LBB1053_157
.LBB1053_155:                           ;   in Loop: Header=BB1053_157 Depth=1
	v_mov_b32_e32 v25, s39
	v_add_co_u32_e32 v18, vcc, s38, v14
	v_addc_co_u32_e32 v19, vcc, v15, v25, vcc
	v_add_co_u32_e32 v26, vcc, s38, v16
	v_addc_co_u32_e32 v27, vcc, v17, v25, vcc
	global_load_ubyte v25, v[18:19], off
	global_load_ubyte v28, v[26:27], off
	s_waitcnt vmcnt(1)
	v_cmp_ne_u16_e32 vcc, 0, v25
	s_waitcnt vmcnt(0)
	v_cmp_ne_u16_e64 s[0:1], 0, v28
	s_xor_b64 s[40:41], vcc, s[0:1]
	s_add_u32 s0, s38, 1
	s_addc_u32 s1, s39, 0
	s_andn2_b64 s[36:37], s[36:37], exec
	s_and_b64 s[40:41], s[40:41], exec
	s_or_b64 s[36:37], s[36:37], s[40:41]
.LBB1053_156:                           ;   in Loop: Header=BB1053_157 Depth=1
	s_and_b64 s[40:41], exec, s[36:37]
	s_or_b64 s[18:19], s[40:41], s[18:19]
	v_pk_mov_b32 v[18:19], s[38:39], s[38:39] op_sel:[0,1]
	s_mov_b64 s[38:39], s[0:1]
	s_andn2_b64 exec, exec, s[18:19]
	s_cbranch_execz .LBB1053_159
.LBB1053_157:                           ; =>This Inner Loop Header: Depth=1
	s_or_b64 s[36:37], s[36:37], exec
	s_cmp_eq_u64 s[26:27], s[38:39]
	s_cbranch_scc0 .LBB1053_155
; %bb.158:                              ;   in Loop: Header=BB1053_157 Depth=1
                                        ; implicit-def: $sgpr0_sgpr1
	s_mov_b64 s[38:39], s[26:27]
	s_branch .LBB1053_156
.LBB1053_159:
	s_or_b64 exec, exec, s[18:19]
	v_cmp_gt_i64_e32 vcc, s[26:27], v[18:19]
	s_orn2_b64 s[0:1], vcc, exec
.LBB1053_160:
	s_or_b64 exec, exec, s[8:9]
.LBB1053_161:
	v_perm_b32 v14, v12, v12, s33
	s_and_b64 s[8:9], s[0:1], exec
	s_or_b64 s[12:13], s[12:13], exec
.LBB1053_162:
	s_or_b64 exec, exec, s[2:3]
	s_branch .LBB1053_211
.LBB1053_163:
	v_cmp_gt_u32_e32 vcc, s7, v21
	s_xor_b64 s[2:3], s[14:15], -1
	s_mov_b64 s[36:37], -1
	s_and_b64 s[0:1], vcc, s[2:3]
	s_mov_b64 s[14:15], 0
	v_mul_lo_u32 v25, v4, s27
	v_mul_lo_u32 v26, v5, s26
	s_mov_b64 s[8:9], 0
	s_and_saveexec_b64 s[18:19], s[0:1]
	s_cbranch_execz .LBB1053_172
; %bb.164:
	v_pk_mov_b32 v[14:15], s[28:29], s[28:29] op_sel:[0,1]
	v_mad_u64_u32 v[12:13], s[0:1], v4, s26, v[14:15]
	v_add3_u32 v13, v26, v13, v25
	v_mad_u64_u32 v[14:15], s[0:1], v10, s26, v[14:15]
	v_mul_lo_u32 v16, v10, s27
	v_mul_lo_u32 v17, v11, s26
	v_add3_u32 v15, v17, v15, v16
	global_load_ubyte v16, v[12:13], off
	global_load_ubyte v17, v[14:15], off
	s_waitcnt vmcnt(1)
	v_cmp_ne_u16_e32 vcc, 0, v16
	s_waitcnt vmcnt(0)
	v_cmp_ne_u16_e64 s[0:1], 0, v17
	s_xor_b64 s[0:1], vcc, s[0:1]
	s_xor_b64 s[0:1], s[0:1], -1
	s_and_saveexec_b64 s[8:9], s[0:1]
	s_cbranch_execz .LBB1053_171
; %bb.165:
	s_mov_b64 s[40:41], 1
	s_mov_b64 s[36:37], 0
                                        ; implicit-def: $sgpr38_sgpr39
	s_branch .LBB1053_168
.LBB1053_166:                           ;   in Loop: Header=BB1053_168 Depth=1
	v_mov_b32_e32 v19, s41
	v_add_co_u32_e32 v16, vcc, s40, v12
	v_addc_co_u32_e32 v17, vcc, v13, v19, vcc
	v_add_co_u32_e32 v18, vcc, s40, v14
	v_addc_co_u32_e32 v19, vcc, v15, v19, vcc
	global_load_ubyte v27, v[16:17], off
	global_load_ubyte v28, v[18:19], off
	s_waitcnt vmcnt(1)
	v_cmp_ne_u16_e32 vcc, 0, v27
	s_waitcnt vmcnt(0)
	v_cmp_ne_u16_e64 s[0:1], 0, v28
	s_xor_b64 s[42:43], vcc, s[0:1]
	s_add_u32 s0, s40, 1
	s_addc_u32 s1, s41, 0
	s_andn2_b64 s[38:39], s[38:39], exec
	s_and_b64 s[42:43], s[42:43], exec
	s_or_b64 s[38:39], s[38:39], s[42:43]
.LBB1053_167:                           ;   in Loop: Header=BB1053_168 Depth=1
	s_and_b64 s[42:43], exec, s[38:39]
	s_or_b64 s[36:37], s[42:43], s[36:37]
	v_pk_mov_b32 v[16:17], s[40:41], s[40:41] op_sel:[0,1]
	s_mov_b64 s[40:41], s[0:1]
	s_andn2_b64 exec, exec, s[36:37]
	s_cbranch_execz .LBB1053_170
.LBB1053_168:                           ; =>This Inner Loop Header: Depth=1
	s_or_b64 s[38:39], s[38:39], exec
	s_cmp_eq_u64 s[26:27], s[40:41]
	s_cbranch_scc0 .LBB1053_166
; %bb.169:                              ;   in Loop: Header=BB1053_168 Depth=1
                                        ; implicit-def: $sgpr0_sgpr1
	s_mov_b64 s[40:41], s[26:27]
	s_branch .LBB1053_167
.LBB1053_170:
	s_or_b64 exec, exec, s[36:37]
	v_cmp_gt_i64_e32 vcc, s[26:27], v[16:17]
	s_orn2_b64 s[36:37], vcc, exec
.LBB1053_171:
	s_or_b64 exec, exec, s[8:9]
	s_and_b64 s[8:9], s[36:37], exec
.LBB1053_172:
	s_or_b64 exec, exec, s[18:19]
	v_cmp_gt_u32_e32 vcc, s7, v23
	s_and_b64 s[0:1], vcc, s[2:3]
	v_mul_lo_u32 v18, v2, s27
	v_mul_lo_u32 v19, v3, s26
	s_and_saveexec_b64 s[18:19], s[0:1]
	s_cbranch_execz .LBB1053_181
; %bb.173:
	v_pk_mov_b32 v[14:15], s[28:29], s[28:29] op_sel:[0,1]
	v_mad_u64_u32 v[12:13], s[0:1], v2, s26, v[14:15]
	v_add3_u32 v13, v19, v13, v18
	v_mad_u64_u32 v[14:15], s[0:1], v4, s26, v[14:15]
	v_add3_u32 v15, v26, v15, v25
	global_load_ubyte v16, v[12:13], off
	global_load_ubyte v17, v[14:15], off
	s_waitcnt vmcnt(1)
	v_cmp_ne_u16_e32 vcc, 0, v16
	s_waitcnt vmcnt(0)
	v_cmp_ne_u16_e64 s[0:1], 0, v17
	s_xor_b64 s[14:15], vcc, s[0:1]
	s_mov_b64 s[0:1], -1
	s_xor_b64 s[36:37], s[14:15], -1
	s_and_saveexec_b64 s[14:15], s[36:37]
	s_cbranch_execz .LBB1053_180
; %bb.174:
	s_mov_b64 s[40:41], 1
	s_mov_b64 s[36:37], 0
                                        ; implicit-def: $sgpr38_sgpr39
	s_branch .LBB1053_177
.LBB1053_175:                           ;   in Loop: Header=BB1053_177 Depth=1
	v_mov_b32_e32 v25, s41
	v_add_co_u32_e32 v16, vcc, s40, v12
	v_addc_co_u32_e32 v17, vcc, v13, v25, vcc
	v_add_co_u32_e32 v26, vcc, s40, v14
	v_addc_co_u32_e32 v27, vcc, v15, v25, vcc
	global_load_ubyte v25, v[16:17], off
	global_load_ubyte v28, v[26:27], off
	s_waitcnt vmcnt(1)
	v_cmp_ne_u16_e32 vcc, 0, v25
	s_waitcnt vmcnt(0)
	v_cmp_ne_u16_e64 s[0:1], 0, v28
	s_xor_b64 s[42:43], vcc, s[0:1]
	s_add_u32 s0, s40, 1
	s_addc_u32 s1, s41, 0
	s_andn2_b64 s[38:39], s[38:39], exec
	s_and_b64 s[42:43], s[42:43], exec
	s_or_b64 s[38:39], s[38:39], s[42:43]
.LBB1053_176:                           ;   in Loop: Header=BB1053_177 Depth=1
	s_and_b64 s[42:43], exec, s[38:39]
	s_or_b64 s[36:37], s[42:43], s[36:37]
	v_pk_mov_b32 v[16:17], s[40:41], s[40:41] op_sel:[0,1]
	s_mov_b64 s[40:41], s[0:1]
	s_andn2_b64 exec, exec, s[36:37]
	s_cbranch_execz .LBB1053_179
.LBB1053_177:                           ; =>This Inner Loop Header: Depth=1
	s_or_b64 s[38:39], s[38:39], exec
	s_cmp_eq_u64 s[26:27], s[40:41]
	s_cbranch_scc0 .LBB1053_175
; %bb.178:                              ;   in Loop: Header=BB1053_177 Depth=1
                                        ; implicit-def: $sgpr0_sgpr1
	s_mov_b64 s[40:41], s[26:27]
	s_branch .LBB1053_176
.LBB1053_179:
	s_or_b64 exec, exec, s[36:37]
	v_cmp_gt_i64_e32 vcc, s[26:27], v[16:17]
	s_orn2_b64 s[0:1], vcc, exec
.LBB1053_180:
	s_or_b64 exec, exec, s[14:15]
	s_and_b64 s[14:15], s[0:1], exec
.LBB1053_181:
	s_or_b64 exec, exec, s[18:19]
	v_cmp_gt_u32_e32 vcc, s7, v20
	s_mov_b64 s[40:41], -1
	s_and_b64 s[0:1], vcc, s[2:3]
	s_mov_b64 s[18:19], 0
	v_mul_lo_u32 v25, v8, s27
	v_mul_lo_u32 v26, v9, s26
	s_mov_b64 s[36:37], 0
	s_and_saveexec_b64 s[38:39], s[0:1]
	s_cbranch_execz .LBB1053_190
; %bb.182:
	v_pk_mov_b32 v[14:15], s[28:29], s[28:29] op_sel:[0,1]
	v_mad_u64_u32 v[12:13], s[0:1], v8, s26, v[14:15]
	v_add3_u32 v13, v26, v13, v25
	v_mad_u64_u32 v[14:15], s[0:1], v2, s26, v[14:15]
	v_add3_u32 v15, v19, v15, v18
	global_load_ubyte v16, v[12:13], off
	global_load_ubyte v17, v[14:15], off
	s_waitcnt vmcnt(1)
	v_cmp_ne_u16_e32 vcc, 0, v16
	s_waitcnt vmcnt(0)
	v_cmp_ne_u16_e64 s[0:1], 0, v17
	s_xor_b64 s[0:1], vcc, s[0:1]
	s_xor_b64 s[0:1], s[0:1], -1
	s_and_saveexec_b64 s[36:37], s[0:1]
	s_cbranch_execz .LBB1053_189
; %bb.183:
	s_mov_b64 s[44:45], 1
	s_mov_b64 s[40:41], 0
                                        ; implicit-def: $sgpr42_sgpr43
	s_branch .LBB1053_186
.LBB1053_184:                           ;   in Loop: Header=BB1053_186 Depth=1
	v_mov_b32_e32 v19, s45
	v_add_co_u32_e32 v16, vcc, s44, v12
	v_addc_co_u32_e32 v17, vcc, v13, v19, vcc
	v_add_co_u32_e32 v18, vcc, s44, v14
	v_addc_co_u32_e32 v19, vcc, v15, v19, vcc
	global_load_ubyte v27, v[16:17], off
	global_load_ubyte v28, v[18:19], off
	s_waitcnt vmcnt(1)
	v_cmp_ne_u16_e32 vcc, 0, v27
	s_waitcnt vmcnt(0)
	v_cmp_ne_u16_e64 s[0:1], 0, v28
	s_xor_b64 s[46:47], vcc, s[0:1]
	s_add_u32 s0, s44, 1
	s_addc_u32 s1, s45, 0
	s_andn2_b64 s[42:43], s[42:43], exec
	s_and_b64 s[46:47], s[46:47], exec
	s_or_b64 s[42:43], s[42:43], s[46:47]
.LBB1053_185:                           ;   in Loop: Header=BB1053_186 Depth=1
	s_and_b64 s[46:47], exec, s[42:43]
	s_or_b64 s[40:41], s[46:47], s[40:41]
	v_pk_mov_b32 v[16:17], s[44:45], s[44:45] op_sel:[0,1]
	s_mov_b64 s[44:45], s[0:1]
	s_andn2_b64 exec, exec, s[40:41]
	s_cbranch_execz .LBB1053_188
.LBB1053_186:                           ; =>This Inner Loop Header: Depth=1
	s_or_b64 s[42:43], s[42:43], exec
	s_cmp_eq_u64 s[26:27], s[44:45]
	s_cbranch_scc0 .LBB1053_184
; %bb.187:                              ;   in Loop: Header=BB1053_186 Depth=1
                                        ; implicit-def: $sgpr0_sgpr1
	s_mov_b64 s[44:45], s[26:27]
	s_branch .LBB1053_185
.LBB1053_188:
	s_or_b64 exec, exec, s[40:41]
	v_cmp_gt_i64_e32 vcc, s[26:27], v[16:17]
	s_orn2_b64 s[40:41], vcc, exec
.LBB1053_189:
	s_or_b64 exec, exec, s[36:37]
	s_and_b64 s[36:37], s[40:41], exec
.LBB1053_190:
	s_or_b64 exec, exec, s[38:39]
	v_cmp_gt_u32_e32 vcc, s7, v22
	s_and_b64 s[0:1], vcc, s[2:3]
	s_and_saveexec_b64 s[38:39], s[0:1]
	s_cbranch_execz .LBB1053_199
; %bb.191:
	v_pk_mov_b32 v[14:15], s[28:29], s[28:29] op_sel:[0,1]
	v_mad_u64_u32 v[12:13], s[0:1], v6, s26, v[14:15]
	v_mul_lo_u32 v16, v6, s27
	v_mul_lo_u32 v17, v7, s26
	v_add3_u32 v13, v17, v13, v16
	v_mad_u64_u32 v[14:15], s[0:1], v8, s26, v[14:15]
	v_add3_u32 v15, v26, v15, v25
	global_load_ubyte v16, v[12:13], off
	global_load_ubyte v17, v[14:15], off
	s_waitcnt vmcnt(1)
	v_cmp_ne_u16_e32 vcc, 0, v16
	s_waitcnt vmcnt(0)
	v_cmp_ne_u16_e64 s[0:1], 0, v17
	s_xor_b64 s[18:19], vcc, s[0:1]
	s_mov_b64 s[0:1], -1
	s_xor_b64 s[40:41], s[18:19], -1
	s_and_saveexec_b64 s[18:19], s[40:41]
	s_cbranch_execz .LBB1053_198
; %bb.192:
	s_mov_b64 s[44:45], 1
	s_mov_b64 s[40:41], 0
                                        ; implicit-def: $sgpr42_sgpr43
	s_branch .LBB1053_195
.LBB1053_193:                           ;   in Loop: Header=BB1053_195 Depth=1
	v_mov_b32_e32 v19, s45
	v_add_co_u32_e32 v16, vcc, s44, v12
	v_addc_co_u32_e32 v17, vcc, v13, v19, vcc
	v_add_co_u32_e32 v18, vcc, s44, v14
	v_addc_co_u32_e32 v19, vcc, v15, v19, vcc
	global_load_ubyte v25, v[16:17], off
	global_load_ubyte v26, v[18:19], off
	s_waitcnt vmcnt(1)
	v_cmp_ne_u16_e32 vcc, 0, v25
	s_waitcnt vmcnt(0)
	v_cmp_ne_u16_e64 s[0:1], 0, v26
	s_xor_b64 s[46:47], vcc, s[0:1]
	s_add_u32 s0, s44, 1
	s_addc_u32 s1, s45, 0
	s_andn2_b64 s[42:43], s[42:43], exec
	s_and_b64 s[46:47], s[46:47], exec
	s_or_b64 s[42:43], s[42:43], s[46:47]
.LBB1053_194:                           ;   in Loop: Header=BB1053_195 Depth=1
	s_and_b64 s[46:47], exec, s[42:43]
	s_or_b64 s[40:41], s[46:47], s[40:41]
	v_pk_mov_b32 v[16:17], s[44:45], s[44:45] op_sel:[0,1]
	s_mov_b64 s[44:45], s[0:1]
	s_andn2_b64 exec, exec, s[40:41]
	s_cbranch_execz .LBB1053_197
.LBB1053_195:                           ; =>This Inner Loop Header: Depth=1
	s_or_b64 s[42:43], s[42:43], exec
	s_cmp_eq_u64 s[26:27], s[44:45]
	s_cbranch_scc0 .LBB1053_193
; %bb.196:                              ;   in Loop: Header=BB1053_195 Depth=1
                                        ; implicit-def: $sgpr0_sgpr1
	s_mov_b64 s[44:45], s[26:27]
	s_branch .LBB1053_194
.LBB1053_197:
	s_or_b64 exec, exec, s[40:41]
	v_cmp_gt_i64_e32 vcc, s[26:27], v[16:17]
	s_orn2_b64 s[0:1], vcc, exec
.LBB1053_198:
	s_or_b64 exec, exec, s[18:19]
	s_and_b64 s[18:19], s[0:1], exec
.LBB1053_199:
	s_or_b64 exec, exec, s[38:39]
	v_cndmask_b32_e64 v13, 0, 1, s[14:15]
	v_cndmask_b32_e64 v14, 0, 1, s[18:19]
	;; [unrolled: 1-line block ×3, first 2 shown]
	v_lshlrev_b16_e32 v14, 8, v14
	v_lshlrev_b16_e32 v13, 8, v13
	v_or_b32_e32 v14, 1, v14
	v_or_b32_sdwa v12, v12, v13 dst_sel:WORD_1 dst_unused:UNUSED_PAD src0_sel:DWORD src1_sel:DWORD
	v_or_b32_sdwa v12, v14, v12 dst_sel:DWORD dst_unused:UNUSED_PAD src0_sel:WORD_0 src1_sel:DWORD
	v_cndmask_b32_e64 v13, 0, 1, s[8:9]
	v_cmp_ne_u32_e32 vcc, 0, v0
	s_waitcnt lgkmcnt(0)
	s_barrier
	s_waitcnt lgkmcnt(0)
                                        ; implicit-def: $sgpr8_sgpr9
                                        ; implicit-def: $vgpr14
	s_and_saveexec_b64 s[14:15], vcc
	s_cbranch_execz .LBB1053_210
; %bb.200:
	v_cmp_gt_u32_e32 vcc, s7, v1
	s_mov_b64 s[18:19], -1
	s_and_b64 s[8:9], vcc, s[2:3]
	s_mov_b32 s33, 0x3020104
	s_mov_b64 s[0:1], 0
	s_and_saveexec_b64 s[2:3], s[8:9]
	s_cbranch_execz .LBB1053_209
; %bb.201:
	v_add_u32_e32 v14, -8, v24
	ds_read_b64 v[14:15], v14
	v_pk_mov_b32 v[16:17], s[28:29], s[28:29] op_sel:[0,1]
	s_waitcnt lgkmcnt(0)
	v_mul_lo_u32 v18, v14, s27
	v_mul_lo_u32 v19, v15, s26
	v_mad_u64_u32 v[14:15], s[0:1], v14, s26, v[16:17]
	v_add3_u32 v15, v19, v15, v18
	v_mad_u64_u32 v[16:17], s[0:1], v6, s26, v[16:17]
	v_mul_lo_u32 v18, v6, s27
	v_mul_lo_u32 v19, v7, s26
	v_add3_u32 v17, v19, v17, v18
	global_load_ubyte v18, v[14:15], off
	global_load_ubyte v19, v[16:17], off
	s_waitcnt vmcnt(1)
	v_cmp_ne_u16_e32 vcc, 0, v18
	s_waitcnt vmcnt(0)
	v_cmp_ne_u16_e64 s[0:1], 0, v19
	s_xor_b64 s[0:1], vcc, s[0:1]
	s_xor_b64 s[0:1], s[0:1], -1
	s_and_saveexec_b64 s[8:9], s[0:1]
	s_cbranch_execz .LBB1053_208
; %bb.202:
	s_mov_b64 s[36:37], 1
	s_mov_b64 s[18:19], 0
                                        ; implicit-def: $sgpr28_sgpr29
	s_branch .LBB1053_205
.LBB1053_203:                           ;   in Loop: Header=BB1053_205 Depth=1
	v_mov_b32_e32 v25, s37
	v_add_co_u32_e32 v18, vcc, s36, v14
	v_addc_co_u32_e32 v19, vcc, v15, v25, vcc
	v_add_co_u32_e32 v24, vcc, s36, v16
	v_addc_co_u32_e32 v25, vcc, v17, v25, vcc
	global_load_ubyte v26, v[18:19], off
	global_load_ubyte v27, v[24:25], off
	s_waitcnt vmcnt(1)
	v_cmp_ne_u16_e32 vcc, 0, v26
	s_waitcnt vmcnt(0)
	v_cmp_ne_u16_e64 s[0:1], 0, v27
	s_xor_b64 s[38:39], vcc, s[0:1]
	s_add_u32 s0, s36, 1
	s_addc_u32 s1, s37, 0
	s_andn2_b64 s[28:29], s[28:29], exec
	s_and_b64 s[38:39], s[38:39], exec
	s_or_b64 s[28:29], s[28:29], s[38:39]
.LBB1053_204:                           ;   in Loop: Header=BB1053_205 Depth=1
	s_and_b64 s[38:39], exec, s[28:29]
	s_or_b64 s[18:19], s[38:39], s[18:19]
	v_pk_mov_b32 v[18:19], s[36:37], s[36:37] op_sel:[0,1]
	s_mov_b64 s[36:37], s[0:1]
	s_andn2_b64 exec, exec, s[18:19]
	s_cbranch_execz .LBB1053_207
.LBB1053_205:                           ; =>This Inner Loop Header: Depth=1
	s_or_b64 s[28:29], s[28:29], exec
	s_cmp_eq_u64 s[26:27], s[36:37]
	s_cbranch_scc0 .LBB1053_203
; %bb.206:                              ;   in Loop: Header=BB1053_205 Depth=1
                                        ; implicit-def: $sgpr0_sgpr1
	s_mov_b64 s[36:37], s[26:27]
	s_branch .LBB1053_204
.LBB1053_207:
	s_or_b64 exec, exec, s[18:19]
	v_cmp_gt_i64_e32 vcc, s[26:27], v[18:19]
	s_orn2_b64 s[18:19], vcc, exec
.LBB1053_208:
	s_or_b64 exec, exec, s[8:9]
	s_and_b64 s[0:1], s[18:19], exec
.LBB1053_209:
	s_or_b64 exec, exec, s[2:3]
	v_perm_b32 v14, v12, v12, s33
	s_and_b64 s[8:9], s[0:1], exec
	s_or_b64 s[12:13], s[12:13], exec
.LBB1053_210:
	s_or_b64 exec, exec, s[14:15]
.LBB1053_211:
	s_and_saveexec_b64 s[0:1], s[12:13]
	s_cbranch_execz .LBB1053_213
; %bb.212:
	v_lshrrev_b32_e32 v15, 24, v14
	s_movk_i32 s2, 0xff
	v_lshlrev_b16_e32 v15, 8, v15
	v_and_b32_sdwa v16, v14, s2 dst_sel:DWORD dst_unused:UNUSED_PAD src0_sel:WORD_1 src1_sel:DWORD
	v_or_b32_sdwa v15, v16, v15 dst_sel:WORD_1 dst_unused:UNUSED_PAD src0_sel:DWORD src1_sel:DWORD
	v_mov_b32_e32 v16, 8
	v_cndmask_b32_e64 v12, 0, 1, s[8:9]
	v_lshrrev_b32_sdwa v14, v16, v14 dst_sel:BYTE_1 dst_unused:UNUSED_PAD src0_sel:DWORD src1_sel:DWORD
	v_or_b32_e32 v12, v12, v14
	s_mov_b32 s2, 0xffff
	v_or_b32_sdwa v12, v12, v15 dst_sel:DWORD dst_unused:UNUSED_PAD src0_sel:WORD_0 src1_sel:DWORD
	v_and_b32_sdwa v13, s2, v13 dst_sel:DWORD dst_unused:UNUSED_PAD src0_sel:DWORD src1_sel:BYTE_0
.LBB1053_213:
	s_or_b64 exec, exec, s[0:1]
	s_andn2_b64 vcc, exec, s[10:11]
	s_cbranch_vccnz .LBB1053_215
; %bb.214:
	v_cmp_gt_u32_e32 vcc, s7, v1
	v_cndmask_b32_e32 v1, 0, v12, vcc
	v_and_b32_e32 v1, 0xffff00ff, v1
	v_cmp_gt_u32_e64 s[0:1], s7, v22
	v_cndmask_b32_e64 v1, v1, v12, s[0:1]
	v_lshrrev_b32_e32 v14, 24, v1
	s_mov_b32 s2, 0x40c0100
	v_perm_b32 v1, v14, v1, s2
	v_cmp_gt_u32_e64 s[2:3], s7, v20
	v_cmp_gt_u32_e64 s[8:9], s7, v23
	v_cndmask_b32_e64 v1, v1, v12, s[2:3]
	s_or_b64 s[2:3], s[8:9], s[2:3]
	s_or_b64 s[0:1], s[2:3], s[0:1]
	s_or_b64 vcc, s[0:1], vcc
	v_and_b32_e32 v1, 0xffffff, v1
	v_cndmask_b32_e32 v14, 0, v13, vcc
	v_cndmask_b32_e64 v1, v1, v12, s[8:9]
	v_and_b32_e32 v14, 0xffffff00, v14
	v_cmp_gt_u32_e32 vcc, s7, v21
	v_cndmask_b32_e32 v1, v1, v12, vcc
	v_cndmask_b32_e32 v12, v14, v13, vcc
	s_mov_b32 s0, 0x3020104
	v_and_b32_e32 v13, 0xff, v12
	v_perm_b32 v12, v1, v1, s0
.LBB1053_215:
	v_and_b32_e32 v1, 0xff, v12
	v_bfe_u32 v25, v12, 8, 8
	v_bfe_u32 v27, v12, 16, 8
	v_alignbit_b32 v14, v13, v12, 24
	v_and_b32_e32 v28, 0xff, v14
	v_and_b32_e32 v14, 0xff, v13
	v_add3_u32 v15, v25, v1, v27
	v_add3_u32 v31, v15, v28, v14
	v_mbcnt_lo_u32_b32 v14, -1, 0
	v_mbcnt_hi_u32_b32 v29, -1, v14
	v_and_b32_e32 v14, 15, v29
	v_cmp_eq_u32_e64 s[14:15], 0, v14
	v_cmp_lt_u32_e64 s[12:13], 1, v14
	v_cmp_lt_u32_e64 s[10:11], 3, v14
	;; [unrolled: 1-line block ×3, first 2 shown]
	v_and_b32_e32 v14, 16, v29
	v_cmp_eq_u32_e64 s[18:19], 0, v14
	v_or_b32_e32 v14, 63, v0
	v_cmp_lt_u32_e64 s[0:1], 31, v29
	v_lshrrev_b32_e32 v30, 6, v0
	v_cmp_eq_u32_e64 s[2:3], v14, v0
	s_and_b64 vcc, exec, s[16:17]
	s_waitcnt lgkmcnt(0)
	s_barrier
	s_cbranch_vccz .LBB1053_242
; %bb.216:
	v_mov_b32_dpp v14, v31 row_shr:1 row_mask:0xf bank_mask:0xf
	v_cndmask_b32_e64 v14, v14, 0, s[14:15]
	v_add_u32_e32 v14, v14, v31
	s_nop 1
	v_mov_b32_dpp v15, v14 row_shr:2 row_mask:0xf bank_mask:0xf
	v_cndmask_b32_e64 v15, 0, v15, s[12:13]
	v_add_u32_e32 v14, v14, v15
	s_nop 1
	v_mov_b32_dpp v15, v14 row_shr:4 row_mask:0xf bank_mask:0xf
	v_cndmask_b32_e64 v15, 0, v15, s[10:11]
	v_add_u32_e32 v14, v14, v15
	s_nop 1
	v_mov_b32_dpp v15, v14 row_shr:8 row_mask:0xf bank_mask:0xf
	v_cndmask_b32_e64 v15, 0, v15, s[8:9]
	v_add_u32_e32 v14, v14, v15
	s_nop 1
	v_mov_b32_dpp v15, v14 row_bcast:15 row_mask:0xf bank_mask:0xf
	v_cndmask_b32_e64 v15, v15, 0, s[18:19]
	v_add_u32_e32 v14, v14, v15
	s_nop 1
	v_mov_b32_dpp v15, v14 row_bcast:31 row_mask:0xf bank_mask:0xf
	v_cndmask_b32_e64 v15, 0, v15, s[0:1]
	v_add_u32_e32 v14, v14, v15
	s_and_saveexec_b64 s[16:17], s[2:3]
	s_cbranch_execz .LBB1053_218
; %bb.217:
	v_lshlrev_b32_e32 v15, 2, v30
	ds_write_b32 v15, v14
.LBB1053_218:
	s_or_b64 exec, exec, s[16:17]
	v_cmp_gt_u32_e32 vcc, 4, v0
	s_waitcnt lgkmcnt(0)
	s_barrier
	s_and_saveexec_b64 s[16:17], vcc
	s_cbranch_execz .LBB1053_220
; %bb.219:
	v_lshlrev_b32_e32 v15, 2, v0
	ds_read_b32 v16, v15
	v_and_b32_e32 v17, 3, v29
	v_cmp_ne_u32_e32 vcc, 0, v17
	s_waitcnt lgkmcnt(0)
	v_mov_b32_dpp v18, v16 row_shr:1 row_mask:0xf bank_mask:0xf
	v_cndmask_b32_e32 v18, 0, v18, vcc
	v_add_u32_e32 v16, v18, v16
	v_cmp_lt_u32_e32 vcc, 1, v17
	s_nop 0
	v_mov_b32_dpp v18, v16 row_shr:2 row_mask:0xf bank_mask:0xf
	v_cndmask_b32_e32 v17, 0, v18, vcc
	v_add_u32_e32 v16, v16, v17
	ds_write_b32 v15, v16
.LBB1053_220:
	s_or_b64 exec, exec, s[16:17]
	v_cmp_gt_u32_e32 vcc, 64, v0
	v_cmp_lt_u32_e64 s[16:17], 63, v0
	s_waitcnt lgkmcnt(0)
	s_barrier
	s_waitcnt lgkmcnt(0)
                                        ; implicit-def: $vgpr24
	s_and_saveexec_b64 s[26:27], s[16:17]
	s_cbranch_execz .LBB1053_222
; %bb.221:
	v_lshl_add_u32 v15, v30, 2, -4
	ds_read_b32 v24, v15
	s_waitcnt lgkmcnt(0)
	v_add_u32_e32 v14, v24, v14
.LBB1053_222:
	s_or_b64 exec, exec, s[26:27]
	v_add_u32_e32 v15, -1, v29
	v_and_b32_e32 v16, 64, v29
	v_cmp_lt_i32_e64 s[16:17], v15, v16
	v_cndmask_b32_e64 v15, v15, v29, s[16:17]
	v_lshlrev_b32_e32 v15, 2, v15
	ds_bpermute_b32 v26, v15, v14
	v_cmp_eq_u32_e64 s[16:17], 0, v29
	s_and_saveexec_b64 s[26:27], vcc
	s_cbranch_execz .LBB1053_241
; %bb.223:
	v_mov_b32_e32 v21, 0
	ds_read_b32 v14, v21 offset:12
	s_and_saveexec_b64 s[28:29], s[16:17]
	s_cbranch_execz .LBB1053_225
; %bb.224:
	s_add_i32 s36, s6, 64
	s_mov_b32 s37, 0
	s_lshl_b64 s[36:37], s[36:37], 3
	s_add_u32 s36, s30, s36
	v_mov_b32_e32 v15, 1
	s_addc_u32 s37, s31, s37
	s_waitcnt lgkmcnt(0)
	global_store_dwordx2 v21, v[14:15], s[36:37]
.LBB1053_225:
	s_or_b64 exec, exec, s[28:29]
	v_xad_u32 v16, v29, -1, s6
	v_add_u32_e32 v20, 64, v16
	v_lshlrev_b64 v[18:19], 3, v[20:21]
	v_mov_b32_e32 v15, s31
	v_add_co_u32_e32 v22, vcc, s30, v18
	v_addc_co_u32_e32 v23, vcc, v15, v19, vcc
	global_load_dwordx2 v[18:19], v[22:23], off glc
	s_waitcnt vmcnt(0)
	v_cmp_eq_u16_sdwa s[36:37], v19, v21 src0_sel:BYTE_0 src1_sel:DWORD
	s_and_saveexec_b64 s[28:29], s[36:37]
	s_cbranch_execz .LBB1053_229
; %bb.226:
	s_mov_b64 s[36:37], 0
	v_mov_b32_e32 v15, 0
.LBB1053_227:                           ; =>This Inner Loop Header: Depth=1
	global_load_dwordx2 v[18:19], v[22:23], off glc
	s_waitcnt vmcnt(0)
	v_cmp_ne_u16_sdwa s[38:39], v19, v15 src0_sel:BYTE_0 src1_sel:DWORD
	s_or_b64 s[36:37], s[38:39], s[36:37]
	s_andn2_b64 exec, exec, s[36:37]
	s_cbranch_execnz .LBB1053_227
; %bb.228:
	s_or_b64 exec, exec, s[36:37]
.LBB1053_229:
	s_or_b64 exec, exec, s[28:29]
	v_and_b32_e32 v32, 63, v29
	v_mov_b32_e32 v15, 2
	v_cmp_ne_u32_e32 vcc, 63, v32
	v_cmp_eq_u16_sdwa s[28:29], v19, v15 src0_sel:BYTE_0 src1_sel:DWORD
	v_lshlrev_b64 v[20:21], v29, -1
	v_addc_co_u32_e32 v23, vcc, 0, v29, vcc
	v_and_b32_e32 v17, s29, v21
	v_lshlrev_b32_e32 v33, 2, v23
	v_or_b32_e32 v17, 0x80000000, v17
	ds_bpermute_b32 v23, v33, v18
	v_and_b32_e32 v22, s28, v20
	v_ffbl_b32_e32 v17, v17
	v_add_u32_e32 v17, 32, v17
	v_ffbl_b32_e32 v22, v22
	v_min_u32_e32 v17, v22, v17
	v_cmp_lt_u32_e32 vcc, v32, v17
	s_waitcnt lgkmcnt(0)
	v_cndmask_b32_e32 v22, 0, v23, vcc
	v_cmp_gt_u32_e32 vcc, 62, v32
	v_add_u32_e32 v18, v22, v18
	v_cndmask_b32_e64 v22, 0, 1, vcc
	v_lshlrev_b32_e32 v22, 1, v22
	v_add_lshl_u32 v34, v22, v29, 2
	ds_bpermute_b32 v22, v34, v18
	v_add_u32_e32 v35, 2, v32
	v_cmp_le_u32_e32 vcc, v35, v17
	v_add_u32_e32 v37, 4, v32
	v_add_u32_e32 v39, 8, v32
	s_waitcnt lgkmcnt(0)
	v_cndmask_b32_e32 v22, 0, v22, vcc
	v_cmp_gt_u32_e32 vcc, 60, v32
	v_add_u32_e32 v18, v18, v22
	v_cndmask_b32_e64 v22, 0, 1, vcc
	v_lshlrev_b32_e32 v22, 2, v22
	v_add_lshl_u32 v36, v22, v29, 2
	ds_bpermute_b32 v22, v36, v18
	v_cmp_le_u32_e32 vcc, v37, v17
	v_add_u32_e32 v42, 16, v32
	v_add_u32_e32 v44, 32, v32
	s_waitcnt lgkmcnt(0)
	v_cndmask_b32_e32 v22, 0, v22, vcc
	v_cmp_gt_u32_e32 vcc, 56, v32
	v_add_u32_e32 v18, v18, v22
	v_cndmask_b32_e64 v22, 0, 1, vcc
	v_lshlrev_b32_e32 v22, 3, v22
	v_add_lshl_u32 v38, v22, v29, 2
	ds_bpermute_b32 v22, v38, v18
	v_cmp_le_u32_e32 vcc, v39, v17
	s_waitcnt lgkmcnt(0)
	v_cndmask_b32_e32 v22, 0, v22, vcc
	v_cmp_gt_u32_e32 vcc, 48, v32
	v_add_u32_e32 v18, v18, v22
	v_cndmask_b32_e64 v22, 0, 1, vcc
	v_lshlrev_b32_e32 v22, 4, v22
	v_add_lshl_u32 v41, v22, v29, 2
	ds_bpermute_b32 v22, v41, v18
	v_cmp_le_u32_e32 vcc, v42, v17
	;; [unrolled: 9-line block ×3, first 2 shown]
	s_waitcnt lgkmcnt(0)
	v_cndmask_b32_e32 v17, 0, v22, vcc
	v_add_u32_e32 v18, v18, v17
	v_mov_b32_e32 v17, 0
	s_branch .LBB1053_231
.LBB1053_230:                           ;   in Loop: Header=BB1053_231 Depth=1
	s_or_b64 exec, exec, s[28:29]
	v_cmp_eq_u16_sdwa s[28:29], v19, v15 src0_sel:BYTE_0 src1_sel:DWORD
	v_and_b32_e32 v22, s29, v21
	v_or_b32_e32 v22, 0x80000000, v22
	ds_bpermute_b32 v45, v33, v18
	v_and_b32_e32 v23, s28, v20
	v_ffbl_b32_e32 v22, v22
	v_add_u32_e32 v22, 32, v22
	v_ffbl_b32_e32 v23, v23
	v_min_u32_e32 v22, v23, v22
	v_cmp_lt_u32_e32 vcc, v32, v22
	s_waitcnt lgkmcnt(0)
	v_cndmask_b32_e32 v23, 0, v45, vcc
	v_add_u32_e32 v18, v23, v18
	ds_bpermute_b32 v23, v34, v18
	v_cmp_le_u32_e32 vcc, v35, v22
	v_subrev_u32_e32 v16, 64, v16
	s_waitcnt lgkmcnt(0)
	v_cndmask_b32_e32 v23, 0, v23, vcc
	v_add_u32_e32 v18, v18, v23
	ds_bpermute_b32 v23, v36, v18
	v_cmp_le_u32_e32 vcc, v37, v22
	s_waitcnt lgkmcnt(0)
	v_cndmask_b32_e32 v23, 0, v23, vcc
	v_add_u32_e32 v18, v18, v23
	ds_bpermute_b32 v23, v38, v18
	v_cmp_le_u32_e32 vcc, v39, v22
	;; [unrolled: 5-line block ×4, first 2 shown]
	s_waitcnt lgkmcnt(0)
	v_cndmask_b32_e32 v22, 0, v23, vcc
	v_add3_u32 v18, v22, v40, v18
.LBB1053_231:                           ; =>This Loop Header: Depth=1
                                        ;     Child Loop BB1053_234 Depth 2
	v_cmp_ne_u16_sdwa s[28:29], v19, v15 src0_sel:BYTE_0 src1_sel:DWORD
	v_cndmask_b32_e64 v19, 0, 1, s[28:29]
	;;#ASMSTART
	;;#ASMEND
	v_cmp_ne_u32_e32 vcc, 0, v19
	s_cmp_lg_u64 vcc, exec
	v_mov_b32_e32 v40, v18
	s_cbranch_scc1 .LBB1053_236
; %bb.232:                              ;   in Loop: Header=BB1053_231 Depth=1
	v_lshlrev_b64 v[18:19], 3, v[16:17]
	v_mov_b32_e32 v23, s31
	v_add_co_u32_e32 v22, vcc, s30, v18
	v_addc_co_u32_e32 v23, vcc, v23, v19, vcc
	global_load_dwordx2 v[18:19], v[22:23], off glc
	s_waitcnt vmcnt(0)
	v_cmp_eq_u16_sdwa s[36:37], v19, v17 src0_sel:BYTE_0 src1_sel:DWORD
	s_and_saveexec_b64 s[28:29], s[36:37]
	s_cbranch_execz .LBB1053_230
; %bb.233:                              ;   in Loop: Header=BB1053_231 Depth=1
	s_mov_b64 s[36:37], 0
.LBB1053_234:                           ;   Parent Loop BB1053_231 Depth=1
                                        ; =>  This Inner Loop Header: Depth=2
	global_load_dwordx2 v[18:19], v[22:23], off glc
	s_waitcnt vmcnt(0)
	v_cmp_ne_u16_sdwa s[38:39], v19, v17 src0_sel:BYTE_0 src1_sel:DWORD
	s_or_b64 s[36:37], s[38:39], s[36:37]
	s_andn2_b64 exec, exec, s[36:37]
	s_cbranch_execnz .LBB1053_234
; %bb.235:                              ;   in Loop: Header=BB1053_231 Depth=1
	s_or_b64 exec, exec, s[36:37]
	s_branch .LBB1053_230
.LBB1053_236:                           ;   in Loop: Header=BB1053_231 Depth=1
                                        ; implicit-def: $vgpr18
                                        ; implicit-def: $vgpr19
	s_cbranch_execz .LBB1053_231
; %bb.237:
	s_and_saveexec_b64 s[28:29], s[16:17]
	s_cbranch_execz .LBB1053_239
; %bb.238:
	s_add_i32 s6, s6, 64
	s_mov_b32 s7, 0
	s_lshl_b64 s[6:7], s[6:7], 3
	s_add_u32 s6, s30, s6
	v_add_u32_e32 v16, v40, v14
	v_mov_b32_e32 v17, 2
	s_addc_u32 s7, s31, s7
	v_mov_b32_e32 v15, 0
	global_store_dwordx2 v15, v[16:17], s[6:7]
	s_movk_i32 s6, 0x2800
	v_add_u32_e64 v15, s6, 0
	ds_write2_b32 v15, v14, v40 offset1:2
.LBB1053_239:
	s_or_b64 exec, exec, s[28:29]
	v_cmp_eq_u32_e32 vcc, 0, v0
	s_and_b64 exec, exec, vcc
	s_cbranch_execz .LBB1053_241
; %bb.240:
	v_mov_b32_e32 v14, 0
	ds_write_b32 v14, v40 offset:12
.LBB1053_241:
	s_or_b64 exec, exec, s[26:27]
	v_mov_b32_e32 v14, 0
	s_waitcnt lgkmcnt(0)
	s_barrier
	ds_read_b32 v14, v14 offset:12
	v_cndmask_b32_e64 v15, v26, v24, s[16:17]
	v_cmp_ne_u32_e32 vcc, 0, v0
	v_cndmask_b32_e32 v15, 0, v15, vcc
	s_movk_i32 s6, 0x2800
	s_waitcnt lgkmcnt(0)
	v_add_u32_e32 v26, v14, v15
	v_add_u32_e64 v14, s6, 0
	s_barrier
	ds_read2_b32 v[14:15], v14 offset1:2
	v_add_u32_e32 v24, v26, v1
	v_add_u32_e32 v22, v24, v25
	;; [unrolled: 1-line block ×4, first 2 shown]
	s_load_dwordx2 s[4:5], s[4:5], 0x28
	v_lshrrev_b64 v[16:17], 24, v[12:13]
	s_branch .LBB1053_252
.LBB1053_242:
                                        ; implicit-def: $vgpr18
                                        ; implicit-def: $vgpr20
                                        ; implicit-def: $vgpr22
                                        ; implicit-def: $vgpr24
                                        ; implicit-def: $vgpr26
                                        ; implicit-def: $vgpr15
	s_load_dwordx2 s[4:5], s[4:5], 0x28
	v_lshrrev_b64 v[16:17], 24, v[12:13]
	s_cbranch_execz .LBB1053_252
; %bb.243:
	s_waitcnt lgkmcnt(0)
	v_mov_b32_dpp v14, v31 row_shr:1 row_mask:0xf bank_mask:0xf
	v_cndmask_b32_e64 v14, v14, 0, s[14:15]
	v_add_u32_e32 v14, v14, v31
	s_nop 1
	v_mov_b32_dpp v15, v14 row_shr:2 row_mask:0xf bank_mask:0xf
	v_cndmask_b32_e64 v15, 0, v15, s[12:13]
	v_add_u32_e32 v14, v14, v15
	s_nop 1
	;; [unrolled: 4-line block ×4, first 2 shown]
	v_mov_b32_dpp v15, v14 row_bcast:15 row_mask:0xf bank_mask:0xf
	v_cndmask_b32_e64 v15, v15, 0, s[18:19]
	v_add_u32_e32 v14, v14, v15
	s_nop 1
	v_mov_b32_dpp v15, v14 row_bcast:31 row_mask:0xf bank_mask:0xf
	v_cndmask_b32_e64 v15, 0, v15, s[0:1]
	v_add_u32_e32 v14, v14, v15
	s_and_saveexec_b64 s[0:1], s[2:3]
	s_cbranch_execz .LBB1053_245
; %bb.244:
	v_lshlrev_b32_e32 v15, 2, v30
	ds_write_b32 v15, v14
.LBB1053_245:
	s_or_b64 exec, exec, s[0:1]
	v_cmp_gt_u32_e32 vcc, 4, v0
	s_waitcnt lgkmcnt(0)
	s_barrier
	s_and_saveexec_b64 s[0:1], vcc
	s_cbranch_execz .LBB1053_247
; %bb.246:
	v_lshlrev_b32_e32 v15, 2, v0
	ds_read_b32 v17, v15
	v_and_b32_e32 v18, 3, v29
	v_cmp_ne_u32_e32 vcc, 0, v18
	s_waitcnt lgkmcnt(0)
	v_mov_b32_dpp v19, v17 row_shr:1 row_mask:0xf bank_mask:0xf
	v_cndmask_b32_e32 v19, 0, v19, vcc
	v_add_u32_e32 v17, v19, v17
	v_cmp_lt_u32_e32 vcc, 1, v18
	s_nop 0
	v_mov_b32_dpp v19, v17 row_shr:2 row_mask:0xf bank_mask:0xf
	v_cndmask_b32_e32 v18, 0, v19, vcc
	v_add_u32_e32 v17, v17, v18
	ds_write_b32 v15, v17
.LBB1053_247:
	s_or_b64 exec, exec, s[0:1]
	v_cmp_lt_u32_e32 vcc, 63, v0
	v_mov_b32_e32 v15, 0
	v_mov_b32_e32 v17, 0
	s_waitcnt lgkmcnt(0)
	s_barrier
	s_and_saveexec_b64 s[0:1], vcc
	s_cbranch_execz .LBB1053_249
; %bb.248:
	v_lshl_add_u32 v17, v30, 2, -4
	ds_read_b32 v17, v17
.LBB1053_249:
	s_or_b64 exec, exec, s[0:1]
	v_add_u32_e32 v18, -1, v29
	v_and_b32_e32 v19, 64, v29
	v_cmp_lt_i32_e32 vcc, v18, v19
	v_cndmask_b32_e32 v18, v18, v29, vcc
	s_waitcnt lgkmcnt(0)
	v_add_u32_e32 v14, v17, v14
	v_lshlrev_b32_e32 v18, 2, v18
	ds_bpermute_b32 v18, v18, v14
	ds_read_b32 v14, v15 offset:12
	v_cmp_eq_u32_e32 vcc, 0, v0
	s_and_saveexec_b64 s[0:1], vcc
	s_cbranch_execz .LBB1053_251
; %bb.250:
	v_mov_b32_e32 v19, 0
	v_mov_b32_e32 v15, 2
	s_waitcnt lgkmcnt(0)
	global_store_dwordx2 v19, v[14:15], s[30:31] offset:512
.LBB1053_251:
	s_or_b64 exec, exec, s[0:1]
	v_cmp_eq_u32_e64 s[0:1], 0, v29
	s_waitcnt lgkmcnt(1)
	v_cndmask_b32_e64 v17, v18, v17, s[0:1]
	v_cndmask_b32_e64 v26, v17, 0, vcc
	v_add_u32_e32 v24, v26, v1
	v_add_u32_e32 v22, v24, v25
	;; [unrolled: 1-line block ×3, first 2 shown]
	v_mov_b32_e32 v15, 0
	v_add_u32_e32 v18, v20, v28
	s_waitcnt lgkmcnt(0)
	s_barrier
.LBB1053_252:
	s_movk_i32 s0, 0x101
	s_waitcnt lgkmcnt(0)
	v_cmp_gt_u32_e32 vcc, s0, v14
	v_lshrrev_b32_e32 v1, 8, v12
	s_mov_b64 s[0:1], -1
	s_cbranch_vccnz .LBB1053_256
; %bb.253:
	s_and_b64 vcc, exec, s[0:1]
	s_cbranch_vccnz .LBB1053_272
.LBB1053_254:
	v_cmp_eq_u32_e32 vcc, 0, v0
	s_and_b64 s[0:1], vcc, s[24:25]
	s_and_saveexec_b64 s[2:3], s[0:1]
	s_cbranch_execnz .LBB1053_286
.LBB1053_255:
	s_endpgm
.LBB1053_256:
	v_add_u32_e32 v17, v15, v14
	v_cmp_lt_u32_e32 vcc, v26, v17
	s_or_b64 s[2:3], s[34:35], vcc
	s_and_saveexec_b64 s[0:1], s[2:3]
	s_cbranch_execz .LBB1053_259
; %bb.257:
	v_and_b32_e32 v19, 1, v12
	v_cmp_eq_u32_e32 vcc, 1, v19
	s_and_b64 exec, exec, vcc
	s_cbranch_execz .LBB1053_259
; %bb.258:
	s_lshl_b64 s[2:3], s[22:23], 3
	s_add_u32 s2, s4, s2
	v_mov_b32_e32 v27, 0
	s_addc_u32 s3, s5, s3
	v_lshlrev_b64 v[28:29], 3, v[26:27]
	v_mov_b32_e32 v19, s3
	v_add_co_u32_e32 v28, vcc, s2, v28
	v_addc_co_u32_e32 v29, vcc, v19, v29, vcc
	global_store_dwordx2 v[28:29], v[6:7], off
.LBB1053_259:
	s_or_b64 exec, exec, s[0:1]
	v_cmp_lt_u32_e32 vcc, v24, v17
	s_or_b64 s[2:3], s[34:35], vcc
	s_and_saveexec_b64 s[0:1], s[2:3]
	s_cbranch_execz .LBB1053_262
; %bb.260:
	v_and_b32_e32 v19, 1, v1
	v_cmp_eq_u32_e32 vcc, 1, v19
	s_and_b64 exec, exec, vcc
	s_cbranch_execz .LBB1053_262
; %bb.261:
	s_lshl_b64 s[2:3], s[22:23], 3
	s_add_u32 s2, s4, s2
	v_mov_b32_e32 v25, 0
	s_addc_u32 s3, s5, s3
	v_lshlrev_b64 v[28:29], 3, v[24:25]
	v_mov_b32_e32 v19, s3
	v_add_co_u32_e32 v28, vcc, s2, v28
	v_addc_co_u32_e32 v29, vcc, v19, v29, vcc
	global_store_dwordx2 v[28:29], v[8:9], off
.LBB1053_262:
	s_or_b64 exec, exec, s[0:1]
	v_cmp_lt_u32_e32 vcc, v22, v17
	s_or_b64 s[2:3], s[34:35], vcc
	s_and_saveexec_b64 s[0:1], s[2:3]
	s_cbranch_execz .LBB1053_265
; %bb.263:
	v_mov_b32_e32 v19, 1
	v_and_b32_sdwa v19, v19, v12 dst_sel:DWORD dst_unused:UNUSED_PAD src0_sel:DWORD src1_sel:WORD_1
	v_cmp_eq_u32_e32 vcc, 1, v19
	s_and_b64 exec, exec, vcc
	s_cbranch_execz .LBB1053_265
; %bb.264:
	s_lshl_b64 s[2:3], s[22:23], 3
	s_add_u32 s2, s4, s2
	v_mov_b32_e32 v23, 0
	s_addc_u32 s3, s5, s3
	v_lshlrev_b64 v[28:29], 3, v[22:23]
	v_mov_b32_e32 v19, s3
	v_add_co_u32_e32 v28, vcc, s2, v28
	v_addc_co_u32_e32 v29, vcc, v19, v29, vcc
	global_store_dwordx2 v[28:29], v[2:3], off
.LBB1053_265:
	s_or_b64 exec, exec, s[0:1]
	v_cmp_lt_u32_e32 vcc, v20, v17
	s_or_b64 s[2:3], s[34:35], vcc
	s_and_saveexec_b64 s[0:1], s[2:3]
	s_cbranch_execz .LBB1053_268
; %bb.266:
	v_and_b32_e32 v19, 1, v16
	v_cmp_eq_u32_e32 vcc, 1, v19
	s_and_b64 exec, exec, vcc
	s_cbranch_execz .LBB1053_268
; %bb.267:
	s_lshl_b64 s[2:3], s[22:23], 3
	s_add_u32 s2, s4, s2
	v_mov_b32_e32 v21, 0
	s_addc_u32 s3, s5, s3
	v_lshlrev_b64 v[28:29], 3, v[20:21]
	v_mov_b32_e32 v19, s3
	v_add_co_u32_e32 v28, vcc, s2, v28
	v_addc_co_u32_e32 v29, vcc, v19, v29, vcc
	global_store_dwordx2 v[28:29], v[4:5], off
.LBB1053_268:
	s_or_b64 exec, exec, s[0:1]
	v_cmp_lt_u32_e32 vcc, v18, v17
	s_or_b64 s[2:3], s[34:35], vcc
	s_and_saveexec_b64 s[0:1], s[2:3]
	s_cbranch_execz .LBB1053_271
; %bb.269:
	v_and_b32_e32 v17, 1, v13
	v_cmp_eq_u32_e32 vcc, 1, v17
	s_and_b64 exec, exec, vcc
	s_cbranch_execz .LBB1053_271
; %bb.270:
	s_lshl_b64 s[2:3], s[22:23], 3
	s_add_u32 s2, s4, s2
	v_mov_b32_e32 v19, 0
	s_addc_u32 s3, s5, s3
	v_lshlrev_b64 v[28:29], 3, v[18:19]
	v_mov_b32_e32 v17, s3
	v_add_co_u32_e32 v28, vcc, s2, v28
	v_addc_co_u32_e32 v29, vcc, v17, v29, vcc
	global_store_dwordx2 v[28:29], v[10:11], off
.LBB1053_271:
	s_or_b64 exec, exec, s[0:1]
	s_branch .LBB1053_254
.LBB1053_272:
	v_and_b32_e32 v17, 1, v12
	v_cmp_eq_u32_e32 vcc, 1, v17
	s_and_saveexec_b64 s[0:1], vcc
	s_cbranch_execz .LBB1053_274
; %bb.273:
	v_sub_u32_e32 v17, v26, v15
	v_lshlrev_b32_e32 v17, 3, v17
	ds_write_b64 v17, v[6:7]
.LBB1053_274:
	s_or_b64 exec, exec, s[0:1]
	v_and_b32_e32 v1, 1, v1
	v_cmp_eq_u32_e32 vcc, 1, v1
	s_and_saveexec_b64 s[0:1], vcc
	s_cbranch_execz .LBB1053_276
; %bb.275:
	v_sub_u32_e32 v1, v24, v15
	v_lshlrev_b32_e32 v1, 3, v1
	ds_write_b64 v1, v[8:9]
.LBB1053_276:
	s_or_b64 exec, exec, s[0:1]
	v_mov_b32_e32 v1, 1
	v_and_b32_sdwa v1, v1, v12 dst_sel:DWORD dst_unused:UNUSED_PAD src0_sel:DWORD src1_sel:WORD_1
	v_cmp_eq_u32_e32 vcc, 1, v1
	s_and_saveexec_b64 s[0:1], vcc
	s_cbranch_execz .LBB1053_278
; %bb.277:
	v_sub_u32_e32 v1, v22, v15
	v_lshlrev_b32_e32 v1, 3, v1
	ds_write_b64 v1, v[2:3]
.LBB1053_278:
	s_or_b64 exec, exec, s[0:1]
	v_and_b32_e32 v1, 1, v16
	v_cmp_eq_u32_e32 vcc, 1, v1
	s_and_saveexec_b64 s[0:1], vcc
	s_cbranch_execz .LBB1053_280
; %bb.279:
	v_sub_u32_e32 v1, v20, v15
	v_lshlrev_b32_e32 v1, 3, v1
	ds_write_b64 v1, v[4:5]
.LBB1053_280:
	s_or_b64 exec, exec, s[0:1]
	v_and_b32_e32 v1, 1, v13
	v_cmp_eq_u32_e32 vcc, 1, v1
	s_and_saveexec_b64 s[0:1], vcc
	s_cbranch_execz .LBB1053_282
; %bb.281:
	v_sub_u32_e32 v1, v18, v15
	v_lshlrev_b32_e32 v1, 3, v1
	ds_write_b64 v1, v[10:11]
.LBB1053_282:
	s_or_b64 exec, exec, s[0:1]
	v_cmp_lt_u32_e32 vcc, v0, v14
	s_waitcnt lgkmcnt(0)
	s_barrier
	s_and_saveexec_b64 s[0:1], vcc
	s_cbranch_execz .LBB1053_285
; %bb.283:
	v_mov_b32_e32 v3, 0
	v_mov_b32_e32 v2, v15
	v_lshlrev_b64 v[4:5], 3, v[2:3]
	v_mov_b32_e32 v1, s5
	v_add_co_u32_e32 v2, vcc, s4, v4
	v_addc_co_u32_e32 v4, vcc, v1, v5, vcc
	s_lshl_b64 s[2:3], s[22:23], 3
	v_mov_b32_e32 v5, s3
	v_add_co_u32_e32 v1, vcc, s2, v2
	v_addc_co_u32_e32 v4, vcc, v4, v5, vcc
	v_lshlrev_b32_e32 v5, 3, v0
	s_mov_b64 s[2:3], 0
	v_mov_b32_e32 v2, v0
.LBB1053_284:                           ; =>This Inner Loop Header: Depth=1
	ds_read_b64 v[6:7], v5
	v_lshlrev_b64 v[8:9], 3, v[2:3]
	v_add_co_u32_e32 v8, vcc, v1, v8
	v_add_u32_e32 v2, 0x100, v2
	v_addc_co_u32_e32 v9, vcc, v4, v9, vcc
	v_cmp_ge_u32_e32 vcc, v2, v14
	v_add_u32_e32 v5, 0x800, v5
	s_or_b64 s[2:3], vcc, s[2:3]
	s_waitcnt lgkmcnt(0)
	global_store_dwordx2 v[8:9], v[6:7], off
	s_andn2_b64 exec, exec, s[2:3]
	s_cbranch_execnz .LBB1053_284
.LBB1053_285:
	s_or_b64 exec, exec, s[0:1]
	v_cmp_eq_u32_e32 vcc, 0, v0
	s_and_b64 s[0:1], vcc, s[24:25]
	s_and_saveexec_b64 s[2:3], s[0:1]
	s_cbranch_execz .LBB1053_255
.LBB1053_286:
	v_mov_b32_e32 v0, s23
	v_add_co_u32_e32 v1, vcc, s22, v14
	v_addc_co_u32_e32 v3, vcc, 0, v0, vcc
	v_add_co_u32_e32 v0, vcc, v1, v15
	v_mov_b32_e32 v2, 0
	v_addc_co_u32_e32 v1, vcc, 0, v3, vcc
	global_store_dwordx2 v2, v[0:1], s[20:21]
	s_endpgm
	.section	.rodata,"a",@progbits
	.p2align	6, 0x0
	.amdhsa_kernel _ZN7rocprim17ROCPRIM_400000_NS6detail17trampoline_kernelINS0_14default_configENS1_25partition_config_selectorILNS1_17partition_subalgoE8ElNS0_10empty_typeEbEEZZNS1_14partition_implILS5_8ELb0ES3_jPlPS6_PKS6_NS0_5tupleIJS9_S6_EEENSD_IJSA_SA_EEENS0_18inequality_wrapperIZN2at6native12_GLOBAL__N_124unique_dim_cuda_templateIbEESt5tupleIJNSH_6TensorESM_SM_EERKSM_lbbbEUlllE0_EEPmJS6_EEE10hipError_tPvRmT3_T4_T5_T6_T7_T9_mT8_P12ihipStream_tbDpT10_ENKUlT_T0_E_clISt17integral_constantIbLb0EES1C_EEDaS17_S18_EUlS17_E_NS1_11comp_targetILNS1_3genE4ELNS1_11target_archE910ELNS1_3gpuE8ELNS1_3repE0EEENS1_30default_config_static_selectorELNS0_4arch9wavefront6targetE1EEEvT1_
		.amdhsa_group_segment_fixed_size 10252
		.amdhsa_private_segment_fixed_size 0
		.amdhsa_kernarg_size 120
		.amdhsa_user_sgpr_count 6
		.amdhsa_user_sgpr_private_segment_buffer 1
		.amdhsa_user_sgpr_dispatch_ptr 0
		.amdhsa_user_sgpr_queue_ptr 0
		.amdhsa_user_sgpr_kernarg_segment_ptr 1
		.amdhsa_user_sgpr_dispatch_id 0
		.amdhsa_user_sgpr_flat_scratch_init 0
		.amdhsa_user_sgpr_kernarg_preload_length 0
		.amdhsa_user_sgpr_kernarg_preload_offset 0
		.amdhsa_user_sgpr_private_segment_size 0
		.amdhsa_uses_dynamic_stack 0
		.amdhsa_system_sgpr_private_segment_wavefront_offset 0
		.amdhsa_system_sgpr_workgroup_id_x 1
		.amdhsa_system_sgpr_workgroup_id_y 0
		.amdhsa_system_sgpr_workgroup_id_z 0
		.amdhsa_system_sgpr_workgroup_info 0
		.amdhsa_system_vgpr_workitem_id 0
		.amdhsa_next_free_vgpr 46
		.amdhsa_next_free_sgpr 48
		.amdhsa_accum_offset 48
		.amdhsa_reserve_vcc 1
		.amdhsa_reserve_flat_scratch 0
		.amdhsa_float_round_mode_32 0
		.amdhsa_float_round_mode_16_64 0
		.amdhsa_float_denorm_mode_32 3
		.amdhsa_float_denorm_mode_16_64 3
		.amdhsa_dx10_clamp 1
		.amdhsa_ieee_mode 1
		.amdhsa_fp16_overflow 0
		.amdhsa_tg_split 0
		.amdhsa_exception_fp_ieee_invalid_op 0
		.amdhsa_exception_fp_denorm_src 0
		.amdhsa_exception_fp_ieee_div_zero 0
		.amdhsa_exception_fp_ieee_overflow 0
		.amdhsa_exception_fp_ieee_underflow 0
		.amdhsa_exception_fp_ieee_inexact 0
		.amdhsa_exception_int_div_zero 0
	.end_amdhsa_kernel
	.section	.text._ZN7rocprim17ROCPRIM_400000_NS6detail17trampoline_kernelINS0_14default_configENS1_25partition_config_selectorILNS1_17partition_subalgoE8ElNS0_10empty_typeEbEEZZNS1_14partition_implILS5_8ELb0ES3_jPlPS6_PKS6_NS0_5tupleIJS9_S6_EEENSD_IJSA_SA_EEENS0_18inequality_wrapperIZN2at6native12_GLOBAL__N_124unique_dim_cuda_templateIbEESt5tupleIJNSH_6TensorESM_SM_EERKSM_lbbbEUlllE0_EEPmJS6_EEE10hipError_tPvRmT3_T4_T5_T6_T7_T9_mT8_P12ihipStream_tbDpT10_ENKUlT_T0_E_clISt17integral_constantIbLb0EES1C_EEDaS17_S18_EUlS17_E_NS1_11comp_targetILNS1_3genE4ELNS1_11target_archE910ELNS1_3gpuE8ELNS1_3repE0EEENS1_30default_config_static_selectorELNS0_4arch9wavefront6targetE1EEEvT1_,"axG",@progbits,_ZN7rocprim17ROCPRIM_400000_NS6detail17trampoline_kernelINS0_14default_configENS1_25partition_config_selectorILNS1_17partition_subalgoE8ElNS0_10empty_typeEbEEZZNS1_14partition_implILS5_8ELb0ES3_jPlPS6_PKS6_NS0_5tupleIJS9_S6_EEENSD_IJSA_SA_EEENS0_18inequality_wrapperIZN2at6native12_GLOBAL__N_124unique_dim_cuda_templateIbEESt5tupleIJNSH_6TensorESM_SM_EERKSM_lbbbEUlllE0_EEPmJS6_EEE10hipError_tPvRmT3_T4_T5_T6_T7_T9_mT8_P12ihipStream_tbDpT10_ENKUlT_T0_E_clISt17integral_constantIbLb0EES1C_EEDaS17_S18_EUlS17_E_NS1_11comp_targetILNS1_3genE4ELNS1_11target_archE910ELNS1_3gpuE8ELNS1_3repE0EEENS1_30default_config_static_selectorELNS0_4arch9wavefront6targetE1EEEvT1_,comdat
.Lfunc_end1053:
	.size	_ZN7rocprim17ROCPRIM_400000_NS6detail17trampoline_kernelINS0_14default_configENS1_25partition_config_selectorILNS1_17partition_subalgoE8ElNS0_10empty_typeEbEEZZNS1_14partition_implILS5_8ELb0ES3_jPlPS6_PKS6_NS0_5tupleIJS9_S6_EEENSD_IJSA_SA_EEENS0_18inequality_wrapperIZN2at6native12_GLOBAL__N_124unique_dim_cuda_templateIbEESt5tupleIJNSH_6TensorESM_SM_EERKSM_lbbbEUlllE0_EEPmJS6_EEE10hipError_tPvRmT3_T4_T5_T6_T7_T9_mT8_P12ihipStream_tbDpT10_ENKUlT_T0_E_clISt17integral_constantIbLb0EES1C_EEDaS17_S18_EUlS17_E_NS1_11comp_targetILNS1_3genE4ELNS1_11target_archE910ELNS1_3gpuE8ELNS1_3repE0EEENS1_30default_config_static_selectorELNS0_4arch9wavefront6targetE1EEEvT1_, .Lfunc_end1053-_ZN7rocprim17ROCPRIM_400000_NS6detail17trampoline_kernelINS0_14default_configENS1_25partition_config_selectorILNS1_17partition_subalgoE8ElNS0_10empty_typeEbEEZZNS1_14partition_implILS5_8ELb0ES3_jPlPS6_PKS6_NS0_5tupleIJS9_S6_EEENSD_IJSA_SA_EEENS0_18inequality_wrapperIZN2at6native12_GLOBAL__N_124unique_dim_cuda_templateIbEESt5tupleIJNSH_6TensorESM_SM_EERKSM_lbbbEUlllE0_EEPmJS6_EEE10hipError_tPvRmT3_T4_T5_T6_T7_T9_mT8_P12ihipStream_tbDpT10_ENKUlT_T0_E_clISt17integral_constantIbLb0EES1C_EEDaS17_S18_EUlS17_E_NS1_11comp_targetILNS1_3genE4ELNS1_11target_archE910ELNS1_3gpuE8ELNS1_3repE0EEENS1_30default_config_static_selectorELNS0_4arch9wavefront6targetE1EEEvT1_
                                        ; -- End function
	.section	.AMDGPU.csdata,"",@progbits
; Kernel info:
; codeLenInByte = 10728
; NumSgprs: 52
; NumVgprs: 46
; NumAgprs: 0
; TotalNumVgprs: 46
; ScratchSize: 0
; MemoryBound: 0
; FloatMode: 240
; IeeeMode: 1
; LDSByteSize: 10252 bytes/workgroup (compile time only)
; SGPRBlocks: 6
; VGPRBlocks: 5
; NumSGPRsForWavesPerEU: 52
; NumVGPRsForWavesPerEU: 46
; AccumOffset: 48
; Occupancy: 6
; WaveLimiterHint : 1
; COMPUTE_PGM_RSRC2:SCRATCH_EN: 0
; COMPUTE_PGM_RSRC2:USER_SGPR: 6
; COMPUTE_PGM_RSRC2:TRAP_HANDLER: 0
; COMPUTE_PGM_RSRC2:TGID_X_EN: 1
; COMPUTE_PGM_RSRC2:TGID_Y_EN: 0
; COMPUTE_PGM_RSRC2:TGID_Z_EN: 0
; COMPUTE_PGM_RSRC2:TIDIG_COMP_CNT: 0
; COMPUTE_PGM_RSRC3_GFX90A:ACCUM_OFFSET: 11
; COMPUTE_PGM_RSRC3_GFX90A:TG_SPLIT: 0
	.section	.text._ZN7rocprim17ROCPRIM_400000_NS6detail17trampoline_kernelINS0_14default_configENS1_25partition_config_selectorILNS1_17partition_subalgoE8ElNS0_10empty_typeEbEEZZNS1_14partition_implILS5_8ELb0ES3_jPlPS6_PKS6_NS0_5tupleIJS9_S6_EEENSD_IJSA_SA_EEENS0_18inequality_wrapperIZN2at6native12_GLOBAL__N_124unique_dim_cuda_templateIbEESt5tupleIJNSH_6TensorESM_SM_EERKSM_lbbbEUlllE0_EEPmJS6_EEE10hipError_tPvRmT3_T4_T5_T6_T7_T9_mT8_P12ihipStream_tbDpT10_ENKUlT_T0_E_clISt17integral_constantIbLb0EES1C_EEDaS17_S18_EUlS17_E_NS1_11comp_targetILNS1_3genE3ELNS1_11target_archE908ELNS1_3gpuE7ELNS1_3repE0EEENS1_30default_config_static_selectorELNS0_4arch9wavefront6targetE1EEEvT1_,"axG",@progbits,_ZN7rocprim17ROCPRIM_400000_NS6detail17trampoline_kernelINS0_14default_configENS1_25partition_config_selectorILNS1_17partition_subalgoE8ElNS0_10empty_typeEbEEZZNS1_14partition_implILS5_8ELb0ES3_jPlPS6_PKS6_NS0_5tupleIJS9_S6_EEENSD_IJSA_SA_EEENS0_18inequality_wrapperIZN2at6native12_GLOBAL__N_124unique_dim_cuda_templateIbEESt5tupleIJNSH_6TensorESM_SM_EERKSM_lbbbEUlllE0_EEPmJS6_EEE10hipError_tPvRmT3_T4_T5_T6_T7_T9_mT8_P12ihipStream_tbDpT10_ENKUlT_T0_E_clISt17integral_constantIbLb0EES1C_EEDaS17_S18_EUlS17_E_NS1_11comp_targetILNS1_3genE3ELNS1_11target_archE908ELNS1_3gpuE7ELNS1_3repE0EEENS1_30default_config_static_selectorELNS0_4arch9wavefront6targetE1EEEvT1_,comdat
	.globl	_ZN7rocprim17ROCPRIM_400000_NS6detail17trampoline_kernelINS0_14default_configENS1_25partition_config_selectorILNS1_17partition_subalgoE8ElNS0_10empty_typeEbEEZZNS1_14partition_implILS5_8ELb0ES3_jPlPS6_PKS6_NS0_5tupleIJS9_S6_EEENSD_IJSA_SA_EEENS0_18inequality_wrapperIZN2at6native12_GLOBAL__N_124unique_dim_cuda_templateIbEESt5tupleIJNSH_6TensorESM_SM_EERKSM_lbbbEUlllE0_EEPmJS6_EEE10hipError_tPvRmT3_T4_T5_T6_T7_T9_mT8_P12ihipStream_tbDpT10_ENKUlT_T0_E_clISt17integral_constantIbLb0EES1C_EEDaS17_S18_EUlS17_E_NS1_11comp_targetILNS1_3genE3ELNS1_11target_archE908ELNS1_3gpuE7ELNS1_3repE0EEENS1_30default_config_static_selectorELNS0_4arch9wavefront6targetE1EEEvT1_ ; -- Begin function _ZN7rocprim17ROCPRIM_400000_NS6detail17trampoline_kernelINS0_14default_configENS1_25partition_config_selectorILNS1_17partition_subalgoE8ElNS0_10empty_typeEbEEZZNS1_14partition_implILS5_8ELb0ES3_jPlPS6_PKS6_NS0_5tupleIJS9_S6_EEENSD_IJSA_SA_EEENS0_18inequality_wrapperIZN2at6native12_GLOBAL__N_124unique_dim_cuda_templateIbEESt5tupleIJNSH_6TensorESM_SM_EERKSM_lbbbEUlllE0_EEPmJS6_EEE10hipError_tPvRmT3_T4_T5_T6_T7_T9_mT8_P12ihipStream_tbDpT10_ENKUlT_T0_E_clISt17integral_constantIbLb0EES1C_EEDaS17_S18_EUlS17_E_NS1_11comp_targetILNS1_3genE3ELNS1_11target_archE908ELNS1_3gpuE7ELNS1_3repE0EEENS1_30default_config_static_selectorELNS0_4arch9wavefront6targetE1EEEvT1_
	.p2align	8
	.type	_ZN7rocprim17ROCPRIM_400000_NS6detail17trampoline_kernelINS0_14default_configENS1_25partition_config_selectorILNS1_17partition_subalgoE8ElNS0_10empty_typeEbEEZZNS1_14partition_implILS5_8ELb0ES3_jPlPS6_PKS6_NS0_5tupleIJS9_S6_EEENSD_IJSA_SA_EEENS0_18inequality_wrapperIZN2at6native12_GLOBAL__N_124unique_dim_cuda_templateIbEESt5tupleIJNSH_6TensorESM_SM_EERKSM_lbbbEUlllE0_EEPmJS6_EEE10hipError_tPvRmT3_T4_T5_T6_T7_T9_mT8_P12ihipStream_tbDpT10_ENKUlT_T0_E_clISt17integral_constantIbLb0EES1C_EEDaS17_S18_EUlS17_E_NS1_11comp_targetILNS1_3genE3ELNS1_11target_archE908ELNS1_3gpuE7ELNS1_3repE0EEENS1_30default_config_static_selectorELNS0_4arch9wavefront6targetE1EEEvT1_,@function
_ZN7rocprim17ROCPRIM_400000_NS6detail17trampoline_kernelINS0_14default_configENS1_25partition_config_selectorILNS1_17partition_subalgoE8ElNS0_10empty_typeEbEEZZNS1_14partition_implILS5_8ELb0ES3_jPlPS6_PKS6_NS0_5tupleIJS9_S6_EEENSD_IJSA_SA_EEENS0_18inequality_wrapperIZN2at6native12_GLOBAL__N_124unique_dim_cuda_templateIbEESt5tupleIJNSH_6TensorESM_SM_EERKSM_lbbbEUlllE0_EEPmJS6_EEE10hipError_tPvRmT3_T4_T5_T6_T7_T9_mT8_P12ihipStream_tbDpT10_ENKUlT_T0_E_clISt17integral_constantIbLb0EES1C_EEDaS17_S18_EUlS17_E_NS1_11comp_targetILNS1_3genE3ELNS1_11target_archE908ELNS1_3gpuE7ELNS1_3repE0EEENS1_30default_config_static_selectorELNS0_4arch9wavefront6targetE1EEEvT1_: ; @_ZN7rocprim17ROCPRIM_400000_NS6detail17trampoline_kernelINS0_14default_configENS1_25partition_config_selectorILNS1_17partition_subalgoE8ElNS0_10empty_typeEbEEZZNS1_14partition_implILS5_8ELb0ES3_jPlPS6_PKS6_NS0_5tupleIJS9_S6_EEENSD_IJSA_SA_EEENS0_18inequality_wrapperIZN2at6native12_GLOBAL__N_124unique_dim_cuda_templateIbEESt5tupleIJNSH_6TensorESM_SM_EERKSM_lbbbEUlllE0_EEPmJS6_EEE10hipError_tPvRmT3_T4_T5_T6_T7_T9_mT8_P12ihipStream_tbDpT10_ENKUlT_T0_E_clISt17integral_constantIbLb0EES1C_EEDaS17_S18_EUlS17_E_NS1_11comp_targetILNS1_3genE3ELNS1_11target_archE908ELNS1_3gpuE7ELNS1_3repE0EEENS1_30default_config_static_selectorELNS0_4arch9wavefront6targetE1EEEvT1_
; %bb.0:
	.section	.rodata,"a",@progbits
	.p2align	6, 0x0
	.amdhsa_kernel _ZN7rocprim17ROCPRIM_400000_NS6detail17trampoline_kernelINS0_14default_configENS1_25partition_config_selectorILNS1_17partition_subalgoE8ElNS0_10empty_typeEbEEZZNS1_14partition_implILS5_8ELb0ES3_jPlPS6_PKS6_NS0_5tupleIJS9_S6_EEENSD_IJSA_SA_EEENS0_18inequality_wrapperIZN2at6native12_GLOBAL__N_124unique_dim_cuda_templateIbEESt5tupleIJNSH_6TensorESM_SM_EERKSM_lbbbEUlllE0_EEPmJS6_EEE10hipError_tPvRmT3_T4_T5_T6_T7_T9_mT8_P12ihipStream_tbDpT10_ENKUlT_T0_E_clISt17integral_constantIbLb0EES1C_EEDaS17_S18_EUlS17_E_NS1_11comp_targetILNS1_3genE3ELNS1_11target_archE908ELNS1_3gpuE7ELNS1_3repE0EEENS1_30default_config_static_selectorELNS0_4arch9wavefront6targetE1EEEvT1_
		.amdhsa_group_segment_fixed_size 0
		.amdhsa_private_segment_fixed_size 0
		.amdhsa_kernarg_size 120
		.amdhsa_user_sgpr_count 6
		.amdhsa_user_sgpr_private_segment_buffer 1
		.amdhsa_user_sgpr_dispatch_ptr 0
		.amdhsa_user_sgpr_queue_ptr 0
		.amdhsa_user_sgpr_kernarg_segment_ptr 1
		.amdhsa_user_sgpr_dispatch_id 0
		.amdhsa_user_sgpr_flat_scratch_init 0
		.amdhsa_user_sgpr_kernarg_preload_length 0
		.amdhsa_user_sgpr_kernarg_preload_offset 0
		.amdhsa_user_sgpr_private_segment_size 0
		.amdhsa_uses_dynamic_stack 0
		.amdhsa_system_sgpr_private_segment_wavefront_offset 0
		.amdhsa_system_sgpr_workgroup_id_x 1
		.amdhsa_system_sgpr_workgroup_id_y 0
		.amdhsa_system_sgpr_workgroup_id_z 0
		.amdhsa_system_sgpr_workgroup_info 0
		.amdhsa_system_vgpr_workitem_id 0
		.amdhsa_next_free_vgpr 1
		.amdhsa_next_free_sgpr 0
		.amdhsa_accum_offset 4
		.amdhsa_reserve_vcc 0
		.amdhsa_reserve_flat_scratch 0
		.amdhsa_float_round_mode_32 0
		.amdhsa_float_round_mode_16_64 0
		.amdhsa_float_denorm_mode_32 3
		.amdhsa_float_denorm_mode_16_64 3
		.amdhsa_dx10_clamp 1
		.amdhsa_ieee_mode 1
		.amdhsa_fp16_overflow 0
		.amdhsa_tg_split 0
		.amdhsa_exception_fp_ieee_invalid_op 0
		.amdhsa_exception_fp_denorm_src 0
		.amdhsa_exception_fp_ieee_div_zero 0
		.amdhsa_exception_fp_ieee_overflow 0
		.amdhsa_exception_fp_ieee_underflow 0
		.amdhsa_exception_fp_ieee_inexact 0
		.amdhsa_exception_int_div_zero 0
	.end_amdhsa_kernel
	.section	.text._ZN7rocprim17ROCPRIM_400000_NS6detail17trampoline_kernelINS0_14default_configENS1_25partition_config_selectorILNS1_17partition_subalgoE8ElNS0_10empty_typeEbEEZZNS1_14partition_implILS5_8ELb0ES3_jPlPS6_PKS6_NS0_5tupleIJS9_S6_EEENSD_IJSA_SA_EEENS0_18inequality_wrapperIZN2at6native12_GLOBAL__N_124unique_dim_cuda_templateIbEESt5tupleIJNSH_6TensorESM_SM_EERKSM_lbbbEUlllE0_EEPmJS6_EEE10hipError_tPvRmT3_T4_T5_T6_T7_T9_mT8_P12ihipStream_tbDpT10_ENKUlT_T0_E_clISt17integral_constantIbLb0EES1C_EEDaS17_S18_EUlS17_E_NS1_11comp_targetILNS1_3genE3ELNS1_11target_archE908ELNS1_3gpuE7ELNS1_3repE0EEENS1_30default_config_static_selectorELNS0_4arch9wavefront6targetE1EEEvT1_,"axG",@progbits,_ZN7rocprim17ROCPRIM_400000_NS6detail17trampoline_kernelINS0_14default_configENS1_25partition_config_selectorILNS1_17partition_subalgoE8ElNS0_10empty_typeEbEEZZNS1_14partition_implILS5_8ELb0ES3_jPlPS6_PKS6_NS0_5tupleIJS9_S6_EEENSD_IJSA_SA_EEENS0_18inequality_wrapperIZN2at6native12_GLOBAL__N_124unique_dim_cuda_templateIbEESt5tupleIJNSH_6TensorESM_SM_EERKSM_lbbbEUlllE0_EEPmJS6_EEE10hipError_tPvRmT3_T4_T5_T6_T7_T9_mT8_P12ihipStream_tbDpT10_ENKUlT_T0_E_clISt17integral_constantIbLb0EES1C_EEDaS17_S18_EUlS17_E_NS1_11comp_targetILNS1_3genE3ELNS1_11target_archE908ELNS1_3gpuE7ELNS1_3repE0EEENS1_30default_config_static_selectorELNS0_4arch9wavefront6targetE1EEEvT1_,comdat
.Lfunc_end1054:
	.size	_ZN7rocprim17ROCPRIM_400000_NS6detail17trampoline_kernelINS0_14default_configENS1_25partition_config_selectorILNS1_17partition_subalgoE8ElNS0_10empty_typeEbEEZZNS1_14partition_implILS5_8ELb0ES3_jPlPS6_PKS6_NS0_5tupleIJS9_S6_EEENSD_IJSA_SA_EEENS0_18inequality_wrapperIZN2at6native12_GLOBAL__N_124unique_dim_cuda_templateIbEESt5tupleIJNSH_6TensorESM_SM_EERKSM_lbbbEUlllE0_EEPmJS6_EEE10hipError_tPvRmT3_T4_T5_T6_T7_T9_mT8_P12ihipStream_tbDpT10_ENKUlT_T0_E_clISt17integral_constantIbLb0EES1C_EEDaS17_S18_EUlS17_E_NS1_11comp_targetILNS1_3genE3ELNS1_11target_archE908ELNS1_3gpuE7ELNS1_3repE0EEENS1_30default_config_static_selectorELNS0_4arch9wavefront6targetE1EEEvT1_, .Lfunc_end1054-_ZN7rocprim17ROCPRIM_400000_NS6detail17trampoline_kernelINS0_14default_configENS1_25partition_config_selectorILNS1_17partition_subalgoE8ElNS0_10empty_typeEbEEZZNS1_14partition_implILS5_8ELb0ES3_jPlPS6_PKS6_NS0_5tupleIJS9_S6_EEENSD_IJSA_SA_EEENS0_18inequality_wrapperIZN2at6native12_GLOBAL__N_124unique_dim_cuda_templateIbEESt5tupleIJNSH_6TensorESM_SM_EERKSM_lbbbEUlllE0_EEPmJS6_EEE10hipError_tPvRmT3_T4_T5_T6_T7_T9_mT8_P12ihipStream_tbDpT10_ENKUlT_T0_E_clISt17integral_constantIbLb0EES1C_EEDaS17_S18_EUlS17_E_NS1_11comp_targetILNS1_3genE3ELNS1_11target_archE908ELNS1_3gpuE7ELNS1_3repE0EEENS1_30default_config_static_selectorELNS0_4arch9wavefront6targetE1EEEvT1_
                                        ; -- End function
	.section	.AMDGPU.csdata,"",@progbits
; Kernel info:
; codeLenInByte = 0
; NumSgprs: 4
; NumVgprs: 0
; NumAgprs: 0
; TotalNumVgprs: 0
; ScratchSize: 0
; MemoryBound: 0
; FloatMode: 240
; IeeeMode: 1
; LDSByteSize: 0 bytes/workgroup (compile time only)
; SGPRBlocks: 0
; VGPRBlocks: 0
; NumSGPRsForWavesPerEU: 4
; NumVGPRsForWavesPerEU: 1
; AccumOffset: 4
; Occupancy: 8
; WaveLimiterHint : 0
; COMPUTE_PGM_RSRC2:SCRATCH_EN: 0
; COMPUTE_PGM_RSRC2:USER_SGPR: 6
; COMPUTE_PGM_RSRC2:TRAP_HANDLER: 0
; COMPUTE_PGM_RSRC2:TGID_X_EN: 1
; COMPUTE_PGM_RSRC2:TGID_Y_EN: 0
; COMPUTE_PGM_RSRC2:TGID_Z_EN: 0
; COMPUTE_PGM_RSRC2:TIDIG_COMP_CNT: 0
; COMPUTE_PGM_RSRC3_GFX90A:ACCUM_OFFSET: 0
; COMPUTE_PGM_RSRC3_GFX90A:TG_SPLIT: 0
	.section	.text._ZN7rocprim17ROCPRIM_400000_NS6detail17trampoline_kernelINS0_14default_configENS1_25partition_config_selectorILNS1_17partition_subalgoE8ElNS0_10empty_typeEbEEZZNS1_14partition_implILS5_8ELb0ES3_jPlPS6_PKS6_NS0_5tupleIJS9_S6_EEENSD_IJSA_SA_EEENS0_18inequality_wrapperIZN2at6native12_GLOBAL__N_124unique_dim_cuda_templateIbEESt5tupleIJNSH_6TensorESM_SM_EERKSM_lbbbEUlllE0_EEPmJS6_EEE10hipError_tPvRmT3_T4_T5_T6_T7_T9_mT8_P12ihipStream_tbDpT10_ENKUlT_T0_E_clISt17integral_constantIbLb0EES1C_EEDaS17_S18_EUlS17_E_NS1_11comp_targetILNS1_3genE2ELNS1_11target_archE906ELNS1_3gpuE6ELNS1_3repE0EEENS1_30default_config_static_selectorELNS0_4arch9wavefront6targetE1EEEvT1_,"axG",@progbits,_ZN7rocprim17ROCPRIM_400000_NS6detail17trampoline_kernelINS0_14default_configENS1_25partition_config_selectorILNS1_17partition_subalgoE8ElNS0_10empty_typeEbEEZZNS1_14partition_implILS5_8ELb0ES3_jPlPS6_PKS6_NS0_5tupleIJS9_S6_EEENSD_IJSA_SA_EEENS0_18inequality_wrapperIZN2at6native12_GLOBAL__N_124unique_dim_cuda_templateIbEESt5tupleIJNSH_6TensorESM_SM_EERKSM_lbbbEUlllE0_EEPmJS6_EEE10hipError_tPvRmT3_T4_T5_T6_T7_T9_mT8_P12ihipStream_tbDpT10_ENKUlT_T0_E_clISt17integral_constantIbLb0EES1C_EEDaS17_S18_EUlS17_E_NS1_11comp_targetILNS1_3genE2ELNS1_11target_archE906ELNS1_3gpuE6ELNS1_3repE0EEENS1_30default_config_static_selectorELNS0_4arch9wavefront6targetE1EEEvT1_,comdat
	.globl	_ZN7rocprim17ROCPRIM_400000_NS6detail17trampoline_kernelINS0_14default_configENS1_25partition_config_selectorILNS1_17partition_subalgoE8ElNS0_10empty_typeEbEEZZNS1_14partition_implILS5_8ELb0ES3_jPlPS6_PKS6_NS0_5tupleIJS9_S6_EEENSD_IJSA_SA_EEENS0_18inequality_wrapperIZN2at6native12_GLOBAL__N_124unique_dim_cuda_templateIbEESt5tupleIJNSH_6TensorESM_SM_EERKSM_lbbbEUlllE0_EEPmJS6_EEE10hipError_tPvRmT3_T4_T5_T6_T7_T9_mT8_P12ihipStream_tbDpT10_ENKUlT_T0_E_clISt17integral_constantIbLb0EES1C_EEDaS17_S18_EUlS17_E_NS1_11comp_targetILNS1_3genE2ELNS1_11target_archE906ELNS1_3gpuE6ELNS1_3repE0EEENS1_30default_config_static_selectorELNS0_4arch9wavefront6targetE1EEEvT1_ ; -- Begin function _ZN7rocprim17ROCPRIM_400000_NS6detail17trampoline_kernelINS0_14default_configENS1_25partition_config_selectorILNS1_17partition_subalgoE8ElNS0_10empty_typeEbEEZZNS1_14partition_implILS5_8ELb0ES3_jPlPS6_PKS6_NS0_5tupleIJS9_S6_EEENSD_IJSA_SA_EEENS0_18inequality_wrapperIZN2at6native12_GLOBAL__N_124unique_dim_cuda_templateIbEESt5tupleIJNSH_6TensorESM_SM_EERKSM_lbbbEUlllE0_EEPmJS6_EEE10hipError_tPvRmT3_T4_T5_T6_T7_T9_mT8_P12ihipStream_tbDpT10_ENKUlT_T0_E_clISt17integral_constantIbLb0EES1C_EEDaS17_S18_EUlS17_E_NS1_11comp_targetILNS1_3genE2ELNS1_11target_archE906ELNS1_3gpuE6ELNS1_3repE0EEENS1_30default_config_static_selectorELNS0_4arch9wavefront6targetE1EEEvT1_
	.p2align	8
	.type	_ZN7rocprim17ROCPRIM_400000_NS6detail17trampoline_kernelINS0_14default_configENS1_25partition_config_selectorILNS1_17partition_subalgoE8ElNS0_10empty_typeEbEEZZNS1_14partition_implILS5_8ELb0ES3_jPlPS6_PKS6_NS0_5tupleIJS9_S6_EEENSD_IJSA_SA_EEENS0_18inequality_wrapperIZN2at6native12_GLOBAL__N_124unique_dim_cuda_templateIbEESt5tupleIJNSH_6TensorESM_SM_EERKSM_lbbbEUlllE0_EEPmJS6_EEE10hipError_tPvRmT3_T4_T5_T6_T7_T9_mT8_P12ihipStream_tbDpT10_ENKUlT_T0_E_clISt17integral_constantIbLb0EES1C_EEDaS17_S18_EUlS17_E_NS1_11comp_targetILNS1_3genE2ELNS1_11target_archE906ELNS1_3gpuE6ELNS1_3repE0EEENS1_30default_config_static_selectorELNS0_4arch9wavefront6targetE1EEEvT1_,@function
_ZN7rocprim17ROCPRIM_400000_NS6detail17trampoline_kernelINS0_14default_configENS1_25partition_config_selectorILNS1_17partition_subalgoE8ElNS0_10empty_typeEbEEZZNS1_14partition_implILS5_8ELb0ES3_jPlPS6_PKS6_NS0_5tupleIJS9_S6_EEENSD_IJSA_SA_EEENS0_18inequality_wrapperIZN2at6native12_GLOBAL__N_124unique_dim_cuda_templateIbEESt5tupleIJNSH_6TensorESM_SM_EERKSM_lbbbEUlllE0_EEPmJS6_EEE10hipError_tPvRmT3_T4_T5_T6_T7_T9_mT8_P12ihipStream_tbDpT10_ENKUlT_T0_E_clISt17integral_constantIbLb0EES1C_EEDaS17_S18_EUlS17_E_NS1_11comp_targetILNS1_3genE2ELNS1_11target_archE906ELNS1_3gpuE6ELNS1_3repE0EEENS1_30default_config_static_selectorELNS0_4arch9wavefront6targetE1EEEvT1_: ; @_ZN7rocprim17ROCPRIM_400000_NS6detail17trampoline_kernelINS0_14default_configENS1_25partition_config_selectorILNS1_17partition_subalgoE8ElNS0_10empty_typeEbEEZZNS1_14partition_implILS5_8ELb0ES3_jPlPS6_PKS6_NS0_5tupleIJS9_S6_EEENSD_IJSA_SA_EEENS0_18inequality_wrapperIZN2at6native12_GLOBAL__N_124unique_dim_cuda_templateIbEESt5tupleIJNSH_6TensorESM_SM_EERKSM_lbbbEUlllE0_EEPmJS6_EEE10hipError_tPvRmT3_T4_T5_T6_T7_T9_mT8_P12ihipStream_tbDpT10_ENKUlT_T0_E_clISt17integral_constantIbLb0EES1C_EEDaS17_S18_EUlS17_E_NS1_11comp_targetILNS1_3genE2ELNS1_11target_archE906ELNS1_3gpuE6ELNS1_3repE0EEENS1_30default_config_static_selectorELNS0_4arch9wavefront6targetE1EEEvT1_
; %bb.0:
	.section	.rodata,"a",@progbits
	.p2align	6, 0x0
	.amdhsa_kernel _ZN7rocprim17ROCPRIM_400000_NS6detail17trampoline_kernelINS0_14default_configENS1_25partition_config_selectorILNS1_17partition_subalgoE8ElNS0_10empty_typeEbEEZZNS1_14partition_implILS5_8ELb0ES3_jPlPS6_PKS6_NS0_5tupleIJS9_S6_EEENSD_IJSA_SA_EEENS0_18inequality_wrapperIZN2at6native12_GLOBAL__N_124unique_dim_cuda_templateIbEESt5tupleIJNSH_6TensorESM_SM_EERKSM_lbbbEUlllE0_EEPmJS6_EEE10hipError_tPvRmT3_T4_T5_T6_T7_T9_mT8_P12ihipStream_tbDpT10_ENKUlT_T0_E_clISt17integral_constantIbLb0EES1C_EEDaS17_S18_EUlS17_E_NS1_11comp_targetILNS1_3genE2ELNS1_11target_archE906ELNS1_3gpuE6ELNS1_3repE0EEENS1_30default_config_static_selectorELNS0_4arch9wavefront6targetE1EEEvT1_
		.amdhsa_group_segment_fixed_size 0
		.amdhsa_private_segment_fixed_size 0
		.amdhsa_kernarg_size 120
		.amdhsa_user_sgpr_count 6
		.amdhsa_user_sgpr_private_segment_buffer 1
		.amdhsa_user_sgpr_dispatch_ptr 0
		.amdhsa_user_sgpr_queue_ptr 0
		.amdhsa_user_sgpr_kernarg_segment_ptr 1
		.amdhsa_user_sgpr_dispatch_id 0
		.amdhsa_user_sgpr_flat_scratch_init 0
		.amdhsa_user_sgpr_kernarg_preload_length 0
		.amdhsa_user_sgpr_kernarg_preload_offset 0
		.amdhsa_user_sgpr_private_segment_size 0
		.amdhsa_uses_dynamic_stack 0
		.amdhsa_system_sgpr_private_segment_wavefront_offset 0
		.amdhsa_system_sgpr_workgroup_id_x 1
		.amdhsa_system_sgpr_workgroup_id_y 0
		.amdhsa_system_sgpr_workgroup_id_z 0
		.amdhsa_system_sgpr_workgroup_info 0
		.amdhsa_system_vgpr_workitem_id 0
		.amdhsa_next_free_vgpr 1
		.amdhsa_next_free_sgpr 0
		.amdhsa_accum_offset 4
		.amdhsa_reserve_vcc 0
		.amdhsa_reserve_flat_scratch 0
		.amdhsa_float_round_mode_32 0
		.amdhsa_float_round_mode_16_64 0
		.amdhsa_float_denorm_mode_32 3
		.amdhsa_float_denorm_mode_16_64 3
		.amdhsa_dx10_clamp 1
		.amdhsa_ieee_mode 1
		.amdhsa_fp16_overflow 0
		.amdhsa_tg_split 0
		.amdhsa_exception_fp_ieee_invalid_op 0
		.amdhsa_exception_fp_denorm_src 0
		.amdhsa_exception_fp_ieee_div_zero 0
		.amdhsa_exception_fp_ieee_overflow 0
		.amdhsa_exception_fp_ieee_underflow 0
		.amdhsa_exception_fp_ieee_inexact 0
		.amdhsa_exception_int_div_zero 0
	.end_amdhsa_kernel
	.section	.text._ZN7rocprim17ROCPRIM_400000_NS6detail17trampoline_kernelINS0_14default_configENS1_25partition_config_selectorILNS1_17partition_subalgoE8ElNS0_10empty_typeEbEEZZNS1_14partition_implILS5_8ELb0ES3_jPlPS6_PKS6_NS0_5tupleIJS9_S6_EEENSD_IJSA_SA_EEENS0_18inequality_wrapperIZN2at6native12_GLOBAL__N_124unique_dim_cuda_templateIbEESt5tupleIJNSH_6TensorESM_SM_EERKSM_lbbbEUlllE0_EEPmJS6_EEE10hipError_tPvRmT3_T4_T5_T6_T7_T9_mT8_P12ihipStream_tbDpT10_ENKUlT_T0_E_clISt17integral_constantIbLb0EES1C_EEDaS17_S18_EUlS17_E_NS1_11comp_targetILNS1_3genE2ELNS1_11target_archE906ELNS1_3gpuE6ELNS1_3repE0EEENS1_30default_config_static_selectorELNS0_4arch9wavefront6targetE1EEEvT1_,"axG",@progbits,_ZN7rocprim17ROCPRIM_400000_NS6detail17trampoline_kernelINS0_14default_configENS1_25partition_config_selectorILNS1_17partition_subalgoE8ElNS0_10empty_typeEbEEZZNS1_14partition_implILS5_8ELb0ES3_jPlPS6_PKS6_NS0_5tupleIJS9_S6_EEENSD_IJSA_SA_EEENS0_18inequality_wrapperIZN2at6native12_GLOBAL__N_124unique_dim_cuda_templateIbEESt5tupleIJNSH_6TensorESM_SM_EERKSM_lbbbEUlllE0_EEPmJS6_EEE10hipError_tPvRmT3_T4_T5_T6_T7_T9_mT8_P12ihipStream_tbDpT10_ENKUlT_T0_E_clISt17integral_constantIbLb0EES1C_EEDaS17_S18_EUlS17_E_NS1_11comp_targetILNS1_3genE2ELNS1_11target_archE906ELNS1_3gpuE6ELNS1_3repE0EEENS1_30default_config_static_selectorELNS0_4arch9wavefront6targetE1EEEvT1_,comdat
.Lfunc_end1055:
	.size	_ZN7rocprim17ROCPRIM_400000_NS6detail17trampoline_kernelINS0_14default_configENS1_25partition_config_selectorILNS1_17partition_subalgoE8ElNS0_10empty_typeEbEEZZNS1_14partition_implILS5_8ELb0ES3_jPlPS6_PKS6_NS0_5tupleIJS9_S6_EEENSD_IJSA_SA_EEENS0_18inequality_wrapperIZN2at6native12_GLOBAL__N_124unique_dim_cuda_templateIbEESt5tupleIJNSH_6TensorESM_SM_EERKSM_lbbbEUlllE0_EEPmJS6_EEE10hipError_tPvRmT3_T4_T5_T6_T7_T9_mT8_P12ihipStream_tbDpT10_ENKUlT_T0_E_clISt17integral_constantIbLb0EES1C_EEDaS17_S18_EUlS17_E_NS1_11comp_targetILNS1_3genE2ELNS1_11target_archE906ELNS1_3gpuE6ELNS1_3repE0EEENS1_30default_config_static_selectorELNS0_4arch9wavefront6targetE1EEEvT1_, .Lfunc_end1055-_ZN7rocprim17ROCPRIM_400000_NS6detail17trampoline_kernelINS0_14default_configENS1_25partition_config_selectorILNS1_17partition_subalgoE8ElNS0_10empty_typeEbEEZZNS1_14partition_implILS5_8ELb0ES3_jPlPS6_PKS6_NS0_5tupleIJS9_S6_EEENSD_IJSA_SA_EEENS0_18inequality_wrapperIZN2at6native12_GLOBAL__N_124unique_dim_cuda_templateIbEESt5tupleIJNSH_6TensorESM_SM_EERKSM_lbbbEUlllE0_EEPmJS6_EEE10hipError_tPvRmT3_T4_T5_T6_T7_T9_mT8_P12ihipStream_tbDpT10_ENKUlT_T0_E_clISt17integral_constantIbLb0EES1C_EEDaS17_S18_EUlS17_E_NS1_11comp_targetILNS1_3genE2ELNS1_11target_archE906ELNS1_3gpuE6ELNS1_3repE0EEENS1_30default_config_static_selectorELNS0_4arch9wavefront6targetE1EEEvT1_
                                        ; -- End function
	.section	.AMDGPU.csdata,"",@progbits
; Kernel info:
; codeLenInByte = 0
; NumSgprs: 4
; NumVgprs: 0
; NumAgprs: 0
; TotalNumVgprs: 0
; ScratchSize: 0
; MemoryBound: 0
; FloatMode: 240
; IeeeMode: 1
; LDSByteSize: 0 bytes/workgroup (compile time only)
; SGPRBlocks: 0
; VGPRBlocks: 0
; NumSGPRsForWavesPerEU: 4
; NumVGPRsForWavesPerEU: 1
; AccumOffset: 4
; Occupancy: 8
; WaveLimiterHint : 0
; COMPUTE_PGM_RSRC2:SCRATCH_EN: 0
; COMPUTE_PGM_RSRC2:USER_SGPR: 6
; COMPUTE_PGM_RSRC2:TRAP_HANDLER: 0
; COMPUTE_PGM_RSRC2:TGID_X_EN: 1
; COMPUTE_PGM_RSRC2:TGID_Y_EN: 0
; COMPUTE_PGM_RSRC2:TGID_Z_EN: 0
; COMPUTE_PGM_RSRC2:TIDIG_COMP_CNT: 0
; COMPUTE_PGM_RSRC3_GFX90A:ACCUM_OFFSET: 0
; COMPUTE_PGM_RSRC3_GFX90A:TG_SPLIT: 0
	.section	.text._ZN7rocprim17ROCPRIM_400000_NS6detail17trampoline_kernelINS0_14default_configENS1_25partition_config_selectorILNS1_17partition_subalgoE8ElNS0_10empty_typeEbEEZZNS1_14partition_implILS5_8ELb0ES3_jPlPS6_PKS6_NS0_5tupleIJS9_S6_EEENSD_IJSA_SA_EEENS0_18inequality_wrapperIZN2at6native12_GLOBAL__N_124unique_dim_cuda_templateIbEESt5tupleIJNSH_6TensorESM_SM_EERKSM_lbbbEUlllE0_EEPmJS6_EEE10hipError_tPvRmT3_T4_T5_T6_T7_T9_mT8_P12ihipStream_tbDpT10_ENKUlT_T0_E_clISt17integral_constantIbLb0EES1C_EEDaS17_S18_EUlS17_E_NS1_11comp_targetILNS1_3genE10ELNS1_11target_archE1200ELNS1_3gpuE4ELNS1_3repE0EEENS1_30default_config_static_selectorELNS0_4arch9wavefront6targetE1EEEvT1_,"axG",@progbits,_ZN7rocprim17ROCPRIM_400000_NS6detail17trampoline_kernelINS0_14default_configENS1_25partition_config_selectorILNS1_17partition_subalgoE8ElNS0_10empty_typeEbEEZZNS1_14partition_implILS5_8ELb0ES3_jPlPS6_PKS6_NS0_5tupleIJS9_S6_EEENSD_IJSA_SA_EEENS0_18inequality_wrapperIZN2at6native12_GLOBAL__N_124unique_dim_cuda_templateIbEESt5tupleIJNSH_6TensorESM_SM_EERKSM_lbbbEUlllE0_EEPmJS6_EEE10hipError_tPvRmT3_T4_T5_T6_T7_T9_mT8_P12ihipStream_tbDpT10_ENKUlT_T0_E_clISt17integral_constantIbLb0EES1C_EEDaS17_S18_EUlS17_E_NS1_11comp_targetILNS1_3genE10ELNS1_11target_archE1200ELNS1_3gpuE4ELNS1_3repE0EEENS1_30default_config_static_selectorELNS0_4arch9wavefront6targetE1EEEvT1_,comdat
	.globl	_ZN7rocprim17ROCPRIM_400000_NS6detail17trampoline_kernelINS0_14default_configENS1_25partition_config_selectorILNS1_17partition_subalgoE8ElNS0_10empty_typeEbEEZZNS1_14partition_implILS5_8ELb0ES3_jPlPS6_PKS6_NS0_5tupleIJS9_S6_EEENSD_IJSA_SA_EEENS0_18inequality_wrapperIZN2at6native12_GLOBAL__N_124unique_dim_cuda_templateIbEESt5tupleIJNSH_6TensorESM_SM_EERKSM_lbbbEUlllE0_EEPmJS6_EEE10hipError_tPvRmT3_T4_T5_T6_T7_T9_mT8_P12ihipStream_tbDpT10_ENKUlT_T0_E_clISt17integral_constantIbLb0EES1C_EEDaS17_S18_EUlS17_E_NS1_11comp_targetILNS1_3genE10ELNS1_11target_archE1200ELNS1_3gpuE4ELNS1_3repE0EEENS1_30default_config_static_selectorELNS0_4arch9wavefront6targetE1EEEvT1_ ; -- Begin function _ZN7rocprim17ROCPRIM_400000_NS6detail17trampoline_kernelINS0_14default_configENS1_25partition_config_selectorILNS1_17partition_subalgoE8ElNS0_10empty_typeEbEEZZNS1_14partition_implILS5_8ELb0ES3_jPlPS6_PKS6_NS0_5tupleIJS9_S6_EEENSD_IJSA_SA_EEENS0_18inequality_wrapperIZN2at6native12_GLOBAL__N_124unique_dim_cuda_templateIbEESt5tupleIJNSH_6TensorESM_SM_EERKSM_lbbbEUlllE0_EEPmJS6_EEE10hipError_tPvRmT3_T4_T5_T6_T7_T9_mT8_P12ihipStream_tbDpT10_ENKUlT_T0_E_clISt17integral_constantIbLb0EES1C_EEDaS17_S18_EUlS17_E_NS1_11comp_targetILNS1_3genE10ELNS1_11target_archE1200ELNS1_3gpuE4ELNS1_3repE0EEENS1_30default_config_static_selectorELNS0_4arch9wavefront6targetE1EEEvT1_
	.p2align	8
	.type	_ZN7rocprim17ROCPRIM_400000_NS6detail17trampoline_kernelINS0_14default_configENS1_25partition_config_selectorILNS1_17partition_subalgoE8ElNS0_10empty_typeEbEEZZNS1_14partition_implILS5_8ELb0ES3_jPlPS6_PKS6_NS0_5tupleIJS9_S6_EEENSD_IJSA_SA_EEENS0_18inequality_wrapperIZN2at6native12_GLOBAL__N_124unique_dim_cuda_templateIbEESt5tupleIJNSH_6TensorESM_SM_EERKSM_lbbbEUlllE0_EEPmJS6_EEE10hipError_tPvRmT3_T4_T5_T6_T7_T9_mT8_P12ihipStream_tbDpT10_ENKUlT_T0_E_clISt17integral_constantIbLb0EES1C_EEDaS17_S18_EUlS17_E_NS1_11comp_targetILNS1_3genE10ELNS1_11target_archE1200ELNS1_3gpuE4ELNS1_3repE0EEENS1_30default_config_static_selectorELNS0_4arch9wavefront6targetE1EEEvT1_,@function
_ZN7rocprim17ROCPRIM_400000_NS6detail17trampoline_kernelINS0_14default_configENS1_25partition_config_selectorILNS1_17partition_subalgoE8ElNS0_10empty_typeEbEEZZNS1_14partition_implILS5_8ELb0ES3_jPlPS6_PKS6_NS0_5tupleIJS9_S6_EEENSD_IJSA_SA_EEENS0_18inequality_wrapperIZN2at6native12_GLOBAL__N_124unique_dim_cuda_templateIbEESt5tupleIJNSH_6TensorESM_SM_EERKSM_lbbbEUlllE0_EEPmJS6_EEE10hipError_tPvRmT3_T4_T5_T6_T7_T9_mT8_P12ihipStream_tbDpT10_ENKUlT_T0_E_clISt17integral_constantIbLb0EES1C_EEDaS17_S18_EUlS17_E_NS1_11comp_targetILNS1_3genE10ELNS1_11target_archE1200ELNS1_3gpuE4ELNS1_3repE0EEENS1_30default_config_static_selectorELNS0_4arch9wavefront6targetE1EEEvT1_: ; @_ZN7rocprim17ROCPRIM_400000_NS6detail17trampoline_kernelINS0_14default_configENS1_25partition_config_selectorILNS1_17partition_subalgoE8ElNS0_10empty_typeEbEEZZNS1_14partition_implILS5_8ELb0ES3_jPlPS6_PKS6_NS0_5tupleIJS9_S6_EEENSD_IJSA_SA_EEENS0_18inequality_wrapperIZN2at6native12_GLOBAL__N_124unique_dim_cuda_templateIbEESt5tupleIJNSH_6TensorESM_SM_EERKSM_lbbbEUlllE0_EEPmJS6_EEE10hipError_tPvRmT3_T4_T5_T6_T7_T9_mT8_P12ihipStream_tbDpT10_ENKUlT_T0_E_clISt17integral_constantIbLb0EES1C_EEDaS17_S18_EUlS17_E_NS1_11comp_targetILNS1_3genE10ELNS1_11target_archE1200ELNS1_3gpuE4ELNS1_3repE0EEENS1_30default_config_static_selectorELNS0_4arch9wavefront6targetE1EEEvT1_
; %bb.0:
	.section	.rodata,"a",@progbits
	.p2align	6, 0x0
	.amdhsa_kernel _ZN7rocprim17ROCPRIM_400000_NS6detail17trampoline_kernelINS0_14default_configENS1_25partition_config_selectorILNS1_17partition_subalgoE8ElNS0_10empty_typeEbEEZZNS1_14partition_implILS5_8ELb0ES3_jPlPS6_PKS6_NS0_5tupleIJS9_S6_EEENSD_IJSA_SA_EEENS0_18inequality_wrapperIZN2at6native12_GLOBAL__N_124unique_dim_cuda_templateIbEESt5tupleIJNSH_6TensorESM_SM_EERKSM_lbbbEUlllE0_EEPmJS6_EEE10hipError_tPvRmT3_T4_T5_T6_T7_T9_mT8_P12ihipStream_tbDpT10_ENKUlT_T0_E_clISt17integral_constantIbLb0EES1C_EEDaS17_S18_EUlS17_E_NS1_11comp_targetILNS1_3genE10ELNS1_11target_archE1200ELNS1_3gpuE4ELNS1_3repE0EEENS1_30default_config_static_selectorELNS0_4arch9wavefront6targetE1EEEvT1_
		.amdhsa_group_segment_fixed_size 0
		.amdhsa_private_segment_fixed_size 0
		.amdhsa_kernarg_size 120
		.amdhsa_user_sgpr_count 6
		.amdhsa_user_sgpr_private_segment_buffer 1
		.amdhsa_user_sgpr_dispatch_ptr 0
		.amdhsa_user_sgpr_queue_ptr 0
		.amdhsa_user_sgpr_kernarg_segment_ptr 1
		.amdhsa_user_sgpr_dispatch_id 0
		.amdhsa_user_sgpr_flat_scratch_init 0
		.amdhsa_user_sgpr_kernarg_preload_length 0
		.amdhsa_user_sgpr_kernarg_preload_offset 0
		.amdhsa_user_sgpr_private_segment_size 0
		.amdhsa_uses_dynamic_stack 0
		.amdhsa_system_sgpr_private_segment_wavefront_offset 0
		.amdhsa_system_sgpr_workgroup_id_x 1
		.amdhsa_system_sgpr_workgroup_id_y 0
		.amdhsa_system_sgpr_workgroup_id_z 0
		.amdhsa_system_sgpr_workgroup_info 0
		.amdhsa_system_vgpr_workitem_id 0
		.amdhsa_next_free_vgpr 1
		.amdhsa_next_free_sgpr 0
		.amdhsa_accum_offset 4
		.amdhsa_reserve_vcc 0
		.amdhsa_reserve_flat_scratch 0
		.amdhsa_float_round_mode_32 0
		.amdhsa_float_round_mode_16_64 0
		.amdhsa_float_denorm_mode_32 3
		.amdhsa_float_denorm_mode_16_64 3
		.amdhsa_dx10_clamp 1
		.amdhsa_ieee_mode 1
		.amdhsa_fp16_overflow 0
		.amdhsa_tg_split 0
		.amdhsa_exception_fp_ieee_invalid_op 0
		.amdhsa_exception_fp_denorm_src 0
		.amdhsa_exception_fp_ieee_div_zero 0
		.amdhsa_exception_fp_ieee_overflow 0
		.amdhsa_exception_fp_ieee_underflow 0
		.amdhsa_exception_fp_ieee_inexact 0
		.amdhsa_exception_int_div_zero 0
	.end_amdhsa_kernel
	.section	.text._ZN7rocprim17ROCPRIM_400000_NS6detail17trampoline_kernelINS0_14default_configENS1_25partition_config_selectorILNS1_17partition_subalgoE8ElNS0_10empty_typeEbEEZZNS1_14partition_implILS5_8ELb0ES3_jPlPS6_PKS6_NS0_5tupleIJS9_S6_EEENSD_IJSA_SA_EEENS0_18inequality_wrapperIZN2at6native12_GLOBAL__N_124unique_dim_cuda_templateIbEESt5tupleIJNSH_6TensorESM_SM_EERKSM_lbbbEUlllE0_EEPmJS6_EEE10hipError_tPvRmT3_T4_T5_T6_T7_T9_mT8_P12ihipStream_tbDpT10_ENKUlT_T0_E_clISt17integral_constantIbLb0EES1C_EEDaS17_S18_EUlS17_E_NS1_11comp_targetILNS1_3genE10ELNS1_11target_archE1200ELNS1_3gpuE4ELNS1_3repE0EEENS1_30default_config_static_selectorELNS0_4arch9wavefront6targetE1EEEvT1_,"axG",@progbits,_ZN7rocprim17ROCPRIM_400000_NS6detail17trampoline_kernelINS0_14default_configENS1_25partition_config_selectorILNS1_17partition_subalgoE8ElNS0_10empty_typeEbEEZZNS1_14partition_implILS5_8ELb0ES3_jPlPS6_PKS6_NS0_5tupleIJS9_S6_EEENSD_IJSA_SA_EEENS0_18inequality_wrapperIZN2at6native12_GLOBAL__N_124unique_dim_cuda_templateIbEESt5tupleIJNSH_6TensorESM_SM_EERKSM_lbbbEUlllE0_EEPmJS6_EEE10hipError_tPvRmT3_T4_T5_T6_T7_T9_mT8_P12ihipStream_tbDpT10_ENKUlT_T0_E_clISt17integral_constantIbLb0EES1C_EEDaS17_S18_EUlS17_E_NS1_11comp_targetILNS1_3genE10ELNS1_11target_archE1200ELNS1_3gpuE4ELNS1_3repE0EEENS1_30default_config_static_selectorELNS0_4arch9wavefront6targetE1EEEvT1_,comdat
.Lfunc_end1056:
	.size	_ZN7rocprim17ROCPRIM_400000_NS6detail17trampoline_kernelINS0_14default_configENS1_25partition_config_selectorILNS1_17partition_subalgoE8ElNS0_10empty_typeEbEEZZNS1_14partition_implILS5_8ELb0ES3_jPlPS6_PKS6_NS0_5tupleIJS9_S6_EEENSD_IJSA_SA_EEENS0_18inequality_wrapperIZN2at6native12_GLOBAL__N_124unique_dim_cuda_templateIbEESt5tupleIJNSH_6TensorESM_SM_EERKSM_lbbbEUlllE0_EEPmJS6_EEE10hipError_tPvRmT3_T4_T5_T6_T7_T9_mT8_P12ihipStream_tbDpT10_ENKUlT_T0_E_clISt17integral_constantIbLb0EES1C_EEDaS17_S18_EUlS17_E_NS1_11comp_targetILNS1_3genE10ELNS1_11target_archE1200ELNS1_3gpuE4ELNS1_3repE0EEENS1_30default_config_static_selectorELNS0_4arch9wavefront6targetE1EEEvT1_, .Lfunc_end1056-_ZN7rocprim17ROCPRIM_400000_NS6detail17trampoline_kernelINS0_14default_configENS1_25partition_config_selectorILNS1_17partition_subalgoE8ElNS0_10empty_typeEbEEZZNS1_14partition_implILS5_8ELb0ES3_jPlPS6_PKS6_NS0_5tupleIJS9_S6_EEENSD_IJSA_SA_EEENS0_18inequality_wrapperIZN2at6native12_GLOBAL__N_124unique_dim_cuda_templateIbEESt5tupleIJNSH_6TensorESM_SM_EERKSM_lbbbEUlllE0_EEPmJS6_EEE10hipError_tPvRmT3_T4_T5_T6_T7_T9_mT8_P12ihipStream_tbDpT10_ENKUlT_T0_E_clISt17integral_constantIbLb0EES1C_EEDaS17_S18_EUlS17_E_NS1_11comp_targetILNS1_3genE10ELNS1_11target_archE1200ELNS1_3gpuE4ELNS1_3repE0EEENS1_30default_config_static_selectorELNS0_4arch9wavefront6targetE1EEEvT1_
                                        ; -- End function
	.section	.AMDGPU.csdata,"",@progbits
; Kernel info:
; codeLenInByte = 0
; NumSgprs: 4
; NumVgprs: 0
; NumAgprs: 0
; TotalNumVgprs: 0
; ScratchSize: 0
; MemoryBound: 0
; FloatMode: 240
; IeeeMode: 1
; LDSByteSize: 0 bytes/workgroup (compile time only)
; SGPRBlocks: 0
; VGPRBlocks: 0
; NumSGPRsForWavesPerEU: 4
; NumVGPRsForWavesPerEU: 1
; AccumOffset: 4
; Occupancy: 8
; WaveLimiterHint : 0
; COMPUTE_PGM_RSRC2:SCRATCH_EN: 0
; COMPUTE_PGM_RSRC2:USER_SGPR: 6
; COMPUTE_PGM_RSRC2:TRAP_HANDLER: 0
; COMPUTE_PGM_RSRC2:TGID_X_EN: 1
; COMPUTE_PGM_RSRC2:TGID_Y_EN: 0
; COMPUTE_PGM_RSRC2:TGID_Z_EN: 0
; COMPUTE_PGM_RSRC2:TIDIG_COMP_CNT: 0
; COMPUTE_PGM_RSRC3_GFX90A:ACCUM_OFFSET: 0
; COMPUTE_PGM_RSRC3_GFX90A:TG_SPLIT: 0
	.section	.text._ZN7rocprim17ROCPRIM_400000_NS6detail17trampoline_kernelINS0_14default_configENS1_25partition_config_selectorILNS1_17partition_subalgoE8ElNS0_10empty_typeEbEEZZNS1_14partition_implILS5_8ELb0ES3_jPlPS6_PKS6_NS0_5tupleIJS9_S6_EEENSD_IJSA_SA_EEENS0_18inequality_wrapperIZN2at6native12_GLOBAL__N_124unique_dim_cuda_templateIbEESt5tupleIJNSH_6TensorESM_SM_EERKSM_lbbbEUlllE0_EEPmJS6_EEE10hipError_tPvRmT3_T4_T5_T6_T7_T9_mT8_P12ihipStream_tbDpT10_ENKUlT_T0_E_clISt17integral_constantIbLb0EES1C_EEDaS17_S18_EUlS17_E_NS1_11comp_targetILNS1_3genE9ELNS1_11target_archE1100ELNS1_3gpuE3ELNS1_3repE0EEENS1_30default_config_static_selectorELNS0_4arch9wavefront6targetE1EEEvT1_,"axG",@progbits,_ZN7rocprim17ROCPRIM_400000_NS6detail17trampoline_kernelINS0_14default_configENS1_25partition_config_selectorILNS1_17partition_subalgoE8ElNS0_10empty_typeEbEEZZNS1_14partition_implILS5_8ELb0ES3_jPlPS6_PKS6_NS0_5tupleIJS9_S6_EEENSD_IJSA_SA_EEENS0_18inequality_wrapperIZN2at6native12_GLOBAL__N_124unique_dim_cuda_templateIbEESt5tupleIJNSH_6TensorESM_SM_EERKSM_lbbbEUlllE0_EEPmJS6_EEE10hipError_tPvRmT3_T4_T5_T6_T7_T9_mT8_P12ihipStream_tbDpT10_ENKUlT_T0_E_clISt17integral_constantIbLb0EES1C_EEDaS17_S18_EUlS17_E_NS1_11comp_targetILNS1_3genE9ELNS1_11target_archE1100ELNS1_3gpuE3ELNS1_3repE0EEENS1_30default_config_static_selectorELNS0_4arch9wavefront6targetE1EEEvT1_,comdat
	.globl	_ZN7rocprim17ROCPRIM_400000_NS6detail17trampoline_kernelINS0_14default_configENS1_25partition_config_selectorILNS1_17partition_subalgoE8ElNS0_10empty_typeEbEEZZNS1_14partition_implILS5_8ELb0ES3_jPlPS6_PKS6_NS0_5tupleIJS9_S6_EEENSD_IJSA_SA_EEENS0_18inequality_wrapperIZN2at6native12_GLOBAL__N_124unique_dim_cuda_templateIbEESt5tupleIJNSH_6TensorESM_SM_EERKSM_lbbbEUlllE0_EEPmJS6_EEE10hipError_tPvRmT3_T4_T5_T6_T7_T9_mT8_P12ihipStream_tbDpT10_ENKUlT_T0_E_clISt17integral_constantIbLb0EES1C_EEDaS17_S18_EUlS17_E_NS1_11comp_targetILNS1_3genE9ELNS1_11target_archE1100ELNS1_3gpuE3ELNS1_3repE0EEENS1_30default_config_static_selectorELNS0_4arch9wavefront6targetE1EEEvT1_ ; -- Begin function _ZN7rocprim17ROCPRIM_400000_NS6detail17trampoline_kernelINS0_14default_configENS1_25partition_config_selectorILNS1_17partition_subalgoE8ElNS0_10empty_typeEbEEZZNS1_14partition_implILS5_8ELb0ES3_jPlPS6_PKS6_NS0_5tupleIJS9_S6_EEENSD_IJSA_SA_EEENS0_18inequality_wrapperIZN2at6native12_GLOBAL__N_124unique_dim_cuda_templateIbEESt5tupleIJNSH_6TensorESM_SM_EERKSM_lbbbEUlllE0_EEPmJS6_EEE10hipError_tPvRmT3_T4_T5_T6_T7_T9_mT8_P12ihipStream_tbDpT10_ENKUlT_T0_E_clISt17integral_constantIbLb0EES1C_EEDaS17_S18_EUlS17_E_NS1_11comp_targetILNS1_3genE9ELNS1_11target_archE1100ELNS1_3gpuE3ELNS1_3repE0EEENS1_30default_config_static_selectorELNS0_4arch9wavefront6targetE1EEEvT1_
	.p2align	8
	.type	_ZN7rocprim17ROCPRIM_400000_NS6detail17trampoline_kernelINS0_14default_configENS1_25partition_config_selectorILNS1_17partition_subalgoE8ElNS0_10empty_typeEbEEZZNS1_14partition_implILS5_8ELb0ES3_jPlPS6_PKS6_NS0_5tupleIJS9_S6_EEENSD_IJSA_SA_EEENS0_18inequality_wrapperIZN2at6native12_GLOBAL__N_124unique_dim_cuda_templateIbEESt5tupleIJNSH_6TensorESM_SM_EERKSM_lbbbEUlllE0_EEPmJS6_EEE10hipError_tPvRmT3_T4_T5_T6_T7_T9_mT8_P12ihipStream_tbDpT10_ENKUlT_T0_E_clISt17integral_constantIbLb0EES1C_EEDaS17_S18_EUlS17_E_NS1_11comp_targetILNS1_3genE9ELNS1_11target_archE1100ELNS1_3gpuE3ELNS1_3repE0EEENS1_30default_config_static_selectorELNS0_4arch9wavefront6targetE1EEEvT1_,@function
_ZN7rocprim17ROCPRIM_400000_NS6detail17trampoline_kernelINS0_14default_configENS1_25partition_config_selectorILNS1_17partition_subalgoE8ElNS0_10empty_typeEbEEZZNS1_14partition_implILS5_8ELb0ES3_jPlPS6_PKS6_NS0_5tupleIJS9_S6_EEENSD_IJSA_SA_EEENS0_18inequality_wrapperIZN2at6native12_GLOBAL__N_124unique_dim_cuda_templateIbEESt5tupleIJNSH_6TensorESM_SM_EERKSM_lbbbEUlllE0_EEPmJS6_EEE10hipError_tPvRmT3_T4_T5_T6_T7_T9_mT8_P12ihipStream_tbDpT10_ENKUlT_T0_E_clISt17integral_constantIbLb0EES1C_EEDaS17_S18_EUlS17_E_NS1_11comp_targetILNS1_3genE9ELNS1_11target_archE1100ELNS1_3gpuE3ELNS1_3repE0EEENS1_30default_config_static_selectorELNS0_4arch9wavefront6targetE1EEEvT1_: ; @_ZN7rocprim17ROCPRIM_400000_NS6detail17trampoline_kernelINS0_14default_configENS1_25partition_config_selectorILNS1_17partition_subalgoE8ElNS0_10empty_typeEbEEZZNS1_14partition_implILS5_8ELb0ES3_jPlPS6_PKS6_NS0_5tupleIJS9_S6_EEENSD_IJSA_SA_EEENS0_18inequality_wrapperIZN2at6native12_GLOBAL__N_124unique_dim_cuda_templateIbEESt5tupleIJNSH_6TensorESM_SM_EERKSM_lbbbEUlllE0_EEPmJS6_EEE10hipError_tPvRmT3_T4_T5_T6_T7_T9_mT8_P12ihipStream_tbDpT10_ENKUlT_T0_E_clISt17integral_constantIbLb0EES1C_EEDaS17_S18_EUlS17_E_NS1_11comp_targetILNS1_3genE9ELNS1_11target_archE1100ELNS1_3gpuE3ELNS1_3repE0EEENS1_30default_config_static_selectorELNS0_4arch9wavefront6targetE1EEEvT1_
; %bb.0:
	.section	.rodata,"a",@progbits
	.p2align	6, 0x0
	.amdhsa_kernel _ZN7rocprim17ROCPRIM_400000_NS6detail17trampoline_kernelINS0_14default_configENS1_25partition_config_selectorILNS1_17partition_subalgoE8ElNS0_10empty_typeEbEEZZNS1_14partition_implILS5_8ELb0ES3_jPlPS6_PKS6_NS0_5tupleIJS9_S6_EEENSD_IJSA_SA_EEENS0_18inequality_wrapperIZN2at6native12_GLOBAL__N_124unique_dim_cuda_templateIbEESt5tupleIJNSH_6TensorESM_SM_EERKSM_lbbbEUlllE0_EEPmJS6_EEE10hipError_tPvRmT3_T4_T5_T6_T7_T9_mT8_P12ihipStream_tbDpT10_ENKUlT_T0_E_clISt17integral_constantIbLb0EES1C_EEDaS17_S18_EUlS17_E_NS1_11comp_targetILNS1_3genE9ELNS1_11target_archE1100ELNS1_3gpuE3ELNS1_3repE0EEENS1_30default_config_static_selectorELNS0_4arch9wavefront6targetE1EEEvT1_
		.amdhsa_group_segment_fixed_size 0
		.amdhsa_private_segment_fixed_size 0
		.amdhsa_kernarg_size 120
		.amdhsa_user_sgpr_count 6
		.amdhsa_user_sgpr_private_segment_buffer 1
		.amdhsa_user_sgpr_dispatch_ptr 0
		.amdhsa_user_sgpr_queue_ptr 0
		.amdhsa_user_sgpr_kernarg_segment_ptr 1
		.amdhsa_user_sgpr_dispatch_id 0
		.amdhsa_user_sgpr_flat_scratch_init 0
		.amdhsa_user_sgpr_kernarg_preload_length 0
		.amdhsa_user_sgpr_kernarg_preload_offset 0
		.amdhsa_user_sgpr_private_segment_size 0
		.amdhsa_uses_dynamic_stack 0
		.amdhsa_system_sgpr_private_segment_wavefront_offset 0
		.amdhsa_system_sgpr_workgroup_id_x 1
		.amdhsa_system_sgpr_workgroup_id_y 0
		.amdhsa_system_sgpr_workgroup_id_z 0
		.amdhsa_system_sgpr_workgroup_info 0
		.amdhsa_system_vgpr_workitem_id 0
		.amdhsa_next_free_vgpr 1
		.amdhsa_next_free_sgpr 0
		.amdhsa_accum_offset 4
		.amdhsa_reserve_vcc 0
		.amdhsa_reserve_flat_scratch 0
		.amdhsa_float_round_mode_32 0
		.amdhsa_float_round_mode_16_64 0
		.amdhsa_float_denorm_mode_32 3
		.amdhsa_float_denorm_mode_16_64 3
		.amdhsa_dx10_clamp 1
		.amdhsa_ieee_mode 1
		.amdhsa_fp16_overflow 0
		.amdhsa_tg_split 0
		.amdhsa_exception_fp_ieee_invalid_op 0
		.amdhsa_exception_fp_denorm_src 0
		.amdhsa_exception_fp_ieee_div_zero 0
		.amdhsa_exception_fp_ieee_overflow 0
		.amdhsa_exception_fp_ieee_underflow 0
		.amdhsa_exception_fp_ieee_inexact 0
		.amdhsa_exception_int_div_zero 0
	.end_amdhsa_kernel
	.section	.text._ZN7rocprim17ROCPRIM_400000_NS6detail17trampoline_kernelINS0_14default_configENS1_25partition_config_selectorILNS1_17partition_subalgoE8ElNS0_10empty_typeEbEEZZNS1_14partition_implILS5_8ELb0ES3_jPlPS6_PKS6_NS0_5tupleIJS9_S6_EEENSD_IJSA_SA_EEENS0_18inequality_wrapperIZN2at6native12_GLOBAL__N_124unique_dim_cuda_templateIbEESt5tupleIJNSH_6TensorESM_SM_EERKSM_lbbbEUlllE0_EEPmJS6_EEE10hipError_tPvRmT3_T4_T5_T6_T7_T9_mT8_P12ihipStream_tbDpT10_ENKUlT_T0_E_clISt17integral_constantIbLb0EES1C_EEDaS17_S18_EUlS17_E_NS1_11comp_targetILNS1_3genE9ELNS1_11target_archE1100ELNS1_3gpuE3ELNS1_3repE0EEENS1_30default_config_static_selectorELNS0_4arch9wavefront6targetE1EEEvT1_,"axG",@progbits,_ZN7rocprim17ROCPRIM_400000_NS6detail17trampoline_kernelINS0_14default_configENS1_25partition_config_selectorILNS1_17partition_subalgoE8ElNS0_10empty_typeEbEEZZNS1_14partition_implILS5_8ELb0ES3_jPlPS6_PKS6_NS0_5tupleIJS9_S6_EEENSD_IJSA_SA_EEENS0_18inequality_wrapperIZN2at6native12_GLOBAL__N_124unique_dim_cuda_templateIbEESt5tupleIJNSH_6TensorESM_SM_EERKSM_lbbbEUlllE0_EEPmJS6_EEE10hipError_tPvRmT3_T4_T5_T6_T7_T9_mT8_P12ihipStream_tbDpT10_ENKUlT_T0_E_clISt17integral_constantIbLb0EES1C_EEDaS17_S18_EUlS17_E_NS1_11comp_targetILNS1_3genE9ELNS1_11target_archE1100ELNS1_3gpuE3ELNS1_3repE0EEENS1_30default_config_static_selectorELNS0_4arch9wavefront6targetE1EEEvT1_,comdat
.Lfunc_end1057:
	.size	_ZN7rocprim17ROCPRIM_400000_NS6detail17trampoline_kernelINS0_14default_configENS1_25partition_config_selectorILNS1_17partition_subalgoE8ElNS0_10empty_typeEbEEZZNS1_14partition_implILS5_8ELb0ES3_jPlPS6_PKS6_NS0_5tupleIJS9_S6_EEENSD_IJSA_SA_EEENS0_18inequality_wrapperIZN2at6native12_GLOBAL__N_124unique_dim_cuda_templateIbEESt5tupleIJNSH_6TensorESM_SM_EERKSM_lbbbEUlllE0_EEPmJS6_EEE10hipError_tPvRmT3_T4_T5_T6_T7_T9_mT8_P12ihipStream_tbDpT10_ENKUlT_T0_E_clISt17integral_constantIbLb0EES1C_EEDaS17_S18_EUlS17_E_NS1_11comp_targetILNS1_3genE9ELNS1_11target_archE1100ELNS1_3gpuE3ELNS1_3repE0EEENS1_30default_config_static_selectorELNS0_4arch9wavefront6targetE1EEEvT1_, .Lfunc_end1057-_ZN7rocprim17ROCPRIM_400000_NS6detail17trampoline_kernelINS0_14default_configENS1_25partition_config_selectorILNS1_17partition_subalgoE8ElNS0_10empty_typeEbEEZZNS1_14partition_implILS5_8ELb0ES3_jPlPS6_PKS6_NS0_5tupleIJS9_S6_EEENSD_IJSA_SA_EEENS0_18inequality_wrapperIZN2at6native12_GLOBAL__N_124unique_dim_cuda_templateIbEESt5tupleIJNSH_6TensorESM_SM_EERKSM_lbbbEUlllE0_EEPmJS6_EEE10hipError_tPvRmT3_T4_T5_T6_T7_T9_mT8_P12ihipStream_tbDpT10_ENKUlT_T0_E_clISt17integral_constantIbLb0EES1C_EEDaS17_S18_EUlS17_E_NS1_11comp_targetILNS1_3genE9ELNS1_11target_archE1100ELNS1_3gpuE3ELNS1_3repE0EEENS1_30default_config_static_selectorELNS0_4arch9wavefront6targetE1EEEvT1_
                                        ; -- End function
	.section	.AMDGPU.csdata,"",@progbits
; Kernel info:
; codeLenInByte = 0
; NumSgprs: 4
; NumVgprs: 0
; NumAgprs: 0
; TotalNumVgprs: 0
; ScratchSize: 0
; MemoryBound: 0
; FloatMode: 240
; IeeeMode: 1
; LDSByteSize: 0 bytes/workgroup (compile time only)
; SGPRBlocks: 0
; VGPRBlocks: 0
; NumSGPRsForWavesPerEU: 4
; NumVGPRsForWavesPerEU: 1
; AccumOffset: 4
; Occupancy: 8
; WaveLimiterHint : 0
; COMPUTE_PGM_RSRC2:SCRATCH_EN: 0
; COMPUTE_PGM_RSRC2:USER_SGPR: 6
; COMPUTE_PGM_RSRC2:TRAP_HANDLER: 0
; COMPUTE_PGM_RSRC2:TGID_X_EN: 1
; COMPUTE_PGM_RSRC2:TGID_Y_EN: 0
; COMPUTE_PGM_RSRC2:TGID_Z_EN: 0
; COMPUTE_PGM_RSRC2:TIDIG_COMP_CNT: 0
; COMPUTE_PGM_RSRC3_GFX90A:ACCUM_OFFSET: 0
; COMPUTE_PGM_RSRC3_GFX90A:TG_SPLIT: 0
	.section	.text._ZN7rocprim17ROCPRIM_400000_NS6detail17trampoline_kernelINS0_14default_configENS1_25partition_config_selectorILNS1_17partition_subalgoE8ElNS0_10empty_typeEbEEZZNS1_14partition_implILS5_8ELb0ES3_jPlPS6_PKS6_NS0_5tupleIJS9_S6_EEENSD_IJSA_SA_EEENS0_18inequality_wrapperIZN2at6native12_GLOBAL__N_124unique_dim_cuda_templateIbEESt5tupleIJNSH_6TensorESM_SM_EERKSM_lbbbEUlllE0_EEPmJS6_EEE10hipError_tPvRmT3_T4_T5_T6_T7_T9_mT8_P12ihipStream_tbDpT10_ENKUlT_T0_E_clISt17integral_constantIbLb0EES1C_EEDaS17_S18_EUlS17_E_NS1_11comp_targetILNS1_3genE8ELNS1_11target_archE1030ELNS1_3gpuE2ELNS1_3repE0EEENS1_30default_config_static_selectorELNS0_4arch9wavefront6targetE1EEEvT1_,"axG",@progbits,_ZN7rocprim17ROCPRIM_400000_NS6detail17trampoline_kernelINS0_14default_configENS1_25partition_config_selectorILNS1_17partition_subalgoE8ElNS0_10empty_typeEbEEZZNS1_14partition_implILS5_8ELb0ES3_jPlPS6_PKS6_NS0_5tupleIJS9_S6_EEENSD_IJSA_SA_EEENS0_18inequality_wrapperIZN2at6native12_GLOBAL__N_124unique_dim_cuda_templateIbEESt5tupleIJNSH_6TensorESM_SM_EERKSM_lbbbEUlllE0_EEPmJS6_EEE10hipError_tPvRmT3_T4_T5_T6_T7_T9_mT8_P12ihipStream_tbDpT10_ENKUlT_T0_E_clISt17integral_constantIbLb0EES1C_EEDaS17_S18_EUlS17_E_NS1_11comp_targetILNS1_3genE8ELNS1_11target_archE1030ELNS1_3gpuE2ELNS1_3repE0EEENS1_30default_config_static_selectorELNS0_4arch9wavefront6targetE1EEEvT1_,comdat
	.globl	_ZN7rocprim17ROCPRIM_400000_NS6detail17trampoline_kernelINS0_14default_configENS1_25partition_config_selectorILNS1_17partition_subalgoE8ElNS0_10empty_typeEbEEZZNS1_14partition_implILS5_8ELb0ES3_jPlPS6_PKS6_NS0_5tupleIJS9_S6_EEENSD_IJSA_SA_EEENS0_18inequality_wrapperIZN2at6native12_GLOBAL__N_124unique_dim_cuda_templateIbEESt5tupleIJNSH_6TensorESM_SM_EERKSM_lbbbEUlllE0_EEPmJS6_EEE10hipError_tPvRmT3_T4_T5_T6_T7_T9_mT8_P12ihipStream_tbDpT10_ENKUlT_T0_E_clISt17integral_constantIbLb0EES1C_EEDaS17_S18_EUlS17_E_NS1_11comp_targetILNS1_3genE8ELNS1_11target_archE1030ELNS1_3gpuE2ELNS1_3repE0EEENS1_30default_config_static_selectorELNS0_4arch9wavefront6targetE1EEEvT1_ ; -- Begin function _ZN7rocprim17ROCPRIM_400000_NS6detail17trampoline_kernelINS0_14default_configENS1_25partition_config_selectorILNS1_17partition_subalgoE8ElNS0_10empty_typeEbEEZZNS1_14partition_implILS5_8ELb0ES3_jPlPS6_PKS6_NS0_5tupleIJS9_S6_EEENSD_IJSA_SA_EEENS0_18inequality_wrapperIZN2at6native12_GLOBAL__N_124unique_dim_cuda_templateIbEESt5tupleIJNSH_6TensorESM_SM_EERKSM_lbbbEUlllE0_EEPmJS6_EEE10hipError_tPvRmT3_T4_T5_T6_T7_T9_mT8_P12ihipStream_tbDpT10_ENKUlT_T0_E_clISt17integral_constantIbLb0EES1C_EEDaS17_S18_EUlS17_E_NS1_11comp_targetILNS1_3genE8ELNS1_11target_archE1030ELNS1_3gpuE2ELNS1_3repE0EEENS1_30default_config_static_selectorELNS0_4arch9wavefront6targetE1EEEvT1_
	.p2align	8
	.type	_ZN7rocprim17ROCPRIM_400000_NS6detail17trampoline_kernelINS0_14default_configENS1_25partition_config_selectorILNS1_17partition_subalgoE8ElNS0_10empty_typeEbEEZZNS1_14partition_implILS5_8ELb0ES3_jPlPS6_PKS6_NS0_5tupleIJS9_S6_EEENSD_IJSA_SA_EEENS0_18inequality_wrapperIZN2at6native12_GLOBAL__N_124unique_dim_cuda_templateIbEESt5tupleIJNSH_6TensorESM_SM_EERKSM_lbbbEUlllE0_EEPmJS6_EEE10hipError_tPvRmT3_T4_T5_T6_T7_T9_mT8_P12ihipStream_tbDpT10_ENKUlT_T0_E_clISt17integral_constantIbLb0EES1C_EEDaS17_S18_EUlS17_E_NS1_11comp_targetILNS1_3genE8ELNS1_11target_archE1030ELNS1_3gpuE2ELNS1_3repE0EEENS1_30default_config_static_selectorELNS0_4arch9wavefront6targetE1EEEvT1_,@function
_ZN7rocprim17ROCPRIM_400000_NS6detail17trampoline_kernelINS0_14default_configENS1_25partition_config_selectorILNS1_17partition_subalgoE8ElNS0_10empty_typeEbEEZZNS1_14partition_implILS5_8ELb0ES3_jPlPS6_PKS6_NS0_5tupleIJS9_S6_EEENSD_IJSA_SA_EEENS0_18inequality_wrapperIZN2at6native12_GLOBAL__N_124unique_dim_cuda_templateIbEESt5tupleIJNSH_6TensorESM_SM_EERKSM_lbbbEUlllE0_EEPmJS6_EEE10hipError_tPvRmT3_T4_T5_T6_T7_T9_mT8_P12ihipStream_tbDpT10_ENKUlT_T0_E_clISt17integral_constantIbLb0EES1C_EEDaS17_S18_EUlS17_E_NS1_11comp_targetILNS1_3genE8ELNS1_11target_archE1030ELNS1_3gpuE2ELNS1_3repE0EEENS1_30default_config_static_selectorELNS0_4arch9wavefront6targetE1EEEvT1_: ; @_ZN7rocprim17ROCPRIM_400000_NS6detail17trampoline_kernelINS0_14default_configENS1_25partition_config_selectorILNS1_17partition_subalgoE8ElNS0_10empty_typeEbEEZZNS1_14partition_implILS5_8ELb0ES3_jPlPS6_PKS6_NS0_5tupleIJS9_S6_EEENSD_IJSA_SA_EEENS0_18inequality_wrapperIZN2at6native12_GLOBAL__N_124unique_dim_cuda_templateIbEESt5tupleIJNSH_6TensorESM_SM_EERKSM_lbbbEUlllE0_EEPmJS6_EEE10hipError_tPvRmT3_T4_T5_T6_T7_T9_mT8_P12ihipStream_tbDpT10_ENKUlT_T0_E_clISt17integral_constantIbLb0EES1C_EEDaS17_S18_EUlS17_E_NS1_11comp_targetILNS1_3genE8ELNS1_11target_archE1030ELNS1_3gpuE2ELNS1_3repE0EEENS1_30default_config_static_selectorELNS0_4arch9wavefront6targetE1EEEvT1_
; %bb.0:
	.section	.rodata,"a",@progbits
	.p2align	6, 0x0
	.amdhsa_kernel _ZN7rocprim17ROCPRIM_400000_NS6detail17trampoline_kernelINS0_14default_configENS1_25partition_config_selectorILNS1_17partition_subalgoE8ElNS0_10empty_typeEbEEZZNS1_14partition_implILS5_8ELb0ES3_jPlPS6_PKS6_NS0_5tupleIJS9_S6_EEENSD_IJSA_SA_EEENS0_18inequality_wrapperIZN2at6native12_GLOBAL__N_124unique_dim_cuda_templateIbEESt5tupleIJNSH_6TensorESM_SM_EERKSM_lbbbEUlllE0_EEPmJS6_EEE10hipError_tPvRmT3_T4_T5_T6_T7_T9_mT8_P12ihipStream_tbDpT10_ENKUlT_T0_E_clISt17integral_constantIbLb0EES1C_EEDaS17_S18_EUlS17_E_NS1_11comp_targetILNS1_3genE8ELNS1_11target_archE1030ELNS1_3gpuE2ELNS1_3repE0EEENS1_30default_config_static_selectorELNS0_4arch9wavefront6targetE1EEEvT1_
		.amdhsa_group_segment_fixed_size 0
		.amdhsa_private_segment_fixed_size 0
		.amdhsa_kernarg_size 120
		.amdhsa_user_sgpr_count 6
		.amdhsa_user_sgpr_private_segment_buffer 1
		.amdhsa_user_sgpr_dispatch_ptr 0
		.amdhsa_user_sgpr_queue_ptr 0
		.amdhsa_user_sgpr_kernarg_segment_ptr 1
		.amdhsa_user_sgpr_dispatch_id 0
		.amdhsa_user_sgpr_flat_scratch_init 0
		.amdhsa_user_sgpr_kernarg_preload_length 0
		.amdhsa_user_sgpr_kernarg_preload_offset 0
		.amdhsa_user_sgpr_private_segment_size 0
		.amdhsa_uses_dynamic_stack 0
		.amdhsa_system_sgpr_private_segment_wavefront_offset 0
		.amdhsa_system_sgpr_workgroup_id_x 1
		.amdhsa_system_sgpr_workgroup_id_y 0
		.amdhsa_system_sgpr_workgroup_id_z 0
		.amdhsa_system_sgpr_workgroup_info 0
		.amdhsa_system_vgpr_workitem_id 0
		.amdhsa_next_free_vgpr 1
		.amdhsa_next_free_sgpr 0
		.amdhsa_accum_offset 4
		.amdhsa_reserve_vcc 0
		.amdhsa_reserve_flat_scratch 0
		.amdhsa_float_round_mode_32 0
		.amdhsa_float_round_mode_16_64 0
		.amdhsa_float_denorm_mode_32 3
		.amdhsa_float_denorm_mode_16_64 3
		.amdhsa_dx10_clamp 1
		.amdhsa_ieee_mode 1
		.amdhsa_fp16_overflow 0
		.amdhsa_tg_split 0
		.amdhsa_exception_fp_ieee_invalid_op 0
		.amdhsa_exception_fp_denorm_src 0
		.amdhsa_exception_fp_ieee_div_zero 0
		.amdhsa_exception_fp_ieee_overflow 0
		.amdhsa_exception_fp_ieee_underflow 0
		.amdhsa_exception_fp_ieee_inexact 0
		.amdhsa_exception_int_div_zero 0
	.end_amdhsa_kernel
	.section	.text._ZN7rocprim17ROCPRIM_400000_NS6detail17trampoline_kernelINS0_14default_configENS1_25partition_config_selectorILNS1_17partition_subalgoE8ElNS0_10empty_typeEbEEZZNS1_14partition_implILS5_8ELb0ES3_jPlPS6_PKS6_NS0_5tupleIJS9_S6_EEENSD_IJSA_SA_EEENS0_18inequality_wrapperIZN2at6native12_GLOBAL__N_124unique_dim_cuda_templateIbEESt5tupleIJNSH_6TensorESM_SM_EERKSM_lbbbEUlllE0_EEPmJS6_EEE10hipError_tPvRmT3_T4_T5_T6_T7_T9_mT8_P12ihipStream_tbDpT10_ENKUlT_T0_E_clISt17integral_constantIbLb0EES1C_EEDaS17_S18_EUlS17_E_NS1_11comp_targetILNS1_3genE8ELNS1_11target_archE1030ELNS1_3gpuE2ELNS1_3repE0EEENS1_30default_config_static_selectorELNS0_4arch9wavefront6targetE1EEEvT1_,"axG",@progbits,_ZN7rocprim17ROCPRIM_400000_NS6detail17trampoline_kernelINS0_14default_configENS1_25partition_config_selectorILNS1_17partition_subalgoE8ElNS0_10empty_typeEbEEZZNS1_14partition_implILS5_8ELb0ES3_jPlPS6_PKS6_NS0_5tupleIJS9_S6_EEENSD_IJSA_SA_EEENS0_18inequality_wrapperIZN2at6native12_GLOBAL__N_124unique_dim_cuda_templateIbEESt5tupleIJNSH_6TensorESM_SM_EERKSM_lbbbEUlllE0_EEPmJS6_EEE10hipError_tPvRmT3_T4_T5_T6_T7_T9_mT8_P12ihipStream_tbDpT10_ENKUlT_T0_E_clISt17integral_constantIbLb0EES1C_EEDaS17_S18_EUlS17_E_NS1_11comp_targetILNS1_3genE8ELNS1_11target_archE1030ELNS1_3gpuE2ELNS1_3repE0EEENS1_30default_config_static_selectorELNS0_4arch9wavefront6targetE1EEEvT1_,comdat
.Lfunc_end1058:
	.size	_ZN7rocprim17ROCPRIM_400000_NS6detail17trampoline_kernelINS0_14default_configENS1_25partition_config_selectorILNS1_17partition_subalgoE8ElNS0_10empty_typeEbEEZZNS1_14partition_implILS5_8ELb0ES3_jPlPS6_PKS6_NS0_5tupleIJS9_S6_EEENSD_IJSA_SA_EEENS0_18inequality_wrapperIZN2at6native12_GLOBAL__N_124unique_dim_cuda_templateIbEESt5tupleIJNSH_6TensorESM_SM_EERKSM_lbbbEUlllE0_EEPmJS6_EEE10hipError_tPvRmT3_T4_T5_T6_T7_T9_mT8_P12ihipStream_tbDpT10_ENKUlT_T0_E_clISt17integral_constantIbLb0EES1C_EEDaS17_S18_EUlS17_E_NS1_11comp_targetILNS1_3genE8ELNS1_11target_archE1030ELNS1_3gpuE2ELNS1_3repE0EEENS1_30default_config_static_selectorELNS0_4arch9wavefront6targetE1EEEvT1_, .Lfunc_end1058-_ZN7rocprim17ROCPRIM_400000_NS6detail17trampoline_kernelINS0_14default_configENS1_25partition_config_selectorILNS1_17partition_subalgoE8ElNS0_10empty_typeEbEEZZNS1_14partition_implILS5_8ELb0ES3_jPlPS6_PKS6_NS0_5tupleIJS9_S6_EEENSD_IJSA_SA_EEENS0_18inequality_wrapperIZN2at6native12_GLOBAL__N_124unique_dim_cuda_templateIbEESt5tupleIJNSH_6TensorESM_SM_EERKSM_lbbbEUlllE0_EEPmJS6_EEE10hipError_tPvRmT3_T4_T5_T6_T7_T9_mT8_P12ihipStream_tbDpT10_ENKUlT_T0_E_clISt17integral_constantIbLb0EES1C_EEDaS17_S18_EUlS17_E_NS1_11comp_targetILNS1_3genE8ELNS1_11target_archE1030ELNS1_3gpuE2ELNS1_3repE0EEENS1_30default_config_static_selectorELNS0_4arch9wavefront6targetE1EEEvT1_
                                        ; -- End function
	.section	.AMDGPU.csdata,"",@progbits
; Kernel info:
; codeLenInByte = 0
; NumSgprs: 4
; NumVgprs: 0
; NumAgprs: 0
; TotalNumVgprs: 0
; ScratchSize: 0
; MemoryBound: 0
; FloatMode: 240
; IeeeMode: 1
; LDSByteSize: 0 bytes/workgroup (compile time only)
; SGPRBlocks: 0
; VGPRBlocks: 0
; NumSGPRsForWavesPerEU: 4
; NumVGPRsForWavesPerEU: 1
; AccumOffset: 4
; Occupancy: 8
; WaveLimiterHint : 0
; COMPUTE_PGM_RSRC2:SCRATCH_EN: 0
; COMPUTE_PGM_RSRC2:USER_SGPR: 6
; COMPUTE_PGM_RSRC2:TRAP_HANDLER: 0
; COMPUTE_PGM_RSRC2:TGID_X_EN: 1
; COMPUTE_PGM_RSRC2:TGID_Y_EN: 0
; COMPUTE_PGM_RSRC2:TGID_Z_EN: 0
; COMPUTE_PGM_RSRC2:TIDIG_COMP_CNT: 0
; COMPUTE_PGM_RSRC3_GFX90A:ACCUM_OFFSET: 0
; COMPUTE_PGM_RSRC3_GFX90A:TG_SPLIT: 0
	.section	.text._ZN7rocprim17ROCPRIM_400000_NS6detail17trampoline_kernelINS0_14default_configENS1_25partition_config_selectorILNS1_17partition_subalgoE8ElNS0_10empty_typeEbEEZZNS1_14partition_implILS5_8ELb0ES3_jPlPS6_PKS6_NS0_5tupleIJS9_S6_EEENSD_IJSA_SA_EEENS0_18inequality_wrapperIZN2at6native12_GLOBAL__N_124unique_dim_cuda_templateIbEESt5tupleIJNSH_6TensorESM_SM_EERKSM_lbbbEUlllE0_EEPmJS6_EEE10hipError_tPvRmT3_T4_T5_T6_T7_T9_mT8_P12ihipStream_tbDpT10_ENKUlT_T0_E_clISt17integral_constantIbLb1EES1C_EEDaS17_S18_EUlS17_E_NS1_11comp_targetILNS1_3genE0ELNS1_11target_archE4294967295ELNS1_3gpuE0ELNS1_3repE0EEENS1_30default_config_static_selectorELNS0_4arch9wavefront6targetE1EEEvT1_,"axG",@progbits,_ZN7rocprim17ROCPRIM_400000_NS6detail17trampoline_kernelINS0_14default_configENS1_25partition_config_selectorILNS1_17partition_subalgoE8ElNS0_10empty_typeEbEEZZNS1_14partition_implILS5_8ELb0ES3_jPlPS6_PKS6_NS0_5tupleIJS9_S6_EEENSD_IJSA_SA_EEENS0_18inequality_wrapperIZN2at6native12_GLOBAL__N_124unique_dim_cuda_templateIbEESt5tupleIJNSH_6TensorESM_SM_EERKSM_lbbbEUlllE0_EEPmJS6_EEE10hipError_tPvRmT3_T4_T5_T6_T7_T9_mT8_P12ihipStream_tbDpT10_ENKUlT_T0_E_clISt17integral_constantIbLb1EES1C_EEDaS17_S18_EUlS17_E_NS1_11comp_targetILNS1_3genE0ELNS1_11target_archE4294967295ELNS1_3gpuE0ELNS1_3repE0EEENS1_30default_config_static_selectorELNS0_4arch9wavefront6targetE1EEEvT1_,comdat
	.globl	_ZN7rocprim17ROCPRIM_400000_NS6detail17trampoline_kernelINS0_14default_configENS1_25partition_config_selectorILNS1_17partition_subalgoE8ElNS0_10empty_typeEbEEZZNS1_14partition_implILS5_8ELb0ES3_jPlPS6_PKS6_NS0_5tupleIJS9_S6_EEENSD_IJSA_SA_EEENS0_18inequality_wrapperIZN2at6native12_GLOBAL__N_124unique_dim_cuda_templateIbEESt5tupleIJNSH_6TensorESM_SM_EERKSM_lbbbEUlllE0_EEPmJS6_EEE10hipError_tPvRmT3_T4_T5_T6_T7_T9_mT8_P12ihipStream_tbDpT10_ENKUlT_T0_E_clISt17integral_constantIbLb1EES1C_EEDaS17_S18_EUlS17_E_NS1_11comp_targetILNS1_3genE0ELNS1_11target_archE4294967295ELNS1_3gpuE0ELNS1_3repE0EEENS1_30default_config_static_selectorELNS0_4arch9wavefront6targetE1EEEvT1_ ; -- Begin function _ZN7rocprim17ROCPRIM_400000_NS6detail17trampoline_kernelINS0_14default_configENS1_25partition_config_selectorILNS1_17partition_subalgoE8ElNS0_10empty_typeEbEEZZNS1_14partition_implILS5_8ELb0ES3_jPlPS6_PKS6_NS0_5tupleIJS9_S6_EEENSD_IJSA_SA_EEENS0_18inequality_wrapperIZN2at6native12_GLOBAL__N_124unique_dim_cuda_templateIbEESt5tupleIJNSH_6TensorESM_SM_EERKSM_lbbbEUlllE0_EEPmJS6_EEE10hipError_tPvRmT3_T4_T5_T6_T7_T9_mT8_P12ihipStream_tbDpT10_ENKUlT_T0_E_clISt17integral_constantIbLb1EES1C_EEDaS17_S18_EUlS17_E_NS1_11comp_targetILNS1_3genE0ELNS1_11target_archE4294967295ELNS1_3gpuE0ELNS1_3repE0EEENS1_30default_config_static_selectorELNS0_4arch9wavefront6targetE1EEEvT1_
	.p2align	8
	.type	_ZN7rocprim17ROCPRIM_400000_NS6detail17trampoline_kernelINS0_14default_configENS1_25partition_config_selectorILNS1_17partition_subalgoE8ElNS0_10empty_typeEbEEZZNS1_14partition_implILS5_8ELb0ES3_jPlPS6_PKS6_NS0_5tupleIJS9_S6_EEENSD_IJSA_SA_EEENS0_18inequality_wrapperIZN2at6native12_GLOBAL__N_124unique_dim_cuda_templateIbEESt5tupleIJNSH_6TensorESM_SM_EERKSM_lbbbEUlllE0_EEPmJS6_EEE10hipError_tPvRmT3_T4_T5_T6_T7_T9_mT8_P12ihipStream_tbDpT10_ENKUlT_T0_E_clISt17integral_constantIbLb1EES1C_EEDaS17_S18_EUlS17_E_NS1_11comp_targetILNS1_3genE0ELNS1_11target_archE4294967295ELNS1_3gpuE0ELNS1_3repE0EEENS1_30default_config_static_selectorELNS0_4arch9wavefront6targetE1EEEvT1_,@function
_ZN7rocprim17ROCPRIM_400000_NS6detail17trampoline_kernelINS0_14default_configENS1_25partition_config_selectorILNS1_17partition_subalgoE8ElNS0_10empty_typeEbEEZZNS1_14partition_implILS5_8ELb0ES3_jPlPS6_PKS6_NS0_5tupleIJS9_S6_EEENSD_IJSA_SA_EEENS0_18inequality_wrapperIZN2at6native12_GLOBAL__N_124unique_dim_cuda_templateIbEESt5tupleIJNSH_6TensorESM_SM_EERKSM_lbbbEUlllE0_EEPmJS6_EEE10hipError_tPvRmT3_T4_T5_T6_T7_T9_mT8_P12ihipStream_tbDpT10_ENKUlT_T0_E_clISt17integral_constantIbLb1EES1C_EEDaS17_S18_EUlS17_E_NS1_11comp_targetILNS1_3genE0ELNS1_11target_archE4294967295ELNS1_3gpuE0ELNS1_3repE0EEENS1_30default_config_static_selectorELNS0_4arch9wavefront6targetE1EEEvT1_: ; @_ZN7rocprim17ROCPRIM_400000_NS6detail17trampoline_kernelINS0_14default_configENS1_25partition_config_selectorILNS1_17partition_subalgoE8ElNS0_10empty_typeEbEEZZNS1_14partition_implILS5_8ELb0ES3_jPlPS6_PKS6_NS0_5tupleIJS9_S6_EEENSD_IJSA_SA_EEENS0_18inequality_wrapperIZN2at6native12_GLOBAL__N_124unique_dim_cuda_templateIbEESt5tupleIJNSH_6TensorESM_SM_EERKSM_lbbbEUlllE0_EEPmJS6_EEE10hipError_tPvRmT3_T4_T5_T6_T7_T9_mT8_P12ihipStream_tbDpT10_ENKUlT_T0_E_clISt17integral_constantIbLb1EES1C_EEDaS17_S18_EUlS17_E_NS1_11comp_targetILNS1_3genE0ELNS1_11target_archE4294967295ELNS1_3gpuE0ELNS1_3repE0EEENS1_30default_config_static_selectorELNS0_4arch9wavefront6targetE1EEEvT1_
; %bb.0:
	.section	.rodata,"a",@progbits
	.p2align	6, 0x0
	.amdhsa_kernel _ZN7rocprim17ROCPRIM_400000_NS6detail17trampoline_kernelINS0_14default_configENS1_25partition_config_selectorILNS1_17partition_subalgoE8ElNS0_10empty_typeEbEEZZNS1_14partition_implILS5_8ELb0ES3_jPlPS6_PKS6_NS0_5tupleIJS9_S6_EEENSD_IJSA_SA_EEENS0_18inequality_wrapperIZN2at6native12_GLOBAL__N_124unique_dim_cuda_templateIbEESt5tupleIJNSH_6TensorESM_SM_EERKSM_lbbbEUlllE0_EEPmJS6_EEE10hipError_tPvRmT3_T4_T5_T6_T7_T9_mT8_P12ihipStream_tbDpT10_ENKUlT_T0_E_clISt17integral_constantIbLb1EES1C_EEDaS17_S18_EUlS17_E_NS1_11comp_targetILNS1_3genE0ELNS1_11target_archE4294967295ELNS1_3gpuE0ELNS1_3repE0EEENS1_30default_config_static_selectorELNS0_4arch9wavefront6targetE1EEEvT1_
		.amdhsa_group_segment_fixed_size 0
		.amdhsa_private_segment_fixed_size 0
		.amdhsa_kernarg_size 136
		.amdhsa_user_sgpr_count 6
		.amdhsa_user_sgpr_private_segment_buffer 1
		.amdhsa_user_sgpr_dispatch_ptr 0
		.amdhsa_user_sgpr_queue_ptr 0
		.amdhsa_user_sgpr_kernarg_segment_ptr 1
		.amdhsa_user_sgpr_dispatch_id 0
		.amdhsa_user_sgpr_flat_scratch_init 0
		.amdhsa_user_sgpr_kernarg_preload_length 0
		.amdhsa_user_sgpr_kernarg_preload_offset 0
		.amdhsa_user_sgpr_private_segment_size 0
		.amdhsa_uses_dynamic_stack 0
		.amdhsa_system_sgpr_private_segment_wavefront_offset 0
		.amdhsa_system_sgpr_workgroup_id_x 1
		.amdhsa_system_sgpr_workgroup_id_y 0
		.amdhsa_system_sgpr_workgroup_id_z 0
		.amdhsa_system_sgpr_workgroup_info 0
		.amdhsa_system_vgpr_workitem_id 0
		.amdhsa_next_free_vgpr 1
		.amdhsa_next_free_sgpr 0
		.amdhsa_accum_offset 4
		.amdhsa_reserve_vcc 0
		.amdhsa_reserve_flat_scratch 0
		.amdhsa_float_round_mode_32 0
		.amdhsa_float_round_mode_16_64 0
		.amdhsa_float_denorm_mode_32 3
		.amdhsa_float_denorm_mode_16_64 3
		.amdhsa_dx10_clamp 1
		.amdhsa_ieee_mode 1
		.amdhsa_fp16_overflow 0
		.amdhsa_tg_split 0
		.amdhsa_exception_fp_ieee_invalid_op 0
		.amdhsa_exception_fp_denorm_src 0
		.amdhsa_exception_fp_ieee_div_zero 0
		.amdhsa_exception_fp_ieee_overflow 0
		.amdhsa_exception_fp_ieee_underflow 0
		.amdhsa_exception_fp_ieee_inexact 0
		.amdhsa_exception_int_div_zero 0
	.end_amdhsa_kernel
	.section	.text._ZN7rocprim17ROCPRIM_400000_NS6detail17trampoline_kernelINS0_14default_configENS1_25partition_config_selectorILNS1_17partition_subalgoE8ElNS0_10empty_typeEbEEZZNS1_14partition_implILS5_8ELb0ES3_jPlPS6_PKS6_NS0_5tupleIJS9_S6_EEENSD_IJSA_SA_EEENS0_18inequality_wrapperIZN2at6native12_GLOBAL__N_124unique_dim_cuda_templateIbEESt5tupleIJNSH_6TensorESM_SM_EERKSM_lbbbEUlllE0_EEPmJS6_EEE10hipError_tPvRmT3_T4_T5_T6_T7_T9_mT8_P12ihipStream_tbDpT10_ENKUlT_T0_E_clISt17integral_constantIbLb1EES1C_EEDaS17_S18_EUlS17_E_NS1_11comp_targetILNS1_3genE0ELNS1_11target_archE4294967295ELNS1_3gpuE0ELNS1_3repE0EEENS1_30default_config_static_selectorELNS0_4arch9wavefront6targetE1EEEvT1_,"axG",@progbits,_ZN7rocprim17ROCPRIM_400000_NS6detail17trampoline_kernelINS0_14default_configENS1_25partition_config_selectorILNS1_17partition_subalgoE8ElNS0_10empty_typeEbEEZZNS1_14partition_implILS5_8ELb0ES3_jPlPS6_PKS6_NS0_5tupleIJS9_S6_EEENSD_IJSA_SA_EEENS0_18inequality_wrapperIZN2at6native12_GLOBAL__N_124unique_dim_cuda_templateIbEESt5tupleIJNSH_6TensorESM_SM_EERKSM_lbbbEUlllE0_EEPmJS6_EEE10hipError_tPvRmT3_T4_T5_T6_T7_T9_mT8_P12ihipStream_tbDpT10_ENKUlT_T0_E_clISt17integral_constantIbLb1EES1C_EEDaS17_S18_EUlS17_E_NS1_11comp_targetILNS1_3genE0ELNS1_11target_archE4294967295ELNS1_3gpuE0ELNS1_3repE0EEENS1_30default_config_static_selectorELNS0_4arch9wavefront6targetE1EEEvT1_,comdat
.Lfunc_end1059:
	.size	_ZN7rocprim17ROCPRIM_400000_NS6detail17trampoline_kernelINS0_14default_configENS1_25partition_config_selectorILNS1_17partition_subalgoE8ElNS0_10empty_typeEbEEZZNS1_14partition_implILS5_8ELb0ES3_jPlPS6_PKS6_NS0_5tupleIJS9_S6_EEENSD_IJSA_SA_EEENS0_18inequality_wrapperIZN2at6native12_GLOBAL__N_124unique_dim_cuda_templateIbEESt5tupleIJNSH_6TensorESM_SM_EERKSM_lbbbEUlllE0_EEPmJS6_EEE10hipError_tPvRmT3_T4_T5_T6_T7_T9_mT8_P12ihipStream_tbDpT10_ENKUlT_T0_E_clISt17integral_constantIbLb1EES1C_EEDaS17_S18_EUlS17_E_NS1_11comp_targetILNS1_3genE0ELNS1_11target_archE4294967295ELNS1_3gpuE0ELNS1_3repE0EEENS1_30default_config_static_selectorELNS0_4arch9wavefront6targetE1EEEvT1_, .Lfunc_end1059-_ZN7rocprim17ROCPRIM_400000_NS6detail17trampoline_kernelINS0_14default_configENS1_25partition_config_selectorILNS1_17partition_subalgoE8ElNS0_10empty_typeEbEEZZNS1_14partition_implILS5_8ELb0ES3_jPlPS6_PKS6_NS0_5tupleIJS9_S6_EEENSD_IJSA_SA_EEENS0_18inequality_wrapperIZN2at6native12_GLOBAL__N_124unique_dim_cuda_templateIbEESt5tupleIJNSH_6TensorESM_SM_EERKSM_lbbbEUlllE0_EEPmJS6_EEE10hipError_tPvRmT3_T4_T5_T6_T7_T9_mT8_P12ihipStream_tbDpT10_ENKUlT_T0_E_clISt17integral_constantIbLb1EES1C_EEDaS17_S18_EUlS17_E_NS1_11comp_targetILNS1_3genE0ELNS1_11target_archE4294967295ELNS1_3gpuE0ELNS1_3repE0EEENS1_30default_config_static_selectorELNS0_4arch9wavefront6targetE1EEEvT1_
                                        ; -- End function
	.section	.AMDGPU.csdata,"",@progbits
; Kernel info:
; codeLenInByte = 0
; NumSgprs: 4
; NumVgprs: 0
; NumAgprs: 0
; TotalNumVgprs: 0
; ScratchSize: 0
; MemoryBound: 0
; FloatMode: 240
; IeeeMode: 1
; LDSByteSize: 0 bytes/workgroup (compile time only)
; SGPRBlocks: 0
; VGPRBlocks: 0
; NumSGPRsForWavesPerEU: 4
; NumVGPRsForWavesPerEU: 1
; AccumOffset: 4
; Occupancy: 8
; WaveLimiterHint : 0
; COMPUTE_PGM_RSRC2:SCRATCH_EN: 0
; COMPUTE_PGM_RSRC2:USER_SGPR: 6
; COMPUTE_PGM_RSRC2:TRAP_HANDLER: 0
; COMPUTE_PGM_RSRC2:TGID_X_EN: 1
; COMPUTE_PGM_RSRC2:TGID_Y_EN: 0
; COMPUTE_PGM_RSRC2:TGID_Z_EN: 0
; COMPUTE_PGM_RSRC2:TIDIG_COMP_CNT: 0
; COMPUTE_PGM_RSRC3_GFX90A:ACCUM_OFFSET: 0
; COMPUTE_PGM_RSRC3_GFX90A:TG_SPLIT: 0
	.section	.text._ZN7rocprim17ROCPRIM_400000_NS6detail17trampoline_kernelINS0_14default_configENS1_25partition_config_selectorILNS1_17partition_subalgoE8ElNS0_10empty_typeEbEEZZNS1_14partition_implILS5_8ELb0ES3_jPlPS6_PKS6_NS0_5tupleIJS9_S6_EEENSD_IJSA_SA_EEENS0_18inequality_wrapperIZN2at6native12_GLOBAL__N_124unique_dim_cuda_templateIbEESt5tupleIJNSH_6TensorESM_SM_EERKSM_lbbbEUlllE0_EEPmJS6_EEE10hipError_tPvRmT3_T4_T5_T6_T7_T9_mT8_P12ihipStream_tbDpT10_ENKUlT_T0_E_clISt17integral_constantIbLb1EES1C_EEDaS17_S18_EUlS17_E_NS1_11comp_targetILNS1_3genE5ELNS1_11target_archE942ELNS1_3gpuE9ELNS1_3repE0EEENS1_30default_config_static_selectorELNS0_4arch9wavefront6targetE1EEEvT1_,"axG",@progbits,_ZN7rocprim17ROCPRIM_400000_NS6detail17trampoline_kernelINS0_14default_configENS1_25partition_config_selectorILNS1_17partition_subalgoE8ElNS0_10empty_typeEbEEZZNS1_14partition_implILS5_8ELb0ES3_jPlPS6_PKS6_NS0_5tupleIJS9_S6_EEENSD_IJSA_SA_EEENS0_18inequality_wrapperIZN2at6native12_GLOBAL__N_124unique_dim_cuda_templateIbEESt5tupleIJNSH_6TensorESM_SM_EERKSM_lbbbEUlllE0_EEPmJS6_EEE10hipError_tPvRmT3_T4_T5_T6_T7_T9_mT8_P12ihipStream_tbDpT10_ENKUlT_T0_E_clISt17integral_constantIbLb1EES1C_EEDaS17_S18_EUlS17_E_NS1_11comp_targetILNS1_3genE5ELNS1_11target_archE942ELNS1_3gpuE9ELNS1_3repE0EEENS1_30default_config_static_selectorELNS0_4arch9wavefront6targetE1EEEvT1_,comdat
	.globl	_ZN7rocprim17ROCPRIM_400000_NS6detail17trampoline_kernelINS0_14default_configENS1_25partition_config_selectorILNS1_17partition_subalgoE8ElNS0_10empty_typeEbEEZZNS1_14partition_implILS5_8ELb0ES3_jPlPS6_PKS6_NS0_5tupleIJS9_S6_EEENSD_IJSA_SA_EEENS0_18inequality_wrapperIZN2at6native12_GLOBAL__N_124unique_dim_cuda_templateIbEESt5tupleIJNSH_6TensorESM_SM_EERKSM_lbbbEUlllE0_EEPmJS6_EEE10hipError_tPvRmT3_T4_T5_T6_T7_T9_mT8_P12ihipStream_tbDpT10_ENKUlT_T0_E_clISt17integral_constantIbLb1EES1C_EEDaS17_S18_EUlS17_E_NS1_11comp_targetILNS1_3genE5ELNS1_11target_archE942ELNS1_3gpuE9ELNS1_3repE0EEENS1_30default_config_static_selectorELNS0_4arch9wavefront6targetE1EEEvT1_ ; -- Begin function _ZN7rocprim17ROCPRIM_400000_NS6detail17trampoline_kernelINS0_14default_configENS1_25partition_config_selectorILNS1_17partition_subalgoE8ElNS0_10empty_typeEbEEZZNS1_14partition_implILS5_8ELb0ES3_jPlPS6_PKS6_NS0_5tupleIJS9_S6_EEENSD_IJSA_SA_EEENS0_18inequality_wrapperIZN2at6native12_GLOBAL__N_124unique_dim_cuda_templateIbEESt5tupleIJNSH_6TensorESM_SM_EERKSM_lbbbEUlllE0_EEPmJS6_EEE10hipError_tPvRmT3_T4_T5_T6_T7_T9_mT8_P12ihipStream_tbDpT10_ENKUlT_T0_E_clISt17integral_constantIbLb1EES1C_EEDaS17_S18_EUlS17_E_NS1_11comp_targetILNS1_3genE5ELNS1_11target_archE942ELNS1_3gpuE9ELNS1_3repE0EEENS1_30default_config_static_selectorELNS0_4arch9wavefront6targetE1EEEvT1_
	.p2align	8
	.type	_ZN7rocprim17ROCPRIM_400000_NS6detail17trampoline_kernelINS0_14default_configENS1_25partition_config_selectorILNS1_17partition_subalgoE8ElNS0_10empty_typeEbEEZZNS1_14partition_implILS5_8ELb0ES3_jPlPS6_PKS6_NS0_5tupleIJS9_S6_EEENSD_IJSA_SA_EEENS0_18inequality_wrapperIZN2at6native12_GLOBAL__N_124unique_dim_cuda_templateIbEESt5tupleIJNSH_6TensorESM_SM_EERKSM_lbbbEUlllE0_EEPmJS6_EEE10hipError_tPvRmT3_T4_T5_T6_T7_T9_mT8_P12ihipStream_tbDpT10_ENKUlT_T0_E_clISt17integral_constantIbLb1EES1C_EEDaS17_S18_EUlS17_E_NS1_11comp_targetILNS1_3genE5ELNS1_11target_archE942ELNS1_3gpuE9ELNS1_3repE0EEENS1_30default_config_static_selectorELNS0_4arch9wavefront6targetE1EEEvT1_,@function
_ZN7rocprim17ROCPRIM_400000_NS6detail17trampoline_kernelINS0_14default_configENS1_25partition_config_selectorILNS1_17partition_subalgoE8ElNS0_10empty_typeEbEEZZNS1_14partition_implILS5_8ELb0ES3_jPlPS6_PKS6_NS0_5tupleIJS9_S6_EEENSD_IJSA_SA_EEENS0_18inequality_wrapperIZN2at6native12_GLOBAL__N_124unique_dim_cuda_templateIbEESt5tupleIJNSH_6TensorESM_SM_EERKSM_lbbbEUlllE0_EEPmJS6_EEE10hipError_tPvRmT3_T4_T5_T6_T7_T9_mT8_P12ihipStream_tbDpT10_ENKUlT_T0_E_clISt17integral_constantIbLb1EES1C_EEDaS17_S18_EUlS17_E_NS1_11comp_targetILNS1_3genE5ELNS1_11target_archE942ELNS1_3gpuE9ELNS1_3repE0EEENS1_30default_config_static_selectorELNS0_4arch9wavefront6targetE1EEEvT1_: ; @_ZN7rocprim17ROCPRIM_400000_NS6detail17trampoline_kernelINS0_14default_configENS1_25partition_config_selectorILNS1_17partition_subalgoE8ElNS0_10empty_typeEbEEZZNS1_14partition_implILS5_8ELb0ES3_jPlPS6_PKS6_NS0_5tupleIJS9_S6_EEENSD_IJSA_SA_EEENS0_18inequality_wrapperIZN2at6native12_GLOBAL__N_124unique_dim_cuda_templateIbEESt5tupleIJNSH_6TensorESM_SM_EERKSM_lbbbEUlllE0_EEPmJS6_EEE10hipError_tPvRmT3_T4_T5_T6_T7_T9_mT8_P12ihipStream_tbDpT10_ENKUlT_T0_E_clISt17integral_constantIbLb1EES1C_EEDaS17_S18_EUlS17_E_NS1_11comp_targetILNS1_3genE5ELNS1_11target_archE942ELNS1_3gpuE9ELNS1_3repE0EEENS1_30default_config_static_selectorELNS0_4arch9wavefront6targetE1EEEvT1_
; %bb.0:
	.section	.rodata,"a",@progbits
	.p2align	6, 0x0
	.amdhsa_kernel _ZN7rocprim17ROCPRIM_400000_NS6detail17trampoline_kernelINS0_14default_configENS1_25partition_config_selectorILNS1_17partition_subalgoE8ElNS0_10empty_typeEbEEZZNS1_14partition_implILS5_8ELb0ES3_jPlPS6_PKS6_NS0_5tupleIJS9_S6_EEENSD_IJSA_SA_EEENS0_18inequality_wrapperIZN2at6native12_GLOBAL__N_124unique_dim_cuda_templateIbEESt5tupleIJNSH_6TensorESM_SM_EERKSM_lbbbEUlllE0_EEPmJS6_EEE10hipError_tPvRmT3_T4_T5_T6_T7_T9_mT8_P12ihipStream_tbDpT10_ENKUlT_T0_E_clISt17integral_constantIbLb1EES1C_EEDaS17_S18_EUlS17_E_NS1_11comp_targetILNS1_3genE5ELNS1_11target_archE942ELNS1_3gpuE9ELNS1_3repE0EEENS1_30default_config_static_selectorELNS0_4arch9wavefront6targetE1EEEvT1_
		.amdhsa_group_segment_fixed_size 0
		.amdhsa_private_segment_fixed_size 0
		.amdhsa_kernarg_size 136
		.amdhsa_user_sgpr_count 6
		.amdhsa_user_sgpr_private_segment_buffer 1
		.amdhsa_user_sgpr_dispatch_ptr 0
		.amdhsa_user_sgpr_queue_ptr 0
		.amdhsa_user_sgpr_kernarg_segment_ptr 1
		.amdhsa_user_sgpr_dispatch_id 0
		.amdhsa_user_sgpr_flat_scratch_init 0
		.amdhsa_user_sgpr_kernarg_preload_length 0
		.amdhsa_user_sgpr_kernarg_preload_offset 0
		.amdhsa_user_sgpr_private_segment_size 0
		.amdhsa_uses_dynamic_stack 0
		.amdhsa_system_sgpr_private_segment_wavefront_offset 0
		.amdhsa_system_sgpr_workgroup_id_x 1
		.amdhsa_system_sgpr_workgroup_id_y 0
		.amdhsa_system_sgpr_workgroup_id_z 0
		.amdhsa_system_sgpr_workgroup_info 0
		.amdhsa_system_vgpr_workitem_id 0
		.amdhsa_next_free_vgpr 1
		.amdhsa_next_free_sgpr 0
		.amdhsa_accum_offset 4
		.amdhsa_reserve_vcc 0
		.amdhsa_reserve_flat_scratch 0
		.amdhsa_float_round_mode_32 0
		.amdhsa_float_round_mode_16_64 0
		.amdhsa_float_denorm_mode_32 3
		.amdhsa_float_denorm_mode_16_64 3
		.amdhsa_dx10_clamp 1
		.amdhsa_ieee_mode 1
		.amdhsa_fp16_overflow 0
		.amdhsa_tg_split 0
		.amdhsa_exception_fp_ieee_invalid_op 0
		.amdhsa_exception_fp_denorm_src 0
		.amdhsa_exception_fp_ieee_div_zero 0
		.amdhsa_exception_fp_ieee_overflow 0
		.amdhsa_exception_fp_ieee_underflow 0
		.amdhsa_exception_fp_ieee_inexact 0
		.amdhsa_exception_int_div_zero 0
	.end_amdhsa_kernel
	.section	.text._ZN7rocprim17ROCPRIM_400000_NS6detail17trampoline_kernelINS0_14default_configENS1_25partition_config_selectorILNS1_17partition_subalgoE8ElNS0_10empty_typeEbEEZZNS1_14partition_implILS5_8ELb0ES3_jPlPS6_PKS6_NS0_5tupleIJS9_S6_EEENSD_IJSA_SA_EEENS0_18inequality_wrapperIZN2at6native12_GLOBAL__N_124unique_dim_cuda_templateIbEESt5tupleIJNSH_6TensorESM_SM_EERKSM_lbbbEUlllE0_EEPmJS6_EEE10hipError_tPvRmT3_T4_T5_T6_T7_T9_mT8_P12ihipStream_tbDpT10_ENKUlT_T0_E_clISt17integral_constantIbLb1EES1C_EEDaS17_S18_EUlS17_E_NS1_11comp_targetILNS1_3genE5ELNS1_11target_archE942ELNS1_3gpuE9ELNS1_3repE0EEENS1_30default_config_static_selectorELNS0_4arch9wavefront6targetE1EEEvT1_,"axG",@progbits,_ZN7rocprim17ROCPRIM_400000_NS6detail17trampoline_kernelINS0_14default_configENS1_25partition_config_selectorILNS1_17partition_subalgoE8ElNS0_10empty_typeEbEEZZNS1_14partition_implILS5_8ELb0ES3_jPlPS6_PKS6_NS0_5tupleIJS9_S6_EEENSD_IJSA_SA_EEENS0_18inequality_wrapperIZN2at6native12_GLOBAL__N_124unique_dim_cuda_templateIbEESt5tupleIJNSH_6TensorESM_SM_EERKSM_lbbbEUlllE0_EEPmJS6_EEE10hipError_tPvRmT3_T4_T5_T6_T7_T9_mT8_P12ihipStream_tbDpT10_ENKUlT_T0_E_clISt17integral_constantIbLb1EES1C_EEDaS17_S18_EUlS17_E_NS1_11comp_targetILNS1_3genE5ELNS1_11target_archE942ELNS1_3gpuE9ELNS1_3repE0EEENS1_30default_config_static_selectorELNS0_4arch9wavefront6targetE1EEEvT1_,comdat
.Lfunc_end1060:
	.size	_ZN7rocprim17ROCPRIM_400000_NS6detail17trampoline_kernelINS0_14default_configENS1_25partition_config_selectorILNS1_17partition_subalgoE8ElNS0_10empty_typeEbEEZZNS1_14partition_implILS5_8ELb0ES3_jPlPS6_PKS6_NS0_5tupleIJS9_S6_EEENSD_IJSA_SA_EEENS0_18inequality_wrapperIZN2at6native12_GLOBAL__N_124unique_dim_cuda_templateIbEESt5tupleIJNSH_6TensorESM_SM_EERKSM_lbbbEUlllE0_EEPmJS6_EEE10hipError_tPvRmT3_T4_T5_T6_T7_T9_mT8_P12ihipStream_tbDpT10_ENKUlT_T0_E_clISt17integral_constantIbLb1EES1C_EEDaS17_S18_EUlS17_E_NS1_11comp_targetILNS1_3genE5ELNS1_11target_archE942ELNS1_3gpuE9ELNS1_3repE0EEENS1_30default_config_static_selectorELNS0_4arch9wavefront6targetE1EEEvT1_, .Lfunc_end1060-_ZN7rocprim17ROCPRIM_400000_NS6detail17trampoline_kernelINS0_14default_configENS1_25partition_config_selectorILNS1_17partition_subalgoE8ElNS0_10empty_typeEbEEZZNS1_14partition_implILS5_8ELb0ES3_jPlPS6_PKS6_NS0_5tupleIJS9_S6_EEENSD_IJSA_SA_EEENS0_18inequality_wrapperIZN2at6native12_GLOBAL__N_124unique_dim_cuda_templateIbEESt5tupleIJNSH_6TensorESM_SM_EERKSM_lbbbEUlllE0_EEPmJS6_EEE10hipError_tPvRmT3_T4_T5_T6_T7_T9_mT8_P12ihipStream_tbDpT10_ENKUlT_T0_E_clISt17integral_constantIbLb1EES1C_EEDaS17_S18_EUlS17_E_NS1_11comp_targetILNS1_3genE5ELNS1_11target_archE942ELNS1_3gpuE9ELNS1_3repE0EEENS1_30default_config_static_selectorELNS0_4arch9wavefront6targetE1EEEvT1_
                                        ; -- End function
	.section	.AMDGPU.csdata,"",@progbits
; Kernel info:
; codeLenInByte = 0
; NumSgprs: 4
; NumVgprs: 0
; NumAgprs: 0
; TotalNumVgprs: 0
; ScratchSize: 0
; MemoryBound: 0
; FloatMode: 240
; IeeeMode: 1
; LDSByteSize: 0 bytes/workgroup (compile time only)
; SGPRBlocks: 0
; VGPRBlocks: 0
; NumSGPRsForWavesPerEU: 4
; NumVGPRsForWavesPerEU: 1
; AccumOffset: 4
; Occupancy: 8
; WaveLimiterHint : 0
; COMPUTE_PGM_RSRC2:SCRATCH_EN: 0
; COMPUTE_PGM_RSRC2:USER_SGPR: 6
; COMPUTE_PGM_RSRC2:TRAP_HANDLER: 0
; COMPUTE_PGM_RSRC2:TGID_X_EN: 1
; COMPUTE_PGM_RSRC2:TGID_Y_EN: 0
; COMPUTE_PGM_RSRC2:TGID_Z_EN: 0
; COMPUTE_PGM_RSRC2:TIDIG_COMP_CNT: 0
; COMPUTE_PGM_RSRC3_GFX90A:ACCUM_OFFSET: 0
; COMPUTE_PGM_RSRC3_GFX90A:TG_SPLIT: 0
	.section	.text._ZN7rocprim17ROCPRIM_400000_NS6detail17trampoline_kernelINS0_14default_configENS1_25partition_config_selectorILNS1_17partition_subalgoE8ElNS0_10empty_typeEbEEZZNS1_14partition_implILS5_8ELb0ES3_jPlPS6_PKS6_NS0_5tupleIJS9_S6_EEENSD_IJSA_SA_EEENS0_18inequality_wrapperIZN2at6native12_GLOBAL__N_124unique_dim_cuda_templateIbEESt5tupleIJNSH_6TensorESM_SM_EERKSM_lbbbEUlllE0_EEPmJS6_EEE10hipError_tPvRmT3_T4_T5_T6_T7_T9_mT8_P12ihipStream_tbDpT10_ENKUlT_T0_E_clISt17integral_constantIbLb1EES1C_EEDaS17_S18_EUlS17_E_NS1_11comp_targetILNS1_3genE4ELNS1_11target_archE910ELNS1_3gpuE8ELNS1_3repE0EEENS1_30default_config_static_selectorELNS0_4arch9wavefront6targetE1EEEvT1_,"axG",@progbits,_ZN7rocprim17ROCPRIM_400000_NS6detail17trampoline_kernelINS0_14default_configENS1_25partition_config_selectorILNS1_17partition_subalgoE8ElNS0_10empty_typeEbEEZZNS1_14partition_implILS5_8ELb0ES3_jPlPS6_PKS6_NS0_5tupleIJS9_S6_EEENSD_IJSA_SA_EEENS0_18inequality_wrapperIZN2at6native12_GLOBAL__N_124unique_dim_cuda_templateIbEESt5tupleIJNSH_6TensorESM_SM_EERKSM_lbbbEUlllE0_EEPmJS6_EEE10hipError_tPvRmT3_T4_T5_T6_T7_T9_mT8_P12ihipStream_tbDpT10_ENKUlT_T0_E_clISt17integral_constantIbLb1EES1C_EEDaS17_S18_EUlS17_E_NS1_11comp_targetILNS1_3genE4ELNS1_11target_archE910ELNS1_3gpuE8ELNS1_3repE0EEENS1_30default_config_static_selectorELNS0_4arch9wavefront6targetE1EEEvT1_,comdat
	.globl	_ZN7rocprim17ROCPRIM_400000_NS6detail17trampoline_kernelINS0_14default_configENS1_25partition_config_selectorILNS1_17partition_subalgoE8ElNS0_10empty_typeEbEEZZNS1_14partition_implILS5_8ELb0ES3_jPlPS6_PKS6_NS0_5tupleIJS9_S6_EEENSD_IJSA_SA_EEENS0_18inequality_wrapperIZN2at6native12_GLOBAL__N_124unique_dim_cuda_templateIbEESt5tupleIJNSH_6TensorESM_SM_EERKSM_lbbbEUlllE0_EEPmJS6_EEE10hipError_tPvRmT3_T4_T5_T6_T7_T9_mT8_P12ihipStream_tbDpT10_ENKUlT_T0_E_clISt17integral_constantIbLb1EES1C_EEDaS17_S18_EUlS17_E_NS1_11comp_targetILNS1_3genE4ELNS1_11target_archE910ELNS1_3gpuE8ELNS1_3repE0EEENS1_30default_config_static_selectorELNS0_4arch9wavefront6targetE1EEEvT1_ ; -- Begin function _ZN7rocprim17ROCPRIM_400000_NS6detail17trampoline_kernelINS0_14default_configENS1_25partition_config_selectorILNS1_17partition_subalgoE8ElNS0_10empty_typeEbEEZZNS1_14partition_implILS5_8ELb0ES3_jPlPS6_PKS6_NS0_5tupleIJS9_S6_EEENSD_IJSA_SA_EEENS0_18inequality_wrapperIZN2at6native12_GLOBAL__N_124unique_dim_cuda_templateIbEESt5tupleIJNSH_6TensorESM_SM_EERKSM_lbbbEUlllE0_EEPmJS6_EEE10hipError_tPvRmT3_T4_T5_T6_T7_T9_mT8_P12ihipStream_tbDpT10_ENKUlT_T0_E_clISt17integral_constantIbLb1EES1C_EEDaS17_S18_EUlS17_E_NS1_11comp_targetILNS1_3genE4ELNS1_11target_archE910ELNS1_3gpuE8ELNS1_3repE0EEENS1_30default_config_static_selectorELNS0_4arch9wavefront6targetE1EEEvT1_
	.p2align	8
	.type	_ZN7rocprim17ROCPRIM_400000_NS6detail17trampoline_kernelINS0_14default_configENS1_25partition_config_selectorILNS1_17partition_subalgoE8ElNS0_10empty_typeEbEEZZNS1_14partition_implILS5_8ELb0ES3_jPlPS6_PKS6_NS0_5tupleIJS9_S6_EEENSD_IJSA_SA_EEENS0_18inequality_wrapperIZN2at6native12_GLOBAL__N_124unique_dim_cuda_templateIbEESt5tupleIJNSH_6TensorESM_SM_EERKSM_lbbbEUlllE0_EEPmJS6_EEE10hipError_tPvRmT3_T4_T5_T6_T7_T9_mT8_P12ihipStream_tbDpT10_ENKUlT_T0_E_clISt17integral_constantIbLb1EES1C_EEDaS17_S18_EUlS17_E_NS1_11comp_targetILNS1_3genE4ELNS1_11target_archE910ELNS1_3gpuE8ELNS1_3repE0EEENS1_30default_config_static_selectorELNS0_4arch9wavefront6targetE1EEEvT1_,@function
_ZN7rocprim17ROCPRIM_400000_NS6detail17trampoline_kernelINS0_14default_configENS1_25partition_config_selectorILNS1_17partition_subalgoE8ElNS0_10empty_typeEbEEZZNS1_14partition_implILS5_8ELb0ES3_jPlPS6_PKS6_NS0_5tupleIJS9_S6_EEENSD_IJSA_SA_EEENS0_18inequality_wrapperIZN2at6native12_GLOBAL__N_124unique_dim_cuda_templateIbEESt5tupleIJNSH_6TensorESM_SM_EERKSM_lbbbEUlllE0_EEPmJS6_EEE10hipError_tPvRmT3_T4_T5_T6_T7_T9_mT8_P12ihipStream_tbDpT10_ENKUlT_T0_E_clISt17integral_constantIbLb1EES1C_EEDaS17_S18_EUlS17_E_NS1_11comp_targetILNS1_3genE4ELNS1_11target_archE910ELNS1_3gpuE8ELNS1_3repE0EEENS1_30default_config_static_selectorELNS0_4arch9wavefront6targetE1EEEvT1_: ; @_ZN7rocprim17ROCPRIM_400000_NS6detail17trampoline_kernelINS0_14default_configENS1_25partition_config_selectorILNS1_17partition_subalgoE8ElNS0_10empty_typeEbEEZZNS1_14partition_implILS5_8ELb0ES3_jPlPS6_PKS6_NS0_5tupleIJS9_S6_EEENSD_IJSA_SA_EEENS0_18inequality_wrapperIZN2at6native12_GLOBAL__N_124unique_dim_cuda_templateIbEESt5tupleIJNSH_6TensorESM_SM_EERKSM_lbbbEUlllE0_EEPmJS6_EEE10hipError_tPvRmT3_T4_T5_T6_T7_T9_mT8_P12ihipStream_tbDpT10_ENKUlT_T0_E_clISt17integral_constantIbLb1EES1C_EEDaS17_S18_EUlS17_E_NS1_11comp_targetILNS1_3genE4ELNS1_11target_archE910ELNS1_3gpuE8ELNS1_3repE0EEENS1_30default_config_static_selectorELNS0_4arch9wavefront6targetE1EEEvT1_
; %bb.0:
	s_load_dwordx2 s[28:29], s[4:5], 0x28
	s_load_dwordx8 s[20:27], s[4:5], 0x40
	s_load_dwordx4 s[16:19], s[4:5], 0x60
	v_cmp_ne_u32_e64 s[2:3], 0, v0
	v_cmp_eq_u32_e64 s[0:1], 0, v0
	s_and_saveexec_b64 s[6:7], s[0:1]
	s_cbranch_execz .LBB1061_4
; %bb.1:
	s_mov_b64 s[10:11], exec
	v_mbcnt_lo_u32_b32 v1, s10, 0
	v_mbcnt_hi_u32_b32 v1, s11, v1
	v_cmp_eq_u32_e32 vcc, 0, v1
                                        ; implicit-def: $vgpr2
	s_and_saveexec_b64 s[8:9], vcc
	s_cbranch_execz .LBB1061_3
; %bb.2:
	s_load_dwordx2 s[12:13], s[4:5], 0x78
	s_bcnt1_i32_b64 s10, s[10:11]
	v_mov_b32_e32 v2, 0
	v_mov_b32_e32 v3, s10
	s_waitcnt lgkmcnt(0)
	global_atomic_add v2, v2, v3, s[12:13] glc
.LBB1061_3:
	s_or_b64 exec, exec, s[8:9]
	s_waitcnt vmcnt(0)
	v_readfirstlane_b32 s8, v2
	v_add_u32_e32 v1, s8, v1
	v_mov_b32_e32 v2, 0
	ds_write_b32 v2, v1
.LBB1061_4:
	s_or_b64 exec, exec, s[6:7]
	v_mov_b32_e32 v3, 0
	s_load_dwordx4 s[8:11], s[4:5], 0x8
	s_load_dword s12, s[4:5], 0x70
	s_waitcnt lgkmcnt(0)
	s_barrier
	ds_read_b32 v1, v3
	s_waitcnt lgkmcnt(0)
	s_barrier
	global_load_dwordx2 v[4:5], v3, s[22:23]
	s_lshl_b64 s[4:5], s[10:11], 3
	s_mul_i32 s14, s12, 0x500
	s_add_u32 s8, s8, s4
	s_addc_u32 s4, s9, s5
	s_add_i32 s5, s14, s10
	s_add_i32 s12, s12, -1
	s_sub_i32 s48, s24, s5
	v_mov_b32_e32 v8, s4
	s_add_u32 s4, s10, s14
	s_addc_u32 s5, s11, 0
	v_readfirstlane_b32 s33, v1
	v_mov_b32_e32 v6, s24
	v_mov_b32_e32 v7, s25
	s_movk_i32 s13, 0x500
	s_cmp_eq_u32 s33, s12
	v_mul_lo_u32 v2, v1, s13
	v_cmp_ge_u64_e32 vcc, s[4:5], v[6:7]
	s_cselect_b64 s[24:25], -1, 0
	v_lshlrev_b64 v[2:3], 3, v[2:3]
	s_and_b64 s[12:13], vcc, s[24:25]
	v_add_co_u32_e64 v18, s[4:5], s8, v2
	s_xor_b64 s[30:31], s[12:13], -1
	s_mov_b64 s[6:7], -1
	v_addc_co_u32_e64 v19, s[4:5], v8, v3, s[4:5]
	s_and_b64 vcc, exec, s[30:31]
	s_waitcnt vmcnt(0)
	v_readfirstlane_b32 s22, v4
	v_readfirstlane_b32 s23, v5
	s_cbranch_vccz .LBB1061_6
; %bb.5:
	v_lshlrev_b32_e32 v1, 3, v0
	v_add_co_u32_e32 v12, vcc, v18, v1
	v_addc_co_u32_e32 v13, vcc, 0, v19, vcc
	v_add_co_u32_e32 v2, vcc, 0x1000, v12
	v_readfirstlane_b32 s4, v18
	v_readfirstlane_b32 s5, v19
	v_addc_co_u32_e32 v3, vcc, 0, v13, vcc
	s_nop 3
	global_load_dwordx2 v[4:5], v1, s[4:5]
	global_load_dwordx2 v[6:7], v1, s[4:5] offset:2048
	global_load_dwordx2 v[8:9], v[2:3], off
	global_load_dwordx2 v[10:11], v[2:3], off offset:2048
	v_add_co_u32_e32 v2, vcc, 0x2000, v12
	v_addc_co_u32_e32 v3, vcc, 0, v13, vcc
	global_load_dwordx2 v[2:3], v[2:3], off
	s_mov_b64 s[6:7], 0
	s_waitcnt vmcnt(3)
	ds_write2st64_b64 v1, v[4:5], v[6:7] offset1:4
	s_waitcnt vmcnt(1)
	ds_write2st64_b64 v1, v[8:9], v[10:11] offset0:8 offset1:12
	s_waitcnt vmcnt(0)
	ds_write_b64 v1, v[2:3] offset:8192
	s_waitcnt lgkmcnt(0)
	s_barrier
.LBB1061_6:
	s_andn2_b64 vcc, exec, s[6:7]
	s_addk_i32 s48, 0x500
	s_cbranch_vccnz .LBB1061_18
; %bb.7:
	v_cmp_gt_u32_e32 vcc, s48, v0
                                        ; implicit-def: $vgpr2_vgpr3_vgpr4_vgpr5_vgpr6_vgpr7_vgpr8_vgpr9_vgpr10_vgpr11_vgpr12_vgpr13_vgpr14_vgpr15_vgpr16_vgpr17
	s_and_saveexec_b64 s[4:5], vcc
	s_cbranch_execz .LBB1061_9
; %bb.8:
	v_lshlrev_b32_e32 v1, 3, v0
	v_readfirstlane_b32 s6, v18
	v_readfirstlane_b32 s7, v19
	s_nop 4
	global_load_dwordx2 v[2:3], v1, s[6:7]
.LBB1061_9:
	s_or_b64 exec, exec, s[4:5]
	v_or_b32_e32 v1, 0x100, v0
	v_cmp_gt_u32_e32 vcc, s48, v1
	s_and_saveexec_b64 s[4:5], vcc
	s_cbranch_execz .LBB1061_11
; %bb.10:
	v_lshlrev_b32_e32 v1, 3, v0
	v_readfirstlane_b32 s6, v18
	v_readfirstlane_b32 s7, v19
	s_nop 4
	global_load_dwordx2 v[4:5], v1, s[6:7] offset:2048
.LBB1061_11:
	s_or_b64 exec, exec, s[4:5]
	v_or_b32_e32 v1, 0x200, v0
	v_cmp_gt_u32_e32 vcc, s48, v1
	s_and_saveexec_b64 s[4:5], vcc
	s_cbranch_execz .LBB1061_13
; %bb.12:
	v_lshlrev_b32_e32 v1, 3, v1
	v_readfirstlane_b32 s6, v18
	v_readfirstlane_b32 s7, v19
	s_nop 4
	global_load_dwordx2 v[6:7], v1, s[6:7]
.LBB1061_13:
	s_or_b64 exec, exec, s[4:5]
	v_or_b32_e32 v1, 0x300, v0
	v_cmp_gt_u32_e32 vcc, s48, v1
	s_and_saveexec_b64 s[4:5], vcc
	s_cbranch_execz .LBB1061_15
; %bb.14:
	v_lshlrev_b32_e32 v1, 3, v1
	v_readfirstlane_b32 s6, v18
	v_readfirstlane_b32 s7, v19
	s_nop 4
	global_load_dwordx2 v[8:9], v1, s[6:7]
.LBB1061_15:
	s_or_b64 exec, exec, s[4:5]
	v_or_b32_e32 v1, 0x400, v0
	v_cmp_gt_u32_e32 vcc, s48, v1
	s_and_saveexec_b64 s[4:5], vcc
	s_cbranch_execz .LBB1061_17
; %bb.16:
	v_lshlrev_b32_e32 v1, 3, v1
	v_readfirstlane_b32 s6, v18
	v_readfirstlane_b32 s7, v19
	s_nop 4
	global_load_dwordx2 v[10:11], v1, s[6:7]
.LBB1061_17:
	s_or_b64 exec, exec, s[4:5]
	v_lshlrev_b32_e32 v1, 3, v0
	s_waitcnt vmcnt(0)
	ds_write2st64_b64 v1, v[2:3], v[4:5] offset1:4
	ds_write2st64_b64 v1, v[6:7], v[8:9] offset0:8 offset1:12
	ds_write_b64 v1, v[10:11] offset:8192
	s_waitcnt lgkmcnt(0)
	s_barrier
.LBB1061_18:
	v_mul_u32_u24_e32 v1, 5, v0
	v_lshlrev_b32_e32 v26, 3, v1
	ds_read2_b64 v[6:9], v26 offset1:1
	ds_read2_b64 v[2:5], v26 offset0:2 offset1:3
	ds_read_b64 v[10:11], v26 offset:32
	s_cmp_lg_u32 s33, 0
	s_cselect_b64 s[34:35], -1, 0
	s_cmp_lg_u64 s[10:11], 0
	s_cselect_b64 s[4:5], -1, 0
	s_or_b64 s[4:5], s[4:5], s[34:35]
	v_mad_u32_u24 v24, v0, 5, 1
	v_mad_u32_u24 v22, v0, 5, 2
	;; [unrolled: 1-line block ×4, first 2 shown]
	s_mov_b64 s[14:15], 0
	s_and_b64 vcc, exec, s[4:5]
	v_cmp_lt_i64_e64 s[10:11], s[26:27], 1
	v_cmp_gt_i64_e64 s[8:9], s[26:27], 0
	s_waitcnt lgkmcnt(0)
	s_barrier
	s_cbranch_vccz .LBB1061_27
; %bb.19:
	global_load_dwordx2 v[14:15], v[18:19], off offset:-8
	v_lshlrev_b32_e32 v27, 3, v0
	s_mov_b64 s[6:7], 0
	s_and_b64 vcc, exec, s[30:31]
	ds_write_b64 v27, v[10:11]
	s_cbranch_vccz .LBB1061_28
; %bb.20:
	v_cndmask_b32_e64 v12, 0, 1, s[8:9]
	v_cmp_ne_u32_e64 s[4:5], 1, v12
	s_andn2_b64 vcc, exec, s[8:9]
	s_cbranch_vccnz .LBB1061_29
; %bb.21:
	v_pk_mov_b32 v[16:17], s[16:17], s[16:17] op_sel:[0,1]
	v_mad_u64_u32 v[12:13], s[6:7], v4, s26, v[16:17]
	v_mul_lo_u32 v18, v4, s27
	v_mul_lo_u32 v19, v5, s26
	v_add3_u32 v13, v19, v13, v18
	v_mad_u64_u32 v[16:17], s[6:7], v10, s26, v[16:17]
	v_mul_lo_u32 v18, v10, s27
	v_mul_lo_u32 v19, v11, s26
	v_add3_u32 v17, v19, v17, v18
	global_load_ubyte v18, v[12:13], off
	global_load_ubyte v19, v[16:17], off
	s_mov_b64 s[8:9], -1
	s_waitcnt vmcnt(1)
	v_cmp_ne_u16_e32 vcc, 0, v18
	s_waitcnt vmcnt(0)
	v_cmp_ne_u16_e64 s[6:7], 0, v19
	s_xor_b64 s[6:7], vcc, s[6:7]
	s_xor_b64 s[6:7], s[6:7], -1
	s_and_saveexec_b64 s[14:15], s[6:7]
	s_cbranch_execz .LBB1061_31
; %bb.22:
	s_mov_b64 s[40:41], 1
	s_mov_b64 s[36:37], 0
                                        ; implicit-def: $sgpr38_sgpr39
	s_branch .LBB1061_25
.LBB1061_23:                            ;   in Loop: Header=BB1061_25 Depth=1
	v_mov_b32_e32 v21, s41
	v_add_co_u32_e64 v18, s[6:7], s40, v12
	v_addc_co_u32_e64 v19, s[6:7], v13, v21, s[6:7]
	v_add_co_u32_e64 v20, s[6:7], s40, v16
	v_addc_co_u32_e64 v21, s[6:7], v17, v21, s[6:7]
	global_load_ubyte v28, v[18:19], off
	global_load_ubyte v29, v[20:21], off
	s_waitcnt vmcnt(1)
	v_cmp_ne_u16_e64 s[6:7], 0, v28
	s_waitcnt vmcnt(0)
	v_cmp_ne_u16_e64 s[8:9], 0, v29
	s_xor_b64 s[8:9], s[6:7], s[8:9]
	s_add_u32 s6, s40, 1
	s_addc_u32 s7, s41, 0
	s_andn2_b64 s[38:39], s[38:39], exec
	s_and_b64 s[8:9], s[8:9], exec
	s_or_b64 s[38:39], s[38:39], s[8:9]
.LBB1061_24:                            ;   in Loop: Header=BB1061_25 Depth=1
	s_and_b64 s[8:9], exec, s[38:39]
	s_or_b64 s[36:37], s[8:9], s[36:37]
	v_pk_mov_b32 v[18:19], s[40:41], s[40:41] op_sel:[0,1]
	s_mov_b64 s[40:41], s[6:7]
	s_andn2_b64 exec, exec, s[36:37]
	s_cbranch_execz .LBB1061_30
.LBB1061_25:                            ; =>This Inner Loop Header: Depth=1
	s_or_b64 s[38:39], s[38:39], exec
	s_cmp_eq_u64 s[26:27], s[40:41]
	s_cbranch_scc0 .LBB1061_23
; %bb.26:                               ;   in Loop: Header=BB1061_25 Depth=1
                                        ; implicit-def: $sgpr6_sgpr7
	s_mov_b64 s[40:41], s[26:27]
	s_branch .LBB1061_24
.LBB1061_27:
                                        ; implicit-def: $sgpr8_sgpr9
                                        ; implicit-def: $vgpr13
                                        ; implicit-def: $vgpr16
	s_branch .LBB1061_118
.LBB1061_28:
                                        ; implicit-def: $sgpr8_sgpr9
                                        ; implicit-def: $vgpr13
                                        ; implicit-def: $vgpr16
	s_cbranch_execnz .LBB1061_69
	s_branch .LBB1061_117
.LBB1061_29:
	v_mov_b32_e32 v28, 0
	s_branch .LBB1061_39
.LBB1061_30:
	s_or_b64 exec, exec, s[36:37]
	v_cmp_gt_i64_e64 s[6:7], s[26:27], v[18:19]
	s_orn2_b64 s[8:9], s[6:7], exec
.LBB1061_31:
	s_or_b64 exec, exec, s[14:15]
	v_pk_mov_b32 v[16:17], s[16:17], s[16:17] op_sel:[0,1]
	v_mad_u64_u32 v[16:17], s[6:7], v2, s26, v[16:17]
	v_mul_lo_u32 v18, v2, s27
	v_mul_lo_u32 v19, v3, s26
	v_add3_u32 v17, v19, v17, v18
	global_load_ubyte v18, v[16:17], off
	s_waitcnt vmcnt(0)
	v_cmp_ne_u16_e64 s[6:7], 0, v18
	s_xor_b64 s[14:15], vcc, s[6:7]
	s_mov_b64 s[6:7], -1
	s_xor_b64 s[36:37], s[14:15], -1
	s_and_saveexec_b64 s[14:15], s[36:37]
	s_cbranch_execz .LBB1061_38
; %bb.32:
	s_mov_b64 s[40:41], 1
	s_mov_b64 s[36:37], 0
                                        ; implicit-def: $sgpr38_sgpr39
	s_branch .LBB1061_35
.LBB1061_33:                            ;   in Loop: Header=BB1061_35 Depth=1
	v_mov_b32_e32 v21, s41
	v_add_co_u32_e32 v18, vcc, s40, v16
	v_addc_co_u32_e32 v19, vcc, v17, v21, vcc
	v_add_co_u32_e32 v20, vcc, s40, v12
	v_addc_co_u32_e32 v21, vcc, v13, v21, vcc
	global_load_ubyte v28, v[18:19], off
	global_load_ubyte v29, v[20:21], off
	s_waitcnt vmcnt(1)
	v_cmp_ne_u16_e32 vcc, 0, v28
	s_waitcnt vmcnt(0)
	v_cmp_ne_u16_e64 s[6:7], 0, v29
	s_xor_b64 s[42:43], vcc, s[6:7]
	s_add_u32 s6, s40, 1
	s_addc_u32 s7, s41, 0
	s_andn2_b64 s[38:39], s[38:39], exec
	s_and_b64 s[42:43], s[42:43], exec
	s_or_b64 s[38:39], s[38:39], s[42:43]
.LBB1061_34:                            ;   in Loop: Header=BB1061_35 Depth=1
	s_and_b64 s[42:43], exec, s[38:39]
	s_or_b64 s[36:37], s[42:43], s[36:37]
	v_pk_mov_b32 v[18:19], s[40:41], s[40:41] op_sel:[0,1]
	s_mov_b64 s[40:41], s[6:7]
	s_andn2_b64 exec, exec, s[36:37]
	s_cbranch_execz .LBB1061_37
.LBB1061_35:                            ; =>This Inner Loop Header: Depth=1
	s_or_b64 s[38:39], s[38:39], exec
	s_cmp_eq_u64 s[26:27], s[40:41]
	s_cbranch_scc0 .LBB1061_33
; %bb.36:                               ;   in Loop: Header=BB1061_35 Depth=1
                                        ; implicit-def: $sgpr6_sgpr7
	s_mov_b64 s[40:41], s[26:27]
	s_branch .LBB1061_34
.LBB1061_37:
	s_or_b64 exec, exec, s[36:37]
	v_cmp_gt_i64_e32 vcc, s[26:27], v[18:19]
	s_orn2_b64 s[6:7], vcc, exec
.LBB1061_38:
	s_or_b64 exec, exec, s[14:15]
	v_cndmask_b32_e64 v28, 0, 1, s[8:9]
.LBB1061_39:
	v_lshlrev_b16_e32 v12, 8, v0
	v_cndmask_b32_e64 v13, 0, 1, s[6:7]
	v_mov_b32_e32 v16, 8
	v_lshrrev_b32_sdwa v12, v16, v12 dst_sel:BYTE_1 dst_unused:UNUSED_PAD src0_sel:DWORD src1_sel:DWORD
	v_lshlrev_b16_e32 v13, 8, v13
	v_or_b32_sdwa v12, v0, v12 dst_sel:DWORD dst_unused:UNUSED_PAD src0_sel:BYTE_0 src1_sel:DWORD
	v_or_b32_sdwa v13, v0, v13 dst_sel:WORD_1 dst_unused:UNUSED_PAD src0_sel:BYTE_0 src1_sel:DWORD
	s_and_b64 vcc, exec, s[4:5]
	v_or_b32_sdwa v29, v12, v13 dst_sel:DWORD dst_unused:UNUSED_PAD src0_sel:WORD_0 src1_sel:DWORD
	s_cbranch_vccnz .LBB1061_46
; %bb.40:
	v_pk_mov_b32 v[12:13], s[16:17], s[16:17] op_sel:[0,1]
	v_mad_u64_u32 v[16:17], s[6:7], v8, s26, v[12:13]
	v_mul_lo_u32 v18, v8, s27
	v_mul_lo_u32 v19, v9, s26
	v_add3_u32 v17, v19, v17, v18
	v_mad_u64_u32 v[12:13], s[6:7], v2, s26, v[12:13]
	v_mul_lo_u32 v18, v2, s27
	v_mul_lo_u32 v19, v3, s26
	v_add3_u32 v13, v19, v13, v18
	global_load_ubyte v18, v[16:17], off
	global_load_ubyte v19, v[12:13], off
	s_waitcnt vmcnt(1)
	v_cmp_ne_u16_e32 vcc, 0, v18
	s_waitcnt vmcnt(0)
	v_cmp_ne_u16_e64 s[6:7], 0, v19
	s_xor_b64 s[8:9], vcc, s[6:7]
	s_mov_b64 s[6:7], -1
	s_xor_b64 s[8:9], s[8:9], -1
	s_and_saveexec_b64 s[14:15], s[8:9]
	s_cbranch_execz .LBB1061_48
; %bb.41:
	s_mov_b64 s[40:41], 1
	s_mov_b64 s[36:37], 0
                                        ; implicit-def: $sgpr38_sgpr39
	s_branch .LBB1061_44
.LBB1061_42:                            ;   in Loop: Header=BB1061_44 Depth=1
	v_mov_b32_e32 v21, s41
	v_add_co_u32_e64 v18, s[6:7], s40, v16
	v_addc_co_u32_e64 v19, s[6:7], v17, v21, s[6:7]
	v_add_co_u32_e64 v20, s[6:7], s40, v12
	v_addc_co_u32_e64 v21, s[6:7], v13, v21, s[6:7]
	global_load_ubyte v30, v[18:19], off
	global_load_ubyte v31, v[20:21], off
	s_waitcnt vmcnt(1)
	v_cmp_ne_u16_e64 s[6:7], 0, v30
	s_waitcnt vmcnt(0)
	v_cmp_ne_u16_e64 s[8:9], 0, v31
	s_xor_b64 s[8:9], s[6:7], s[8:9]
	s_add_u32 s6, s40, 1
	s_addc_u32 s7, s41, 0
	s_andn2_b64 s[38:39], s[38:39], exec
	s_and_b64 s[8:9], s[8:9], exec
	s_or_b64 s[38:39], s[38:39], s[8:9]
.LBB1061_43:                            ;   in Loop: Header=BB1061_44 Depth=1
	s_and_b64 s[8:9], exec, s[38:39]
	s_or_b64 s[36:37], s[8:9], s[36:37]
	v_pk_mov_b32 v[18:19], s[40:41], s[40:41] op_sel:[0,1]
	s_mov_b64 s[40:41], s[6:7]
	s_andn2_b64 exec, exec, s[36:37]
	s_cbranch_execz .LBB1061_47
.LBB1061_44:                            ; =>This Inner Loop Header: Depth=1
	s_or_b64 s[38:39], s[38:39], exec
	s_cmp_eq_u64 s[26:27], s[40:41]
	s_cbranch_scc0 .LBB1061_42
; %bb.45:                               ;   in Loop: Header=BB1061_44 Depth=1
                                        ; implicit-def: $sgpr6_sgpr7
	s_mov_b64 s[40:41], s[26:27]
	s_branch .LBB1061_43
.LBB1061_46:
                                        ; implicit-def: $sgpr6_sgpr7
                                        ; implicit-def: $vgpr12_vgpr13
	s_cbranch_execnz .LBB1061_56
	s_branch .LBB1061_57
.LBB1061_47:
	s_or_b64 exec, exec, s[36:37]
	v_cmp_gt_i64_e64 s[6:7], s[26:27], v[18:19]
	s_orn2_b64 s[6:7], s[6:7], exec
.LBB1061_48:
	s_or_b64 exec, exec, s[14:15]
	v_pk_mov_b32 v[12:13], s[16:17], s[16:17] op_sel:[0,1]
	v_mad_u64_u32 v[18:19], s[8:9], v6, s26, v[12:13]
	v_mul_lo_u32 v12, v6, s27
	v_mul_lo_u32 v13, v7, s26
	v_add3_u32 v19, v13, v19, v12
	global_load_ubyte v20, v[18:19], off
	v_cndmask_b32_e64 v12, 0, 1, s[6:7]
	s_movk_i32 s6, 0xff
	v_mov_b32_e32 v13, 8
	v_lshrrev_b32_e32 v21, 24, v29
	v_lshrrev_b32_sdwa v30, v13, v29 dst_sel:BYTE_1 dst_unused:UNUSED_PAD src0_sel:DWORD src1_sel:DWORD
	v_lshlrev_b16_e32 v21, 8, v21
	v_and_b32_sdwa v13, v28, s6 dst_sel:DWORD dst_unused:UNUSED_PAD src0_sel:WORD_0 src1_sel:DWORD
	v_or_b32_sdwa v30, v29, v30 dst_sel:DWORD dst_unused:UNUSED_PAD src0_sel:BYTE_0 src1_sel:DWORD
	v_or_b32_sdwa v12, v12, v21 dst_sel:WORD_1 dst_unused:UNUSED_PAD src0_sel:DWORD src1_sel:DWORD
	v_or_b32_sdwa v12, v30, v12 dst_sel:DWORD dst_unused:UNUSED_PAD src0_sel:WORD_0 src1_sel:DWORD
	s_waitcnt vmcnt(0)
	v_cmp_ne_u16_e64 s[6:7], 0, v20
	s_xor_b64 s[8:9], vcc, s[6:7]
	s_mov_b64 s[6:7], -1
	s_xor_b64 s[14:15], s[8:9], -1
	s_and_saveexec_b64 s[8:9], s[14:15]
	s_cbranch_execz .LBB1061_55
; %bb.49:
	s_mov_b64 s[38:39], 1
	s_mov_b64 s[14:15], 0
                                        ; implicit-def: $sgpr36_sgpr37
	s_branch .LBB1061_52
.LBB1061_50:                            ;   in Loop: Header=BB1061_52 Depth=1
	v_mov_b32_e32 v31, s39
	v_add_co_u32_e32 v20, vcc, s38, v18
	v_addc_co_u32_e32 v21, vcc, v19, v31, vcc
	v_add_co_u32_e32 v30, vcc, s38, v16
	v_addc_co_u32_e32 v31, vcc, v17, v31, vcc
	global_load_ubyte v32, v[20:21], off
	global_load_ubyte v33, v[30:31], off
	s_waitcnt vmcnt(1)
	v_cmp_ne_u16_e32 vcc, 0, v32
	s_waitcnt vmcnt(0)
	v_cmp_ne_u16_e64 s[6:7], 0, v33
	s_xor_b64 s[40:41], vcc, s[6:7]
	s_add_u32 s6, s38, 1
	s_addc_u32 s7, s39, 0
	s_andn2_b64 s[36:37], s[36:37], exec
	s_and_b64 s[40:41], s[40:41], exec
	s_or_b64 s[36:37], s[36:37], s[40:41]
.LBB1061_51:                            ;   in Loop: Header=BB1061_52 Depth=1
	s_and_b64 s[40:41], exec, s[36:37]
	s_or_b64 s[14:15], s[40:41], s[14:15]
	v_pk_mov_b32 v[20:21], s[38:39], s[38:39] op_sel:[0,1]
	s_mov_b64 s[38:39], s[6:7]
	s_andn2_b64 exec, exec, s[14:15]
	s_cbranch_execz .LBB1061_54
.LBB1061_52:                            ; =>This Inner Loop Header: Depth=1
	s_or_b64 s[36:37], s[36:37], exec
	s_cmp_eq_u64 s[26:27], s[38:39]
	s_cbranch_scc0 .LBB1061_50
; %bb.53:                               ;   in Loop: Header=BB1061_52 Depth=1
                                        ; implicit-def: $sgpr6_sgpr7
	s_mov_b64 s[38:39], s[26:27]
	s_branch .LBB1061_51
.LBB1061_54:
	s_or_b64 exec, exec, s[14:15]
	v_cmp_gt_i64_e32 vcc, s[26:27], v[20:21]
	s_orn2_b64 s[6:7], vcc, exec
.LBB1061_55:
	s_or_b64 exec, exec, s[8:9]
	s_branch .LBB1061_57
.LBB1061_56:
	v_mov_b32_e32 v12, 8
	v_lshrrev_b32_sdwa v12, v12, v29 dst_sel:BYTE_1 dst_unused:UNUSED_PAD src0_sel:DWORD src1_sel:DWORD
	v_or_b32_sdwa v12, v29, v12 dst_sel:DWORD dst_unused:UNUSED_PAD src0_sel:BYTE_0 src1_sel:DWORD
	s_movk_i32 s8, 0xff
	v_and_b32_e32 v12, 0xffff, v12
	s_mov_b32 s9, 0xff000000
	v_and_or_b32 v12, v29, s9, v12
	v_and_b32_sdwa v13, v28, s8 dst_sel:DWORD dst_unused:UNUSED_PAD src0_sel:WORD_0 src1_sel:DWORD
	s_andn2_b64 s[6:7], s[6:7], exec
.LBB1061_57:
	s_waitcnt vmcnt(0)
	v_pk_mov_b32 v[18:19], v[14:15], v[14:15] op_sel:[0,1]
	s_waitcnt lgkmcnt(0)
	s_barrier
	s_and_saveexec_b64 s[8:9], s[2:3]
	s_cbranch_execz .LBB1061_59
; %bb.58:
	v_add_u32_e32 v16, -8, v27
	ds_read_b64 v[18:19], v16
.LBB1061_59:
	s_or_b64 exec, exec, s[8:9]
	v_cndmask_b32_e64 v16, 0, 1, s[6:7]
	v_lshlrev_b16_e32 v16, 8, v16
	s_movk_i32 s6, 0xff
	v_or_b32_sdwa v28, v12, v16 dst_sel:DWORD dst_unused:UNUSED_PAD src0_sel:BYTE_0 src1_sel:DWORD
	v_lshrrev_b32_e32 v16, 24, v12
	v_lshlrev_b16_e32 v16, 8, v16
	v_and_b32_sdwa v12, v12, s6 dst_sel:DWORD dst_unused:UNUSED_PAD src0_sel:WORD_1 src1_sel:DWORD
	v_or_b32_sdwa v12, v12, v16 dst_sel:WORD_1 dst_unused:UNUSED_PAD src0_sel:DWORD src1_sel:DWORD
	s_mov_b64 s[6:7], 0
	s_and_b64 vcc, exec, s[4:5]
	s_mov_b64 s[8:9], 0
	s_cbranch_vccnz .LBB1061_68
; %bb.60:
	v_pk_mov_b32 v[20:21], s[16:17], s[16:17] op_sel:[0,1]
	s_waitcnt lgkmcnt(0)
	v_mad_u64_u32 v[16:17], s[4:5], v18, s26, v[20:21]
	v_mul_lo_u32 v18, v18, s27
	v_mul_lo_u32 v19, v19, s26
	v_add3_u32 v17, v19, v17, v18
	v_mad_u64_u32 v[18:19], s[4:5], v6, s26, v[20:21]
	v_mul_lo_u32 v20, v6, s27
	v_mul_lo_u32 v21, v7, s26
	v_add3_u32 v19, v21, v19, v20
	global_load_ubyte v20, v[16:17], off
	global_load_ubyte v21, v[18:19], off
	s_mov_b64 s[8:9], -1
	s_waitcnt vmcnt(1)
	v_cmp_ne_u16_e32 vcc, 0, v20
	s_waitcnt vmcnt(0)
	v_cmp_ne_u16_e64 s[4:5], 0, v21
	s_xor_b64 s[4:5], vcc, s[4:5]
	s_xor_b64 s[4:5], s[4:5], -1
	s_and_saveexec_b64 s[14:15], s[4:5]
	s_cbranch_execz .LBB1061_67
; %bb.61:
	s_mov_b64 s[38:39], 1
	s_mov_b64 s[8:9], 0
                                        ; implicit-def: $sgpr36_sgpr37
	s_branch .LBB1061_64
.LBB1061_62:                            ;   in Loop: Header=BB1061_64 Depth=1
	v_mov_b32_e32 v29, s39
	v_add_co_u32_e32 v20, vcc, s38, v16
	v_addc_co_u32_e32 v21, vcc, v17, v29, vcc
	v_add_co_u32_e32 v30, vcc, s38, v18
	v_addc_co_u32_e32 v31, vcc, v19, v29, vcc
	global_load_ubyte v29, v[20:21], off
	global_load_ubyte v32, v[30:31], off
	s_waitcnt vmcnt(1)
	v_cmp_ne_u16_e32 vcc, 0, v29
	s_waitcnt vmcnt(0)
	v_cmp_ne_u16_e64 s[4:5], 0, v32
	s_xor_b64 s[40:41], vcc, s[4:5]
	s_add_u32 s4, s38, 1
	s_addc_u32 s5, s39, 0
	s_andn2_b64 s[36:37], s[36:37], exec
	s_and_b64 s[40:41], s[40:41], exec
	s_or_b64 s[36:37], s[36:37], s[40:41]
.LBB1061_63:                            ;   in Loop: Header=BB1061_64 Depth=1
	s_and_b64 s[40:41], exec, s[36:37]
	s_or_b64 s[8:9], s[40:41], s[8:9]
	v_pk_mov_b32 v[20:21], s[38:39], s[38:39] op_sel:[0,1]
	s_mov_b64 s[38:39], s[4:5]
	s_andn2_b64 exec, exec, s[8:9]
	s_cbranch_execz .LBB1061_66
.LBB1061_64:                            ; =>This Inner Loop Header: Depth=1
	s_or_b64 s[36:37], s[36:37], exec
	s_cmp_eq_u64 s[26:27], s[38:39]
	s_cbranch_scc0 .LBB1061_62
; %bb.65:                               ;   in Loop: Header=BB1061_64 Depth=1
                                        ; implicit-def: $sgpr4_sgpr5
	s_mov_b64 s[38:39], s[26:27]
	s_branch .LBB1061_63
.LBB1061_66:
	s_or_b64 exec, exec, s[8:9]
	v_cmp_gt_i64_e32 vcc, s[26:27], v[20:21]
	s_orn2_b64 s[8:9], vcc, exec
.LBB1061_67:
	s_or_b64 exec, exec, s[14:15]
.LBB1061_68:
	v_or_b32_sdwa v16, v28, v12 dst_sel:DWORD dst_unused:UNUSED_PAD src0_sel:WORD_0 src1_sel:DWORD
	s_and_b64 vcc, exec, s[6:7]
	s_cbranch_vccz .LBB1061_117
.LBB1061_69:
	v_cmp_gt_u32_e32 vcc, s48, v23
	s_xor_b64 s[8:9], s[10:11], -1
	s_mov_b64 s[36:37], -1
	s_and_b64 s[4:5], vcc, s[8:9]
	s_mov_b64 s[10:11], 0
	s_mov_b64 s[6:7], 0
	s_and_saveexec_b64 s[14:15], s[4:5]
	s_cbranch_execz .LBB1061_78
; %bb.70:
	v_pk_mov_b32 v[16:17], s[16:17], s[16:17] op_sel:[0,1]
	v_mad_u64_u32 v[12:13], s[4:5], v4, s26, v[16:17]
	s_waitcnt lgkmcnt(0)
	v_mul_lo_u32 v18, v4, s27
	v_mul_lo_u32 v19, v5, s26
	v_add3_u32 v13, v19, v13, v18
	v_mad_u64_u32 v[16:17], s[4:5], v10, s26, v[16:17]
	v_mul_lo_u32 v18, v10, s27
	v_mul_lo_u32 v19, v11, s26
	v_add3_u32 v17, v19, v17, v18
	global_load_ubyte v18, v[12:13], off
	global_load_ubyte v19, v[16:17], off
	s_waitcnt vmcnt(1)
	v_cmp_ne_u16_e32 vcc, 0, v18
	s_waitcnt vmcnt(0)
	v_cmp_ne_u16_e64 s[4:5], 0, v19
	s_xor_b64 s[4:5], vcc, s[4:5]
	s_xor_b64 s[4:5], s[4:5], -1
	s_and_saveexec_b64 s[6:7], s[4:5]
	s_cbranch_execz .LBB1061_77
; %bb.71:
	s_mov_b64 s[40:41], 1
	s_mov_b64 s[36:37], 0
                                        ; implicit-def: $sgpr38_sgpr39
	s_branch .LBB1061_74
.LBB1061_72:                            ;   in Loop: Header=BB1061_74 Depth=1
	v_mov_b32_e32 v21, s41
	v_add_co_u32_e32 v18, vcc, s40, v12
	v_addc_co_u32_e32 v19, vcc, v13, v21, vcc
	v_add_co_u32_e32 v20, vcc, s40, v16
	v_addc_co_u32_e32 v21, vcc, v17, v21, vcc
	global_load_ubyte v28, v[18:19], off
	global_load_ubyte v29, v[20:21], off
	s_waitcnt vmcnt(1)
	v_cmp_ne_u16_e32 vcc, 0, v28
	s_waitcnt vmcnt(0)
	v_cmp_ne_u16_e64 s[4:5], 0, v29
	s_xor_b64 s[42:43], vcc, s[4:5]
	s_add_u32 s4, s40, 1
	s_addc_u32 s5, s41, 0
	s_andn2_b64 s[38:39], s[38:39], exec
	s_and_b64 s[42:43], s[42:43], exec
	s_or_b64 s[38:39], s[38:39], s[42:43]
.LBB1061_73:                            ;   in Loop: Header=BB1061_74 Depth=1
	s_and_b64 s[42:43], exec, s[38:39]
	s_or_b64 s[36:37], s[42:43], s[36:37]
	v_pk_mov_b32 v[18:19], s[40:41], s[40:41] op_sel:[0,1]
	s_mov_b64 s[40:41], s[4:5]
	s_andn2_b64 exec, exec, s[36:37]
	s_cbranch_execz .LBB1061_76
.LBB1061_74:                            ; =>This Inner Loop Header: Depth=1
	s_or_b64 s[38:39], s[38:39], exec
	s_cmp_eq_u64 s[26:27], s[40:41]
	s_cbranch_scc0 .LBB1061_72
; %bb.75:                               ;   in Loop: Header=BB1061_74 Depth=1
                                        ; implicit-def: $sgpr4_sgpr5
	s_mov_b64 s[40:41], s[26:27]
	s_branch .LBB1061_73
.LBB1061_76:
	s_or_b64 exec, exec, s[36:37]
	v_cmp_gt_i64_e32 vcc, s[26:27], v[18:19]
	s_orn2_b64 s[36:37], vcc, exec
.LBB1061_77:
	s_or_b64 exec, exec, s[6:7]
	s_and_b64 s[6:7], s[36:37], exec
.LBB1061_78:
	s_or_b64 exec, exec, s[14:15]
	v_cmp_gt_u32_e32 vcc, s48, v25
	s_and_b64 s[4:5], vcc, s[8:9]
	s_and_saveexec_b64 s[14:15], s[4:5]
	s_cbranch_execz .LBB1061_87
; %bb.79:
	v_pk_mov_b32 v[16:17], s[16:17], s[16:17] op_sel:[0,1]
	v_mad_u64_u32 v[12:13], s[4:5], v2, s26, v[16:17]
	s_waitcnt lgkmcnt(0)
	v_mul_lo_u32 v18, v2, s27
	v_mul_lo_u32 v19, v3, s26
	v_add3_u32 v13, v19, v13, v18
	v_mad_u64_u32 v[16:17], s[4:5], v4, s26, v[16:17]
	v_mul_lo_u32 v18, v4, s27
	v_mul_lo_u32 v19, v5, s26
	v_add3_u32 v17, v19, v17, v18
	global_load_ubyte v18, v[12:13], off
	global_load_ubyte v19, v[16:17], off
	s_waitcnt vmcnt(1)
	v_cmp_ne_u16_e32 vcc, 0, v18
	s_waitcnt vmcnt(0)
	v_cmp_ne_u16_e64 s[4:5], 0, v19
	s_xor_b64 s[10:11], vcc, s[4:5]
	s_mov_b64 s[4:5], -1
	s_xor_b64 s[36:37], s[10:11], -1
	s_and_saveexec_b64 s[10:11], s[36:37]
	s_cbranch_execz .LBB1061_86
; %bb.80:
	s_mov_b64 s[40:41], 1
	s_mov_b64 s[36:37], 0
                                        ; implicit-def: $sgpr38_sgpr39
	s_branch .LBB1061_83
.LBB1061_81:                            ;   in Loop: Header=BB1061_83 Depth=1
	v_mov_b32_e32 v21, s41
	v_add_co_u32_e32 v18, vcc, s40, v12
	v_addc_co_u32_e32 v19, vcc, v13, v21, vcc
	v_add_co_u32_e32 v20, vcc, s40, v16
	v_addc_co_u32_e32 v21, vcc, v17, v21, vcc
	global_load_ubyte v28, v[18:19], off
	global_load_ubyte v29, v[20:21], off
	s_waitcnt vmcnt(1)
	v_cmp_ne_u16_e32 vcc, 0, v28
	s_waitcnt vmcnt(0)
	v_cmp_ne_u16_e64 s[4:5], 0, v29
	s_xor_b64 s[42:43], vcc, s[4:5]
	s_add_u32 s4, s40, 1
	s_addc_u32 s5, s41, 0
	s_andn2_b64 s[38:39], s[38:39], exec
	s_and_b64 s[42:43], s[42:43], exec
	s_or_b64 s[38:39], s[38:39], s[42:43]
.LBB1061_82:                            ;   in Loop: Header=BB1061_83 Depth=1
	s_and_b64 s[42:43], exec, s[38:39]
	s_or_b64 s[36:37], s[42:43], s[36:37]
	v_pk_mov_b32 v[18:19], s[40:41], s[40:41] op_sel:[0,1]
	s_mov_b64 s[40:41], s[4:5]
	s_andn2_b64 exec, exec, s[36:37]
	s_cbranch_execz .LBB1061_85
.LBB1061_83:                            ; =>This Inner Loop Header: Depth=1
	s_or_b64 s[38:39], s[38:39], exec
	s_cmp_eq_u64 s[26:27], s[40:41]
	s_cbranch_scc0 .LBB1061_81
; %bb.84:                               ;   in Loop: Header=BB1061_83 Depth=1
                                        ; implicit-def: $sgpr4_sgpr5
	s_mov_b64 s[40:41], s[26:27]
	s_branch .LBB1061_82
.LBB1061_85:
	s_or_b64 exec, exec, s[36:37]
	v_cmp_gt_i64_e32 vcc, s[26:27], v[18:19]
	s_orn2_b64 s[4:5], vcc, exec
.LBB1061_86:
	s_or_b64 exec, exec, s[10:11]
	s_and_b64 s[10:11], s[4:5], exec
.LBB1061_87:
	s_or_b64 exec, exec, s[14:15]
	v_cmp_gt_u32_e32 vcc, s48, v22
	s_mov_b64 s[40:41], -1
	s_and_b64 s[4:5], vcc, s[8:9]
	s_mov_b64 s[14:15], 0
	s_mov_b64 s[36:37], 0
	s_and_saveexec_b64 s[38:39], s[4:5]
	s_cbranch_execz .LBB1061_96
; %bb.88:
	v_pk_mov_b32 v[16:17], s[16:17], s[16:17] op_sel:[0,1]
	v_mad_u64_u32 v[12:13], s[4:5], v8, s26, v[16:17]
	s_waitcnt lgkmcnt(0)
	v_mul_lo_u32 v18, v8, s27
	v_mul_lo_u32 v19, v9, s26
	v_add3_u32 v13, v19, v13, v18
	v_mad_u64_u32 v[16:17], s[4:5], v2, s26, v[16:17]
	v_mul_lo_u32 v18, v2, s27
	v_mul_lo_u32 v19, v3, s26
	v_add3_u32 v17, v19, v17, v18
	global_load_ubyte v18, v[12:13], off
	global_load_ubyte v19, v[16:17], off
	s_waitcnt vmcnt(1)
	v_cmp_ne_u16_e32 vcc, 0, v18
	s_waitcnt vmcnt(0)
	v_cmp_ne_u16_e64 s[4:5], 0, v19
	s_xor_b64 s[4:5], vcc, s[4:5]
	s_xor_b64 s[4:5], s[4:5], -1
	s_and_saveexec_b64 s[36:37], s[4:5]
	s_cbranch_execz .LBB1061_95
; %bb.89:
	s_mov_b64 s[44:45], 1
	s_mov_b64 s[40:41], 0
                                        ; implicit-def: $sgpr42_sgpr43
	s_branch .LBB1061_92
.LBB1061_90:                            ;   in Loop: Header=BB1061_92 Depth=1
	v_mov_b32_e32 v21, s45
	v_add_co_u32_e32 v18, vcc, s44, v12
	v_addc_co_u32_e32 v19, vcc, v13, v21, vcc
	v_add_co_u32_e32 v20, vcc, s44, v16
	v_addc_co_u32_e32 v21, vcc, v17, v21, vcc
	global_load_ubyte v28, v[18:19], off
	global_load_ubyte v29, v[20:21], off
	s_waitcnt vmcnt(1)
	v_cmp_ne_u16_e32 vcc, 0, v28
	s_waitcnt vmcnt(0)
	v_cmp_ne_u16_e64 s[4:5], 0, v29
	s_xor_b64 s[46:47], vcc, s[4:5]
	s_add_u32 s4, s44, 1
	s_addc_u32 s5, s45, 0
	s_andn2_b64 s[42:43], s[42:43], exec
	s_and_b64 s[46:47], s[46:47], exec
	s_or_b64 s[42:43], s[42:43], s[46:47]
.LBB1061_91:                            ;   in Loop: Header=BB1061_92 Depth=1
	s_and_b64 s[46:47], exec, s[42:43]
	s_or_b64 s[40:41], s[46:47], s[40:41]
	v_pk_mov_b32 v[18:19], s[44:45], s[44:45] op_sel:[0,1]
	s_mov_b64 s[44:45], s[4:5]
	s_andn2_b64 exec, exec, s[40:41]
	s_cbranch_execz .LBB1061_94
.LBB1061_92:                            ; =>This Inner Loop Header: Depth=1
	s_or_b64 s[42:43], s[42:43], exec
	s_cmp_eq_u64 s[26:27], s[44:45]
	s_cbranch_scc0 .LBB1061_90
; %bb.93:                               ;   in Loop: Header=BB1061_92 Depth=1
                                        ; implicit-def: $sgpr4_sgpr5
	s_mov_b64 s[44:45], s[26:27]
	s_branch .LBB1061_91
.LBB1061_94:
	s_or_b64 exec, exec, s[40:41]
	v_cmp_gt_i64_e32 vcc, s[26:27], v[18:19]
	s_orn2_b64 s[40:41], vcc, exec
.LBB1061_95:
	s_or_b64 exec, exec, s[36:37]
	s_and_b64 s[36:37], s[40:41], exec
.LBB1061_96:
	s_or_b64 exec, exec, s[38:39]
	v_cmp_gt_u32_e32 vcc, s48, v24
	s_and_b64 s[4:5], vcc, s[8:9]
	s_and_saveexec_b64 s[38:39], s[4:5]
	s_cbranch_execz .LBB1061_105
; %bb.97:
	v_pk_mov_b32 v[16:17], s[16:17], s[16:17] op_sel:[0,1]
	v_mad_u64_u32 v[12:13], s[4:5], v6, s26, v[16:17]
	s_waitcnt lgkmcnt(0)
	v_mul_lo_u32 v18, v6, s27
	v_mul_lo_u32 v19, v7, s26
	v_add3_u32 v13, v19, v13, v18
	v_mad_u64_u32 v[16:17], s[4:5], v8, s26, v[16:17]
	v_mul_lo_u32 v18, v8, s27
	v_mul_lo_u32 v19, v9, s26
	v_add3_u32 v17, v19, v17, v18
	global_load_ubyte v18, v[12:13], off
	global_load_ubyte v19, v[16:17], off
	s_waitcnt vmcnt(1)
	v_cmp_ne_u16_e32 vcc, 0, v18
	s_waitcnt vmcnt(0)
	v_cmp_ne_u16_e64 s[4:5], 0, v19
	s_xor_b64 s[14:15], vcc, s[4:5]
	s_mov_b64 s[4:5], -1
	s_xor_b64 s[40:41], s[14:15], -1
	s_and_saveexec_b64 s[14:15], s[40:41]
	s_cbranch_execz .LBB1061_104
; %bb.98:
	s_mov_b64 s[44:45], 1
	s_mov_b64 s[40:41], 0
                                        ; implicit-def: $sgpr42_sgpr43
	s_branch .LBB1061_101
.LBB1061_99:                            ;   in Loop: Header=BB1061_101 Depth=1
	v_mov_b32_e32 v21, s45
	v_add_co_u32_e32 v18, vcc, s44, v12
	v_addc_co_u32_e32 v19, vcc, v13, v21, vcc
	v_add_co_u32_e32 v20, vcc, s44, v16
	v_addc_co_u32_e32 v21, vcc, v17, v21, vcc
	global_load_ubyte v28, v[18:19], off
	global_load_ubyte v29, v[20:21], off
	s_waitcnt vmcnt(1)
	v_cmp_ne_u16_e32 vcc, 0, v28
	s_waitcnt vmcnt(0)
	v_cmp_ne_u16_e64 s[4:5], 0, v29
	s_xor_b64 s[46:47], vcc, s[4:5]
	s_add_u32 s4, s44, 1
	s_addc_u32 s5, s45, 0
	s_andn2_b64 s[42:43], s[42:43], exec
	s_and_b64 s[46:47], s[46:47], exec
	s_or_b64 s[42:43], s[42:43], s[46:47]
.LBB1061_100:                           ;   in Loop: Header=BB1061_101 Depth=1
	s_and_b64 s[46:47], exec, s[42:43]
	s_or_b64 s[40:41], s[46:47], s[40:41]
	v_pk_mov_b32 v[18:19], s[44:45], s[44:45] op_sel:[0,1]
	s_mov_b64 s[44:45], s[4:5]
	s_andn2_b64 exec, exec, s[40:41]
	s_cbranch_execz .LBB1061_103
.LBB1061_101:                           ; =>This Inner Loop Header: Depth=1
	s_or_b64 s[42:43], s[42:43], exec
	s_cmp_eq_u64 s[26:27], s[44:45]
	s_cbranch_scc0 .LBB1061_99
; %bb.102:                              ;   in Loop: Header=BB1061_101 Depth=1
                                        ; implicit-def: $sgpr4_sgpr5
	s_mov_b64 s[44:45], s[26:27]
	s_branch .LBB1061_100
.LBB1061_103:
	s_or_b64 exec, exec, s[40:41]
	v_cmp_gt_i64_e32 vcc, s[26:27], v[18:19]
	s_orn2_b64 s[4:5], vcc, exec
.LBB1061_104:
	s_or_b64 exec, exec, s[14:15]
	s_and_b64 s[14:15], s[4:5], exec
.LBB1061_105:
	s_or_b64 exec, exec, s[38:39]
	s_waitcnt lgkmcnt(0)
	s_barrier
	s_and_saveexec_b64 s[4:5], s[2:3]
	s_cbranch_execz .LBB1061_107
; %bb.106:
	v_add_u32_e32 v12, -8, v27
	s_waitcnt vmcnt(0)
	ds_read_b64 v[14:15], v12
.LBB1061_107:
	s_or_b64 exec, exec, s[4:5]
	v_cndmask_b32_e64 v13, 0, 1, s[10:11]
	v_cndmask_b32_e64 v12, 0, 1, s[36:37]
	;; [unrolled: 1-line block ×3, first 2 shown]
	v_cmp_gt_u32_e32 vcc, s48, v1
	v_lshlrev_b16_e32 v13, 8, v13
	s_mov_b64 s[14:15], -1
	s_and_b64 s[4:5], vcc, s[8:9]
	v_lshlrev_b16_e32 v18, 8, v16
	v_or_b32_sdwa v19, v12, v13 dst_sel:WORD_1 dst_unused:UNUSED_PAD src0_sel:DWORD src1_sel:DWORD
	s_mov_b64 s[8:9], 0
	s_and_saveexec_b64 s[10:11], s[4:5]
	s_cbranch_execz .LBB1061_116
; %bb.108:
	v_pk_mov_b32 v[16:17], s[16:17], s[16:17] op_sel:[0,1]
	s_waitcnt vmcnt(0) lgkmcnt(0)
	v_mad_u64_u32 v[12:13], s[4:5], v14, s26, v[16:17]
	v_mul_lo_u32 v14, v14, s27
	v_mul_lo_u32 v15, v15, s26
	v_add3_u32 v13, v15, v13, v14
	v_mad_u64_u32 v[14:15], s[4:5], v6, s26, v[16:17]
	v_mul_lo_u32 v16, v6, s27
	v_mul_lo_u32 v17, v7, s26
	v_add3_u32 v15, v17, v15, v16
	global_load_ubyte v16, v[12:13], off
	global_load_ubyte v17, v[14:15], off
	s_waitcnt vmcnt(1)
	v_cmp_ne_u16_e32 vcc, 0, v16
	s_waitcnt vmcnt(0)
	v_cmp_ne_u16_e64 s[4:5], 0, v17
	s_xor_b64 s[4:5], vcc, s[4:5]
	s_xor_b64 s[4:5], s[4:5], -1
	s_and_saveexec_b64 s[8:9], s[4:5]
	s_cbranch_execz .LBB1061_115
; %bb.109:
	s_mov_b64 s[38:39], 1
	s_mov_b64 s[14:15], 0
                                        ; implicit-def: $sgpr36_sgpr37
	s_branch .LBB1061_112
.LBB1061_110:                           ;   in Loop: Header=BB1061_112 Depth=1
	v_mov_b32_e32 v21, s39
	v_add_co_u32_e32 v16, vcc, s38, v12
	v_addc_co_u32_e32 v17, vcc, v13, v21, vcc
	v_add_co_u32_e32 v20, vcc, s38, v14
	v_addc_co_u32_e32 v21, vcc, v15, v21, vcc
	global_load_ubyte v27, v[16:17], off
	global_load_ubyte v28, v[20:21], off
	s_waitcnt vmcnt(1)
	v_cmp_ne_u16_e32 vcc, 0, v27
	s_waitcnt vmcnt(0)
	v_cmp_ne_u16_e64 s[4:5], 0, v28
	s_xor_b64 s[40:41], vcc, s[4:5]
	s_add_u32 s4, s38, 1
	s_addc_u32 s5, s39, 0
	s_andn2_b64 s[36:37], s[36:37], exec
	s_and_b64 s[40:41], s[40:41], exec
	s_or_b64 s[36:37], s[36:37], s[40:41]
.LBB1061_111:                           ;   in Loop: Header=BB1061_112 Depth=1
	s_and_b64 s[40:41], exec, s[36:37]
	s_or_b64 s[14:15], s[40:41], s[14:15]
	v_pk_mov_b32 v[16:17], s[38:39], s[38:39] op_sel:[0,1]
	s_mov_b64 s[38:39], s[4:5]
	s_andn2_b64 exec, exec, s[14:15]
	s_cbranch_execz .LBB1061_114
.LBB1061_112:                           ; =>This Inner Loop Header: Depth=1
	s_or_b64 s[36:37], s[36:37], exec
	s_cmp_eq_u64 s[26:27], s[38:39]
	s_cbranch_scc0 .LBB1061_110
; %bb.113:                              ;   in Loop: Header=BB1061_112 Depth=1
                                        ; implicit-def: $sgpr4_sgpr5
	s_mov_b64 s[38:39], s[26:27]
	s_branch .LBB1061_111
.LBB1061_114:
	s_or_b64 exec, exec, s[14:15]
	v_cmp_gt_i64_e32 vcc, s[26:27], v[16:17]
	s_orn2_b64 s[14:15], vcc, exec
.LBB1061_115:
	s_or_b64 exec, exec, s[8:9]
	s_and_b64 s[8:9], s[14:15], exec
.LBB1061_116:
	s_or_b64 exec, exec, s[10:11]
	v_cndmask_b32_e64 v13, 0, 1, s[6:7]
	v_or_b32_e32 v16, v18, v19
.LBB1061_117:
	s_mov_b64 s[14:15], -1
	s_cbranch_execnz .LBB1061_215
.LBB1061_118:
	v_lshlrev_b32_e32 v12, 5, v0
	v_sub_u32_e32 v20, v26, v12
	v_cmp_lt_i64_e64 s[10:11], s[26:27], 1
	s_mov_b64 s[6:7], 0
	v_cmp_gt_i64_e64 s[8:9], s[26:27], 0
	s_and_b64 vcc, exec, s[30:31]
	ds_write_b64 v20, v[10:11]
	s_cbranch_vccz .LBB1061_126
; %bb.119:
	v_cndmask_b32_e64 v12, 0, 1, s[8:9]
	v_cmp_ne_u32_e64 s[4:5], 1, v12
	s_andn2_b64 vcc, exec, s[8:9]
	s_cbranch_vccnz .LBB1061_127
; %bb.120:
	s_waitcnt vmcnt(0) lgkmcnt(1)
	v_pk_mov_b32 v[14:15], s[16:17], s[16:17] op_sel:[0,1]
	v_mad_u64_u32 v[12:13], s[6:7], v4, s26, v[14:15]
	v_mul_lo_u32 v16, v4, s27
	v_mul_lo_u32 v17, v5, s26
	v_add3_u32 v13, v17, v13, v16
	v_mad_u64_u32 v[14:15], s[6:7], v10, s26, v[14:15]
	v_mul_lo_u32 v16, v10, s27
	v_mul_lo_u32 v17, v11, s26
	v_add3_u32 v15, v17, v15, v16
	global_load_ubyte v16, v[12:13], off
	global_load_ubyte v17, v[14:15], off
	s_mov_b64 s[8:9], -1
	s_waitcnt vmcnt(1)
	v_cmp_ne_u16_e32 vcc, 0, v16
	s_waitcnt vmcnt(0)
	v_cmp_ne_u16_e64 s[6:7], 0, v17
	s_xor_b64 s[6:7], vcc, s[6:7]
	s_xor_b64 s[6:7], s[6:7], -1
	s_and_saveexec_b64 s[36:37], s[6:7]
	s_cbranch_execz .LBB1061_129
; %bb.121:
	s_mov_b64 s[42:43], 1
	s_mov_b64 s[38:39], 0
                                        ; implicit-def: $sgpr40_sgpr41
	s_branch .LBB1061_124
.LBB1061_122:                           ;   in Loop: Header=BB1061_124 Depth=1
	v_mov_b32_e32 v19, s43
	v_add_co_u32_e64 v16, s[6:7], s42, v12
	v_addc_co_u32_e64 v17, s[6:7], v13, v19, s[6:7]
	v_add_co_u32_e64 v18, s[6:7], s42, v14
	v_addc_co_u32_e64 v19, s[6:7], v15, v19, s[6:7]
	global_load_ubyte v21, v[16:17], off
	global_load_ubyte v26, v[18:19], off
	s_waitcnt vmcnt(1)
	v_cmp_ne_u16_e64 s[6:7], 0, v21
	s_waitcnt vmcnt(0)
	v_cmp_ne_u16_e64 s[8:9], 0, v26
	s_xor_b64 s[8:9], s[6:7], s[8:9]
	s_add_u32 s6, s42, 1
	s_addc_u32 s7, s43, 0
	s_andn2_b64 s[40:41], s[40:41], exec
	s_and_b64 s[8:9], s[8:9], exec
	s_or_b64 s[40:41], s[40:41], s[8:9]
.LBB1061_123:                           ;   in Loop: Header=BB1061_124 Depth=1
	s_and_b64 s[8:9], exec, s[40:41]
	s_or_b64 s[38:39], s[8:9], s[38:39]
	v_pk_mov_b32 v[16:17], s[42:43], s[42:43] op_sel:[0,1]
	s_mov_b64 s[42:43], s[6:7]
	s_andn2_b64 exec, exec, s[38:39]
	s_cbranch_execz .LBB1061_128
.LBB1061_124:                           ; =>This Inner Loop Header: Depth=1
	s_or_b64 s[40:41], s[40:41], exec
	s_cmp_eq_u64 s[26:27], s[42:43]
	s_cbranch_scc0 .LBB1061_122
; %bb.125:                              ;   in Loop: Header=BB1061_124 Depth=1
                                        ; implicit-def: $sgpr6_sgpr7
	s_mov_b64 s[42:43], s[26:27]
	s_branch .LBB1061_123
.LBB1061_126:
                                        ; implicit-def: $sgpr8_sgpr9
                                        ; implicit-def: $vgpr13
                                        ; implicit-def: $vgpr16
	s_cbranch_execnz .LBB1061_167
	s_branch .LBB1061_215
.LBB1061_127:
	v_mov_b32_e32 v21, 0
	s_branch .LBB1061_137
.LBB1061_128:
	s_or_b64 exec, exec, s[38:39]
	v_cmp_gt_i64_e64 s[6:7], s[26:27], v[16:17]
	s_orn2_b64 s[8:9], s[6:7], exec
.LBB1061_129:
	s_or_b64 exec, exec, s[36:37]
	v_pk_mov_b32 v[14:15], s[16:17], s[16:17] op_sel:[0,1]
	v_mad_u64_u32 v[14:15], s[6:7], v2, s26, v[14:15]
	v_mul_lo_u32 v16, v2, s27
	v_mul_lo_u32 v17, v3, s26
	v_add3_u32 v15, v17, v15, v16
	global_load_ubyte v16, v[14:15], off
	s_waitcnt vmcnt(0)
	v_cmp_ne_u16_e64 s[6:7], 0, v16
	s_xor_b64 s[36:37], vcc, s[6:7]
	s_mov_b64 s[6:7], -1
	s_xor_b64 s[38:39], s[36:37], -1
	s_and_saveexec_b64 s[36:37], s[38:39]
	s_cbranch_execz .LBB1061_136
; %bb.130:
	s_mov_b64 s[42:43], 1
	s_mov_b64 s[38:39], 0
                                        ; implicit-def: $sgpr40_sgpr41
	s_branch .LBB1061_133
.LBB1061_131:                           ;   in Loop: Header=BB1061_133 Depth=1
	v_mov_b32_e32 v19, s43
	v_add_co_u32_e32 v16, vcc, s42, v14
	v_addc_co_u32_e32 v17, vcc, v15, v19, vcc
	v_add_co_u32_e32 v18, vcc, s42, v12
	v_addc_co_u32_e32 v19, vcc, v13, v19, vcc
	global_load_ubyte v21, v[16:17], off
	global_load_ubyte v26, v[18:19], off
	s_waitcnt vmcnt(1)
	v_cmp_ne_u16_e32 vcc, 0, v21
	s_waitcnt vmcnt(0)
	v_cmp_ne_u16_e64 s[6:7], 0, v26
	s_xor_b64 s[44:45], vcc, s[6:7]
	s_add_u32 s6, s42, 1
	s_addc_u32 s7, s43, 0
	s_andn2_b64 s[40:41], s[40:41], exec
	s_and_b64 s[44:45], s[44:45], exec
	s_or_b64 s[40:41], s[40:41], s[44:45]
.LBB1061_132:                           ;   in Loop: Header=BB1061_133 Depth=1
	s_and_b64 s[44:45], exec, s[40:41]
	s_or_b64 s[38:39], s[44:45], s[38:39]
	v_pk_mov_b32 v[16:17], s[42:43], s[42:43] op_sel:[0,1]
	s_mov_b64 s[42:43], s[6:7]
	s_andn2_b64 exec, exec, s[38:39]
	s_cbranch_execz .LBB1061_135
.LBB1061_133:                           ; =>This Inner Loop Header: Depth=1
	s_or_b64 s[40:41], s[40:41], exec
	s_cmp_eq_u64 s[26:27], s[42:43]
	s_cbranch_scc0 .LBB1061_131
; %bb.134:                              ;   in Loop: Header=BB1061_133 Depth=1
                                        ; implicit-def: $sgpr6_sgpr7
	s_mov_b64 s[42:43], s[26:27]
	s_branch .LBB1061_132
.LBB1061_135:
	s_or_b64 exec, exec, s[38:39]
	v_cmp_gt_i64_e32 vcc, s[26:27], v[16:17]
	s_orn2_b64 s[6:7], vcc, exec
.LBB1061_136:
	s_or_b64 exec, exec, s[36:37]
	v_cndmask_b32_e64 v21, 0, 1, s[8:9]
.LBB1061_137:
	v_lshlrev_b16_e32 v12, 8, v0
	v_cndmask_b32_e64 v13, 0, 1, s[6:7]
	s_waitcnt vmcnt(0) lgkmcnt(1)
	v_mov_b32_e32 v14, 8
	v_lshrrev_b32_sdwa v12, v14, v12 dst_sel:BYTE_1 dst_unused:UNUSED_PAD src0_sel:DWORD src1_sel:DWORD
	v_lshlrev_b16_e32 v13, 8, v13
	v_or_b32_sdwa v12, v0, v12 dst_sel:DWORD dst_unused:UNUSED_PAD src0_sel:BYTE_0 src1_sel:DWORD
	v_or_b32_sdwa v13, v0, v13 dst_sel:WORD_1 dst_unused:UNUSED_PAD src0_sel:BYTE_0 src1_sel:DWORD
	s_and_b64 vcc, exec, s[4:5]
	v_or_b32_sdwa v26, v12, v13 dst_sel:DWORD dst_unused:UNUSED_PAD src0_sel:WORD_0 src1_sel:DWORD
	s_cbranch_vccnz .LBB1061_144
; %bb.138:
	v_pk_mov_b32 v[14:15], s[16:17], s[16:17] op_sel:[0,1]
	v_mad_u64_u32 v[12:13], s[6:7], v8, s26, v[14:15]
	v_mul_lo_u32 v16, v8, s27
	v_mul_lo_u32 v17, v9, s26
	v_add3_u32 v13, v17, v13, v16
	v_mad_u64_u32 v[14:15], s[6:7], v2, s26, v[14:15]
	v_mul_lo_u32 v16, v2, s27
	v_mul_lo_u32 v17, v3, s26
	v_add3_u32 v15, v17, v15, v16
	global_load_ubyte v16, v[12:13], off
	global_load_ubyte v17, v[14:15], off
	s_waitcnt vmcnt(1)
	v_cmp_ne_u16_e32 vcc, 0, v16
	s_waitcnt vmcnt(0)
	v_cmp_ne_u16_e64 s[6:7], 0, v17
	s_xor_b64 s[8:9], vcc, s[6:7]
	s_mov_b64 s[6:7], -1
	s_xor_b64 s[8:9], s[8:9], -1
	s_and_saveexec_b64 s[36:37], s[8:9]
	s_cbranch_execz .LBB1061_146
; %bb.139:
	s_mov_b64 s[42:43], 1
	s_mov_b64 s[38:39], 0
                                        ; implicit-def: $sgpr40_sgpr41
	s_branch .LBB1061_142
.LBB1061_140:                           ;   in Loop: Header=BB1061_142 Depth=1
	v_mov_b32_e32 v19, s43
	v_add_co_u32_e64 v16, s[6:7], s42, v12
	v_addc_co_u32_e64 v17, s[6:7], v13, v19, s[6:7]
	v_add_co_u32_e64 v18, s[6:7], s42, v14
	v_addc_co_u32_e64 v19, s[6:7], v15, v19, s[6:7]
	global_load_ubyte v27, v[16:17], off
	global_load_ubyte v28, v[18:19], off
	s_waitcnt vmcnt(1)
	v_cmp_ne_u16_e64 s[6:7], 0, v27
	s_waitcnt vmcnt(0)
	v_cmp_ne_u16_e64 s[8:9], 0, v28
	s_xor_b64 s[8:9], s[6:7], s[8:9]
	s_add_u32 s6, s42, 1
	s_addc_u32 s7, s43, 0
	s_andn2_b64 s[40:41], s[40:41], exec
	s_and_b64 s[8:9], s[8:9], exec
	s_or_b64 s[40:41], s[40:41], s[8:9]
.LBB1061_141:                           ;   in Loop: Header=BB1061_142 Depth=1
	s_and_b64 s[8:9], exec, s[40:41]
	s_or_b64 s[38:39], s[8:9], s[38:39]
	v_pk_mov_b32 v[16:17], s[42:43], s[42:43] op_sel:[0,1]
	s_mov_b64 s[42:43], s[6:7]
	s_andn2_b64 exec, exec, s[38:39]
	s_cbranch_execz .LBB1061_145
.LBB1061_142:                           ; =>This Inner Loop Header: Depth=1
	s_or_b64 s[40:41], s[40:41], exec
	s_cmp_eq_u64 s[26:27], s[42:43]
	s_cbranch_scc0 .LBB1061_140
; %bb.143:                              ;   in Loop: Header=BB1061_142 Depth=1
                                        ; implicit-def: $sgpr6_sgpr7
	s_mov_b64 s[42:43], s[26:27]
	s_branch .LBB1061_141
.LBB1061_144:
                                        ; implicit-def: $sgpr6_sgpr7
                                        ; implicit-def: $vgpr14_vgpr15
	s_cbranch_execnz .LBB1061_154
	s_branch .LBB1061_155
.LBB1061_145:
	s_or_b64 exec, exec, s[38:39]
	v_cmp_gt_i64_e64 s[6:7], s[26:27], v[16:17]
	s_orn2_b64 s[6:7], s[6:7], exec
.LBB1061_146:
	s_or_b64 exec, exec, s[36:37]
	v_pk_mov_b32 v[14:15], s[16:17], s[16:17] op_sel:[0,1]
	v_mad_u64_u32 v[16:17], s[8:9], v6, s26, v[14:15]
	v_mul_lo_u32 v14, v6, s27
	v_mul_lo_u32 v15, v7, s26
	v_add3_u32 v17, v15, v17, v14
	global_load_ubyte v18, v[16:17], off
	v_cndmask_b32_e64 v14, 0, 1, s[6:7]
	s_movk_i32 s6, 0xff
	v_mov_b32_e32 v15, 8
	v_lshrrev_b32_e32 v19, 24, v26
	v_lshrrev_b32_sdwa v27, v15, v26 dst_sel:BYTE_1 dst_unused:UNUSED_PAD src0_sel:DWORD src1_sel:DWORD
	v_lshlrev_b16_e32 v19, 8, v19
	v_and_b32_sdwa v15, v21, s6 dst_sel:DWORD dst_unused:UNUSED_PAD src0_sel:WORD_0 src1_sel:DWORD
	v_or_b32_sdwa v27, v26, v27 dst_sel:DWORD dst_unused:UNUSED_PAD src0_sel:BYTE_0 src1_sel:DWORD
	v_or_b32_sdwa v14, v14, v19 dst_sel:WORD_1 dst_unused:UNUSED_PAD src0_sel:DWORD src1_sel:DWORD
	v_or_b32_sdwa v14, v27, v14 dst_sel:DWORD dst_unused:UNUSED_PAD src0_sel:WORD_0 src1_sel:DWORD
	s_waitcnt vmcnt(0)
	v_cmp_ne_u16_e64 s[6:7], 0, v18
	s_xor_b64 s[8:9], vcc, s[6:7]
	s_mov_b64 s[6:7], -1
	s_xor_b64 s[36:37], s[8:9], -1
	s_and_saveexec_b64 s[8:9], s[36:37]
	s_cbranch_execz .LBB1061_153
; %bb.147:
	s_mov_b64 s[40:41], 1
	s_mov_b64 s[36:37], 0
                                        ; implicit-def: $sgpr38_sgpr39
	s_branch .LBB1061_150
.LBB1061_148:                           ;   in Loop: Header=BB1061_150 Depth=1
	v_mov_b32_e32 v27, s41
	v_add_co_u32_e32 v18, vcc, s40, v16
	v_addc_co_u32_e32 v19, vcc, v17, v27, vcc
	v_add_co_u32_e32 v28, vcc, s40, v12
	v_addc_co_u32_e32 v29, vcc, v13, v27, vcc
	global_load_ubyte v27, v[18:19], off
	global_load_ubyte v30, v[28:29], off
	s_waitcnt vmcnt(1)
	v_cmp_ne_u16_e32 vcc, 0, v27
	s_waitcnt vmcnt(0)
	v_cmp_ne_u16_e64 s[6:7], 0, v30
	s_xor_b64 s[42:43], vcc, s[6:7]
	s_add_u32 s6, s40, 1
	s_addc_u32 s7, s41, 0
	s_andn2_b64 s[38:39], s[38:39], exec
	s_and_b64 s[42:43], s[42:43], exec
	s_or_b64 s[38:39], s[38:39], s[42:43]
.LBB1061_149:                           ;   in Loop: Header=BB1061_150 Depth=1
	s_and_b64 s[42:43], exec, s[38:39]
	s_or_b64 s[36:37], s[42:43], s[36:37]
	v_pk_mov_b32 v[18:19], s[40:41], s[40:41] op_sel:[0,1]
	s_mov_b64 s[40:41], s[6:7]
	s_andn2_b64 exec, exec, s[36:37]
	s_cbranch_execz .LBB1061_152
.LBB1061_150:                           ; =>This Inner Loop Header: Depth=1
	s_or_b64 s[38:39], s[38:39], exec
	s_cmp_eq_u64 s[26:27], s[40:41]
	s_cbranch_scc0 .LBB1061_148
; %bb.151:                              ;   in Loop: Header=BB1061_150 Depth=1
                                        ; implicit-def: $sgpr6_sgpr7
	s_mov_b64 s[40:41], s[26:27]
	s_branch .LBB1061_149
.LBB1061_152:
	s_or_b64 exec, exec, s[36:37]
	v_cmp_gt_i64_e32 vcc, s[26:27], v[18:19]
	s_orn2_b64 s[6:7], vcc, exec
.LBB1061_153:
	s_or_b64 exec, exec, s[8:9]
	s_branch .LBB1061_155
.LBB1061_154:
	v_mov_b32_e32 v12, 8
	v_lshrrev_b32_sdwa v12, v12, v26 dst_sel:BYTE_1 dst_unused:UNUSED_PAD src0_sel:DWORD src1_sel:DWORD
	v_or_b32_sdwa v12, v26, v12 dst_sel:DWORD dst_unused:UNUSED_PAD src0_sel:BYTE_0 src1_sel:DWORD
	s_movk_i32 s8, 0xff
	v_and_b32_e32 v12, 0xffff, v12
	s_mov_b32 s9, 0xff000000
	v_and_or_b32 v14, v26, s9, v12
	v_and_b32_sdwa v15, v21, s8 dst_sel:DWORD dst_unused:UNUSED_PAD src0_sel:WORD_0 src1_sel:DWORD
	s_andn2_b64 s[6:7], s[6:7], exec
.LBB1061_155:
	v_cndmask_b32_e64 v12, 0, 1, s[6:7]
	v_lshrrev_b32_e32 v13, 24, v14
	s_movk_i32 s6, 0xff
	v_lshlrev_b16_e32 v13, 8, v13
	v_and_b32_sdwa v14, v14, s6 dst_sel:DWORD dst_unused:UNUSED_PAD src0_sel:WORD_1 src1_sel:DWORD
	v_lshlrev_b16_e32 v12, 8, v12
	v_or_b32_sdwa v13, v14, v13 dst_sel:WORD_1 dst_unused:UNUSED_PAD src0_sel:DWORD src1_sel:DWORD
	v_or_b32_e32 v12, 1, v12
	v_or_b32_sdwa v12, v12, v13 dst_sel:DWORD dst_unused:UNUSED_PAD src0_sel:WORD_0 src1_sel:DWORD
	v_and_b32_e32 v13, 0xff, v15
	s_waitcnt lgkmcnt(0)
	s_barrier
	s_waitcnt lgkmcnt(0)
                                        ; implicit-def: $sgpr8_sgpr9
                                        ; implicit-def: $vgpr16
	s_and_saveexec_b64 s[6:7], s[2:3]
	s_xor_b64 s[6:7], exec, s[6:7]
	s_cbranch_execz .LBB1061_166
; %bb.156:
	s_mov_b32 s42, 0x3020104
	s_and_b64 vcc, exec, s[4:5]
	s_mov_b64 s[4:5], 0
	s_cbranch_vccnz .LBB1061_165
; %bb.157:
	v_add_u32_e32 v14, -8, v20
	ds_read_b64 v[14:15], v14
	v_pk_mov_b32 v[16:17], s[16:17], s[16:17] op_sel:[0,1]
	s_waitcnt lgkmcnt(0)
	v_mul_lo_u32 v18, v14, s27
	v_mul_lo_u32 v19, v15, s26
	v_mad_u64_u32 v[14:15], s[4:5], v14, s26, v[16:17]
	v_add3_u32 v15, v19, v15, v18
	v_mad_u64_u32 v[16:17], s[4:5], v6, s26, v[16:17]
	v_mul_lo_u32 v18, v6, s27
	v_mul_lo_u32 v19, v7, s26
	v_add3_u32 v17, v19, v17, v18
	global_load_ubyte v18, v[14:15], off
	global_load_ubyte v19, v[16:17], off
	s_waitcnt vmcnt(1)
	v_cmp_ne_u16_e32 vcc, 0, v18
	s_waitcnt vmcnt(0)
	v_cmp_ne_u16_e64 s[4:5], 0, v19
	s_xor_b64 s[8:9], vcc, s[4:5]
	s_mov_b64 s[4:5], -1
	s_xor_b64 s[36:37], s[8:9], -1
	s_and_saveexec_b64 s[8:9], s[36:37]
	s_cbranch_execz .LBB1061_164
; %bb.158:
	s_mov_b64 s[40:41], 1
	s_mov_b64 s[36:37], 0
                                        ; implicit-def: $sgpr38_sgpr39
	s_branch .LBB1061_161
.LBB1061_159:                           ;   in Loop: Header=BB1061_161 Depth=1
	v_mov_b32_e32 v21, s41
	v_add_co_u32_e32 v18, vcc, s40, v14
	v_addc_co_u32_e32 v19, vcc, v15, v21, vcc
	v_add_co_u32_e32 v26, vcc, s40, v16
	v_addc_co_u32_e32 v27, vcc, v17, v21, vcc
	global_load_ubyte v21, v[18:19], off
	global_load_ubyte v28, v[26:27], off
	s_waitcnt vmcnt(1)
	v_cmp_ne_u16_e32 vcc, 0, v21
	s_waitcnt vmcnt(0)
	v_cmp_ne_u16_e64 s[4:5], 0, v28
	s_xor_b64 s[44:45], vcc, s[4:5]
	s_add_u32 s4, s40, 1
	s_addc_u32 s5, s41, 0
	s_andn2_b64 s[38:39], s[38:39], exec
	s_and_b64 s[44:45], s[44:45], exec
	s_or_b64 s[38:39], s[38:39], s[44:45]
.LBB1061_160:                           ;   in Loop: Header=BB1061_161 Depth=1
	s_and_b64 s[44:45], exec, s[38:39]
	s_or_b64 s[36:37], s[44:45], s[36:37]
	v_pk_mov_b32 v[18:19], s[40:41], s[40:41] op_sel:[0,1]
	s_mov_b64 s[40:41], s[4:5]
	s_andn2_b64 exec, exec, s[36:37]
	s_cbranch_execz .LBB1061_163
.LBB1061_161:                           ; =>This Inner Loop Header: Depth=1
	s_or_b64 s[38:39], s[38:39], exec
	s_cmp_eq_u64 s[26:27], s[40:41]
	s_cbranch_scc0 .LBB1061_159
; %bb.162:                              ;   in Loop: Header=BB1061_161 Depth=1
                                        ; implicit-def: $sgpr4_sgpr5
	s_mov_b64 s[40:41], s[26:27]
	s_branch .LBB1061_160
.LBB1061_163:
	s_or_b64 exec, exec, s[36:37]
	v_cmp_gt_i64_e32 vcc, s[26:27], v[18:19]
	s_orn2_b64 s[4:5], vcc, exec
.LBB1061_164:
	s_or_b64 exec, exec, s[8:9]
.LBB1061_165:
	v_perm_b32 v16, v12, v12, s42
	s_and_b64 s[8:9], s[4:5], exec
	s_or_b64 s[14:15], s[14:15], exec
.LBB1061_166:
	s_or_b64 exec, exec, s[6:7]
	s_branch .LBB1061_215
.LBB1061_167:
	v_cmp_gt_u32_e32 vcc, s48, v23
	s_xor_b64 s[6:7], s[10:11], -1
	s_mov_b64 s[38:39], -1
	s_and_b64 s[4:5], vcc, s[6:7]
	s_mov_b64 s[10:11], 0
	v_mul_lo_u32 v21, v4, s27
	v_mul_lo_u32 v26, v5, s26
	s_mov_b64 s[8:9], 0
	s_and_saveexec_b64 s[36:37], s[4:5]
	s_cbranch_execz .LBB1061_176
; %bb.168:
	s_waitcnt vmcnt(0) lgkmcnt(1)
	v_pk_mov_b32 v[14:15], s[16:17], s[16:17] op_sel:[0,1]
	v_mad_u64_u32 v[12:13], s[4:5], v4, s26, v[14:15]
	v_add3_u32 v13, v26, v13, v21
	v_mad_u64_u32 v[14:15], s[4:5], v10, s26, v[14:15]
	v_mul_lo_u32 v16, v10, s27
	v_mul_lo_u32 v17, v11, s26
	v_add3_u32 v15, v17, v15, v16
	global_load_ubyte v16, v[12:13], off
	global_load_ubyte v17, v[14:15], off
	s_waitcnt vmcnt(1)
	v_cmp_ne_u16_e32 vcc, 0, v16
	s_waitcnt vmcnt(0)
	v_cmp_ne_u16_e64 s[4:5], 0, v17
	s_xor_b64 s[4:5], vcc, s[4:5]
	s_xor_b64 s[4:5], s[4:5], -1
	s_and_saveexec_b64 s[8:9], s[4:5]
	s_cbranch_execz .LBB1061_175
; %bb.169:
	s_mov_b64 s[42:43], 1
	s_mov_b64 s[38:39], 0
                                        ; implicit-def: $sgpr40_sgpr41
	s_branch .LBB1061_172
.LBB1061_170:                           ;   in Loop: Header=BB1061_172 Depth=1
	v_mov_b32_e32 v19, s43
	v_add_co_u32_e32 v16, vcc, s42, v12
	v_addc_co_u32_e32 v17, vcc, v13, v19, vcc
	v_add_co_u32_e32 v18, vcc, s42, v14
	v_addc_co_u32_e32 v19, vcc, v15, v19, vcc
	global_load_ubyte v27, v[16:17], off
	global_load_ubyte v28, v[18:19], off
	s_waitcnt vmcnt(1)
	v_cmp_ne_u16_e32 vcc, 0, v27
	s_waitcnt vmcnt(0)
	v_cmp_ne_u16_e64 s[4:5], 0, v28
	s_xor_b64 s[44:45], vcc, s[4:5]
	s_add_u32 s4, s42, 1
	s_addc_u32 s5, s43, 0
	s_andn2_b64 s[40:41], s[40:41], exec
	s_and_b64 s[44:45], s[44:45], exec
	s_or_b64 s[40:41], s[40:41], s[44:45]
.LBB1061_171:                           ;   in Loop: Header=BB1061_172 Depth=1
	s_and_b64 s[44:45], exec, s[40:41]
	s_or_b64 s[38:39], s[44:45], s[38:39]
	v_pk_mov_b32 v[16:17], s[42:43], s[42:43] op_sel:[0,1]
	s_mov_b64 s[42:43], s[4:5]
	s_andn2_b64 exec, exec, s[38:39]
	s_cbranch_execz .LBB1061_174
.LBB1061_172:                           ; =>This Inner Loop Header: Depth=1
	s_or_b64 s[40:41], s[40:41], exec
	s_cmp_eq_u64 s[26:27], s[42:43]
	s_cbranch_scc0 .LBB1061_170
; %bb.173:                              ;   in Loop: Header=BB1061_172 Depth=1
                                        ; implicit-def: $sgpr4_sgpr5
	s_mov_b64 s[42:43], s[26:27]
	s_branch .LBB1061_171
.LBB1061_174:
	s_or_b64 exec, exec, s[38:39]
	v_cmp_gt_i64_e32 vcc, s[26:27], v[16:17]
	s_orn2_b64 s[38:39], vcc, exec
.LBB1061_175:
	s_or_b64 exec, exec, s[8:9]
	s_and_b64 s[8:9], s[38:39], exec
.LBB1061_176:
	s_or_b64 exec, exec, s[36:37]
	v_cmp_gt_u32_e32 vcc, s48, v25
	s_and_b64 s[4:5], vcc, s[6:7]
	s_waitcnt lgkmcnt(1)
	v_mul_lo_u32 v18, v2, s27
	v_mul_lo_u32 v19, v3, s26
	s_and_saveexec_b64 s[36:37], s[4:5]
	s_cbranch_execz .LBB1061_185
; %bb.177:
	s_waitcnt vmcnt(0)
	v_pk_mov_b32 v[14:15], s[16:17], s[16:17] op_sel:[0,1]
	v_mad_u64_u32 v[12:13], s[4:5], v2, s26, v[14:15]
	v_add3_u32 v13, v19, v13, v18
	v_mad_u64_u32 v[14:15], s[4:5], v4, s26, v[14:15]
	v_add3_u32 v15, v26, v15, v21
	global_load_ubyte v16, v[12:13], off
	global_load_ubyte v17, v[14:15], off
	s_waitcnt vmcnt(1)
	v_cmp_ne_u16_e32 vcc, 0, v16
	s_waitcnt vmcnt(0)
	v_cmp_ne_u16_e64 s[4:5], 0, v17
	s_xor_b64 s[10:11], vcc, s[4:5]
	s_mov_b64 s[4:5], -1
	s_xor_b64 s[38:39], s[10:11], -1
	s_and_saveexec_b64 s[10:11], s[38:39]
	s_cbranch_execz .LBB1061_184
; %bb.178:
	s_mov_b64 s[42:43], 1
	s_mov_b64 s[38:39], 0
                                        ; implicit-def: $sgpr40_sgpr41
	s_branch .LBB1061_181
.LBB1061_179:                           ;   in Loop: Header=BB1061_181 Depth=1
	v_mov_b32_e32 v21, s43
	v_add_co_u32_e32 v16, vcc, s42, v12
	v_addc_co_u32_e32 v17, vcc, v13, v21, vcc
	v_add_co_u32_e32 v26, vcc, s42, v14
	v_addc_co_u32_e32 v27, vcc, v15, v21, vcc
	global_load_ubyte v21, v[16:17], off
	global_load_ubyte v28, v[26:27], off
	s_waitcnt vmcnt(1)
	v_cmp_ne_u16_e32 vcc, 0, v21
	s_waitcnt vmcnt(0)
	v_cmp_ne_u16_e64 s[4:5], 0, v28
	s_xor_b64 s[44:45], vcc, s[4:5]
	s_add_u32 s4, s42, 1
	s_addc_u32 s5, s43, 0
	s_andn2_b64 s[40:41], s[40:41], exec
	s_and_b64 s[44:45], s[44:45], exec
	s_or_b64 s[40:41], s[40:41], s[44:45]
.LBB1061_180:                           ;   in Loop: Header=BB1061_181 Depth=1
	s_and_b64 s[44:45], exec, s[40:41]
	s_or_b64 s[38:39], s[44:45], s[38:39]
	v_pk_mov_b32 v[16:17], s[42:43], s[42:43] op_sel:[0,1]
	s_mov_b64 s[42:43], s[4:5]
	s_andn2_b64 exec, exec, s[38:39]
	s_cbranch_execz .LBB1061_183
.LBB1061_181:                           ; =>This Inner Loop Header: Depth=1
	s_or_b64 s[40:41], s[40:41], exec
	s_cmp_eq_u64 s[26:27], s[42:43]
	s_cbranch_scc0 .LBB1061_179
; %bb.182:                              ;   in Loop: Header=BB1061_181 Depth=1
                                        ; implicit-def: $sgpr4_sgpr5
	s_mov_b64 s[42:43], s[26:27]
	s_branch .LBB1061_180
.LBB1061_183:
	s_or_b64 exec, exec, s[38:39]
	v_cmp_gt_i64_e32 vcc, s[26:27], v[16:17]
	s_orn2_b64 s[4:5], vcc, exec
.LBB1061_184:
	s_or_b64 exec, exec, s[10:11]
	s_and_b64 s[10:11], s[4:5], exec
.LBB1061_185:
	s_or_b64 exec, exec, s[36:37]
	v_cmp_gt_u32_e32 vcc, s48, v22
	s_mov_b64 s[42:43], -1
	s_and_b64 s[4:5], vcc, s[6:7]
	s_mov_b64 s[36:37], 0
	v_mul_lo_u32 v21, v8, s27
	v_mul_lo_u32 v26, v9, s26
	s_mov_b64 s[38:39], 0
	s_and_saveexec_b64 s[40:41], s[4:5]
	s_cbranch_execz .LBB1061_194
; %bb.186:
	s_waitcnt vmcnt(0)
	v_pk_mov_b32 v[14:15], s[16:17], s[16:17] op_sel:[0,1]
	v_mad_u64_u32 v[12:13], s[4:5], v8, s26, v[14:15]
	v_add3_u32 v13, v26, v13, v21
	v_mad_u64_u32 v[14:15], s[4:5], v2, s26, v[14:15]
	v_add3_u32 v15, v19, v15, v18
	global_load_ubyte v16, v[12:13], off
	global_load_ubyte v17, v[14:15], off
	s_waitcnt vmcnt(1)
	v_cmp_ne_u16_e32 vcc, 0, v16
	s_waitcnt vmcnt(0)
	v_cmp_ne_u16_e64 s[4:5], 0, v17
	s_xor_b64 s[4:5], vcc, s[4:5]
	s_xor_b64 s[4:5], s[4:5], -1
	s_and_saveexec_b64 s[38:39], s[4:5]
	s_cbranch_execz .LBB1061_193
; %bb.187:
	s_mov_b64 s[46:47], 1
	s_mov_b64 s[42:43], 0
                                        ; implicit-def: $sgpr44_sgpr45
	s_branch .LBB1061_190
.LBB1061_188:                           ;   in Loop: Header=BB1061_190 Depth=1
	v_mov_b32_e32 v19, s47
	v_add_co_u32_e32 v16, vcc, s46, v12
	v_addc_co_u32_e32 v17, vcc, v13, v19, vcc
	v_add_co_u32_e32 v18, vcc, s46, v14
	v_addc_co_u32_e32 v19, vcc, v15, v19, vcc
	global_load_ubyte v27, v[16:17], off
	global_load_ubyte v28, v[18:19], off
	s_waitcnt vmcnt(1)
	v_cmp_ne_u16_e32 vcc, 0, v27
	s_waitcnt vmcnt(0)
	v_cmp_ne_u16_e64 s[4:5], 0, v28
	s_xor_b64 s[50:51], vcc, s[4:5]
	s_add_u32 s4, s46, 1
	s_addc_u32 s5, s47, 0
	s_andn2_b64 s[44:45], s[44:45], exec
	s_and_b64 s[50:51], s[50:51], exec
	s_or_b64 s[44:45], s[44:45], s[50:51]
.LBB1061_189:                           ;   in Loop: Header=BB1061_190 Depth=1
	s_and_b64 s[50:51], exec, s[44:45]
	s_or_b64 s[42:43], s[50:51], s[42:43]
	v_pk_mov_b32 v[16:17], s[46:47], s[46:47] op_sel:[0,1]
	s_mov_b64 s[46:47], s[4:5]
	s_andn2_b64 exec, exec, s[42:43]
	s_cbranch_execz .LBB1061_192
.LBB1061_190:                           ; =>This Inner Loop Header: Depth=1
	s_or_b64 s[44:45], s[44:45], exec
	s_cmp_eq_u64 s[26:27], s[46:47]
	s_cbranch_scc0 .LBB1061_188
; %bb.191:                              ;   in Loop: Header=BB1061_190 Depth=1
                                        ; implicit-def: $sgpr4_sgpr5
	s_mov_b64 s[46:47], s[26:27]
	s_branch .LBB1061_189
.LBB1061_192:
	s_or_b64 exec, exec, s[42:43]
	v_cmp_gt_i64_e32 vcc, s[26:27], v[16:17]
	s_orn2_b64 s[42:43], vcc, exec
.LBB1061_193:
	s_or_b64 exec, exec, s[38:39]
	s_and_b64 s[38:39], s[42:43], exec
.LBB1061_194:
	s_or_b64 exec, exec, s[40:41]
	v_cmp_gt_u32_e32 vcc, s48, v24
	s_and_b64 s[4:5], vcc, s[6:7]
	s_and_saveexec_b64 s[40:41], s[4:5]
	s_cbranch_execz .LBB1061_203
; %bb.195:
	s_waitcnt vmcnt(0)
	v_pk_mov_b32 v[14:15], s[16:17], s[16:17] op_sel:[0,1]
	v_mad_u64_u32 v[12:13], s[4:5], v6, s26, v[14:15]
	v_mul_lo_u32 v16, v6, s27
	v_mul_lo_u32 v17, v7, s26
	v_add3_u32 v13, v17, v13, v16
	v_mad_u64_u32 v[14:15], s[4:5], v8, s26, v[14:15]
	v_add3_u32 v15, v26, v15, v21
	global_load_ubyte v16, v[12:13], off
	global_load_ubyte v17, v[14:15], off
	s_waitcnt vmcnt(1)
	v_cmp_ne_u16_e32 vcc, 0, v16
	s_waitcnt vmcnt(0)
	v_cmp_ne_u16_e64 s[4:5], 0, v17
	s_xor_b64 s[36:37], vcc, s[4:5]
	s_mov_b64 s[4:5], -1
	s_xor_b64 s[42:43], s[36:37], -1
	s_and_saveexec_b64 s[36:37], s[42:43]
	s_cbranch_execz .LBB1061_202
; %bb.196:
	s_mov_b64 s[46:47], 1
	s_mov_b64 s[42:43], 0
                                        ; implicit-def: $sgpr44_sgpr45
	s_branch .LBB1061_199
.LBB1061_197:                           ;   in Loop: Header=BB1061_199 Depth=1
	v_mov_b32_e32 v19, s47
	v_add_co_u32_e32 v16, vcc, s46, v12
	v_addc_co_u32_e32 v17, vcc, v13, v19, vcc
	v_add_co_u32_e32 v18, vcc, s46, v14
	v_addc_co_u32_e32 v19, vcc, v15, v19, vcc
	global_load_ubyte v21, v[16:17], off
	global_load_ubyte v26, v[18:19], off
	s_waitcnt vmcnt(1)
	v_cmp_ne_u16_e32 vcc, 0, v21
	s_waitcnt vmcnt(0)
	v_cmp_ne_u16_e64 s[4:5], 0, v26
	s_xor_b64 s[50:51], vcc, s[4:5]
	s_add_u32 s4, s46, 1
	s_addc_u32 s5, s47, 0
	s_andn2_b64 s[44:45], s[44:45], exec
	s_and_b64 s[50:51], s[50:51], exec
	s_or_b64 s[44:45], s[44:45], s[50:51]
.LBB1061_198:                           ;   in Loop: Header=BB1061_199 Depth=1
	s_and_b64 s[50:51], exec, s[44:45]
	s_or_b64 s[42:43], s[50:51], s[42:43]
	v_pk_mov_b32 v[16:17], s[46:47], s[46:47] op_sel:[0,1]
	s_mov_b64 s[46:47], s[4:5]
	s_andn2_b64 exec, exec, s[42:43]
	s_cbranch_execz .LBB1061_201
.LBB1061_199:                           ; =>This Inner Loop Header: Depth=1
	s_or_b64 s[44:45], s[44:45], exec
	s_cmp_eq_u64 s[26:27], s[46:47]
	s_cbranch_scc0 .LBB1061_197
; %bb.200:                              ;   in Loop: Header=BB1061_199 Depth=1
                                        ; implicit-def: $sgpr4_sgpr5
	s_mov_b64 s[46:47], s[26:27]
	s_branch .LBB1061_198
.LBB1061_201:
	s_or_b64 exec, exec, s[42:43]
	v_cmp_gt_i64_e32 vcc, s[26:27], v[16:17]
	s_orn2_b64 s[4:5], vcc, exec
.LBB1061_202:
	s_or_b64 exec, exec, s[36:37]
	s_and_b64 s[36:37], s[4:5], exec
.LBB1061_203:
	s_or_b64 exec, exec, s[40:41]
	v_cndmask_b32_e64 v13, 0, 1, s[10:11]
	s_waitcnt vmcnt(0)
	v_cndmask_b32_e64 v14, 0, 1, s[36:37]
	v_cndmask_b32_e64 v12, 0, 1, s[38:39]
	v_lshlrev_b16_e32 v14, 8, v14
	v_lshlrev_b16_e32 v13, 8, v13
	v_or_b32_e32 v14, 1, v14
	v_or_b32_sdwa v12, v12, v13 dst_sel:WORD_1 dst_unused:UNUSED_PAD src0_sel:DWORD src1_sel:DWORD
	v_or_b32_sdwa v12, v14, v12 dst_sel:DWORD dst_unused:UNUSED_PAD src0_sel:WORD_0 src1_sel:DWORD
	v_cndmask_b32_e64 v13, 0, 1, s[8:9]
	s_waitcnt lgkmcnt(0)
	s_barrier
	s_waitcnt lgkmcnt(0)
                                        ; implicit-def: $sgpr8_sgpr9
                                        ; implicit-def: $vgpr16
	s_and_saveexec_b64 s[4:5], s[2:3]
	s_cbranch_execz .LBB1061_214
; %bb.204:
	v_cmp_gt_u32_e32 vcc, s48, v1
	s_mov_b64 s[10:11], -1
	s_and_b64 s[8:9], vcc, s[6:7]
	s_mov_b32 s38, 0x3020104
	s_mov_b64 s[2:3], 0
	s_and_saveexec_b64 s[6:7], s[8:9]
	s_cbranch_execz .LBB1061_213
; %bb.205:
	v_add_u32_e32 v14, -8, v20
	ds_read_b64 v[14:15], v14
	v_pk_mov_b32 v[16:17], s[16:17], s[16:17] op_sel:[0,1]
	s_waitcnt lgkmcnt(0)
	v_mul_lo_u32 v18, v14, s27
	v_mul_lo_u32 v19, v15, s26
	v_mad_u64_u32 v[14:15], s[2:3], v14, s26, v[16:17]
	v_add3_u32 v15, v19, v15, v18
	v_mad_u64_u32 v[16:17], s[2:3], v6, s26, v[16:17]
	v_mul_lo_u32 v18, v6, s27
	v_mul_lo_u32 v19, v7, s26
	v_add3_u32 v17, v19, v17, v18
	global_load_ubyte v18, v[14:15], off
	global_load_ubyte v19, v[16:17], off
	s_waitcnt vmcnt(1)
	v_cmp_ne_u16_e32 vcc, 0, v18
	s_waitcnt vmcnt(0)
	v_cmp_ne_u16_e64 s[2:3], 0, v19
	s_xor_b64 s[2:3], vcc, s[2:3]
	s_xor_b64 s[2:3], s[2:3], -1
	s_and_saveexec_b64 s[8:9], s[2:3]
	s_cbranch_execz .LBB1061_212
; %bb.206:
	s_mov_b64 s[36:37], 1
	s_mov_b64 s[10:11], 0
                                        ; implicit-def: $sgpr16_sgpr17
	s_branch .LBB1061_209
.LBB1061_207:                           ;   in Loop: Header=BB1061_209 Depth=1
	v_mov_b32_e32 v21, s37
	v_add_co_u32_e32 v18, vcc, s36, v14
	v_addc_co_u32_e32 v19, vcc, v15, v21, vcc
	v_add_co_u32_e32 v20, vcc, s36, v16
	v_addc_co_u32_e32 v21, vcc, v17, v21, vcc
	global_load_ubyte v26, v[18:19], off
	global_load_ubyte v27, v[20:21], off
	s_waitcnt vmcnt(1)
	v_cmp_ne_u16_e32 vcc, 0, v26
	s_waitcnt vmcnt(0)
	v_cmp_ne_u16_e64 s[2:3], 0, v27
	s_xor_b64 s[40:41], vcc, s[2:3]
	s_add_u32 s2, s36, 1
	s_addc_u32 s3, s37, 0
	s_andn2_b64 s[16:17], s[16:17], exec
	s_and_b64 s[40:41], s[40:41], exec
	s_or_b64 s[16:17], s[16:17], s[40:41]
.LBB1061_208:                           ;   in Loop: Header=BB1061_209 Depth=1
	s_and_b64 s[40:41], exec, s[16:17]
	s_or_b64 s[10:11], s[40:41], s[10:11]
	v_pk_mov_b32 v[18:19], s[36:37], s[36:37] op_sel:[0,1]
	s_mov_b64 s[36:37], s[2:3]
	s_andn2_b64 exec, exec, s[10:11]
	s_cbranch_execz .LBB1061_211
.LBB1061_209:                           ; =>This Inner Loop Header: Depth=1
	s_or_b64 s[16:17], s[16:17], exec
	s_cmp_eq_u64 s[26:27], s[36:37]
	s_cbranch_scc0 .LBB1061_207
; %bb.210:                              ;   in Loop: Header=BB1061_209 Depth=1
                                        ; implicit-def: $sgpr2_sgpr3
	s_mov_b64 s[36:37], s[26:27]
	s_branch .LBB1061_208
.LBB1061_211:
	s_or_b64 exec, exec, s[10:11]
	v_cmp_gt_i64_e32 vcc, s[26:27], v[18:19]
	s_orn2_b64 s[10:11], vcc, exec
.LBB1061_212:
	s_or_b64 exec, exec, s[8:9]
	s_and_b64 s[2:3], s[10:11], exec
.LBB1061_213:
	s_or_b64 exec, exec, s[6:7]
	v_perm_b32 v16, v12, v12, s38
	s_and_b64 s[8:9], s[2:3], exec
	s_or_b64 s[14:15], s[14:15], exec
.LBB1061_214:
	s_or_b64 exec, exec, s[4:5]
.LBB1061_215:
	s_and_saveexec_b64 s[2:3], s[14:15]
	s_cbranch_execz .LBB1061_217
; %bb.216:
	s_waitcnt vmcnt(0) lgkmcnt(0)
	v_lshrrev_b32_e32 v14, 24, v16
	s_movk_i32 s4, 0xff
	v_lshlrev_b16_e32 v14, 8, v14
	v_and_b32_sdwa v15, v16, s4 dst_sel:DWORD dst_unused:UNUSED_PAD src0_sel:WORD_1 src1_sel:DWORD
	v_or_b32_sdwa v14, v15, v14 dst_sel:WORD_1 dst_unused:UNUSED_PAD src0_sel:DWORD src1_sel:DWORD
	v_mov_b32_e32 v15, 8
	v_cndmask_b32_e64 v12, 0, 1, s[8:9]
	v_lshrrev_b32_sdwa v15, v15, v16 dst_sel:BYTE_1 dst_unused:UNUSED_PAD src0_sel:DWORD src1_sel:DWORD
	v_or_b32_e32 v12, v12, v15
	s_mov_b32 s4, 0xffff
	v_or_b32_sdwa v12, v12, v14 dst_sel:DWORD dst_unused:UNUSED_PAD src0_sel:WORD_0 src1_sel:DWORD
	v_and_b32_sdwa v13, s4, v13 dst_sel:DWORD dst_unused:UNUSED_PAD src0_sel:DWORD src1_sel:BYTE_0
.LBB1061_217:
	s_or_b64 exec, exec, s[2:3]
	s_andn2_b64 vcc, exec, s[12:13]
	s_cbranch_vccnz .LBB1061_219
; %bb.218:
	v_cmp_gt_u32_e32 vcc, s48, v1
	v_cndmask_b32_e32 v1, 0, v12, vcc
	v_and_b32_e32 v1, 0xffff00ff, v1
	v_cmp_gt_u32_e64 s[2:3], s48, v24
	v_cndmask_b32_e64 v1, v1, v12, s[2:3]
	s_waitcnt vmcnt(0) lgkmcnt(0)
	v_lshrrev_b32_e32 v14, 24, v1
	s_mov_b32 s4, 0x40c0100
	v_perm_b32 v1, v14, v1, s4
	v_cmp_gt_u32_e64 s[4:5], s48, v22
	v_cmp_gt_u32_e64 s[6:7], s48, v25
	v_cndmask_b32_e64 v1, v1, v12, s[4:5]
	s_or_b64 s[4:5], s[6:7], s[4:5]
	s_or_b64 s[2:3], s[4:5], s[2:3]
	s_or_b64 vcc, s[2:3], vcc
	v_and_b32_e32 v1, 0xffffff, v1
	v_cndmask_b32_e32 v14, 0, v13, vcc
	v_cndmask_b32_e64 v1, v1, v12, s[6:7]
	v_and_b32_e32 v14, 0xffffff00, v14
	v_cmp_gt_u32_e32 vcc, s48, v23
	v_cndmask_b32_e32 v1, v1, v12, vcc
	v_cndmask_b32_e32 v12, v14, v13, vcc
	s_mov_b32 s2, 0x3020104
	v_and_b32_e32 v13, 0xff, v12
	v_perm_b32 v12, v1, v1, s2
.LBB1061_219:
	v_and_b32_e32 v1, 0xff, v12
	v_bfe_u32 v25, v12, 8, 8
	v_bfe_u32 v27, v12, 16, 8
	s_waitcnt vmcnt(0) lgkmcnt(0)
	v_alignbit_b32 v14, v13, v12, 24
	v_and_b32_e32 v28, 0xff, v14
	v_and_b32_e32 v14, 0xff, v13
	v_add3_u32 v15, v25, v1, v27
	v_add3_u32 v31, v15, v28, v14
	v_mbcnt_lo_u32_b32 v14, -1, 0
	v_mbcnt_hi_u32_b32 v29, -1, v14
	v_and_b32_e32 v14, 15, v29
	v_cmp_eq_u32_e64 s[14:15], 0, v14
	v_cmp_lt_u32_e64 s[12:13], 1, v14
	v_cmp_lt_u32_e64 s[10:11], 3, v14
	;; [unrolled: 1-line block ×3, first 2 shown]
	v_and_b32_e32 v14, 16, v29
	v_cmp_eq_u32_e64 s[6:7], 0, v14
	v_or_b32_e32 v14, 63, v0
	v_cmp_lt_u32_e64 s[2:3], 31, v29
	v_lshrrev_b32_e32 v30, 6, v0
	v_cmp_eq_u32_e64 s[4:5], v14, v0
	s_and_b64 vcc, exec, s[34:35]
	s_barrier
	s_cbranch_vccz .LBB1061_250
; %bb.220:
	v_mov_b32_dpp v14, v31 row_shr:1 row_mask:0xf bank_mask:0xf
	v_cndmask_b32_e64 v14, v14, 0, s[14:15]
	v_add_u32_e32 v14, v14, v31
	s_nop 1
	v_mov_b32_dpp v15, v14 row_shr:2 row_mask:0xf bank_mask:0xf
	v_cndmask_b32_e64 v15, 0, v15, s[12:13]
	v_add_u32_e32 v14, v14, v15
	s_nop 1
	;; [unrolled: 4-line block ×4, first 2 shown]
	v_mov_b32_dpp v15, v14 row_bcast:15 row_mask:0xf bank_mask:0xf
	v_cndmask_b32_e64 v15, v15, 0, s[6:7]
	v_add_u32_e32 v14, v14, v15
	s_nop 1
	v_mov_b32_dpp v15, v14 row_bcast:31 row_mask:0xf bank_mask:0xf
	v_cndmask_b32_e64 v15, 0, v15, s[2:3]
	v_add_u32_e32 v14, v14, v15
	s_and_saveexec_b64 s[16:17], s[4:5]
	s_cbranch_execz .LBB1061_222
; %bb.221:
	v_lshlrev_b32_e32 v15, 2, v30
	ds_write_b32 v15, v14
.LBB1061_222:
	s_or_b64 exec, exec, s[16:17]
	v_cmp_gt_u32_e32 vcc, 4, v0
	s_waitcnt lgkmcnt(0)
	s_barrier
	s_and_saveexec_b64 s[16:17], vcc
	s_cbranch_execz .LBB1061_224
; %bb.223:
	v_lshlrev_b32_e32 v15, 2, v0
	ds_read_b32 v16, v15
	v_and_b32_e32 v17, 3, v29
	v_cmp_ne_u32_e32 vcc, 0, v17
	s_waitcnt lgkmcnt(0)
	v_mov_b32_dpp v18, v16 row_shr:1 row_mask:0xf bank_mask:0xf
	v_cndmask_b32_e32 v18, 0, v18, vcc
	v_add_u32_e32 v16, v18, v16
	v_cmp_lt_u32_e32 vcc, 1, v17
	s_nop 0
	v_mov_b32_dpp v18, v16 row_shr:2 row_mask:0xf bank_mask:0xf
	v_cndmask_b32_e32 v17, 0, v18, vcc
	v_add_u32_e32 v16, v16, v17
	ds_write_b32 v15, v16
.LBB1061_224:
	s_or_b64 exec, exec, s[16:17]
	v_cmp_gt_u32_e32 vcc, 64, v0
	v_cmp_lt_u32_e64 s[16:17], 63, v0
	s_waitcnt lgkmcnt(0)
	s_barrier
	s_waitcnt lgkmcnt(0)
                                        ; implicit-def: $vgpr24
	s_and_saveexec_b64 s[26:27], s[16:17]
	s_cbranch_execz .LBB1061_226
; %bb.225:
	v_lshl_add_u32 v15, v30, 2, -4
	ds_read_b32 v24, v15
	s_waitcnt lgkmcnt(0)
	v_add_u32_e32 v14, v24, v14
.LBB1061_226:
	s_or_b64 exec, exec, s[26:27]
	v_add_u32_e32 v15, -1, v29
	v_and_b32_e32 v16, 64, v29
	v_cmp_lt_i32_e64 s[16:17], v15, v16
	v_cndmask_b32_e64 v15, v15, v29, s[16:17]
	v_lshlrev_b32_e32 v15, 2, v15
	ds_bpermute_b32 v26, v15, v14
	v_cmp_eq_u32_e64 s[16:17], 0, v29
	s_and_saveexec_b64 s[26:27], vcc
	s_cbranch_execz .LBB1061_249
; %bb.227:
	v_mov_b32_e32 v23, 0
	ds_read_b32 v14, v23 offset:12
	s_and_saveexec_b64 s[34:35], s[16:17]
	s_cbranch_execz .LBB1061_229
; %bb.228:
	s_add_i32 s36, s33, 64
	s_mov_b32 s37, 0
	s_lshl_b64 s[36:37], s[36:37], 3
	s_add_u32 s36, s18, s36
	v_mov_b32_e32 v15, 1
	s_addc_u32 s37, s19, s37
	s_waitcnt lgkmcnt(0)
	global_store_dwordx2 v23, v[14:15], s[36:37]
.LBB1061_229:
	s_or_b64 exec, exec, s[34:35]
	v_xad_u32 v16, v29, -1, s33
	v_add_u32_e32 v22, 64, v16
	v_lshlrev_b64 v[18:19], 3, v[22:23]
	v_mov_b32_e32 v15, s19
	v_add_co_u32_e32 v18, vcc, s18, v18
	v_addc_co_u32_e32 v19, vcc, v15, v19, vcc
	global_load_dwordx2 v[20:21], v[18:19], off glc
	s_waitcnt vmcnt(0)
	v_cmp_eq_u16_sdwa s[36:37], v21, v23 src0_sel:BYTE_0 src1_sel:DWORD
	s_and_saveexec_b64 s[34:35], s[36:37]
	s_cbranch_execz .LBB1061_235
; %bb.230:
	s_mov_b32 s38, 1
	s_mov_b64 s[36:37], 0
	v_mov_b32_e32 v15, 0
.LBB1061_231:                           ; =>This Loop Header: Depth=1
                                        ;     Child Loop BB1061_232 Depth 2
	s_max_u32 s39, s38, 1
.LBB1061_232:                           ;   Parent Loop BB1061_231 Depth=1
                                        ; =>  This Inner Loop Header: Depth=2
	s_add_i32 s39, s39, -1
	s_cmp_eq_u32 s39, 0
	s_sleep 1
	s_cbranch_scc0 .LBB1061_232
; %bb.233:                              ;   in Loop: Header=BB1061_231 Depth=1
	global_load_dwordx2 v[20:21], v[18:19], off glc
	s_cmp_lt_u32 s38, 32
	s_cselect_b64 s[40:41], -1, 0
	s_cmp_lg_u64 s[40:41], 0
	s_addc_u32 s38, s38, 0
	s_waitcnt vmcnt(0)
	v_cmp_ne_u16_sdwa s[40:41], v21, v15 src0_sel:BYTE_0 src1_sel:DWORD
	s_or_b64 s[36:37], s[40:41], s[36:37]
	s_andn2_b64 exec, exec, s[36:37]
	s_cbranch_execnz .LBB1061_231
; %bb.234:
	s_or_b64 exec, exec, s[36:37]
.LBB1061_235:
	s_or_b64 exec, exec, s[34:35]
	v_and_b32_e32 v32, 63, v29
	v_mov_b32_e32 v15, 2
	v_cmp_ne_u32_e32 vcc, 63, v32
	v_cmp_eq_u16_sdwa s[34:35], v21, v15 src0_sel:BYTE_0 src1_sel:DWORD
	v_lshlrev_b64 v[18:19], v29, -1
	v_addc_co_u32_e32 v23, vcc, 0, v29, vcc
	v_and_b32_e32 v17, s35, v19
	v_lshlrev_b32_e32 v33, 2, v23
	v_or_b32_e32 v17, 0x80000000, v17
	ds_bpermute_b32 v23, v33, v20
	v_and_b32_e32 v22, s34, v18
	v_ffbl_b32_e32 v17, v17
	v_add_u32_e32 v17, 32, v17
	v_ffbl_b32_e32 v22, v22
	v_min_u32_e32 v17, v22, v17
	v_cmp_lt_u32_e32 vcc, v32, v17
	s_waitcnt lgkmcnt(0)
	v_cndmask_b32_e32 v22, 0, v23, vcc
	v_cmp_gt_u32_e32 vcc, 62, v32
	v_add_u32_e32 v20, v22, v20
	v_cndmask_b32_e64 v22, 0, 1, vcc
	v_lshlrev_b32_e32 v22, 1, v22
	v_add_lshl_u32 v34, v22, v29, 2
	ds_bpermute_b32 v22, v34, v20
	v_add_u32_e32 v35, 2, v32
	v_cmp_le_u32_e32 vcc, v35, v17
	v_add_u32_e32 v37, 4, v32
	v_add_u32_e32 v39, 8, v32
	s_waitcnt lgkmcnt(0)
	v_cndmask_b32_e32 v22, 0, v22, vcc
	v_cmp_gt_u32_e32 vcc, 60, v32
	v_add_u32_e32 v20, v20, v22
	v_cndmask_b32_e64 v22, 0, 1, vcc
	v_lshlrev_b32_e32 v22, 2, v22
	v_add_lshl_u32 v36, v22, v29, 2
	ds_bpermute_b32 v22, v36, v20
	v_cmp_le_u32_e32 vcc, v37, v17
	v_add_u32_e32 v42, 16, v32
	v_add_u32_e32 v44, 32, v32
	s_waitcnt lgkmcnt(0)
	v_cndmask_b32_e32 v22, 0, v22, vcc
	v_cmp_gt_u32_e32 vcc, 56, v32
	v_add_u32_e32 v20, v20, v22
	v_cndmask_b32_e64 v22, 0, 1, vcc
	v_lshlrev_b32_e32 v22, 3, v22
	v_add_lshl_u32 v38, v22, v29, 2
	ds_bpermute_b32 v22, v38, v20
	v_cmp_le_u32_e32 vcc, v39, v17
	s_waitcnt lgkmcnt(0)
	v_cndmask_b32_e32 v22, 0, v22, vcc
	v_cmp_gt_u32_e32 vcc, 48, v32
	v_add_u32_e32 v20, v20, v22
	v_cndmask_b32_e64 v22, 0, 1, vcc
	v_lshlrev_b32_e32 v22, 4, v22
	v_add_lshl_u32 v41, v22, v29, 2
	ds_bpermute_b32 v22, v41, v20
	v_cmp_le_u32_e32 vcc, v42, v17
	;; [unrolled: 9-line block ×3, first 2 shown]
	s_waitcnt lgkmcnt(0)
	v_cndmask_b32_e32 v17, 0, v22, vcc
	v_add_u32_e32 v20, v20, v17
	v_mov_b32_e32 v17, 0
	s_branch .LBB1061_237
.LBB1061_236:                           ;   in Loop: Header=BB1061_237 Depth=1
	s_or_b64 exec, exec, s[34:35]
	v_cmp_eq_u16_sdwa s[34:35], v21, v15 src0_sel:BYTE_0 src1_sel:DWORD
	v_and_b32_e32 v22, s35, v19
	v_or_b32_e32 v22, 0x80000000, v22
	ds_bpermute_b32 v45, v33, v20
	v_and_b32_e32 v23, s34, v18
	v_ffbl_b32_e32 v22, v22
	v_add_u32_e32 v22, 32, v22
	v_ffbl_b32_e32 v23, v23
	v_min_u32_e32 v22, v23, v22
	v_cmp_lt_u32_e32 vcc, v32, v22
	s_waitcnt lgkmcnt(0)
	v_cndmask_b32_e32 v23, 0, v45, vcc
	v_add_u32_e32 v20, v23, v20
	ds_bpermute_b32 v23, v34, v20
	v_cmp_le_u32_e32 vcc, v35, v22
	v_subrev_u32_e32 v16, 64, v16
	s_waitcnt lgkmcnt(0)
	v_cndmask_b32_e32 v23, 0, v23, vcc
	v_add_u32_e32 v20, v20, v23
	ds_bpermute_b32 v23, v36, v20
	v_cmp_le_u32_e32 vcc, v37, v22
	s_waitcnt lgkmcnt(0)
	v_cndmask_b32_e32 v23, 0, v23, vcc
	v_add_u32_e32 v20, v20, v23
	ds_bpermute_b32 v23, v38, v20
	v_cmp_le_u32_e32 vcc, v39, v22
	;; [unrolled: 5-line block ×4, first 2 shown]
	s_waitcnt lgkmcnt(0)
	v_cndmask_b32_e32 v22, 0, v23, vcc
	v_add3_u32 v20, v22, v40, v20
.LBB1061_237:                           ; =>This Loop Header: Depth=1
                                        ;     Child Loop BB1061_240 Depth 2
                                        ;       Child Loop BB1061_241 Depth 3
	v_cmp_ne_u16_sdwa s[34:35], v21, v15 src0_sel:BYTE_0 src1_sel:DWORD
	v_cndmask_b32_e64 v21, 0, 1, s[34:35]
	;;#ASMSTART
	;;#ASMEND
	v_cmp_ne_u32_e32 vcc, 0, v21
	s_cmp_lg_u64 vcc, exec
	v_mov_b32_e32 v40, v20
	s_cbranch_scc1 .LBB1061_244
; %bb.238:                              ;   in Loop: Header=BB1061_237 Depth=1
	v_lshlrev_b64 v[20:21], 3, v[16:17]
	v_mov_b32_e32 v23, s19
	v_add_co_u32_e32 v22, vcc, s18, v20
	v_addc_co_u32_e32 v23, vcc, v23, v21, vcc
	global_load_dwordx2 v[20:21], v[22:23], off glc
	s_waitcnt vmcnt(0)
	v_cmp_eq_u16_sdwa s[36:37], v21, v17 src0_sel:BYTE_0 src1_sel:DWORD
	s_and_saveexec_b64 s[34:35], s[36:37]
	s_cbranch_execz .LBB1061_236
; %bb.239:                              ;   in Loop: Header=BB1061_237 Depth=1
	s_mov_b32 s38, 1
	s_mov_b64 s[36:37], 0
.LBB1061_240:                           ;   Parent Loop BB1061_237 Depth=1
                                        ; =>  This Loop Header: Depth=2
                                        ;       Child Loop BB1061_241 Depth 3
	s_max_u32 s39, s38, 1
.LBB1061_241:                           ;   Parent Loop BB1061_237 Depth=1
                                        ;     Parent Loop BB1061_240 Depth=2
                                        ; =>    This Inner Loop Header: Depth=3
	s_add_i32 s39, s39, -1
	s_cmp_eq_u32 s39, 0
	s_sleep 1
	s_cbranch_scc0 .LBB1061_241
; %bb.242:                              ;   in Loop: Header=BB1061_240 Depth=2
	global_load_dwordx2 v[20:21], v[22:23], off glc
	s_cmp_lt_u32 s38, 32
	s_cselect_b64 s[40:41], -1, 0
	s_cmp_lg_u64 s[40:41], 0
	s_addc_u32 s38, s38, 0
	s_waitcnt vmcnt(0)
	v_cmp_ne_u16_sdwa s[40:41], v21, v17 src0_sel:BYTE_0 src1_sel:DWORD
	s_or_b64 s[36:37], s[40:41], s[36:37]
	s_andn2_b64 exec, exec, s[36:37]
	s_cbranch_execnz .LBB1061_240
; %bb.243:                              ;   in Loop: Header=BB1061_237 Depth=1
	s_or_b64 exec, exec, s[36:37]
	s_branch .LBB1061_236
.LBB1061_244:                           ;   in Loop: Header=BB1061_237 Depth=1
                                        ; implicit-def: $vgpr20
                                        ; implicit-def: $vgpr21
	s_cbranch_execz .LBB1061_237
; %bb.245:
	s_and_saveexec_b64 s[34:35], s[16:17]
	s_cbranch_execz .LBB1061_247
; %bb.246:
	s_add_i32 s36, s33, 64
	s_mov_b32 s37, 0
	s_lshl_b64 s[36:37], s[36:37], 3
	s_add_u32 s36, s18, s36
	v_add_u32_e32 v16, v40, v14
	v_mov_b32_e32 v17, 2
	s_addc_u32 s37, s19, s37
	v_mov_b32_e32 v15, 0
	s_movk_i32 s33, 0x2800
	global_store_dwordx2 v15, v[16:17], s[36:37]
	v_add_u32_e64 v15, s33, 0
	ds_write2_b32 v15, v14, v40 offset1:2
.LBB1061_247:
	s_or_b64 exec, exec, s[34:35]
	s_and_b64 exec, exec, s[0:1]
	s_cbranch_execz .LBB1061_249
; %bb.248:
	v_mov_b32_e32 v14, 0
	ds_write_b32 v14, v40 offset:12
.LBB1061_249:
	s_or_b64 exec, exec, s[26:27]
	v_mov_b32_e32 v14, 0
	s_waitcnt lgkmcnt(0)
	s_barrier
	ds_read_b32 v14, v14 offset:12
	v_cndmask_b32_e64 v15, v26, v24, s[16:17]
	v_cndmask_b32_e64 v15, v15, 0, s[0:1]
	s_movk_i32 s16, 0x2800
	s_waitcnt lgkmcnt(0)
	v_add_u32_e32 v26, v14, v15
	v_add_u32_e64 v14, s16, 0
	s_barrier
	ds_read2_b32 v[14:15], v14 offset1:2
	v_add_u32_e32 v24, v26, v1
	v_add_u32_e32 v22, v24, v25
	;; [unrolled: 1-line block ×4, first 2 shown]
	v_lshrrev_b64 v[16:17], 24, v[12:13]
	s_branch .LBB1061_260
.LBB1061_250:
                                        ; implicit-def: $vgpr18
                                        ; implicit-def: $vgpr20
                                        ; implicit-def: $vgpr22
                                        ; implicit-def: $vgpr24
                                        ; implicit-def: $vgpr26
                                        ; implicit-def: $vgpr15
	v_lshrrev_b64 v[16:17], 24, v[12:13]
	s_cbranch_execz .LBB1061_260
; %bb.251:
	s_waitcnt lgkmcnt(0)
	v_mov_b32_dpp v14, v31 row_shr:1 row_mask:0xf bank_mask:0xf
	v_cndmask_b32_e64 v14, v14, 0, s[14:15]
	v_add_u32_e32 v14, v14, v31
	s_nop 1
	v_mov_b32_dpp v15, v14 row_shr:2 row_mask:0xf bank_mask:0xf
	v_cndmask_b32_e64 v15, 0, v15, s[12:13]
	v_add_u32_e32 v14, v14, v15
	s_nop 1
	;; [unrolled: 4-line block ×4, first 2 shown]
	v_mov_b32_dpp v15, v14 row_bcast:15 row_mask:0xf bank_mask:0xf
	v_cndmask_b32_e64 v15, v15, 0, s[6:7]
	v_add_u32_e32 v14, v14, v15
	s_nop 1
	v_mov_b32_dpp v15, v14 row_bcast:31 row_mask:0xf bank_mask:0xf
	v_cndmask_b32_e64 v15, 0, v15, s[2:3]
	v_add_u32_e32 v14, v14, v15
	s_and_saveexec_b64 s[2:3], s[4:5]
	s_cbranch_execz .LBB1061_253
; %bb.252:
	v_lshlrev_b32_e32 v15, 2, v30
	ds_write_b32 v15, v14
.LBB1061_253:
	s_or_b64 exec, exec, s[2:3]
	v_cmp_gt_u32_e32 vcc, 4, v0
	s_waitcnt lgkmcnt(0)
	s_barrier
	s_and_saveexec_b64 s[2:3], vcc
	s_cbranch_execz .LBB1061_255
; %bb.254:
	v_lshlrev_b32_e32 v15, 2, v0
	ds_read_b32 v17, v15
	v_and_b32_e32 v18, 3, v29
	v_cmp_ne_u32_e32 vcc, 0, v18
	s_waitcnt lgkmcnt(0)
	v_mov_b32_dpp v19, v17 row_shr:1 row_mask:0xf bank_mask:0xf
	v_cndmask_b32_e32 v19, 0, v19, vcc
	v_add_u32_e32 v17, v19, v17
	v_cmp_lt_u32_e32 vcc, 1, v18
	s_nop 0
	v_mov_b32_dpp v19, v17 row_shr:2 row_mask:0xf bank_mask:0xf
	v_cndmask_b32_e32 v18, 0, v19, vcc
	v_add_u32_e32 v17, v17, v18
	ds_write_b32 v15, v17
.LBB1061_255:
	s_or_b64 exec, exec, s[2:3]
	v_cmp_lt_u32_e32 vcc, 63, v0
	v_mov_b32_e32 v15, 0
	v_mov_b32_e32 v17, 0
	s_waitcnt lgkmcnt(0)
	s_barrier
	s_and_saveexec_b64 s[2:3], vcc
	s_cbranch_execz .LBB1061_257
; %bb.256:
	v_lshl_add_u32 v17, v30, 2, -4
	ds_read_b32 v17, v17
.LBB1061_257:
	s_or_b64 exec, exec, s[2:3]
	v_add_u32_e32 v18, -1, v29
	v_and_b32_e32 v19, 64, v29
	v_cmp_lt_i32_e32 vcc, v18, v19
	v_cndmask_b32_e32 v18, v18, v29, vcc
	s_waitcnt lgkmcnt(0)
	v_add_u32_e32 v14, v17, v14
	v_lshlrev_b32_e32 v18, 2, v18
	ds_bpermute_b32 v18, v18, v14
	ds_read_b32 v14, v15 offset:12
	s_and_saveexec_b64 s[2:3], s[0:1]
	s_cbranch_execz .LBB1061_259
; %bb.258:
	v_mov_b32_e32 v19, 0
	v_mov_b32_e32 v15, 2
	s_waitcnt lgkmcnt(0)
	global_store_dwordx2 v19, v[14:15], s[18:19] offset:512
.LBB1061_259:
	s_or_b64 exec, exec, s[2:3]
	v_cmp_eq_u32_e32 vcc, 0, v29
	s_waitcnt lgkmcnt(1)
	v_cndmask_b32_e32 v17, v18, v17, vcc
	v_cndmask_b32_e64 v26, v17, 0, s[0:1]
	v_add_u32_e32 v24, v26, v1
	v_add_u32_e32 v22, v24, v25
	;; [unrolled: 1-line block ×3, first 2 shown]
	v_mov_b32_e32 v15, 0
	v_add_u32_e32 v18, v20, v28
	s_waitcnt lgkmcnt(0)
	s_barrier
.LBB1061_260:
	s_movk_i32 s2, 0x101
	s_waitcnt lgkmcnt(0)
	v_cmp_gt_u32_e32 vcc, s2, v14
	v_lshrrev_b32_e32 v1, 8, v12
	s_mov_b64 s[2:3], -1
	s_cbranch_vccnz .LBB1061_264
; %bb.261:
	s_and_b64 vcc, exec, s[2:3]
	s_cbranch_vccnz .LBB1061_280
.LBB1061_262:
	s_and_b64 s[0:1], s[0:1], s[24:25]
	s_and_saveexec_b64 s[2:3], s[0:1]
	s_cbranch_execnz .LBB1061_294
.LBB1061_263:
	s_endpgm
.LBB1061_264:
	v_add_u32_e32 v17, v15, v14
	v_cmp_lt_u32_e32 vcc, v26, v17
	s_or_b64 s[4:5], s[30:31], vcc
	s_and_saveexec_b64 s[2:3], s[4:5]
	s_cbranch_execz .LBB1061_267
; %bb.265:
	v_and_b32_e32 v19, 1, v12
	v_cmp_eq_u32_e32 vcc, 1, v19
	s_and_b64 exec, exec, vcc
	s_cbranch_execz .LBB1061_267
; %bb.266:
	s_lshl_b64 s[4:5], s[22:23], 3
	s_add_u32 s4, s28, s4
	v_mov_b32_e32 v27, 0
	s_addc_u32 s5, s29, s5
	v_lshlrev_b64 v[28:29], 3, v[26:27]
	v_mov_b32_e32 v19, s5
	v_add_co_u32_e32 v28, vcc, s4, v28
	v_addc_co_u32_e32 v29, vcc, v19, v29, vcc
	global_store_dwordx2 v[28:29], v[6:7], off
.LBB1061_267:
	s_or_b64 exec, exec, s[2:3]
	v_cmp_lt_u32_e32 vcc, v24, v17
	s_or_b64 s[4:5], s[30:31], vcc
	s_and_saveexec_b64 s[2:3], s[4:5]
	s_cbranch_execz .LBB1061_270
; %bb.268:
	v_and_b32_e32 v19, 1, v1
	v_cmp_eq_u32_e32 vcc, 1, v19
	s_and_b64 exec, exec, vcc
	s_cbranch_execz .LBB1061_270
; %bb.269:
	s_lshl_b64 s[4:5], s[22:23], 3
	s_add_u32 s4, s28, s4
	v_mov_b32_e32 v25, 0
	s_addc_u32 s5, s29, s5
	v_lshlrev_b64 v[28:29], 3, v[24:25]
	v_mov_b32_e32 v19, s5
	v_add_co_u32_e32 v28, vcc, s4, v28
	v_addc_co_u32_e32 v29, vcc, v19, v29, vcc
	global_store_dwordx2 v[28:29], v[8:9], off
.LBB1061_270:
	s_or_b64 exec, exec, s[2:3]
	v_cmp_lt_u32_e32 vcc, v22, v17
	s_or_b64 s[4:5], s[30:31], vcc
	s_and_saveexec_b64 s[2:3], s[4:5]
	s_cbranch_execz .LBB1061_273
; %bb.271:
	v_mov_b32_e32 v19, 1
	v_and_b32_sdwa v19, v19, v12 dst_sel:DWORD dst_unused:UNUSED_PAD src0_sel:DWORD src1_sel:WORD_1
	v_cmp_eq_u32_e32 vcc, 1, v19
	s_and_b64 exec, exec, vcc
	s_cbranch_execz .LBB1061_273
; %bb.272:
	s_lshl_b64 s[4:5], s[22:23], 3
	s_add_u32 s4, s28, s4
	v_mov_b32_e32 v23, 0
	s_addc_u32 s5, s29, s5
	v_lshlrev_b64 v[28:29], 3, v[22:23]
	v_mov_b32_e32 v19, s5
	v_add_co_u32_e32 v28, vcc, s4, v28
	v_addc_co_u32_e32 v29, vcc, v19, v29, vcc
	global_store_dwordx2 v[28:29], v[2:3], off
.LBB1061_273:
	s_or_b64 exec, exec, s[2:3]
	v_cmp_lt_u32_e32 vcc, v20, v17
	s_or_b64 s[4:5], s[30:31], vcc
	s_and_saveexec_b64 s[2:3], s[4:5]
	s_cbranch_execz .LBB1061_276
; %bb.274:
	v_and_b32_e32 v19, 1, v16
	v_cmp_eq_u32_e32 vcc, 1, v19
	s_and_b64 exec, exec, vcc
	s_cbranch_execz .LBB1061_276
; %bb.275:
	s_lshl_b64 s[4:5], s[22:23], 3
	s_add_u32 s4, s28, s4
	v_mov_b32_e32 v21, 0
	s_addc_u32 s5, s29, s5
	v_lshlrev_b64 v[28:29], 3, v[20:21]
	v_mov_b32_e32 v19, s5
	v_add_co_u32_e32 v28, vcc, s4, v28
	v_addc_co_u32_e32 v29, vcc, v19, v29, vcc
	global_store_dwordx2 v[28:29], v[4:5], off
.LBB1061_276:
	s_or_b64 exec, exec, s[2:3]
	v_cmp_lt_u32_e32 vcc, v18, v17
	s_or_b64 s[4:5], s[30:31], vcc
	s_and_saveexec_b64 s[2:3], s[4:5]
	s_cbranch_execz .LBB1061_279
; %bb.277:
	v_and_b32_e32 v17, 1, v13
	v_cmp_eq_u32_e32 vcc, 1, v17
	s_and_b64 exec, exec, vcc
	s_cbranch_execz .LBB1061_279
; %bb.278:
	s_lshl_b64 s[4:5], s[22:23], 3
	s_add_u32 s4, s28, s4
	v_mov_b32_e32 v19, 0
	s_addc_u32 s5, s29, s5
	v_lshlrev_b64 v[28:29], 3, v[18:19]
	v_mov_b32_e32 v17, s5
	v_add_co_u32_e32 v28, vcc, s4, v28
	v_addc_co_u32_e32 v29, vcc, v17, v29, vcc
	global_store_dwordx2 v[28:29], v[10:11], off
.LBB1061_279:
	s_or_b64 exec, exec, s[2:3]
	s_branch .LBB1061_262
.LBB1061_280:
	v_and_b32_e32 v17, 1, v12
	v_cmp_eq_u32_e32 vcc, 1, v17
	s_and_saveexec_b64 s[2:3], vcc
	s_cbranch_execz .LBB1061_282
; %bb.281:
	v_sub_u32_e32 v17, v26, v15
	v_lshlrev_b32_e32 v17, 3, v17
	ds_write_b64 v17, v[6:7]
.LBB1061_282:
	s_or_b64 exec, exec, s[2:3]
	v_and_b32_e32 v1, 1, v1
	v_cmp_eq_u32_e32 vcc, 1, v1
	s_and_saveexec_b64 s[2:3], vcc
	s_cbranch_execz .LBB1061_284
; %bb.283:
	v_sub_u32_e32 v1, v24, v15
	v_lshlrev_b32_e32 v1, 3, v1
	ds_write_b64 v1, v[8:9]
.LBB1061_284:
	s_or_b64 exec, exec, s[2:3]
	v_mov_b32_e32 v1, 1
	v_and_b32_sdwa v1, v1, v12 dst_sel:DWORD dst_unused:UNUSED_PAD src0_sel:DWORD src1_sel:WORD_1
	v_cmp_eq_u32_e32 vcc, 1, v1
	s_and_saveexec_b64 s[2:3], vcc
	s_cbranch_execz .LBB1061_286
; %bb.285:
	v_sub_u32_e32 v1, v22, v15
	v_lshlrev_b32_e32 v1, 3, v1
	ds_write_b64 v1, v[2:3]
.LBB1061_286:
	s_or_b64 exec, exec, s[2:3]
	v_and_b32_e32 v1, 1, v16
	v_cmp_eq_u32_e32 vcc, 1, v1
	s_and_saveexec_b64 s[2:3], vcc
	s_cbranch_execz .LBB1061_288
; %bb.287:
	v_sub_u32_e32 v1, v20, v15
	v_lshlrev_b32_e32 v1, 3, v1
	ds_write_b64 v1, v[4:5]
.LBB1061_288:
	s_or_b64 exec, exec, s[2:3]
	v_and_b32_e32 v1, 1, v13
	v_cmp_eq_u32_e32 vcc, 1, v1
	s_and_saveexec_b64 s[2:3], vcc
	s_cbranch_execz .LBB1061_290
; %bb.289:
	v_sub_u32_e32 v1, v18, v15
	v_lshlrev_b32_e32 v1, 3, v1
	ds_write_b64 v1, v[10:11]
.LBB1061_290:
	s_or_b64 exec, exec, s[2:3]
	v_cmp_lt_u32_e32 vcc, v0, v14
	s_waitcnt lgkmcnt(0)
	s_barrier
	s_and_saveexec_b64 s[2:3], vcc
	s_cbranch_execz .LBB1061_293
; %bb.291:
	v_mov_b32_e32 v1, 0
	v_mov_b32_e32 v2, v15
	;; [unrolled: 1-line block ×3, first 2 shown]
	v_lshlrev_b64 v[2:3], 3, v[2:3]
	v_mov_b32_e32 v4, s29
	v_add_co_u32_e32 v2, vcc, s28, v2
	v_addc_co_u32_e32 v3, vcc, v4, v3, vcc
	s_lshl_b64 s[4:5], s[22:23], 3
	v_mov_b32_e32 v4, s5
	v_add_co_u32_e32 v2, vcc, s4, v2
	v_addc_co_u32_e32 v3, vcc, v3, v4, vcc
	v_lshlrev_b32_e32 v4, 3, v0
	s_mov_b64 s[4:5], 0
.LBB1061_292:                           ; =>This Inner Loop Header: Depth=1
	ds_read_b64 v[6:7], v4
	v_lshlrev_b64 v[8:9], 3, v[0:1]
	v_add_co_u32_e32 v8, vcc, v2, v8
	v_add_u32_e32 v0, 0x100, v0
	v_addc_co_u32_e32 v9, vcc, v3, v9, vcc
	v_cmp_ge_u32_e32 vcc, v0, v14
	v_add_u32_e32 v4, 0x800, v4
	s_or_b64 s[4:5], vcc, s[4:5]
	s_waitcnt lgkmcnt(0)
	global_store_dwordx2 v[8:9], v[6:7], off
	s_andn2_b64 exec, exec, s[4:5]
	s_cbranch_execnz .LBB1061_292
.LBB1061_293:
	s_or_b64 exec, exec, s[2:3]
	s_and_b64 s[0:1], s[0:1], s[24:25]
	s_and_saveexec_b64 s[2:3], s[0:1]
	s_cbranch_execz .LBB1061_263
.LBB1061_294:
	v_mov_b32_e32 v0, s23
	v_add_co_u32_e32 v1, vcc, s22, v14
	v_addc_co_u32_e32 v3, vcc, 0, v0, vcc
	v_add_co_u32_e32 v0, vcc, v1, v15
	v_mov_b32_e32 v2, 0
	v_addc_co_u32_e32 v1, vcc, 0, v3, vcc
	global_store_dwordx2 v2, v[0:1], s[20:21]
	s_endpgm
	.section	.rodata,"a",@progbits
	.p2align	6, 0x0
	.amdhsa_kernel _ZN7rocprim17ROCPRIM_400000_NS6detail17trampoline_kernelINS0_14default_configENS1_25partition_config_selectorILNS1_17partition_subalgoE8ElNS0_10empty_typeEbEEZZNS1_14partition_implILS5_8ELb0ES3_jPlPS6_PKS6_NS0_5tupleIJS9_S6_EEENSD_IJSA_SA_EEENS0_18inequality_wrapperIZN2at6native12_GLOBAL__N_124unique_dim_cuda_templateIbEESt5tupleIJNSH_6TensorESM_SM_EERKSM_lbbbEUlllE0_EEPmJS6_EEE10hipError_tPvRmT3_T4_T5_T6_T7_T9_mT8_P12ihipStream_tbDpT10_ENKUlT_T0_E_clISt17integral_constantIbLb1EES1C_EEDaS17_S18_EUlS17_E_NS1_11comp_targetILNS1_3genE4ELNS1_11target_archE910ELNS1_3gpuE8ELNS1_3repE0EEENS1_30default_config_static_selectorELNS0_4arch9wavefront6targetE1EEEvT1_
		.amdhsa_group_segment_fixed_size 10252
		.amdhsa_private_segment_fixed_size 0
		.amdhsa_kernarg_size 136
		.amdhsa_user_sgpr_count 6
		.amdhsa_user_sgpr_private_segment_buffer 1
		.amdhsa_user_sgpr_dispatch_ptr 0
		.amdhsa_user_sgpr_queue_ptr 0
		.amdhsa_user_sgpr_kernarg_segment_ptr 1
		.amdhsa_user_sgpr_dispatch_id 0
		.amdhsa_user_sgpr_flat_scratch_init 0
		.amdhsa_user_sgpr_kernarg_preload_length 0
		.amdhsa_user_sgpr_kernarg_preload_offset 0
		.amdhsa_user_sgpr_private_segment_size 0
		.amdhsa_uses_dynamic_stack 0
		.amdhsa_system_sgpr_private_segment_wavefront_offset 0
		.amdhsa_system_sgpr_workgroup_id_x 1
		.amdhsa_system_sgpr_workgroup_id_y 0
		.amdhsa_system_sgpr_workgroup_id_z 0
		.amdhsa_system_sgpr_workgroup_info 0
		.amdhsa_system_vgpr_workitem_id 0
		.amdhsa_next_free_vgpr 46
		.amdhsa_next_free_sgpr 52
		.amdhsa_accum_offset 48
		.amdhsa_reserve_vcc 1
		.amdhsa_reserve_flat_scratch 0
		.amdhsa_float_round_mode_32 0
		.amdhsa_float_round_mode_16_64 0
		.amdhsa_float_denorm_mode_32 3
		.amdhsa_float_denorm_mode_16_64 3
		.amdhsa_dx10_clamp 1
		.amdhsa_ieee_mode 1
		.amdhsa_fp16_overflow 0
		.amdhsa_tg_split 0
		.amdhsa_exception_fp_ieee_invalid_op 0
		.amdhsa_exception_fp_denorm_src 0
		.amdhsa_exception_fp_ieee_div_zero 0
		.amdhsa_exception_fp_ieee_overflow 0
		.amdhsa_exception_fp_ieee_underflow 0
		.amdhsa_exception_fp_ieee_inexact 0
		.amdhsa_exception_int_div_zero 0
	.end_amdhsa_kernel
	.section	.text._ZN7rocprim17ROCPRIM_400000_NS6detail17trampoline_kernelINS0_14default_configENS1_25partition_config_selectorILNS1_17partition_subalgoE8ElNS0_10empty_typeEbEEZZNS1_14partition_implILS5_8ELb0ES3_jPlPS6_PKS6_NS0_5tupleIJS9_S6_EEENSD_IJSA_SA_EEENS0_18inequality_wrapperIZN2at6native12_GLOBAL__N_124unique_dim_cuda_templateIbEESt5tupleIJNSH_6TensorESM_SM_EERKSM_lbbbEUlllE0_EEPmJS6_EEE10hipError_tPvRmT3_T4_T5_T6_T7_T9_mT8_P12ihipStream_tbDpT10_ENKUlT_T0_E_clISt17integral_constantIbLb1EES1C_EEDaS17_S18_EUlS17_E_NS1_11comp_targetILNS1_3genE4ELNS1_11target_archE910ELNS1_3gpuE8ELNS1_3repE0EEENS1_30default_config_static_selectorELNS0_4arch9wavefront6targetE1EEEvT1_,"axG",@progbits,_ZN7rocprim17ROCPRIM_400000_NS6detail17trampoline_kernelINS0_14default_configENS1_25partition_config_selectorILNS1_17partition_subalgoE8ElNS0_10empty_typeEbEEZZNS1_14partition_implILS5_8ELb0ES3_jPlPS6_PKS6_NS0_5tupleIJS9_S6_EEENSD_IJSA_SA_EEENS0_18inequality_wrapperIZN2at6native12_GLOBAL__N_124unique_dim_cuda_templateIbEESt5tupleIJNSH_6TensorESM_SM_EERKSM_lbbbEUlllE0_EEPmJS6_EEE10hipError_tPvRmT3_T4_T5_T6_T7_T9_mT8_P12ihipStream_tbDpT10_ENKUlT_T0_E_clISt17integral_constantIbLb1EES1C_EEDaS17_S18_EUlS17_E_NS1_11comp_targetILNS1_3genE4ELNS1_11target_archE910ELNS1_3gpuE8ELNS1_3repE0EEENS1_30default_config_static_selectorELNS0_4arch9wavefront6targetE1EEEvT1_,comdat
.Lfunc_end1061:
	.size	_ZN7rocprim17ROCPRIM_400000_NS6detail17trampoline_kernelINS0_14default_configENS1_25partition_config_selectorILNS1_17partition_subalgoE8ElNS0_10empty_typeEbEEZZNS1_14partition_implILS5_8ELb0ES3_jPlPS6_PKS6_NS0_5tupleIJS9_S6_EEENSD_IJSA_SA_EEENS0_18inequality_wrapperIZN2at6native12_GLOBAL__N_124unique_dim_cuda_templateIbEESt5tupleIJNSH_6TensorESM_SM_EERKSM_lbbbEUlllE0_EEPmJS6_EEE10hipError_tPvRmT3_T4_T5_T6_T7_T9_mT8_P12ihipStream_tbDpT10_ENKUlT_T0_E_clISt17integral_constantIbLb1EES1C_EEDaS17_S18_EUlS17_E_NS1_11comp_targetILNS1_3genE4ELNS1_11target_archE910ELNS1_3gpuE8ELNS1_3repE0EEENS1_30default_config_static_selectorELNS0_4arch9wavefront6targetE1EEEvT1_, .Lfunc_end1061-_ZN7rocprim17ROCPRIM_400000_NS6detail17trampoline_kernelINS0_14default_configENS1_25partition_config_selectorILNS1_17partition_subalgoE8ElNS0_10empty_typeEbEEZZNS1_14partition_implILS5_8ELb0ES3_jPlPS6_PKS6_NS0_5tupleIJS9_S6_EEENSD_IJSA_SA_EEENS0_18inequality_wrapperIZN2at6native12_GLOBAL__N_124unique_dim_cuda_templateIbEESt5tupleIJNSH_6TensorESM_SM_EERKSM_lbbbEUlllE0_EEPmJS6_EEE10hipError_tPvRmT3_T4_T5_T6_T7_T9_mT8_P12ihipStream_tbDpT10_ENKUlT_T0_E_clISt17integral_constantIbLb1EES1C_EEDaS17_S18_EUlS17_E_NS1_11comp_targetILNS1_3genE4ELNS1_11target_archE910ELNS1_3gpuE8ELNS1_3repE0EEENS1_30default_config_static_selectorELNS0_4arch9wavefront6targetE1EEEvT1_
                                        ; -- End function
	.section	.AMDGPU.csdata,"",@progbits
; Kernel info:
; codeLenInByte = 11024
; NumSgprs: 56
; NumVgprs: 46
; NumAgprs: 0
; TotalNumVgprs: 46
; ScratchSize: 0
; MemoryBound: 0
; FloatMode: 240
; IeeeMode: 1
; LDSByteSize: 10252 bytes/workgroup (compile time only)
; SGPRBlocks: 6
; VGPRBlocks: 5
; NumSGPRsForWavesPerEU: 56
; NumVGPRsForWavesPerEU: 46
; AccumOffset: 48
; Occupancy: 6
; WaveLimiterHint : 1
; COMPUTE_PGM_RSRC2:SCRATCH_EN: 0
; COMPUTE_PGM_RSRC2:USER_SGPR: 6
; COMPUTE_PGM_RSRC2:TRAP_HANDLER: 0
; COMPUTE_PGM_RSRC2:TGID_X_EN: 1
; COMPUTE_PGM_RSRC2:TGID_Y_EN: 0
; COMPUTE_PGM_RSRC2:TGID_Z_EN: 0
; COMPUTE_PGM_RSRC2:TIDIG_COMP_CNT: 0
; COMPUTE_PGM_RSRC3_GFX90A:ACCUM_OFFSET: 11
; COMPUTE_PGM_RSRC3_GFX90A:TG_SPLIT: 0
	.section	.text._ZN7rocprim17ROCPRIM_400000_NS6detail17trampoline_kernelINS0_14default_configENS1_25partition_config_selectorILNS1_17partition_subalgoE8ElNS0_10empty_typeEbEEZZNS1_14partition_implILS5_8ELb0ES3_jPlPS6_PKS6_NS0_5tupleIJS9_S6_EEENSD_IJSA_SA_EEENS0_18inequality_wrapperIZN2at6native12_GLOBAL__N_124unique_dim_cuda_templateIbEESt5tupleIJNSH_6TensorESM_SM_EERKSM_lbbbEUlllE0_EEPmJS6_EEE10hipError_tPvRmT3_T4_T5_T6_T7_T9_mT8_P12ihipStream_tbDpT10_ENKUlT_T0_E_clISt17integral_constantIbLb1EES1C_EEDaS17_S18_EUlS17_E_NS1_11comp_targetILNS1_3genE3ELNS1_11target_archE908ELNS1_3gpuE7ELNS1_3repE0EEENS1_30default_config_static_selectorELNS0_4arch9wavefront6targetE1EEEvT1_,"axG",@progbits,_ZN7rocprim17ROCPRIM_400000_NS6detail17trampoline_kernelINS0_14default_configENS1_25partition_config_selectorILNS1_17partition_subalgoE8ElNS0_10empty_typeEbEEZZNS1_14partition_implILS5_8ELb0ES3_jPlPS6_PKS6_NS0_5tupleIJS9_S6_EEENSD_IJSA_SA_EEENS0_18inequality_wrapperIZN2at6native12_GLOBAL__N_124unique_dim_cuda_templateIbEESt5tupleIJNSH_6TensorESM_SM_EERKSM_lbbbEUlllE0_EEPmJS6_EEE10hipError_tPvRmT3_T4_T5_T6_T7_T9_mT8_P12ihipStream_tbDpT10_ENKUlT_T0_E_clISt17integral_constantIbLb1EES1C_EEDaS17_S18_EUlS17_E_NS1_11comp_targetILNS1_3genE3ELNS1_11target_archE908ELNS1_3gpuE7ELNS1_3repE0EEENS1_30default_config_static_selectorELNS0_4arch9wavefront6targetE1EEEvT1_,comdat
	.globl	_ZN7rocprim17ROCPRIM_400000_NS6detail17trampoline_kernelINS0_14default_configENS1_25partition_config_selectorILNS1_17partition_subalgoE8ElNS0_10empty_typeEbEEZZNS1_14partition_implILS5_8ELb0ES3_jPlPS6_PKS6_NS0_5tupleIJS9_S6_EEENSD_IJSA_SA_EEENS0_18inequality_wrapperIZN2at6native12_GLOBAL__N_124unique_dim_cuda_templateIbEESt5tupleIJNSH_6TensorESM_SM_EERKSM_lbbbEUlllE0_EEPmJS6_EEE10hipError_tPvRmT3_T4_T5_T6_T7_T9_mT8_P12ihipStream_tbDpT10_ENKUlT_T0_E_clISt17integral_constantIbLb1EES1C_EEDaS17_S18_EUlS17_E_NS1_11comp_targetILNS1_3genE3ELNS1_11target_archE908ELNS1_3gpuE7ELNS1_3repE0EEENS1_30default_config_static_selectorELNS0_4arch9wavefront6targetE1EEEvT1_ ; -- Begin function _ZN7rocprim17ROCPRIM_400000_NS6detail17trampoline_kernelINS0_14default_configENS1_25partition_config_selectorILNS1_17partition_subalgoE8ElNS0_10empty_typeEbEEZZNS1_14partition_implILS5_8ELb0ES3_jPlPS6_PKS6_NS0_5tupleIJS9_S6_EEENSD_IJSA_SA_EEENS0_18inequality_wrapperIZN2at6native12_GLOBAL__N_124unique_dim_cuda_templateIbEESt5tupleIJNSH_6TensorESM_SM_EERKSM_lbbbEUlllE0_EEPmJS6_EEE10hipError_tPvRmT3_T4_T5_T6_T7_T9_mT8_P12ihipStream_tbDpT10_ENKUlT_T0_E_clISt17integral_constantIbLb1EES1C_EEDaS17_S18_EUlS17_E_NS1_11comp_targetILNS1_3genE3ELNS1_11target_archE908ELNS1_3gpuE7ELNS1_3repE0EEENS1_30default_config_static_selectorELNS0_4arch9wavefront6targetE1EEEvT1_
	.p2align	8
	.type	_ZN7rocprim17ROCPRIM_400000_NS6detail17trampoline_kernelINS0_14default_configENS1_25partition_config_selectorILNS1_17partition_subalgoE8ElNS0_10empty_typeEbEEZZNS1_14partition_implILS5_8ELb0ES3_jPlPS6_PKS6_NS0_5tupleIJS9_S6_EEENSD_IJSA_SA_EEENS0_18inequality_wrapperIZN2at6native12_GLOBAL__N_124unique_dim_cuda_templateIbEESt5tupleIJNSH_6TensorESM_SM_EERKSM_lbbbEUlllE0_EEPmJS6_EEE10hipError_tPvRmT3_T4_T5_T6_T7_T9_mT8_P12ihipStream_tbDpT10_ENKUlT_T0_E_clISt17integral_constantIbLb1EES1C_EEDaS17_S18_EUlS17_E_NS1_11comp_targetILNS1_3genE3ELNS1_11target_archE908ELNS1_3gpuE7ELNS1_3repE0EEENS1_30default_config_static_selectorELNS0_4arch9wavefront6targetE1EEEvT1_,@function
_ZN7rocprim17ROCPRIM_400000_NS6detail17trampoline_kernelINS0_14default_configENS1_25partition_config_selectorILNS1_17partition_subalgoE8ElNS0_10empty_typeEbEEZZNS1_14partition_implILS5_8ELb0ES3_jPlPS6_PKS6_NS0_5tupleIJS9_S6_EEENSD_IJSA_SA_EEENS0_18inequality_wrapperIZN2at6native12_GLOBAL__N_124unique_dim_cuda_templateIbEESt5tupleIJNSH_6TensorESM_SM_EERKSM_lbbbEUlllE0_EEPmJS6_EEE10hipError_tPvRmT3_T4_T5_T6_T7_T9_mT8_P12ihipStream_tbDpT10_ENKUlT_T0_E_clISt17integral_constantIbLb1EES1C_EEDaS17_S18_EUlS17_E_NS1_11comp_targetILNS1_3genE3ELNS1_11target_archE908ELNS1_3gpuE7ELNS1_3repE0EEENS1_30default_config_static_selectorELNS0_4arch9wavefront6targetE1EEEvT1_: ; @_ZN7rocprim17ROCPRIM_400000_NS6detail17trampoline_kernelINS0_14default_configENS1_25partition_config_selectorILNS1_17partition_subalgoE8ElNS0_10empty_typeEbEEZZNS1_14partition_implILS5_8ELb0ES3_jPlPS6_PKS6_NS0_5tupleIJS9_S6_EEENSD_IJSA_SA_EEENS0_18inequality_wrapperIZN2at6native12_GLOBAL__N_124unique_dim_cuda_templateIbEESt5tupleIJNSH_6TensorESM_SM_EERKSM_lbbbEUlllE0_EEPmJS6_EEE10hipError_tPvRmT3_T4_T5_T6_T7_T9_mT8_P12ihipStream_tbDpT10_ENKUlT_T0_E_clISt17integral_constantIbLb1EES1C_EEDaS17_S18_EUlS17_E_NS1_11comp_targetILNS1_3genE3ELNS1_11target_archE908ELNS1_3gpuE7ELNS1_3repE0EEENS1_30default_config_static_selectorELNS0_4arch9wavefront6targetE1EEEvT1_
; %bb.0:
	.section	.rodata,"a",@progbits
	.p2align	6, 0x0
	.amdhsa_kernel _ZN7rocprim17ROCPRIM_400000_NS6detail17trampoline_kernelINS0_14default_configENS1_25partition_config_selectorILNS1_17partition_subalgoE8ElNS0_10empty_typeEbEEZZNS1_14partition_implILS5_8ELb0ES3_jPlPS6_PKS6_NS0_5tupleIJS9_S6_EEENSD_IJSA_SA_EEENS0_18inequality_wrapperIZN2at6native12_GLOBAL__N_124unique_dim_cuda_templateIbEESt5tupleIJNSH_6TensorESM_SM_EERKSM_lbbbEUlllE0_EEPmJS6_EEE10hipError_tPvRmT3_T4_T5_T6_T7_T9_mT8_P12ihipStream_tbDpT10_ENKUlT_T0_E_clISt17integral_constantIbLb1EES1C_EEDaS17_S18_EUlS17_E_NS1_11comp_targetILNS1_3genE3ELNS1_11target_archE908ELNS1_3gpuE7ELNS1_3repE0EEENS1_30default_config_static_selectorELNS0_4arch9wavefront6targetE1EEEvT1_
		.amdhsa_group_segment_fixed_size 0
		.amdhsa_private_segment_fixed_size 0
		.amdhsa_kernarg_size 136
		.amdhsa_user_sgpr_count 6
		.amdhsa_user_sgpr_private_segment_buffer 1
		.amdhsa_user_sgpr_dispatch_ptr 0
		.amdhsa_user_sgpr_queue_ptr 0
		.amdhsa_user_sgpr_kernarg_segment_ptr 1
		.amdhsa_user_sgpr_dispatch_id 0
		.amdhsa_user_sgpr_flat_scratch_init 0
		.amdhsa_user_sgpr_kernarg_preload_length 0
		.amdhsa_user_sgpr_kernarg_preload_offset 0
		.amdhsa_user_sgpr_private_segment_size 0
		.amdhsa_uses_dynamic_stack 0
		.amdhsa_system_sgpr_private_segment_wavefront_offset 0
		.amdhsa_system_sgpr_workgroup_id_x 1
		.amdhsa_system_sgpr_workgroup_id_y 0
		.amdhsa_system_sgpr_workgroup_id_z 0
		.amdhsa_system_sgpr_workgroup_info 0
		.amdhsa_system_vgpr_workitem_id 0
		.amdhsa_next_free_vgpr 1
		.amdhsa_next_free_sgpr 0
		.amdhsa_accum_offset 4
		.amdhsa_reserve_vcc 0
		.amdhsa_reserve_flat_scratch 0
		.amdhsa_float_round_mode_32 0
		.amdhsa_float_round_mode_16_64 0
		.amdhsa_float_denorm_mode_32 3
		.amdhsa_float_denorm_mode_16_64 3
		.amdhsa_dx10_clamp 1
		.amdhsa_ieee_mode 1
		.amdhsa_fp16_overflow 0
		.amdhsa_tg_split 0
		.amdhsa_exception_fp_ieee_invalid_op 0
		.amdhsa_exception_fp_denorm_src 0
		.amdhsa_exception_fp_ieee_div_zero 0
		.amdhsa_exception_fp_ieee_overflow 0
		.amdhsa_exception_fp_ieee_underflow 0
		.amdhsa_exception_fp_ieee_inexact 0
		.amdhsa_exception_int_div_zero 0
	.end_amdhsa_kernel
	.section	.text._ZN7rocprim17ROCPRIM_400000_NS6detail17trampoline_kernelINS0_14default_configENS1_25partition_config_selectorILNS1_17partition_subalgoE8ElNS0_10empty_typeEbEEZZNS1_14partition_implILS5_8ELb0ES3_jPlPS6_PKS6_NS0_5tupleIJS9_S6_EEENSD_IJSA_SA_EEENS0_18inequality_wrapperIZN2at6native12_GLOBAL__N_124unique_dim_cuda_templateIbEESt5tupleIJNSH_6TensorESM_SM_EERKSM_lbbbEUlllE0_EEPmJS6_EEE10hipError_tPvRmT3_T4_T5_T6_T7_T9_mT8_P12ihipStream_tbDpT10_ENKUlT_T0_E_clISt17integral_constantIbLb1EES1C_EEDaS17_S18_EUlS17_E_NS1_11comp_targetILNS1_3genE3ELNS1_11target_archE908ELNS1_3gpuE7ELNS1_3repE0EEENS1_30default_config_static_selectorELNS0_4arch9wavefront6targetE1EEEvT1_,"axG",@progbits,_ZN7rocprim17ROCPRIM_400000_NS6detail17trampoline_kernelINS0_14default_configENS1_25partition_config_selectorILNS1_17partition_subalgoE8ElNS0_10empty_typeEbEEZZNS1_14partition_implILS5_8ELb0ES3_jPlPS6_PKS6_NS0_5tupleIJS9_S6_EEENSD_IJSA_SA_EEENS0_18inequality_wrapperIZN2at6native12_GLOBAL__N_124unique_dim_cuda_templateIbEESt5tupleIJNSH_6TensorESM_SM_EERKSM_lbbbEUlllE0_EEPmJS6_EEE10hipError_tPvRmT3_T4_T5_T6_T7_T9_mT8_P12ihipStream_tbDpT10_ENKUlT_T0_E_clISt17integral_constantIbLb1EES1C_EEDaS17_S18_EUlS17_E_NS1_11comp_targetILNS1_3genE3ELNS1_11target_archE908ELNS1_3gpuE7ELNS1_3repE0EEENS1_30default_config_static_selectorELNS0_4arch9wavefront6targetE1EEEvT1_,comdat
.Lfunc_end1062:
	.size	_ZN7rocprim17ROCPRIM_400000_NS6detail17trampoline_kernelINS0_14default_configENS1_25partition_config_selectorILNS1_17partition_subalgoE8ElNS0_10empty_typeEbEEZZNS1_14partition_implILS5_8ELb0ES3_jPlPS6_PKS6_NS0_5tupleIJS9_S6_EEENSD_IJSA_SA_EEENS0_18inequality_wrapperIZN2at6native12_GLOBAL__N_124unique_dim_cuda_templateIbEESt5tupleIJNSH_6TensorESM_SM_EERKSM_lbbbEUlllE0_EEPmJS6_EEE10hipError_tPvRmT3_T4_T5_T6_T7_T9_mT8_P12ihipStream_tbDpT10_ENKUlT_T0_E_clISt17integral_constantIbLb1EES1C_EEDaS17_S18_EUlS17_E_NS1_11comp_targetILNS1_3genE3ELNS1_11target_archE908ELNS1_3gpuE7ELNS1_3repE0EEENS1_30default_config_static_selectorELNS0_4arch9wavefront6targetE1EEEvT1_, .Lfunc_end1062-_ZN7rocprim17ROCPRIM_400000_NS6detail17trampoline_kernelINS0_14default_configENS1_25partition_config_selectorILNS1_17partition_subalgoE8ElNS0_10empty_typeEbEEZZNS1_14partition_implILS5_8ELb0ES3_jPlPS6_PKS6_NS0_5tupleIJS9_S6_EEENSD_IJSA_SA_EEENS0_18inequality_wrapperIZN2at6native12_GLOBAL__N_124unique_dim_cuda_templateIbEESt5tupleIJNSH_6TensorESM_SM_EERKSM_lbbbEUlllE0_EEPmJS6_EEE10hipError_tPvRmT3_T4_T5_T6_T7_T9_mT8_P12ihipStream_tbDpT10_ENKUlT_T0_E_clISt17integral_constantIbLb1EES1C_EEDaS17_S18_EUlS17_E_NS1_11comp_targetILNS1_3genE3ELNS1_11target_archE908ELNS1_3gpuE7ELNS1_3repE0EEENS1_30default_config_static_selectorELNS0_4arch9wavefront6targetE1EEEvT1_
                                        ; -- End function
	.section	.AMDGPU.csdata,"",@progbits
; Kernel info:
; codeLenInByte = 0
; NumSgprs: 4
; NumVgprs: 0
; NumAgprs: 0
; TotalNumVgprs: 0
; ScratchSize: 0
; MemoryBound: 0
; FloatMode: 240
; IeeeMode: 1
; LDSByteSize: 0 bytes/workgroup (compile time only)
; SGPRBlocks: 0
; VGPRBlocks: 0
; NumSGPRsForWavesPerEU: 4
; NumVGPRsForWavesPerEU: 1
; AccumOffset: 4
; Occupancy: 8
; WaveLimiterHint : 0
; COMPUTE_PGM_RSRC2:SCRATCH_EN: 0
; COMPUTE_PGM_RSRC2:USER_SGPR: 6
; COMPUTE_PGM_RSRC2:TRAP_HANDLER: 0
; COMPUTE_PGM_RSRC2:TGID_X_EN: 1
; COMPUTE_PGM_RSRC2:TGID_Y_EN: 0
; COMPUTE_PGM_RSRC2:TGID_Z_EN: 0
; COMPUTE_PGM_RSRC2:TIDIG_COMP_CNT: 0
; COMPUTE_PGM_RSRC3_GFX90A:ACCUM_OFFSET: 0
; COMPUTE_PGM_RSRC3_GFX90A:TG_SPLIT: 0
	.section	.text._ZN7rocprim17ROCPRIM_400000_NS6detail17trampoline_kernelINS0_14default_configENS1_25partition_config_selectorILNS1_17partition_subalgoE8ElNS0_10empty_typeEbEEZZNS1_14partition_implILS5_8ELb0ES3_jPlPS6_PKS6_NS0_5tupleIJS9_S6_EEENSD_IJSA_SA_EEENS0_18inequality_wrapperIZN2at6native12_GLOBAL__N_124unique_dim_cuda_templateIbEESt5tupleIJNSH_6TensorESM_SM_EERKSM_lbbbEUlllE0_EEPmJS6_EEE10hipError_tPvRmT3_T4_T5_T6_T7_T9_mT8_P12ihipStream_tbDpT10_ENKUlT_T0_E_clISt17integral_constantIbLb1EES1C_EEDaS17_S18_EUlS17_E_NS1_11comp_targetILNS1_3genE2ELNS1_11target_archE906ELNS1_3gpuE6ELNS1_3repE0EEENS1_30default_config_static_selectorELNS0_4arch9wavefront6targetE1EEEvT1_,"axG",@progbits,_ZN7rocprim17ROCPRIM_400000_NS6detail17trampoline_kernelINS0_14default_configENS1_25partition_config_selectorILNS1_17partition_subalgoE8ElNS0_10empty_typeEbEEZZNS1_14partition_implILS5_8ELb0ES3_jPlPS6_PKS6_NS0_5tupleIJS9_S6_EEENSD_IJSA_SA_EEENS0_18inequality_wrapperIZN2at6native12_GLOBAL__N_124unique_dim_cuda_templateIbEESt5tupleIJNSH_6TensorESM_SM_EERKSM_lbbbEUlllE0_EEPmJS6_EEE10hipError_tPvRmT3_T4_T5_T6_T7_T9_mT8_P12ihipStream_tbDpT10_ENKUlT_T0_E_clISt17integral_constantIbLb1EES1C_EEDaS17_S18_EUlS17_E_NS1_11comp_targetILNS1_3genE2ELNS1_11target_archE906ELNS1_3gpuE6ELNS1_3repE0EEENS1_30default_config_static_selectorELNS0_4arch9wavefront6targetE1EEEvT1_,comdat
	.globl	_ZN7rocprim17ROCPRIM_400000_NS6detail17trampoline_kernelINS0_14default_configENS1_25partition_config_selectorILNS1_17partition_subalgoE8ElNS0_10empty_typeEbEEZZNS1_14partition_implILS5_8ELb0ES3_jPlPS6_PKS6_NS0_5tupleIJS9_S6_EEENSD_IJSA_SA_EEENS0_18inequality_wrapperIZN2at6native12_GLOBAL__N_124unique_dim_cuda_templateIbEESt5tupleIJNSH_6TensorESM_SM_EERKSM_lbbbEUlllE0_EEPmJS6_EEE10hipError_tPvRmT3_T4_T5_T6_T7_T9_mT8_P12ihipStream_tbDpT10_ENKUlT_T0_E_clISt17integral_constantIbLb1EES1C_EEDaS17_S18_EUlS17_E_NS1_11comp_targetILNS1_3genE2ELNS1_11target_archE906ELNS1_3gpuE6ELNS1_3repE0EEENS1_30default_config_static_selectorELNS0_4arch9wavefront6targetE1EEEvT1_ ; -- Begin function _ZN7rocprim17ROCPRIM_400000_NS6detail17trampoline_kernelINS0_14default_configENS1_25partition_config_selectorILNS1_17partition_subalgoE8ElNS0_10empty_typeEbEEZZNS1_14partition_implILS5_8ELb0ES3_jPlPS6_PKS6_NS0_5tupleIJS9_S6_EEENSD_IJSA_SA_EEENS0_18inequality_wrapperIZN2at6native12_GLOBAL__N_124unique_dim_cuda_templateIbEESt5tupleIJNSH_6TensorESM_SM_EERKSM_lbbbEUlllE0_EEPmJS6_EEE10hipError_tPvRmT3_T4_T5_T6_T7_T9_mT8_P12ihipStream_tbDpT10_ENKUlT_T0_E_clISt17integral_constantIbLb1EES1C_EEDaS17_S18_EUlS17_E_NS1_11comp_targetILNS1_3genE2ELNS1_11target_archE906ELNS1_3gpuE6ELNS1_3repE0EEENS1_30default_config_static_selectorELNS0_4arch9wavefront6targetE1EEEvT1_
	.p2align	8
	.type	_ZN7rocprim17ROCPRIM_400000_NS6detail17trampoline_kernelINS0_14default_configENS1_25partition_config_selectorILNS1_17partition_subalgoE8ElNS0_10empty_typeEbEEZZNS1_14partition_implILS5_8ELb0ES3_jPlPS6_PKS6_NS0_5tupleIJS9_S6_EEENSD_IJSA_SA_EEENS0_18inequality_wrapperIZN2at6native12_GLOBAL__N_124unique_dim_cuda_templateIbEESt5tupleIJNSH_6TensorESM_SM_EERKSM_lbbbEUlllE0_EEPmJS6_EEE10hipError_tPvRmT3_T4_T5_T6_T7_T9_mT8_P12ihipStream_tbDpT10_ENKUlT_T0_E_clISt17integral_constantIbLb1EES1C_EEDaS17_S18_EUlS17_E_NS1_11comp_targetILNS1_3genE2ELNS1_11target_archE906ELNS1_3gpuE6ELNS1_3repE0EEENS1_30default_config_static_selectorELNS0_4arch9wavefront6targetE1EEEvT1_,@function
_ZN7rocprim17ROCPRIM_400000_NS6detail17trampoline_kernelINS0_14default_configENS1_25partition_config_selectorILNS1_17partition_subalgoE8ElNS0_10empty_typeEbEEZZNS1_14partition_implILS5_8ELb0ES3_jPlPS6_PKS6_NS0_5tupleIJS9_S6_EEENSD_IJSA_SA_EEENS0_18inequality_wrapperIZN2at6native12_GLOBAL__N_124unique_dim_cuda_templateIbEESt5tupleIJNSH_6TensorESM_SM_EERKSM_lbbbEUlllE0_EEPmJS6_EEE10hipError_tPvRmT3_T4_T5_T6_T7_T9_mT8_P12ihipStream_tbDpT10_ENKUlT_T0_E_clISt17integral_constantIbLb1EES1C_EEDaS17_S18_EUlS17_E_NS1_11comp_targetILNS1_3genE2ELNS1_11target_archE906ELNS1_3gpuE6ELNS1_3repE0EEENS1_30default_config_static_selectorELNS0_4arch9wavefront6targetE1EEEvT1_: ; @_ZN7rocprim17ROCPRIM_400000_NS6detail17trampoline_kernelINS0_14default_configENS1_25partition_config_selectorILNS1_17partition_subalgoE8ElNS0_10empty_typeEbEEZZNS1_14partition_implILS5_8ELb0ES3_jPlPS6_PKS6_NS0_5tupleIJS9_S6_EEENSD_IJSA_SA_EEENS0_18inequality_wrapperIZN2at6native12_GLOBAL__N_124unique_dim_cuda_templateIbEESt5tupleIJNSH_6TensorESM_SM_EERKSM_lbbbEUlllE0_EEPmJS6_EEE10hipError_tPvRmT3_T4_T5_T6_T7_T9_mT8_P12ihipStream_tbDpT10_ENKUlT_T0_E_clISt17integral_constantIbLb1EES1C_EEDaS17_S18_EUlS17_E_NS1_11comp_targetILNS1_3genE2ELNS1_11target_archE906ELNS1_3gpuE6ELNS1_3repE0EEENS1_30default_config_static_selectorELNS0_4arch9wavefront6targetE1EEEvT1_
; %bb.0:
	.section	.rodata,"a",@progbits
	.p2align	6, 0x0
	.amdhsa_kernel _ZN7rocprim17ROCPRIM_400000_NS6detail17trampoline_kernelINS0_14default_configENS1_25partition_config_selectorILNS1_17partition_subalgoE8ElNS0_10empty_typeEbEEZZNS1_14partition_implILS5_8ELb0ES3_jPlPS6_PKS6_NS0_5tupleIJS9_S6_EEENSD_IJSA_SA_EEENS0_18inequality_wrapperIZN2at6native12_GLOBAL__N_124unique_dim_cuda_templateIbEESt5tupleIJNSH_6TensorESM_SM_EERKSM_lbbbEUlllE0_EEPmJS6_EEE10hipError_tPvRmT3_T4_T5_T6_T7_T9_mT8_P12ihipStream_tbDpT10_ENKUlT_T0_E_clISt17integral_constantIbLb1EES1C_EEDaS17_S18_EUlS17_E_NS1_11comp_targetILNS1_3genE2ELNS1_11target_archE906ELNS1_3gpuE6ELNS1_3repE0EEENS1_30default_config_static_selectorELNS0_4arch9wavefront6targetE1EEEvT1_
		.amdhsa_group_segment_fixed_size 0
		.amdhsa_private_segment_fixed_size 0
		.amdhsa_kernarg_size 136
		.amdhsa_user_sgpr_count 6
		.amdhsa_user_sgpr_private_segment_buffer 1
		.amdhsa_user_sgpr_dispatch_ptr 0
		.amdhsa_user_sgpr_queue_ptr 0
		.amdhsa_user_sgpr_kernarg_segment_ptr 1
		.amdhsa_user_sgpr_dispatch_id 0
		.amdhsa_user_sgpr_flat_scratch_init 0
		.amdhsa_user_sgpr_kernarg_preload_length 0
		.amdhsa_user_sgpr_kernarg_preload_offset 0
		.amdhsa_user_sgpr_private_segment_size 0
		.amdhsa_uses_dynamic_stack 0
		.amdhsa_system_sgpr_private_segment_wavefront_offset 0
		.amdhsa_system_sgpr_workgroup_id_x 1
		.amdhsa_system_sgpr_workgroup_id_y 0
		.amdhsa_system_sgpr_workgroup_id_z 0
		.amdhsa_system_sgpr_workgroup_info 0
		.amdhsa_system_vgpr_workitem_id 0
		.amdhsa_next_free_vgpr 1
		.amdhsa_next_free_sgpr 0
		.amdhsa_accum_offset 4
		.amdhsa_reserve_vcc 0
		.amdhsa_reserve_flat_scratch 0
		.amdhsa_float_round_mode_32 0
		.amdhsa_float_round_mode_16_64 0
		.amdhsa_float_denorm_mode_32 3
		.amdhsa_float_denorm_mode_16_64 3
		.amdhsa_dx10_clamp 1
		.amdhsa_ieee_mode 1
		.amdhsa_fp16_overflow 0
		.amdhsa_tg_split 0
		.amdhsa_exception_fp_ieee_invalid_op 0
		.amdhsa_exception_fp_denorm_src 0
		.amdhsa_exception_fp_ieee_div_zero 0
		.amdhsa_exception_fp_ieee_overflow 0
		.amdhsa_exception_fp_ieee_underflow 0
		.amdhsa_exception_fp_ieee_inexact 0
		.amdhsa_exception_int_div_zero 0
	.end_amdhsa_kernel
	.section	.text._ZN7rocprim17ROCPRIM_400000_NS6detail17trampoline_kernelINS0_14default_configENS1_25partition_config_selectorILNS1_17partition_subalgoE8ElNS0_10empty_typeEbEEZZNS1_14partition_implILS5_8ELb0ES3_jPlPS6_PKS6_NS0_5tupleIJS9_S6_EEENSD_IJSA_SA_EEENS0_18inequality_wrapperIZN2at6native12_GLOBAL__N_124unique_dim_cuda_templateIbEESt5tupleIJNSH_6TensorESM_SM_EERKSM_lbbbEUlllE0_EEPmJS6_EEE10hipError_tPvRmT3_T4_T5_T6_T7_T9_mT8_P12ihipStream_tbDpT10_ENKUlT_T0_E_clISt17integral_constantIbLb1EES1C_EEDaS17_S18_EUlS17_E_NS1_11comp_targetILNS1_3genE2ELNS1_11target_archE906ELNS1_3gpuE6ELNS1_3repE0EEENS1_30default_config_static_selectorELNS0_4arch9wavefront6targetE1EEEvT1_,"axG",@progbits,_ZN7rocprim17ROCPRIM_400000_NS6detail17trampoline_kernelINS0_14default_configENS1_25partition_config_selectorILNS1_17partition_subalgoE8ElNS0_10empty_typeEbEEZZNS1_14partition_implILS5_8ELb0ES3_jPlPS6_PKS6_NS0_5tupleIJS9_S6_EEENSD_IJSA_SA_EEENS0_18inequality_wrapperIZN2at6native12_GLOBAL__N_124unique_dim_cuda_templateIbEESt5tupleIJNSH_6TensorESM_SM_EERKSM_lbbbEUlllE0_EEPmJS6_EEE10hipError_tPvRmT3_T4_T5_T6_T7_T9_mT8_P12ihipStream_tbDpT10_ENKUlT_T0_E_clISt17integral_constantIbLb1EES1C_EEDaS17_S18_EUlS17_E_NS1_11comp_targetILNS1_3genE2ELNS1_11target_archE906ELNS1_3gpuE6ELNS1_3repE0EEENS1_30default_config_static_selectorELNS0_4arch9wavefront6targetE1EEEvT1_,comdat
.Lfunc_end1063:
	.size	_ZN7rocprim17ROCPRIM_400000_NS6detail17trampoline_kernelINS0_14default_configENS1_25partition_config_selectorILNS1_17partition_subalgoE8ElNS0_10empty_typeEbEEZZNS1_14partition_implILS5_8ELb0ES3_jPlPS6_PKS6_NS0_5tupleIJS9_S6_EEENSD_IJSA_SA_EEENS0_18inequality_wrapperIZN2at6native12_GLOBAL__N_124unique_dim_cuda_templateIbEESt5tupleIJNSH_6TensorESM_SM_EERKSM_lbbbEUlllE0_EEPmJS6_EEE10hipError_tPvRmT3_T4_T5_T6_T7_T9_mT8_P12ihipStream_tbDpT10_ENKUlT_T0_E_clISt17integral_constantIbLb1EES1C_EEDaS17_S18_EUlS17_E_NS1_11comp_targetILNS1_3genE2ELNS1_11target_archE906ELNS1_3gpuE6ELNS1_3repE0EEENS1_30default_config_static_selectorELNS0_4arch9wavefront6targetE1EEEvT1_, .Lfunc_end1063-_ZN7rocprim17ROCPRIM_400000_NS6detail17trampoline_kernelINS0_14default_configENS1_25partition_config_selectorILNS1_17partition_subalgoE8ElNS0_10empty_typeEbEEZZNS1_14partition_implILS5_8ELb0ES3_jPlPS6_PKS6_NS0_5tupleIJS9_S6_EEENSD_IJSA_SA_EEENS0_18inequality_wrapperIZN2at6native12_GLOBAL__N_124unique_dim_cuda_templateIbEESt5tupleIJNSH_6TensorESM_SM_EERKSM_lbbbEUlllE0_EEPmJS6_EEE10hipError_tPvRmT3_T4_T5_T6_T7_T9_mT8_P12ihipStream_tbDpT10_ENKUlT_T0_E_clISt17integral_constantIbLb1EES1C_EEDaS17_S18_EUlS17_E_NS1_11comp_targetILNS1_3genE2ELNS1_11target_archE906ELNS1_3gpuE6ELNS1_3repE0EEENS1_30default_config_static_selectorELNS0_4arch9wavefront6targetE1EEEvT1_
                                        ; -- End function
	.section	.AMDGPU.csdata,"",@progbits
; Kernel info:
; codeLenInByte = 0
; NumSgprs: 4
; NumVgprs: 0
; NumAgprs: 0
; TotalNumVgprs: 0
; ScratchSize: 0
; MemoryBound: 0
; FloatMode: 240
; IeeeMode: 1
; LDSByteSize: 0 bytes/workgroup (compile time only)
; SGPRBlocks: 0
; VGPRBlocks: 0
; NumSGPRsForWavesPerEU: 4
; NumVGPRsForWavesPerEU: 1
; AccumOffset: 4
; Occupancy: 8
; WaveLimiterHint : 0
; COMPUTE_PGM_RSRC2:SCRATCH_EN: 0
; COMPUTE_PGM_RSRC2:USER_SGPR: 6
; COMPUTE_PGM_RSRC2:TRAP_HANDLER: 0
; COMPUTE_PGM_RSRC2:TGID_X_EN: 1
; COMPUTE_PGM_RSRC2:TGID_Y_EN: 0
; COMPUTE_PGM_RSRC2:TGID_Z_EN: 0
; COMPUTE_PGM_RSRC2:TIDIG_COMP_CNT: 0
; COMPUTE_PGM_RSRC3_GFX90A:ACCUM_OFFSET: 0
; COMPUTE_PGM_RSRC3_GFX90A:TG_SPLIT: 0
	.section	.text._ZN7rocprim17ROCPRIM_400000_NS6detail17trampoline_kernelINS0_14default_configENS1_25partition_config_selectorILNS1_17partition_subalgoE8ElNS0_10empty_typeEbEEZZNS1_14partition_implILS5_8ELb0ES3_jPlPS6_PKS6_NS0_5tupleIJS9_S6_EEENSD_IJSA_SA_EEENS0_18inequality_wrapperIZN2at6native12_GLOBAL__N_124unique_dim_cuda_templateIbEESt5tupleIJNSH_6TensorESM_SM_EERKSM_lbbbEUlllE0_EEPmJS6_EEE10hipError_tPvRmT3_T4_T5_T6_T7_T9_mT8_P12ihipStream_tbDpT10_ENKUlT_T0_E_clISt17integral_constantIbLb1EES1C_EEDaS17_S18_EUlS17_E_NS1_11comp_targetILNS1_3genE10ELNS1_11target_archE1200ELNS1_3gpuE4ELNS1_3repE0EEENS1_30default_config_static_selectorELNS0_4arch9wavefront6targetE1EEEvT1_,"axG",@progbits,_ZN7rocprim17ROCPRIM_400000_NS6detail17trampoline_kernelINS0_14default_configENS1_25partition_config_selectorILNS1_17partition_subalgoE8ElNS0_10empty_typeEbEEZZNS1_14partition_implILS5_8ELb0ES3_jPlPS6_PKS6_NS0_5tupleIJS9_S6_EEENSD_IJSA_SA_EEENS0_18inequality_wrapperIZN2at6native12_GLOBAL__N_124unique_dim_cuda_templateIbEESt5tupleIJNSH_6TensorESM_SM_EERKSM_lbbbEUlllE0_EEPmJS6_EEE10hipError_tPvRmT3_T4_T5_T6_T7_T9_mT8_P12ihipStream_tbDpT10_ENKUlT_T0_E_clISt17integral_constantIbLb1EES1C_EEDaS17_S18_EUlS17_E_NS1_11comp_targetILNS1_3genE10ELNS1_11target_archE1200ELNS1_3gpuE4ELNS1_3repE0EEENS1_30default_config_static_selectorELNS0_4arch9wavefront6targetE1EEEvT1_,comdat
	.globl	_ZN7rocprim17ROCPRIM_400000_NS6detail17trampoline_kernelINS0_14default_configENS1_25partition_config_selectorILNS1_17partition_subalgoE8ElNS0_10empty_typeEbEEZZNS1_14partition_implILS5_8ELb0ES3_jPlPS6_PKS6_NS0_5tupleIJS9_S6_EEENSD_IJSA_SA_EEENS0_18inequality_wrapperIZN2at6native12_GLOBAL__N_124unique_dim_cuda_templateIbEESt5tupleIJNSH_6TensorESM_SM_EERKSM_lbbbEUlllE0_EEPmJS6_EEE10hipError_tPvRmT3_T4_T5_T6_T7_T9_mT8_P12ihipStream_tbDpT10_ENKUlT_T0_E_clISt17integral_constantIbLb1EES1C_EEDaS17_S18_EUlS17_E_NS1_11comp_targetILNS1_3genE10ELNS1_11target_archE1200ELNS1_3gpuE4ELNS1_3repE0EEENS1_30default_config_static_selectorELNS0_4arch9wavefront6targetE1EEEvT1_ ; -- Begin function _ZN7rocprim17ROCPRIM_400000_NS6detail17trampoline_kernelINS0_14default_configENS1_25partition_config_selectorILNS1_17partition_subalgoE8ElNS0_10empty_typeEbEEZZNS1_14partition_implILS5_8ELb0ES3_jPlPS6_PKS6_NS0_5tupleIJS9_S6_EEENSD_IJSA_SA_EEENS0_18inequality_wrapperIZN2at6native12_GLOBAL__N_124unique_dim_cuda_templateIbEESt5tupleIJNSH_6TensorESM_SM_EERKSM_lbbbEUlllE0_EEPmJS6_EEE10hipError_tPvRmT3_T4_T5_T6_T7_T9_mT8_P12ihipStream_tbDpT10_ENKUlT_T0_E_clISt17integral_constantIbLb1EES1C_EEDaS17_S18_EUlS17_E_NS1_11comp_targetILNS1_3genE10ELNS1_11target_archE1200ELNS1_3gpuE4ELNS1_3repE0EEENS1_30default_config_static_selectorELNS0_4arch9wavefront6targetE1EEEvT1_
	.p2align	8
	.type	_ZN7rocprim17ROCPRIM_400000_NS6detail17trampoline_kernelINS0_14default_configENS1_25partition_config_selectorILNS1_17partition_subalgoE8ElNS0_10empty_typeEbEEZZNS1_14partition_implILS5_8ELb0ES3_jPlPS6_PKS6_NS0_5tupleIJS9_S6_EEENSD_IJSA_SA_EEENS0_18inequality_wrapperIZN2at6native12_GLOBAL__N_124unique_dim_cuda_templateIbEESt5tupleIJNSH_6TensorESM_SM_EERKSM_lbbbEUlllE0_EEPmJS6_EEE10hipError_tPvRmT3_T4_T5_T6_T7_T9_mT8_P12ihipStream_tbDpT10_ENKUlT_T0_E_clISt17integral_constantIbLb1EES1C_EEDaS17_S18_EUlS17_E_NS1_11comp_targetILNS1_3genE10ELNS1_11target_archE1200ELNS1_3gpuE4ELNS1_3repE0EEENS1_30default_config_static_selectorELNS0_4arch9wavefront6targetE1EEEvT1_,@function
_ZN7rocprim17ROCPRIM_400000_NS6detail17trampoline_kernelINS0_14default_configENS1_25partition_config_selectorILNS1_17partition_subalgoE8ElNS0_10empty_typeEbEEZZNS1_14partition_implILS5_8ELb0ES3_jPlPS6_PKS6_NS0_5tupleIJS9_S6_EEENSD_IJSA_SA_EEENS0_18inequality_wrapperIZN2at6native12_GLOBAL__N_124unique_dim_cuda_templateIbEESt5tupleIJNSH_6TensorESM_SM_EERKSM_lbbbEUlllE0_EEPmJS6_EEE10hipError_tPvRmT3_T4_T5_T6_T7_T9_mT8_P12ihipStream_tbDpT10_ENKUlT_T0_E_clISt17integral_constantIbLb1EES1C_EEDaS17_S18_EUlS17_E_NS1_11comp_targetILNS1_3genE10ELNS1_11target_archE1200ELNS1_3gpuE4ELNS1_3repE0EEENS1_30default_config_static_selectorELNS0_4arch9wavefront6targetE1EEEvT1_: ; @_ZN7rocprim17ROCPRIM_400000_NS6detail17trampoline_kernelINS0_14default_configENS1_25partition_config_selectorILNS1_17partition_subalgoE8ElNS0_10empty_typeEbEEZZNS1_14partition_implILS5_8ELb0ES3_jPlPS6_PKS6_NS0_5tupleIJS9_S6_EEENSD_IJSA_SA_EEENS0_18inequality_wrapperIZN2at6native12_GLOBAL__N_124unique_dim_cuda_templateIbEESt5tupleIJNSH_6TensorESM_SM_EERKSM_lbbbEUlllE0_EEPmJS6_EEE10hipError_tPvRmT3_T4_T5_T6_T7_T9_mT8_P12ihipStream_tbDpT10_ENKUlT_T0_E_clISt17integral_constantIbLb1EES1C_EEDaS17_S18_EUlS17_E_NS1_11comp_targetILNS1_3genE10ELNS1_11target_archE1200ELNS1_3gpuE4ELNS1_3repE0EEENS1_30default_config_static_selectorELNS0_4arch9wavefront6targetE1EEEvT1_
; %bb.0:
	.section	.rodata,"a",@progbits
	.p2align	6, 0x0
	.amdhsa_kernel _ZN7rocprim17ROCPRIM_400000_NS6detail17trampoline_kernelINS0_14default_configENS1_25partition_config_selectorILNS1_17partition_subalgoE8ElNS0_10empty_typeEbEEZZNS1_14partition_implILS5_8ELb0ES3_jPlPS6_PKS6_NS0_5tupleIJS9_S6_EEENSD_IJSA_SA_EEENS0_18inequality_wrapperIZN2at6native12_GLOBAL__N_124unique_dim_cuda_templateIbEESt5tupleIJNSH_6TensorESM_SM_EERKSM_lbbbEUlllE0_EEPmJS6_EEE10hipError_tPvRmT3_T4_T5_T6_T7_T9_mT8_P12ihipStream_tbDpT10_ENKUlT_T0_E_clISt17integral_constantIbLb1EES1C_EEDaS17_S18_EUlS17_E_NS1_11comp_targetILNS1_3genE10ELNS1_11target_archE1200ELNS1_3gpuE4ELNS1_3repE0EEENS1_30default_config_static_selectorELNS0_4arch9wavefront6targetE1EEEvT1_
		.amdhsa_group_segment_fixed_size 0
		.amdhsa_private_segment_fixed_size 0
		.amdhsa_kernarg_size 136
		.amdhsa_user_sgpr_count 6
		.amdhsa_user_sgpr_private_segment_buffer 1
		.amdhsa_user_sgpr_dispatch_ptr 0
		.amdhsa_user_sgpr_queue_ptr 0
		.amdhsa_user_sgpr_kernarg_segment_ptr 1
		.amdhsa_user_sgpr_dispatch_id 0
		.amdhsa_user_sgpr_flat_scratch_init 0
		.amdhsa_user_sgpr_kernarg_preload_length 0
		.amdhsa_user_sgpr_kernarg_preload_offset 0
		.amdhsa_user_sgpr_private_segment_size 0
		.amdhsa_uses_dynamic_stack 0
		.amdhsa_system_sgpr_private_segment_wavefront_offset 0
		.amdhsa_system_sgpr_workgroup_id_x 1
		.amdhsa_system_sgpr_workgroup_id_y 0
		.amdhsa_system_sgpr_workgroup_id_z 0
		.amdhsa_system_sgpr_workgroup_info 0
		.amdhsa_system_vgpr_workitem_id 0
		.amdhsa_next_free_vgpr 1
		.amdhsa_next_free_sgpr 0
		.amdhsa_accum_offset 4
		.amdhsa_reserve_vcc 0
		.amdhsa_reserve_flat_scratch 0
		.amdhsa_float_round_mode_32 0
		.amdhsa_float_round_mode_16_64 0
		.amdhsa_float_denorm_mode_32 3
		.amdhsa_float_denorm_mode_16_64 3
		.amdhsa_dx10_clamp 1
		.amdhsa_ieee_mode 1
		.amdhsa_fp16_overflow 0
		.amdhsa_tg_split 0
		.amdhsa_exception_fp_ieee_invalid_op 0
		.amdhsa_exception_fp_denorm_src 0
		.amdhsa_exception_fp_ieee_div_zero 0
		.amdhsa_exception_fp_ieee_overflow 0
		.amdhsa_exception_fp_ieee_underflow 0
		.amdhsa_exception_fp_ieee_inexact 0
		.amdhsa_exception_int_div_zero 0
	.end_amdhsa_kernel
	.section	.text._ZN7rocprim17ROCPRIM_400000_NS6detail17trampoline_kernelINS0_14default_configENS1_25partition_config_selectorILNS1_17partition_subalgoE8ElNS0_10empty_typeEbEEZZNS1_14partition_implILS5_8ELb0ES3_jPlPS6_PKS6_NS0_5tupleIJS9_S6_EEENSD_IJSA_SA_EEENS0_18inequality_wrapperIZN2at6native12_GLOBAL__N_124unique_dim_cuda_templateIbEESt5tupleIJNSH_6TensorESM_SM_EERKSM_lbbbEUlllE0_EEPmJS6_EEE10hipError_tPvRmT3_T4_T5_T6_T7_T9_mT8_P12ihipStream_tbDpT10_ENKUlT_T0_E_clISt17integral_constantIbLb1EES1C_EEDaS17_S18_EUlS17_E_NS1_11comp_targetILNS1_3genE10ELNS1_11target_archE1200ELNS1_3gpuE4ELNS1_3repE0EEENS1_30default_config_static_selectorELNS0_4arch9wavefront6targetE1EEEvT1_,"axG",@progbits,_ZN7rocprim17ROCPRIM_400000_NS6detail17trampoline_kernelINS0_14default_configENS1_25partition_config_selectorILNS1_17partition_subalgoE8ElNS0_10empty_typeEbEEZZNS1_14partition_implILS5_8ELb0ES3_jPlPS6_PKS6_NS0_5tupleIJS9_S6_EEENSD_IJSA_SA_EEENS0_18inequality_wrapperIZN2at6native12_GLOBAL__N_124unique_dim_cuda_templateIbEESt5tupleIJNSH_6TensorESM_SM_EERKSM_lbbbEUlllE0_EEPmJS6_EEE10hipError_tPvRmT3_T4_T5_T6_T7_T9_mT8_P12ihipStream_tbDpT10_ENKUlT_T0_E_clISt17integral_constantIbLb1EES1C_EEDaS17_S18_EUlS17_E_NS1_11comp_targetILNS1_3genE10ELNS1_11target_archE1200ELNS1_3gpuE4ELNS1_3repE0EEENS1_30default_config_static_selectorELNS0_4arch9wavefront6targetE1EEEvT1_,comdat
.Lfunc_end1064:
	.size	_ZN7rocprim17ROCPRIM_400000_NS6detail17trampoline_kernelINS0_14default_configENS1_25partition_config_selectorILNS1_17partition_subalgoE8ElNS0_10empty_typeEbEEZZNS1_14partition_implILS5_8ELb0ES3_jPlPS6_PKS6_NS0_5tupleIJS9_S6_EEENSD_IJSA_SA_EEENS0_18inequality_wrapperIZN2at6native12_GLOBAL__N_124unique_dim_cuda_templateIbEESt5tupleIJNSH_6TensorESM_SM_EERKSM_lbbbEUlllE0_EEPmJS6_EEE10hipError_tPvRmT3_T4_T5_T6_T7_T9_mT8_P12ihipStream_tbDpT10_ENKUlT_T0_E_clISt17integral_constantIbLb1EES1C_EEDaS17_S18_EUlS17_E_NS1_11comp_targetILNS1_3genE10ELNS1_11target_archE1200ELNS1_3gpuE4ELNS1_3repE0EEENS1_30default_config_static_selectorELNS0_4arch9wavefront6targetE1EEEvT1_, .Lfunc_end1064-_ZN7rocprim17ROCPRIM_400000_NS6detail17trampoline_kernelINS0_14default_configENS1_25partition_config_selectorILNS1_17partition_subalgoE8ElNS0_10empty_typeEbEEZZNS1_14partition_implILS5_8ELb0ES3_jPlPS6_PKS6_NS0_5tupleIJS9_S6_EEENSD_IJSA_SA_EEENS0_18inequality_wrapperIZN2at6native12_GLOBAL__N_124unique_dim_cuda_templateIbEESt5tupleIJNSH_6TensorESM_SM_EERKSM_lbbbEUlllE0_EEPmJS6_EEE10hipError_tPvRmT3_T4_T5_T6_T7_T9_mT8_P12ihipStream_tbDpT10_ENKUlT_T0_E_clISt17integral_constantIbLb1EES1C_EEDaS17_S18_EUlS17_E_NS1_11comp_targetILNS1_3genE10ELNS1_11target_archE1200ELNS1_3gpuE4ELNS1_3repE0EEENS1_30default_config_static_selectorELNS0_4arch9wavefront6targetE1EEEvT1_
                                        ; -- End function
	.section	.AMDGPU.csdata,"",@progbits
; Kernel info:
; codeLenInByte = 0
; NumSgprs: 4
; NumVgprs: 0
; NumAgprs: 0
; TotalNumVgprs: 0
; ScratchSize: 0
; MemoryBound: 0
; FloatMode: 240
; IeeeMode: 1
; LDSByteSize: 0 bytes/workgroup (compile time only)
; SGPRBlocks: 0
; VGPRBlocks: 0
; NumSGPRsForWavesPerEU: 4
; NumVGPRsForWavesPerEU: 1
; AccumOffset: 4
; Occupancy: 8
; WaveLimiterHint : 0
; COMPUTE_PGM_RSRC2:SCRATCH_EN: 0
; COMPUTE_PGM_RSRC2:USER_SGPR: 6
; COMPUTE_PGM_RSRC2:TRAP_HANDLER: 0
; COMPUTE_PGM_RSRC2:TGID_X_EN: 1
; COMPUTE_PGM_RSRC2:TGID_Y_EN: 0
; COMPUTE_PGM_RSRC2:TGID_Z_EN: 0
; COMPUTE_PGM_RSRC2:TIDIG_COMP_CNT: 0
; COMPUTE_PGM_RSRC3_GFX90A:ACCUM_OFFSET: 0
; COMPUTE_PGM_RSRC3_GFX90A:TG_SPLIT: 0
	.section	.text._ZN7rocprim17ROCPRIM_400000_NS6detail17trampoline_kernelINS0_14default_configENS1_25partition_config_selectorILNS1_17partition_subalgoE8ElNS0_10empty_typeEbEEZZNS1_14partition_implILS5_8ELb0ES3_jPlPS6_PKS6_NS0_5tupleIJS9_S6_EEENSD_IJSA_SA_EEENS0_18inequality_wrapperIZN2at6native12_GLOBAL__N_124unique_dim_cuda_templateIbEESt5tupleIJNSH_6TensorESM_SM_EERKSM_lbbbEUlllE0_EEPmJS6_EEE10hipError_tPvRmT3_T4_T5_T6_T7_T9_mT8_P12ihipStream_tbDpT10_ENKUlT_T0_E_clISt17integral_constantIbLb1EES1C_EEDaS17_S18_EUlS17_E_NS1_11comp_targetILNS1_3genE9ELNS1_11target_archE1100ELNS1_3gpuE3ELNS1_3repE0EEENS1_30default_config_static_selectorELNS0_4arch9wavefront6targetE1EEEvT1_,"axG",@progbits,_ZN7rocprim17ROCPRIM_400000_NS6detail17trampoline_kernelINS0_14default_configENS1_25partition_config_selectorILNS1_17partition_subalgoE8ElNS0_10empty_typeEbEEZZNS1_14partition_implILS5_8ELb0ES3_jPlPS6_PKS6_NS0_5tupleIJS9_S6_EEENSD_IJSA_SA_EEENS0_18inequality_wrapperIZN2at6native12_GLOBAL__N_124unique_dim_cuda_templateIbEESt5tupleIJNSH_6TensorESM_SM_EERKSM_lbbbEUlllE0_EEPmJS6_EEE10hipError_tPvRmT3_T4_T5_T6_T7_T9_mT8_P12ihipStream_tbDpT10_ENKUlT_T0_E_clISt17integral_constantIbLb1EES1C_EEDaS17_S18_EUlS17_E_NS1_11comp_targetILNS1_3genE9ELNS1_11target_archE1100ELNS1_3gpuE3ELNS1_3repE0EEENS1_30default_config_static_selectorELNS0_4arch9wavefront6targetE1EEEvT1_,comdat
	.globl	_ZN7rocprim17ROCPRIM_400000_NS6detail17trampoline_kernelINS0_14default_configENS1_25partition_config_selectorILNS1_17partition_subalgoE8ElNS0_10empty_typeEbEEZZNS1_14partition_implILS5_8ELb0ES3_jPlPS6_PKS6_NS0_5tupleIJS9_S6_EEENSD_IJSA_SA_EEENS0_18inequality_wrapperIZN2at6native12_GLOBAL__N_124unique_dim_cuda_templateIbEESt5tupleIJNSH_6TensorESM_SM_EERKSM_lbbbEUlllE0_EEPmJS6_EEE10hipError_tPvRmT3_T4_T5_T6_T7_T9_mT8_P12ihipStream_tbDpT10_ENKUlT_T0_E_clISt17integral_constantIbLb1EES1C_EEDaS17_S18_EUlS17_E_NS1_11comp_targetILNS1_3genE9ELNS1_11target_archE1100ELNS1_3gpuE3ELNS1_3repE0EEENS1_30default_config_static_selectorELNS0_4arch9wavefront6targetE1EEEvT1_ ; -- Begin function _ZN7rocprim17ROCPRIM_400000_NS6detail17trampoline_kernelINS0_14default_configENS1_25partition_config_selectorILNS1_17partition_subalgoE8ElNS0_10empty_typeEbEEZZNS1_14partition_implILS5_8ELb0ES3_jPlPS6_PKS6_NS0_5tupleIJS9_S6_EEENSD_IJSA_SA_EEENS0_18inequality_wrapperIZN2at6native12_GLOBAL__N_124unique_dim_cuda_templateIbEESt5tupleIJNSH_6TensorESM_SM_EERKSM_lbbbEUlllE0_EEPmJS6_EEE10hipError_tPvRmT3_T4_T5_T6_T7_T9_mT8_P12ihipStream_tbDpT10_ENKUlT_T0_E_clISt17integral_constantIbLb1EES1C_EEDaS17_S18_EUlS17_E_NS1_11comp_targetILNS1_3genE9ELNS1_11target_archE1100ELNS1_3gpuE3ELNS1_3repE0EEENS1_30default_config_static_selectorELNS0_4arch9wavefront6targetE1EEEvT1_
	.p2align	8
	.type	_ZN7rocprim17ROCPRIM_400000_NS6detail17trampoline_kernelINS0_14default_configENS1_25partition_config_selectorILNS1_17partition_subalgoE8ElNS0_10empty_typeEbEEZZNS1_14partition_implILS5_8ELb0ES3_jPlPS6_PKS6_NS0_5tupleIJS9_S6_EEENSD_IJSA_SA_EEENS0_18inequality_wrapperIZN2at6native12_GLOBAL__N_124unique_dim_cuda_templateIbEESt5tupleIJNSH_6TensorESM_SM_EERKSM_lbbbEUlllE0_EEPmJS6_EEE10hipError_tPvRmT3_T4_T5_T6_T7_T9_mT8_P12ihipStream_tbDpT10_ENKUlT_T0_E_clISt17integral_constantIbLb1EES1C_EEDaS17_S18_EUlS17_E_NS1_11comp_targetILNS1_3genE9ELNS1_11target_archE1100ELNS1_3gpuE3ELNS1_3repE0EEENS1_30default_config_static_selectorELNS0_4arch9wavefront6targetE1EEEvT1_,@function
_ZN7rocprim17ROCPRIM_400000_NS6detail17trampoline_kernelINS0_14default_configENS1_25partition_config_selectorILNS1_17partition_subalgoE8ElNS0_10empty_typeEbEEZZNS1_14partition_implILS5_8ELb0ES3_jPlPS6_PKS6_NS0_5tupleIJS9_S6_EEENSD_IJSA_SA_EEENS0_18inequality_wrapperIZN2at6native12_GLOBAL__N_124unique_dim_cuda_templateIbEESt5tupleIJNSH_6TensorESM_SM_EERKSM_lbbbEUlllE0_EEPmJS6_EEE10hipError_tPvRmT3_T4_T5_T6_T7_T9_mT8_P12ihipStream_tbDpT10_ENKUlT_T0_E_clISt17integral_constantIbLb1EES1C_EEDaS17_S18_EUlS17_E_NS1_11comp_targetILNS1_3genE9ELNS1_11target_archE1100ELNS1_3gpuE3ELNS1_3repE0EEENS1_30default_config_static_selectorELNS0_4arch9wavefront6targetE1EEEvT1_: ; @_ZN7rocprim17ROCPRIM_400000_NS6detail17trampoline_kernelINS0_14default_configENS1_25partition_config_selectorILNS1_17partition_subalgoE8ElNS0_10empty_typeEbEEZZNS1_14partition_implILS5_8ELb0ES3_jPlPS6_PKS6_NS0_5tupleIJS9_S6_EEENSD_IJSA_SA_EEENS0_18inequality_wrapperIZN2at6native12_GLOBAL__N_124unique_dim_cuda_templateIbEESt5tupleIJNSH_6TensorESM_SM_EERKSM_lbbbEUlllE0_EEPmJS6_EEE10hipError_tPvRmT3_T4_T5_T6_T7_T9_mT8_P12ihipStream_tbDpT10_ENKUlT_T0_E_clISt17integral_constantIbLb1EES1C_EEDaS17_S18_EUlS17_E_NS1_11comp_targetILNS1_3genE9ELNS1_11target_archE1100ELNS1_3gpuE3ELNS1_3repE0EEENS1_30default_config_static_selectorELNS0_4arch9wavefront6targetE1EEEvT1_
; %bb.0:
	.section	.rodata,"a",@progbits
	.p2align	6, 0x0
	.amdhsa_kernel _ZN7rocprim17ROCPRIM_400000_NS6detail17trampoline_kernelINS0_14default_configENS1_25partition_config_selectorILNS1_17partition_subalgoE8ElNS0_10empty_typeEbEEZZNS1_14partition_implILS5_8ELb0ES3_jPlPS6_PKS6_NS0_5tupleIJS9_S6_EEENSD_IJSA_SA_EEENS0_18inequality_wrapperIZN2at6native12_GLOBAL__N_124unique_dim_cuda_templateIbEESt5tupleIJNSH_6TensorESM_SM_EERKSM_lbbbEUlllE0_EEPmJS6_EEE10hipError_tPvRmT3_T4_T5_T6_T7_T9_mT8_P12ihipStream_tbDpT10_ENKUlT_T0_E_clISt17integral_constantIbLb1EES1C_EEDaS17_S18_EUlS17_E_NS1_11comp_targetILNS1_3genE9ELNS1_11target_archE1100ELNS1_3gpuE3ELNS1_3repE0EEENS1_30default_config_static_selectorELNS0_4arch9wavefront6targetE1EEEvT1_
		.amdhsa_group_segment_fixed_size 0
		.amdhsa_private_segment_fixed_size 0
		.amdhsa_kernarg_size 136
		.amdhsa_user_sgpr_count 6
		.amdhsa_user_sgpr_private_segment_buffer 1
		.amdhsa_user_sgpr_dispatch_ptr 0
		.amdhsa_user_sgpr_queue_ptr 0
		.amdhsa_user_sgpr_kernarg_segment_ptr 1
		.amdhsa_user_sgpr_dispatch_id 0
		.amdhsa_user_sgpr_flat_scratch_init 0
		.amdhsa_user_sgpr_kernarg_preload_length 0
		.amdhsa_user_sgpr_kernarg_preload_offset 0
		.amdhsa_user_sgpr_private_segment_size 0
		.amdhsa_uses_dynamic_stack 0
		.amdhsa_system_sgpr_private_segment_wavefront_offset 0
		.amdhsa_system_sgpr_workgroup_id_x 1
		.amdhsa_system_sgpr_workgroup_id_y 0
		.amdhsa_system_sgpr_workgroup_id_z 0
		.amdhsa_system_sgpr_workgroup_info 0
		.amdhsa_system_vgpr_workitem_id 0
		.amdhsa_next_free_vgpr 1
		.amdhsa_next_free_sgpr 0
		.amdhsa_accum_offset 4
		.amdhsa_reserve_vcc 0
		.amdhsa_reserve_flat_scratch 0
		.amdhsa_float_round_mode_32 0
		.amdhsa_float_round_mode_16_64 0
		.amdhsa_float_denorm_mode_32 3
		.amdhsa_float_denorm_mode_16_64 3
		.amdhsa_dx10_clamp 1
		.amdhsa_ieee_mode 1
		.amdhsa_fp16_overflow 0
		.amdhsa_tg_split 0
		.amdhsa_exception_fp_ieee_invalid_op 0
		.amdhsa_exception_fp_denorm_src 0
		.amdhsa_exception_fp_ieee_div_zero 0
		.amdhsa_exception_fp_ieee_overflow 0
		.amdhsa_exception_fp_ieee_underflow 0
		.amdhsa_exception_fp_ieee_inexact 0
		.amdhsa_exception_int_div_zero 0
	.end_amdhsa_kernel
	.section	.text._ZN7rocprim17ROCPRIM_400000_NS6detail17trampoline_kernelINS0_14default_configENS1_25partition_config_selectorILNS1_17partition_subalgoE8ElNS0_10empty_typeEbEEZZNS1_14partition_implILS5_8ELb0ES3_jPlPS6_PKS6_NS0_5tupleIJS9_S6_EEENSD_IJSA_SA_EEENS0_18inequality_wrapperIZN2at6native12_GLOBAL__N_124unique_dim_cuda_templateIbEESt5tupleIJNSH_6TensorESM_SM_EERKSM_lbbbEUlllE0_EEPmJS6_EEE10hipError_tPvRmT3_T4_T5_T6_T7_T9_mT8_P12ihipStream_tbDpT10_ENKUlT_T0_E_clISt17integral_constantIbLb1EES1C_EEDaS17_S18_EUlS17_E_NS1_11comp_targetILNS1_3genE9ELNS1_11target_archE1100ELNS1_3gpuE3ELNS1_3repE0EEENS1_30default_config_static_selectorELNS0_4arch9wavefront6targetE1EEEvT1_,"axG",@progbits,_ZN7rocprim17ROCPRIM_400000_NS6detail17trampoline_kernelINS0_14default_configENS1_25partition_config_selectorILNS1_17partition_subalgoE8ElNS0_10empty_typeEbEEZZNS1_14partition_implILS5_8ELb0ES3_jPlPS6_PKS6_NS0_5tupleIJS9_S6_EEENSD_IJSA_SA_EEENS0_18inequality_wrapperIZN2at6native12_GLOBAL__N_124unique_dim_cuda_templateIbEESt5tupleIJNSH_6TensorESM_SM_EERKSM_lbbbEUlllE0_EEPmJS6_EEE10hipError_tPvRmT3_T4_T5_T6_T7_T9_mT8_P12ihipStream_tbDpT10_ENKUlT_T0_E_clISt17integral_constantIbLb1EES1C_EEDaS17_S18_EUlS17_E_NS1_11comp_targetILNS1_3genE9ELNS1_11target_archE1100ELNS1_3gpuE3ELNS1_3repE0EEENS1_30default_config_static_selectorELNS0_4arch9wavefront6targetE1EEEvT1_,comdat
.Lfunc_end1065:
	.size	_ZN7rocprim17ROCPRIM_400000_NS6detail17trampoline_kernelINS0_14default_configENS1_25partition_config_selectorILNS1_17partition_subalgoE8ElNS0_10empty_typeEbEEZZNS1_14partition_implILS5_8ELb0ES3_jPlPS6_PKS6_NS0_5tupleIJS9_S6_EEENSD_IJSA_SA_EEENS0_18inequality_wrapperIZN2at6native12_GLOBAL__N_124unique_dim_cuda_templateIbEESt5tupleIJNSH_6TensorESM_SM_EERKSM_lbbbEUlllE0_EEPmJS6_EEE10hipError_tPvRmT3_T4_T5_T6_T7_T9_mT8_P12ihipStream_tbDpT10_ENKUlT_T0_E_clISt17integral_constantIbLb1EES1C_EEDaS17_S18_EUlS17_E_NS1_11comp_targetILNS1_3genE9ELNS1_11target_archE1100ELNS1_3gpuE3ELNS1_3repE0EEENS1_30default_config_static_selectorELNS0_4arch9wavefront6targetE1EEEvT1_, .Lfunc_end1065-_ZN7rocprim17ROCPRIM_400000_NS6detail17trampoline_kernelINS0_14default_configENS1_25partition_config_selectorILNS1_17partition_subalgoE8ElNS0_10empty_typeEbEEZZNS1_14partition_implILS5_8ELb0ES3_jPlPS6_PKS6_NS0_5tupleIJS9_S6_EEENSD_IJSA_SA_EEENS0_18inequality_wrapperIZN2at6native12_GLOBAL__N_124unique_dim_cuda_templateIbEESt5tupleIJNSH_6TensorESM_SM_EERKSM_lbbbEUlllE0_EEPmJS6_EEE10hipError_tPvRmT3_T4_T5_T6_T7_T9_mT8_P12ihipStream_tbDpT10_ENKUlT_T0_E_clISt17integral_constantIbLb1EES1C_EEDaS17_S18_EUlS17_E_NS1_11comp_targetILNS1_3genE9ELNS1_11target_archE1100ELNS1_3gpuE3ELNS1_3repE0EEENS1_30default_config_static_selectorELNS0_4arch9wavefront6targetE1EEEvT1_
                                        ; -- End function
	.section	.AMDGPU.csdata,"",@progbits
; Kernel info:
; codeLenInByte = 0
; NumSgprs: 4
; NumVgprs: 0
; NumAgprs: 0
; TotalNumVgprs: 0
; ScratchSize: 0
; MemoryBound: 0
; FloatMode: 240
; IeeeMode: 1
; LDSByteSize: 0 bytes/workgroup (compile time only)
; SGPRBlocks: 0
; VGPRBlocks: 0
; NumSGPRsForWavesPerEU: 4
; NumVGPRsForWavesPerEU: 1
; AccumOffset: 4
; Occupancy: 8
; WaveLimiterHint : 0
; COMPUTE_PGM_RSRC2:SCRATCH_EN: 0
; COMPUTE_PGM_RSRC2:USER_SGPR: 6
; COMPUTE_PGM_RSRC2:TRAP_HANDLER: 0
; COMPUTE_PGM_RSRC2:TGID_X_EN: 1
; COMPUTE_PGM_RSRC2:TGID_Y_EN: 0
; COMPUTE_PGM_RSRC2:TGID_Z_EN: 0
; COMPUTE_PGM_RSRC2:TIDIG_COMP_CNT: 0
; COMPUTE_PGM_RSRC3_GFX90A:ACCUM_OFFSET: 0
; COMPUTE_PGM_RSRC3_GFX90A:TG_SPLIT: 0
	.section	.text._ZN7rocprim17ROCPRIM_400000_NS6detail17trampoline_kernelINS0_14default_configENS1_25partition_config_selectorILNS1_17partition_subalgoE8ElNS0_10empty_typeEbEEZZNS1_14partition_implILS5_8ELb0ES3_jPlPS6_PKS6_NS0_5tupleIJS9_S6_EEENSD_IJSA_SA_EEENS0_18inequality_wrapperIZN2at6native12_GLOBAL__N_124unique_dim_cuda_templateIbEESt5tupleIJNSH_6TensorESM_SM_EERKSM_lbbbEUlllE0_EEPmJS6_EEE10hipError_tPvRmT3_T4_T5_T6_T7_T9_mT8_P12ihipStream_tbDpT10_ENKUlT_T0_E_clISt17integral_constantIbLb1EES1C_EEDaS17_S18_EUlS17_E_NS1_11comp_targetILNS1_3genE8ELNS1_11target_archE1030ELNS1_3gpuE2ELNS1_3repE0EEENS1_30default_config_static_selectorELNS0_4arch9wavefront6targetE1EEEvT1_,"axG",@progbits,_ZN7rocprim17ROCPRIM_400000_NS6detail17trampoline_kernelINS0_14default_configENS1_25partition_config_selectorILNS1_17partition_subalgoE8ElNS0_10empty_typeEbEEZZNS1_14partition_implILS5_8ELb0ES3_jPlPS6_PKS6_NS0_5tupleIJS9_S6_EEENSD_IJSA_SA_EEENS0_18inequality_wrapperIZN2at6native12_GLOBAL__N_124unique_dim_cuda_templateIbEESt5tupleIJNSH_6TensorESM_SM_EERKSM_lbbbEUlllE0_EEPmJS6_EEE10hipError_tPvRmT3_T4_T5_T6_T7_T9_mT8_P12ihipStream_tbDpT10_ENKUlT_T0_E_clISt17integral_constantIbLb1EES1C_EEDaS17_S18_EUlS17_E_NS1_11comp_targetILNS1_3genE8ELNS1_11target_archE1030ELNS1_3gpuE2ELNS1_3repE0EEENS1_30default_config_static_selectorELNS0_4arch9wavefront6targetE1EEEvT1_,comdat
	.globl	_ZN7rocprim17ROCPRIM_400000_NS6detail17trampoline_kernelINS0_14default_configENS1_25partition_config_selectorILNS1_17partition_subalgoE8ElNS0_10empty_typeEbEEZZNS1_14partition_implILS5_8ELb0ES3_jPlPS6_PKS6_NS0_5tupleIJS9_S6_EEENSD_IJSA_SA_EEENS0_18inequality_wrapperIZN2at6native12_GLOBAL__N_124unique_dim_cuda_templateIbEESt5tupleIJNSH_6TensorESM_SM_EERKSM_lbbbEUlllE0_EEPmJS6_EEE10hipError_tPvRmT3_T4_T5_T6_T7_T9_mT8_P12ihipStream_tbDpT10_ENKUlT_T0_E_clISt17integral_constantIbLb1EES1C_EEDaS17_S18_EUlS17_E_NS1_11comp_targetILNS1_3genE8ELNS1_11target_archE1030ELNS1_3gpuE2ELNS1_3repE0EEENS1_30default_config_static_selectorELNS0_4arch9wavefront6targetE1EEEvT1_ ; -- Begin function _ZN7rocprim17ROCPRIM_400000_NS6detail17trampoline_kernelINS0_14default_configENS1_25partition_config_selectorILNS1_17partition_subalgoE8ElNS0_10empty_typeEbEEZZNS1_14partition_implILS5_8ELb0ES3_jPlPS6_PKS6_NS0_5tupleIJS9_S6_EEENSD_IJSA_SA_EEENS0_18inequality_wrapperIZN2at6native12_GLOBAL__N_124unique_dim_cuda_templateIbEESt5tupleIJNSH_6TensorESM_SM_EERKSM_lbbbEUlllE0_EEPmJS6_EEE10hipError_tPvRmT3_T4_T5_T6_T7_T9_mT8_P12ihipStream_tbDpT10_ENKUlT_T0_E_clISt17integral_constantIbLb1EES1C_EEDaS17_S18_EUlS17_E_NS1_11comp_targetILNS1_3genE8ELNS1_11target_archE1030ELNS1_3gpuE2ELNS1_3repE0EEENS1_30default_config_static_selectorELNS0_4arch9wavefront6targetE1EEEvT1_
	.p2align	8
	.type	_ZN7rocprim17ROCPRIM_400000_NS6detail17trampoline_kernelINS0_14default_configENS1_25partition_config_selectorILNS1_17partition_subalgoE8ElNS0_10empty_typeEbEEZZNS1_14partition_implILS5_8ELb0ES3_jPlPS6_PKS6_NS0_5tupleIJS9_S6_EEENSD_IJSA_SA_EEENS0_18inequality_wrapperIZN2at6native12_GLOBAL__N_124unique_dim_cuda_templateIbEESt5tupleIJNSH_6TensorESM_SM_EERKSM_lbbbEUlllE0_EEPmJS6_EEE10hipError_tPvRmT3_T4_T5_T6_T7_T9_mT8_P12ihipStream_tbDpT10_ENKUlT_T0_E_clISt17integral_constantIbLb1EES1C_EEDaS17_S18_EUlS17_E_NS1_11comp_targetILNS1_3genE8ELNS1_11target_archE1030ELNS1_3gpuE2ELNS1_3repE0EEENS1_30default_config_static_selectorELNS0_4arch9wavefront6targetE1EEEvT1_,@function
_ZN7rocprim17ROCPRIM_400000_NS6detail17trampoline_kernelINS0_14default_configENS1_25partition_config_selectorILNS1_17partition_subalgoE8ElNS0_10empty_typeEbEEZZNS1_14partition_implILS5_8ELb0ES3_jPlPS6_PKS6_NS0_5tupleIJS9_S6_EEENSD_IJSA_SA_EEENS0_18inequality_wrapperIZN2at6native12_GLOBAL__N_124unique_dim_cuda_templateIbEESt5tupleIJNSH_6TensorESM_SM_EERKSM_lbbbEUlllE0_EEPmJS6_EEE10hipError_tPvRmT3_T4_T5_T6_T7_T9_mT8_P12ihipStream_tbDpT10_ENKUlT_T0_E_clISt17integral_constantIbLb1EES1C_EEDaS17_S18_EUlS17_E_NS1_11comp_targetILNS1_3genE8ELNS1_11target_archE1030ELNS1_3gpuE2ELNS1_3repE0EEENS1_30default_config_static_selectorELNS0_4arch9wavefront6targetE1EEEvT1_: ; @_ZN7rocprim17ROCPRIM_400000_NS6detail17trampoline_kernelINS0_14default_configENS1_25partition_config_selectorILNS1_17partition_subalgoE8ElNS0_10empty_typeEbEEZZNS1_14partition_implILS5_8ELb0ES3_jPlPS6_PKS6_NS0_5tupleIJS9_S6_EEENSD_IJSA_SA_EEENS0_18inequality_wrapperIZN2at6native12_GLOBAL__N_124unique_dim_cuda_templateIbEESt5tupleIJNSH_6TensorESM_SM_EERKSM_lbbbEUlllE0_EEPmJS6_EEE10hipError_tPvRmT3_T4_T5_T6_T7_T9_mT8_P12ihipStream_tbDpT10_ENKUlT_T0_E_clISt17integral_constantIbLb1EES1C_EEDaS17_S18_EUlS17_E_NS1_11comp_targetILNS1_3genE8ELNS1_11target_archE1030ELNS1_3gpuE2ELNS1_3repE0EEENS1_30default_config_static_selectorELNS0_4arch9wavefront6targetE1EEEvT1_
; %bb.0:
	.section	.rodata,"a",@progbits
	.p2align	6, 0x0
	.amdhsa_kernel _ZN7rocprim17ROCPRIM_400000_NS6detail17trampoline_kernelINS0_14default_configENS1_25partition_config_selectorILNS1_17partition_subalgoE8ElNS0_10empty_typeEbEEZZNS1_14partition_implILS5_8ELb0ES3_jPlPS6_PKS6_NS0_5tupleIJS9_S6_EEENSD_IJSA_SA_EEENS0_18inequality_wrapperIZN2at6native12_GLOBAL__N_124unique_dim_cuda_templateIbEESt5tupleIJNSH_6TensorESM_SM_EERKSM_lbbbEUlllE0_EEPmJS6_EEE10hipError_tPvRmT3_T4_T5_T6_T7_T9_mT8_P12ihipStream_tbDpT10_ENKUlT_T0_E_clISt17integral_constantIbLb1EES1C_EEDaS17_S18_EUlS17_E_NS1_11comp_targetILNS1_3genE8ELNS1_11target_archE1030ELNS1_3gpuE2ELNS1_3repE0EEENS1_30default_config_static_selectorELNS0_4arch9wavefront6targetE1EEEvT1_
		.amdhsa_group_segment_fixed_size 0
		.amdhsa_private_segment_fixed_size 0
		.amdhsa_kernarg_size 136
		.amdhsa_user_sgpr_count 6
		.amdhsa_user_sgpr_private_segment_buffer 1
		.amdhsa_user_sgpr_dispatch_ptr 0
		.amdhsa_user_sgpr_queue_ptr 0
		.amdhsa_user_sgpr_kernarg_segment_ptr 1
		.amdhsa_user_sgpr_dispatch_id 0
		.amdhsa_user_sgpr_flat_scratch_init 0
		.amdhsa_user_sgpr_kernarg_preload_length 0
		.amdhsa_user_sgpr_kernarg_preload_offset 0
		.amdhsa_user_sgpr_private_segment_size 0
		.amdhsa_uses_dynamic_stack 0
		.amdhsa_system_sgpr_private_segment_wavefront_offset 0
		.amdhsa_system_sgpr_workgroup_id_x 1
		.amdhsa_system_sgpr_workgroup_id_y 0
		.amdhsa_system_sgpr_workgroup_id_z 0
		.amdhsa_system_sgpr_workgroup_info 0
		.amdhsa_system_vgpr_workitem_id 0
		.amdhsa_next_free_vgpr 1
		.amdhsa_next_free_sgpr 0
		.amdhsa_accum_offset 4
		.amdhsa_reserve_vcc 0
		.amdhsa_reserve_flat_scratch 0
		.amdhsa_float_round_mode_32 0
		.amdhsa_float_round_mode_16_64 0
		.amdhsa_float_denorm_mode_32 3
		.amdhsa_float_denorm_mode_16_64 3
		.amdhsa_dx10_clamp 1
		.amdhsa_ieee_mode 1
		.amdhsa_fp16_overflow 0
		.amdhsa_tg_split 0
		.amdhsa_exception_fp_ieee_invalid_op 0
		.amdhsa_exception_fp_denorm_src 0
		.amdhsa_exception_fp_ieee_div_zero 0
		.amdhsa_exception_fp_ieee_overflow 0
		.amdhsa_exception_fp_ieee_underflow 0
		.amdhsa_exception_fp_ieee_inexact 0
		.amdhsa_exception_int_div_zero 0
	.end_amdhsa_kernel
	.section	.text._ZN7rocprim17ROCPRIM_400000_NS6detail17trampoline_kernelINS0_14default_configENS1_25partition_config_selectorILNS1_17partition_subalgoE8ElNS0_10empty_typeEbEEZZNS1_14partition_implILS5_8ELb0ES3_jPlPS6_PKS6_NS0_5tupleIJS9_S6_EEENSD_IJSA_SA_EEENS0_18inequality_wrapperIZN2at6native12_GLOBAL__N_124unique_dim_cuda_templateIbEESt5tupleIJNSH_6TensorESM_SM_EERKSM_lbbbEUlllE0_EEPmJS6_EEE10hipError_tPvRmT3_T4_T5_T6_T7_T9_mT8_P12ihipStream_tbDpT10_ENKUlT_T0_E_clISt17integral_constantIbLb1EES1C_EEDaS17_S18_EUlS17_E_NS1_11comp_targetILNS1_3genE8ELNS1_11target_archE1030ELNS1_3gpuE2ELNS1_3repE0EEENS1_30default_config_static_selectorELNS0_4arch9wavefront6targetE1EEEvT1_,"axG",@progbits,_ZN7rocprim17ROCPRIM_400000_NS6detail17trampoline_kernelINS0_14default_configENS1_25partition_config_selectorILNS1_17partition_subalgoE8ElNS0_10empty_typeEbEEZZNS1_14partition_implILS5_8ELb0ES3_jPlPS6_PKS6_NS0_5tupleIJS9_S6_EEENSD_IJSA_SA_EEENS0_18inequality_wrapperIZN2at6native12_GLOBAL__N_124unique_dim_cuda_templateIbEESt5tupleIJNSH_6TensorESM_SM_EERKSM_lbbbEUlllE0_EEPmJS6_EEE10hipError_tPvRmT3_T4_T5_T6_T7_T9_mT8_P12ihipStream_tbDpT10_ENKUlT_T0_E_clISt17integral_constantIbLb1EES1C_EEDaS17_S18_EUlS17_E_NS1_11comp_targetILNS1_3genE8ELNS1_11target_archE1030ELNS1_3gpuE2ELNS1_3repE0EEENS1_30default_config_static_selectorELNS0_4arch9wavefront6targetE1EEEvT1_,comdat
.Lfunc_end1066:
	.size	_ZN7rocprim17ROCPRIM_400000_NS6detail17trampoline_kernelINS0_14default_configENS1_25partition_config_selectorILNS1_17partition_subalgoE8ElNS0_10empty_typeEbEEZZNS1_14partition_implILS5_8ELb0ES3_jPlPS6_PKS6_NS0_5tupleIJS9_S6_EEENSD_IJSA_SA_EEENS0_18inequality_wrapperIZN2at6native12_GLOBAL__N_124unique_dim_cuda_templateIbEESt5tupleIJNSH_6TensorESM_SM_EERKSM_lbbbEUlllE0_EEPmJS6_EEE10hipError_tPvRmT3_T4_T5_T6_T7_T9_mT8_P12ihipStream_tbDpT10_ENKUlT_T0_E_clISt17integral_constantIbLb1EES1C_EEDaS17_S18_EUlS17_E_NS1_11comp_targetILNS1_3genE8ELNS1_11target_archE1030ELNS1_3gpuE2ELNS1_3repE0EEENS1_30default_config_static_selectorELNS0_4arch9wavefront6targetE1EEEvT1_, .Lfunc_end1066-_ZN7rocprim17ROCPRIM_400000_NS6detail17trampoline_kernelINS0_14default_configENS1_25partition_config_selectorILNS1_17partition_subalgoE8ElNS0_10empty_typeEbEEZZNS1_14partition_implILS5_8ELb0ES3_jPlPS6_PKS6_NS0_5tupleIJS9_S6_EEENSD_IJSA_SA_EEENS0_18inequality_wrapperIZN2at6native12_GLOBAL__N_124unique_dim_cuda_templateIbEESt5tupleIJNSH_6TensorESM_SM_EERKSM_lbbbEUlllE0_EEPmJS6_EEE10hipError_tPvRmT3_T4_T5_T6_T7_T9_mT8_P12ihipStream_tbDpT10_ENKUlT_T0_E_clISt17integral_constantIbLb1EES1C_EEDaS17_S18_EUlS17_E_NS1_11comp_targetILNS1_3genE8ELNS1_11target_archE1030ELNS1_3gpuE2ELNS1_3repE0EEENS1_30default_config_static_selectorELNS0_4arch9wavefront6targetE1EEEvT1_
                                        ; -- End function
	.section	.AMDGPU.csdata,"",@progbits
; Kernel info:
; codeLenInByte = 0
; NumSgprs: 4
; NumVgprs: 0
; NumAgprs: 0
; TotalNumVgprs: 0
; ScratchSize: 0
; MemoryBound: 0
; FloatMode: 240
; IeeeMode: 1
; LDSByteSize: 0 bytes/workgroup (compile time only)
; SGPRBlocks: 0
; VGPRBlocks: 0
; NumSGPRsForWavesPerEU: 4
; NumVGPRsForWavesPerEU: 1
; AccumOffset: 4
; Occupancy: 8
; WaveLimiterHint : 0
; COMPUTE_PGM_RSRC2:SCRATCH_EN: 0
; COMPUTE_PGM_RSRC2:USER_SGPR: 6
; COMPUTE_PGM_RSRC2:TRAP_HANDLER: 0
; COMPUTE_PGM_RSRC2:TGID_X_EN: 1
; COMPUTE_PGM_RSRC2:TGID_Y_EN: 0
; COMPUTE_PGM_RSRC2:TGID_Z_EN: 0
; COMPUTE_PGM_RSRC2:TIDIG_COMP_CNT: 0
; COMPUTE_PGM_RSRC3_GFX90A:ACCUM_OFFSET: 0
; COMPUTE_PGM_RSRC3_GFX90A:TG_SPLIT: 0
	.section	.text._ZN7rocprim17ROCPRIM_400000_NS6detail17trampoline_kernelINS0_14default_configENS1_25partition_config_selectorILNS1_17partition_subalgoE8ElNS0_10empty_typeEbEEZZNS1_14partition_implILS5_8ELb0ES3_jPlPS6_PKS6_NS0_5tupleIJS9_S6_EEENSD_IJSA_SA_EEENS0_18inequality_wrapperIZN2at6native12_GLOBAL__N_124unique_dim_cuda_templateIbEESt5tupleIJNSH_6TensorESM_SM_EERKSM_lbbbEUlllE0_EEPmJS6_EEE10hipError_tPvRmT3_T4_T5_T6_T7_T9_mT8_P12ihipStream_tbDpT10_ENKUlT_T0_E_clISt17integral_constantIbLb1EES1B_IbLb0EEEEDaS17_S18_EUlS17_E_NS1_11comp_targetILNS1_3genE0ELNS1_11target_archE4294967295ELNS1_3gpuE0ELNS1_3repE0EEENS1_30default_config_static_selectorELNS0_4arch9wavefront6targetE1EEEvT1_,"axG",@progbits,_ZN7rocprim17ROCPRIM_400000_NS6detail17trampoline_kernelINS0_14default_configENS1_25partition_config_selectorILNS1_17partition_subalgoE8ElNS0_10empty_typeEbEEZZNS1_14partition_implILS5_8ELb0ES3_jPlPS6_PKS6_NS0_5tupleIJS9_S6_EEENSD_IJSA_SA_EEENS0_18inequality_wrapperIZN2at6native12_GLOBAL__N_124unique_dim_cuda_templateIbEESt5tupleIJNSH_6TensorESM_SM_EERKSM_lbbbEUlllE0_EEPmJS6_EEE10hipError_tPvRmT3_T4_T5_T6_T7_T9_mT8_P12ihipStream_tbDpT10_ENKUlT_T0_E_clISt17integral_constantIbLb1EES1B_IbLb0EEEEDaS17_S18_EUlS17_E_NS1_11comp_targetILNS1_3genE0ELNS1_11target_archE4294967295ELNS1_3gpuE0ELNS1_3repE0EEENS1_30default_config_static_selectorELNS0_4arch9wavefront6targetE1EEEvT1_,comdat
	.globl	_ZN7rocprim17ROCPRIM_400000_NS6detail17trampoline_kernelINS0_14default_configENS1_25partition_config_selectorILNS1_17partition_subalgoE8ElNS0_10empty_typeEbEEZZNS1_14partition_implILS5_8ELb0ES3_jPlPS6_PKS6_NS0_5tupleIJS9_S6_EEENSD_IJSA_SA_EEENS0_18inequality_wrapperIZN2at6native12_GLOBAL__N_124unique_dim_cuda_templateIbEESt5tupleIJNSH_6TensorESM_SM_EERKSM_lbbbEUlllE0_EEPmJS6_EEE10hipError_tPvRmT3_T4_T5_T6_T7_T9_mT8_P12ihipStream_tbDpT10_ENKUlT_T0_E_clISt17integral_constantIbLb1EES1B_IbLb0EEEEDaS17_S18_EUlS17_E_NS1_11comp_targetILNS1_3genE0ELNS1_11target_archE4294967295ELNS1_3gpuE0ELNS1_3repE0EEENS1_30default_config_static_selectorELNS0_4arch9wavefront6targetE1EEEvT1_ ; -- Begin function _ZN7rocprim17ROCPRIM_400000_NS6detail17trampoline_kernelINS0_14default_configENS1_25partition_config_selectorILNS1_17partition_subalgoE8ElNS0_10empty_typeEbEEZZNS1_14partition_implILS5_8ELb0ES3_jPlPS6_PKS6_NS0_5tupleIJS9_S6_EEENSD_IJSA_SA_EEENS0_18inequality_wrapperIZN2at6native12_GLOBAL__N_124unique_dim_cuda_templateIbEESt5tupleIJNSH_6TensorESM_SM_EERKSM_lbbbEUlllE0_EEPmJS6_EEE10hipError_tPvRmT3_T4_T5_T6_T7_T9_mT8_P12ihipStream_tbDpT10_ENKUlT_T0_E_clISt17integral_constantIbLb1EES1B_IbLb0EEEEDaS17_S18_EUlS17_E_NS1_11comp_targetILNS1_3genE0ELNS1_11target_archE4294967295ELNS1_3gpuE0ELNS1_3repE0EEENS1_30default_config_static_selectorELNS0_4arch9wavefront6targetE1EEEvT1_
	.p2align	8
	.type	_ZN7rocprim17ROCPRIM_400000_NS6detail17trampoline_kernelINS0_14default_configENS1_25partition_config_selectorILNS1_17partition_subalgoE8ElNS0_10empty_typeEbEEZZNS1_14partition_implILS5_8ELb0ES3_jPlPS6_PKS6_NS0_5tupleIJS9_S6_EEENSD_IJSA_SA_EEENS0_18inequality_wrapperIZN2at6native12_GLOBAL__N_124unique_dim_cuda_templateIbEESt5tupleIJNSH_6TensorESM_SM_EERKSM_lbbbEUlllE0_EEPmJS6_EEE10hipError_tPvRmT3_T4_T5_T6_T7_T9_mT8_P12ihipStream_tbDpT10_ENKUlT_T0_E_clISt17integral_constantIbLb1EES1B_IbLb0EEEEDaS17_S18_EUlS17_E_NS1_11comp_targetILNS1_3genE0ELNS1_11target_archE4294967295ELNS1_3gpuE0ELNS1_3repE0EEENS1_30default_config_static_selectorELNS0_4arch9wavefront6targetE1EEEvT1_,@function
_ZN7rocprim17ROCPRIM_400000_NS6detail17trampoline_kernelINS0_14default_configENS1_25partition_config_selectorILNS1_17partition_subalgoE8ElNS0_10empty_typeEbEEZZNS1_14partition_implILS5_8ELb0ES3_jPlPS6_PKS6_NS0_5tupleIJS9_S6_EEENSD_IJSA_SA_EEENS0_18inequality_wrapperIZN2at6native12_GLOBAL__N_124unique_dim_cuda_templateIbEESt5tupleIJNSH_6TensorESM_SM_EERKSM_lbbbEUlllE0_EEPmJS6_EEE10hipError_tPvRmT3_T4_T5_T6_T7_T9_mT8_P12ihipStream_tbDpT10_ENKUlT_T0_E_clISt17integral_constantIbLb1EES1B_IbLb0EEEEDaS17_S18_EUlS17_E_NS1_11comp_targetILNS1_3genE0ELNS1_11target_archE4294967295ELNS1_3gpuE0ELNS1_3repE0EEENS1_30default_config_static_selectorELNS0_4arch9wavefront6targetE1EEEvT1_: ; @_ZN7rocprim17ROCPRIM_400000_NS6detail17trampoline_kernelINS0_14default_configENS1_25partition_config_selectorILNS1_17partition_subalgoE8ElNS0_10empty_typeEbEEZZNS1_14partition_implILS5_8ELb0ES3_jPlPS6_PKS6_NS0_5tupleIJS9_S6_EEENSD_IJSA_SA_EEENS0_18inequality_wrapperIZN2at6native12_GLOBAL__N_124unique_dim_cuda_templateIbEESt5tupleIJNSH_6TensorESM_SM_EERKSM_lbbbEUlllE0_EEPmJS6_EEE10hipError_tPvRmT3_T4_T5_T6_T7_T9_mT8_P12ihipStream_tbDpT10_ENKUlT_T0_E_clISt17integral_constantIbLb1EES1B_IbLb0EEEEDaS17_S18_EUlS17_E_NS1_11comp_targetILNS1_3genE0ELNS1_11target_archE4294967295ELNS1_3gpuE0ELNS1_3repE0EEENS1_30default_config_static_selectorELNS0_4arch9wavefront6targetE1EEEvT1_
; %bb.0:
	.section	.rodata,"a",@progbits
	.p2align	6, 0x0
	.amdhsa_kernel _ZN7rocprim17ROCPRIM_400000_NS6detail17trampoline_kernelINS0_14default_configENS1_25partition_config_selectorILNS1_17partition_subalgoE8ElNS0_10empty_typeEbEEZZNS1_14partition_implILS5_8ELb0ES3_jPlPS6_PKS6_NS0_5tupleIJS9_S6_EEENSD_IJSA_SA_EEENS0_18inequality_wrapperIZN2at6native12_GLOBAL__N_124unique_dim_cuda_templateIbEESt5tupleIJNSH_6TensorESM_SM_EERKSM_lbbbEUlllE0_EEPmJS6_EEE10hipError_tPvRmT3_T4_T5_T6_T7_T9_mT8_P12ihipStream_tbDpT10_ENKUlT_T0_E_clISt17integral_constantIbLb1EES1B_IbLb0EEEEDaS17_S18_EUlS17_E_NS1_11comp_targetILNS1_3genE0ELNS1_11target_archE4294967295ELNS1_3gpuE0ELNS1_3repE0EEENS1_30default_config_static_selectorELNS0_4arch9wavefront6targetE1EEEvT1_
		.amdhsa_group_segment_fixed_size 0
		.amdhsa_private_segment_fixed_size 0
		.amdhsa_kernarg_size 120
		.amdhsa_user_sgpr_count 6
		.amdhsa_user_sgpr_private_segment_buffer 1
		.amdhsa_user_sgpr_dispatch_ptr 0
		.amdhsa_user_sgpr_queue_ptr 0
		.amdhsa_user_sgpr_kernarg_segment_ptr 1
		.amdhsa_user_sgpr_dispatch_id 0
		.amdhsa_user_sgpr_flat_scratch_init 0
		.amdhsa_user_sgpr_kernarg_preload_length 0
		.amdhsa_user_sgpr_kernarg_preload_offset 0
		.amdhsa_user_sgpr_private_segment_size 0
		.amdhsa_uses_dynamic_stack 0
		.amdhsa_system_sgpr_private_segment_wavefront_offset 0
		.amdhsa_system_sgpr_workgroup_id_x 1
		.amdhsa_system_sgpr_workgroup_id_y 0
		.amdhsa_system_sgpr_workgroup_id_z 0
		.amdhsa_system_sgpr_workgroup_info 0
		.amdhsa_system_vgpr_workitem_id 0
		.amdhsa_next_free_vgpr 1
		.amdhsa_next_free_sgpr 0
		.amdhsa_accum_offset 4
		.amdhsa_reserve_vcc 0
		.amdhsa_reserve_flat_scratch 0
		.amdhsa_float_round_mode_32 0
		.amdhsa_float_round_mode_16_64 0
		.amdhsa_float_denorm_mode_32 3
		.amdhsa_float_denorm_mode_16_64 3
		.amdhsa_dx10_clamp 1
		.amdhsa_ieee_mode 1
		.amdhsa_fp16_overflow 0
		.amdhsa_tg_split 0
		.amdhsa_exception_fp_ieee_invalid_op 0
		.amdhsa_exception_fp_denorm_src 0
		.amdhsa_exception_fp_ieee_div_zero 0
		.amdhsa_exception_fp_ieee_overflow 0
		.amdhsa_exception_fp_ieee_underflow 0
		.amdhsa_exception_fp_ieee_inexact 0
		.amdhsa_exception_int_div_zero 0
	.end_amdhsa_kernel
	.section	.text._ZN7rocprim17ROCPRIM_400000_NS6detail17trampoline_kernelINS0_14default_configENS1_25partition_config_selectorILNS1_17partition_subalgoE8ElNS0_10empty_typeEbEEZZNS1_14partition_implILS5_8ELb0ES3_jPlPS6_PKS6_NS0_5tupleIJS9_S6_EEENSD_IJSA_SA_EEENS0_18inequality_wrapperIZN2at6native12_GLOBAL__N_124unique_dim_cuda_templateIbEESt5tupleIJNSH_6TensorESM_SM_EERKSM_lbbbEUlllE0_EEPmJS6_EEE10hipError_tPvRmT3_T4_T5_T6_T7_T9_mT8_P12ihipStream_tbDpT10_ENKUlT_T0_E_clISt17integral_constantIbLb1EES1B_IbLb0EEEEDaS17_S18_EUlS17_E_NS1_11comp_targetILNS1_3genE0ELNS1_11target_archE4294967295ELNS1_3gpuE0ELNS1_3repE0EEENS1_30default_config_static_selectorELNS0_4arch9wavefront6targetE1EEEvT1_,"axG",@progbits,_ZN7rocprim17ROCPRIM_400000_NS6detail17trampoline_kernelINS0_14default_configENS1_25partition_config_selectorILNS1_17partition_subalgoE8ElNS0_10empty_typeEbEEZZNS1_14partition_implILS5_8ELb0ES3_jPlPS6_PKS6_NS0_5tupleIJS9_S6_EEENSD_IJSA_SA_EEENS0_18inequality_wrapperIZN2at6native12_GLOBAL__N_124unique_dim_cuda_templateIbEESt5tupleIJNSH_6TensorESM_SM_EERKSM_lbbbEUlllE0_EEPmJS6_EEE10hipError_tPvRmT3_T4_T5_T6_T7_T9_mT8_P12ihipStream_tbDpT10_ENKUlT_T0_E_clISt17integral_constantIbLb1EES1B_IbLb0EEEEDaS17_S18_EUlS17_E_NS1_11comp_targetILNS1_3genE0ELNS1_11target_archE4294967295ELNS1_3gpuE0ELNS1_3repE0EEENS1_30default_config_static_selectorELNS0_4arch9wavefront6targetE1EEEvT1_,comdat
.Lfunc_end1067:
	.size	_ZN7rocprim17ROCPRIM_400000_NS6detail17trampoline_kernelINS0_14default_configENS1_25partition_config_selectorILNS1_17partition_subalgoE8ElNS0_10empty_typeEbEEZZNS1_14partition_implILS5_8ELb0ES3_jPlPS6_PKS6_NS0_5tupleIJS9_S6_EEENSD_IJSA_SA_EEENS0_18inequality_wrapperIZN2at6native12_GLOBAL__N_124unique_dim_cuda_templateIbEESt5tupleIJNSH_6TensorESM_SM_EERKSM_lbbbEUlllE0_EEPmJS6_EEE10hipError_tPvRmT3_T4_T5_T6_T7_T9_mT8_P12ihipStream_tbDpT10_ENKUlT_T0_E_clISt17integral_constantIbLb1EES1B_IbLb0EEEEDaS17_S18_EUlS17_E_NS1_11comp_targetILNS1_3genE0ELNS1_11target_archE4294967295ELNS1_3gpuE0ELNS1_3repE0EEENS1_30default_config_static_selectorELNS0_4arch9wavefront6targetE1EEEvT1_, .Lfunc_end1067-_ZN7rocprim17ROCPRIM_400000_NS6detail17trampoline_kernelINS0_14default_configENS1_25partition_config_selectorILNS1_17partition_subalgoE8ElNS0_10empty_typeEbEEZZNS1_14partition_implILS5_8ELb0ES3_jPlPS6_PKS6_NS0_5tupleIJS9_S6_EEENSD_IJSA_SA_EEENS0_18inequality_wrapperIZN2at6native12_GLOBAL__N_124unique_dim_cuda_templateIbEESt5tupleIJNSH_6TensorESM_SM_EERKSM_lbbbEUlllE0_EEPmJS6_EEE10hipError_tPvRmT3_T4_T5_T6_T7_T9_mT8_P12ihipStream_tbDpT10_ENKUlT_T0_E_clISt17integral_constantIbLb1EES1B_IbLb0EEEEDaS17_S18_EUlS17_E_NS1_11comp_targetILNS1_3genE0ELNS1_11target_archE4294967295ELNS1_3gpuE0ELNS1_3repE0EEENS1_30default_config_static_selectorELNS0_4arch9wavefront6targetE1EEEvT1_
                                        ; -- End function
	.section	.AMDGPU.csdata,"",@progbits
; Kernel info:
; codeLenInByte = 0
; NumSgprs: 4
; NumVgprs: 0
; NumAgprs: 0
; TotalNumVgprs: 0
; ScratchSize: 0
; MemoryBound: 0
; FloatMode: 240
; IeeeMode: 1
; LDSByteSize: 0 bytes/workgroup (compile time only)
; SGPRBlocks: 0
; VGPRBlocks: 0
; NumSGPRsForWavesPerEU: 4
; NumVGPRsForWavesPerEU: 1
; AccumOffset: 4
; Occupancy: 8
; WaveLimiterHint : 0
; COMPUTE_PGM_RSRC2:SCRATCH_EN: 0
; COMPUTE_PGM_RSRC2:USER_SGPR: 6
; COMPUTE_PGM_RSRC2:TRAP_HANDLER: 0
; COMPUTE_PGM_RSRC2:TGID_X_EN: 1
; COMPUTE_PGM_RSRC2:TGID_Y_EN: 0
; COMPUTE_PGM_RSRC2:TGID_Z_EN: 0
; COMPUTE_PGM_RSRC2:TIDIG_COMP_CNT: 0
; COMPUTE_PGM_RSRC3_GFX90A:ACCUM_OFFSET: 0
; COMPUTE_PGM_RSRC3_GFX90A:TG_SPLIT: 0
	.section	.text._ZN7rocprim17ROCPRIM_400000_NS6detail17trampoline_kernelINS0_14default_configENS1_25partition_config_selectorILNS1_17partition_subalgoE8ElNS0_10empty_typeEbEEZZNS1_14partition_implILS5_8ELb0ES3_jPlPS6_PKS6_NS0_5tupleIJS9_S6_EEENSD_IJSA_SA_EEENS0_18inequality_wrapperIZN2at6native12_GLOBAL__N_124unique_dim_cuda_templateIbEESt5tupleIJNSH_6TensorESM_SM_EERKSM_lbbbEUlllE0_EEPmJS6_EEE10hipError_tPvRmT3_T4_T5_T6_T7_T9_mT8_P12ihipStream_tbDpT10_ENKUlT_T0_E_clISt17integral_constantIbLb1EES1B_IbLb0EEEEDaS17_S18_EUlS17_E_NS1_11comp_targetILNS1_3genE5ELNS1_11target_archE942ELNS1_3gpuE9ELNS1_3repE0EEENS1_30default_config_static_selectorELNS0_4arch9wavefront6targetE1EEEvT1_,"axG",@progbits,_ZN7rocprim17ROCPRIM_400000_NS6detail17trampoline_kernelINS0_14default_configENS1_25partition_config_selectorILNS1_17partition_subalgoE8ElNS0_10empty_typeEbEEZZNS1_14partition_implILS5_8ELb0ES3_jPlPS6_PKS6_NS0_5tupleIJS9_S6_EEENSD_IJSA_SA_EEENS0_18inequality_wrapperIZN2at6native12_GLOBAL__N_124unique_dim_cuda_templateIbEESt5tupleIJNSH_6TensorESM_SM_EERKSM_lbbbEUlllE0_EEPmJS6_EEE10hipError_tPvRmT3_T4_T5_T6_T7_T9_mT8_P12ihipStream_tbDpT10_ENKUlT_T0_E_clISt17integral_constantIbLb1EES1B_IbLb0EEEEDaS17_S18_EUlS17_E_NS1_11comp_targetILNS1_3genE5ELNS1_11target_archE942ELNS1_3gpuE9ELNS1_3repE0EEENS1_30default_config_static_selectorELNS0_4arch9wavefront6targetE1EEEvT1_,comdat
	.globl	_ZN7rocprim17ROCPRIM_400000_NS6detail17trampoline_kernelINS0_14default_configENS1_25partition_config_selectorILNS1_17partition_subalgoE8ElNS0_10empty_typeEbEEZZNS1_14partition_implILS5_8ELb0ES3_jPlPS6_PKS6_NS0_5tupleIJS9_S6_EEENSD_IJSA_SA_EEENS0_18inequality_wrapperIZN2at6native12_GLOBAL__N_124unique_dim_cuda_templateIbEESt5tupleIJNSH_6TensorESM_SM_EERKSM_lbbbEUlllE0_EEPmJS6_EEE10hipError_tPvRmT3_T4_T5_T6_T7_T9_mT8_P12ihipStream_tbDpT10_ENKUlT_T0_E_clISt17integral_constantIbLb1EES1B_IbLb0EEEEDaS17_S18_EUlS17_E_NS1_11comp_targetILNS1_3genE5ELNS1_11target_archE942ELNS1_3gpuE9ELNS1_3repE0EEENS1_30default_config_static_selectorELNS0_4arch9wavefront6targetE1EEEvT1_ ; -- Begin function _ZN7rocprim17ROCPRIM_400000_NS6detail17trampoline_kernelINS0_14default_configENS1_25partition_config_selectorILNS1_17partition_subalgoE8ElNS0_10empty_typeEbEEZZNS1_14partition_implILS5_8ELb0ES3_jPlPS6_PKS6_NS0_5tupleIJS9_S6_EEENSD_IJSA_SA_EEENS0_18inequality_wrapperIZN2at6native12_GLOBAL__N_124unique_dim_cuda_templateIbEESt5tupleIJNSH_6TensorESM_SM_EERKSM_lbbbEUlllE0_EEPmJS6_EEE10hipError_tPvRmT3_T4_T5_T6_T7_T9_mT8_P12ihipStream_tbDpT10_ENKUlT_T0_E_clISt17integral_constantIbLb1EES1B_IbLb0EEEEDaS17_S18_EUlS17_E_NS1_11comp_targetILNS1_3genE5ELNS1_11target_archE942ELNS1_3gpuE9ELNS1_3repE0EEENS1_30default_config_static_selectorELNS0_4arch9wavefront6targetE1EEEvT1_
	.p2align	8
	.type	_ZN7rocprim17ROCPRIM_400000_NS6detail17trampoline_kernelINS0_14default_configENS1_25partition_config_selectorILNS1_17partition_subalgoE8ElNS0_10empty_typeEbEEZZNS1_14partition_implILS5_8ELb0ES3_jPlPS6_PKS6_NS0_5tupleIJS9_S6_EEENSD_IJSA_SA_EEENS0_18inequality_wrapperIZN2at6native12_GLOBAL__N_124unique_dim_cuda_templateIbEESt5tupleIJNSH_6TensorESM_SM_EERKSM_lbbbEUlllE0_EEPmJS6_EEE10hipError_tPvRmT3_T4_T5_T6_T7_T9_mT8_P12ihipStream_tbDpT10_ENKUlT_T0_E_clISt17integral_constantIbLb1EES1B_IbLb0EEEEDaS17_S18_EUlS17_E_NS1_11comp_targetILNS1_3genE5ELNS1_11target_archE942ELNS1_3gpuE9ELNS1_3repE0EEENS1_30default_config_static_selectorELNS0_4arch9wavefront6targetE1EEEvT1_,@function
_ZN7rocprim17ROCPRIM_400000_NS6detail17trampoline_kernelINS0_14default_configENS1_25partition_config_selectorILNS1_17partition_subalgoE8ElNS0_10empty_typeEbEEZZNS1_14partition_implILS5_8ELb0ES3_jPlPS6_PKS6_NS0_5tupleIJS9_S6_EEENSD_IJSA_SA_EEENS0_18inequality_wrapperIZN2at6native12_GLOBAL__N_124unique_dim_cuda_templateIbEESt5tupleIJNSH_6TensorESM_SM_EERKSM_lbbbEUlllE0_EEPmJS6_EEE10hipError_tPvRmT3_T4_T5_T6_T7_T9_mT8_P12ihipStream_tbDpT10_ENKUlT_T0_E_clISt17integral_constantIbLb1EES1B_IbLb0EEEEDaS17_S18_EUlS17_E_NS1_11comp_targetILNS1_3genE5ELNS1_11target_archE942ELNS1_3gpuE9ELNS1_3repE0EEENS1_30default_config_static_selectorELNS0_4arch9wavefront6targetE1EEEvT1_: ; @_ZN7rocprim17ROCPRIM_400000_NS6detail17trampoline_kernelINS0_14default_configENS1_25partition_config_selectorILNS1_17partition_subalgoE8ElNS0_10empty_typeEbEEZZNS1_14partition_implILS5_8ELb0ES3_jPlPS6_PKS6_NS0_5tupleIJS9_S6_EEENSD_IJSA_SA_EEENS0_18inequality_wrapperIZN2at6native12_GLOBAL__N_124unique_dim_cuda_templateIbEESt5tupleIJNSH_6TensorESM_SM_EERKSM_lbbbEUlllE0_EEPmJS6_EEE10hipError_tPvRmT3_T4_T5_T6_T7_T9_mT8_P12ihipStream_tbDpT10_ENKUlT_T0_E_clISt17integral_constantIbLb1EES1B_IbLb0EEEEDaS17_S18_EUlS17_E_NS1_11comp_targetILNS1_3genE5ELNS1_11target_archE942ELNS1_3gpuE9ELNS1_3repE0EEENS1_30default_config_static_selectorELNS0_4arch9wavefront6targetE1EEEvT1_
; %bb.0:
	.section	.rodata,"a",@progbits
	.p2align	6, 0x0
	.amdhsa_kernel _ZN7rocprim17ROCPRIM_400000_NS6detail17trampoline_kernelINS0_14default_configENS1_25partition_config_selectorILNS1_17partition_subalgoE8ElNS0_10empty_typeEbEEZZNS1_14partition_implILS5_8ELb0ES3_jPlPS6_PKS6_NS0_5tupleIJS9_S6_EEENSD_IJSA_SA_EEENS0_18inequality_wrapperIZN2at6native12_GLOBAL__N_124unique_dim_cuda_templateIbEESt5tupleIJNSH_6TensorESM_SM_EERKSM_lbbbEUlllE0_EEPmJS6_EEE10hipError_tPvRmT3_T4_T5_T6_T7_T9_mT8_P12ihipStream_tbDpT10_ENKUlT_T0_E_clISt17integral_constantIbLb1EES1B_IbLb0EEEEDaS17_S18_EUlS17_E_NS1_11comp_targetILNS1_3genE5ELNS1_11target_archE942ELNS1_3gpuE9ELNS1_3repE0EEENS1_30default_config_static_selectorELNS0_4arch9wavefront6targetE1EEEvT1_
		.amdhsa_group_segment_fixed_size 0
		.amdhsa_private_segment_fixed_size 0
		.amdhsa_kernarg_size 120
		.amdhsa_user_sgpr_count 6
		.amdhsa_user_sgpr_private_segment_buffer 1
		.amdhsa_user_sgpr_dispatch_ptr 0
		.amdhsa_user_sgpr_queue_ptr 0
		.amdhsa_user_sgpr_kernarg_segment_ptr 1
		.amdhsa_user_sgpr_dispatch_id 0
		.amdhsa_user_sgpr_flat_scratch_init 0
		.amdhsa_user_sgpr_kernarg_preload_length 0
		.amdhsa_user_sgpr_kernarg_preload_offset 0
		.amdhsa_user_sgpr_private_segment_size 0
		.amdhsa_uses_dynamic_stack 0
		.amdhsa_system_sgpr_private_segment_wavefront_offset 0
		.amdhsa_system_sgpr_workgroup_id_x 1
		.amdhsa_system_sgpr_workgroup_id_y 0
		.amdhsa_system_sgpr_workgroup_id_z 0
		.amdhsa_system_sgpr_workgroup_info 0
		.amdhsa_system_vgpr_workitem_id 0
		.amdhsa_next_free_vgpr 1
		.amdhsa_next_free_sgpr 0
		.amdhsa_accum_offset 4
		.amdhsa_reserve_vcc 0
		.amdhsa_reserve_flat_scratch 0
		.amdhsa_float_round_mode_32 0
		.amdhsa_float_round_mode_16_64 0
		.amdhsa_float_denorm_mode_32 3
		.amdhsa_float_denorm_mode_16_64 3
		.amdhsa_dx10_clamp 1
		.amdhsa_ieee_mode 1
		.amdhsa_fp16_overflow 0
		.amdhsa_tg_split 0
		.amdhsa_exception_fp_ieee_invalid_op 0
		.amdhsa_exception_fp_denorm_src 0
		.amdhsa_exception_fp_ieee_div_zero 0
		.amdhsa_exception_fp_ieee_overflow 0
		.amdhsa_exception_fp_ieee_underflow 0
		.amdhsa_exception_fp_ieee_inexact 0
		.amdhsa_exception_int_div_zero 0
	.end_amdhsa_kernel
	.section	.text._ZN7rocprim17ROCPRIM_400000_NS6detail17trampoline_kernelINS0_14default_configENS1_25partition_config_selectorILNS1_17partition_subalgoE8ElNS0_10empty_typeEbEEZZNS1_14partition_implILS5_8ELb0ES3_jPlPS6_PKS6_NS0_5tupleIJS9_S6_EEENSD_IJSA_SA_EEENS0_18inequality_wrapperIZN2at6native12_GLOBAL__N_124unique_dim_cuda_templateIbEESt5tupleIJNSH_6TensorESM_SM_EERKSM_lbbbEUlllE0_EEPmJS6_EEE10hipError_tPvRmT3_T4_T5_T6_T7_T9_mT8_P12ihipStream_tbDpT10_ENKUlT_T0_E_clISt17integral_constantIbLb1EES1B_IbLb0EEEEDaS17_S18_EUlS17_E_NS1_11comp_targetILNS1_3genE5ELNS1_11target_archE942ELNS1_3gpuE9ELNS1_3repE0EEENS1_30default_config_static_selectorELNS0_4arch9wavefront6targetE1EEEvT1_,"axG",@progbits,_ZN7rocprim17ROCPRIM_400000_NS6detail17trampoline_kernelINS0_14default_configENS1_25partition_config_selectorILNS1_17partition_subalgoE8ElNS0_10empty_typeEbEEZZNS1_14partition_implILS5_8ELb0ES3_jPlPS6_PKS6_NS0_5tupleIJS9_S6_EEENSD_IJSA_SA_EEENS0_18inequality_wrapperIZN2at6native12_GLOBAL__N_124unique_dim_cuda_templateIbEESt5tupleIJNSH_6TensorESM_SM_EERKSM_lbbbEUlllE0_EEPmJS6_EEE10hipError_tPvRmT3_T4_T5_T6_T7_T9_mT8_P12ihipStream_tbDpT10_ENKUlT_T0_E_clISt17integral_constantIbLb1EES1B_IbLb0EEEEDaS17_S18_EUlS17_E_NS1_11comp_targetILNS1_3genE5ELNS1_11target_archE942ELNS1_3gpuE9ELNS1_3repE0EEENS1_30default_config_static_selectorELNS0_4arch9wavefront6targetE1EEEvT1_,comdat
.Lfunc_end1068:
	.size	_ZN7rocprim17ROCPRIM_400000_NS6detail17trampoline_kernelINS0_14default_configENS1_25partition_config_selectorILNS1_17partition_subalgoE8ElNS0_10empty_typeEbEEZZNS1_14partition_implILS5_8ELb0ES3_jPlPS6_PKS6_NS0_5tupleIJS9_S6_EEENSD_IJSA_SA_EEENS0_18inequality_wrapperIZN2at6native12_GLOBAL__N_124unique_dim_cuda_templateIbEESt5tupleIJNSH_6TensorESM_SM_EERKSM_lbbbEUlllE0_EEPmJS6_EEE10hipError_tPvRmT3_T4_T5_T6_T7_T9_mT8_P12ihipStream_tbDpT10_ENKUlT_T0_E_clISt17integral_constantIbLb1EES1B_IbLb0EEEEDaS17_S18_EUlS17_E_NS1_11comp_targetILNS1_3genE5ELNS1_11target_archE942ELNS1_3gpuE9ELNS1_3repE0EEENS1_30default_config_static_selectorELNS0_4arch9wavefront6targetE1EEEvT1_, .Lfunc_end1068-_ZN7rocprim17ROCPRIM_400000_NS6detail17trampoline_kernelINS0_14default_configENS1_25partition_config_selectorILNS1_17partition_subalgoE8ElNS0_10empty_typeEbEEZZNS1_14partition_implILS5_8ELb0ES3_jPlPS6_PKS6_NS0_5tupleIJS9_S6_EEENSD_IJSA_SA_EEENS0_18inequality_wrapperIZN2at6native12_GLOBAL__N_124unique_dim_cuda_templateIbEESt5tupleIJNSH_6TensorESM_SM_EERKSM_lbbbEUlllE0_EEPmJS6_EEE10hipError_tPvRmT3_T4_T5_T6_T7_T9_mT8_P12ihipStream_tbDpT10_ENKUlT_T0_E_clISt17integral_constantIbLb1EES1B_IbLb0EEEEDaS17_S18_EUlS17_E_NS1_11comp_targetILNS1_3genE5ELNS1_11target_archE942ELNS1_3gpuE9ELNS1_3repE0EEENS1_30default_config_static_selectorELNS0_4arch9wavefront6targetE1EEEvT1_
                                        ; -- End function
	.section	.AMDGPU.csdata,"",@progbits
; Kernel info:
; codeLenInByte = 0
; NumSgprs: 4
; NumVgprs: 0
; NumAgprs: 0
; TotalNumVgprs: 0
; ScratchSize: 0
; MemoryBound: 0
; FloatMode: 240
; IeeeMode: 1
; LDSByteSize: 0 bytes/workgroup (compile time only)
; SGPRBlocks: 0
; VGPRBlocks: 0
; NumSGPRsForWavesPerEU: 4
; NumVGPRsForWavesPerEU: 1
; AccumOffset: 4
; Occupancy: 8
; WaveLimiterHint : 0
; COMPUTE_PGM_RSRC2:SCRATCH_EN: 0
; COMPUTE_PGM_RSRC2:USER_SGPR: 6
; COMPUTE_PGM_RSRC2:TRAP_HANDLER: 0
; COMPUTE_PGM_RSRC2:TGID_X_EN: 1
; COMPUTE_PGM_RSRC2:TGID_Y_EN: 0
; COMPUTE_PGM_RSRC2:TGID_Z_EN: 0
; COMPUTE_PGM_RSRC2:TIDIG_COMP_CNT: 0
; COMPUTE_PGM_RSRC3_GFX90A:ACCUM_OFFSET: 0
; COMPUTE_PGM_RSRC3_GFX90A:TG_SPLIT: 0
	.section	.text._ZN7rocprim17ROCPRIM_400000_NS6detail17trampoline_kernelINS0_14default_configENS1_25partition_config_selectorILNS1_17partition_subalgoE8ElNS0_10empty_typeEbEEZZNS1_14partition_implILS5_8ELb0ES3_jPlPS6_PKS6_NS0_5tupleIJS9_S6_EEENSD_IJSA_SA_EEENS0_18inequality_wrapperIZN2at6native12_GLOBAL__N_124unique_dim_cuda_templateIbEESt5tupleIJNSH_6TensorESM_SM_EERKSM_lbbbEUlllE0_EEPmJS6_EEE10hipError_tPvRmT3_T4_T5_T6_T7_T9_mT8_P12ihipStream_tbDpT10_ENKUlT_T0_E_clISt17integral_constantIbLb1EES1B_IbLb0EEEEDaS17_S18_EUlS17_E_NS1_11comp_targetILNS1_3genE4ELNS1_11target_archE910ELNS1_3gpuE8ELNS1_3repE0EEENS1_30default_config_static_selectorELNS0_4arch9wavefront6targetE1EEEvT1_,"axG",@progbits,_ZN7rocprim17ROCPRIM_400000_NS6detail17trampoline_kernelINS0_14default_configENS1_25partition_config_selectorILNS1_17partition_subalgoE8ElNS0_10empty_typeEbEEZZNS1_14partition_implILS5_8ELb0ES3_jPlPS6_PKS6_NS0_5tupleIJS9_S6_EEENSD_IJSA_SA_EEENS0_18inequality_wrapperIZN2at6native12_GLOBAL__N_124unique_dim_cuda_templateIbEESt5tupleIJNSH_6TensorESM_SM_EERKSM_lbbbEUlllE0_EEPmJS6_EEE10hipError_tPvRmT3_T4_T5_T6_T7_T9_mT8_P12ihipStream_tbDpT10_ENKUlT_T0_E_clISt17integral_constantIbLb1EES1B_IbLb0EEEEDaS17_S18_EUlS17_E_NS1_11comp_targetILNS1_3genE4ELNS1_11target_archE910ELNS1_3gpuE8ELNS1_3repE0EEENS1_30default_config_static_selectorELNS0_4arch9wavefront6targetE1EEEvT1_,comdat
	.globl	_ZN7rocprim17ROCPRIM_400000_NS6detail17trampoline_kernelINS0_14default_configENS1_25partition_config_selectorILNS1_17partition_subalgoE8ElNS0_10empty_typeEbEEZZNS1_14partition_implILS5_8ELb0ES3_jPlPS6_PKS6_NS0_5tupleIJS9_S6_EEENSD_IJSA_SA_EEENS0_18inequality_wrapperIZN2at6native12_GLOBAL__N_124unique_dim_cuda_templateIbEESt5tupleIJNSH_6TensorESM_SM_EERKSM_lbbbEUlllE0_EEPmJS6_EEE10hipError_tPvRmT3_T4_T5_T6_T7_T9_mT8_P12ihipStream_tbDpT10_ENKUlT_T0_E_clISt17integral_constantIbLb1EES1B_IbLb0EEEEDaS17_S18_EUlS17_E_NS1_11comp_targetILNS1_3genE4ELNS1_11target_archE910ELNS1_3gpuE8ELNS1_3repE0EEENS1_30default_config_static_selectorELNS0_4arch9wavefront6targetE1EEEvT1_ ; -- Begin function _ZN7rocprim17ROCPRIM_400000_NS6detail17trampoline_kernelINS0_14default_configENS1_25partition_config_selectorILNS1_17partition_subalgoE8ElNS0_10empty_typeEbEEZZNS1_14partition_implILS5_8ELb0ES3_jPlPS6_PKS6_NS0_5tupleIJS9_S6_EEENSD_IJSA_SA_EEENS0_18inequality_wrapperIZN2at6native12_GLOBAL__N_124unique_dim_cuda_templateIbEESt5tupleIJNSH_6TensorESM_SM_EERKSM_lbbbEUlllE0_EEPmJS6_EEE10hipError_tPvRmT3_T4_T5_T6_T7_T9_mT8_P12ihipStream_tbDpT10_ENKUlT_T0_E_clISt17integral_constantIbLb1EES1B_IbLb0EEEEDaS17_S18_EUlS17_E_NS1_11comp_targetILNS1_3genE4ELNS1_11target_archE910ELNS1_3gpuE8ELNS1_3repE0EEENS1_30default_config_static_selectorELNS0_4arch9wavefront6targetE1EEEvT1_
	.p2align	8
	.type	_ZN7rocprim17ROCPRIM_400000_NS6detail17trampoline_kernelINS0_14default_configENS1_25partition_config_selectorILNS1_17partition_subalgoE8ElNS0_10empty_typeEbEEZZNS1_14partition_implILS5_8ELb0ES3_jPlPS6_PKS6_NS0_5tupleIJS9_S6_EEENSD_IJSA_SA_EEENS0_18inequality_wrapperIZN2at6native12_GLOBAL__N_124unique_dim_cuda_templateIbEESt5tupleIJNSH_6TensorESM_SM_EERKSM_lbbbEUlllE0_EEPmJS6_EEE10hipError_tPvRmT3_T4_T5_T6_T7_T9_mT8_P12ihipStream_tbDpT10_ENKUlT_T0_E_clISt17integral_constantIbLb1EES1B_IbLb0EEEEDaS17_S18_EUlS17_E_NS1_11comp_targetILNS1_3genE4ELNS1_11target_archE910ELNS1_3gpuE8ELNS1_3repE0EEENS1_30default_config_static_selectorELNS0_4arch9wavefront6targetE1EEEvT1_,@function
_ZN7rocprim17ROCPRIM_400000_NS6detail17trampoline_kernelINS0_14default_configENS1_25partition_config_selectorILNS1_17partition_subalgoE8ElNS0_10empty_typeEbEEZZNS1_14partition_implILS5_8ELb0ES3_jPlPS6_PKS6_NS0_5tupleIJS9_S6_EEENSD_IJSA_SA_EEENS0_18inequality_wrapperIZN2at6native12_GLOBAL__N_124unique_dim_cuda_templateIbEESt5tupleIJNSH_6TensorESM_SM_EERKSM_lbbbEUlllE0_EEPmJS6_EEE10hipError_tPvRmT3_T4_T5_T6_T7_T9_mT8_P12ihipStream_tbDpT10_ENKUlT_T0_E_clISt17integral_constantIbLb1EES1B_IbLb0EEEEDaS17_S18_EUlS17_E_NS1_11comp_targetILNS1_3genE4ELNS1_11target_archE910ELNS1_3gpuE8ELNS1_3repE0EEENS1_30default_config_static_selectorELNS0_4arch9wavefront6targetE1EEEvT1_: ; @_ZN7rocprim17ROCPRIM_400000_NS6detail17trampoline_kernelINS0_14default_configENS1_25partition_config_selectorILNS1_17partition_subalgoE8ElNS0_10empty_typeEbEEZZNS1_14partition_implILS5_8ELb0ES3_jPlPS6_PKS6_NS0_5tupleIJS9_S6_EEENSD_IJSA_SA_EEENS0_18inequality_wrapperIZN2at6native12_GLOBAL__N_124unique_dim_cuda_templateIbEESt5tupleIJNSH_6TensorESM_SM_EERKSM_lbbbEUlllE0_EEPmJS6_EEE10hipError_tPvRmT3_T4_T5_T6_T7_T9_mT8_P12ihipStream_tbDpT10_ENKUlT_T0_E_clISt17integral_constantIbLb1EES1B_IbLb0EEEEDaS17_S18_EUlS17_E_NS1_11comp_targetILNS1_3genE4ELNS1_11target_archE910ELNS1_3gpuE8ELNS1_3repE0EEENS1_30default_config_static_selectorELNS0_4arch9wavefront6targetE1EEEvT1_
; %bb.0:
	s_load_dwordx8 s[20:27], s[4:5], 0x40
	s_load_dwordx4 s[0:3], s[4:5], 0x8
	s_load_dwordx4 s[28:31], s[4:5], 0x60
	s_load_dword s7, s[4:5], 0x70
	s_waitcnt lgkmcnt(0)
	v_mov_b32_e32 v2, s24
	s_lshl_b64 s[8:9], s[2:3], 3
	s_add_u32 s12, s0, s8
	s_mul_i32 s8, s7, 0x500
	s_addc_u32 s13, s1, s9
	s_add_i32 s1, s8, s2
	s_add_i32 s10, s7, -1
	s_sub_i32 s7, s24, s1
	s_add_u32 s8, s2, s8
	s_addc_u32 s9, s3, 0
	v_mov_b32_e32 v3, s25
	s_cmp_eq_u32 s6, s10
	s_load_dwordx2 s[22:23], s[22:23], 0x0
	v_cmp_ge_u64_e32 vcc, s[8:9], v[2:3]
	s_cselect_b64 s[24:25], -1, 0
	s_mul_i32 s0, s6, 0x500
	s_mov_b32 s1, 0
	s_and_b64 s[10:11], s[24:25], vcc
	s_xor_b64 s[34:35], s[10:11], -1
	s_lshl_b64 s[0:1], s[0:1], 3
	s_add_u32 s0, s12, s0
	s_mov_b64 s[8:9], -1
	s_addc_u32 s1, s13, s1
	s_and_b64 vcc, exec, s[34:35]
	s_cbranch_vccz .LBB1069_2
; %bb.1:
	v_lshlrev_b32_e32 v1, 3, v0
	v_mov_b32_e32 v2, s1
	v_add_co_u32_e32 v12, vcc, s0, v1
	v_addc_co_u32_e32 v13, vcc, 0, v2, vcc
	v_add_co_u32_e32 v2, vcc, 0x1000, v12
	v_addc_co_u32_e32 v3, vcc, 0, v13, vcc
	global_load_dwordx2 v[4:5], v1, s[0:1]
	global_load_dwordx2 v[6:7], v1, s[0:1] offset:2048
	global_load_dwordx2 v[8:9], v[2:3], off
	global_load_dwordx2 v[10:11], v[2:3], off offset:2048
	v_add_co_u32_e32 v2, vcc, 0x2000, v12
	v_addc_co_u32_e32 v3, vcc, 0, v13, vcc
	global_load_dwordx2 v[2:3], v[2:3], off
	s_mov_b64 s[8:9], 0
	s_waitcnt vmcnt(3)
	ds_write2st64_b64 v1, v[4:5], v[6:7] offset1:4
	s_waitcnt vmcnt(1)
	ds_write2st64_b64 v1, v[8:9], v[10:11] offset0:8 offset1:12
	s_waitcnt vmcnt(0)
	ds_write_b64 v1, v[2:3] offset:8192
	s_waitcnt lgkmcnt(0)
	s_barrier
.LBB1069_2:
	s_andn2_b64 vcc, exec, s[8:9]
	s_addk_i32 s7, 0x500
	s_cbranch_vccnz .LBB1069_14
; %bb.3:
	v_cmp_gt_u32_e32 vcc, s7, v0
                                        ; implicit-def: $vgpr2_vgpr3_vgpr4_vgpr5_vgpr6_vgpr7_vgpr8_vgpr9_vgpr10_vgpr11_vgpr12_vgpr13_vgpr14_vgpr15_vgpr16_vgpr17
	s_and_saveexec_b64 s[8:9], vcc
	s_cbranch_execz .LBB1069_5
; %bb.4:
	v_lshlrev_b32_e32 v1, 3, v0
	global_load_dwordx2 v[2:3], v1, s[0:1]
.LBB1069_5:
	s_or_b64 exec, exec, s[8:9]
	v_or_b32_e32 v1, 0x100, v0
	v_cmp_gt_u32_e32 vcc, s7, v1
	s_and_saveexec_b64 s[8:9], vcc
	s_cbranch_execz .LBB1069_7
; %bb.6:
	v_lshlrev_b32_e32 v1, 3, v0
	global_load_dwordx2 v[4:5], v1, s[0:1] offset:2048
.LBB1069_7:
	s_or_b64 exec, exec, s[8:9]
	v_or_b32_e32 v1, 0x200, v0
	v_cmp_gt_u32_e32 vcc, s7, v1
	s_and_saveexec_b64 s[8:9], vcc
	s_cbranch_execz .LBB1069_9
; %bb.8:
	v_lshlrev_b32_e32 v1, 3, v1
	global_load_dwordx2 v[6:7], v1, s[0:1]
.LBB1069_9:
	s_or_b64 exec, exec, s[8:9]
	v_or_b32_e32 v1, 0x300, v0
	v_cmp_gt_u32_e32 vcc, s7, v1
	s_and_saveexec_b64 s[8:9], vcc
	s_cbranch_execz .LBB1069_11
; %bb.10:
	v_lshlrev_b32_e32 v1, 3, v1
	global_load_dwordx2 v[8:9], v1, s[0:1]
.LBB1069_11:
	;; [unrolled: 9-line block ×3, first 2 shown]
	s_or_b64 exec, exec, s[8:9]
	v_lshlrev_b32_e32 v1, 3, v0
	s_waitcnt vmcnt(0)
	ds_write2st64_b64 v1, v[2:3], v[4:5] offset1:4
	ds_write2st64_b64 v1, v[6:7], v[8:9] offset0:8 offset1:12
	ds_write_b64 v1, v[10:11] offset:8192
	s_waitcnt lgkmcnt(0)
	s_barrier
.LBB1069_14:
	v_mul_u32_u24_e32 v1, 5, v0
	v_lshlrev_b32_e32 v24, 3, v1
	s_waitcnt lgkmcnt(0)
	ds_read2_b64 v[6:9], v24 offset1:1
	ds_read2_b64 v[2:5], v24 offset0:2 offset1:3
	ds_read_b64 v[10:11], v24 offset:32
	s_cmp_lg_u32 s6, 0
	s_cselect_b64 s[16:17], -1, 0
	s_cmp_lg_u64 s[2:3], 0
	s_cselect_b64 s[2:3], -1, 0
	s_or_b64 s[2:3], s[16:17], s[2:3]
	v_mad_u32_u24 v22, v0, 5, 1
	v_mad_u32_u24 v20, v0, 5, 2
	v_mad_u32_u24 v23, v0, 5, 3
	v_mad_u32_u24 v21, v0, 5, 4
	s_mov_b64 s[12:13], 0
	s_and_b64 vcc, exec, s[2:3]
	v_cmp_lt_i64_e64 s[14:15], s[26:27], 1
	v_cmp_gt_i64_e64 s[8:9], s[26:27], 0
	s_waitcnt lgkmcnt(0)
	s_barrier
	s_cbranch_vccz .LBB1069_23
; %bb.15:
	s_add_u32 s0, s0, -8
	s_addc_u32 s1, s1, -1
	s_load_dwordx2 s[12:13], s[0:1], 0x0
	v_lshlrev_b32_e32 v25, 3, v0
	s_mov_b64 s[2:3], 0
	s_and_b64 vcc, exec, s[34:35]
	ds_write_b64 v25, v[10:11]
	s_cbranch_vccz .LBB1069_24
; %bb.16:
	v_cndmask_b32_e64 v12, 0, 1, s[8:9]
	v_cmp_ne_u32_e64 s[0:1], 1, v12
	s_andn2_b64 vcc, exec, s[8:9]
	s_cbranch_vccnz .LBB1069_25
; %bb.17:
	v_pk_mov_b32 v[14:15], s[28:29], s[28:29] op_sel:[0,1]
	v_mad_u64_u32 v[12:13], s[2:3], v4, s26, v[14:15]
	v_mul_lo_u32 v16, v4, s27
	v_mul_lo_u32 v17, v5, s26
	v_add3_u32 v13, v17, v13, v16
	v_mad_u64_u32 v[14:15], s[2:3], v10, s26, v[14:15]
	v_mul_lo_u32 v16, v10, s27
	v_mul_lo_u32 v17, v11, s26
	v_add3_u32 v15, v17, v15, v16
	global_load_ubyte v16, v[12:13], off
	global_load_ubyte v17, v[14:15], off
	s_mov_b64 s[8:9], -1
	s_waitcnt vmcnt(1)
	v_cmp_ne_u16_e32 vcc, 0, v16
	s_waitcnt vmcnt(0)
	v_cmp_ne_u16_e64 s[2:3], 0, v17
	s_xor_b64 s[2:3], vcc, s[2:3]
	s_xor_b64 s[2:3], s[2:3], -1
	s_and_saveexec_b64 s[18:19], s[2:3]
	s_cbranch_execz .LBB1069_27
; %bb.18:
	s_mov_b64 s[40:41], 1
	s_mov_b64 s[36:37], 0
                                        ; implicit-def: $sgpr38_sgpr39
	s_branch .LBB1069_21
.LBB1069_19:                            ;   in Loop: Header=BB1069_21 Depth=1
	v_mov_b32_e32 v19, s41
	v_add_co_u32_e64 v16, s[2:3], s40, v12
	v_addc_co_u32_e64 v17, s[2:3], v13, v19, s[2:3]
	v_add_co_u32_e64 v18, s[2:3], s40, v14
	v_addc_co_u32_e64 v19, s[2:3], v15, v19, s[2:3]
	global_load_ubyte v26, v[16:17], off
	global_load_ubyte v27, v[18:19], off
	s_waitcnt vmcnt(1)
	v_cmp_ne_u16_e64 s[2:3], 0, v26
	s_waitcnt vmcnt(0)
	v_cmp_ne_u16_e64 s[8:9], 0, v27
	s_xor_b64 s[8:9], s[2:3], s[8:9]
	s_add_u32 s2, s40, 1
	s_addc_u32 s3, s41, 0
	s_andn2_b64 s[38:39], s[38:39], exec
	s_and_b64 s[8:9], s[8:9], exec
	s_or_b64 s[38:39], s[38:39], s[8:9]
.LBB1069_20:                            ;   in Loop: Header=BB1069_21 Depth=1
	s_and_b64 s[8:9], exec, s[38:39]
	s_or_b64 s[36:37], s[8:9], s[36:37]
	v_pk_mov_b32 v[16:17], s[40:41], s[40:41] op_sel:[0,1]
	s_mov_b64 s[40:41], s[2:3]
	s_andn2_b64 exec, exec, s[36:37]
	s_cbranch_execz .LBB1069_26
.LBB1069_21:                            ; =>This Inner Loop Header: Depth=1
	s_or_b64 s[38:39], s[38:39], exec
	s_cmp_eq_u64 s[26:27], s[40:41]
	s_cbranch_scc0 .LBB1069_19
; %bb.22:                               ;   in Loop: Header=BB1069_21 Depth=1
                                        ; implicit-def: $sgpr2_sgpr3
	s_mov_b64 s[40:41], s[26:27]
	s_branch .LBB1069_20
.LBB1069_23:
                                        ; implicit-def: $sgpr8_sgpr9
                                        ; implicit-def: $vgpr13
                                        ; implicit-def: $vgpr14
	s_branch .LBB1069_114
.LBB1069_24:
                                        ; implicit-def: $sgpr8_sgpr9
                                        ; implicit-def: $vgpr13
                                        ; implicit-def: $vgpr14
	s_cbranch_execnz .LBB1069_65
	s_branch .LBB1069_113
.LBB1069_25:
	v_mov_b32_e32 v26, 0
	s_branch .LBB1069_35
.LBB1069_26:
	s_or_b64 exec, exec, s[36:37]
	v_cmp_gt_i64_e64 s[2:3], s[26:27], v[16:17]
	s_orn2_b64 s[8:9], s[2:3], exec
.LBB1069_27:
	s_or_b64 exec, exec, s[18:19]
	v_pk_mov_b32 v[14:15], s[28:29], s[28:29] op_sel:[0,1]
	v_mad_u64_u32 v[14:15], s[2:3], v2, s26, v[14:15]
	v_mul_lo_u32 v16, v2, s27
	v_mul_lo_u32 v17, v3, s26
	v_add3_u32 v15, v17, v15, v16
	global_load_ubyte v16, v[14:15], off
	s_waitcnt vmcnt(0)
	v_cmp_ne_u16_e64 s[2:3], 0, v16
	s_xor_b64 s[18:19], vcc, s[2:3]
	s_mov_b64 s[2:3], -1
	s_xor_b64 s[36:37], s[18:19], -1
	s_and_saveexec_b64 s[18:19], s[36:37]
	s_cbranch_execz .LBB1069_34
; %bb.28:
	s_mov_b64 s[40:41], 1
	s_mov_b64 s[36:37], 0
                                        ; implicit-def: $sgpr38_sgpr39
	s_branch .LBB1069_31
.LBB1069_29:                            ;   in Loop: Header=BB1069_31 Depth=1
	v_mov_b32_e32 v19, s41
	v_add_co_u32_e32 v16, vcc, s40, v14
	v_addc_co_u32_e32 v17, vcc, v15, v19, vcc
	v_add_co_u32_e32 v18, vcc, s40, v12
	v_addc_co_u32_e32 v19, vcc, v13, v19, vcc
	global_load_ubyte v26, v[16:17], off
	global_load_ubyte v27, v[18:19], off
	s_waitcnt vmcnt(1)
	v_cmp_ne_u16_e32 vcc, 0, v26
	s_waitcnt vmcnt(0)
	v_cmp_ne_u16_e64 s[2:3], 0, v27
	s_xor_b64 s[42:43], vcc, s[2:3]
	s_add_u32 s2, s40, 1
	s_addc_u32 s3, s41, 0
	s_andn2_b64 s[38:39], s[38:39], exec
	s_and_b64 s[42:43], s[42:43], exec
	s_or_b64 s[38:39], s[38:39], s[42:43]
.LBB1069_30:                            ;   in Loop: Header=BB1069_31 Depth=1
	s_and_b64 s[42:43], exec, s[38:39]
	s_or_b64 s[36:37], s[42:43], s[36:37]
	v_pk_mov_b32 v[16:17], s[40:41], s[40:41] op_sel:[0,1]
	s_mov_b64 s[40:41], s[2:3]
	s_andn2_b64 exec, exec, s[36:37]
	s_cbranch_execz .LBB1069_33
.LBB1069_31:                            ; =>This Inner Loop Header: Depth=1
	s_or_b64 s[38:39], s[38:39], exec
	s_cmp_eq_u64 s[26:27], s[40:41]
	s_cbranch_scc0 .LBB1069_29
; %bb.32:                               ;   in Loop: Header=BB1069_31 Depth=1
                                        ; implicit-def: $sgpr2_sgpr3
	s_mov_b64 s[40:41], s[26:27]
	s_branch .LBB1069_30
.LBB1069_33:
	s_or_b64 exec, exec, s[36:37]
	v_cmp_gt_i64_e32 vcc, s[26:27], v[16:17]
	s_orn2_b64 s[2:3], vcc, exec
.LBB1069_34:
	s_or_b64 exec, exec, s[18:19]
	v_cndmask_b32_e64 v26, 0, 1, s[8:9]
.LBB1069_35:
	v_lshlrev_b16_e32 v12, 8, v0
	v_cndmask_b32_e64 v13, 0, 1, s[2:3]
	v_mov_b32_e32 v14, 8
	v_lshrrev_b32_sdwa v12, v14, v12 dst_sel:BYTE_1 dst_unused:UNUSED_PAD src0_sel:DWORD src1_sel:DWORD
	v_lshlrev_b16_e32 v13, 8, v13
	v_or_b32_sdwa v12, v0, v12 dst_sel:DWORD dst_unused:UNUSED_PAD src0_sel:BYTE_0 src1_sel:DWORD
	v_or_b32_sdwa v13, v0, v13 dst_sel:WORD_1 dst_unused:UNUSED_PAD src0_sel:BYTE_0 src1_sel:DWORD
	s_and_b64 vcc, exec, s[0:1]
	v_or_b32_sdwa v27, v12, v13 dst_sel:DWORD dst_unused:UNUSED_PAD src0_sel:WORD_0 src1_sel:DWORD
	s_cbranch_vccnz .LBB1069_42
; %bb.36:
	v_pk_mov_b32 v[12:13], s[28:29], s[28:29] op_sel:[0,1]
	v_mad_u64_u32 v[14:15], s[2:3], v8, s26, v[12:13]
	v_mul_lo_u32 v16, v8, s27
	v_mul_lo_u32 v17, v9, s26
	v_add3_u32 v15, v17, v15, v16
	v_mad_u64_u32 v[12:13], s[2:3], v2, s26, v[12:13]
	v_mul_lo_u32 v16, v2, s27
	v_mul_lo_u32 v17, v3, s26
	v_add3_u32 v13, v17, v13, v16
	global_load_ubyte v16, v[14:15], off
	global_load_ubyte v17, v[12:13], off
	s_waitcnt vmcnt(1)
	v_cmp_ne_u16_e32 vcc, 0, v16
	s_waitcnt vmcnt(0)
	v_cmp_ne_u16_e64 s[2:3], 0, v17
	s_xor_b64 s[8:9], vcc, s[2:3]
	s_mov_b64 s[2:3], -1
	s_xor_b64 s[8:9], s[8:9], -1
	s_and_saveexec_b64 s[18:19], s[8:9]
	s_cbranch_execz .LBB1069_44
; %bb.37:
	s_mov_b64 s[40:41], 1
	s_mov_b64 s[36:37], 0
                                        ; implicit-def: $sgpr38_sgpr39
	s_branch .LBB1069_40
.LBB1069_38:                            ;   in Loop: Header=BB1069_40 Depth=1
	v_mov_b32_e32 v19, s41
	v_add_co_u32_e64 v16, s[2:3], s40, v14
	v_addc_co_u32_e64 v17, s[2:3], v15, v19, s[2:3]
	v_add_co_u32_e64 v18, s[2:3], s40, v12
	v_addc_co_u32_e64 v19, s[2:3], v13, v19, s[2:3]
	global_load_ubyte v28, v[16:17], off
	global_load_ubyte v29, v[18:19], off
	s_waitcnt vmcnt(1)
	v_cmp_ne_u16_e64 s[2:3], 0, v28
	s_waitcnt vmcnt(0)
	v_cmp_ne_u16_e64 s[8:9], 0, v29
	s_xor_b64 s[8:9], s[2:3], s[8:9]
	s_add_u32 s2, s40, 1
	s_addc_u32 s3, s41, 0
	s_andn2_b64 s[38:39], s[38:39], exec
	s_and_b64 s[8:9], s[8:9], exec
	s_or_b64 s[38:39], s[38:39], s[8:9]
.LBB1069_39:                            ;   in Loop: Header=BB1069_40 Depth=1
	s_and_b64 s[8:9], exec, s[38:39]
	s_or_b64 s[36:37], s[8:9], s[36:37]
	v_pk_mov_b32 v[16:17], s[40:41], s[40:41] op_sel:[0,1]
	s_mov_b64 s[40:41], s[2:3]
	s_andn2_b64 exec, exec, s[36:37]
	s_cbranch_execz .LBB1069_43
.LBB1069_40:                            ; =>This Inner Loop Header: Depth=1
	s_or_b64 s[38:39], s[38:39], exec
	s_cmp_eq_u64 s[26:27], s[40:41]
	s_cbranch_scc0 .LBB1069_38
; %bb.41:                               ;   in Loop: Header=BB1069_40 Depth=1
                                        ; implicit-def: $sgpr2_sgpr3
	s_mov_b64 s[40:41], s[26:27]
	s_branch .LBB1069_39
.LBB1069_42:
                                        ; implicit-def: $sgpr2_sgpr3
                                        ; implicit-def: $vgpr12_vgpr13
	s_cbranch_execnz .LBB1069_52
	s_branch .LBB1069_53
.LBB1069_43:
	s_or_b64 exec, exec, s[36:37]
	v_cmp_gt_i64_e64 s[2:3], s[26:27], v[16:17]
	s_orn2_b64 s[2:3], s[2:3], exec
.LBB1069_44:
	s_or_b64 exec, exec, s[18:19]
	v_pk_mov_b32 v[12:13], s[28:29], s[28:29] op_sel:[0,1]
	v_mad_u64_u32 v[16:17], s[8:9], v6, s26, v[12:13]
	v_mul_lo_u32 v12, v6, s27
	v_mul_lo_u32 v13, v7, s26
	v_add3_u32 v17, v13, v17, v12
	global_load_ubyte v18, v[16:17], off
	v_cndmask_b32_e64 v12, 0, 1, s[2:3]
	s_movk_i32 s2, 0xff
	v_mov_b32_e32 v13, 8
	v_lshrrev_b32_e32 v19, 24, v27
	v_lshrrev_b32_sdwa v28, v13, v27 dst_sel:BYTE_1 dst_unused:UNUSED_PAD src0_sel:DWORD src1_sel:DWORD
	v_lshlrev_b16_e32 v19, 8, v19
	v_and_b32_sdwa v13, v26, s2 dst_sel:DWORD dst_unused:UNUSED_PAD src0_sel:WORD_0 src1_sel:DWORD
	v_or_b32_sdwa v28, v27, v28 dst_sel:DWORD dst_unused:UNUSED_PAD src0_sel:BYTE_0 src1_sel:DWORD
	v_or_b32_sdwa v12, v12, v19 dst_sel:WORD_1 dst_unused:UNUSED_PAD src0_sel:DWORD src1_sel:DWORD
	v_or_b32_sdwa v12, v28, v12 dst_sel:DWORD dst_unused:UNUSED_PAD src0_sel:WORD_0 src1_sel:DWORD
	s_waitcnt vmcnt(0)
	v_cmp_ne_u16_e64 s[2:3], 0, v18
	s_xor_b64 s[8:9], vcc, s[2:3]
	s_mov_b64 s[2:3], -1
	s_xor_b64 s[18:19], s[8:9], -1
	s_and_saveexec_b64 s[8:9], s[18:19]
	s_cbranch_execz .LBB1069_51
; %bb.45:
	s_mov_b64 s[38:39], 1
	s_mov_b64 s[18:19], 0
                                        ; implicit-def: $sgpr36_sgpr37
	s_branch .LBB1069_48
.LBB1069_46:                            ;   in Loop: Header=BB1069_48 Depth=1
	v_mov_b32_e32 v29, s39
	v_add_co_u32_e32 v18, vcc, s38, v16
	v_addc_co_u32_e32 v19, vcc, v17, v29, vcc
	v_add_co_u32_e32 v28, vcc, s38, v14
	v_addc_co_u32_e32 v29, vcc, v15, v29, vcc
	global_load_ubyte v30, v[18:19], off
	global_load_ubyte v31, v[28:29], off
	s_waitcnt vmcnt(1)
	v_cmp_ne_u16_e32 vcc, 0, v30
	s_waitcnt vmcnt(0)
	v_cmp_ne_u16_e64 s[2:3], 0, v31
	s_xor_b64 s[40:41], vcc, s[2:3]
	s_add_u32 s2, s38, 1
	s_addc_u32 s3, s39, 0
	s_andn2_b64 s[36:37], s[36:37], exec
	s_and_b64 s[40:41], s[40:41], exec
	s_or_b64 s[36:37], s[36:37], s[40:41]
.LBB1069_47:                            ;   in Loop: Header=BB1069_48 Depth=1
	s_and_b64 s[40:41], exec, s[36:37]
	s_or_b64 s[18:19], s[40:41], s[18:19]
	v_pk_mov_b32 v[18:19], s[38:39], s[38:39] op_sel:[0,1]
	s_mov_b64 s[38:39], s[2:3]
	s_andn2_b64 exec, exec, s[18:19]
	s_cbranch_execz .LBB1069_50
.LBB1069_48:                            ; =>This Inner Loop Header: Depth=1
	s_or_b64 s[36:37], s[36:37], exec
	s_cmp_eq_u64 s[26:27], s[38:39]
	s_cbranch_scc0 .LBB1069_46
; %bb.49:                               ;   in Loop: Header=BB1069_48 Depth=1
                                        ; implicit-def: $sgpr2_sgpr3
	s_mov_b64 s[38:39], s[26:27]
	s_branch .LBB1069_47
.LBB1069_50:
	s_or_b64 exec, exec, s[18:19]
	v_cmp_gt_i64_e32 vcc, s[26:27], v[18:19]
	s_orn2_b64 s[2:3], vcc, exec
.LBB1069_51:
	s_or_b64 exec, exec, s[8:9]
	s_branch .LBB1069_53
.LBB1069_52:
	v_mov_b32_e32 v12, 8
	v_lshrrev_b32_sdwa v12, v12, v27 dst_sel:BYTE_1 dst_unused:UNUSED_PAD src0_sel:DWORD src1_sel:DWORD
	v_or_b32_sdwa v12, v27, v12 dst_sel:DWORD dst_unused:UNUSED_PAD src0_sel:BYTE_0 src1_sel:DWORD
	s_movk_i32 s8, 0xff
	v_and_b32_e32 v12, 0xffff, v12
	s_mov_b32 s9, 0xff000000
	v_and_or_b32 v12, v27, s9, v12
	v_and_b32_sdwa v13, v26, s8 dst_sel:DWORD dst_unused:UNUSED_PAD src0_sel:WORD_0 src1_sel:DWORD
	s_andn2_b64 s[2:3], s[2:3], exec
.LBB1069_53:
	v_cmp_ne_u32_e32 vcc, 0, v0
	s_waitcnt lgkmcnt(0)
	v_pk_mov_b32 v[16:17], s[12:13], s[12:13] op_sel:[0,1]
	s_barrier
	s_and_saveexec_b64 s[8:9], vcc
	s_cbranch_execz .LBB1069_55
; %bb.54:
	v_add_u32_e32 v14, -8, v25
	ds_read_b64 v[16:17], v14
.LBB1069_55:
	s_or_b64 exec, exec, s[8:9]
	v_cndmask_b32_e64 v14, 0, 1, s[2:3]
	v_lshlrev_b16_e32 v14, 8, v14
	s_movk_i32 s2, 0xff
	v_or_b32_sdwa v26, v12, v14 dst_sel:DWORD dst_unused:UNUSED_PAD src0_sel:BYTE_0 src1_sel:DWORD
	v_lshrrev_b32_e32 v14, 24, v12
	v_lshlrev_b16_e32 v14, 8, v14
	v_and_b32_sdwa v12, v12, s2 dst_sel:DWORD dst_unused:UNUSED_PAD src0_sel:WORD_1 src1_sel:DWORD
	v_or_b32_sdwa v12, v12, v14 dst_sel:WORD_1 dst_unused:UNUSED_PAD src0_sel:DWORD src1_sel:DWORD
	s_mov_b64 s[2:3], 0
	s_and_b64 vcc, exec, s[0:1]
	s_mov_b64 s[8:9], 0
	s_cbranch_vccnz .LBB1069_64
; %bb.56:
	v_pk_mov_b32 v[18:19], s[28:29], s[28:29] op_sel:[0,1]
	s_waitcnt lgkmcnt(0)
	v_mad_u64_u32 v[14:15], s[0:1], v16, s26, v[18:19]
	v_mul_lo_u32 v16, v16, s27
	v_mul_lo_u32 v17, v17, s26
	v_add3_u32 v15, v17, v15, v16
	v_mad_u64_u32 v[16:17], s[0:1], v6, s26, v[18:19]
	v_mul_lo_u32 v18, v6, s27
	v_mul_lo_u32 v19, v7, s26
	v_add3_u32 v17, v19, v17, v18
	global_load_ubyte v18, v[14:15], off
	global_load_ubyte v19, v[16:17], off
	s_mov_b64 s[8:9], -1
	s_waitcnt vmcnt(1)
	v_cmp_ne_u16_e32 vcc, 0, v18
	s_waitcnt vmcnt(0)
	v_cmp_ne_u16_e64 s[0:1], 0, v19
	s_xor_b64 s[0:1], vcc, s[0:1]
	s_xor_b64 s[0:1], s[0:1], -1
	s_and_saveexec_b64 s[18:19], s[0:1]
	s_cbranch_execz .LBB1069_63
; %bb.57:
	s_mov_b64 s[38:39], 1
	s_mov_b64 s[8:9], 0
                                        ; implicit-def: $sgpr36_sgpr37
	s_branch .LBB1069_60
.LBB1069_58:                            ;   in Loop: Header=BB1069_60 Depth=1
	v_mov_b32_e32 v27, s39
	v_add_co_u32_e32 v18, vcc, s38, v14
	v_addc_co_u32_e32 v19, vcc, v15, v27, vcc
	v_add_co_u32_e32 v28, vcc, s38, v16
	v_addc_co_u32_e32 v29, vcc, v17, v27, vcc
	global_load_ubyte v27, v[18:19], off
	global_load_ubyte v30, v[28:29], off
	s_waitcnt vmcnt(1)
	v_cmp_ne_u16_e32 vcc, 0, v27
	s_waitcnt vmcnt(0)
	v_cmp_ne_u16_e64 s[0:1], 0, v30
	s_xor_b64 s[40:41], vcc, s[0:1]
	s_add_u32 s0, s38, 1
	s_addc_u32 s1, s39, 0
	s_andn2_b64 s[36:37], s[36:37], exec
	s_and_b64 s[40:41], s[40:41], exec
	s_or_b64 s[36:37], s[36:37], s[40:41]
.LBB1069_59:                            ;   in Loop: Header=BB1069_60 Depth=1
	s_and_b64 s[40:41], exec, s[36:37]
	s_or_b64 s[8:9], s[40:41], s[8:9]
	v_pk_mov_b32 v[18:19], s[38:39], s[38:39] op_sel:[0,1]
	s_mov_b64 s[38:39], s[0:1]
	s_andn2_b64 exec, exec, s[8:9]
	s_cbranch_execz .LBB1069_62
.LBB1069_60:                            ; =>This Inner Loop Header: Depth=1
	s_or_b64 s[36:37], s[36:37], exec
	s_cmp_eq_u64 s[26:27], s[38:39]
	s_cbranch_scc0 .LBB1069_58
; %bb.61:                               ;   in Loop: Header=BB1069_60 Depth=1
                                        ; implicit-def: $sgpr0_sgpr1
	s_mov_b64 s[38:39], s[26:27]
	s_branch .LBB1069_59
.LBB1069_62:
	s_or_b64 exec, exec, s[8:9]
	v_cmp_gt_i64_e32 vcc, s[26:27], v[18:19]
	s_orn2_b64 s[8:9], vcc, exec
.LBB1069_63:
	s_or_b64 exec, exec, s[18:19]
.LBB1069_64:
	v_or_b32_sdwa v14, v26, v12 dst_sel:DWORD dst_unused:UNUSED_PAD src0_sel:WORD_0 src1_sel:DWORD
	s_and_b64 vcc, exec, s[2:3]
	s_cbranch_vccz .LBB1069_113
.LBB1069_65:
	v_cmp_gt_u32_e32 vcc, s7, v21
	s_xor_b64 s[8:9], s[14:15], -1
	s_mov_b64 s[36:37], -1
	s_and_b64 s[0:1], vcc, s[8:9]
	s_mov_b64 s[14:15], 0
	s_mov_b64 s[2:3], 0
	s_and_saveexec_b64 s[18:19], s[0:1]
	s_cbranch_execz .LBB1069_74
; %bb.66:
	v_pk_mov_b32 v[14:15], s[28:29], s[28:29] op_sel:[0,1]
	v_mad_u64_u32 v[12:13], s[0:1], v4, s26, v[14:15]
	s_waitcnt lgkmcnt(0)
	v_mul_lo_u32 v16, v4, s27
	v_mul_lo_u32 v17, v5, s26
	v_add3_u32 v13, v17, v13, v16
	v_mad_u64_u32 v[14:15], s[0:1], v10, s26, v[14:15]
	v_mul_lo_u32 v16, v10, s27
	v_mul_lo_u32 v17, v11, s26
	v_add3_u32 v15, v17, v15, v16
	global_load_ubyte v16, v[12:13], off
	global_load_ubyte v17, v[14:15], off
	s_waitcnt vmcnt(1)
	v_cmp_ne_u16_e32 vcc, 0, v16
	s_waitcnt vmcnt(0)
	v_cmp_ne_u16_e64 s[0:1], 0, v17
	s_xor_b64 s[0:1], vcc, s[0:1]
	s_xor_b64 s[0:1], s[0:1], -1
	s_and_saveexec_b64 s[2:3], s[0:1]
	s_cbranch_execz .LBB1069_73
; %bb.67:
	s_mov_b64 s[40:41], 1
	s_mov_b64 s[36:37], 0
                                        ; implicit-def: $sgpr38_sgpr39
	s_branch .LBB1069_70
.LBB1069_68:                            ;   in Loop: Header=BB1069_70 Depth=1
	v_mov_b32_e32 v19, s41
	v_add_co_u32_e32 v16, vcc, s40, v12
	v_addc_co_u32_e32 v17, vcc, v13, v19, vcc
	v_add_co_u32_e32 v18, vcc, s40, v14
	v_addc_co_u32_e32 v19, vcc, v15, v19, vcc
	global_load_ubyte v26, v[16:17], off
	global_load_ubyte v27, v[18:19], off
	s_waitcnt vmcnt(1)
	v_cmp_ne_u16_e32 vcc, 0, v26
	s_waitcnt vmcnt(0)
	v_cmp_ne_u16_e64 s[0:1], 0, v27
	s_xor_b64 s[42:43], vcc, s[0:1]
	s_add_u32 s0, s40, 1
	s_addc_u32 s1, s41, 0
	s_andn2_b64 s[38:39], s[38:39], exec
	s_and_b64 s[42:43], s[42:43], exec
	s_or_b64 s[38:39], s[38:39], s[42:43]
.LBB1069_69:                            ;   in Loop: Header=BB1069_70 Depth=1
	s_and_b64 s[42:43], exec, s[38:39]
	s_or_b64 s[36:37], s[42:43], s[36:37]
	v_pk_mov_b32 v[16:17], s[40:41], s[40:41] op_sel:[0,1]
	s_mov_b64 s[40:41], s[0:1]
	s_andn2_b64 exec, exec, s[36:37]
	s_cbranch_execz .LBB1069_72
.LBB1069_70:                            ; =>This Inner Loop Header: Depth=1
	s_or_b64 s[38:39], s[38:39], exec
	s_cmp_eq_u64 s[26:27], s[40:41]
	s_cbranch_scc0 .LBB1069_68
; %bb.71:                               ;   in Loop: Header=BB1069_70 Depth=1
                                        ; implicit-def: $sgpr0_sgpr1
	s_mov_b64 s[40:41], s[26:27]
	s_branch .LBB1069_69
.LBB1069_72:
	s_or_b64 exec, exec, s[36:37]
	v_cmp_gt_i64_e32 vcc, s[26:27], v[16:17]
	s_orn2_b64 s[36:37], vcc, exec
.LBB1069_73:
	s_or_b64 exec, exec, s[2:3]
	s_and_b64 s[2:3], s[36:37], exec
.LBB1069_74:
	s_or_b64 exec, exec, s[18:19]
	v_cmp_gt_u32_e32 vcc, s7, v23
	s_and_b64 s[0:1], vcc, s[8:9]
	s_and_saveexec_b64 s[18:19], s[0:1]
	s_cbranch_execz .LBB1069_83
; %bb.75:
	v_pk_mov_b32 v[14:15], s[28:29], s[28:29] op_sel:[0,1]
	v_mad_u64_u32 v[12:13], s[0:1], v2, s26, v[14:15]
	s_waitcnt lgkmcnt(0)
	v_mul_lo_u32 v16, v2, s27
	v_mul_lo_u32 v17, v3, s26
	v_add3_u32 v13, v17, v13, v16
	v_mad_u64_u32 v[14:15], s[0:1], v4, s26, v[14:15]
	v_mul_lo_u32 v16, v4, s27
	v_mul_lo_u32 v17, v5, s26
	v_add3_u32 v15, v17, v15, v16
	global_load_ubyte v16, v[12:13], off
	global_load_ubyte v17, v[14:15], off
	s_waitcnt vmcnt(1)
	v_cmp_ne_u16_e32 vcc, 0, v16
	s_waitcnt vmcnt(0)
	v_cmp_ne_u16_e64 s[0:1], 0, v17
	s_xor_b64 s[14:15], vcc, s[0:1]
	s_mov_b64 s[0:1], -1
	s_xor_b64 s[36:37], s[14:15], -1
	s_and_saveexec_b64 s[14:15], s[36:37]
	s_cbranch_execz .LBB1069_82
; %bb.76:
	s_mov_b64 s[40:41], 1
	s_mov_b64 s[36:37], 0
                                        ; implicit-def: $sgpr38_sgpr39
	s_branch .LBB1069_79
.LBB1069_77:                            ;   in Loop: Header=BB1069_79 Depth=1
	v_mov_b32_e32 v19, s41
	v_add_co_u32_e32 v16, vcc, s40, v12
	v_addc_co_u32_e32 v17, vcc, v13, v19, vcc
	v_add_co_u32_e32 v18, vcc, s40, v14
	v_addc_co_u32_e32 v19, vcc, v15, v19, vcc
	global_load_ubyte v26, v[16:17], off
	global_load_ubyte v27, v[18:19], off
	s_waitcnt vmcnt(1)
	v_cmp_ne_u16_e32 vcc, 0, v26
	s_waitcnt vmcnt(0)
	v_cmp_ne_u16_e64 s[0:1], 0, v27
	s_xor_b64 s[42:43], vcc, s[0:1]
	s_add_u32 s0, s40, 1
	s_addc_u32 s1, s41, 0
	s_andn2_b64 s[38:39], s[38:39], exec
	s_and_b64 s[42:43], s[42:43], exec
	s_or_b64 s[38:39], s[38:39], s[42:43]
.LBB1069_78:                            ;   in Loop: Header=BB1069_79 Depth=1
	s_and_b64 s[42:43], exec, s[38:39]
	s_or_b64 s[36:37], s[42:43], s[36:37]
	v_pk_mov_b32 v[16:17], s[40:41], s[40:41] op_sel:[0,1]
	s_mov_b64 s[40:41], s[0:1]
	s_andn2_b64 exec, exec, s[36:37]
	s_cbranch_execz .LBB1069_81
.LBB1069_79:                            ; =>This Inner Loop Header: Depth=1
	s_or_b64 s[38:39], s[38:39], exec
	s_cmp_eq_u64 s[26:27], s[40:41]
	s_cbranch_scc0 .LBB1069_77
; %bb.80:                               ;   in Loop: Header=BB1069_79 Depth=1
                                        ; implicit-def: $sgpr0_sgpr1
	s_mov_b64 s[40:41], s[26:27]
	s_branch .LBB1069_78
.LBB1069_81:
	s_or_b64 exec, exec, s[36:37]
	v_cmp_gt_i64_e32 vcc, s[26:27], v[16:17]
	s_orn2_b64 s[0:1], vcc, exec
.LBB1069_82:
	s_or_b64 exec, exec, s[14:15]
	s_and_b64 s[14:15], s[0:1], exec
.LBB1069_83:
	s_or_b64 exec, exec, s[18:19]
	v_cmp_gt_u32_e32 vcc, s7, v20
	s_mov_b64 s[40:41], -1
	s_and_b64 s[0:1], vcc, s[8:9]
	s_mov_b64 s[18:19], 0
	s_mov_b64 s[36:37], 0
	s_and_saveexec_b64 s[38:39], s[0:1]
	s_cbranch_execz .LBB1069_92
; %bb.84:
	v_pk_mov_b32 v[14:15], s[28:29], s[28:29] op_sel:[0,1]
	v_mad_u64_u32 v[12:13], s[0:1], v8, s26, v[14:15]
	s_waitcnt lgkmcnt(0)
	v_mul_lo_u32 v16, v8, s27
	v_mul_lo_u32 v17, v9, s26
	v_add3_u32 v13, v17, v13, v16
	v_mad_u64_u32 v[14:15], s[0:1], v2, s26, v[14:15]
	v_mul_lo_u32 v16, v2, s27
	v_mul_lo_u32 v17, v3, s26
	v_add3_u32 v15, v17, v15, v16
	global_load_ubyte v16, v[12:13], off
	global_load_ubyte v17, v[14:15], off
	s_waitcnt vmcnt(1)
	v_cmp_ne_u16_e32 vcc, 0, v16
	s_waitcnt vmcnt(0)
	v_cmp_ne_u16_e64 s[0:1], 0, v17
	s_xor_b64 s[0:1], vcc, s[0:1]
	s_xor_b64 s[0:1], s[0:1], -1
	s_and_saveexec_b64 s[36:37], s[0:1]
	s_cbranch_execz .LBB1069_91
; %bb.85:
	s_mov_b64 s[44:45], 1
	s_mov_b64 s[40:41], 0
                                        ; implicit-def: $sgpr42_sgpr43
	s_branch .LBB1069_88
.LBB1069_86:                            ;   in Loop: Header=BB1069_88 Depth=1
	v_mov_b32_e32 v19, s45
	v_add_co_u32_e32 v16, vcc, s44, v12
	v_addc_co_u32_e32 v17, vcc, v13, v19, vcc
	v_add_co_u32_e32 v18, vcc, s44, v14
	v_addc_co_u32_e32 v19, vcc, v15, v19, vcc
	global_load_ubyte v26, v[16:17], off
	global_load_ubyte v27, v[18:19], off
	s_waitcnt vmcnt(1)
	v_cmp_ne_u16_e32 vcc, 0, v26
	s_waitcnt vmcnt(0)
	v_cmp_ne_u16_e64 s[0:1], 0, v27
	s_xor_b64 s[46:47], vcc, s[0:1]
	s_add_u32 s0, s44, 1
	s_addc_u32 s1, s45, 0
	s_andn2_b64 s[42:43], s[42:43], exec
	s_and_b64 s[46:47], s[46:47], exec
	s_or_b64 s[42:43], s[42:43], s[46:47]
.LBB1069_87:                            ;   in Loop: Header=BB1069_88 Depth=1
	s_and_b64 s[46:47], exec, s[42:43]
	s_or_b64 s[40:41], s[46:47], s[40:41]
	v_pk_mov_b32 v[16:17], s[44:45], s[44:45] op_sel:[0,1]
	s_mov_b64 s[44:45], s[0:1]
	s_andn2_b64 exec, exec, s[40:41]
	s_cbranch_execz .LBB1069_90
.LBB1069_88:                            ; =>This Inner Loop Header: Depth=1
	s_or_b64 s[42:43], s[42:43], exec
	s_cmp_eq_u64 s[26:27], s[44:45]
	s_cbranch_scc0 .LBB1069_86
; %bb.89:                               ;   in Loop: Header=BB1069_88 Depth=1
                                        ; implicit-def: $sgpr0_sgpr1
	s_mov_b64 s[44:45], s[26:27]
	s_branch .LBB1069_87
.LBB1069_90:
	s_or_b64 exec, exec, s[40:41]
	v_cmp_gt_i64_e32 vcc, s[26:27], v[16:17]
	s_orn2_b64 s[40:41], vcc, exec
.LBB1069_91:
	s_or_b64 exec, exec, s[36:37]
	s_and_b64 s[36:37], s[40:41], exec
.LBB1069_92:
	s_or_b64 exec, exec, s[38:39]
	v_cmp_gt_u32_e32 vcc, s7, v22
	s_and_b64 s[0:1], vcc, s[8:9]
	s_and_saveexec_b64 s[38:39], s[0:1]
	s_cbranch_execz .LBB1069_101
; %bb.93:
	v_pk_mov_b32 v[14:15], s[28:29], s[28:29] op_sel:[0,1]
	v_mad_u64_u32 v[12:13], s[0:1], v6, s26, v[14:15]
	s_waitcnt lgkmcnt(0)
	v_mul_lo_u32 v16, v6, s27
	v_mul_lo_u32 v17, v7, s26
	v_add3_u32 v13, v17, v13, v16
	v_mad_u64_u32 v[14:15], s[0:1], v8, s26, v[14:15]
	v_mul_lo_u32 v16, v8, s27
	v_mul_lo_u32 v17, v9, s26
	v_add3_u32 v15, v17, v15, v16
	global_load_ubyte v16, v[12:13], off
	global_load_ubyte v17, v[14:15], off
	s_waitcnt vmcnt(1)
	v_cmp_ne_u16_e32 vcc, 0, v16
	s_waitcnt vmcnt(0)
	v_cmp_ne_u16_e64 s[0:1], 0, v17
	s_xor_b64 s[18:19], vcc, s[0:1]
	s_mov_b64 s[0:1], -1
	s_xor_b64 s[40:41], s[18:19], -1
	s_and_saveexec_b64 s[18:19], s[40:41]
	s_cbranch_execz .LBB1069_100
; %bb.94:
	s_mov_b64 s[44:45], 1
	s_mov_b64 s[40:41], 0
                                        ; implicit-def: $sgpr42_sgpr43
	s_branch .LBB1069_97
.LBB1069_95:                            ;   in Loop: Header=BB1069_97 Depth=1
	v_mov_b32_e32 v19, s45
	v_add_co_u32_e32 v16, vcc, s44, v12
	v_addc_co_u32_e32 v17, vcc, v13, v19, vcc
	v_add_co_u32_e32 v18, vcc, s44, v14
	v_addc_co_u32_e32 v19, vcc, v15, v19, vcc
	global_load_ubyte v26, v[16:17], off
	global_load_ubyte v27, v[18:19], off
	s_waitcnt vmcnt(1)
	v_cmp_ne_u16_e32 vcc, 0, v26
	s_waitcnt vmcnt(0)
	v_cmp_ne_u16_e64 s[0:1], 0, v27
	s_xor_b64 s[46:47], vcc, s[0:1]
	s_add_u32 s0, s44, 1
	s_addc_u32 s1, s45, 0
	s_andn2_b64 s[42:43], s[42:43], exec
	s_and_b64 s[46:47], s[46:47], exec
	s_or_b64 s[42:43], s[42:43], s[46:47]
.LBB1069_96:                            ;   in Loop: Header=BB1069_97 Depth=1
	s_and_b64 s[46:47], exec, s[42:43]
	s_or_b64 s[40:41], s[46:47], s[40:41]
	v_pk_mov_b32 v[16:17], s[44:45], s[44:45] op_sel:[0,1]
	s_mov_b64 s[44:45], s[0:1]
	s_andn2_b64 exec, exec, s[40:41]
	s_cbranch_execz .LBB1069_99
.LBB1069_97:                            ; =>This Inner Loop Header: Depth=1
	s_or_b64 s[42:43], s[42:43], exec
	s_cmp_eq_u64 s[26:27], s[44:45]
	s_cbranch_scc0 .LBB1069_95
; %bb.98:                               ;   in Loop: Header=BB1069_97 Depth=1
                                        ; implicit-def: $sgpr0_sgpr1
	s_mov_b64 s[44:45], s[26:27]
	s_branch .LBB1069_96
.LBB1069_99:
	s_or_b64 exec, exec, s[40:41]
	v_cmp_gt_i64_e32 vcc, s[26:27], v[16:17]
	s_orn2_b64 s[0:1], vcc, exec
.LBB1069_100:
	s_or_b64 exec, exec, s[18:19]
	s_and_b64 s[18:19], s[0:1], exec
.LBB1069_101:
	s_or_b64 exec, exec, s[38:39]
	v_cmp_ne_u32_e32 vcc, 0, v0
	s_waitcnt lgkmcnt(0)
	v_pk_mov_b32 v[14:15], s[12:13], s[12:13] op_sel:[0,1]
	s_barrier
	s_and_saveexec_b64 s[0:1], vcc
	s_cbranch_execz .LBB1069_103
; %bb.102:
	v_add_u32_e32 v12, -8, v25
	ds_read_b64 v[14:15], v12
.LBB1069_103:
	s_or_b64 exec, exec, s[0:1]
	v_cndmask_b32_e64 v13, 0, 1, s[14:15]
	v_cndmask_b32_e64 v12, 0, 1, s[36:37]
	;; [unrolled: 1-line block ×3, first 2 shown]
	v_cmp_gt_u32_e32 vcc, s7, v1
	v_lshlrev_b16_e32 v13, 8, v13
	s_mov_b64 s[14:15], -1
	s_and_b64 s[0:1], vcc, s[8:9]
	v_lshlrev_b16_e32 v18, 8, v16
	v_or_b32_sdwa v19, v12, v13 dst_sel:WORD_1 dst_unused:UNUSED_PAD src0_sel:DWORD src1_sel:DWORD
	s_mov_b64 s[8:9], 0
	s_and_saveexec_b64 s[12:13], s[0:1]
	s_cbranch_execz .LBB1069_112
; %bb.104:
	v_pk_mov_b32 v[16:17], s[28:29], s[28:29] op_sel:[0,1]
	s_waitcnt lgkmcnt(0)
	v_mad_u64_u32 v[12:13], s[0:1], v14, s26, v[16:17]
	v_mul_lo_u32 v14, v14, s27
	v_mul_lo_u32 v15, v15, s26
	v_add3_u32 v13, v15, v13, v14
	v_mad_u64_u32 v[14:15], s[0:1], v6, s26, v[16:17]
	v_mul_lo_u32 v16, v6, s27
	v_mul_lo_u32 v17, v7, s26
	v_add3_u32 v15, v17, v15, v16
	global_load_ubyte v16, v[12:13], off
	global_load_ubyte v17, v[14:15], off
	s_waitcnt vmcnt(1)
	v_cmp_ne_u16_e32 vcc, 0, v16
	s_waitcnt vmcnt(0)
	v_cmp_ne_u16_e64 s[0:1], 0, v17
	s_xor_b64 s[0:1], vcc, s[0:1]
	s_xor_b64 s[0:1], s[0:1], -1
	s_and_saveexec_b64 s[8:9], s[0:1]
	s_cbranch_execz .LBB1069_111
; %bb.105:
	s_mov_b64 s[36:37], 1
	s_mov_b64 s[14:15], 0
                                        ; implicit-def: $sgpr18_sgpr19
	s_branch .LBB1069_108
.LBB1069_106:                           ;   in Loop: Header=BB1069_108 Depth=1
	v_mov_b32_e32 v25, s37
	v_add_co_u32_e32 v16, vcc, s36, v12
	v_addc_co_u32_e32 v17, vcc, v13, v25, vcc
	v_add_co_u32_e32 v26, vcc, s36, v14
	v_addc_co_u32_e32 v27, vcc, v15, v25, vcc
	global_load_ubyte v25, v[16:17], off
	global_load_ubyte v28, v[26:27], off
	s_waitcnt vmcnt(1)
	v_cmp_ne_u16_e32 vcc, 0, v25
	s_waitcnt vmcnt(0)
	v_cmp_ne_u16_e64 s[0:1], 0, v28
	s_xor_b64 s[38:39], vcc, s[0:1]
	s_add_u32 s0, s36, 1
	s_addc_u32 s1, s37, 0
	s_andn2_b64 s[18:19], s[18:19], exec
	s_and_b64 s[38:39], s[38:39], exec
	s_or_b64 s[18:19], s[18:19], s[38:39]
.LBB1069_107:                           ;   in Loop: Header=BB1069_108 Depth=1
	s_and_b64 s[38:39], exec, s[18:19]
	s_or_b64 s[14:15], s[38:39], s[14:15]
	v_pk_mov_b32 v[16:17], s[36:37], s[36:37] op_sel:[0,1]
	s_mov_b64 s[36:37], s[0:1]
	s_andn2_b64 exec, exec, s[14:15]
	s_cbranch_execz .LBB1069_110
.LBB1069_108:                           ; =>This Inner Loop Header: Depth=1
	s_or_b64 s[18:19], s[18:19], exec
	s_cmp_eq_u64 s[26:27], s[36:37]
	s_cbranch_scc0 .LBB1069_106
; %bb.109:                              ;   in Loop: Header=BB1069_108 Depth=1
                                        ; implicit-def: $sgpr0_sgpr1
	s_mov_b64 s[36:37], s[26:27]
	s_branch .LBB1069_107
.LBB1069_110:
	s_or_b64 exec, exec, s[14:15]
	v_cmp_gt_i64_e32 vcc, s[26:27], v[16:17]
	s_orn2_b64 s[14:15], vcc, exec
.LBB1069_111:
	s_or_b64 exec, exec, s[8:9]
	s_and_b64 s[8:9], s[14:15], exec
.LBB1069_112:
	s_or_b64 exec, exec, s[12:13]
	v_cndmask_b32_e64 v13, 0, 1, s[2:3]
	s_waitcnt lgkmcnt(0)
	v_or_b32_e32 v14, v18, v19
.LBB1069_113:
	s_waitcnt lgkmcnt(0)
	s_mov_b64 s[12:13], -1
	s_cbranch_execnz .LBB1069_211
.LBB1069_114:
	v_lshlrev_b32_e32 v12, 5, v0
	v_sub_u32_e32 v24, v24, v12
	v_cmp_lt_i64_e64 s[14:15], s[26:27], 1
	s_mov_b64 s[2:3], 0
	v_cmp_gt_i64_e64 s[8:9], s[26:27], 0
	s_and_b64 vcc, exec, s[34:35]
	ds_write_b64 v24, v[10:11]
	s_cbranch_vccz .LBB1069_122
; %bb.115:
	v_cndmask_b32_e64 v12, 0, 1, s[8:9]
	v_cmp_ne_u32_e64 s[0:1], 1, v12
	s_andn2_b64 vcc, exec, s[8:9]
	s_cbranch_vccnz .LBB1069_123
; %bb.116:
	v_pk_mov_b32 v[14:15], s[28:29], s[28:29] op_sel:[0,1]
	v_mad_u64_u32 v[12:13], s[2:3], v4, s26, v[14:15]
	v_mul_lo_u32 v16, v4, s27
	v_mul_lo_u32 v17, v5, s26
	v_add3_u32 v13, v17, v13, v16
	v_mad_u64_u32 v[14:15], s[2:3], v10, s26, v[14:15]
	v_mul_lo_u32 v16, v10, s27
	v_mul_lo_u32 v17, v11, s26
	v_add3_u32 v15, v17, v15, v16
	global_load_ubyte v16, v[12:13], off
	global_load_ubyte v17, v[14:15], off
	s_mov_b64 s[8:9], -1
	s_waitcnt vmcnt(1)
	v_cmp_ne_u16_e32 vcc, 0, v16
	s_waitcnt vmcnt(0)
	v_cmp_ne_u16_e64 s[2:3], 0, v17
	s_xor_b64 s[2:3], vcc, s[2:3]
	s_xor_b64 s[2:3], s[2:3], -1
	s_and_saveexec_b64 s[18:19], s[2:3]
	s_cbranch_execz .LBB1069_125
; %bb.117:
	s_mov_b64 s[40:41], 1
	s_mov_b64 s[36:37], 0
                                        ; implicit-def: $sgpr38_sgpr39
	s_branch .LBB1069_120
.LBB1069_118:                           ;   in Loop: Header=BB1069_120 Depth=1
	v_mov_b32_e32 v19, s41
	v_add_co_u32_e64 v16, s[2:3], s40, v12
	v_addc_co_u32_e64 v17, s[2:3], v13, v19, s[2:3]
	v_add_co_u32_e64 v18, s[2:3], s40, v14
	v_addc_co_u32_e64 v19, s[2:3], v15, v19, s[2:3]
	global_load_ubyte v25, v[16:17], off
	global_load_ubyte v26, v[18:19], off
	s_waitcnt vmcnt(1)
	v_cmp_ne_u16_e64 s[2:3], 0, v25
	s_waitcnt vmcnt(0)
	v_cmp_ne_u16_e64 s[8:9], 0, v26
	s_xor_b64 s[8:9], s[2:3], s[8:9]
	s_add_u32 s2, s40, 1
	s_addc_u32 s3, s41, 0
	s_andn2_b64 s[38:39], s[38:39], exec
	s_and_b64 s[8:9], s[8:9], exec
	s_or_b64 s[38:39], s[38:39], s[8:9]
.LBB1069_119:                           ;   in Loop: Header=BB1069_120 Depth=1
	s_and_b64 s[8:9], exec, s[38:39]
	s_or_b64 s[36:37], s[8:9], s[36:37]
	v_pk_mov_b32 v[16:17], s[40:41], s[40:41] op_sel:[0,1]
	s_mov_b64 s[40:41], s[2:3]
	s_andn2_b64 exec, exec, s[36:37]
	s_cbranch_execz .LBB1069_124
.LBB1069_120:                           ; =>This Inner Loop Header: Depth=1
	s_or_b64 s[38:39], s[38:39], exec
	s_cmp_eq_u64 s[26:27], s[40:41]
	s_cbranch_scc0 .LBB1069_118
; %bb.121:                              ;   in Loop: Header=BB1069_120 Depth=1
                                        ; implicit-def: $sgpr2_sgpr3
	s_mov_b64 s[40:41], s[26:27]
	s_branch .LBB1069_119
.LBB1069_122:
                                        ; implicit-def: $sgpr8_sgpr9
                                        ; implicit-def: $vgpr13
                                        ; implicit-def: $vgpr14
	s_cbranch_execnz .LBB1069_163
	s_branch .LBB1069_211
.LBB1069_123:
	v_mov_b32_e32 v25, 0
	s_branch .LBB1069_133
.LBB1069_124:
	s_or_b64 exec, exec, s[36:37]
	v_cmp_gt_i64_e64 s[2:3], s[26:27], v[16:17]
	s_orn2_b64 s[8:9], s[2:3], exec
.LBB1069_125:
	s_or_b64 exec, exec, s[18:19]
	v_pk_mov_b32 v[14:15], s[28:29], s[28:29] op_sel:[0,1]
	v_mad_u64_u32 v[14:15], s[2:3], v2, s26, v[14:15]
	v_mul_lo_u32 v16, v2, s27
	v_mul_lo_u32 v17, v3, s26
	v_add3_u32 v15, v17, v15, v16
	global_load_ubyte v16, v[14:15], off
	s_waitcnt vmcnt(0)
	v_cmp_ne_u16_e64 s[2:3], 0, v16
	s_xor_b64 s[18:19], vcc, s[2:3]
	s_mov_b64 s[2:3], -1
	s_xor_b64 s[36:37], s[18:19], -1
	s_and_saveexec_b64 s[18:19], s[36:37]
	s_cbranch_execz .LBB1069_132
; %bb.126:
	s_mov_b64 s[40:41], 1
	s_mov_b64 s[36:37], 0
                                        ; implicit-def: $sgpr38_sgpr39
	s_branch .LBB1069_129
.LBB1069_127:                           ;   in Loop: Header=BB1069_129 Depth=1
	v_mov_b32_e32 v19, s41
	v_add_co_u32_e32 v16, vcc, s40, v14
	v_addc_co_u32_e32 v17, vcc, v15, v19, vcc
	v_add_co_u32_e32 v18, vcc, s40, v12
	v_addc_co_u32_e32 v19, vcc, v13, v19, vcc
	global_load_ubyte v25, v[16:17], off
	global_load_ubyte v26, v[18:19], off
	s_waitcnt vmcnt(1)
	v_cmp_ne_u16_e32 vcc, 0, v25
	s_waitcnt vmcnt(0)
	v_cmp_ne_u16_e64 s[2:3], 0, v26
	s_xor_b64 s[42:43], vcc, s[2:3]
	s_add_u32 s2, s40, 1
	s_addc_u32 s3, s41, 0
	s_andn2_b64 s[38:39], s[38:39], exec
	s_and_b64 s[42:43], s[42:43], exec
	s_or_b64 s[38:39], s[38:39], s[42:43]
.LBB1069_128:                           ;   in Loop: Header=BB1069_129 Depth=1
	s_and_b64 s[42:43], exec, s[38:39]
	s_or_b64 s[36:37], s[42:43], s[36:37]
	v_pk_mov_b32 v[16:17], s[40:41], s[40:41] op_sel:[0,1]
	s_mov_b64 s[40:41], s[2:3]
	s_andn2_b64 exec, exec, s[36:37]
	s_cbranch_execz .LBB1069_131
.LBB1069_129:                           ; =>This Inner Loop Header: Depth=1
	s_or_b64 s[38:39], s[38:39], exec
	s_cmp_eq_u64 s[26:27], s[40:41]
	s_cbranch_scc0 .LBB1069_127
; %bb.130:                              ;   in Loop: Header=BB1069_129 Depth=1
                                        ; implicit-def: $sgpr2_sgpr3
	s_mov_b64 s[40:41], s[26:27]
	s_branch .LBB1069_128
.LBB1069_131:
	s_or_b64 exec, exec, s[36:37]
	v_cmp_gt_i64_e32 vcc, s[26:27], v[16:17]
	s_orn2_b64 s[2:3], vcc, exec
.LBB1069_132:
	s_or_b64 exec, exec, s[18:19]
	v_cndmask_b32_e64 v25, 0, 1, s[8:9]
.LBB1069_133:
	v_lshlrev_b16_e32 v12, 8, v0
	v_cndmask_b32_e64 v13, 0, 1, s[2:3]
	v_mov_b32_e32 v14, 8
	v_lshrrev_b32_sdwa v12, v14, v12 dst_sel:BYTE_1 dst_unused:UNUSED_PAD src0_sel:DWORD src1_sel:DWORD
	v_lshlrev_b16_e32 v13, 8, v13
	v_or_b32_sdwa v12, v0, v12 dst_sel:DWORD dst_unused:UNUSED_PAD src0_sel:BYTE_0 src1_sel:DWORD
	v_or_b32_sdwa v13, v0, v13 dst_sel:WORD_1 dst_unused:UNUSED_PAD src0_sel:BYTE_0 src1_sel:DWORD
	s_and_b64 vcc, exec, s[0:1]
	v_or_b32_sdwa v26, v12, v13 dst_sel:DWORD dst_unused:UNUSED_PAD src0_sel:WORD_0 src1_sel:DWORD
	s_cbranch_vccnz .LBB1069_140
; %bb.134:
	v_pk_mov_b32 v[14:15], s[28:29], s[28:29] op_sel:[0,1]
	v_mad_u64_u32 v[12:13], s[2:3], v8, s26, v[14:15]
	v_mul_lo_u32 v16, v8, s27
	v_mul_lo_u32 v17, v9, s26
	v_add3_u32 v13, v17, v13, v16
	v_mad_u64_u32 v[14:15], s[2:3], v2, s26, v[14:15]
	v_mul_lo_u32 v16, v2, s27
	v_mul_lo_u32 v17, v3, s26
	v_add3_u32 v15, v17, v15, v16
	global_load_ubyte v16, v[12:13], off
	global_load_ubyte v17, v[14:15], off
	s_waitcnt vmcnt(1)
	v_cmp_ne_u16_e32 vcc, 0, v16
	s_waitcnt vmcnt(0)
	v_cmp_ne_u16_e64 s[2:3], 0, v17
	s_xor_b64 s[8:9], vcc, s[2:3]
	s_mov_b64 s[2:3], -1
	s_xor_b64 s[8:9], s[8:9], -1
	s_and_saveexec_b64 s[18:19], s[8:9]
	s_cbranch_execz .LBB1069_142
; %bb.135:
	s_mov_b64 s[40:41], 1
	s_mov_b64 s[36:37], 0
                                        ; implicit-def: $sgpr38_sgpr39
	s_branch .LBB1069_138
.LBB1069_136:                           ;   in Loop: Header=BB1069_138 Depth=1
	v_mov_b32_e32 v19, s41
	v_add_co_u32_e64 v16, s[2:3], s40, v12
	v_addc_co_u32_e64 v17, s[2:3], v13, v19, s[2:3]
	v_add_co_u32_e64 v18, s[2:3], s40, v14
	v_addc_co_u32_e64 v19, s[2:3], v15, v19, s[2:3]
	global_load_ubyte v27, v[16:17], off
	global_load_ubyte v28, v[18:19], off
	s_waitcnt vmcnt(1)
	v_cmp_ne_u16_e64 s[2:3], 0, v27
	s_waitcnt vmcnt(0)
	v_cmp_ne_u16_e64 s[8:9], 0, v28
	s_xor_b64 s[8:9], s[2:3], s[8:9]
	s_add_u32 s2, s40, 1
	s_addc_u32 s3, s41, 0
	s_andn2_b64 s[38:39], s[38:39], exec
	s_and_b64 s[8:9], s[8:9], exec
	s_or_b64 s[38:39], s[38:39], s[8:9]
.LBB1069_137:                           ;   in Loop: Header=BB1069_138 Depth=1
	s_and_b64 s[8:9], exec, s[38:39]
	s_or_b64 s[36:37], s[8:9], s[36:37]
	v_pk_mov_b32 v[16:17], s[40:41], s[40:41] op_sel:[0,1]
	s_mov_b64 s[40:41], s[2:3]
	s_andn2_b64 exec, exec, s[36:37]
	s_cbranch_execz .LBB1069_141
.LBB1069_138:                           ; =>This Inner Loop Header: Depth=1
	s_or_b64 s[38:39], s[38:39], exec
	s_cmp_eq_u64 s[26:27], s[40:41]
	s_cbranch_scc0 .LBB1069_136
; %bb.139:                              ;   in Loop: Header=BB1069_138 Depth=1
                                        ; implicit-def: $sgpr2_sgpr3
	s_mov_b64 s[40:41], s[26:27]
	s_branch .LBB1069_137
.LBB1069_140:
                                        ; implicit-def: $sgpr2_sgpr3
                                        ; implicit-def: $vgpr14_vgpr15
	s_cbranch_execnz .LBB1069_150
	s_branch .LBB1069_151
.LBB1069_141:
	s_or_b64 exec, exec, s[36:37]
	v_cmp_gt_i64_e64 s[2:3], s[26:27], v[16:17]
	s_orn2_b64 s[2:3], s[2:3], exec
.LBB1069_142:
	s_or_b64 exec, exec, s[18:19]
	v_pk_mov_b32 v[14:15], s[28:29], s[28:29] op_sel:[0,1]
	v_mad_u64_u32 v[16:17], s[8:9], v6, s26, v[14:15]
	v_mul_lo_u32 v14, v6, s27
	v_mul_lo_u32 v15, v7, s26
	v_add3_u32 v17, v15, v17, v14
	global_load_ubyte v18, v[16:17], off
	v_cndmask_b32_e64 v14, 0, 1, s[2:3]
	s_movk_i32 s2, 0xff
	v_mov_b32_e32 v15, 8
	v_lshrrev_b32_e32 v19, 24, v26
	v_lshrrev_b32_sdwa v27, v15, v26 dst_sel:BYTE_1 dst_unused:UNUSED_PAD src0_sel:DWORD src1_sel:DWORD
	v_lshlrev_b16_e32 v19, 8, v19
	v_and_b32_sdwa v15, v25, s2 dst_sel:DWORD dst_unused:UNUSED_PAD src0_sel:WORD_0 src1_sel:DWORD
	v_or_b32_sdwa v27, v26, v27 dst_sel:DWORD dst_unused:UNUSED_PAD src0_sel:BYTE_0 src1_sel:DWORD
	v_or_b32_sdwa v14, v14, v19 dst_sel:WORD_1 dst_unused:UNUSED_PAD src0_sel:DWORD src1_sel:DWORD
	v_or_b32_sdwa v14, v27, v14 dst_sel:DWORD dst_unused:UNUSED_PAD src0_sel:WORD_0 src1_sel:DWORD
	s_waitcnt vmcnt(0)
	v_cmp_ne_u16_e64 s[2:3], 0, v18
	s_xor_b64 s[8:9], vcc, s[2:3]
	s_mov_b64 s[2:3], -1
	s_xor_b64 s[18:19], s[8:9], -1
	s_and_saveexec_b64 s[8:9], s[18:19]
	s_cbranch_execz .LBB1069_149
; %bb.143:
	s_mov_b64 s[38:39], 1
	s_mov_b64 s[18:19], 0
                                        ; implicit-def: $sgpr36_sgpr37
	s_branch .LBB1069_146
.LBB1069_144:                           ;   in Loop: Header=BB1069_146 Depth=1
	v_mov_b32_e32 v27, s39
	v_add_co_u32_e32 v18, vcc, s38, v16
	v_addc_co_u32_e32 v19, vcc, v17, v27, vcc
	v_add_co_u32_e32 v28, vcc, s38, v12
	v_addc_co_u32_e32 v29, vcc, v13, v27, vcc
	global_load_ubyte v27, v[18:19], off
	global_load_ubyte v30, v[28:29], off
	s_waitcnt vmcnt(1)
	v_cmp_ne_u16_e32 vcc, 0, v27
	s_waitcnt vmcnt(0)
	v_cmp_ne_u16_e64 s[2:3], 0, v30
	s_xor_b64 s[40:41], vcc, s[2:3]
	s_add_u32 s2, s38, 1
	s_addc_u32 s3, s39, 0
	s_andn2_b64 s[36:37], s[36:37], exec
	s_and_b64 s[40:41], s[40:41], exec
	s_or_b64 s[36:37], s[36:37], s[40:41]
.LBB1069_145:                           ;   in Loop: Header=BB1069_146 Depth=1
	s_and_b64 s[40:41], exec, s[36:37]
	s_or_b64 s[18:19], s[40:41], s[18:19]
	v_pk_mov_b32 v[18:19], s[38:39], s[38:39] op_sel:[0,1]
	s_mov_b64 s[38:39], s[2:3]
	s_andn2_b64 exec, exec, s[18:19]
	s_cbranch_execz .LBB1069_148
.LBB1069_146:                           ; =>This Inner Loop Header: Depth=1
	s_or_b64 s[36:37], s[36:37], exec
	s_cmp_eq_u64 s[26:27], s[38:39]
	s_cbranch_scc0 .LBB1069_144
; %bb.147:                              ;   in Loop: Header=BB1069_146 Depth=1
                                        ; implicit-def: $sgpr2_sgpr3
	s_mov_b64 s[38:39], s[26:27]
	s_branch .LBB1069_145
.LBB1069_148:
	s_or_b64 exec, exec, s[18:19]
	v_cmp_gt_i64_e32 vcc, s[26:27], v[18:19]
	s_orn2_b64 s[2:3], vcc, exec
.LBB1069_149:
	s_or_b64 exec, exec, s[8:9]
	s_branch .LBB1069_151
.LBB1069_150:
	v_mov_b32_e32 v12, 8
	v_lshrrev_b32_sdwa v12, v12, v26 dst_sel:BYTE_1 dst_unused:UNUSED_PAD src0_sel:DWORD src1_sel:DWORD
	v_or_b32_sdwa v12, v26, v12 dst_sel:DWORD dst_unused:UNUSED_PAD src0_sel:BYTE_0 src1_sel:DWORD
	s_movk_i32 s8, 0xff
	v_and_b32_e32 v12, 0xffff, v12
	s_mov_b32 s9, 0xff000000
	v_and_or_b32 v14, v26, s9, v12
	v_and_b32_sdwa v15, v25, s8 dst_sel:DWORD dst_unused:UNUSED_PAD src0_sel:WORD_0 src1_sel:DWORD
	s_andn2_b64 s[2:3], s[2:3], exec
.LBB1069_151:
	v_cndmask_b32_e64 v12, 0, 1, s[2:3]
	v_lshrrev_b32_e32 v13, 24, v14
	s_movk_i32 s2, 0xff
	v_lshlrev_b16_e32 v13, 8, v13
	v_and_b32_sdwa v14, v14, s2 dst_sel:DWORD dst_unused:UNUSED_PAD src0_sel:WORD_1 src1_sel:DWORD
	v_lshlrev_b16_e32 v12, 8, v12
	v_or_b32_sdwa v13, v14, v13 dst_sel:WORD_1 dst_unused:UNUSED_PAD src0_sel:DWORD src1_sel:DWORD
	v_or_b32_e32 v12, 1, v12
	v_or_b32_sdwa v12, v12, v13 dst_sel:DWORD dst_unused:UNUSED_PAD src0_sel:WORD_0 src1_sel:DWORD
	v_and_b32_e32 v13, 0xff, v15
	v_cmp_ne_u32_e32 vcc, 0, v0
	s_waitcnt lgkmcnt(0)
	s_barrier
	s_waitcnt lgkmcnt(0)
                                        ; implicit-def: $sgpr8_sgpr9
                                        ; implicit-def: $vgpr14
	s_and_saveexec_b64 s[2:3], vcc
	s_xor_b64 s[2:3], exec, s[2:3]
	s_cbranch_execz .LBB1069_162
; %bb.152:
	s_mov_b32 s33, 0x3020104
	s_and_b64 vcc, exec, s[0:1]
	s_mov_b64 s[0:1], 0
	s_cbranch_vccnz .LBB1069_161
; %bb.153:
	v_add_u32_e32 v14, -8, v24
	ds_read_b64 v[14:15], v14
	v_pk_mov_b32 v[16:17], s[28:29], s[28:29] op_sel:[0,1]
	s_waitcnt lgkmcnt(0)
	v_mul_lo_u32 v18, v14, s27
	v_mul_lo_u32 v19, v15, s26
	v_mad_u64_u32 v[14:15], s[0:1], v14, s26, v[16:17]
	v_add3_u32 v15, v19, v15, v18
	v_mad_u64_u32 v[16:17], s[0:1], v6, s26, v[16:17]
	v_mul_lo_u32 v18, v6, s27
	v_mul_lo_u32 v19, v7, s26
	v_add3_u32 v17, v19, v17, v18
	global_load_ubyte v18, v[14:15], off
	global_load_ubyte v19, v[16:17], off
	s_waitcnt vmcnt(1)
	v_cmp_ne_u16_e32 vcc, 0, v18
	s_waitcnt vmcnt(0)
	v_cmp_ne_u16_e64 s[0:1], 0, v19
	s_xor_b64 s[8:9], vcc, s[0:1]
	s_mov_b64 s[0:1], -1
	s_xor_b64 s[18:19], s[8:9], -1
	s_and_saveexec_b64 s[8:9], s[18:19]
	s_cbranch_execz .LBB1069_160
; %bb.154:
	s_mov_b64 s[38:39], 1
	s_mov_b64 s[18:19], 0
                                        ; implicit-def: $sgpr36_sgpr37
	s_branch .LBB1069_157
.LBB1069_155:                           ;   in Loop: Header=BB1069_157 Depth=1
	v_mov_b32_e32 v25, s39
	v_add_co_u32_e32 v18, vcc, s38, v14
	v_addc_co_u32_e32 v19, vcc, v15, v25, vcc
	v_add_co_u32_e32 v26, vcc, s38, v16
	v_addc_co_u32_e32 v27, vcc, v17, v25, vcc
	global_load_ubyte v25, v[18:19], off
	global_load_ubyte v28, v[26:27], off
	s_waitcnt vmcnt(1)
	v_cmp_ne_u16_e32 vcc, 0, v25
	s_waitcnt vmcnt(0)
	v_cmp_ne_u16_e64 s[0:1], 0, v28
	s_xor_b64 s[40:41], vcc, s[0:1]
	s_add_u32 s0, s38, 1
	s_addc_u32 s1, s39, 0
	s_andn2_b64 s[36:37], s[36:37], exec
	s_and_b64 s[40:41], s[40:41], exec
	s_or_b64 s[36:37], s[36:37], s[40:41]
.LBB1069_156:                           ;   in Loop: Header=BB1069_157 Depth=1
	s_and_b64 s[40:41], exec, s[36:37]
	s_or_b64 s[18:19], s[40:41], s[18:19]
	v_pk_mov_b32 v[18:19], s[38:39], s[38:39] op_sel:[0,1]
	s_mov_b64 s[38:39], s[0:1]
	s_andn2_b64 exec, exec, s[18:19]
	s_cbranch_execz .LBB1069_159
.LBB1069_157:                           ; =>This Inner Loop Header: Depth=1
	s_or_b64 s[36:37], s[36:37], exec
	s_cmp_eq_u64 s[26:27], s[38:39]
	s_cbranch_scc0 .LBB1069_155
; %bb.158:                              ;   in Loop: Header=BB1069_157 Depth=1
                                        ; implicit-def: $sgpr0_sgpr1
	s_mov_b64 s[38:39], s[26:27]
	s_branch .LBB1069_156
.LBB1069_159:
	s_or_b64 exec, exec, s[18:19]
	v_cmp_gt_i64_e32 vcc, s[26:27], v[18:19]
	s_orn2_b64 s[0:1], vcc, exec
.LBB1069_160:
	s_or_b64 exec, exec, s[8:9]
.LBB1069_161:
	v_perm_b32 v14, v12, v12, s33
	s_and_b64 s[8:9], s[0:1], exec
	s_or_b64 s[12:13], s[12:13], exec
.LBB1069_162:
	s_or_b64 exec, exec, s[2:3]
	s_branch .LBB1069_211
.LBB1069_163:
	v_cmp_gt_u32_e32 vcc, s7, v21
	s_xor_b64 s[2:3], s[14:15], -1
	s_mov_b64 s[36:37], -1
	s_and_b64 s[0:1], vcc, s[2:3]
	s_mov_b64 s[14:15], 0
	v_mul_lo_u32 v25, v4, s27
	v_mul_lo_u32 v26, v5, s26
	s_mov_b64 s[8:9], 0
	s_and_saveexec_b64 s[18:19], s[0:1]
	s_cbranch_execz .LBB1069_172
; %bb.164:
	v_pk_mov_b32 v[14:15], s[28:29], s[28:29] op_sel:[0,1]
	v_mad_u64_u32 v[12:13], s[0:1], v4, s26, v[14:15]
	v_add3_u32 v13, v26, v13, v25
	v_mad_u64_u32 v[14:15], s[0:1], v10, s26, v[14:15]
	v_mul_lo_u32 v16, v10, s27
	v_mul_lo_u32 v17, v11, s26
	v_add3_u32 v15, v17, v15, v16
	global_load_ubyte v16, v[12:13], off
	global_load_ubyte v17, v[14:15], off
	s_waitcnt vmcnt(1)
	v_cmp_ne_u16_e32 vcc, 0, v16
	s_waitcnt vmcnt(0)
	v_cmp_ne_u16_e64 s[0:1], 0, v17
	s_xor_b64 s[0:1], vcc, s[0:1]
	s_xor_b64 s[0:1], s[0:1], -1
	s_and_saveexec_b64 s[8:9], s[0:1]
	s_cbranch_execz .LBB1069_171
; %bb.165:
	s_mov_b64 s[40:41], 1
	s_mov_b64 s[36:37], 0
                                        ; implicit-def: $sgpr38_sgpr39
	s_branch .LBB1069_168
.LBB1069_166:                           ;   in Loop: Header=BB1069_168 Depth=1
	v_mov_b32_e32 v19, s41
	v_add_co_u32_e32 v16, vcc, s40, v12
	v_addc_co_u32_e32 v17, vcc, v13, v19, vcc
	v_add_co_u32_e32 v18, vcc, s40, v14
	v_addc_co_u32_e32 v19, vcc, v15, v19, vcc
	global_load_ubyte v27, v[16:17], off
	global_load_ubyte v28, v[18:19], off
	s_waitcnt vmcnt(1)
	v_cmp_ne_u16_e32 vcc, 0, v27
	s_waitcnt vmcnt(0)
	v_cmp_ne_u16_e64 s[0:1], 0, v28
	s_xor_b64 s[42:43], vcc, s[0:1]
	s_add_u32 s0, s40, 1
	s_addc_u32 s1, s41, 0
	s_andn2_b64 s[38:39], s[38:39], exec
	s_and_b64 s[42:43], s[42:43], exec
	s_or_b64 s[38:39], s[38:39], s[42:43]
.LBB1069_167:                           ;   in Loop: Header=BB1069_168 Depth=1
	s_and_b64 s[42:43], exec, s[38:39]
	s_or_b64 s[36:37], s[42:43], s[36:37]
	v_pk_mov_b32 v[16:17], s[40:41], s[40:41] op_sel:[0,1]
	s_mov_b64 s[40:41], s[0:1]
	s_andn2_b64 exec, exec, s[36:37]
	s_cbranch_execz .LBB1069_170
.LBB1069_168:                           ; =>This Inner Loop Header: Depth=1
	s_or_b64 s[38:39], s[38:39], exec
	s_cmp_eq_u64 s[26:27], s[40:41]
	s_cbranch_scc0 .LBB1069_166
; %bb.169:                              ;   in Loop: Header=BB1069_168 Depth=1
                                        ; implicit-def: $sgpr0_sgpr1
	s_mov_b64 s[40:41], s[26:27]
	s_branch .LBB1069_167
.LBB1069_170:
	s_or_b64 exec, exec, s[36:37]
	v_cmp_gt_i64_e32 vcc, s[26:27], v[16:17]
	s_orn2_b64 s[36:37], vcc, exec
.LBB1069_171:
	s_or_b64 exec, exec, s[8:9]
	s_and_b64 s[8:9], s[36:37], exec
.LBB1069_172:
	s_or_b64 exec, exec, s[18:19]
	v_cmp_gt_u32_e32 vcc, s7, v23
	s_and_b64 s[0:1], vcc, s[2:3]
	v_mul_lo_u32 v18, v2, s27
	v_mul_lo_u32 v19, v3, s26
	s_and_saveexec_b64 s[18:19], s[0:1]
	s_cbranch_execz .LBB1069_181
; %bb.173:
	v_pk_mov_b32 v[14:15], s[28:29], s[28:29] op_sel:[0,1]
	v_mad_u64_u32 v[12:13], s[0:1], v2, s26, v[14:15]
	v_add3_u32 v13, v19, v13, v18
	v_mad_u64_u32 v[14:15], s[0:1], v4, s26, v[14:15]
	v_add3_u32 v15, v26, v15, v25
	global_load_ubyte v16, v[12:13], off
	global_load_ubyte v17, v[14:15], off
	s_waitcnt vmcnt(1)
	v_cmp_ne_u16_e32 vcc, 0, v16
	s_waitcnt vmcnt(0)
	v_cmp_ne_u16_e64 s[0:1], 0, v17
	s_xor_b64 s[14:15], vcc, s[0:1]
	s_mov_b64 s[0:1], -1
	s_xor_b64 s[36:37], s[14:15], -1
	s_and_saveexec_b64 s[14:15], s[36:37]
	s_cbranch_execz .LBB1069_180
; %bb.174:
	s_mov_b64 s[40:41], 1
	s_mov_b64 s[36:37], 0
                                        ; implicit-def: $sgpr38_sgpr39
	s_branch .LBB1069_177
.LBB1069_175:                           ;   in Loop: Header=BB1069_177 Depth=1
	v_mov_b32_e32 v25, s41
	v_add_co_u32_e32 v16, vcc, s40, v12
	v_addc_co_u32_e32 v17, vcc, v13, v25, vcc
	v_add_co_u32_e32 v26, vcc, s40, v14
	v_addc_co_u32_e32 v27, vcc, v15, v25, vcc
	global_load_ubyte v25, v[16:17], off
	global_load_ubyte v28, v[26:27], off
	s_waitcnt vmcnt(1)
	v_cmp_ne_u16_e32 vcc, 0, v25
	s_waitcnt vmcnt(0)
	v_cmp_ne_u16_e64 s[0:1], 0, v28
	s_xor_b64 s[42:43], vcc, s[0:1]
	s_add_u32 s0, s40, 1
	s_addc_u32 s1, s41, 0
	s_andn2_b64 s[38:39], s[38:39], exec
	s_and_b64 s[42:43], s[42:43], exec
	s_or_b64 s[38:39], s[38:39], s[42:43]
.LBB1069_176:                           ;   in Loop: Header=BB1069_177 Depth=1
	s_and_b64 s[42:43], exec, s[38:39]
	s_or_b64 s[36:37], s[42:43], s[36:37]
	v_pk_mov_b32 v[16:17], s[40:41], s[40:41] op_sel:[0,1]
	s_mov_b64 s[40:41], s[0:1]
	s_andn2_b64 exec, exec, s[36:37]
	s_cbranch_execz .LBB1069_179
.LBB1069_177:                           ; =>This Inner Loop Header: Depth=1
	s_or_b64 s[38:39], s[38:39], exec
	s_cmp_eq_u64 s[26:27], s[40:41]
	s_cbranch_scc0 .LBB1069_175
; %bb.178:                              ;   in Loop: Header=BB1069_177 Depth=1
                                        ; implicit-def: $sgpr0_sgpr1
	s_mov_b64 s[40:41], s[26:27]
	s_branch .LBB1069_176
.LBB1069_179:
	s_or_b64 exec, exec, s[36:37]
	v_cmp_gt_i64_e32 vcc, s[26:27], v[16:17]
	s_orn2_b64 s[0:1], vcc, exec
.LBB1069_180:
	s_or_b64 exec, exec, s[14:15]
	s_and_b64 s[14:15], s[0:1], exec
.LBB1069_181:
	s_or_b64 exec, exec, s[18:19]
	v_cmp_gt_u32_e32 vcc, s7, v20
	s_mov_b64 s[40:41], -1
	s_and_b64 s[0:1], vcc, s[2:3]
	s_mov_b64 s[18:19], 0
	v_mul_lo_u32 v25, v8, s27
	v_mul_lo_u32 v26, v9, s26
	s_mov_b64 s[36:37], 0
	s_and_saveexec_b64 s[38:39], s[0:1]
	s_cbranch_execz .LBB1069_190
; %bb.182:
	v_pk_mov_b32 v[14:15], s[28:29], s[28:29] op_sel:[0,1]
	v_mad_u64_u32 v[12:13], s[0:1], v8, s26, v[14:15]
	v_add3_u32 v13, v26, v13, v25
	v_mad_u64_u32 v[14:15], s[0:1], v2, s26, v[14:15]
	v_add3_u32 v15, v19, v15, v18
	global_load_ubyte v16, v[12:13], off
	global_load_ubyte v17, v[14:15], off
	s_waitcnt vmcnt(1)
	v_cmp_ne_u16_e32 vcc, 0, v16
	s_waitcnt vmcnt(0)
	v_cmp_ne_u16_e64 s[0:1], 0, v17
	s_xor_b64 s[0:1], vcc, s[0:1]
	s_xor_b64 s[0:1], s[0:1], -1
	s_and_saveexec_b64 s[36:37], s[0:1]
	s_cbranch_execz .LBB1069_189
; %bb.183:
	s_mov_b64 s[44:45], 1
	s_mov_b64 s[40:41], 0
                                        ; implicit-def: $sgpr42_sgpr43
	s_branch .LBB1069_186
.LBB1069_184:                           ;   in Loop: Header=BB1069_186 Depth=1
	v_mov_b32_e32 v19, s45
	v_add_co_u32_e32 v16, vcc, s44, v12
	v_addc_co_u32_e32 v17, vcc, v13, v19, vcc
	v_add_co_u32_e32 v18, vcc, s44, v14
	v_addc_co_u32_e32 v19, vcc, v15, v19, vcc
	global_load_ubyte v27, v[16:17], off
	global_load_ubyte v28, v[18:19], off
	s_waitcnt vmcnt(1)
	v_cmp_ne_u16_e32 vcc, 0, v27
	s_waitcnt vmcnt(0)
	v_cmp_ne_u16_e64 s[0:1], 0, v28
	s_xor_b64 s[46:47], vcc, s[0:1]
	s_add_u32 s0, s44, 1
	s_addc_u32 s1, s45, 0
	s_andn2_b64 s[42:43], s[42:43], exec
	s_and_b64 s[46:47], s[46:47], exec
	s_or_b64 s[42:43], s[42:43], s[46:47]
.LBB1069_185:                           ;   in Loop: Header=BB1069_186 Depth=1
	s_and_b64 s[46:47], exec, s[42:43]
	s_or_b64 s[40:41], s[46:47], s[40:41]
	v_pk_mov_b32 v[16:17], s[44:45], s[44:45] op_sel:[0,1]
	s_mov_b64 s[44:45], s[0:1]
	s_andn2_b64 exec, exec, s[40:41]
	s_cbranch_execz .LBB1069_188
.LBB1069_186:                           ; =>This Inner Loop Header: Depth=1
	s_or_b64 s[42:43], s[42:43], exec
	s_cmp_eq_u64 s[26:27], s[44:45]
	s_cbranch_scc0 .LBB1069_184
; %bb.187:                              ;   in Loop: Header=BB1069_186 Depth=1
                                        ; implicit-def: $sgpr0_sgpr1
	s_mov_b64 s[44:45], s[26:27]
	s_branch .LBB1069_185
.LBB1069_188:
	s_or_b64 exec, exec, s[40:41]
	v_cmp_gt_i64_e32 vcc, s[26:27], v[16:17]
	s_orn2_b64 s[40:41], vcc, exec
.LBB1069_189:
	s_or_b64 exec, exec, s[36:37]
	s_and_b64 s[36:37], s[40:41], exec
.LBB1069_190:
	s_or_b64 exec, exec, s[38:39]
	v_cmp_gt_u32_e32 vcc, s7, v22
	s_and_b64 s[0:1], vcc, s[2:3]
	s_and_saveexec_b64 s[38:39], s[0:1]
	s_cbranch_execz .LBB1069_199
; %bb.191:
	v_pk_mov_b32 v[14:15], s[28:29], s[28:29] op_sel:[0,1]
	v_mad_u64_u32 v[12:13], s[0:1], v6, s26, v[14:15]
	v_mul_lo_u32 v16, v6, s27
	v_mul_lo_u32 v17, v7, s26
	v_add3_u32 v13, v17, v13, v16
	v_mad_u64_u32 v[14:15], s[0:1], v8, s26, v[14:15]
	v_add3_u32 v15, v26, v15, v25
	global_load_ubyte v16, v[12:13], off
	global_load_ubyte v17, v[14:15], off
	s_waitcnt vmcnt(1)
	v_cmp_ne_u16_e32 vcc, 0, v16
	s_waitcnt vmcnt(0)
	v_cmp_ne_u16_e64 s[0:1], 0, v17
	s_xor_b64 s[18:19], vcc, s[0:1]
	s_mov_b64 s[0:1], -1
	s_xor_b64 s[40:41], s[18:19], -1
	s_and_saveexec_b64 s[18:19], s[40:41]
	s_cbranch_execz .LBB1069_198
; %bb.192:
	s_mov_b64 s[44:45], 1
	s_mov_b64 s[40:41], 0
                                        ; implicit-def: $sgpr42_sgpr43
	s_branch .LBB1069_195
.LBB1069_193:                           ;   in Loop: Header=BB1069_195 Depth=1
	v_mov_b32_e32 v19, s45
	v_add_co_u32_e32 v16, vcc, s44, v12
	v_addc_co_u32_e32 v17, vcc, v13, v19, vcc
	v_add_co_u32_e32 v18, vcc, s44, v14
	v_addc_co_u32_e32 v19, vcc, v15, v19, vcc
	global_load_ubyte v25, v[16:17], off
	global_load_ubyte v26, v[18:19], off
	s_waitcnt vmcnt(1)
	v_cmp_ne_u16_e32 vcc, 0, v25
	s_waitcnt vmcnt(0)
	v_cmp_ne_u16_e64 s[0:1], 0, v26
	s_xor_b64 s[46:47], vcc, s[0:1]
	s_add_u32 s0, s44, 1
	s_addc_u32 s1, s45, 0
	s_andn2_b64 s[42:43], s[42:43], exec
	s_and_b64 s[46:47], s[46:47], exec
	s_or_b64 s[42:43], s[42:43], s[46:47]
.LBB1069_194:                           ;   in Loop: Header=BB1069_195 Depth=1
	s_and_b64 s[46:47], exec, s[42:43]
	s_or_b64 s[40:41], s[46:47], s[40:41]
	v_pk_mov_b32 v[16:17], s[44:45], s[44:45] op_sel:[0,1]
	s_mov_b64 s[44:45], s[0:1]
	s_andn2_b64 exec, exec, s[40:41]
	s_cbranch_execz .LBB1069_197
.LBB1069_195:                           ; =>This Inner Loop Header: Depth=1
	s_or_b64 s[42:43], s[42:43], exec
	s_cmp_eq_u64 s[26:27], s[44:45]
	s_cbranch_scc0 .LBB1069_193
; %bb.196:                              ;   in Loop: Header=BB1069_195 Depth=1
                                        ; implicit-def: $sgpr0_sgpr1
	s_mov_b64 s[44:45], s[26:27]
	s_branch .LBB1069_194
.LBB1069_197:
	s_or_b64 exec, exec, s[40:41]
	v_cmp_gt_i64_e32 vcc, s[26:27], v[16:17]
	s_orn2_b64 s[0:1], vcc, exec
.LBB1069_198:
	s_or_b64 exec, exec, s[18:19]
	s_and_b64 s[18:19], s[0:1], exec
.LBB1069_199:
	s_or_b64 exec, exec, s[38:39]
	v_cndmask_b32_e64 v13, 0, 1, s[14:15]
	v_cndmask_b32_e64 v14, 0, 1, s[18:19]
	;; [unrolled: 1-line block ×3, first 2 shown]
	v_lshlrev_b16_e32 v14, 8, v14
	v_lshlrev_b16_e32 v13, 8, v13
	v_or_b32_e32 v14, 1, v14
	v_or_b32_sdwa v12, v12, v13 dst_sel:WORD_1 dst_unused:UNUSED_PAD src0_sel:DWORD src1_sel:DWORD
	v_or_b32_sdwa v12, v14, v12 dst_sel:DWORD dst_unused:UNUSED_PAD src0_sel:WORD_0 src1_sel:DWORD
	v_cndmask_b32_e64 v13, 0, 1, s[8:9]
	v_cmp_ne_u32_e32 vcc, 0, v0
	s_waitcnt lgkmcnt(0)
	s_barrier
	s_waitcnt lgkmcnt(0)
                                        ; implicit-def: $sgpr8_sgpr9
                                        ; implicit-def: $vgpr14
	s_and_saveexec_b64 s[14:15], vcc
	s_cbranch_execz .LBB1069_210
; %bb.200:
	v_cmp_gt_u32_e32 vcc, s7, v1
	s_mov_b64 s[18:19], -1
	s_and_b64 s[8:9], vcc, s[2:3]
	s_mov_b32 s33, 0x3020104
	s_mov_b64 s[0:1], 0
	s_and_saveexec_b64 s[2:3], s[8:9]
	s_cbranch_execz .LBB1069_209
; %bb.201:
	v_add_u32_e32 v14, -8, v24
	ds_read_b64 v[14:15], v14
	v_pk_mov_b32 v[16:17], s[28:29], s[28:29] op_sel:[0,1]
	s_waitcnt lgkmcnt(0)
	v_mul_lo_u32 v18, v14, s27
	v_mul_lo_u32 v19, v15, s26
	v_mad_u64_u32 v[14:15], s[0:1], v14, s26, v[16:17]
	v_add3_u32 v15, v19, v15, v18
	v_mad_u64_u32 v[16:17], s[0:1], v6, s26, v[16:17]
	v_mul_lo_u32 v18, v6, s27
	v_mul_lo_u32 v19, v7, s26
	v_add3_u32 v17, v19, v17, v18
	global_load_ubyte v18, v[14:15], off
	global_load_ubyte v19, v[16:17], off
	s_waitcnt vmcnt(1)
	v_cmp_ne_u16_e32 vcc, 0, v18
	s_waitcnt vmcnt(0)
	v_cmp_ne_u16_e64 s[0:1], 0, v19
	s_xor_b64 s[0:1], vcc, s[0:1]
	s_xor_b64 s[0:1], s[0:1], -1
	s_and_saveexec_b64 s[8:9], s[0:1]
	s_cbranch_execz .LBB1069_208
; %bb.202:
	s_mov_b64 s[36:37], 1
	s_mov_b64 s[18:19], 0
                                        ; implicit-def: $sgpr28_sgpr29
	s_branch .LBB1069_205
.LBB1069_203:                           ;   in Loop: Header=BB1069_205 Depth=1
	v_mov_b32_e32 v25, s37
	v_add_co_u32_e32 v18, vcc, s36, v14
	v_addc_co_u32_e32 v19, vcc, v15, v25, vcc
	v_add_co_u32_e32 v24, vcc, s36, v16
	v_addc_co_u32_e32 v25, vcc, v17, v25, vcc
	global_load_ubyte v26, v[18:19], off
	global_load_ubyte v27, v[24:25], off
	s_waitcnt vmcnt(1)
	v_cmp_ne_u16_e32 vcc, 0, v26
	s_waitcnt vmcnt(0)
	v_cmp_ne_u16_e64 s[0:1], 0, v27
	s_xor_b64 s[38:39], vcc, s[0:1]
	s_add_u32 s0, s36, 1
	s_addc_u32 s1, s37, 0
	s_andn2_b64 s[28:29], s[28:29], exec
	s_and_b64 s[38:39], s[38:39], exec
	s_or_b64 s[28:29], s[28:29], s[38:39]
.LBB1069_204:                           ;   in Loop: Header=BB1069_205 Depth=1
	s_and_b64 s[38:39], exec, s[28:29]
	s_or_b64 s[18:19], s[38:39], s[18:19]
	v_pk_mov_b32 v[18:19], s[36:37], s[36:37] op_sel:[0,1]
	s_mov_b64 s[36:37], s[0:1]
	s_andn2_b64 exec, exec, s[18:19]
	s_cbranch_execz .LBB1069_207
.LBB1069_205:                           ; =>This Inner Loop Header: Depth=1
	s_or_b64 s[28:29], s[28:29], exec
	s_cmp_eq_u64 s[26:27], s[36:37]
	s_cbranch_scc0 .LBB1069_203
; %bb.206:                              ;   in Loop: Header=BB1069_205 Depth=1
                                        ; implicit-def: $sgpr0_sgpr1
	s_mov_b64 s[36:37], s[26:27]
	s_branch .LBB1069_204
.LBB1069_207:
	s_or_b64 exec, exec, s[18:19]
	v_cmp_gt_i64_e32 vcc, s[26:27], v[18:19]
	s_orn2_b64 s[18:19], vcc, exec
.LBB1069_208:
	s_or_b64 exec, exec, s[8:9]
	s_and_b64 s[0:1], s[18:19], exec
.LBB1069_209:
	s_or_b64 exec, exec, s[2:3]
	v_perm_b32 v14, v12, v12, s33
	s_and_b64 s[8:9], s[0:1], exec
	s_or_b64 s[12:13], s[12:13], exec
.LBB1069_210:
	s_or_b64 exec, exec, s[14:15]
.LBB1069_211:
	s_and_saveexec_b64 s[0:1], s[12:13]
	s_cbranch_execz .LBB1069_213
; %bb.212:
	v_lshrrev_b32_e32 v15, 24, v14
	s_movk_i32 s2, 0xff
	v_lshlrev_b16_e32 v15, 8, v15
	v_and_b32_sdwa v16, v14, s2 dst_sel:DWORD dst_unused:UNUSED_PAD src0_sel:WORD_1 src1_sel:DWORD
	v_or_b32_sdwa v15, v16, v15 dst_sel:WORD_1 dst_unused:UNUSED_PAD src0_sel:DWORD src1_sel:DWORD
	v_mov_b32_e32 v16, 8
	v_cndmask_b32_e64 v12, 0, 1, s[8:9]
	v_lshrrev_b32_sdwa v14, v16, v14 dst_sel:BYTE_1 dst_unused:UNUSED_PAD src0_sel:DWORD src1_sel:DWORD
	v_or_b32_e32 v12, v12, v14
	s_mov_b32 s2, 0xffff
	v_or_b32_sdwa v12, v12, v15 dst_sel:DWORD dst_unused:UNUSED_PAD src0_sel:WORD_0 src1_sel:DWORD
	v_and_b32_sdwa v13, s2, v13 dst_sel:DWORD dst_unused:UNUSED_PAD src0_sel:DWORD src1_sel:BYTE_0
.LBB1069_213:
	s_or_b64 exec, exec, s[0:1]
	s_andn2_b64 vcc, exec, s[10:11]
	s_cbranch_vccnz .LBB1069_215
; %bb.214:
	v_cmp_gt_u32_e32 vcc, s7, v1
	v_cndmask_b32_e32 v1, 0, v12, vcc
	v_and_b32_e32 v1, 0xffff00ff, v1
	v_cmp_gt_u32_e64 s[0:1], s7, v22
	v_cndmask_b32_e64 v1, v1, v12, s[0:1]
	v_lshrrev_b32_e32 v14, 24, v1
	s_mov_b32 s2, 0x40c0100
	v_perm_b32 v1, v14, v1, s2
	v_cmp_gt_u32_e64 s[2:3], s7, v20
	v_cmp_gt_u32_e64 s[8:9], s7, v23
	v_cndmask_b32_e64 v1, v1, v12, s[2:3]
	s_or_b64 s[2:3], s[8:9], s[2:3]
	s_or_b64 s[0:1], s[2:3], s[0:1]
	s_or_b64 vcc, s[0:1], vcc
	v_and_b32_e32 v1, 0xffffff, v1
	v_cndmask_b32_e32 v14, 0, v13, vcc
	v_cndmask_b32_e64 v1, v1, v12, s[8:9]
	v_and_b32_e32 v14, 0xffffff00, v14
	v_cmp_gt_u32_e32 vcc, s7, v21
	v_cndmask_b32_e32 v1, v1, v12, vcc
	v_cndmask_b32_e32 v12, v14, v13, vcc
	s_mov_b32 s0, 0x3020104
	v_and_b32_e32 v13, 0xff, v12
	v_perm_b32 v12, v1, v1, s0
.LBB1069_215:
	v_and_b32_e32 v1, 0xff, v12
	v_bfe_u32 v25, v12, 8, 8
	v_bfe_u32 v27, v12, 16, 8
	v_alignbit_b32 v14, v13, v12, 24
	v_and_b32_e32 v28, 0xff, v14
	v_and_b32_e32 v14, 0xff, v13
	v_add3_u32 v15, v25, v1, v27
	v_add3_u32 v31, v15, v28, v14
	v_mbcnt_lo_u32_b32 v14, -1, 0
	v_mbcnt_hi_u32_b32 v29, -1, v14
	v_and_b32_e32 v14, 15, v29
	v_cmp_eq_u32_e64 s[14:15], 0, v14
	v_cmp_lt_u32_e64 s[12:13], 1, v14
	v_cmp_lt_u32_e64 s[10:11], 3, v14
	;; [unrolled: 1-line block ×3, first 2 shown]
	v_and_b32_e32 v14, 16, v29
	v_cmp_eq_u32_e64 s[18:19], 0, v14
	v_or_b32_e32 v14, 63, v0
	v_cmp_lt_u32_e64 s[0:1], 31, v29
	v_lshrrev_b32_e32 v30, 6, v0
	v_cmp_eq_u32_e64 s[2:3], v14, v0
	s_and_b64 vcc, exec, s[16:17]
	s_waitcnt lgkmcnt(0)
	s_barrier
	s_cbranch_vccz .LBB1069_246
; %bb.216:
	v_mov_b32_dpp v14, v31 row_shr:1 row_mask:0xf bank_mask:0xf
	v_cndmask_b32_e64 v14, v14, 0, s[14:15]
	v_add_u32_e32 v14, v14, v31
	s_nop 1
	v_mov_b32_dpp v15, v14 row_shr:2 row_mask:0xf bank_mask:0xf
	v_cndmask_b32_e64 v15, 0, v15, s[12:13]
	v_add_u32_e32 v14, v14, v15
	s_nop 1
	;; [unrolled: 4-line block ×4, first 2 shown]
	v_mov_b32_dpp v15, v14 row_bcast:15 row_mask:0xf bank_mask:0xf
	v_cndmask_b32_e64 v15, v15, 0, s[18:19]
	v_add_u32_e32 v14, v14, v15
	s_nop 1
	v_mov_b32_dpp v15, v14 row_bcast:31 row_mask:0xf bank_mask:0xf
	v_cndmask_b32_e64 v15, 0, v15, s[0:1]
	v_add_u32_e32 v14, v14, v15
	s_and_saveexec_b64 s[16:17], s[2:3]
	s_cbranch_execz .LBB1069_218
; %bb.217:
	v_lshlrev_b32_e32 v15, 2, v30
	ds_write_b32 v15, v14
.LBB1069_218:
	s_or_b64 exec, exec, s[16:17]
	v_cmp_gt_u32_e32 vcc, 4, v0
	s_waitcnt lgkmcnt(0)
	s_barrier
	s_and_saveexec_b64 s[16:17], vcc
	s_cbranch_execz .LBB1069_220
; %bb.219:
	v_lshlrev_b32_e32 v15, 2, v0
	ds_read_b32 v16, v15
	v_and_b32_e32 v17, 3, v29
	v_cmp_ne_u32_e32 vcc, 0, v17
	s_waitcnt lgkmcnt(0)
	v_mov_b32_dpp v18, v16 row_shr:1 row_mask:0xf bank_mask:0xf
	v_cndmask_b32_e32 v18, 0, v18, vcc
	v_add_u32_e32 v16, v18, v16
	v_cmp_lt_u32_e32 vcc, 1, v17
	s_nop 0
	v_mov_b32_dpp v18, v16 row_shr:2 row_mask:0xf bank_mask:0xf
	v_cndmask_b32_e32 v17, 0, v18, vcc
	v_add_u32_e32 v16, v16, v17
	ds_write_b32 v15, v16
.LBB1069_220:
	s_or_b64 exec, exec, s[16:17]
	v_cmp_gt_u32_e32 vcc, 64, v0
	v_cmp_lt_u32_e64 s[16:17], 63, v0
	s_waitcnt lgkmcnt(0)
	s_barrier
	s_waitcnt lgkmcnt(0)
                                        ; implicit-def: $vgpr24
	s_and_saveexec_b64 s[26:27], s[16:17]
	s_cbranch_execz .LBB1069_222
; %bb.221:
	v_lshl_add_u32 v15, v30, 2, -4
	ds_read_b32 v24, v15
	s_waitcnt lgkmcnt(0)
	v_add_u32_e32 v14, v24, v14
.LBB1069_222:
	s_or_b64 exec, exec, s[26:27]
	v_add_u32_e32 v15, -1, v29
	v_and_b32_e32 v16, 64, v29
	v_cmp_lt_i32_e64 s[16:17], v15, v16
	v_cndmask_b32_e64 v15, v15, v29, s[16:17]
	v_lshlrev_b32_e32 v15, 2, v15
	ds_bpermute_b32 v26, v15, v14
	v_cmp_eq_u32_e64 s[16:17], 0, v29
	s_and_saveexec_b64 s[26:27], vcc
	s_cbranch_execz .LBB1069_245
; %bb.223:
	v_mov_b32_e32 v23, 0
	ds_read_b32 v14, v23 offset:12
	s_and_saveexec_b64 s[28:29], s[16:17]
	s_cbranch_execz .LBB1069_225
; %bb.224:
	s_add_i32 s36, s6, 64
	s_mov_b32 s37, 0
	s_lshl_b64 s[36:37], s[36:37], 3
	s_add_u32 s36, s30, s36
	v_mov_b32_e32 v15, 1
	s_addc_u32 s37, s31, s37
	s_waitcnt lgkmcnt(0)
	global_store_dwordx2 v23, v[14:15], s[36:37]
.LBB1069_225:
	s_or_b64 exec, exec, s[28:29]
	v_xad_u32 v16, v29, -1, s6
	v_add_u32_e32 v22, 64, v16
	v_lshlrev_b64 v[18:19], 3, v[22:23]
	v_mov_b32_e32 v15, s31
	v_add_co_u32_e32 v18, vcc, s30, v18
	v_addc_co_u32_e32 v19, vcc, v15, v19, vcc
	global_load_dwordx2 v[20:21], v[18:19], off glc
	s_waitcnt vmcnt(0)
	v_cmp_eq_u16_sdwa s[36:37], v21, v23 src0_sel:BYTE_0 src1_sel:DWORD
	s_and_saveexec_b64 s[28:29], s[36:37]
	s_cbranch_execz .LBB1069_231
; %bb.226:
	s_mov_b32 s7, 1
	s_mov_b64 s[36:37], 0
	v_mov_b32_e32 v15, 0
.LBB1069_227:                           ; =>This Loop Header: Depth=1
                                        ;     Child Loop BB1069_228 Depth 2
	s_max_u32 s33, s7, 1
.LBB1069_228:                           ;   Parent Loop BB1069_227 Depth=1
                                        ; =>  This Inner Loop Header: Depth=2
	s_add_i32 s33, s33, -1
	s_cmp_eq_u32 s33, 0
	s_sleep 1
	s_cbranch_scc0 .LBB1069_228
; %bb.229:                              ;   in Loop: Header=BB1069_227 Depth=1
	global_load_dwordx2 v[20:21], v[18:19], off glc
	s_cmp_lt_u32 s7, 32
	s_cselect_b64 s[38:39], -1, 0
	s_cmp_lg_u64 s[38:39], 0
	s_addc_u32 s7, s7, 0
	s_waitcnt vmcnt(0)
	v_cmp_ne_u16_sdwa s[38:39], v21, v15 src0_sel:BYTE_0 src1_sel:DWORD
	s_or_b64 s[36:37], s[38:39], s[36:37]
	s_andn2_b64 exec, exec, s[36:37]
	s_cbranch_execnz .LBB1069_227
; %bb.230:
	s_or_b64 exec, exec, s[36:37]
.LBB1069_231:
	s_or_b64 exec, exec, s[28:29]
	v_and_b32_e32 v32, 63, v29
	v_mov_b32_e32 v15, 2
	v_cmp_ne_u32_e32 vcc, 63, v32
	v_cmp_eq_u16_sdwa s[28:29], v21, v15 src0_sel:BYTE_0 src1_sel:DWORD
	v_lshlrev_b64 v[18:19], v29, -1
	v_addc_co_u32_e32 v23, vcc, 0, v29, vcc
	v_and_b32_e32 v17, s29, v19
	v_lshlrev_b32_e32 v33, 2, v23
	v_or_b32_e32 v17, 0x80000000, v17
	ds_bpermute_b32 v23, v33, v20
	v_and_b32_e32 v22, s28, v18
	v_ffbl_b32_e32 v17, v17
	v_add_u32_e32 v17, 32, v17
	v_ffbl_b32_e32 v22, v22
	v_min_u32_e32 v17, v22, v17
	v_cmp_lt_u32_e32 vcc, v32, v17
	s_waitcnt lgkmcnt(0)
	v_cndmask_b32_e32 v22, 0, v23, vcc
	v_cmp_gt_u32_e32 vcc, 62, v32
	v_add_u32_e32 v20, v22, v20
	v_cndmask_b32_e64 v22, 0, 1, vcc
	v_lshlrev_b32_e32 v22, 1, v22
	v_add_lshl_u32 v34, v22, v29, 2
	ds_bpermute_b32 v22, v34, v20
	v_add_u32_e32 v35, 2, v32
	v_cmp_le_u32_e32 vcc, v35, v17
	v_add_u32_e32 v37, 4, v32
	v_add_u32_e32 v39, 8, v32
	s_waitcnt lgkmcnt(0)
	v_cndmask_b32_e32 v22, 0, v22, vcc
	v_cmp_gt_u32_e32 vcc, 60, v32
	v_add_u32_e32 v20, v20, v22
	v_cndmask_b32_e64 v22, 0, 1, vcc
	v_lshlrev_b32_e32 v22, 2, v22
	v_add_lshl_u32 v36, v22, v29, 2
	ds_bpermute_b32 v22, v36, v20
	v_cmp_le_u32_e32 vcc, v37, v17
	v_add_u32_e32 v42, 16, v32
	v_add_u32_e32 v44, 32, v32
	s_waitcnt lgkmcnt(0)
	v_cndmask_b32_e32 v22, 0, v22, vcc
	v_cmp_gt_u32_e32 vcc, 56, v32
	v_add_u32_e32 v20, v20, v22
	v_cndmask_b32_e64 v22, 0, 1, vcc
	v_lshlrev_b32_e32 v22, 3, v22
	v_add_lshl_u32 v38, v22, v29, 2
	ds_bpermute_b32 v22, v38, v20
	v_cmp_le_u32_e32 vcc, v39, v17
	s_waitcnt lgkmcnt(0)
	v_cndmask_b32_e32 v22, 0, v22, vcc
	v_cmp_gt_u32_e32 vcc, 48, v32
	v_add_u32_e32 v20, v20, v22
	v_cndmask_b32_e64 v22, 0, 1, vcc
	v_lshlrev_b32_e32 v22, 4, v22
	v_add_lshl_u32 v41, v22, v29, 2
	ds_bpermute_b32 v22, v41, v20
	v_cmp_le_u32_e32 vcc, v42, v17
	;; [unrolled: 9-line block ×3, first 2 shown]
	s_waitcnt lgkmcnt(0)
	v_cndmask_b32_e32 v17, 0, v22, vcc
	v_add_u32_e32 v20, v20, v17
	v_mov_b32_e32 v17, 0
	s_branch .LBB1069_233
.LBB1069_232:                           ;   in Loop: Header=BB1069_233 Depth=1
	s_or_b64 exec, exec, s[28:29]
	v_cmp_eq_u16_sdwa s[28:29], v21, v15 src0_sel:BYTE_0 src1_sel:DWORD
	v_and_b32_e32 v22, s29, v19
	v_or_b32_e32 v22, 0x80000000, v22
	ds_bpermute_b32 v45, v33, v20
	v_and_b32_e32 v23, s28, v18
	v_ffbl_b32_e32 v22, v22
	v_add_u32_e32 v22, 32, v22
	v_ffbl_b32_e32 v23, v23
	v_min_u32_e32 v22, v23, v22
	v_cmp_lt_u32_e32 vcc, v32, v22
	s_waitcnt lgkmcnt(0)
	v_cndmask_b32_e32 v23, 0, v45, vcc
	v_add_u32_e32 v20, v23, v20
	ds_bpermute_b32 v23, v34, v20
	v_cmp_le_u32_e32 vcc, v35, v22
	v_subrev_u32_e32 v16, 64, v16
	s_waitcnt lgkmcnt(0)
	v_cndmask_b32_e32 v23, 0, v23, vcc
	v_add_u32_e32 v20, v20, v23
	ds_bpermute_b32 v23, v36, v20
	v_cmp_le_u32_e32 vcc, v37, v22
	s_waitcnt lgkmcnt(0)
	v_cndmask_b32_e32 v23, 0, v23, vcc
	v_add_u32_e32 v20, v20, v23
	ds_bpermute_b32 v23, v38, v20
	v_cmp_le_u32_e32 vcc, v39, v22
	;; [unrolled: 5-line block ×4, first 2 shown]
	s_waitcnt lgkmcnt(0)
	v_cndmask_b32_e32 v22, 0, v23, vcc
	v_add3_u32 v20, v22, v40, v20
.LBB1069_233:                           ; =>This Loop Header: Depth=1
                                        ;     Child Loop BB1069_236 Depth 2
                                        ;       Child Loop BB1069_237 Depth 3
	v_cmp_ne_u16_sdwa s[28:29], v21, v15 src0_sel:BYTE_0 src1_sel:DWORD
	v_cndmask_b32_e64 v21, 0, 1, s[28:29]
	;;#ASMSTART
	;;#ASMEND
	v_cmp_ne_u32_e32 vcc, 0, v21
	s_cmp_lg_u64 vcc, exec
	v_mov_b32_e32 v40, v20
	s_cbranch_scc1 .LBB1069_240
; %bb.234:                              ;   in Loop: Header=BB1069_233 Depth=1
	v_lshlrev_b64 v[20:21], 3, v[16:17]
	v_mov_b32_e32 v23, s31
	v_add_co_u32_e32 v22, vcc, s30, v20
	v_addc_co_u32_e32 v23, vcc, v23, v21, vcc
	global_load_dwordx2 v[20:21], v[22:23], off glc
	s_waitcnt vmcnt(0)
	v_cmp_eq_u16_sdwa s[36:37], v21, v17 src0_sel:BYTE_0 src1_sel:DWORD
	s_and_saveexec_b64 s[28:29], s[36:37]
	s_cbranch_execz .LBB1069_232
; %bb.235:                              ;   in Loop: Header=BB1069_233 Depth=1
	s_mov_b32 s7, 1
	s_mov_b64 s[36:37], 0
.LBB1069_236:                           ;   Parent Loop BB1069_233 Depth=1
                                        ; =>  This Loop Header: Depth=2
                                        ;       Child Loop BB1069_237 Depth 3
	s_max_u32 s33, s7, 1
.LBB1069_237:                           ;   Parent Loop BB1069_233 Depth=1
                                        ;     Parent Loop BB1069_236 Depth=2
                                        ; =>    This Inner Loop Header: Depth=3
	s_add_i32 s33, s33, -1
	s_cmp_eq_u32 s33, 0
	s_sleep 1
	s_cbranch_scc0 .LBB1069_237
; %bb.238:                              ;   in Loop: Header=BB1069_236 Depth=2
	global_load_dwordx2 v[20:21], v[22:23], off glc
	s_cmp_lt_u32 s7, 32
	s_cselect_b64 s[38:39], -1, 0
	s_cmp_lg_u64 s[38:39], 0
	s_addc_u32 s7, s7, 0
	s_waitcnt vmcnt(0)
	v_cmp_ne_u16_sdwa s[38:39], v21, v17 src0_sel:BYTE_0 src1_sel:DWORD
	s_or_b64 s[36:37], s[38:39], s[36:37]
	s_andn2_b64 exec, exec, s[36:37]
	s_cbranch_execnz .LBB1069_236
; %bb.239:                              ;   in Loop: Header=BB1069_233 Depth=1
	s_or_b64 exec, exec, s[36:37]
	s_branch .LBB1069_232
.LBB1069_240:                           ;   in Loop: Header=BB1069_233 Depth=1
                                        ; implicit-def: $vgpr20
                                        ; implicit-def: $vgpr21
	s_cbranch_execz .LBB1069_233
; %bb.241:
	s_and_saveexec_b64 s[28:29], s[16:17]
	s_cbranch_execz .LBB1069_243
; %bb.242:
	s_add_i32 s6, s6, 64
	s_mov_b32 s7, 0
	s_lshl_b64 s[6:7], s[6:7], 3
	s_add_u32 s6, s30, s6
	v_add_u32_e32 v16, v40, v14
	v_mov_b32_e32 v17, 2
	s_addc_u32 s7, s31, s7
	v_mov_b32_e32 v15, 0
	global_store_dwordx2 v15, v[16:17], s[6:7]
	s_movk_i32 s6, 0x2800
	v_add_u32_e64 v15, s6, 0
	ds_write2_b32 v15, v14, v40 offset1:2
.LBB1069_243:
	s_or_b64 exec, exec, s[28:29]
	v_cmp_eq_u32_e32 vcc, 0, v0
	s_and_b64 exec, exec, vcc
	s_cbranch_execz .LBB1069_245
; %bb.244:
	v_mov_b32_e32 v14, 0
	ds_write_b32 v14, v40 offset:12
.LBB1069_245:
	s_or_b64 exec, exec, s[26:27]
	v_mov_b32_e32 v14, 0
	s_waitcnt lgkmcnt(0)
	s_barrier
	ds_read_b32 v14, v14 offset:12
	v_cndmask_b32_e64 v15, v26, v24, s[16:17]
	v_cmp_ne_u32_e32 vcc, 0, v0
	v_cndmask_b32_e32 v15, 0, v15, vcc
	s_movk_i32 s6, 0x2800
	s_waitcnt lgkmcnt(0)
	v_add_u32_e32 v26, v14, v15
	v_add_u32_e64 v14, s6, 0
	s_barrier
	ds_read2_b32 v[14:15], v14 offset1:2
	v_add_u32_e32 v24, v26, v1
	v_add_u32_e32 v22, v24, v25
	;; [unrolled: 1-line block ×4, first 2 shown]
	s_load_dwordx2 s[4:5], s[4:5], 0x28
	v_lshrrev_b64 v[16:17], 24, v[12:13]
	s_branch .LBB1069_256
.LBB1069_246:
                                        ; implicit-def: $vgpr18
                                        ; implicit-def: $vgpr20
                                        ; implicit-def: $vgpr22
                                        ; implicit-def: $vgpr24
                                        ; implicit-def: $vgpr26
                                        ; implicit-def: $vgpr15
	s_load_dwordx2 s[4:5], s[4:5], 0x28
	v_lshrrev_b64 v[16:17], 24, v[12:13]
	s_cbranch_execz .LBB1069_256
; %bb.247:
	s_waitcnt lgkmcnt(0)
	v_mov_b32_dpp v14, v31 row_shr:1 row_mask:0xf bank_mask:0xf
	v_cndmask_b32_e64 v14, v14, 0, s[14:15]
	v_add_u32_e32 v14, v14, v31
	s_nop 1
	v_mov_b32_dpp v15, v14 row_shr:2 row_mask:0xf bank_mask:0xf
	v_cndmask_b32_e64 v15, 0, v15, s[12:13]
	v_add_u32_e32 v14, v14, v15
	s_nop 1
	;; [unrolled: 4-line block ×4, first 2 shown]
	v_mov_b32_dpp v15, v14 row_bcast:15 row_mask:0xf bank_mask:0xf
	v_cndmask_b32_e64 v15, v15, 0, s[18:19]
	v_add_u32_e32 v14, v14, v15
	s_nop 1
	v_mov_b32_dpp v15, v14 row_bcast:31 row_mask:0xf bank_mask:0xf
	v_cndmask_b32_e64 v15, 0, v15, s[0:1]
	v_add_u32_e32 v14, v14, v15
	s_and_saveexec_b64 s[0:1], s[2:3]
	s_cbranch_execz .LBB1069_249
; %bb.248:
	v_lshlrev_b32_e32 v15, 2, v30
	ds_write_b32 v15, v14
.LBB1069_249:
	s_or_b64 exec, exec, s[0:1]
	v_cmp_gt_u32_e32 vcc, 4, v0
	s_waitcnt lgkmcnt(0)
	s_barrier
	s_and_saveexec_b64 s[0:1], vcc
	s_cbranch_execz .LBB1069_251
; %bb.250:
	v_lshlrev_b32_e32 v15, 2, v0
	ds_read_b32 v17, v15
	v_and_b32_e32 v18, 3, v29
	v_cmp_ne_u32_e32 vcc, 0, v18
	s_waitcnt lgkmcnt(0)
	v_mov_b32_dpp v19, v17 row_shr:1 row_mask:0xf bank_mask:0xf
	v_cndmask_b32_e32 v19, 0, v19, vcc
	v_add_u32_e32 v17, v19, v17
	v_cmp_lt_u32_e32 vcc, 1, v18
	s_nop 0
	v_mov_b32_dpp v19, v17 row_shr:2 row_mask:0xf bank_mask:0xf
	v_cndmask_b32_e32 v18, 0, v19, vcc
	v_add_u32_e32 v17, v17, v18
	ds_write_b32 v15, v17
.LBB1069_251:
	s_or_b64 exec, exec, s[0:1]
	v_cmp_lt_u32_e32 vcc, 63, v0
	v_mov_b32_e32 v15, 0
	v_mov_b32_e32 v17, 0
	s_waitcnt lgkmcnt(0)
	s_barrier
	s_and_saveexec_b64 s[0:1], vcc
	s_cbranch_execz .LBB1069_253
; %bb.252:
	v_lshl_add_u32 v17, v30, 2, -4
	ds_read_b32 v17, v17
.LBB1069_253:
	s_or_b64 exec, exec, s[0:1]
	v_add_u32_e32 v18, -1, v29
	v_and_b32_e32 v19, 64, v29
	v_cmp_lt_i32_e32 vcc, v18, v19
	v_cndmask_b32_e32 v18, v18, v29, vcc
	s_waitcnt lgkmcnt(0)
	v_add_u32_e32 v14, v17, v14
	v_lshlrev_b32_e32 v18, 2, v18
	ds_bpermute_b32 v18, v18, v14
	ds_read_b32 v14, v15 offset:12
	v_cmp_eq_u32_e32 vcc, 0, v0
	s_and_saveexec_b64 s[0:1], vcc
	s_cbranch_execz .LBB1069_255
; %bb.254:
	v_mov_b32_e32 v19, 0
	v_mov_b32_e32 v15, 2
	s_waitcnt lgkmcnt(0)
	global_store_dwordx2 v19, v[14:15], s[30:31] offset:512
.LBB1069_255:
	s_or_b64 exec, exec, s[0:1]
	v_cmp_eq_u32_e64 s[0:1], 0, v29
	s_waitcnt lgkmcnt(1)
	v_cndmask_b32_e64 v17, v18, v17, s[0:1]
	v_cndmask_b32_e64 v26, v17, 0, vcc
	v_add_u32_e32 v24, v26, v1
	v_add_u32_e32 v22, v24, v25
	;; [unrolled: 1-line block ×3, first 2 shown]
	v_mov_b32_e32 v15, 0
	v_add_u32_e32 v18, v20, v28
	s_waitcnt lgkmcnt(0)
	s_barrier
.LBB1069_256:
	s_movk_i32 s0, 0x101
	s_waitcnt lgkmcnt(0)
	v_cmp_gt_u32_e32 vcc, s0, v14
	v_lshrrev_b32_e32 v1, 8, v12
	s_mov_b64 s[0:1], -1
	s_cbranch_vccnz .LBB1069_260
; %bb.257:
	s_and_b64 vcc, exec, s[0:1]
	s_cbranch_vccnz .LBB1069_276
.LBB1069_258:
	v_cmp_eq_u32_e32 vcc, 0, v0
	s_and_b64 s[0:1], vcc, s[24:25]
	s_and_saveexec_b64 s[2:3], s[0:1]
	s_cbranch_execnz .LBB1069_290
.LBB1069_259:
	s_endpgm
.LBB1069_260:
	v_add_u32_e32 v17, v15, v14
	v_cmp_lt_u32_e32 vcc, v26, v17
	s_or_b64 s[2:3], s[34:35], vcc
	s_and_saveexec_b64 s[0:1], s[2:3]
	s_cbranch_execz .LBB1069_263
; %bb.261:
	v_and_b32_e32 v19, 1, v12
	v_cmp_eq_u32_e32 vcc, 1, v19
	s_and_b64 exec, exec, vcc
	s_cbranch_execz .LBB1069_263
; %bb.262:
	s_lshl_b64 s[2:3], s[22:23], 3
	s_add_u32 s2, s4, s2
	v_mov_b32_e32 v27, 0
	s_addc_u32 s3, s5, s3
	v_lshlrev_b64 v[28:29], 3, v[26:27]
	v_mov_b32_e32 v19, s3
	v_add_co_u32_e32 v28, vcc, s2, v28
	v_addc_co_u32_e32 v29, vcc, v19, v29, vcc
	global_store_dwordx2 v[28:29], v[6:7], off
.LBB1069_263:
	s_or_b64 exec, exec, s[0:1]
	v_cmp_lt_u32_e32 vcc, v24, v17
	s_or_b64 s[2:3], s[34:35], vcc
	s_and_saveexec_b64 s[0:1], s[2:3]
	s_cbranch_execz .LBB1069_266
; %bb.264:
	v_and_b32_e32 v19, 1, v1
	v_cmp_eq_u32_e32 vcc, 1, v19
	s_and_b64 exec, exec, vcc
	s_cbranch_execz .LBB1069_266
; %bb.265:
	s_lshl_b64 s[2:3], s[22:23], 3
	s_add_u32 s2, s4, s2
	v_mov_b32_e32 v25, 0
	s_addc_u32 s3, s5, s3
	v_lshlrev_b64 v[28:29], 3, v[24:25]
	v_mov_b32_e32 v19, s3
	v_add_co_u32_e32 v28, vcc, s2, v28
	v_addc_co_u32_e32 v29, vcc, v19, v29, vcc
	global_store_dwordx2 v[28:29], v[8:9], off
.LBB1069_266:
	s_or_b64 exec, exec, s[0:1]
	v_cmp_lt_u32_e32 vcc, v22, v17
	s_or_b64 s[2:3], s[34:35], vcc
	s_and_saveexec_b64 s[0:1], s[2:3]
	s_cbranch_execz .LBB1069_269
; %bb.267:
	v_mov_b32_e32 v19, 1
	v_and_b32_sdwa v19, v19, v12 dst_sel:DWORD dst_unused:UNUSED_PAD src0_sel:DWORD src1_sel:WORD_1
	v_cmp_eq_u32_e32 vcc, 1, v19
	s_and_b64 exec, exec, vcc
	s_cbranch_execz .LBB1069_269
; %bb.268:
	s_lshl_b64 s[2:3], s[22:23], 3
	s_add_u32 s2, s4, s2
	v_mov_b32_e32 v23, 0
	s_addc_u32 s3, s5, s3
	v_lshlrev_b64 v[28:29], 3, v[22:23]
	v_mov_b32_e32 v19, s3
	v_add_co_u32_e32 v28, vcc, s2, v28
	v_addc_co_u32_e32 v29, vcc, v19, v29, vcc
	global_store_dwordx2 v[28:29], v[2:3], off
.LBB1069_269:
	s_or_b64 exec, exec, s[0:1]
	v_cmp_lt_u32_e32 vcc, v20, v17
	s_or_b64 s[2:3], s[34:35], vcc
	s_and_saveexec_b64 s[0:1], s[2:3]
	s_cbranch_execz .LBB1069_272
; %bb.270:
	v_and_b32_e32 v19, 1, v16
	v_cmp_eq_u32_e32 vcc, 1, v19
	s_and_b64 exec, exec, vcc
	s_cbranch_execz .LBB1069_272
; %bb.271:
	s_lshl_b64 s[2:3], s[22:23], 3
	s_add_u32 s2, s4, s2
	v_mov_b32_e32 v21, 0
	s_addc_u32 s3, s5, s3
	v_lshlrev_b64 v[28:29], 3, v[20:21]
	v_mov_b32_e32 v19, s3
	v_add_co_u32_e32 v28, vcc, s2, v28
	v_addc_co_u32_e32 v29, vcc, v19, v29, vcc
	global_store_dwordx2 v[28:29], v[4:5], off
.LBB1069_272:
	s_or_b64 exec, exec, s[0:1]
	v_cmp_lt_u32_e32 vcc, v18, v17
	s_or_b64 s[2:3], s[34:35], vcc
	s_and_saveexec_b64 s[0:1], s[2:3]
	s_cbranch_execz .LBB1069_275
; %bb.273:
	v_and_b32_e32 v17, 1, v13
	v_cmp_eq_u32_e32 vcc, 1, v17
	s_and_b64 exec, exec, vcc
	s_cbranch_execz .LBB1069_275
; %bb.274:
	s_lshl_b64 s[2:3], s[22:23], 3
	s_add_u32 s2, s4, s2
	v_mov_b32_e32 v19, 0
	s_addc_u32 s3, s5, s3
	v_lshlrev_b64 v[28:29], 3, v[18:19]
	v_mov_b32_e32 v17, s3
	v_add_co_u32_e32 v28, vcc, s2, v28
	v_addc_co_u32_e32 v29, vcc, v17, v29, vcc
	global_store_dwordx2 v[28:29], v[10:11], off
.LBB1069_275:
	s_or_b64 exec, exec, s[0:1]
	s_branch .LBB1069_258
.LBB1069_276:
	v_and_b32_e32 v17, 1, v12
	v_cmp_eq_u32_e32 vcc, 1, v17
	s_and_saveexec_b64 s[0:1], vcc
	s_cbranch_execz .LBB1069_278
; %bb.277:
	v_sub_u32_e32 v17, v26, v15
	v_lshlrev_b32_e32 v17, 3, v17
	ds_write_b64 v17, v[6:7]
.LBB1069_278:
	s_or_b64 exec, exec, s[0:1]
	v_and_b32_e32 v1, 1, v1
	v_cmp_eq_u32_e32 vcc, 1, v1
	s_and_saveexec_b64 s[0:1], vcc
	s_cbranch_execz .LBB1069_280
; %bb.279:
	v_sub_u32_e32 v1, v24, v15
	v_lshlrev_b32_e32 v1, 3, v1
	ds_write_b64 v1, v[8:9]
.LBB1069_280:
	s_or_b64 exec, exec, s[0:1]
	v_mov_b32_e32 v1, 1
	v_and_b32_sdwa v1, v1, v12 dst_sel:DWORD dst_unused:UNUSED_PAD src0_sel:DWORD src1_sel:WORD_1
	v_cmp_eq_u32_e32 vcc, 1, v1
	s_and_saveexec_b64 s[0:1], vcc
	s_cbranch_execz .LBB1069_282
; %bb.281:
	v_sub_u32_e32 v1, v22, v15
	v_lshlrev_b32_e32 v1, 3, v1
	ds_write_b64 v1, v[2:3]
.LBB1069_282:
	s_or_b64 exec, exec, s[0:1]
	v_and_b32_e32 v1, 1, v16
	v_cmp_eq_u32_e32 vcc, 1, v1
	s_and_saveexec_b64 s[0:1], vcc
	s_cbranch_execz .LBB1069_284
; %bb.283:
	v_sub_u32_e32 v1, v20, v15
	v_lshlrev_b32_e32 v1, 3, v1
	ds_write_b64 v1, v[4:5]
.LBB1069_284:
	s_or_b64 exec, exec, s[0:1]
	v_and_b32_e32 v1, 1, v13
	v_cmp_eq_u32_e32 vcc, 1, v1
	s_and_saveexec_b64 s[0:1], vcc
	s_cbranch_execz .LBB1069_286
; %bb.285:
	v_sub_u32_e32 v1, v18, v15
	v_lshlrev_b32_e32 v1, 3, v1
	ds_write_b64 v1, v[10:11]
.LBB1069_286:
	s_or_b64 exec, exec, s[0:1]
	v_cmp_lt_u32_e32 vcc, v0, v14
	s_waitcnt lgkmcnt(0)
	s_barrier
	s_and_saveexec_b64 s[0:1], vcc
	s_cbranch_execz .LBB1069_289
; %bb.287:
	v_mov_b32_e32 v3, 0
	v_mov_b32_e32 v2, v15
	v_lshlrev_b64 v[4:5], 3, v[2:3]
	v_mov_b32_e32 v1, s5
	v_add_co_u32_e32 v2, vcc, s4, v4
	v_addc_co_u32_e32 v4, vcc, v1, v5, vcc
	s_lshl_b64 s[2:3], s[22:23], 3
	v_mov_b32_e32 v5, s3
	v_add_co_u32_e32 v1, vcc, s2, v2
	v_addc_co_u32_e32 v4, vcc, v4, v5, vcc
	v_lshlrev_b32_e32 v5, 3, v0
	s_mov_b64 s[2:3], 0
	v_mov_b32_e32 v2, v0
.LBB1069_288:                           ; =>This Inner Loop Header: Depth=1
	ds_read_b64 v[6:7], v5
	v_lshlrev_b64 v[8:9], 3, v[2:3]
	v_add_co_u32_e32 v8, vcc, v1, v8
	v_add_u32_e32 v2, 0x100, v2
	v_addc_co_u32_e32 v9, vcc, v4, v9, vcc
	v_cmp_ge_u32_e32 vcc, v2, v14
	v_add_u32_e32 v5, 0x800, v5
	s_or_b64 s[2:3], vcc, s[2:3]
	s_waitcnt lgkmcnt(0)
	global_store_dwordx2 v[8:9], v[6:7], off
	s_andn2_b64 exec, exec, s[2:3]
	s_cbranch_execnz .LBB1069_288
.LBB1069_289:
	s_or_b64 exec, exec, s[0:1]
	v_cmp_eq_u32_e32 vcc, 0, v0
	s_and_b64 s[0:1], vcc, s[24:25]
	s_and_saveexec_b64 s[2:3], s[0:1]
	s_cbranch_execz .LBB1069_259
.LBB1069_290:
	v_mov_b32_e32 v0, s23
	v_add_co_u32_e32 v1, vcc, s22, v14
	v_addc_co_u32_e32 v3, vcc, 0, v0, vcc
	v_add_co_u32_e32 v0, vcc, v1, v15
	v_mov_b32_e32 v2, 0
	v_addc_co_u32_e32 v1, vcc, 0, v3, vcc
	global_store_dwordx2 v2, v[0:1], s[20:21]
	s_endpgm
	.section	.rodata,"a",@progbits
	.p2align	6, 0x0
	.amdhsa_kernel _ZN7rocprim17ROCPRIM_400000_NS6detail17trampoline_kernelINS0_14default_configENS1_25partition_config_selectorILNS1_17partition_subalgoE8ElNS0_10empty_typeEbEEZZNS1_14partition_implILS5_8ELb0ES3_jPlPS6_PKS6_NS0_5tupleIJS9_S6_EEENSD_IJSA_SA_EEENS0_18inequality_wrapperIZN2at6native12_GLOBAL__N_124unique_dim_cuda_templateIbEESt5tupleIJNSH_6TensorESM_SM_EERKSM_lbbbEUlllE0_EEPmJS6_EEE10hipError_tPvRmT3_T4_T5_T6_T7_T9_mT8_P12ihipStream_tbDpT10_ENKUlT_T0_E_clISt17integral_constantIbLb1EES1B_IbLb0EEEEDaS17_S18_EUlS17_E_NS1_11comp_targetILNS1_3genE4ELNS1_11target_archE910ELNS1_3gpuE8ELNS1_3repE0EEENS1_30default_config_static_selectorELNS0_4arch9wavefront6targetE1EEEvT1_
		.amdhsa_group_segment_fixed_size 10252
		.amdhsa_private_segment_fixed_size 0
		.amdhsa_kernarg_size 120
		.amdhsa_user_sgpr_count 6
		.amdhsa_user_sgpr_private_segment_buffer 1
		.amdhsa_user_sgpr_dispatch_ptr 0
		.amdhsa_user_sgpr_queue_ptr 0
		.amdhsa_user_sgpr_kernarg_segment_ptr 1
		.amdhsa_user_sgpr_dispatch_id 0
		.amdhsa_user_sgpr_flat_scratch_init 0
		.amdhsa_user_sgpr_kernarg_preload_length 0
		.amdhsa_user_sgpr_kernarg_preload_offset 0
		.amdhsa_user_sgpr_private_segment_size 0
		.amdhsa_uses_dynamic_stack 0
		.amdhsa_system_sgpr_private_segment_wavefront_offset 0
		.amdhsa_system_sgpr_workgroup_id_x 1
		.amdhsa_system_sgpr_workgroup_id_y 0
		.amdhsa_system_sgpr_workgroup_id_z 0
		.amdhsa_system_sgpr_workgroup_info 0
		.amdhsa_system_vgpr_workitem_id 0
		.amdhsa_next_free_vgpr 46
		.amdhsa_next_free_sgpr 48
		.amdhsa_accum_offset 48
		.amdhsa_reserve_vcc 1
		.amdhsa_reserve_flat_scratch 0
		.amdhsa_float_round_mode_32 0
		.amdhsa_float_round_mode_16_64 0
		.amdhsa_float_denorm_mode_32 3
		.amdhsa_float_denorm_mode_16_64 3
		.amdhsa_dx10_clamp 1
		.amdhsa_ieee_mode 1
		.amdhsa_fp16_overflow 0
		.amdhsa_tg_split 0
		.amdhsa_exception_fp_ieee_invalid_op 0
		.amdhsa_exception_fp_denorm_src 0
		.amdhsa_exception_fp_ieee_div_zero 0
		.amdhsa_exception_fp_ieee_overflow 0
		.amdhsa_exception_fp_ieee_underflow 0
		.amdhsa_exception_fp_ieee_inexact 0
		.amdhsa_exception_int_div_zero 0
	.end_amdhsa_kernel
	.section	.text._ZN7rocprim17ROCPRIM_400000_NS6detail17trampoline_kernelINS0_14default_configENS1_25partition_config_selectorILNS1_17partition_subalgoE8ElNS0_10empty_typeEbEEZZNS1_14partition_implILS5_8ELb0ES3_jPlPS6_PKS6_NS0_5tupleIJS9_S6_EEENSD_IJSA_SA_EEENS0_18inequality_wrapperIZN2at6native12_GLOBAL__N_124unique_dim_cuda_templateIbEESt5tupleIJNSH_6TensorESM_SM_EERKSM_lbbbEUlllE0_EEPmJS6_EEE10hipError_tPvRmT3_T4_T5_T6_T7_T9_mT8_P12ihipStream_tbDpT10_ENKUlT_T0_E_clISt17integral_constantIbLb1EES1B_IbLb0EEEEDaS17_S18_EUlS17_E_NS1_11comp_targetILNS1_3genE4ELNS1_11target_archE910ELNS1_3gpuE8ELNS1_3repE0EEENS1_30default_config_static_selectorELNS0_4arch9wavefront6targetE1EEEvT1_,"axG",@progbits,_ZN7rocprim17ROCPRIM_400000_NS6detail17trampoline_kernelINS0_14default_configENS1_25partition_config_selectorILNS1_17partition_subalgoE8ElNS0_10empty_typeEbEEZZNS1_14partition_implILS5_8ELb0ES3_jPlPS6_PKS6_NS0_5tupleIJS9_S6_EEENSD_IJSA_SA_EEENS0_18inequality_wrapperIZN2at6native12_GLOBAL__N_124unique_dim_cuda_templateIbEESt5tupleIJNSH_6TensorESM_SM_EERKSM_lbbbEUlllE0_EEPmJS6_EEE10hipError_tPvRmT3_T4_T5_T6_T7_T9_mT8_P12ihipStream_tbDpT10_ENKUlT_T0_E_clISt17integral_constantIbLb1EES1B_IbLb0EEEEDaS17_S18_EUlS17_E_NS1_11comp_targetILNS1_3genE4ELNS1_11target_archE910ELNS1_3gpuE8ELNS1_3repE0EEENS1_30default_config_static_selectorELNS0_4arch9wavefront6targetE1EEEvT1_,comdat
.Lfunc_end1069:
	.size	_ZN7rocprim17ROCPRIM_400000_NS6detail17trampoline_kernelINS0_14default_configENS1_25partition_config_selectorILNS1_17partition_subalgoE8ElNS0_10empty_typeEbEEZZNS1_14partition_implILS5_8ELb0ES3_jPlPS6_PKS6_NS0_5tupleIJS9_S6_EEENSD_IJSA_SA_EEENS0_18inequality_wrapperIZN2at6native12_GLOBAL__N_124unique_dim_cuda_templateIbEESt5tupleIJNSH_6TensorESM_SM_EERKSM_lbbbEUlllE0_EEPmJS6_EEE10hipError_tPvRmT3_T4_T5_T6_T7_T9_mT8_P12ihipStream_tbDpT10_ENKUlT_T0_E_clISt17integral_constantIbLb1EES1B_IbLb0EEEEDaS17_S18_EUlS17_E_NS1_11comp_targetILNS1_3genE4ELNS1_11target_archE910ELNS1_3gpuE8ELNS1_3repE0EEENS1_30default_config_static_selectorELNS0_4arch9wavefront6targetE1EEEvT1_, .Lfunc_end1069-_ZN7rocprim17ROCPRIM_400000_NS6detail17trampoline_kernelINS0_14default_configENS1_25partition_config_selectorILNS1_17partition_subalgoE8ElNS0_10empty_typeEbEEZZNS1_14partition_implILS5_8ELb0ES3_jPlPS6_PKS6_NS0_5tupleIJS9_S6_EEENSD_IJSA_SA_EEENS0_18inequality_wrapperIZN2at6native12_GLOBAL__N_124unique_dim_cuda_templateIbEESt5tupleIJNSH_6TensorESM_SM_EERKSM_lbbbEUlllE0_EEPmJS6_EEE10hipError_tPvRmT3_T4_T5_T6_T7_T9_mT8_P12ihipStream_tbDpT10_ENKUlT_T0_E_clISt17integral_constantIbLb1EES1B_IbLb0EEEEDaS17_S18_EUlS17_E_NS1_11comp_targetILNS1_3genE4ELNS1_11target_archE910ELNS1_3gpuE8ELNS1_3repE0EEENS1_30default_config_static_selectorELNS0_4arch9wavefront6targetE1EEEvT1_
                                        ; -- End function
	.section	.AMDGPU.csdata,"",@progbits
; Kernel info:
; codeLenInByte = 10808
; NumSgprs: 52
; NumVgprs: 46
; NumAgprs: 0
; TotalNumVgprs: 46
; ScratchSize: 0
; MemoryBound: 0
; FloatMode: 240
; IeeeMode: 1
; LDSByteSize: 10252 bytes/workgroup (compile time only)
; SGPRBlocks: 6
; VGPRBlocks: 5
; NumSGPRsForWavesPerEU: 52
; NumVGPRsForWavesPerEU: 46
; AccumOffset: 48
; Occupancy: 6
; WaveLimiterHint : 1
; COMPUTE_PGM_RSRC2:SCRATCH_EN: 0
; COMPUTE_PGM_RSRC2:USER_SGPR: 6
; COMPUTE_PGM_RSRC2:TRAP_HANDLER: 0
; COMPUTE_PGM_RSRC2:TGID_X_EN: 1
; COMPUTE_PGM_RSRC2:TGID_Y_EN: 0
; COMPUTE_PGM_RSRC2:TGID_Z_EN: 0
; COMPUTE_PGM_RSRC2:TIDIG_COMP_CNT: 0
; COMPUTE_PGM_RSRC3_GFX90A:ACCUM_OFFSET: 11
; COMPUTE_PGM_RSRC3_GFX90A:TG_SPLIT: 0
	.section	.text._ZN7rocprim17ROCPRIM_400000_NS6detail17trampoline_kernelINS0_14default_configENS1_25partition_config_selectorILNS1_17partition_subalgoE8ElNS0_10empty_typeEbEEZZNS1_14partition_implILS5_8ELb0ES3_jPlPS6_PKS6_NS0_5tupleIJS9_S6_EEENSD_IJSA_SA_EEENS0_18inequality_wrapperIZN2at6native12_GLOBAL__N_124unique_dim_cuda_templateIbEESt5tupleIJNSH_6TensorESM_SM_EERKSM_lbbbEUlllE0_EEPmJS6_EEE10hipError_tPvRmT3_T4_T5_T6_T7_T9_mT8_P12ihipStream_tbDpT10_ENKUlT_T0_E_clISt17integral_constantIbLb1EES1B_IbLb0EEEEDaS17_S18_EUlS17_E_NS1_11comp_targetILNS1_3genE3ELNS1_11target_archE908ELNS1_3gpuE7ELNS1_3repE0EEENS1_30default_config_static_selectorELNS0_4arch9wavefront6targetE1EEEvT1_,"axG",@progbits,_ZN7rocprim17ROCPRIM_400000_NS6detail17trampoline_kernelINS0_14default_configENS1_25partition_config_selectorILNS1_17partition_subalgoE8ElNS0_10empty_typeEbEEZZNS1_14partition_implILS5_8ELb0ES3_jPlPS6_PKS6_NS0_5tupleIJS9_S6_EEENSD_IJSA_SA_EEENS0_18inequality_wrapperIZN2at6native12_GLOBAL__N_124unique_dim_cuda_templateIbEESt5tupleIJNSH_6TensorESM_SM_EERKSM_lbbbEUlllE0_EEPmJS6_EEE10hipError_tPvRmT3_T4_T5_T6_T7_T9_mT8_P12ihipStream_tbDpT10_ENKUlT_T0_E_clISt17integral_constantIbLb1EES1B_IbLb0EEEEDaS17_S18_EUlS17_E_NS1_11comp_targetILNS1_3genE3ELNS1_11target_archE908ELNS1_3gpuE7ELNS1_3repE0EEENS1_30default_config_static_selectorELNS0_4arch9wavefront6targetE1EEEvT1_,comdat
	.globl	_ZN7rocprim17ROCPRIM_400000_NS6detail17trampoline_kernelINS0_14default_configENS1_25partition_config_selectorILNS1_17partition_subalgoE8ElNS0_10empty_typeEbEEZZNS1_14partition_implILS5_8ELb0ES3_jPlPS6_PKS6_NS0_5tupleIJS9_S6_EEENSD_IJSA_SA_EEENS0_18inequality_wrapperIZN2at6native12_GLOBAL__N_124unique_dim_cuda_templateIbEESt5tupleIJNSH_6TensorESM_SM_EERKSM_lbbbEUlllE0_EEPmJS6_EEE10hipError_tPvRmT3_T4_T5_T6_T7_T9_mT8_P12ihipStream_tbDpT10_ENKUlT_T0_E_clISt17integral_constantIbLb1EES1B_IbLb0EEEEDaS17_S18_EUlS17_E_NS1_11comp_targetILNS1_3genE3ELNS1_11target_archE908ELNS1_3gpuE7ELNS1_3repE0EEENS1_30default_config_static_selectorELNS0_4arch9wavefront6targetE1EEEvT1_ ; -- Begin function _ZN7rocprim17ROCPRIM_400000_NS6detail17trampoline_kernelINS0_14default_configENS1_25partition_config_selectorILNS1_17partition_subalgoE8ElNS0_10empty_typeEbEEZZNS1_14partition_implILS5_8ELb0ES3_jPlPS6_PKS6_NS0_5tupleIJS9_S6_EEENSD_IJSA_SA_EEENS0_18inequality_wrapperIZN2at6native12_GLOBAL__N_124unique_dim_cuda_templateIbEESt5tupleIJNSH_6TensorESM_SM_EERKSM_lbbbEUlllE0_EEPmJS6_EEE10hipError_tPvRmT3_T4_T5_T6_T7_T9_mT8_P12ihipStream_tbDpT10_ENKUlT_T0_E_clISt17integral_constantIbLb1EES1B_IbLb0EEEEDaS17_S18_EUlS17_E_NS1_11comp_targetILNS1_3genE3ELNS1_11target_archE908ELNS1_3gpuE7ELNS1_3repE0EEENS1_30default_config_static_selectorELNS0_4arch9wavefront6targetE1EEEvT1_
	.p2align	8
	.type	_ZN7rocprim17ROCPRIM_400000_NS6detail17trampoline_kernelINS0_14default_configENS1_25partition_config_selectorILNS1_17partition_subalgoE8ElNS0_10empty_typeEbEEZZNS1_14partition_implILS5_8ELb0ES3_jPlPS6_PKS6_NS0_5tupleIJS9_S6_EEENSD_IJSA_SA_EEENS0_18inequality_wrapperIZN2at6native12_GLOBAL__N_124unique_dim_cuda_templateIbEESt5tupleIJNSH_6TensorESM_SM_EERKSM_lbbbEUlllE0_EEPmJS6_EEE10hipError_tPvRmT3_T4_T5_T6_T7_T9_mT8_P12ihipStream_tbDpT10_ENKUlT_T0_E_clISt17integral_constantIbLb1EES1B_IbLb0EEEEDaS17_S18_EUlS17_E_NS1_11comp_targetILNS1_3genE3ELNS1_11target_archE908ELNS1_3gpuE7ELNS1_3repE0EEENS1_30default_config_static_selectorELNS0_4arch9wavefront6targetE1EEEvT1_,@function
_ZN7rocprim17ROCPRIM_400000_NS6detail17trampoline_kernelINS0_14default_configENS1_25partition_config_selectorILNS1_17partition_subalgoE8ElNS0_10empty_typeEbEEZZNS1_14partition_implILS5_8ELb0ES3_jPlPS6_PKS6_NS0_5tupleIJS9_S6_EEENSD_IJSA_SA_EEENS0_18inequality_wrapperIZN2at6native12_GLOBAL__N_124unique_dim_cuda_templateIbEESt5tupleIJNSH_6TensorESM_SM_EERKSM_lbbbEUlllE0_EEPmJS6_EEE10hipError_tPvRmT3_T4_T5_T6_T7_T9_mT8_P12ihipStream_tbDpT10_ENKUlT_T0_E_clISt17integral_constantIbLb1EES1B_IbLb0EEEEDaS17_S18_EUlS17_E_NS1_11comp_targetILNS1_3genE3ELNS1_11target_archE908ELNS1_3gpuE7ELNS1_3repE0EEENS1_30default_config_static_selectorELNS0_4arch9wavefront6targetE1EEEvT1_: ; @_ZN7rocprim17ROCPRIM_400000_NS6detail17trampoline_kernelINS0_14default_configENS1_25partition_config_selectorILNS1_17partition_subalgoE8ElNS0_10empty_typeEbEEZZNS1_14partition_implILS5_8ELb0ES3_jPlPS6_PKS6_NS0_5tupleIJS9_S6_EEENSD_IJSA_SA_EEENS0_18inequality_wrapperIZN2at6native12_GLOBAL__N_124unique_dim_cuda_templateIbEESt5tupleIJNSH_6TensorESM_SM_EERKSM_lbbbEUlllE0_EEPmJS6_EEE10hipError_tPvRmT3_T4_T5_T6_T7_T9_mT8_P12ihipStream_tbDpT10_ENKUlT_T0_E_clISt17integral_constantIbLb1EES1B_IbLb0EEEEDaS17_S18_EUlS17_E_NS1_11comp_targetILNS1_3genE3ELNS1_11target_archE908ELNS1_3gpuE7ELNS1_3repE0EEENS1_30default_config_static_selectorELNS0_4arch9wavefront6targetE1EEEvT1_
; %bb.0:
	.section	.rodata,"a",@progbits
	.p2align	6, 0x0
	.amdhsa_kernel _ZN7rocprim17ROCPRIM_400000_NS6detail17trampoline_kernelINS0_14default_configENS1_25partition_config_selectorILNS1_17partition_subalgoE8ElNS0_10empty_typeEbEEZZNS1_14partition_implILS5_8ELb0ES3_jPlPS6_PKS6_NS0_5tupleIJS9_S6_EEENSD_IJSA_SA_EEENS0_18inequality_wrapperIZN2at6native12_GLOBAL__N_124unique_dim_cuda_templateIbEESt5tupleIJNSH_6TensorESM_SM_EERKSM_lbbbEUlllE0_EEPmJS6_EEE10hipError_tPvRmT3_T4_T5_T6_T7_T9_mT8_P12ihipStream_tbDpT10_ENKUlT_T0_E_clISt17integral_constantIbLb1EES1B_IbLb0EEEEDaS17_S18_EUlS17_E_NS1_11comp_targetILNS1_3genE3ELNS1_11target_archE908ELNS1_3gpuE7ELNS1_3repE0EEENS1_30default_config_static_selectorELNS0_4arch9wavefront6targetE1EEEvT1_
		.amdhsa_group_segment_fixed_size 0
		.amdhsa_private_segment_fixed_size 0
		.amdhsa_kernarg_size 120
		.amdhsa_user_sgpr_count 6
		.amdhsa_user_sgpr_private_segment_buffer 1
		.amdhsa_user_sgpr_dispatch_ptr 0
		.amdhsa_user_sgpr_queue_ptr 0
		.amdhsa_user_sgpr_kernarg_segment_ptr 1
		.amdhsa_user_sgpr_dispatch_id 0
		.amdhsa_user_sgpr_flat_scratch_init 0
		.amdhsa_user_sgpr_kernarg_preload_length 0
		.amdhsa_user_sgpr_kernarg_preload_offset 0
		.amdhsa_user_sgpr_private_segment_size 0
		.amdhsa_uses_dynamic_stack 0
		.amdhsa_system_sgpr_private_segment_wavefront_offset 0
		.amdhsa_system_sgpr_workgroup_id_x 1
		.amdhsa_system_sgpr_workgroup_id_y 0
		.amdhsa_system_sgpr_workgroup_id_z 0
		.amdhsa_system_sgpr_workgroup_info 0
		.amdhsa_system_vgpr_workitem_id 0
		.amdhsa_next_free_vgpr 1
		.amdhsa_next_free_sgpr 0
		.amdhsa_accum_offset 4
		.amdhsa_reserve_vcc 0
		.amdhsa_reserve_flat_scratch 0
		.amdhsa_float_round_mode_32 0
		.amdhsa_float_round_mode_16_64 0
		.amdhsa_float_denorm_mode_32 3
		.amdhsa_float_denorm_mode_16_64 3
		.amdhsa_dx10_clamp 1
		.amdhsa_ieee_mode 1
		.amdhsa_fp16_overflow 0
		.amdhsa_tg_split 0
		.amdhsa_exception_fp_ieee_invalid_op 0
		.amdhsa_exception_fp_denorm_src 0
		.amdhsa_exception_fp_ieee_div_zero 0
		.amdhsa_exception_fp_ieee_overflow 0
		.amdhsa_exception_fp_ieee_underflow 0
		.amdhsa_exception_fp_ieee_inexact 0
		.amdhsa_exception_int_div_zero 0
	.end_amdhsa_kernel
	.section	.text._ZN7rocprim17ROCPRIM_400000_NS6detail17trampoline_kernelINS0_14default_configENS1_25partition_config_selectorILNS1_17partition_subalgoE8ElNS0_10empty_typeEbEEZZNS1_14partition_implILS5_8ELb0ES3_jPlPS6_PKS6_NS0_5tupleIJS9_S6_EEENSD_IJSA_SA_EEENS0_18inequality_wrapperIZN2at6native12_GLOBAL__N_124unique_dim_cuda_templateIbEESt5tupleIJNSH_6TensorESM_SM_EERKSM_lbbbEUlllE0_EEPmJS6_EEE10hipError_tPvRmT3_T4_T5_T6_T7_T9_mT8_P12ihipStream_tbDpT10_ENKUlT_T0_E_clISt17integral_constantIbLb1EES1B_IbLb0EEEEDaS17_S18_EUlS17_E_NS1_11comp_targetILNS1_3genE3ELNS1_11target_archE908ELNS1_3gpuE7ELNS1_3repE0EEENS1_30default_config_static_selectorELNS0_4arch9wavefront6targetE1EEEvT1_,"axG",@progbits,_ZN7rocprim17ROCPRIM_400000_NS6detail17trampoline_kernelINS0_14default_configENS1_25partition_config_selectorILNS1_17partition_subalgoE8ElNS0_10empty_typeEbEEZZNS1_14partition_implILS5_8ELb0ES3_jPlPS6_PKS6_NS0_5tupleIJS9_S6_EEENSD_IJSA_SA_EEENS0_18inequality_wrapperIZN2at6native12_GLOBAL__N_124unique_dim_cuda_templateIbEESt5tupleIJNSH_6TensorESM_SM_EERKSM_lbbbEUlllE0_EEPmJS6_EEE10hipError_tPvRmT3_T4_T5_T6_T7_T9_mT8_P12ihipStream_tbDpT10_ENKUlT_T0_E_clISt17integral_constantIbLb1EES1B_IbLb0EEEEDaS17_S18_EUlS17_E_NS1_11comp_targetILNS1_3genE3ELNS1_11target_archE908ELNS1_3gpuE7ELNS1_3repE0EEENS1_30default_config_static_selectorELNS0_4arch9wavefront6targetE1EEEvT1_,comdat
.Lfunc_end1070:
	.size	_ZN7rocprim17ROCPRIM_400000_NS6detail17trampoline_kernelINS0_14default_configENS1_25partition_config_selectorILNS1_17partition_subalgoE8ElNS0_10empty_typeEbEEZZNS1_14partition_implILS5_8ELb0ES3_jPlPS6_PKS6_NS0_5tupleIJS9_S6_EEENSD_IJSA_SA_EEENS0_18inequality_wrapperIZN2at6native12_GLOBAL__N_124unique_dim_cuda_templateIbEESt5tupleIJNSH_6TensorESM_SM_EERKSM_lbbbEUlllE0_EEPmJS6_EEE10hipError_tPvRmT3_T4_T5_T6_T7_T9_mT8_P12ihipStream_tbDpT10_ENKUlT_T0_E_clISt17integral_constantIbLb1EES1B_IbLb0EEEEDaS17_S18_EUlS17_E_NS1_11comp_targetILNS1_3genE3ELNS1_11target_archE908ELNS1_3gpuE7ELNS1_3repE0EEENS1_30default_config_static_selectorELNS0_4arch9wavefront6targetE1EEEvT1_, .Lfunc_end1070-_ZN7rocprim17ROCPRIM_400000_NS6detail17trampoline_kernelINS0_14default_configENS1_25partition_config_selectorILNS1_17partition_subalgoE8ElNS0_10empty_typeEbEEZZNS1_14partition_implILS5_8ELb0ES3_jPlPS6_PKS6_NS0_5tupleIJS9_S6_EEENSD_IJSA_SA_EEENS0_18inequality_wrapperIZN2at6native12_GLOBAL__N_124unique_dim_cuda_templateIbEESt5tupleIJNSH_6TensorESM_SM_EERKSM_lbbbEUlllE0_EEPmJS6_EEE10hipError_tPvRmT3_T4_T5_T6_T7_T9_mT8_P12ihipStream_tbDpT10_ENKUlT_T0_E_clISt17integral_constantIbLb1EES1B_IbLb0EEEEDaS17_S18_EUlS17_E_NS1_11comp_targetILNS1_3genE3ELNS1_11target_archE908ELNS1_3gpuE7ELNS1_3repE0EEENS1_30default_config_static_selectorELNS0_4arch9wavefront6targetE1EEEvT1_
                                        ; -- End function
	.section	.AMDGPU.csdata,"",@progbits
; Kernel info:
; codeLenInByte = 0
; NumSgprs: 4
; NumVgprs: 0
; NumAgprs: 0
; TotalNumVgprs: 0
; ScratchSize: 0
; MemoryBound: 0
; FloatMode: 240
; IeeeMode: 1
; LDSByteSize: 0 bytes/workgroup (compile time only)
; SGPRBlocks: 0
; VGPRBlocks: 0
; NumSGPRsForWavesPerEU: 4
; NumVGPRsForWavesPerEU: 1
; AccumOffset: 4
; Occupancy: 8
; WaveLimiterHint : 0
; COMPUTE_PGM_RSRC2:SCRATCH_EN: 0
; COMPUTE_PGM_RSRC2:USER_SGPR: 6
; COMPUTE_PGM_RSRC2:TRAP_HANDLER: 0
; COMPUTE_PGM_RSRC2:TGID_X_EN: 1
; COMPUTE_PGM_RSRC2:TGID_Y_EN: 0
; COMPUTE_PGM_RSRC2:TGID_Z_EN: 0
; COMPUTE_PGM_RSRC2:TIDIG_COMP_CNT: 0
; COMPUTE_PGM_RSRC3_GFX90A:ACCUM_OFFSET: 0
; COMPUTE_PGM_RSRC3_GFX90A:TG_SPLIT: 0
	.section	.text._ZN7rocprim17ROCPRIM_400000_NS6detail17trampoline_kernelINS0_14default_configENS1_25partition_config_selectorILNS1_17partition_subalgoE8ElNS0_10empty_typeEbEEZZNS1_14partition_implILS5_8ELb0ES3_jPlPS6_PKS6_NS0_5tupleIJS9_S6_EEENSD_IJSA_SA_EEENS0_18inequality_wrapperIZN2at6native12_GLOBAL__N_124unique_dim_cuda_templateIbEESt5tupleIJNSH_6TensorESM_SM_EERKSM_lbbbEUlllE0_EEPmJS6_EEE10hipError_tPvRmT3_T4_T5_T6_T7_T9_mT8_P12ihipStream_tbDpT10_ENKUlT_T0_E_clISt17integral_constantIbLb1EES1B_IbLb0EEEEDaS17_S18_EUlS17_E_NS1_11comp_targetILNS1_3genE2ELNS1_11target_archE906ELNS1_3gpuE6ELNS1_3repE0EEENS1_30default_config_static_selectorELNS0_4arch9wavefront6targetE1EEEvT1_,"axG",@progbits,_ZN7rocprim17ROCPRIM_400000_NS6detail17trampoline_kernelINS0_14default_configENS1_25partition_config_selectorILNS1_17partition_subalgoE8ElNS0_10empty_typeEbEEZZNS1_14partition_implILS5_8ELb0ES3_jPlPS6_PKS6_NS0_5tupleIJS9_S6_EEENSD_IJSA_SA_EEENS0_18inequality_wrapperIZN2at6native12_GLOBAL__N_124unique_dim_cuda_templateIbEESt5tupleIJNSH_6TensorESM_SM_EERKSM_lbbbEUlllE0_EEPmJS6_EEE10hipError_tPvRmT3_T4_T5_T6_T7_T9_mT8_P12ihipStream_tbDpT10_ENKUlT_T0_E_clISt17integral_constantIbLb1EES1B_IbLb0EEEEDaS17_S18_EUlS17_E_NS1_11comp_targetILNS1_3genE2ELNS1_11target_archE906ELNS1_3gpuE6ELNS1_3repE0EEENS1_30default_config_static_selectorELNS0_4arch9wavefront6targetE1EEEvT1_,comdat
	.globl	_ZN7rocprim17ROCPRIM_400000_NS6detail17trampoline_kernelINS0_14default_configENS1_25partition_config_selectorILNS1_17partition_subalgoE8ElNS0_10empty_typeEbEEZZNS1_14partition_implILS5_8ELb0ES3_jPlPS6_PKS6_NS0_5tupleIJS9_S6_EEENSD_IJSA_SA_EEENS0_18inequality_wrapperIZN2at6native12_GLOBAL__N_124unique_dim_cuda_templateIbEESt5tupleIJNSH_6TensorESM_SM_EERKSM_lbbbEUlllE0_EEPmJS6_EEE10hipError_tPvRmT3_T4_T5_T6_T7_T9_mT8_P12ihipStream_tbDpT10_ENKUlT_T0_E_clISt17integral_constantIbLb1EES1B_IbLb0EEEEDaS17_S18_EUlS17_E_NS1_11comp_targetILNS1_3genE2ELNS1_11target_archE906ELNS1_3gpuE6ELNS1_3repE0EEENS1_30default_config_static_selectorELNS0_4arch9wavefront6targetE1EEEvT1_ ; -- Begin function _ZN7rocprim17ROCPRIM_400000_NS6detail17trampoline_kernelINS0_14default_configENS1_25partition_config_selectorILNS1_17partition_subalgoE8ElNS0_10empty_typeEbEEZZNS1_14partition_implILS5_8ELb0ES3_jPlPS6_PKS6_NS0_5tupleIJS9_S6_EEENSD_IJSA_SA_EEENS0_18inequality_wrapperIZN2at6native12_GLOBAL__N_124unique_dim_cuda_templateIbEESt5tupleIJNSH_6TensorESM_SM_EERKSM_lbbbEUlllE0_EEPmJS6_EEE10hipError_tPvRmT3_T4_T5_T6_T7_T9_mT8_P12ihipStream_tbDpT10_ENKUlT_T0_E_clISt17integral_constantIbLb1EES1B_IbLb0EEEEDaS17_S18_EUlS17_E_NS1_11comp_targetILNS1_3genE2ELNS1_11target_archE906ELNS1_3gpuE6ELNS1_3repE0EEENS1_30default_config_static_selectorELNS0_4arch9wavefront6targetE1EEEvT1_
	.p2align	8
	.type	_ZN7rocprim17ROCPRIM_400000_NS6detail17trampoline_kernelINS0_14default_configENS1_25partition_config_selectorILNS1_17partition_subalgoE8ElNS0_10empty_typeEbEEZZNS1_14partition_implILS5_8ELb0ES3_jPlPS6_PKS6_NS0_5tupleIJS9_S6_EEENSD_IJSA_SA_EEENS0_18inequality_wrapperIZN2at6native12_GLOBAL__N_124unique_dim_cuda_templateIbEESt5tupleIJNSH_6TensorESM_SM_EERKSM_lbbbEUlllE0_EEPmJS6_EEE10hipError_tPvRmT3_T4_T5_T6_T7_T9_mT8_P12ihipStream_tbDpT10_ENKUlT_T0_E_clISt17integral_constantIbLb1EES1B_IbLb0EEEEDaS17_S18_EUlS17_E_NS1_11comp_targetILNS1_3genE2ELNS1_11target_archE906ELNS1_3gpuE6ELNS1_3repE0EEENS1_30default_config_static_selectorELNS0_4arch9wavefront6targetE1EEEvT1_,@function
_ZN7rocprim17ROCPRIM_400000_NS6detail17trampoline_kernelINS0_14default_configENS1_25partition_config_selectorILNS1_17partition_subalgoE8ElNS0_10empty_typeEbEEZZNS1_14partition_implILS5_8ELb0ES3_jPlPS6_PKS6_NS0_5tupleIJS9_S6_EEENSD_IJSA_SA_EEENS0_18inequality_wrapperIZN2at6native12_GLOBAL__N_124unique_dim_cuda_templateIbEESt5tupleIJNSH_6TensorESM_SM_EERKSM_lbbbEUlllE0_EEPmJS6_EEE10hipError_tPvRmT3_T4_T5_T6_T7_T9_mT8_P12ihipStream_tbDpT10_ENKUlT_T0_E_clISt17integral_constantIbLb1EES1B_IbLb0EEEEDaS17_S18_EUlS17_E_NS1_11comp_targetILNS1_3genE2ELNS1_11target_archE906ELNS1_3gpuE6ELNS1_3repE0EEENS1_30default_config_static_selectorELNS0_4arch9wavefront6targetE1EEEvT1_: ; @_ZN7rocprim17ROCPRIM_400000_NS6detail17trampoline_kernelINS0_14default_configENS1_25partition_config_selectorILNS1_17partition_subalgoE8ElNS0_10empty_typeEbEEZZNS1_14partition_implILS5_8ELb0ES3_jPlPS6_PKS6_NS0_5tupleIJS9_S6_EEENSD_IJSA_SA_EEENS0_18inequality_wrapperIZN2at6native12_GLOBAL__N_124unique_dim_cuda_templateIbEESt5tupleIJNSH_6TensorESM_SM_EERKSM_lbbbEUlllE0_EEPmJS6_EEE10hipError_tPvRmT3_T4_T5_T6_T7_T9_mT8_P12ihipStream_tbDpT10_ENKUlT_T0_E_clISt17integral_constantIbLb1EES1B_IbLb0EEEEDaS17_S18_EUlS17_E_NS1_11comp_targetILNS1_3genE2ELNS1_11target_archE906ELNS1_3gpuE6ELNS1_3repE0EEENS1_30default_config_static_selectorELNS0_4arch9wavefront6targetE1EEEvT1_
; %bb.0:
	.section	.rodata,"a",@progbits
	.p2align	6, 0x0
	.amdhsa_kernel _ZN7rocprim17ROCPRIM_400000_NS6detail17trampoline_kernelINS0_14default_configENS1_25partition_config_selectorILNS1_17partition_subalgoE8ElNS0_10empty_typeEbEEZZNS1_14partition_implILS5_8ELb0ES3_jPlPS6_PKS6_NS0_5tupleIJS9_S6_EEENSD_IJSA_SA_EEENS0_18inequality_wrapperIZN2at6native12_GLOBAL__N_124unique_dim_cuda_templateIbEESt5tupleIJNSH_6TensorESM_SM_EERKSM_lbbbEUlllE0_EEPmJS6_EEE10hipError_tPvRmT3_T4_T5_T6_T7_T9_mT8_P12ihipStream_tbDpT10_ENKUlT_T0_E_clISt17integral_constantIbLb1EES1B_IbLb0EEEEDaS17_S18_EUlS17_E_NS1_11comp_targetILNS1_3genE2ELNS1_11target_archE906ELNS1_3gpuE6ELNS1_3repE0EEENS1_30default_config_static_selectorELNS0_4arch9wavefront6targetE1EEEvT1_
		.amdhsa_group_segment_fixed_size 0
		.amdhsa_private_segment_fixed_size 0
		.amdhsa_kernarg_size 120
		.amdhsa_user_sgpr_count 6
		.amdhsa_user_sgpr_private_segment_buffer 1
		.amdhsa_user_sgpr_dispatch_ptr 0
		.amdhsa_user_sgpr_queue_ptr 0
		.amdhsa_user_sgpr_kernarg_segment_ptr 1
		.amdhsa_user_sgpr_dispatch_id 0
		.amdhsa_user_sgpr_flat_scratch_init 0
		.amdhsa_user_sgpr_kernarg_preload_length 0
		.amdhsa_user_sgpr_kernarg_preload_offset 0
		.amdhsa_user_sgpr_private_segment_size 0
		.amdhsa_uses_dynamic_stack 0
		.amdhsa_system_sgpr_private_segment_wavefront_offset 0
		.amdhsa_system_sgpr_workgroup_id_x 1
		.amdhsa_system_sgpr_workgroup_id_y 0
		.amdhsa_system_sgpr_workgroup_id_z 0
		.amdhsa_system_sgpr_workgroup_info 0
		.amdhsa_system_vgpr_workitem_id 0
		.amdhsa_next_free_vgpr 1
		.amdhsa_next_free_sgpr 0
		.amdhsa_accum_offset 4
		.amdhsa_reserve_vcc 0
		.amdhsa_reserve_flat_scratch 0
		.amdhsa_float_round_mode_32 0
		.amdhsa_float_round_mode_16_64 0
		.amdhsa_float_denorm_mode_32 3
		.amdhsa_float_denorm_mode_16_64 3
		.amdhsa_dx10_clamp 1
		.amdhsa_ieee_mode 1
		.amdhsa_fp16_overflow 0
		.amdhsa_tg_split 0
		.amdhsa_exception_fp_ieee_invalid_op 0
		.amdhsa_exception_fp_denorm_src 0
		.amdhsa_exception_fp_ieee_div_zero 0
		.amdhsa_exception_fp_ieee_overflow 0
		.amdhsa_exception_fp_ieee_underflow 0
		.amdhsa_exception_fp_ieee_inexact 0
		.amdhsa_exception_int_div_zero 0
	.end_amdhsa_kernel
	.section	.text._ZN7rocprim17ROCPRIM_400000_NS6detail17trampoline_kernelINS0_14default_configENS1_25partition_config_selectorILNS1_17partition_subalgoE8ElNS0_10empty_typeEbEEZZNS1_14partition_implILS5_8ELb0ES3_jPlPS6_PKS6_NS0_5tupleIJS9_S6_EEENSD_IJSA_SA_EEENS0_18inequality_wrapperIZN2at6native12_GLOBAL__N_124unique_dim_cuda_templateIbEESt5tupleIJNSH_6TensorESM_SM_EERKSM_lbbbEUlllE0_EEPmJS6_EEE10hipError_tPvRmT3_T4_T5_T6_T7_T9_mT8_P12ihipStream_tbDpT10_ENKUlT_T0_E_clISt17integral_constantIbLb1EES1B_IbLb0EEEEDaS17_S18_EUlS17_E_NS1_11comp_targetILNS1_3genE2ELNS1_11target_archE906ELNS1_3gpuE6ELNS1_3repE0EEENS1_30default_config_static_selectorELNS0_4arch9wavefront6targetE1EEEvT1_,"axG",@progbits,_ZN7rocprim17ROCPRIM_400000_NS6detail17trampoline_kernelINS0_14default_configENS1_25partition_config_selectorILNS1_17partition_subalgoE8ElNS0_10empty_typeEbEEZZNS1_14partition_implILS5_8ELb0ES3_jPlPS6_PKS6_NS0_5tupleIJS9_S6_EEENSD_IJSA_SA_EEENS0_18inequality_wrapperIZN2at6native12_GLOBAL__N_124unique_dim_cuda_templateIbEESt5tupleIJNSH_6TensorESM_SM_EERKSM_lbbbEUlllE0_EEPmJS6_EEE10hipError_tPvRmT3_T4_T5_T6_T7_T9_mT8_P12ihipStream_tbDpT10_ENKUlT_T0_E_clISt17integral_constantIbLb1EES1B_IbLb0EEEEDaS17_S18_EUlS17_E_NS1_11comp_targetILNS1_3genE2ELNS1_11target_archE906ELNS1_3gpuE6ELNS1_3repE0EEENS1_30default_config_static_selectorELNS0_4arch9wavefront6targetE1EEEvT1_,comdat
.Lfunc_end1071:
	.size	_ZN7rocprim17ROCPRIM_400000_NS6detail17trampoline_kernelINS0_14default_configENS1_25partition_config_selectorILNS1_17partition_subalgoE8ElNS0_10empty_typeEbEEZZNS1_14partition_implILS5_8ELb0ES3_jPlPS6_PKS6_NS0_5tupleIJS9_S6_EEENSD_IJSA_SA_EEENS0_18inequality_wrapperIZN2at6native12_GLOBAL__N_124unique_dim_cuda_templateIbEESt5tupleIJNSH_6TensorESM_SM_EERKSM_lbbbEUlllE0_EEPmJS6_EEE10hipError_tPvRmT3_T4_T5_T6_T7_T9_mT8_P12ihipStream_tbDpT10_ENKUlT_T0_E_clISt17integral_constantIbLb1EES1B_IbLb0EEEEDaS17_S18_EUlS17_E_NS1_11comp_targetILNS1_3genE2ELNS1_11target_archE906ELNS1_3gpuE6ELNS1_3repE0EEENS1_30default_config_static_selectorELNS0_4arch9wavefront6targetE1EEEvT1_, .Lfunc_end1071-_ZN7rocprim17ROCPRIM_400000_NS6detail17trampoline_kernelINS0_14default_configENS1_25partition_config_selectorILNS1_17partition_subalgoE8ElNS0_10empty_typeEbEEZZNS1_14partition_implILS5_8ELb0ES3_jPlPS6_PKS6_NS0_5tupleIJS9_S6_EEENSD_IJSA_SA_EEENS0_18inequality_wrapperIZN2at6native12_GLOBAL__N_124unique_dim_cuda_templateIbEESt5tupleIJNSH_6TensorESM_SM_EERKSM_lbbbEUlllE0_EEPmJS6_EEE10hipError_tPvRmT3_T4_T5_T6_T7_T9_mT8_P12ihipStream_tbDpT10_ENKUlT_T0_E_clISt17integral_constantIbLb1EES1B_IbLb0EEEEDaS17_S18_EUlS17_E_NS1_11comp_targetILNS1_3genE2ELNS1_11target_archE906ELNS1_3gpuE6ELNS1_3repE0EEENS1_30default_config_static_selectorELNS0_4arch9wavefront6targetE1EEEvT1_
                                        ; -- End function
	.section	.AMDGPU.csdata,"",@progbits
; Kernel info:
; codeLenInByte = 0
; NumSgprs: 4
; NumVgprs: 0
; NumAgprs: 0
; TotalNumVgprs: 0
; ScratchSize: 0
; MemoryBound: 0
; FloatMode: 240
; IeeeMode: 1
; LDSByteSize: 0 bytes/workgroup (compile time only)
; SGPRBlocks: 0
; VGPRBlocks: 0
; NumSGPRsForWavesPerEU: 4
; NumVGPRsForWavesPerEU: 1
; AccumOffset: 4
; Occupancy: 8
; WaveLimiterHint : 0
; COMPUTE_PGM_RSRC2:SCRATCH_EN: 0
; COMPUTE_PGM_RSRC2:USER_SGPR: 6
; COMPUTE_PGM_RSRC2:TRAP_HANDLER: 0
; COMPUTE_PGM_RSRC2:TGID_X_EN: 1
; COMPUTE_PGM_RSRC2:TGID_Y_EN: 0
; COMPUTE_PGM_RSRC2:TGID_Z_EN: 0
; COMPUTE_PGM_RSRC2:TIDIG_COMP_CNT: 0
; COMPUTE_PGM_RSRC3_GFX90A:ACCUM_OFFSET: 0
; COMPUTE_PGM_RSRC3_GFX90A:TG_SPLIT: 0
	.section	.text._ZN7rocprim17ROCPRIM_400000_NS6detail17trampoline_kernelINS0_14default_configENS1_25partition_config_selectorILNS1_17partition_subalgoE8ElNS0_10empty_typeEbEEZZNS1_14partition_implILS5_8ELb0ES3_jPlPS6_PKS6_NS0_5tupleIJS9_S6_EEENSD_IJSA_SA_EEENS0_18inequality_wrapperIZN2at6native12_GLOBAL__N_124unique_dim_cuda_templateIbEESt5tupleIJNSH_6TensorESM_SM_EERKSM_lbbbEUlllE0_EEPmJS6_EEE10hipError_tPvRmT3_T4_T5_T6_T7_T9_mT8_P12ihipStream_tbDpT10_ENKUlT_T0_E_clISt17integral_constantIbLb1EES1B_IbLb0EEEEDaS17_S18_EUlS17_E_NS1_11comp_targetILNS1_3genE10ELNS1_11target_archE1200ELNS1_3gpuE4ELNS1_3repE0EEENS1_30default_config_static_selectorELNS0_4arch9wavefront6targetE1EEEvT1_,"axG",@progbits,_ZN7rocprim17ROCPRIM_400000_NS6detail17trampoline_kernelINS0_14default_configENS1_25partition_config_selectorILNS1_17partition_subalgoE8ElNS0_10empty_typeEbEEZZNS1_14partition_implILS5_8ELb0ES3_jPlPS6_PKS6_NS0_5tupleIJS9_S6_EEENSD_IJSA_SA_EEENS0_18inequality_wrapperIZN2at6native12_GLOBAL__N_124unique_dim_cuda_templateIbEESt5tupleIJNSH_6TensorESM_SM_EERKSM_lbbbEUlllE0_EEPmJS6_EEE10hipError_tPvRmT3_T4_T5_T6_T7_T9_mT8_P12ihipStream_tbDpT10_ENKUlT_T0_E_clISt17integral_constantIbLb1EES1B_IbLb0EEEEDaS17_S18_EUlS17_E_NS1_11comp_targetILNS1_3genE10ELNS1_11target_archE1200ELNS1_3gpuE4ELNS1_3repE0EEENS1_30default_config_static_selectorELNS0_4arch9wavefront6targetE1EEEvT1_,comdat
	.globl	_ZN7rocprim17ROCPRIM_400000_NS6detail17trampoline_kernelINS0_14default_configENS1_25partition_config_selectorILNS1_17partition_subalgoE8ElNS0_10empty_typeEbEEZZNS1_14partition_implILS5_8ELb0ES3_jPlPS6_PKS6_NS0_5tupleIJS9_S6_EEENSD_IJSA_SA_EEENS0_18inequality_wrapperIZN2at6native12_GLOBAL__N_124unique_dim_cuda_templateIbEESt5tupleIJNSH_6TensorESM_SM_EERKSM_lbbbEUlllE0_EEPmJS6_EEE10hipError_tPvRmT3_T4_T5_T6_T7_T9_mT8_P12ihipStream_tbDpT10_ENKUlT_T0_E_clISt17integral_constantIbLb1EES1B_IbLb0EEEEDaS17_S18_EUlS17_E_NS1_11comp_targetILNS1_3genE10ELNS1_11target_archE1200ELNS1_3gpuE4ELNS1_3repE0EEENS1_30default_config_static_selectorELNS0_4arch9wavefront6targetE1EEEvT1_ ; -- Begin function _ZN7rocprim17ROCPRIM_400000_NS6detail17trampoline_kernelINS0_14default_configENS1_25partition_config_selectorILNS1_17partition_subalgoE8ElNS0_10empty_typeEbEEZZNS1_14partition_implILS5_8ELb0ES3_jPlPS6_PKS6_NS0_5tupleIJS9_S6_EEENSD_IJSA_SA_EEENS0_18inequality_wrapperIZN2at6native12_GLOBAL__N_124unique_dim_cuda_templateIbEESt5tupleIJNSH_6TensorESM_SM_EERKSM_lbbbEUlllE0_EEPmJS6_EEE10hipError_tPvRmT3_T4_T5_T6_T7_T9_mT8_P12ihipStream_tbDpT10_ENKUlT_T0_E_clISt17integral_constantIbLb1EES1B_IbLb0EEEEDaS17_S18_EUlS17_E_NS1_11comp_targetILNS1_3genE10ELNS1_11target_archE1200ELNS1_3gpuE4ELNS1_3repE0EEENS1_30default_config_static_selectorELNS0_4arch9wavefront6targetE1EEEvT1_
	.p2align	8
	.type	_ZN7rocprim17ROCPRIM_400000_NS6detail17trampoline_kernelINS0_14default_configENS1_25partition_config_selectorILNS1_17partition_subalgoE8ElNS0_10empty_typeEbEEZZNS1_14partition_implILS5_8ELb0ES3_jPlPS6_PKS6_NS0_5tupleIJS9_S6_EEENSD_IJSA_SA_EEENS0_18inequality_wrapperIZN2at6native12_GLOBAL__N_124unique_dim_cuda_templateIbEESt5tupleIJNSH_6TensorESM_SM_EERKSM_lbbbEUlllE0_EEPmJS6_EEE10hipError_tPvRmT3_T4_T5_T6_T7_T9_mT8_P12ihipStream_tbDpT10_ENKUlT_T0_E_clISt17integral_constantIbLb1EES1B_IbLb0EEEEDaS17_S18_EUlS17_E_NS1_11comp_targetILNS1_3genE10ELNS1_11target_archE1200ELNS1_3gpuE4ELNS1_3repE0EEENS1_30default_config_static_selectorELNS0_4arch9wavefront6targetE1EEEvT1_,@function
_ZN7rocprim17ROCPRIM_400000_NS6detail17trampoline_kernelINS0_14default_configENS1_25partition_config_selectorILNS1_17partition_subalgoE8ElNS0_10empty_typeEbEEZZNS1_14partition_implILS5_8ELb0ES3_jPlPS6_PKS6_NS0_5tupleIJS9_S6_EEENSD_IJSA_SA_EEENS0_18inequality_wrapperIZN2at6native12_GLOBAL__N_124unique_dim_cuda_templateIbEESt5tupleIJNSH_6TensorESM_SM_EERKSM_lbbbEUlllE0_EEPmJS6_EEE10hipError_tPvRmT3_T4_T5_T6_T7_T9_mT8_P12ihipStream_tbDpT10_ENKUlT_T0_E_clISt17integral_constantIbLb1EES1B_IbLb0EEEEDaS17_S18_EUlS17_E_NS1_11comp_targetILNS1_3genE10ELNS1_11target_archE1200ELNS1_3gpuE4ELNS1_3repE0EEENS1_30default_config_static_selectorELNS0_4arch9wavefront6targetE1EEEvT1_: ; @_ZN7rocprim17ROCPRIM_400000_NS6detail17trampoline_kernelINS0_14default_configENS1_25partition_config_selectorILNS1_17partition_subalgoE8ElNS0_10empty_typeEbEEZZNS1_14partition_implILS5_8ELb0ES3_jPlPS6_PKS6_NS0_5tupleIJS9_S6_EEENSD_IJSA_SA_EEENS0_18inequality_wrapperIZN2at6native12_GLOBAL__N_124unique_dim_cuda_templateIbEESt5tupleIJNSH_6TensorESM_SM_EERKSM_lbbbEUlllE0_EEPmJS6_EEE10hipError_tPvRmT3_T4_T5_T6_T7_T9_mT8_P12ihipStream_tbDpT10_ENKUlT_T0_E_clISt17integral_constantIbLb1EES1B_IbLb0EEEEDaS17_S18_EUlS17_E_NS1_11comp_targetILNS1_3genE10ELNS1_11target_archE1200ELNS1_3gpuE4ELNS1_3repE0EEENS1_30default_config_static_selectorELNS0_4arch9wavefront6targetE1EEEvT1_
; %bb.0:
	.section	.rodata,"a",@progbits
	.p2align	6, 0x0
	.amdhsa_kernel _ZN7rocprim17ROCPRIM_400000_NS6detail17trampoline_kernelINS0_14default_configENS1_25partition_config_selectorILNS1_17partition_subalgoE8ElNS0_10empty_typeEbEEZZNS1_14partition_implILS5_8ELb0ES3_jPlPS6_PKS6_NS0_5tupleIJS9_S6_EEENSD_IJSA_SA_EEENS0_18inequality_wrapperIZN2at6native12_GLOBAL__N_124unique_dim_cuda_templateIbEESt5tupleIJNSH_6TensorESM_SM_EERKSM_lbbbEUlllE0_EEPmJS6_EEE10hipError_tPvRmT3_T4_T5_T6_T7_T9_mT8_P12ihipStream_tbDpT10_ENKUlT_T0_E_clISt17integral_constantIbLb1EES1B_IbLb0EEEEDaS17_S18_EUlS17_E_NS1_11comp_targetILNS1_3genE10ELNS1_11target_archE1200ELNS1_3gpuE4ELNS1_3repE0EEENS1_30default_config_static_selectorELNS0_4arch9wavefront6targetE1EEEvT1_
		.amdhsa_group_segment_fixed_size 0
		.amdhsa_private_segment_fixed_size 0
		.amdhsa_kernarg_size 120
		.amdhsa_user_sgpr_count 6
		.amdhsa_user_sgpr_private_segment_buffer 1
		.amdhsa_user_sgpr_dispatch_ptr 0
		.amdhsa_user_sgpr_queue_ptr 0
		.amdhsa_user_sgpr_kernarg_segment_ptr 1
		.amdhsa_user_sgpr_dispatch_id 0
		.amdhsa_user_sgpr_flat_scratch_init 0
		.amdhsa_user_sgpr_kernarg_preload_length 0
		.amdhsa_user_sgpr_kernarg_preload_offset 0
		.amdhsa_user_sgpr_private_segment_size 0
		.amdhsa_uses_dynamic_stack 0
		.amdhsa_system_sgpr_private_segment_wavefront_offset 0
		.amdhsa_system_sgpr_workgroup_id_x 1
		.amdhsa_system_sgpr_workgroup_id_y 0
		.amdhsa_system_sgpr_workgroup_id_z 0
		.amdhsa_system_sgpr_workgroup_info 0
		.amdhsa_system_vgpr_workitem_id 0
		.amdhsa_next_free_vgpr 1
		.amdhsa_next_free_sgpr 0
		.amdhsa_accum_offset 4
		.amdhsa_reserve_vcc 0
		.amdhsa_reserve_flat_scratch 0
		.amdhsa_float_round_mode_32 0
		.amdhsa_float_round_mode_16_64 0
		.amdhsa_float_denorm_mode_32 3
		.amdhsa_float_denorm_mode_16_64 3
		.amdhsa_dx10_clamp 1
		.amdhsa_ieee_mode 1
		.amdhsa_fp16_overflow 0
		.amdhsa_tg_split 0
		.amdhsa_exception_fp_ieee_invalid_op 0
		.amdhsa_exception_fp_denorm_src 0
		.amdhsa_exception_fp_ieee_div_zero 0
		.amdhsa_exception_fp_ieee_overflow 0
		.amdhsa_exception_fp_ieee_underflow 0
		.amdhsa_exception_fp_ieee_inexact 0
		.amdhsa_exception_int_div_zero 0
	.end_amdhsa_kernel
	.section	.text._ZN7rocprim17ROCPRIM_400000_NS6detail17trampoline_kernelINS0_14default_configENS1_25partition_config_selectorILNS1_17partition_subalgoE8ElNS0_10empty_typeEbEEZZNS1_14partition_implILS5_8ELb0ES3_jPlPS6_PKS6_NS0_5tupleIJS9_S6_EEENSD_IJSA_SA_EEENS0_18inequality_wrapperIZN2at6native12_GLOBAL__N_124unique_dim_cuda_templateIbEESt5tupleIJNSH_6TensorESM_SM_EERKSM_lbbbEUlllE0_EEPmJS6_EEE10hipError_tPvRmT3_T4_T5_T6_T7_T9_mT8_P12ihipStream_tbDpT10_ENKUlT_T0_E_clISt17integral_constantIbLb1EES1B_IbLb0EEEEDaS17_S18_EUlS17_E_NS1_11comp_targetILNS1_3genE10ELNS1_11target_archE1200ELNS1_3gpuE4ELNS1_3repE0EEENS1_30default_config_static_selectorELNS0_4arch9wavefront6targetE1EEEvT1_,"axG",@progbits,_ZN7rocprim17ROCPRIM_400000_NS6detail17trampoline_kernelINS0_14default_configENS1_25partition_config_selectorILNS1_17partition_subalgoE8ElNS0_10empty_typeEbEEZZNS1_14partition_implILS5_8ELb0ES3_jPlPS6_PKS6_NS0_5tupleIJS9_S6_EEENSD_IJSA_SA_EEENS0_18inequality_wrapperIZN2at6native12_GLOBAL__N_124unique_dim_cuda_templateIbEESt5tupleIJNSH_6TensorESM_SM_EERKSM_lbbbEUlllE0_EEPmJS6_EEE10hipError_tPvRmT3_T4_T5_T6_T7_T9_mT8_P12ihipStream_tbDpT10_ENKUlT_T0_E_clISt17integral_constantIbLb1EES1B_IbLb0EEEEDaS17_S18_EUlS17_E_NS1_11comp_targetILNS1_3genE10ELNS1_11target_archE1200ELNS1_3gpuE4ELNS1_3repE0EEENS1_30default_config_static_selectorELNS0_4arch9wavefront6targetE1EEEvT1_,comdat
.Lfunc_end1072:
	.size	_ZN7rocprim17ROCPRIM_400000_NS6detail17trampoline_kernelINS0_14default_configENS1_25partition_config_selectorILNS1_17partition_subalgoE8ElNS0_10empty_typeEbEEZZNS1_14partition_implILS5_8ELb0ES3_jPlPS6_PKS6_NS0_5tupleIJS9_S6_EEENSD_IJSA_SA_EEENS0_18inequality_wrapperIZN2at6native12_GLOBAL__N_124unique_dim_cuda_templateIbEESt5tupleIJNSH_6TensorESM_SM_EERKSM_lbbbEUlllE0_EEPmJS6_EEE10hipError_tPvRmT3_T4_T5_T6_T7_T9_mT8_P12ihipStream_tbDpT10_ENKUlT_T0_E_clISt17integral_constantIbLb1EES1B_IbLb0EEEEDaS17_S18_EUlS17_E_NS1_11comp_targetILNS1_3genE10ELNS1_11target_archE1200ELNS1_3gpuE4ELNS1_3repE0EEENS1_30default_config_static_selectorELNS0_4arch9wavefront6targetE1EEEvT1_, .Lfunc_end1072-_ZN7rocprim17ROCPRIM_400000_NS6detail17trampoline_kernelINS0_14default_configENS1_25partition_config_selectorILNS1_17partition_subalgoE8ElNS0_10empty_typeEbEEZZNS1_14partition_implILS5_8ELb0ES3_jPlPS6_PKS6_NS0_5tupleIJS9_S6_EEENSD_IJSA_SA_EEENS0_18inequality_wrapperIZN2at6native12_GLOBAL__N_124unique_dim_cuda_templateIbEESt5tupleIJNSH_6TensorESM_SM_EERKSM_lbbbEUlllE0_EEPmJS6_EEE10hipError_tPvRmT3_T4_T5_T6_T7_T9_mT8_P12ihipStream_tbDpT10_ENKUlT_T0_E_clISt17integral_constantIbLb1EES1B_IbLb0EEEEDaS17_S18_EUlS17_E_NS1_11comp_targetILNS1_3genE10ELNS1_11target_archE1200ELNS1_3gpuE4ELNS1_3repE0EEENS1_30default_config_static_selectorELNS0_4arch9wavefront6targetE1EEEvT1_
                                        ; -- End function
	.section	.AMDGPU.csdata,"",@progbits
; Kernel info:
; codeLenInByte = 0
; NumSgprs: 4
; NumVgprs: 0
; NumAgprs: 0
; TotalNumVgprs: 0
; ScratchSize: 0
; MemoryBound: 0
; FloatMode: 240
; IeeeMode: 1
; LDSByteSize: 0 bytes/workgroup (compile time only)
; SGPRBlocks: 0
; VGPRBlocks: 0
; NumSGPRsForWavesPerEU: 4
; NumVGPRsForWavesPerEU: 1
; AccumOffset: 4
; Occupancy: 8
; WaveLimiterHint : 0
; COMPUTE_PGM_RSRC2:SCRATCH_EN: 0
; COMPUTE_PGM_RSRC2:USER_SGPR: 6
; COMPUTE_PGM_RSRC2:TRAP_HANDLER: 0
; COMPUTE_PGM_RSRC2:TGID_X_EN: 1
; COMPUTE_PGM_RSRC2:TGID_Y_EN: 0
; COMPUTE_PGM_RSRC2:TGID_Z_EN: 0
; COMPUTE_PGM_RSRC2:TIDIG_COMP_CNT: 0
; COMPUTE_PGM_RSRC3_GFX90A:ACCUM_OFFSET: 0
; COMPUTE_PGM_RSRC3_GFX90A:TG_SPLIT: 0
	.section	.text._ZN7rocprim17ROCPRIM_400000_NS6detail17trampoline_kernelINS0_14default_configENS1_25partition_config_selectorILNS1_17partition_subalgoE8ElNS0_10empty_typeEbEEZZNS1_14partition_implILS5_8ELb0ES3_jPlPS6_PKS6_NS0_5tupleIJS9_S6_EEENSD_IJSA_SA_EEENS0_18inequality_wrapperIZN2at6native12_GLOBAL__N_124unique_dim_cuda_templateIbEESt5tupleIJNSH_6TensorESM_SM_EERKSM_lbbbEUlllE0_EEPmJS6_EEE10hipError_tPvRmT3_T4_T5_T6_T7_T9_mT8_P12ihipStream_tbDpT10_ENKUlT_T0_E_clISt17integral_constantIbLb1EES1B_IbLb0EEEEDaS17_S18_EUlS17_E_NS1_11comp_targetILNS1_3genE9ELNS1_11target_archE1100ELNS1_3gpuE3ELNS1_3repE0EEENS1_30default_config_static_selectorELNS0_4arch9wavefront6targetE1EEEvT1_,"axG",@progbits,_ZN7rocprim17ROCPRIM_400000_NS6detail17trampoline_kernelINS0_14default_configENS1_25partition_config_selectorILNS1_17partition_subalgoE8ElNS0_10empty_typeEbEEZZNS1_14partition_implILS5_8ELb0ES3_jPlPS6_PKS6_NS0_5tupleIJS9_S6_EEENSD_IJSA_SA_EEENS0_18inequality_wrapperIZN2at6native12_GLOBAL__N_124unique_dim_cuda_templateIbEESt5tupleIJNSH_6TensorESM_SM_EERKSM_lbbbEUlllE0_EEPmJS6_EEE10hipError_tPvRmT3_T4_T5_T6_T7_T9_mT8_P12ihipStream_tbDpT10_ENKUlT_T0_E_clISt17integral_constantIbLb1EES1B_IbLb0EEEEDaS17_S18_EUlS17_E_NS1_11comp_targetILNS1_3genE9ELNS1_11target_archE1100ELNS1_3gpuE3ELNS1_3repE0EEENS1_30default_config_static_selectorELNS0_4arch9wavefront6targetE1EEEvT1_,comdat
	.globl	_ZN7rocprim17ROCPRIM_400000_NS6detail17trampoline_kernelINS0_14default_configENS1_25partition_config_selectorILNS1_17partition_subalgoE8ElNS0_10empty_typeEbEEZZNS1_14partition_implILS5_8ELb0ES3_jPlPS6_PKS6_NS0_5tupleIJS9_S6_EEENSD_IJSA_SA_EEENS0_18inequality_wrapperIZN2at6native12_GLOBAL__N_124unique_dim_cuda_templateIbEESt5tupleIJNSH_6TensorESM_SM_EERKSM_lbbbEUlllE0_EEPmJS6_EEE10hipError_tPvRmT3_T4_T5_T6_T7_T9_mT8_P12ihipStream_tbDpT10_ENKUlT_T0_E_clISt17integral_constantIbLb1EES1B_IbLb0EEEEDaS17_S18_EUlS17_E_NS1_11comp_targetILNS1_3genE9ELNS1_11target_archE1100ELNS1_3gpuE3ELNS1_3repE0EEENS1_30default_config_static_selectorELNS0_4arch9wavefront6targetE1EEEvT1_ ; -- Begin function _ZN7rocprim17ROCPRIM_400000_NS6detail17trampoline_kernelINS0_14default_configENS1_25partition_config_selectorILNS1_17partition_subalgoE8ElNS0_10empty_typeEbEEZZNS1_14partition_implILS5_8ELb0ES3_jPlPS6_PKS6_NS0_5tupleIJS9_S6_EEENSD_IJSA_SA_EEENS0_18inequality_wrapperIZN2at6native12_GLOBAL__N_124unique_dim_cuda_templateIbEESt5tupleIJNSH_6TensorESM_SM_EERKSM_lbbbEUlllE0_EEPmJS6_EEE10hipError_tPvRmT3_T4_T5_T6_T7_T9_mT8_P12ihipStream_tbDpT10_ENKUlT_T0_E_clISt17integral_constantIbLb1EES1B_IbLb0EEEEDaS17_S18_EUlS17_E_NS1_11comp_targetILNS1_3genE9ELNS1_11target_archE1100ELNS1_3gpuE3ELNS1_3repE0EEENS1_30default_config_static_selectorELNS0_4arch9wavefront6targetE1EEEvT1_
	.p2align	8
	.type	_ZN7rocprim17ROCPRIM_400000_NS6detail17trampoline_kernelINS0_14default_configENS1_25partition_config_selectorILNS1_17partition_subalgoE8ElNS0_10empty_typeEbEEZZNS1_14partition_implILS5_8ELb0ES3_jPlPS6_PKS6_NS0_5tupleIJS9_S6_EEENSD_IJSA_SA_EEENS0_18inequality_wrapperIZN2at6native12_GLOBAL__N_124unique_dim_cuda_templateIbEESt5tupleIJNSH_6TensorESM_SM_EERKSM_lbbbEUlllE0_EEPmJS6_EEE10hipError_tPvRmT3_T4_T5_T6_T7_T9_mT8_P12ihipStream_tbDpT10_ENKUlT_T0_E_clISt17integral_constantIbLb1EES1B_IbLb0EEEEDaS17_S18_EUlS17_E_NS1_11comp_targetILNS1_3genE9ELNS1_11target_archE1100ELNS1_3gpuE3ELNS1_3repE0EEENS1_30default_config_static_selectorELNS0_4arch9wavefront6targetE1EEEvT1_,@function
_ZN7rocprim17ROCPRIM_400000_NS6detail17trampoline_kernelINS0_14default_configENS1_25partition_config_selectorILNS1_17partition_subalgoE8ElNS0_10empty_typeEbEEZZNS1_14partition_implILS5_8ELb0ES3_jPlPS6_PKS6_NS0_5tupleIJS9_S6_EEENSD_IJSA_SA_EEENS0_18inequality_wrapperIZN2at6native12_GLOBAL__N_124unique_dim_cuda_templateIbEESt5tupleIJNSH_6TensorESM_SM_EERKSM_lbbbEUlllE0_EEPmJS6_EEE10hipError_tPvRmT3_T4_T5_T6_T7_T9_mT8_P12ihipStream_tbDpT10_ENKUlT_T0_E_clISt17integral_constantIbLb1EES1B_IbLb0EEEEDaS17_S18_EUlS17_E_NS1_11comp_targetILNS1_3genE9ELNS1_11target_archE1100ELNS1_3gpuE3ELNS1_3repE0EEENS1_30default_config_static_selectorELNS0_4arch9wavefront6targetE1EEEvT1_: ; @_ZN7rocprim17ROCPRIM_400000_NS6detail17trampoline_kernelINS0_14default_configENS1_25partition_config_selectorILNS1_17partition_subalgoE8ElNS0_10empty_typeEbEEZZNS1_14partition_implILS5_8ELb0ES3_jPlPS6_PKS6_NS0_5tupleIJS9_S6_EEENSD_IJSA_SA_EEENS0_18inequality_wrapperIZN2at6native12_GLOBAL__N_124unique_dim_cuda_templateIbEESt5tupleIJNSH_6TensorESM_SM_EERKSM_lbbbEUlllE0_EEPmJS6_EEE10hipError_tPvRmT3_T4_T5_T6_T7_T9_mT8_P12ihipStream_tbDpT10_ENKUlT_T0_E_clISt17integral_constantIbLb1EES1B_IbLb0EEEEDaS17_S18_EUlS17_E_NS1_11comp_targetILNS1_3genE9ELNS1_11target_archE1100ELNS1_3gpuE3ELNS1_3repE0EEENS1_30default_config_static_selectorELNS0_4arch9wavefront6targetE1EEEvT1_
; %bb.0:
	.section	.rodata,"a",@progbits
	.p2align	6, 0x0
	.amdhsa_kernel _ZN7rocprim17ROCPRIM_400000_NS6detail17trampoline_kernelINS0_14default_configENS1_25partition_config_selectorILNS1_17partition_subalgoE8ElNS0_10empty_typeEbEEZZNS1_14partition_implILS5_8ELb0ES3_jPlPS6_PKS6_NS0_5tupleIJS9_S6_EEENSD_IJSA_SA_EEENS0_18inequality_wrapperIZN2at6native12_GLOBAL__N_124unique_dim_cuda_templateIbEESt5tupleIJNSH_6TensorESM_SM_EERKSM_lbbbEUlllE0_EEPmJS6_EEE10hipError_tPvRmT3_T4_T5_T6_T7_T9_mT8_P12ihipStream_tbDpT10_ENKUlT_T0_E_clISt17integral_constantIbLb1EES1B_IbLb0EEEEDaS17_S18_EUlS17_E_NS1_11comp_targetILNS1_3genE9ELNS1_11target_archE1100ELNS1_3gpuE3ELNS1_3repE0EEENS1_30default_config_static_selectorELNS0_4arch9wavefront6targetE1EEEvT1_
		.amdhsa_group_segment_fixed_size 0
		.amdhsa_private_segment_fixed_size 0
		.amdhsa_kernarg_size 120
		.amdhsa_user_sgpr_count 6
		.amdhsa_user_sgpr_private_segment_buffer 1
		.amdhsa_user_sgpr_dispatch_ptr 0
		.amdhsa_user_sgpr_queue_ptr 0
		.amdhsa_user_sgpr_kernarg_segment_ptr 1
		.amdhsa_user_sgpr_dispatch_id 0
		.amdhsa_user_sgpr_flat_scratch_init 0
		.amdhsa_user_sgpr_kernarg_preload_length 0
		.amdhsa_user_sgpr_kernarg_preload_offset 0
		.amdhsa_user_sgpr_private_segment_size 0
		.amdhsa_uses_dynamic_stack 0
		.amdhsa_system_sgpr_private_segment_wavefront_offset 0
		.amdhsa_system_sgpr_workgroup_id_x 1
		.amdhsa_system_sgpr_workgroup_id_y 0
		.amdhsa_system_sgpr_workgroup_id_z 0
		.amdhsa_system_sgpr_workgroup_info 0
		.amdhsa_system_vgpr_workitem_id 0
		.amdhsa_next_free_vgpr 1
		.amdhsa_next_free_sgpr 0
		.amdhsa_accum_offset 4
		.amdhsa_reserve_vcc 0
		.amdhsa_reserve_flat_scratch 0
		.amdhsa_float_round_mode_32 0
		.amdhsa_float_round_mode_16_64 0
		.amdhsa_float_denorm_mode_32 3
		.amdhsa_float_denorm_mode_16_64 3
		.amdhsa_dx10_clamp 1
		.amdhsa_ieee_mode 1
		.amdhsa_fp16_overflow 0
		.amdhsa_tg_split 0
		.amdhsa_exception_fp_ieee_invalid_op 0
		.amdhsa_exception_fp_denorm_src 0
		.amdhsa_exception_fp_ieee_div_zero 0
		.amdhsa_exception_fp_ieee_overflow 0
		.amdhsa_exception_fp_ieee_underflow 0
		.amdhsa_exception_fp_ieee_inexact 0
		.amdhsa_exception_int_div_zero 0
	.end_amdhsa_kernel
	.section	.text._ZN7rocprim17ROCPRIM_400000_NS6detail17trampoline_kernelINS0_14default_configENS1_25partition_config_selectorILNS1_17partition_subalgoE8ElNS0_10empty_typeEbEEZZNS1_14partition_implILS5_8ELb0ES3_jPlPS6_PKS6_NS0_5tupleIJS9_S6_EEENSD_IJSA_SA_EEENS0_18inequality_wrapperIZN2at6native12_GLOBAL__N_124unique_dim_cuda_templateIbEESt5tupleIJNSH_6TensorESM_SM_EERKSM_lbbbEUlllE0_EEPmJS6_EEE10hipError_tPvRmT3_T4_T5_T6_T7_T9_mT8_P12ihipStream_tbDpT10_ENKUlT_T0_E_clISt17integral_constantIbLb1EES1B_IbLb0EEEEDaS17_S18_EUlS17_E_NS1_11comp_targetILNS1_3genE9ELNS1_11target_archE1100ELNS1_3gpuE3ELNS1_3repE0EEENS1_30default_config_static_selectorELNS0_4arch9wavefront6targetE1EEEvT1_,"axG",@progbits,_ZN7rocprim17ROCPRIM_400000_NS6detail17trampoline_kernelINS0_14default_configENS1_25partition_config_selectorILNS1_17partition_subalgoE8ElNS0_10empty_typeEbEEZZNS1_14partition_implILS5_8ELb0ES3_jPlPS6_PKS6_NS0_5tupleIJS9_S6_EEENSD_IJSA_SA_EEENS0_18inequality_wrapperIZN2at6native12_GLOBAL__N_124unique_dim_cuda_templateIbEESt5tupleIJNSH_6TensorESM_SM_EERKSM_lbbbEUlllE0_EEPmJS6_EEE10hipError_tPvRmT3_T4_T5_T6_T7_T9_mT8_P12ihipStream_tbDpT10_ENKUlT_T0_E_clISt17integral_constantIbLb1EES1B_IbLb0EEEEDaS17_S18_EUlS17_E_NS1_11comp_targetILNS1_3genE9ELNS1_11target_archE1100ELNS1_3gpuE3ELNS1_3repE0EEENS1_30default_config_static_selectorELNS0_4arch9wavefront6targetE1EEEvT1_,comdat
.Lfunc_end1073:
	.size	_ZN7rocprim17ROCPRIM_400000_NS6detail17trampoline_kernelINS0_14default_configENS1_25partition_config_selectorILNS1_17partition_subalgoE8ElNS0_10empty_typeEbEEZZNS1_14partition_implILS5_8ELb0ES3_jPlPS6_PKS6_NS0_5tupleIJS9_S6_EEENSD_IJSA_SA_EEENS0_18inequality_wrapperIZN2at6native12_GLOBAL__N_124unique_dim_cuda_templateIbEESt5tupleIJNSH_6TensorESM_SM_EERKSM_lbbbEUlllE0_EEPmJS6_EEE10hipError_tPvRmT3_T4_T5_T6_T7_T9_mT8_P12ihipStream_tbDpT10_ENKUlT_T0_E_clISt17integral_constantIbLb1EES1B_IbLb0EEEEDaS17_S18_EUlS17_E_NS1_11comp_targetILNS1_3genE9ELNS1_11target_archE1100ELNS1_3gpuE3ELNS1_3repE0EEENS1_30default_config_static_selectorELNS0_4arch9wavefront6targetE1EEEvT1_, .Lfunc_end1073-_ZN7rocprim17ROCPRIM_400000_NS6detail17trampoline_kernelINS0_14default_configENS1_25partition_config_selectorILNS1_17partition_subalgoE8ElNS0_10empty_typeEbEEZZNS1_14partition_implILS5_8ELb0ES3_jPlPS6_PKS6_NS0_5tupleIJS9_S6_EEENSD_IJSA_SA_EEENS0_18inequality_wrapperIZN2at6native12_GLOBAL__N_124unique_dim_cuda_templateIbEESt5tupleIJNSH_6TensorESM_SM_EERKSM_lbbbEUlllE0_EEPmJS6_EEE10hipError_tPvRmT3_T4_T5_T6_T7_T9_mT8_P12ihipStream_tbDpT10_ENKUlT_T0_E_clISt17integral_constantIbLb1EES1B_IbLb0EEEEDaS17_S18_EUlS17_E_NS1_11comp_targetILNS1_3genE9ELNS1_11target_archE1100ELNS1_3gpuE3ELNS1_3repE0EEENS1_30default_config_static_selectorELNS0_4arch9wavefront6targetE1EEEvT1_
                                        ; -- End function
	.section	.AMDGPU.csdata,"",@progbits
; Kernel info:
; codeLenInByte = 0
; NumSgprs: 4
; NumVgprs: 0
; NumAgprs: 0
; TotalNumVgprs: 0
; ScratchSize: 0
; MemoryBound: 0
; FloatMode: 240
; IeeeMode: 1
; LDSByteSize: 0 bytes/workgroup (compile time only)
; SGPRBlocks: 0
; VGPRBlocks: 0
; NumSGPRsForWavesPerEU: 4
; NumVGPRsForWavesPerEU: 1
; AccumOffset: 4
; Occupancy: 8
; WaveLimiterHint : 0
; COMPUTE_PGM_RSRC2:SCRATCH_EN: 0
; COMPUTE_PGM_RSRC2:USER_SGPR: 6
; COMPUTE_PGM_RSRC2:TRAP_HANDLER: 0
; COMPUTE_PGM_RSRC2:TGID_X_EN: 1
; COMPUTE_PGM_RSRC2:TGID_Y_EN: 0
; COMPUTE_PGM_RSRC2:TGID_Z_EN: 0
; COMPUTE_PGM_RSRC2:TIDIG_COMP_CNT: 0
; COMPUTE_PGM_RSRC3_GFX90A:ACCUM_OFFSET: 0
; COMPUTE_PGM_RSRC3_GFX90A:TG_SPLIT: 0
	.section	.text._ZN7rocprim17ROCPRIM_400000_NS6detail17trampoline_kernelINS0_14default_configENS1_25partition_config_selectorILNS1_17partition_subalgoE8ElNS0_10empty_typeEbEEZZNS1_14partition_implILS5_8ELb0ES3_jPlPS6_PKS6_NS0_5tupleIJS9_S6_EEENSD_IJSA_SA_EEENS0_18inequality_wrapperIZN2at6native12_GLOBAL__N_124unique_dim_cuda_templateIbEESt5tupleIJNSH_6TensorESM_SM_EERKSM_lbbbEUlllE0_EEPmJS6_EEE10hipError_tPvRmT3_T4_T5_T6_T7_T9_mT8_P12ihipStream_tbDpT10_ENKUlT_T0_E_clISt17integral_constantIbLb1EES1B_IbLb0EEEEDaS17_S18_EUlS17_E_NS1_11comp_targetILNS1_3genE8ELNS1_11target_archE1030ELNS1_3gpuE2ELNS1_3repE0EEENS1_30default_config_static_selectorELNS0_4arch9wavefront6targetE1EEEvT1_,"axG",@progbits,_ZN7rocprim17ROCPRIM_400000_NS6detail17trampoline_kernelINS0_14default_configENS1_25partition_config_selectorILNS1_17partition_subalgoE8ElNS0_10empty_typeEbEEZZNS1_14partition_implILS5_8ELb0ES3_jPlPS6_PKS6_NS0_5tupleIJS9_S6_EEENSD_IJSA_SA_EEENS0_18inequality_wrapperIZN2at6native12_GLOBAL__N_124unique_dim_cuda_templateIbEESt5tupleIJNSH_6TensorESM_SM_EERKSM_lbbbEUlllE0_EEPmJS6_EEE10hipError_tPvRmT3_T4_T5_T6_T7_T9_mT8_P12ihipStream_tbDpT10_ENKUlT_T0_E_clISt17integral_constantIbLb1EES1B_IbLb0EEEEDaS17_S18_EUlS17_E_NS1_11comp_targetILNS1_3genE8ELNS1_11target_archE1030ELNS1_3gpuE2ELNS1_3repE0EEENS1_30default_config_static_selectorELNS0_4arch9wavefront6targetE1EEEvT1_,comdat
	.globl	_ZN7rocprim17ROCPRIM_400000_NS6detail17trampoline_kernelINS0_14default_configENS1_25partition_config_selectorILNS1_17partition_subalgoE8ElNS0_10empty_typeEbEEZZNS1_14partition_implILS5_8ELb0ES3_jPlPS6_PKS6_NS0_5tupleIJS9_S6_EEENSD_IJSA_SA_EEENS0_18inequality_wrapperIZN2at6native12_GLOBAL__N_124unique_dim_cuda_templateIbEESt5tupleIJNSH_6TensorESM_SM_EERKSM_lbbbEUlllE0_EEPmJS6_EEE10hipError_tPvRmT3_T4_T5_T6_T7_T9_mT8_P12ihipStream_tbDpT10_ENKUlT_T0_E_clISt17integral_constantIbLb1EES1B_IbLb0EEEEDaS17_S18_EUlS17_E_NS1_11comp_targetILNS1_3genE8ELNS1_11target_archE1030ELNS1_3gpuE2ELNS1_3repE0EEENS1_30default_config_static_selectorELNS0_4arch9wavefront6targetE1EEEvT1_ ; -- Begin function _ZN7rocprim17ROCPRIM_400000_NS6detail17trampoline_kernelINS0_14default_configENS1_25partition_config_selectorILNS1_17partition_subalgoE8ElNS0_10empty_typeEbEEZZNS1_14partition_implILS5_8ELb0ES3_jPlPS6_PKS6_NS0_5tupleIJS9_S6_EEENSD_IJSA_SA_EEENS0_18inequality_wrapperIZN2at6native12_GLOBAL__N_124unique_dim_cuda_templateIbEESt5tupleIJNSH_6TensorESM_SM_EERKSM_lbbbEUlllE0_EEPmJS6_EEE10hipError_tPvRmT3_T4_T5_T6_T7_T9_mT8_P12ihipStream_tbDpT10_ENKUlT_T0_E_clISt17integral_constantIbLb1EES1B_IbLb0EEEEDaS17_S18_EUlS17_E_NS1_11comp_targetILNS1_3genE8ELNS1_11target_archE1030ELNS1_3gpuE2ELNS1_3repE0EEENS1_30default_config_static_selectorELNS0_4arch9wavefront6targetE1EEEvT1_
	.p2align	8
	.type	_ZN7rocprim17ROCPRIM_400000_NS6detail17trampoline_kernelINS0_14default_configENS1_25partition_config_selectorILNS1_17partition_subalgoE8ElNS0_10empty_typeEbEEZZNS1_14partition_implILS5_8ELb0ES3_jPlPS6_PKS6_NS0_5tupleIJS9_S6_EEENSD_IJSA_SA_EEENS0_18inequality_wrapperIZN2at6native12_GLOBAL__N_124unique_dim_cuda_templateIbEESt5tupleIJNSH_6TensorESM_SM_EERKSM_lbbbEUlllE0_EEPmJS6_EEE10hipError_tPvRmT3_T4_T5_T6_T7_T9_mT8_P12ihipStream_tbDpT10_ENKUlT_T0_E_clISt17integral_constantIbLb1EES1B_IbLb0EEEEDaS17_S18_EUlS17_E_NS1_11comp_targetILNS1_3genE8ELNS1_11target_archE1030ELNS1_3gpuE2ELNS1_3repE0EEENS1_30default_config_static_selectorELNS0_4arch9wavefront6targetE1EEEvT1_,@function
_ZN7rocprim17ROCPRIM_400000_NS6detail17trampoline_kernelINS0_14default_configENS1_25partition_config_selectorILNS1_17partition_subalgoE8ElNS0_10empty_typeEbEEZZNS1_14partition_implILS5_8ELb0ES3_jPlPS6_PKS6_NS0_5tupleIJS9_S6_EEENSD_IJSA_SA_EEENS0_18inequality_wrapperIZN2at6native12_GLOBAL__N_124unique_dim_cuda_templateIbEESt5tupleIJNSH_6TensorESM_SM_EERKSM_lbbbEUlllE0_EEPmJS6_EEE10hipError_tPvRmT3_T4_T5_T6_T7_T9_mT8_P12ihipStream_tbDpT10_ENKUlT_T0_E_clISt17integral_constantIbLb1EES1B_IbLb0EEEEDaS17_S18_EUlS17_E_NS1_11comp_targetILNS1_3genE8ELNS1_11target_archE1030ELNS1_3gpuE2ELNS1_3repE0EEENS1_30default_config_static_selectorELNS0_4arch9wavefront6targetE1EEEvT1_: ; @_ZN7rocprim17ROCPRIM_400000_NS6detail17trampoline_kernelINS0_14default_configENS1_25partition_config_selectorILNS1_17partition_subalgoE8ElNS0_10empty_typeEbEEZZNS1_14partition_implILS5_8ELb0ES3_jPlPS6_PKS6_NS0_5tupleIJS9_S6_EEENSD_IJSA_SA_EEENS0_18inequality_wrapperIZN2at6native12_GLOBAL__N_124unique_dim_cuda_templateIbEESt5tupleIJNSH_6TensorESM_SM_EERKSM_lbbbEUlllE0_EEPmJS6_EEE10hipError_tPvRmT3_T4_T5_T6_T7_T9_mT8_P12ihipStream_tbDpT10_ENKUlT_T0_E_clISt17integral_constantIbLb1EES1B_IbLb0EEEEDaS17_S18_EUlS17_E_NS1_11comp_targetILNS1_3genE8ELNS1_11target_archE1030ELNS1_3gpuE2ELNS1_3repE0EEENS1_30default_config_static_selectorELNS0_4arch9wavefront6targetE1EEEvT1_
; %bb.0:
	.section	.rodata,"a",@progbits
	.p2align	6, 0x0
	.amdhsa_kernel _ZN7rocprim17ROCPRIM_400000_NS6detail17trampoline_kernelINS0_14default_configENS1_25partition_config_selectorILNS1_17partition_subalgoE8ElNS0_10empty_typeEbEEZZNS1_14partition_implILS5_8ELb0ES3_jPlPS6_PKS6_NS0_5tupleIJS9_S6_EEENSD_IJSA_SA_EEENS0_18inequality_wrapperIZN2at6native12_GLOBAL__N_124unique_dim_cuda_templateIbEESt5tupleIJNSH_6TensorESM_SM_EERKSM_lbbbEUlllE0_EEPmJS6_EEE10hipError_tPvRmT3_T4_T5_T6_T7_T9_mT8_P12ihipStream_tbDpT10_ENKUlT_T0_E_clISt17integral_constantIbLb1EES1B_IbLb0EEEEDaS17_S18_EUlS17_E_NS1_11comp_targetILNS1_3genE8ELNS1_11target_archE1030ELNS1_3gpuE2ELNS1_3repE0EEENS1_30default_config_static_selectorELNS0_4arch9wavefront6targetE1EEEvT1_
		.amdhsa_group_segment_fixed_size 0
		.amdhsa_private_segment_fixed_size 0
		.amdhsa_kernarg_size 120
		.amdhsa_user_sgpr_count 6
		.amdhsa_user_sgpr_private_segment_buffer 1
		.amdhsa_user_sgpr_dispatch_ptr 0
		.amdhsa_user_sgpr_queue_ptr 0
		.amdhsa_user_sgpr_kernarg_segment_ptr 1
		.amdhsa_user_sgpr_dispatch_id 0
		.amdhsa_user_sgpr_flat_scratch_init 0
		.amdhsa_user_sgpr_kernarg_preload_length 0
		.amdhsa_user_sgpr_kernarg_preload_offset 0
		.amdhsa_user_sgpr_private_segment_size 0
		.amdhsa_uses_dynamic_stack 0
		.amdhsa_system_sgpr_private_segment_wavefront_offset 0
		.amdhsa_system_sgpr_workgroup_id_x 1
		.amdhsa_system_sgpr_workgroup_id_y 0
		.amdhsa_system_sgpr_workgroup_id_z 0
		.amdhsa_system_sgpr_workgroup_info 0
		.amdhsa_system_vgpr_workitem_id 0
		.amdhsa_next_free_vgpr 1
		.amdhsa_next_free_sgpr 0
		.amdhsa_accum_offset 4
		.amdhsa_reserve_vcc 0
		.amdhsa_reserve_flat_scratch 0
		.amdhsa_float_round_mode_32 0
		.amdhsa_float_round_mode_16_64 0
		.amdhsa_float_denorm_mode_32 3
		.amdhsa_float_denorm_mode_16_64 3
		.amdhsa_dx10_clamp 1
		.amdhsa_ieee_mode 1
		.amdhsa_fp16_overflow 0
		.amdhsa_tg_split 0
		.amdhsa_exception_fp_ieee_invalid_op 0
		.amdhsa_exception_fp_denorm_src 0
		.amdhsa_exception_fp_ieee_div_zero 0
		.amdhsa_exception_fp_ieee_overflow 0
		.amdhsa_exception_fp_ieee_underflow 0
		.amdhsa_exception_fp_ieee_inexact 0
		.amdhsa_exception_int_div_zero 0
	.end_amdhsa_kernel
	.section	.text._ZN7rocprim17ROCPRIM_400000_NS6detail17trampoline_kernelINS0_14default_configENS1_25partition_config_selectorILNS1_17partition_subalgoE8ElNS0_10empty_typeEbEEZZNS1_14partition_implILS5_8ELb0ES3_jPlPS6_PKS6_NS0_5tupleIJS9_S6_EEENSD_IJSA_SA_EEENS0_18inequality_wrapperIZN2at6native12_GLOBAL__N_124unique_dim_cuda_templateIbEESt5tupleIJNSH_6TensorESM_SM_EERKSM_lbbbEUlllE0_EEPmJS6_EEE10hipError_tPvRmT3_T4_T5_T6_T7_T9_mT8_P12ihipStream_tbDpT10_ENKUlT_T0_E_clISt17integral_constantIbLb1EES1B_IbLb0EEEEDaS17_S18_EUlS17_E_NS1_11comp_targetILNS1_3genE8ELNS1_11target_archE1030ELNS1_3gpuE2ELNS1_3repE0EEENS1_30default_config_static_selectorELNS0_4arch9wavefront6targetE1EEEvT1_,"axG",@progbits,_ZN7rocprim17ROCPRIM_400000_NS6detail17trampoline_kernelINS0_14default_configENS1_25partition_config_selectorILNS1_17partition_subalgoE8ElNS0_10empty_typeEbEEZZNS1_14partition_implILS5_8ELb0ES3_jPlPS6_PKS6_NS0_5tupleIJS9_S6_EEENSD_IJSA_SA_EEENS0_18inequality_wrapperIZN2at6native12_GLOBAL__N_124unique_dim_cuda_templateIbEESt5tupleIJNSH_6TensorESM_SM_EERKSM_lbbbEUlllE0_EEPmJS6_EEE10hipError_tPvRmT3_T4_T5_T6_T7_T9_mT8_P12ihipStream_tbDpT10_ENKUlT_T0_E_clISt17integral_constantIbLb1EES1B_IbLb0EEEEDaS17_S18_EUlS17_E_NS1_11comp_targetILNS1_3genE8ELNS1_11target_archE1030ELNS1_3gpuE2ELNS1_3repE0EEENS1_30default_config_static_selectorELNS0_4arch9wavefront6targetE1EEEvT1_,comdat
.Lfunc_end1074:
	.size	_ZN7rocprim17ROCPRIM_400000_NS6detail17trampoline_kernelINS0_14default_configENS1_25partition_config_selectorILNS1_17partition_subalgoE8ElNS0_10empty_typeEbEEZZNS1_14partition_implILS5_8ELb0ES3_jPlPS6_PKS6_NS0_5tupleIJS9_S6_EEENSD_IJSA_SA_EEENS0_18inequality_wrapperIZN2at6native12_GLOBAL__N_124unique_dim_cuda_templateIbEESt5tupleIJNSH_6TensorESM_SM_EERKSM_lbbbEUlllE0_EEPmJS6_EEE10hipError_tPvRmT3_T4_T5_T6_T7_T9_mT8_P12ihipStream_tbDpT10_ENKUlT_T0_E_clISt17integral_constantIbLb1EES1B_IbLb0EEEEDaS17_S18_EUlS17_E_NS1_11comp_targetILNS1_3genE8ELNS1_11target_archE1030ELNS1_3gpuE2ELNS1_3repE0EEENS1_30default_config_static_selectorELNS0_4arch9wavefront6targetE1EEEvT1_, .Lfunc_end1074-_ZN7rocprim17ROCPRIM_400000_NS6detail17trampoline_kernelINS0_14default_configENS1_25partition_config_selectorILNS1_17partition_subalgoE8ElNS0_10empty_typeEbEEZZNS1_14partition_implILS5_8ELb0ES3_jPlPS6_PKS6_NS0_5tupleIJS9_S6_EEENSD_IJSA_SA_EEENS0_18inequality_wrapperIZN2at6native12_GLOBAL__N_124unique_dim_cuda_templateIbEESt5tupleIJNSH_6TensorESM_SM_EERKSM_lbbbEUlllE0_EEPmJS6_EEE10hipError_tPvRmT3_T4_T5_T6_T7_T9_mT8_P12ihipStream_tbDpT10_ENKUlT_T0_E_clISt17integral_constantIbLb1EES1B_IbLb0EEEEDaS17_S18_EUlS17_E_NS1_11comp_targetILNS1_3genE8ELNS1_11target_archE1030ELNS1_3gpuE2ELNS1_3repE0EEENS1_30default_config_static_selectorELNS0_4arch9wavefront6targetE1EEEvT1_
                                        ; -- End function
	.section	.AMDGPU.csdata,"",@progbits
; Kernel info:
; codeLenInByte = 0
; NumSgprs: 4
; NumVgprs: 0
; NumAgprs: 0
; TotalNumVgprs: 0
; ScratchSize: 0
; MemoryBound: 0
; FloatMode: 240
; IeeeMode: 1
; LDSByteSize: 0 bytes/workgroup (compile time only)
; SGPRBlocks: 0
; VGPRBlocks: 0
; NumSGPRsForWavesPerEU: 4
; NumVGPRsForWavesPerEU: 1
; AccumOffset: 4
; Occupancy: 8
; WaveLimiterHint : 0
; COMPUTE_PGM_RSRC2:SCRATCH_EN: 0
; COMPUTE_PGM_RSRC2:USER_SGPR: 6
; COMPUTE_PGM_RSRC2:TRAP_HANDLER: 0
; COMPUTE_PGM_RSRC2:TGID_X_EN: 1
; COMPUTE_PGM_RSRC2:TGID_Y_EN: 0
; COMPUTE_PGM_RSRC2:TGID_Z_EN: 0
; COMPUTE_PGM_RSRC2:TIDIG_COMP_CNT: 0
; COMPUTE_PGM_RSRC3_GFX90A:ACCUM_OFFSET: 0
; COMPUTE_PGM_RSRC3_GFX90A:TG_SPLIT: 0
	.section	.text._ZN7rocprim17ROCPRIM_400000_NS6detail17trampoline_kernelINS0_14default_configENS1_25partition_config_selectorILNS1_17partition_subalgoE8ElNS0_10empty_typeEbEEZZNS1_14partition_implILS5_8ELb0ES3_jPlPS6_PKS6_NS0_5tupleIJS9_S6_EEENSD_IJSA_SA_EEENS0_18inequality_wrapperIZN2at6native12_GLOBAL__N_124unique_dim_cuda_templateIbEESt5tupleIJNSH_6TensorESM_SM_EERKSM_lbbbEUlllE0_EEPmJS6_EEE10hipError_tPvRmT3_T4_T5_T6_T7_T9_mT8_P12ihipStream_tbDpT10_ENKUlT_T0_E_clISt17integral_constantIbLb0EES1B_IbLb1EEEEDaS17_S18_EUlS17_E_NS1_11comp_targetILNS1_3genE0ELNS1_11target_archE4294967295ELNS1_3gpuE0ELNS1_3repE0EEENS1_30default_config_static_selectorELNS0_4arch9wavefront6targetE1EEEvT1_,"axG",@progbits,_ZN7rocprim17ROCPRIM_400000_NS6detail17trampoline_kernelINS0_14default_configENS1_25partition_config_selectorILNS1_17partition_subalgoE8ElNS0_10empty_typeEbEEZZNS1_14partition_implILS5_8ELb0ES3_jPlPS6_PKS6_NS0_5tupleIJS9_S6_EEENSD_IJSA_SA_EEENS0_18inequality_wrapperIZN2at6native12_GLOBAL__N_124unique_dim_cuda_templateIbEESt5tupleIJNSH_6TensorESM_SM_EERKSM_lbbbEUlllE0_EEPmJS6_EEE10hipError_tPvRmT3_T4_T5_T6_T7_T9_mT8_P12ihipStream_tbDpT10_ENKUlT_T0_E_clISt17integral_constantIbLb0EES1B_IbLb1EEEEDaS17_S18_EUlS17_E_NS1_11comp_targetILNS1_3genE0ELNS1_11target_archE4294967295ELNS1_3gpuE0ELNS1_3repE0EEENS1_30default_config_static_selectorELNS0_4arch9wavefront6targetE1EEEvT1_,comdat
	.globl	_ZN7rocprim17ROCPRIM_400000_NS6detail17trampoline_kernelINS0_14default_configENS1_25partition_config_selectorILNS1_17partition_subalgoE8ElNS0_10empty_typeEbEEZZNS1_14partition_implILS5_8ELb0ES3_jPlPS6_PKS6_NS0_5tupleIJS9_S6_EEENSD_IJSA_SA_EEENS0_18inequality_wrapperIZN2at6native12_GLOBAL__N_124unique_dim_cuda_templateIbEESt5tupleIJNSH_6TensorESM_SM_EERKSM_lbbbEUlllE0_EEPmJS6_EEE10hipError_tPvRmT3_T4_T5_T6_T7_T9_mT8_P12ihipStream_tbDpT10_ENKUlT_T0_E_clISt17integral_constantIbLb0EES1B_IbLb1EEEEDaS17_S18_EUlS17_E_NS1_11comp_targetILNS1_3genE0ELNS1_11target_archE4294967295ELNS1_3gpuE0ELNS1_3repE0EEENS1_30default_config_static_selectorELNS0_4arch9wavefront6targetE1EEEvT1_ ; -- Begin function _ZN7rocprim17ROCPRIM_400000_NS6detail17trampoline_kernelINS0_14default_configENS1_25partition_config_selectorILNS1_17partition_subalgoE8ElNS0_10empty_typeEbEEZZNS1_14partition_implILS5_8ELb0ES3_jPlPS6_PKS6_NS0_5tupleIJS9_S6_EEENSD_IJSA_SA_EEENS0_18inequality_wrapperIZN2at6native12_GLOBAL__N_124unique_dim_cuda_templateIbEESt5tupleIJNSH_6TensorESM_SM_EERKSM_lbbbEUlllE0_EEPmJS6_EEE10hipError_tPvRmT3_T4_T5_T6_T7_T9_mT8_P12ihipStream_tbDpT10_ENKUlT_T0_E_clISt17integral_constantIbLb0EES1B_IbLb1EEEEDaS17_S18_EUlS17_E_NS1_11comp_targetILNS1_3genE0ELNS1_11target_archE4294967295ELNS1_3gpuE0ELNS1_3repE0EEENS1_30default_config_static_selectorELNS0_4arch9wavefront6targetE1EEEvT1_
	.p2align	8
	.type	_ZN7rocprim17ROCPRIM_400000_NS6detail17trampoline_kernelINS0_14default_configENS1_25partition_config_selectorILNS1_17partition_subalgoE8ElNS0_10empty_typeEbEEZZNS1_14partition_implILS5_8ELb0ES3_jPlPS6_PKS6_NS0_5tupleIJS9_S6_EEENSD_IJSA_SA_EEENS0_18inequality_wrapperIZN2at6native12_GLOBAL__N_124unique_dim_cuda_templateIbEESt5tupleIJNSH_6TensorESM_SM_EERKSM_lbbbEUlllE0_EEPmJS6_EEE10hipError_tPvRmT3_T4_T5_T6_T7_T9_mT8_P12ihipStream_tbDpT10_ENKUlT_T0_E_clISt17integral_constantIbLb0EES1B_IbLb1EEEEDaS17_S18_EUlS17_E_NS1_11comp_targetILNS1_3genE0ELNS1_11target_archE4294967295ELNS1_3gpuE0ELNS1_3repE0EEENS1_30default_config_static_selectorELNS0_4arch9wavefront6targetE1EEEvT1_,@function
_ZN7rocprim17ROCPRIM_400000_NS6detail17trampoline_kernelINS0_14default_configENS1_25partition_config_selectorILNS1_17partition_subalgoE8ElNS0_10empty_typeEbEEZZNS1_14partition_implILS5_8ELb0ES3_jPlPS6_PKS6_NS0_5tupleIJS9_S6_EEENSD_IJSA_SA_EEENS0_18inequality_wrapperIZN2at6native12_GLOBAL__N_124unique_dim_cuda_templateIbEESt5tupleIJNSH_6TensorESM_SM_EERKSM_lbbbEUlllE0_EEPmJS6_EEE10hipError_tPvRmT3_T4_T5_T6_T7_T9_mT8_P12ihipStream_tbDpT10_ENKUlT_T0_E_clISt17integral_constantIbLb0EES1B_IbLb1EEEEDaS17_S18_EUlS17_E_NS1_11comp_targetILNS1_3genE0ELNS1_11target_archE4294967295ELNS1_3gpuE0ELNS1_3repE0EEENS1_30default_config_static_selectorELNS0_4arch9wavefront6targetE1EEEvT1_: ; @_ZN7rocprim17ROCPRIM_400000_NS6detail17trampoline_kernelINS0_14default_configENS1_25partition_config_selectorILNS1_17partition_subalgoE8ElNS0_10empty_typeEbEEZZNS1_14partition_implILS5_8ELb0ES3_jPlPS6_PKS6_NS0_5tupleIJS9_S6_EEENSD_IJSA_SA_EEENS0_18inequality_wrapperIZN2at6native12_GLOBAL__N_124unique_dim_cuda_templateIbEESt5tupleIJNSH_6TensorESM_SM_EERKSM_lbbbEUlllE0_EEPmJS6_EEE10hipError_tPvRmT3_T4_T5_T6_T7_T9_mT8_P12ihipStream_tbDpT10_ENKUlT_T0_E_clISt17integral_constantIbLb0EES1B_IbLb1EEEEDaS17_S18_EUlS17_E_NS1_11comp_targetILNS1_3genE0ELNS1_11target_archE4294967295ELNS1_3gpuE0ELNS1_3repE0EEENS1_30default_config_static_selectorELNS0_4arch9wavefront6targetE1EEEvT1_
; %bb.0:
	.section	.rodata,"a",@progbits
	.p2align	6, 0x0
	.amdhsa_kernel _ZN7rocprim17ROCPRIM_400000_NS6detail17trampoline_kernelINS0_14default_configENS1_25partition_config_selectorILNS1_17partition_subalgoE8ElNS0_10empty_typeEbEEZZNS1_14partition_implILS5_8ELb0ES3_jPlPS6_PKS6_NS0_5tupleIJS9_S6_EEENSD_IJSA_SA_EEENS0_18inequality_wrapperIZN2at6native12_GLOBAL__N_124unique_dim_cuda_templateIbEESt5tupleIJNSH_6TensorESM_SM_EERKSM_lbbbEUlllE0_EEPmJS6_EEE10hipError_tPvRmT3_T4_T5_T6_T7_T9_mT8_P12ihipStream_tbDpT10_ENKUlT_T0_E_clISt17integral_constantIbLb0EES1B_IbLb1EEEEDaS17_S18_EUlS17_E_NS1_11comp_targetILNS1_3genE0ELNS1_11target_archE4294967295ELNS1_3gpuE0ELNS1_3repE0EEENS1_30default_config_static_selectorELNS0_4arch9wavefront6targetE1EEEvT1_
		.amdhsa_group_segment_fixed_size 0
		.amdhsa_private_segment_fixed_size 0
		.amdhsa_kernarg_size 136
		.amdhsa_user_sgpr_count 6
		.amdhsa_user_sgpr_private_segment_buffer 1
		.amdhsa_user_sgpr_dispatch_ptr 0
		.amdhsa_user_sgpr_queue_ptr 0
		.amdhsa_user_sgpr_kernarg_segment_ptr 1
		.amdhsa_user_sgpr_dispatch_id 0
		.amdhsa_user_sgpr_flat_scratch_init 0
		.amdhsa_user_sgpr_kernarg_preload_length 0
		.amdhsa_user_sgpr_kernarg_preload_offset 0
		.amdhsa_user_sgpr_private_segment_size 0
		.amdhsa_uses_dynamic_stack 0
		.amdhsa_system_sgpr_private_segment_wavefront_offset 0
		.amdhsa_system_sgpr_workgroup_id_x 1
		.amdhsa_system_sgpr_workgroup_id_y 0
		.amdhsa_system_sgpr_workgroup_id_z 0
		.amdhsa_system_sgpr_workgroup_info 0
		.amdhsa_system_vgpr_workitem_id 0
		.amdhsa_next_free_vgpr 1
		.amdhsa_next_free_sgpr 0
		.amdhsa_accum_offset 4
		.amdhsa_reserve_vcc 0
		.amdhsa_reserve_flat_scratch 0
		.amdhsa_float_round_mode_32 0
		.amdhsa_float_round_mode_16_64 0
		.amdhsa_float_denorm_mode_32 3
		.amdhsa_float_denorm_mode_16_64 3
		.amdhsa_dx10_clamp 1
		.amdhsa_ieee_mode 1
		.amdhsa_fp16_overflow 0
		.amdhsa_tg_split 0
		.amdhsa_exception_fp_ieee_invalid_op 0
		.amdhsa_exception_fp_denorm_src 0
		.amdhsa_exception_fp_ieee_div_zero 0
		.amdhsa_exception_fp_ieee_overflow 0
		.amdhsa_exception_fp_ieee_underflow 0
		.amdhsa_exception_fp_ieee_inexact 0
		.amdhsa_exception_int_div_zero 0
	.end_amdhsa_kernel
	.section	.text._ZN7rocprim17ROCPRIM_400000_NS6detail17trampoline_kernelINS0_14default_configENS1_25partition_config_selectorILNS1_17partition_subalgoE8ElNS0_10empty_typeEbEEZZNS1_14partition_implILS5_8ELb0ES3_jPlPS6_PKS6_NS0_5tupleIJS9_S6_EEENSD_IJSA_SA_EEENS0_18inequality_wrapperIZN2at6native12_GLOBAL__N_124unique_dim_cuda_templateIbEESt5tupleIJNSH_6TensorESM_SM_EERKSM_lbbbEUlllE0_EEPmJS6_EEE10hipError_tPvRmT3_T4_T5_T6_T7_T9_mT8_P12ihipStream_tbDpT10_ENKUlT_T0_E_clISt17integral_constantIbLb0EES1B_IbLb1EEEEDaS17_S18_EUlS17_E_NS1_11comp_targetILNS1_3genE0ELNS1_11target_archE4294967295ELNS1_3gpuE0ELNS1_3repE0EEENS1_30default_config_static_selectorELNS0_4arch9wavefront6targetE1EEEvT1_,"axG",@progbits,_ZN7rocprim17ROCPRIM_400000_NS6detail17trampoline_kernelINS0_14default_configENS1_25partition_config_selectorILNS1_17partition_subalgoE8ElNS0_10empty_typeEbEEZZNS1_14partition_implILS5_8ELb0ES3_jPlPS6_PKS6_NS0_5tupleIJS9_S6_EEENSD_IJSA_SA_EEENS0_18inequality_wrapperIZN2at6native12_GLOBAL__N_124unique_dim_cuda_templateIbEESt5tupleIJNSH_6TensorESM_SM_EERKSM_lbbbEUlllE0_EEPmJS6_EEE10hipError_tPvRmT3_T4_T5_T6_T7_T9_mT8_P12ihipStream_tbDpT10_ENKUlT_T0_E_clISt17integral_constantIbLb0EES1B_IbLb1EEEEDaS17_S18_EUlS17_E_NS1_11comp_targetILNS1_3genE0ELNS1_11target_archE4294967295ELNS1_3gpuE0ELNS1_3repE0EEENS1_30default_config_static_selectorELNS0_4arch9wavefront6targetE1EEEvT1_,comdat
.Lfunc_end1075:
	.size	_ZN7rocprim17ROCPRIM_400000_NS6detail17trampoline_kernelINS0_14default_configENS1_25partition_config_selectorILNS1_17partition_subalgoE8ElNS0_10empty_typeEbEEZZNS1_14partition_implILS5_8ELb0ES3_jPlPS6_PKS6_NS0_5tupleIJS9_S6_EEENSD_IJSA_SA_EEENS0_18inequality_wrapperIZN2at6native12_GLOBAL__N_124unique_dim_cuda_templateIbEESt5tupleIJNSH_6TensorESM_SM_EERKSM_lbbbEUlllE0_EEPmJS6_EEE10hipError_tPvRmT3_T4_T5_T6_T7_T9_mT8_P12ihipStream_tbDpT10_ENKUlT_T0_E_clISt17integral_constantIbLb0EES1B_IbLb1EEEEDaS17_S18_EUlS17_E_NS1_11comp_targetILNS1_3genE0ELNS1_11target_archE4294967295ELNS1_3gpuE0ELNS1_3repE0EEENS1_30default_config_static_selectorELNS0_4arch9wavefront6targetE1EEEvT1_, .Lfunc_end1075-_ZN7rocprim17ROCPRIM_400000_NS6detail17trampoline_kernelINS0_14default_configENS1_25partition_config_selectorILNS1_17partition_subalgoE8ElNS0_10empty_typeEbEEZZNS1_14partition_implILS5_8ELb0ES3_jPlPS6_PKS6_NS0_5tupleIJS9_S6_EEENSD_IJSA_SA_EEENS0_18inequality_wrapperIZN2at6native12_GLOBAL__N_124unique_dim_cuda_templateIbEESt5tupleIJNSH_6TensorESM_SM_EERKSM_lbbbEUlllE0_EEPmJS6_EEE10hipError_tPvRmT3_T4_T5_T6_T7_T9_mT8_P12ihipStream_tbDpT10_ENKUlT_T0_E_clISt17integral_constantIbLb0EES1B_IbLb1EEEEDaS17_S18_EUlS17_E_NS1_11comp_targetILNS1_3genE0ELNS1_11target_archE4294967295ELNS1_3gpuE0ELNS1_3repE0EEENS1_30default_config_static_selectorELNS0_4arch9wavefront6targetE1EEEvT1_
                                        ; -- End function
	.section	.AMDGPU.csdata,"",@progbits
; Kernel info:
; codeLenInByte = 0
; NumSgprs: 4
; NumVgprs: 0
; NumAgprs: 0
; TotalNumVgprs: 0
; ScratchSize: 0
; MemoryBound: 0
; FloatMode: 240
; IeeeMode: 1
; LDSByteSize: 0 bytes/workgroup (compile time only)
; SGPRBlocks: 0
; VGPRBlocks: 0
; NumSGPRsForWavesPerEU: 4
; NumVGPRsForWavesPerEU: 1
; AccumOffset: 4
; Occupancy: 8
; WaveLimiterHint : 0
; COMPUTE_PGM_RSRC2:SCRATCH_EN: 0
; COMPUTE_PGM_RSRC2:USER_SGPR: 6
; COMPUTE_PGM_RSRC2:TRAP_HANDLER: 0
; COMPUTE_PGM_RSRC2:TGID_X_EN: 1
; COMPUTE_PGM_RSRC2:TGID_Y_EN: 0
; COMPUTE_PGM_RSRC2:TGID_Z_EN: 0
; COMPUTE_PGM_RSRC2:TIDIG_COMP_CNT: 0
; COMPUTE_PGM_RSRC3_GFX90A:ACCUM_OFFSET: 0
; COMPUTE_PGM_RSRC3_GFX90A:TG_SPLIT: 0
	.section	.text._ZN7rocprim17ROCPRIM_400000_NS6detail17trampoline_kernelINS0_14default_configENS1_25partition_config_selectorILNS1_17partition_subalgoE8ElNS0_10empty_typeEbEEZZNS1_14partition_implILS5_8ELb0ES3_jPlPS6_PKS6_NS0_5tupleIJS9_S6_EEENSD_IJSA_SA_EEENS0_18inequality_wrapperIZN2at6native12_GLOBAL__N_124unique_dim_cuda_templateIbEESt5tupleIJNSH_6TensorESM_SM_EERKSM_lbbbEUlllE0_EEPmJS6_EEE10hipError_tPvRmT3_T4_T5_T6_T7_T9_mT8_P12ihipStream_tbDpT10_ENKUlT_T0_E_clISt17integral_constantIbLb0EES1B_IbLb1EEEEDaS17_S18_EUlS17_E_NS1_11comp_targetILNS1_3genE5ELNS1_11target_archE942ELNS1_3gpuE9ELNS1_3repE0EEENS1_30default_config_static_selectorELNS0_4arch9wavefront6targetE1EEEvT1_,"axG",@progbits,_ZN7rocprim17ROCPRIM_400000_NS6detail17trampoline_kernelINS0_14default_configENS1_25partition_config_selectorILNS1_17partition_subalgoE8ElNS0_10empty_typeEbEEZZNS1_14partition_implILS5_8ELb0ES3_jPlPS6_PKS6_NS0_5tupleIJS9_S6_EEENSD_IJSA_SA_EEENS0_18inequality_wrapperIZN2at6native12_GLOBAL__N_124unique_dim_cuda_templateIbEESt5tupleIJNSH_6TensorESM_SM_EERKSM_lbbbEUlllE0_EEPmJS6_EEE10hipError_tPvRmT3_T4_T5_T6_T7_T9_mT8_P12ihipStream_tbDpT10_ENKUlT_T0_E_clISt17integral_constantIbLb0EES1B_IbLb1EEEEDaS17_S18_EUlS17_E_NS1_11comp_targetILNS1_3genE5ELNS1_11target_archE942ELNS1_3gpuE9ELNS1_3repE0EEENS1_30default_config_static_selectorELNS0_4arch9wavefront6targetE1EEEvT1_,comdat
	.globl	_ZN7rocprim17ROCPRIM_400000_NS6detail17trampoline_kernelINS0_14default_configENS1_25partition_config_selectorILNS1_17partition_subalgoE8ElNS0_10empty_typeEbEEZZNS1_14partition_implILS5_8ELb0ES3_jPlPS6_PKS6_NS0_5tupleIJS9_S6_EEENSD_IJSA_SA_EEENS0_18inequality_wrapperIZN2at6native12_GLOBAL__N_124unique_dim_cuda_templateIbEESt5tupleIJNSH_6TensorESM_SM_EERKSM_lbbbEUlllE0_EEPmJS6_EEE10hipError_tPvRmT3_T4_T5_T6_T7_T9_mT8_P12ihipStream_tbDpT10_ENKUlT_T0_E_clISt17integral_constantIbLb0EES1B_IbLb1EEEEDaS17_S18_EUlS17_E_NS1_11comp_targetILNS1_3genE5ELNS1_11target_archE942ELNS1_3gpuE9ELNS1_3repE0EEENS1_30default_config_static_selectorELNS0_4arch9wavefront6targetE1EEEvT1_ ; -- Begin function _ZN7rocprim17ROCPRIM_400000_NS6detail17trampoline_kernelINS0_14default_configENS1_25partition_config_selectorILNS1_17partition_subalgoE8ElNS0_10empty_typeEbEEZZNS1_14partition_implILS5_8ELb0ES3_jPlPS6_PKS6_NS0_5tupleIJS9_S6_EEENSD_IJSA_SA_EEENS0_18inequality_wrapperIZN2at6native12_GLOBAL__N_124unique_dim_cuda_templateIbEESt5tupleIJNSH_6TensorESM_SM_EERKSM_lbbbEUlllE0_EEPmJS6_EEE10hipError_tPvRmT3_T4_T5_T6_T7_T9_mT8_P12ihipStream_tbDpT10_ENKUlT_T0_E_clISt17integral_constantIbLb0EES1B_IbLb1EEEEDaS17_S18_EUlS17_E_NS1_11comp_targetILNS1_3genE5ELNS1_11target_archE942ELNS1_3gpuE9ELNS1_3repE0EEENS1_30default_config_static_selectorELNS0_4arch9wavefront6targetE1EEEvT1_
	.p2align	8
	.type	_ZN7rocprim17ROCPRIM_400000_NS6detail17trampoline_kernelINS0_14default_configENS1_25partition_config_selectorILNS1_17partition_subalgoE8ElNS0_10empty_typeEbEEZZNS1_14partition_implILS5_8ELb0ES3_jPlPS6_PKS6_NS0_5tupleIJS9_S6_EEENSD_IJSA_SA_EEENS0_18inequality_wrapperIZN2at6native12_GLOBAL__N_124unique_dim_cuda_templateIbEESt5tupleIJNSH_6TensorESM_SM_EERKSM_lbbbEUlllE0_EEPmJS6_EEE10hipError_tPvRmT3_T4_T5_T6_T7_T9_mT8_P12ihipStream_tbDpT10_ENKUlT_T0_E_clISt17integral_constantIbLb0EES1B_IbLb1EEEEDaS17_S18_EUlS17_E_NS1_11comp_targetILNS1_3genE5ELNS1_11target_archE942ELNS1_3gpuE9ELNS1_3repE0EEENS1_30default_config_static_selectorELNS0_4arch9wavefront6targetE1EEEvT1_,@function
_ZN7rocprim17ROCPRIM_400000_NS6detail17trampoline_kernelINS0_14default_configENS1_25partition_config_selectorILNS1_17partition_subalgoE8ElNS0_10empty_typeEbEEZZNS1_14partition_implILS5_8ELb0ES3_jPlPS6_PKS6_NS0_5tupleIJS9_S6_EEENSD_IJSA_SA_EEENS0_18inequality_wrapperIZN2at6native12_GLOBAL__N_124unique_dim_cuda_templateIbEESt5tupleIJNSH_6TensorESM_SM_EERKSM_lbbbEUlllE0_EEPmJS6_EEE10hipError_tPvRmT3_T4_T5_T6_T7_T9_mT8_P12ihipStream_tbDpT10_ENKUlT_T0_E_clISt17integral_constantIbLb0EES1B_IbLb1EEEEDaS17_S18_EUlS17_E_NS1_11comp_targetILNS1_3genE5ELNS1_11target_archE942ELNS1_3gpuE9ELNS1_3repE0EEENS1_30default_config_static_selectorELNS0_4arch9wavefront6targetE1EEEvT1_: ; @_ZN7rocprim17ROCPRIM_400000_NS6detail17trampoline_kernelINS0_14default_configENS1_25partition_config_selectorILNS1_17partition_subalgoE8ElNS0_10empty_typeEbEEZZNS1_14partition_implILS5_8ELb0ES3_jPlPS6_PKS6_NS0_5tupleIJS9_S6_EEENSD_IJSA_SA_EEENS0_18inequality_wrapperIZN2at6native12_GLOBAL__N_124unique_dim_cuda_templateIbEESt5tupleIJNSH_6TensorESM_SM_EERKSM_lbbbEUlllE0_EEPmJS6_EEE10hipError_tPvRmT3_T4_T5_T6_T7_T9_mT8_P12ihipStream_tbDpT10_ENKUlT_T0_E_clISt17integral_constantIbLb0EES1B_IbLb1EEEEDaS17_S18_EUlS17_E_NS1_11comp_targetILNS1_3genE5ELNS1_11target_archE942ELNS1_3gpuE9ELNS1_3repE0EEENS1_30default_config_static_selectorELNS0_4arch9wavefront6targetE1EEEvT1_
; %bb.0:
	.section	.rodata,"a",@progbits
	.p2align	6, 0x0
	.amdhsa_kernel _ZN7rocprim17ROCPRIM_400000_NS6detail17trampoline_kernelINS0_14default_configENS1_25partition_config_selectorILNS1_17partition_subalgoE8ElNS0_10empty_typeEbEEZZNS1_14partition_implILS5_8ELb0ES3_jPlPS6_PKS6_NS0_5tupleIJS9_S6_EEENSD_IJSA_SA_EEENS0_18inequality_wrapperIZN2at6native12_GLOBAL__N_124unique_dim_cuda_templateIbEESt5tupleIJNSH_6TensorESM_SM_EERKSM_lbbbEUlllE0_EEPmJS6_EEE10hipError_tPvRmT3_T4_T5_T6_T7_T9_mT8_P12ihipStream_tbDpT10_ENKUlT_T0_E_clISt17integral_constantIbLb0EES1B_IbLb1EEEEDaS17_S18_EUlS17_E_NS1_11comp_targetILNS1_3genE5ELNS1_11target_archE942ELNS1_3gpuE9ELNS1_3repE0EEENS1_30default_config_static_selectorELNS0_4arch9wavefront6targetE1EEEvT1_
		.amdhsa_group_segment_fixed_size 0
		.amdhsa_private_segment_fixed_size 0
		.amdhsa_kernarg_size 136
		.amdhsa_user_sgpr_count 6
		.amdhsa_user_sgpr_private_segment_buffer 1
		.amdhsa_user_sgpr_dispatch_ptr 0
		.amdhsa_user_sgpr_queue_ptr 0
		.amdhsa_user_sgpr_kernarg_segment_ptr 1
		.amdhsa_user_sgpr_dispatch_id 0
		.amdhsa_user_sgpr_flat_scratch_init 0
		.amdhsa_user_sgpr_kernarg_preload_length 0
		.amdhsa_user_sgpr_kernarg_preload_offset 0
		.amdhsa_user_sgpr_private_segment_size 0
		.amdhsa_uses_dynamic_stack 0
		.amdhsa_system_sgpr_private_segment_wavefront_offset 0
		.amdhsa_system_sgpr_workgroup_id_x 1
		.amdhsa_system_sgpr_workgroup_id_y 0
		.amdhsa_system_sgpr_workgroup_id_z 0
		.amdhsa_system_sgpr_workgroup_info 0
		.amdhsa_system_vgpr_workitem_id 0
		.amdhsa_next_free_vgpr 1
		.amdhsa_next_free_sgpr 0
		.amdhsa_accum_offset 4
		.amdhsa_reserve_vcc 0
		.amdhsa_reserve_flat_scratch 0
		.amdhsa_float_round_mode_32 0
		.amdhsa_float_round_mode_16_64 0
		.amdhsa_float_denorm_mode_32 3
		.amdhsa_float_denorm_mode_16_64 3
		.amdhsa_dx10_clamp 1
		.amdhsa_ieee_mode 1
		.amdhsa_fp16_overflow 0
		.amdhsa_tg_split 0
		.amdhsa_exception_fp_ieee_invalid_op 0
		.amdhsa_exception_fp_denorm_src 0
		.amdhsa_exception_fp_ieee_div_zero 0
		.amdhsa_exception_fp_ieee_overflow 0
		.amdhsa_exception_fp_ieee_underflow 0
		.amdhsa_exception_fp_ieee_inexact 0
		.amdhsa_exception_int_div_zero 0
	.end_amdhsa_kernel
	.section	.text._ZN7rocprim17ROCPRIM_400000_NS6detail17trampoline_kernelINS0_14default_configENS1_25partition_config_selectorILNS1_17partition_subalgoE8ElNS0_10empty_typeEbEEZZNS1_14partition_implILS5_8ELb0ES3_jPlPS6_PKS6_NS0_5tupleIJS9_S6_EEENSD_IJSA_SA_EEENS0_18inequality_wrapperIZN2at6native12_GLOBAL__N_124unique_dim_cuda_templateIbEESt5tupleIJNSH_6TensorESM_SM_EERKSM_lbbbEUlllE0_EEPmJS6_EEE10hipError_tPvRmT3_T4_T5_T6_T7_T9_mT8_P12ihipStream_tbDpT10_ENKUlT_T0_E_clISt17integral_constantIbLb0EES1B_IbLb1EEEEDaS17_S18_EUlS17_E_NS1_11comp_targetILNS1_3genE5ELNS1_11target_archE942ELNS1_3gpuE9ELNS1_3repE0EEENS1_30default_config_static_selectorELNS0_4arch9wavefront6targetE1EEEvT1_,"axG",@progbits,_ZN7rocprim17ROCPRIM_400000_NS6detail17trampoline_kernelINS0_14default_configENS1_25partition_config_selectorILNS1_17partition_subalgoE8ElNS0_10empty_typeEbEEZZNS1_14partition_implILS5_8ELb0ES3_jPlPS6_PKS6_NS0_5tupleIJS9_S6_EEENSD_IJSA_SA_EEENS0_18inequality_wrapperIZN2at6native12_GLOBAL__N_124unique_dim_cuda_templateIbEESt5tupleIJNSH_6TensorESM_SM_EERKSM_lbbbEUlllE0_EEPmJS6_EEE10hipError_tPvRmT3_T4_T5_T6_T7_T9_mT8_P12ihipStream_tbDpT10_ENKUlT_T0_E_clISt17integral_constantIbLb0EES1B_IbLb1EEEEDaS17_S18_EUlS17_E_NS1_11comp_targetILNS1_3genE5ELNS1_11target_archE942ELNS1_3gpuE9ELNS1_3repE0EEENS1_30default_config_static_selectorELNS0_4arch9wavefront6targetE1EEEvT1_,comdat
.Lfunc_end1076:
	.size	_ZN7rocprim17ROCPRIM_400000_NS6detail17trampoline_kernelINS0_14default_configENS1_25partition_config_selectorILNS1_17partition_subalgoE8ElNS0_10empty_typeEbEEZZNS1_14partition_implILS5_8ELb0ES3_jPlPS6_PKS6_NS0_5tupleIJS9_S6_EEENSD_IJSA_SA_EEENS0_18inequality_wrapperIZN2at6native12_GLOBAL__N_124unique_dim_cuda_templateIbEESt5tupleIJNSH_6TensorESM_SM_EERKSM_lbbbEUlllE0_EEPmJS6_EEE10hipError_tPvRmT3_T4_T5_T6_T7_T9_mT8_P12ihipStream_tbDpT10_ENKUlT_T0_E_clISt17integral_constantIbLb0EES1B_IbLb1EEEEDaS17_S18_EUlS17_E_NS1_11comp_targetILNS1_3genE5ELNS1_11target_archE942ELNS1_3gpuE9ELNS1_3repE0EEENS1_30default_config_static_selectorELNS0_4arch9wavefront6targetE1EEEvT1_, .Lfunc_end1076-_ZN7rocprim17ROCPRIM_400000_NS6detail17trampoline_kernelINS0_14default_configENS1_25partition_config_selectorILNS1_17partition_subalgoE8ElNS0_10empty_typeEbEEZZNS1_14partition_implILS5_8ELb0ES3_jPlPS6_PKS6_NS0_5tupleIJS9_S6_EEENSD_IJSA_SA_EEENS0_18inequality_wrapperIZN2at6native12_GLOBAL__N_124unique_dim_cuda_templateIbEESt5tupleIJNSH_6TensorESM_SM_EERKSM_lbbbEUlllE0_EEPmJS6_EEE10hipError_tPvRmT3_T4_T5_T6_T7_T9_mT8_P12ihipStream_tbDpT10_ENKUlT_T0_E_clISt17integral_constantIbLb0EES1B_IbLb1EEEEDaS17_S18_EUlS17_E_NS1_11comp_targetILNS1_3genE5ELNS1_11target_archE942ELNS1_3gpuE9ELNS1_3repE0EEENS1_30default_config_static_selectorELNS0_4arch9wavefront6targetE1EEEvT1_
                                        ; -- End function
	.section	.AMDGPU.csdata,"",@progbits
; Kernel info:
; codeLenInByte = 0
; NumSgprs: 4
; NumVgprs: 0
; NumAgprs: 0
; TotalNumVgprs: 0
; ScratchSize: 0
; MemoryBound: 0
; FloatMode: 240
; IeeeMode: 1
; LDSByteSize: 0 bytes/workgroup (compile time only)
; SGPRBlocks: 0
; VGPRBlocks: 0
; NumSGPRsForWavesPerEU: 4
; NumVGPRsForWavesPerEU: 1
; AccumOffset: 4
; Occupancy: 8
; WaveLimiterHint : 0
; COMPUTE_PGM_RSRC2:SCRATCH_EN: 0
; COMPUTE_PGM_RSRC2:USER_SGPR: 6
; COMPUTE_PGM_RSRC2:TRAP_HANDLER: 0
; COMPUTE_PGM_RSRC2:TGID_X_EN: 1
; COMPUTE_PGM_RSRC2:TGID_Y_EN: 0
; COMPUTE_PGM_RSRC2:TGID_Z_EN: 0
; COMPUTE_PGM_RSRC2:TIDIG_COMP_CNT: 0
; COMPUTE_PGM_RSRC3_GFX90A:ACCUM_OFFSET: 0
; COMPUTE_PGM_RSRC3_GFX90A:TG_SPLIT: 0
	.section	.text._ZN7rocprim17ROCPRIM_400000_NS6detail17trampoline_kernelINS0_14default_configENS1_25partition_config_selectorILNS1_17partition_subalgoE8ElNS0_10empty_typeEbEEZZNS1_14partition_implILS5_8ELb0ES3_jPlPS6_PKS6_NS0_5tupleIJS9_S6_EEENSD_IJSA_SA_EEENS0_18inequality_wrapperIZN2at6native12_GLOBAL__N_124unique_dim_cuda_templateIbEESt5tupleIJNSH_6TensorESM_SM_EERKSM_lbbbEUlllE0_EEPmJS6_EEE10hipError_tPvRmT3_T4_T5_T6_T7_T9_mT8_P12ihipStream_tbDpT10_ENKUlT_T0_E_clISt17integral_constantIbLb0EES1B_IbLb1EEEEDaS17_S18_EUlS17_E_NS1_11comp_targetILNS1_3genE4ELNS1_11target_archE910ELNS1_3gpuE8ELNS1_3repE0EEENS1_30default_config_static_selectorELNS0_4arch9wavefront6targetE1EEEvT1_,"axG",@progbits,_ZN7rocprim17ROCPRIM_400000_NS6detail17trampoline_kernelINS0_14default_configENS1_25partition_config_selectorILNS1_17partition_subalgoE8ElNS0_10empty_typeEbEEZZNS1_14partition_implILS5_8ELb0ES3_jPlPS6_PKS6_NS0_5tupleIJS9_S6_EEENSD_IJSA_SA_EEENS0_18inequality_wrapperIZN2at6native12_GLOBAL__N_124unique_dim_cuda_templateIbEESt5tupleIJNSH_6TensorESM_SM_EERKSM_lbbbEUlllE0_EEPmJS6_EEE10hipError_tPvRmT3_T4_T5_T6_T7_T9_mT8_P12ihipStream_tbDpT10_ENKUlT_T0_E_clISt17integral_constantIbLb0EES1B_IbLb1EEEEDaS17_S18_EUlS17_E_NS1_11comp_targetILNS1_3genE4ELNS1_11target_archE910ELNS1_3gpuE8ELNS1_3repE0EEENS1_30default_config_static_selectorELNS0_4arch9wavefront6targetE1EEEvT1_,comdat
	.globl	_ZN7rocprim17ROCPRIM_400000_NS6detail17trampoline_kernelINS0_14default_configENS1_25partition_config_selectorILNS1_17partition_subalgoE8ElNS0_10empty_typeEbEEZZNS1_14partition_implILS5_8ELb0ES3_jPlPS6_PKS6_NS0_5tupleIJS9_S6_EEENSD_IJSA_SA_EEENS0_18inequality_wrapperIZN2at6native12_GLOBAL__N_124unique_dim_cuda_templateIbEESt5tupleIJNSH_6TensorESM_SM_EERKSM_lbbbEUlllE0_EEPmJS6_EEE10hipError_tPvRmT3_T4_T5_T6_T7_T9_mT8_P12ihipStream_tbDpT10_ENKUlT_T0_E_clISt17integral_constantIbLb0EES1B_IbLb1EEEEDaS17_S18_EUlS17_E_NS1_11comp_targetILNS1_3genE4ELNS1_11target_archE910ELNS1_3gpuE8ELNS1_3repE0EEENS1_30default_config_static_selectorELNS0_4arch9wavefront6targetE1EEEvT1_ ; -- Begin function _ZN7rocprim17ROCPRIM_400000_NS6detail17trampoline_kernelINS0_14default_configENS1_25partition_config_selectorILNS1_17partition_subalgoE8ElNS0_10empty_typeEbEEZZNS1_14partition_implILS5_8ELb0ES3_jPlPS6_PKS6_NS0_5tupleIJS9_S6_EEENSD_IJSA_SA_EEENS0_18inequality_wrapperIZN2at6native12_GLOBAL__N_124unique_dim_cuda_templateIbEESt5tupleIJNSH_6TensorESM_SM_EERKSM_lbbbEUlllE0_EEPmJS6_EEE10hipError_tPvRmT3_T4_T5_T6_T7_T9_mT8_P12ihipStream_tbDpT10_ENKUlT_T0_E_clISt17integral_constantIbLb0EES1B_IbLb1EEEEDaS17_S18_EUlS17_E_NS1_11comp_targetILNS1_3genE4ELNS1_11target_archE910ELNS1_3gpuE8ELNS1_3repE0EEENS1_30default_config_static_selectorELNS0_4arch9wavefront6targetE1EEEvT1_
	.p2align	8
	.type	_ZN7rocprim17ROCPRIM_400000_NS6detail17trampoline_kernelINS0_14default_configENS1_25partition_config_selectorILNS1_17partition_subalgoE8ElNS0_10empty_typeEbEEZZNS1_14partition_implILS5_8ELb0ES3_jPlPS6_PKS6_NS0_5tupleIJS9_S6_EEENSD_IJSA_SA_EEENS0_18inequality_wrapperIZN2at6native12_GLOBAL__N_124unique_dim_cuda_templateIbEESt5tupleIJNSH_6TensorESM_SM_EERKSM_lbbbEUlllE0_EEPmJS6_EEE10hipError_tPvRmT3_T4_T5_T6_T7_T9_mT8_P12ihipStream_tbDpT10_ENKUlT_T0_E_clISt17integral_constantIbLb0EES1B_IbLb1EEEEDaS17_S18_EUlS17_E_NS1_11comp_targetILNS1_3genE4ELNS1_11target_archE910ELNS1_3gpuE8ELNS1_3repE0EEENS1_30default_config_static_selectorELNS0_4arch9wavefront6targetE1EEEvT1_,@function
_ZN7rocprim17ROCPRIM_400000_NS6detail17trampoline_kernelINS0_14default_configENS1_25partition_config_selectorILNS1_17partition_subalgoE8ElNS0_10empty_typeEbEEZZNS1_14partition_implILS5_8ELb0ES3_jPlPS6_PKS6_NS0_5tupleIJS9_S6_EEENSD_IJSA_SA_EEENS0_18inequality_wrapperIZN2at6native12_GLOBAL__N_124unique_dim_cuda_templateIbEESt5tupleIJNSH_6TensorESM_SM_EERKSM_lbbbEUlllE0_EEPmJS6_EEE10hipError_tPvRmT3_T4_T5_T6_T7_T9_mT8_P12ihipStream_tbDpT10_ENKUlT_T0_E_clISt17integral_constantIbLb0EES1B_IbLb1EEEEDaS17_S18_EUlS17_E_NS1_11comp_targetILNS1_3genE4ELNS1_11target_archE910ELNS1_3gpuE8ELNS1_3repE0EEENS1_30default_config_static_selectorELNS0_4arch9wavefront6targetE1EEEvT1_: ; @_ZN7rocprim17ROCPRIM_400000_NS6detail17trampoline_kernelINS0_14default_configENS1_25partition_config_selectorILNS1_17partition_subalgoE8ElNS0_10empty_typeEbEEZZNS1_14partition_implILS5_8ELb0ES3_jPlPS6_PKS6_NS0_5tupleIJS9_S6_EEENSD_IJSA_SA_EEENS0_18inequality_wrapperIZN2at6native12_GLOBAL__N_124unique_dim_cuda_templateIbEESt5tupleIJNSH_6TensorESM_SM_EERKSM_lbbbEUlllE0_EEPmJS6_EEE10hipError_tPvRmT3_T4_T5_T6_T7_T9_mT8_P12ihipStream_tbDpT10_ENKUlT_T0_E_clISt17integral_constantIbLb0EES1B_IbLb1EEEEDaS17_S18_EUlS17_E_NS1_11comp_targetILNS1_3genE4ELNS1_11target_archE910ELNS1_3gpuE8ELNS1_3repE0EEENS1_30default_config_static_selectorELNS0_4arch9wavefront6targetE1EEEvT1_
; %bb.0:
	s_load_dwordx2 s[28:29], s[4:5], 0x28
	s_load_dwordx8 s[20:27], s[4:5], 0x40
	s_load_dwordx4 s[16:19], s[4:5], 0x60
	v_cmp_ne_u32_e64 s[2:3], 0, v0
	v_cmp_eq_u32_e64 s[0:1], 0, v0
	s_and_saveexec_b64 s[6:7], s[0:1]
	s_cbranch_execz .LBB1077_4
; %bb.1:
	s_mov_b64 s[10:11], exec
	v_mbcnt_lo_u32_b32 v1, s10, 0
	v_mbcnt_hi_u32_b32 v1, s11, v1
	v_cmp_eq_u32_e32 vcc, 0, v1
                                        ; implicit-def: $vgpr2
	s_and_saveexec_b64 s[8:9], vcc
	s_cbranch_execz .LBB1077_3
; %bb.2:
	s_load_dwordx2 s[12:13], s[4:5], 0x78
	s_bcnt1_i32_b64 s10, s[10:11]
	v_mov_b32_e32 v2, 0
	v_mov_b32_e32 v3, s10
	s_waitcnt lgkmcnt(0)
	global_atomic_add v2, v2, v3, s[12:13] glc
.LBB1077_3:
	s_or_b64 exec, exec, s[8:9]
	s_waitcnt vmcnt(0)
	v_readfirstlane_b32 s8, v2
	v_add_u32_e32 v1, s8, v1
	v_mov_b32_e32 v2, 0
	ds_write_b32 v2, v1
.LBB1077_4:
	s_or_b64 exec, exec, s[6:7]
	v_mov_b32_e32 v3, 0
	s_load_dwordx4 s[8:11], s[4:5], 0x8
	s_load_dword s12, s[4:5], 0x70
	s_waitcnt lgkmcnt(0)
	s_barrier
	ds_read_b32 v1, v3
	s_waitcnt lgkmcnt(0)
	s_barrier
	global_load_dwordx2 v[4:5], v3, s[22:23]
	s_lshl_b64 s[4:5], s[10:11], 3
	s_mul_i32 s14, s12, 0x500
	s_add_u32 s8, s8, s4
	s_addc_u32 s4, s9, s5
	s_add_i32 s5, s14, s10
	s_add_i32 s12, s12, -1
	s_sub_i32 s48, s24, s5
	v_mov_b32_e32 v8, s4
	s_add_u32 s4, s10, s14
	s_addc_u32 s5, s11, 0
	v_readfirstlane_b32 s33, v1
	v_mov_b32_e32 v6, s24
	v_mov_b32_e32 v7, s25
	s_movk_i32 s13, 0x500
	s_cmp_eq_u32 s33, s12
	v_mul_lo_u32 v2, v1, s13
	v_cmp_ge_u64_e32 vcc, s[4:5], v[6:7]
	s_cselect_b64 s[24:25], -1, 0
	v_lshlrev_b64 v[2:3], 3, v[2:3]
	s_and_b64 s[12:13], vcc, s[24:25]
	v_add_co_u32_e64 v18, s[4:5], s8, v2
	s_xor_b64 s[30:31], s[12:13], -1
	s_mov_b64 s[6:7], -1
	v_addc_co_u32_e64 v19, s[4:5], v8, v3, s[4:5]
	s_and_b64 vcc, exec, s[30:31]
	s_waitcnt vmcnt(0)
	v_readfirstlane_b32 s22, v4
	v_readfirstlane_b32 s23, v5
	s_cbranch_vccz .LBB1077_6
; %bb.5:
	v_lshlrev_b32_e32 v1, 3, v0
	v_add_co_u32_e32 v12, vcc, v18, v1
	v_addc_co_u32_e32 v13, vcc, 0, v19, vcc
	v_add_co_u32_e32 v2, vcc, 0x1000, v12
	v_readfirstlane_b32 s4, v18
	v_readfirstlane_b32 s5, v19
	v_addc_co_u32_e32 v3, vcc, 0, v13, vcc
	s_nop 3
	global_load_dwordx2 v[4:5], v1, s[4:5]
	global_load_dwordx2 v[6:7], v1, s[4:5] offset:2048
	global_load_dwordx2 v[8:9], v[2:3], off
	global_load_dwordx2 v[10:11], v[2:3], off offset:2048
	v_add_co_u32_e32 v2, vcc, 0x2000, v12
	v_addc_co_u32_e32 v3, vcc, 0, v13, vcc
	global_load_dwordx2 v[2:3], v[2:3], off
	s_mov_b64 s[6:7], 0
	s_waitcnt vmcnt(3)
	ds_write2st64_b64 v1, v[4:5], v[6:7] offset1:4
	s_waitcnt vmcnt(1)
	ds_write2st64_b64 v1, v[8:9], v[10:11] offset0:8 offset1:12
	s_waitcnt vmcnt(0)
	ds_write_b64 v1, v[2:3] offset:8192
	s_waitcnt lgkmcnt(0)
	s_barrier
.LBB1077_6:
	s_andn2_b64 vcc, exec, s[6:7]
	s_addk_i32 s48, 0x500
	s_cbranch_vccnz .LBB1077_18
; %bb.7:
	v_cmp_gt_u32_e32 vcc, s48, v0
                                        ; implicit-def: $vgpr2_vgpr3_vgpr4_vgpr5_vgpr6_vgpr7_vgpr8_vgpr9_vgpr10_vgpr11_vgpr12_vgpr13_vgpr14_vgpr15_vgpr16_vgpr17
	s_and_saveexec_b64 s[4:5], vcc
	s_cbranch_execz .LBB1077_9
; %bb.8:
	v_lshlrev_b32_e32 v1, 3, v0
	v_readfirstlane_b32 s6, v18
	v_readfirstlane_b32 s7, v19
	s_nop 4
	global_load_dwordx2 v[2:3], v1, s[6:7]
.LBB1077_9:
	s_or_b64 exec, exec, s[4:5]
	v_or_b32_e32 v1, 0x100, v0
	v_cmp_gt_u32_e32 vcc, s48, v1
	s_and_saveexec_b64 s[4:5], vcc
	s_cbranch_execz .LBB1077_11
; %bb.10:
	v_lshlrev_b32_e32 v1, 3, v0
	v_readfirstlane_b32 s6, v18
	v_readfirstlane_b32 s7, v19
	s_nop 4
	global_load_dwordx2 v[4:5], v1, s[6:7] offset:2048
.LBB1077_11:
	s_or_b64 exec, exec, s[4:5]
	v_or_b32_e32 v1, 0x200, v0
	v_cmp_gt_u32_e32 vcc, s48, v1
	s_and_saveexec_b64 s[4:5], vcc
	s_cbranch_execz .LBB1077_13
; %bb.12:
	v_lshlrev_b32_e32 v1, 3, v1
	v_readfirstlane_b32 s6, v18
	v_readfirstlane_b32 s7, v19
	s_nop 4
	global_load_dwordx2 v[6:7], v1, s[6:7]
.LBB1077_13:
	s_or_b64 exec, exec, s[4:5]
	v_or_b32_e32 v1, 0x300, v0
	v_cmp_gt_u32_e32 vcc, s48, v1
	s_and_saveexec_b64 s[4:5], vcc
	s_cbranch_execz .LBB1077_15
; %bb.14:
	v_lshlrev_b32_e32 v1, 3, v1
	v_readfirstlane_b32 s6, v18
	v_readfirstlane_b32 s7, v19
	s_nop 4
	global_load_dwordx2 v[8:9], v1, s[6:7]
.LBB1077_15:
	;; [unrolled: 12-line block ×3, first 2 shown]
	s_or_b64 exec, exec, s[4:5]
	v_lshlrev_b32_e32 v1, 3, v0
	s_waitcnt vmcnt(0)
	ds_write2st64_b64 v1, v[2:3], v[4:5] offset1:4
	ds_write2st64_b64 v1, v[6:7], v[8:9] offset0:8 offset1:12
	ds_write_b64 v1, v[10:11] offset:8192
	s_waitcnt lgkmcnt(0)
	s_barrier
.LBB1077_18:
	v_mul_u32_u24_e32 v1, 5, v0
	v_lshlrev_b32_e32 v26, 3, v1
	ds_read2_b64 v[6:9], v26 offset1:1
	ds_read2_b64 v[2:5], v26 offset0:2 offset1:3
	ds_read_b64 v[10:11], v26 offset:32
	s_cmp_lg_u32 s33, 0
	s_cselect_b64 s[34:35], -1, 0
	s_cmp_lg_u64 s[10:11], 0
	s_cselect_b64 s[4:5], -1, 0
	s_or_b64 s[4:5], s[4:5], s[34:35]
	v_mad_u32_u24 v24, v0, 5, 1
	v_mad_u32_u24 v22, v0, 5, 2
	v_mad_u32_u24 v25, v0, 5, 3
	v_mad_u32_u24 v23, v0, 5, 4
	s_mov_b64 s[14:15], 0
	s_and_b64 vcc, exec, s[4:5]
	v_cmp_lt_i64_e64 s[10:11], s[26:27], 1
	v_cmp_gt_i64_e64 s[8:9], s[26:27], 0
	s_waitcnt lgkmcnt(0)
	s_barrier
	s_cbranch_vccz .LBB1077_27
; %bb.19:
	global_load_dwordx2 v[14:15], v[18:19], off offset:-8
	v_lshlrev_b32_e32 v27, 3, v0
	s_mov_b64 s[6:7], 0
	s_and_b64 vcc, exec, s[30:31]
	ds_write_b64 v27, v[10:11]
	s_cbranch_vccz .LBB1077_28
; %bb.20:
	v_cndmask_b32_e64 v12, 0, 1, s[8:9]
	v_cmp_ne_u32_e64 s[4:5], 1, v12
	s_andn2_b64 vcc, exec, s[8:9]
	s_cbranch_vccnz .LBB1077_29
; %bb.21:
	v_pk_mov_b32 v[16:17], s[16:17], s[16:17] op_sel:[0,1]
	v_mad_u64_u32 v[12:13], s[6:7], v4, s26, v[16:17]
	v_mul_lo_u32 v18, v4, s27
	v_mul_lo_u32 v19, v5, s26
	v_add3_u32 v13, v19, v13, v18
	v_mad_u64_u32 v[16:17], s[6:7], v10, s26, v[16:17]
	v_mul_lo_u32 v18, v10, s27
	v_mul_lo_u32 v19, v11, s26
	v_add3_u32 v17, v19, v17, v18
	global_load_ubyte v18, v[12:13], off
	global_load_ubyte v19, v[16:17], off
	s_mov_b64 s[8:9], -1
	s_waitcnt vmcnt(1)
	v_cmp_ne_u16_e32 vcc, 0, v18
	s_waitcnt vmcnt(0)
	v_cmp_ne_u16_e64 s[6:7], 0, v19
	s_xor_b64 s[6:7], vcc, s[6:7]
	s_xor_b64 s[6:7], s[6:7], -1
	s_and_saveexec_b64 s[14:15], s[6:7]
	s_cbranch_execz .LBB1077_31
; %bb.22:
	s_mov_b64 s[40:41], 1
	s_mov_b64 s[36:37], 0
                                        ; implicit-def: $sgpr38_sgpr39
	s_branch .LBB1077_25
.LBB1077_23:                            ;   in Loop: Header=BB1077_25 Depth=1
	v_mov_b32_e32 v21, s41
	v_add_co_u32_e64 v18, s[6:7], s40, v12
	v_addc_co_u32_e64 v19, s[6:7], v13, v21, s[6:7]
	v_add_co_u32_e64 v20, s[6:7], s40, v16
	v_addc_co_u32_e64 v21, s[6:7], v17, v21, s[6:7]
	global_load_ubyte v28, v[18:19], off
	global_load_ubyte v29, v[20:21], off
	s_waitcnt vmcnt(1)
	v_cmp_ne_u16_e64 s[6:7], 0, v28
	s_waitcnt vmcnt(0)
	v_cmp_ne_u16_e64 s[8:9], 0, v29
	s_xor_b64 s[8:9], s[6:7], s[8:9]
	s_add_u32 s6, s40, 1
	s_addc_u32 s7, s41, 0
	s_andn2_b64 s[38:39], s[38:39], exec
	s_and_b64 s[8:9], s[8:9], exec
	s_or_b64 s[38:39], s[38:39], s[8:9]
.LBB1077_24:                            ;   in Loop: Header=BB1077_25 Depth=1
	s_and_b64 s[8:9], exec, s[38:39]
	s_or_b64 s[36:37], s[8:9], s[36:37]
	v_pk_mov_b32 v[18:19], s[40:41], s[40:41] op_sel:[0,1]
	s_mov_b64 s[40:41], s[6:7]
	s_andn2_b64 exec, exec, s[36:37]
	s_cbranch_execz .LBB1077_30
.LBB1077_25:                            ; =>This Inner Loop Header: Depth=1
	s_or_b64 s[38:39], s[38:39], exec
	s_cmp_eq_u64 s[26:27], s[40:41]
	s_cbranch_scc0 .LBB1077_23
; %bb.26:                               ;   in Loop: Header=BB1077_25 Depth=1
                                        ; implicit-def: $sgpr6_sgpr7
	s_mov_b64 s[40:41], s[26:27]
	s_branch .LBB1077_24
.LBB1077_27:
                                        ; implicit-def: $sgpr8_sgpr9
                                        ; implicit-def: $vgpr13
                                        ; implicit-def: $vgpr16
	s_branch .LBB1077_118
.LBB1077_28:
                                        ; implicit-def: $sgpr8_sgpr9
                                        ; implicit-def: $vgpr13
                                        ; implicit-def: $vgpr16
	s_cbranch_execnz .LBB1077_69
	s_branch .LBB1077_117
.LBB1077_29:
	v_mov_b32_e32 v28, 0
	s_branch .LBB1077_39
.LBB1077_30:
	s_or_b64 exec, exec, s[36:37]
	v_cmp_gt_i64_e64 s[6:7], s[26:27], v[18:19]
	s_orn2_b64 s[8:9], s[6:7], exec
.LBB1077_31:
	s_or_b64 exec, exec, s[14:15]
	v_pk_mov_b32 v[16:17], s[16:17], s[16:17] op_sel:[0,1]
	v_mad_u64_u32 v[16:17], s[6:7], v2, s26, v[16:17]
	v_mul_lo_u32 v18, v2, s27
	v_mul_lo_u32 v19, v3, s26
	v_add3_u32 v17, v19, v17, v18
	global_load_ubyte v18, v[16:17], off
	s_waitcnt vmcnt(0)
	v_cmp_ne_u16_e64 s[6:7], 0, v18
	s_xor_b64 s[14:15], vcc, s[6:7]
	s_mov_b64 s[6:7], -1
	s_xor_b64 s[36:37], s[14:15], -1
	s_and_saveexec_b64 s[14:15], s[36:37]
	s_cbranch_execz .LBB1077_38
; %bb.32:
	s_mov_b64 s[40:41], 1
	s_mov_b64 s[36:37], 0
                                        ; implicit-def: $sgpr38_sgpr39
	s_branch .LBB1077_35
.LBB1077_33:                            ;   in Loop: Header=BB1077_35 Depth=1
	v_mov_b32_e32 v21, s41
	v_add_co_u32_e32 v18, vcc, s40, v16
	v_addc_co_u32_e32 v19, vcc, v17, v21, vcc
	v_add_co_u32_e32 v20, vcc, s40, v12
	v_addc_co_u32_e32 v21, vcc, v13, v21, vcc
	global_load_ubyte v28, v[18:19], off
	global_load_ubyte v29, v[20:21], off
	s_waitcnt vmcnt(1)
	v_cmp_ne_u16_e32 vcc, 0, v28
	s_waitcnt vmcnt(0)
	v_cmp_ne_u16_e64 s[6:7], 0, v29
	s_xor_b64 s[42:43], vcc, s[6:7]
	s_add_u32 s6, s40, 1
	s_addc_u32 s7, s41, 0
	s_andn2_b64 s[38:39], s[38:39], exec
	s_and_b64 s[42:43], s[42:43], exec
	s_or_b64 s[38:39], s[38:39], s[42:43]
.LBB1077_34:                            ;   in Loop: Header=BB1077_35 Depth=1
	s_and_b64 s[42:43], exec, s[38:39]
	s_or_b64 s[36:37], s[42:43], s[36:37]
	v_pk_mov_b32 v[18:19], s[40:41], s[40:41] op_sel:[0,1]
	s_mov_b64 s[40:41], s[6:7]
	s_andn2_b64 exec, exec, s[36:37]
	s_cbranch_execz .LBB1077_37
.LBB1077_35:                            ; =>This Inner Loop Header: Depth=1
	s_or_b64 s[38:39], s[38:39], exec
	s_cmp_eq_u64 s[26:27], s[40:41]
	s_cbranch_scc0 .LBB1077_33
; %bb.36:                               ;   in Loop: Header=BB1077_35 Depth=1
                                        ; implicit-def: $sgpr6_sgpr7
	s_mov_b64 s[40:41], s[26:27]
	s_branch .LBB1077_34
.LBB1077_37:
	s_or_b64 exec, exec, s[36:37]
	v_cmp_gt_i64_e32 vcc, s[26:27], v[18:19]
	s_orn2_b64 s[6:7], vcc, exec
.LBB1077_38:
	s_or_b64 exec, exec, s[14:15]
	v_cndmask_b32_e64 v28, 0, 1, s[8:9]
.LBB1077_39:
	v_lshlrev_b16_e32 v12, 8, v0
	v_cndmask_b32_e64 v13, 0, 1, s[6:7]
	v_mov_b32_e32 v16, 8
	v_lshrrev_b32_sdwa v12, v16, v12 dst_sel:BYTE_1 dst_unused:UNUSED_PAD src0_sel:DWORD src1_sel:DWORD
	v_lshlrev_b16_e32 v13, 8, v13
	v_or_b32_sdwa v12, v0, v12 dst_sel:DWORD dst_unused:UNUSED_PAD src0_sel:BYTE_0 src1_sel:DWORD
	v_or_b32_sdwa v13, v0, v13 dst_sel:WORD_1 dst_unused:UNUSED_PAD src0_sel:BYTE_0 src1_sel:DWORD
	s_and_b64 vcc, exec, s[4:5]
	v_or_b32_sdwa v29, v12, v13 dst_sel:DWORD dst_unused:UNUSED_PAD src0_sel:WORD_0 src1_sel:DWORD
	s_cbranch_vccnz .LBB1077_46
; %bb.40:
	v_pk_mov_b32 v[12:13], s[16:17], s[16:17] op_sel:[0,1]
	v_mad_u64_u32 v[16:17], s[6:7], v8, s26, v[12:13]
	v_mul_lo_u32 v18, v8, s27
	v_mul_lo_u32 v19, v9, s26
	v_add3_u32 v17, v19, v17, v18
	v_mad_u64_u32 v[12:13], s[6:7], v2, s26, v[12:13]
	v_mul_lo_u32 v18, v2, s27
	v_mul_lo_u32 v19, v3, s26
	v_add3_u32 v13, v19, v13, v18
	global_load_ubyte v18, v[16:17], off
	global_load_ubyte v19, v[12:13], off
	s_waitcnt vmcnt(1)
	v_cmp_ne_u16_e32 vcc, 0, v18
	s_waitcnt vmcnt(0)
	v_cmp_ne_u16_e64 s[6:7], 0, v19
	s_xor_b64 s[8:9], vcc, s[6:7]
	s_mov_b64 s[6:7], -1
	s_xor_b64 s[8:9], s[8:9], -1
	s_and_saveexec_b64 s[14:15], s[8:9]
	s_cbranch_execz .LBB1077_48
; %bb.41:
	s_mov_b64 s[40:41], 1
	s_mov_b64 s[36:37], 0
                                        ; implicit-def: $sgpr38_sgpr39
	s_branch .LBB1077_44
.LBB1077_42:                            ;   in Loop: Header=BB1077_44 Depth=1
	v_mov_b32_e32 v21, s41
	v_add_co_u32_e64 v18, s[6:7], s40, v16
	v_addc_co_u32_e64 v19, s[6:7], v17, v21, s[6:7]
	v_add_co_u32_e64 v20, s[6:7], s40, v12
	v_addc_co_u32_e64 v21, s[6:7], v13, v21, s[6:7]
	global_load_ubyte v30, v[18:19], off
	global_load_ubyte v31, v[20:21], off
	s_waitcnt vmcnt(1)
	v_cmp_ne_u16_e64 s[6:7], 0, v30
	s_waitcnt vmcnt(0)
	v_cmp_ne_u16_e64 s[8:9], 0, v31
	s_xor_b64 s[8:9], s[6:7], s[8:9]
	s_add_u32 s6, s40, 1
	s_addc_u32 s7, s41, 0
	s_andn2_b64 s[38:39], s[38:39], exec
	s_and_b64 s[8:9], s[8:9], exec
	s_or_b64 s[38:39], s[38:39], s[8:9]
.LBB1077_43:                            ;   in Loop: Header=BB1077_44 Depth=1
	s_and_b64 s[8:9], exec, s[38:39]
	s_or_b64 s[36:37], s[8:9], s[36:37]
	v_pk_mov_b32 v[18:19], s[40:41], s[40:41] op_sel:[0,1]
	s_mov_b64 s[40:41], s[6:7]
	s_andn2_b64 exec, exec, s[36:37]
	s_cbranch_execz .LBB1077_47
.LBB1077_44:                            ; =>This Inner Loop Header: Depth=1
	s_or_b64 s[38:39], s[38:39], exec
	s_cmp_eq_u64 s[26:27], s[40:41]
	s_cbranch_scc0 .LBB1077_42
; %bb.45:                               ;   in Loop: Header=BB1077_44 Depth=1
                                        ; implicit-def: $sgpr6_sgpr7
	s_mov_b64 s[40:41], s[26:27]
	s_branch .LBB1077_43
.LBB1077_46:
                                        ; implicit-def: $sgpr6_sgpr7
                                        ; implicit-def: $vgpr12_vgpr13
	s_cbranch_execnz .LBB1077_56
	s_branch .LBB1077_57
.LBB1077_47:
	s_or_b64 exec, exec, s[36:37]
	v_cmp_gt_i64_e64 s[6:7], s[26:27], v[18:19]
	s_orn2_b64 s[6:7], s[6:7], exec
.LBB1077_48:
	s_or_b64 exec, exec, s[14:15]
	v_pk_mov_b32 v[12:13], s[16:17], s[16:17] op_sel:[0,1]
	v_mad_u64_u32 v[18:19], s[8:9], v6, s26, v[12:13]
	v_mul_lo_u32 v12, v6, s27
	v_mul_lo_u32 v13, v7, s26
	v_add3_u32 v19, v13, v19, v12
	global_load_ubyte v20, v[18:19], off
	v_cndmask_b32_e64 v12, 0, 1, s[6:7]
	s_movk_i32 s6, 0xff
	v_mov_b32_e32 v13, 8
	v_lshrrev_b32_e32 v21, 24, v29
	v_lshrrev_b32_sdwa v30, v13, v29 dst_sel:BYTE_1 dst_unused:UNUSED_PAD src0_sel:DWORD src1_sel:DWORD
	v_lshlrev_b16_e32 v21, 8, v21
	v_and_b32_sdwa v13, v28, s6 dst_sel:DWORD dst_unused:UNUSED_PAD src0_sel:WORD_0 src1_sel:DWORD
	v_or_b32_sdwa v30, v29, v30 dst_sel:DWORD dst_unused:UNUSED_PAD src0_sel:BYTE_0 src1_sel:DWORD
	v_or_b32_sdwa v12, v12, v21 dst_sel:WORD_1 dst_unused:UNUSED_PAD src0_sel:DWORD src1_sel:DWORD
	v_or_b32_sdwa v12, v30, v12 dst_sel:DWORD dst_unused:UNUSED_PAD src0_sel:WORD_0 src1_sel:DWORD
	s_waitcnt vmcnt(0)
	v_cmp_ne_u16_e64 s[6:7], 0, v20
	s_xor_b64 s[8:9], vcc, s[6:7]
	s_mov_b64 s[6:7], -1
	s_xor_b64 s[14:15], s[8:9], -1
	s_and_saveexec_b64 s[8:9], s[14:15]
	s_cbranch_execz .LBB1077_55
; %bb.49:
	s_mov_b64 s[38:39], 1
	s_mov_b64 s[14:15], 0
                                        ; implicit-def: $sgpr36_sgpr37
	s_branch .LBB1077_52
.LBB1077_50:                            ;   in Loop: Header=BB1077_52 Depth=1
	v_mov_b32_e32 v31, s39
	v_add_co_u32_e32 v20, vcc, s38, v18
	v_addc_co_u32_e32 v21, vcc, v19, v31, vcc
	v_add_co_u32_e32 v30, vcc, s38, v16
	v_addc_co_u32_e32 v31, vcc, v17, v31, vcc
	global_load_ubyte v32, v[20:21], off
	global_load_ubyte v33, v[30:31], off
	s_waitcnt vmcnt(1)
	v_cmp_ne_u16_e32 vcc, 0, v32
	s_waitcnt vmcnt(0)
	v_cmp_ne_u16_e64 s[6:7], 0, v33
	s_xor_b64 s[40:41], vcc, s[6:7]
	s_add_u32 s6, s38, 1
	s_addc_u32 s7, s39, 0
	s_andn2_b64 s[36:37], s[36:37], exec
	s_and_b64 s[40:41], s[40:41], exec
	s_or_b64 s[36:37], s[36:37], s[40:41]
.LBB1077_51:                            ;   in Loop: Header=BB1077_52 Depth=1
	s_and_b64 s[40:41], exec, s[36:37]
	s_or_b64 s[14:15], s[40:41], s[14:15]
	v_pk_mov_b32 v[20:21], s[38:39], s[38:39] op_sel:[0,1]
	s_mov_b64 s[38:39], s[6:7]
	s_andn2_b64 exec, exec, s[14:15]
	s_cbranch_execz .LBB1077_54
.LBB1077_52:                            ; =>This Inner Loop Header: Depth=1
	s_or_b64 s[36:37], s[36:37], exec
	s_cmp_eq_u64 s[26:27], s[38:39]
	s_cbranch_scc0 .LBB1077_50
; %bb.53:                               ;   in Loop: Header=BB1077_52 Depth=1
                                        ; implicit-def: $sgpr6_sgpr7
	s_mov_b64 s[38:39], s[26:27]
	s_branch .LBB1077_51
.LBB1077_54:
	s_or_b64 exec, exec, s[14:15]
	v_cmp_gt_i64_e32 vcc, s[26:27], v[20:21]
	s_orn2_b64 s[6:7], vcc, exec
.LBB1077_55:
	s_or_b64 exec, exec, s[8:9]
	s_branch .LBB1077_57
.LBB1077_56:
	v_mov_b32_e32 v12, 8
	v_lshrrev_b32_sdwa v12, v12, v29 dst_sel:BYTE_1 dst_unused:UNUSED_PAD src0_sel:DWORD src1_sel:DWORD
	v_or_b32_sdwa v12, v29, v12 dst_sel:DWORD dst_unused:UNUSED_PAD src0_sel:BYTE_0 src1_sel:DWORD
	s_movk_i32 s8, 0xff
	v_and_b32_e32 v12, 0xffff, v12
	s_mov_b32 s9, 0xff000000
	v_and_or_b32 v12, v29, s9, v12
	v_and_b32_sdwa v13, v28, s8 dst_sel:DWORD dst_unused:UNUSED_PAD src0_sel:WORD_0 src1_sel:DWORD
	s_andn2_b64 s[6:7], s[6:7], exec
.LBB1077_57:
	s_waitcnt vmcnt(0)
	v_pk_mov_b32 v[18:19], v[14:15], v[14:15] op_sel:[0,1]
	s_waitcnt lgkmcnt(0)
	s_barrier
	s_and_saveexec_b64 s[8:9], s[2:3]
	s_cbranch_execz .LBB1077_59
; %bb.58:
	v_add_u32_e32 v16, -8, v27
	ds_read_b64 v[18:19], v16
.LBB1077_59:
	s_or_b64 exec, exec, s[8:9]
	v_cndmask_b32_e64 v16, 0, 1, s[6:7]
	v_lshlrev_b16_e32 v16, 8, v16
	s_movk_i32 s6, 0xff
	v_or_b32_sdwa v28, v12, v16 dst_sel:DWORD dst_unused:UNUSED_PAD src0_sel:BYTE_0 src1_sel:DWORD
	v_lshrrev_b32_e32 v16, 24, v12
	v_lshlrev_b16_e32 v16, 8, v16
	v_and_b32_sdwa v12, v12, s6 dst_sel:DWORD dst_unused:UNUSED_PAD src0_sel:WORD_1 src1_sel:DWORD
	v_or_b32_sdwa v12, v12, v16 dst_sel:WORD_1 dst_unused:UNUSED_PAD src0_sel:DWORD src1_sel:DWORD
	s_mov_b64 s[6:7], 0
	s_and_b64 vcc, exec, s[4:5]
	s_mov_b64 s[8:9], 0
	s_cbranch_vccnz .LBB1077_68
; %bb.60:
	v_pk_mov_b32 v[20:21], s[16:17], s[16:17] op_sel:[0,1]
	s_waitcnt lgkmcnt(0)
	v_mad_u64_u32 v[16:17], s[4:5], v18, s26, v[20:21]
	v_mul_lo_u32 v18, v18, s27
	v_mul_lo_u32 v19, v19, s26
	v_add3_u32 v17, v19, v17, v18
	v_mad_u64_u32 v[18:19], s[4:5], v6, s26, v[20:21]
	v_mul_lo_u32 v20, v6, s27
	v_mul_lo_u32 v21, v7, s26
	v_add3_u32 v19, v21, v19, v20
	global_load_ubyte v20, v[16:17], off
	global_load_ubyte v21, v[18:19], off
	s_mov_b64 s[8:9], -1
	s_waitcnt vmcnt(1)
	v_cmp_ne_u16_e32 vcc, 0, v20
	s_waitcnt vmcnt(0)
	v_cmp_ne_u16_e64 s[4:5], 0, v21
	s_xor_b64 s[4:5], vcc, s[4:5]
	s_xor_b64 s[4:5], s[4:5], -1
	s_and_saveexec_b64 s[14:15], s[4:5]
	s_cbranch_execz .LBB1077_67
; %bb.61:
	s_mov_b64 s[38:39], 1
	s_mov_b64 s[8:9], 0
                                        ; implicit-def: $sgpr36_sgpr37
	s_branch .LBB1077_64
.LBB1077_62:                            ;   in Loop: Header=BB1077_64 Depth=1
	v_mov_b32_e32 v29, s39
	v_add_co_u32_e32 v20, vcc, s38, v16
	v_addc_co_u32_e32 v21, vcc, v17, v29, vcc
	v_add_co_u32_e32 v30, vcc, s38, v18
	v_addc_co_u32_e32 v31, vcc, v19, v29, vcc
	global_load_ubyte v29, v[20:21], off
	global_load_ubyte v32, v[30:31], off
	s_waitcnt vmcnt(1)
	v_cmp_ne_u16_e32 vcc, 0, v29
	s_waitcnt vmcnt(0)
	v_cmp_ne_u16_e64 s[4:5], 0, v32
	s_xor_b64 s[40:41], vcc, s[4:5]
	s_add_u32 s4, s38, 1
	s_addc_u32 s5, s39, 0
	s_andn2_b64 s[36:37], s[36:37], exec
	s_and_b64 s[40:41], s[40:41], exec
	s_or_b64 s[36:37], s[36:37], s[40:41]
.LBB1077_63:                            ;   in Loop: Header=BB1077_64 Depth=1
	s_and_b64 s[40:41], exec, s[36:37]
	s_or_b64 s[8:9], s[40:41], s[8:9]
	v_pk_mov_b32 v[20:21], s[38:39], s[38:39] op_sel:[0,1]
	s_mov_b64 s[38:39], s[4:5]
	s_andn2_b64 exec, exec, s[8:9]
	s_cbranch_execz .LBB1077_66
.LBB1077_64:                            ; =>This Inner Loop Header: Depth=1
	s_or_b64 s[36:37], s[36:37], exec
	s_cmp_eq_u64 s[26:27], s[38:39]
	s_cbranch_scc0 .LBB1077_62
; %bb.65:                               ;   in Loop: Header=BB1077_64 Depth=1
                                        ; implicit-def: $sgpr4_sgpr5
	s_mov_b64 s[38:39], s[26:27]
	s_branch .LBB1077_63
.LBB1077_66:
	s_or_b64 exec, exec, s[8:9]
	v_cmp_gt_i64_e32 vcc, s[26:27], v[20:21]
	s_orn2_b64 s[8:9], vcc, exec
.LBB1077_67:
	s_or_b64 exec, exec, s[14:15]
.LBB1077_68:
	v_or_b32_sdwa v16, v28, v12 dst_sel:DWORD dst_unused:UNUSED_PAD src0_sel:WORD_0 src1_sel:DWORD
	s_and_b64 vcc, exec, s[6:7]
	s_cbranch_vccz .LBB1077_117
.LBB1077_69:
	v_cmp_gt_u32_e32 vcc, s48, v23
	s_xor_b64 s[8:9], s[10:11], -1
	s_mov_b64 s[36:37], -1
	s_and_b64 s[4:5], vcc, s[8:9]
	s_mov_b64 s[10:11], 0
	s_mov_b64 s[6:7], 0
	s_and_saveexec_b64 s[14:15], s[4:5]
	s_cbranch_execz .LBB1077_78
; %bb.70:
	v_pk_mov_b32 v[16:17], s[16:17], s[16:17] op_sel:[0,1]
	v_mad_u64_u32 v[12:13], s[4:5], v4, s26, v[16:17]
	s_waitcnt lgkmcnt(0)
	v_mul_lo_u32 v18, v4, s27
	v_mul_lo_u32 v19, v5, s26
	v_add3_u32 v13, v19, v13, v18
	v_mad_u64_u32 v[16:17], s[4:5], v10, s26, v[16:17]
	v_mul_lo_u32 v18, v10, s27
	v_mul_lo_u32 v19, v11, s26
	v_add3_u32 v17, v19, v17, v18
	global_load_ubyte v18, v[12:13], off
	global_load_ubyte v19, v[16:17], off
	s_waitcnt vmcnt(1)
	v_cmp_ne_u16_e32 vcc, 0, v18
	s_waitcnt vmcnt(0)
	v_cmp_ne_u16_e64 s[4:5], 0, v19
	s_xor_b64 s[4:5], vcc, s[4:5]
	s_xor_b64 s[4:5], s[4:5], -1
	s_and_saveexec_b64 s[6:7], s[4:5]
	s_cbranch_execz .LBB1077_77
; %bb.71:
	s_mov_b64 s[40:41], 1
	s_mov_b64 s[36:37], 0
                                        ; implicit-def: $sgpr38_sgpr39
	s_branch .LBB1077_74
.LBB1077_72:                            ;   in Loop: Header=BB1077_74 Depth=1
	v_mov_b32_e32 v21, s41
	v_add_co_u32_e32 v18, vcc, s40, v12
	v_addc_co_u32_e32 v19, vcc, v13, v21, vcc
	v_add_co_u32_e32 v20, vcc, s40, v16
	v_addc_co_u32_e32 v21, vcc, v17, v21, vcc
	global_load_ubyte v28, v[18:19], off
	global_load_ubyte v29, v[20:21], off
	s_waitcnt vmcnt(1)
	v_cmp_ne_u16_e32 vcc, 0, v28
	s_waitcnt vmcnt(0)
	v_cmp_ne_u16_e64 s[4:5], 0, v29
	s_xor_b64 s[42:43], vcc, s[4:5]
	s_add_u32 s4, s40, 1
	s_addc_u32 s5, s41, 0
	s_andn2_b64 s[38:39], s[38:39], exec
	s_and_b64 s[42:43], s[42:43], exec
	s_or_b64 s[38:39], s[38:39], s[42:43]
.LBB1077_73:                            ;   in Loop: Header=BB1077_74 Depth=1
	s_and_b64 s[42:43], exec, s[38:39]
	s_or_b64 s[36:37], s[42:43], s[36:37]
	v_pk_mov_b32 v[18:19], s[40:41], s[40:41] op_sel:[0,1]
	s_mov_b64 s[40:41], s[4:5]
	s_andn2_b64 exec, exec, s[36:37]
	s_cbranch_execz .LBB1077_76
.LBB1077_74:                            ; =>This Inner Loop Header: Depth=1
	s_or_b64 s[38:39], s[38:39], exec
	s_cmp_eq_u64 s[26:27], s[40:41]
	s_cbranch_scc0 .LBB1077_72
; %bb.75:                               ;   in Loop: Header=BB1077_74 Depth=1
                                        ; implicit-def: $sgpr4_sgpr5
	s_mov_b64 s[40:41], s[26:27]
	s_branch .LBB1077_73
.LBB1077_76:
	s_or_b64 exec, exec, s[36:37]
	v_cmp_gt_i64_e32 vcc, s[26:27], v[18:19]
	s_orn2_b64 s[36:37], vcc, exec
.LBB1077_77:
	s_or_b64 exec, exec, s[6:7]
	s_and_b64 s[6:7], s[36:37], exec
.LBB1077_78:
	s_or_b64 exec, exec, s[14:15]
	v_cmp_gt_u32_e32 vcc, s48, v25
	s_and_b64 s[4:5], vcc, s[8:9]
	s_and_saveexec_b64 s[14:15], s[4:5]
	s_cbranch_execz .LBB1077_87
; %bb.79:
	v_pk_mov_b32 v[16:17], s[16:17], s[16:17] op_sel:[0,1]
	v_mad_u64_u32 v[12:13], s[4:5], v2, s26, v[16:17]
	s_waitcnt lgkmcnt(0)
	v_mul_lo_u32 v18, v2, s27
	v_mul_lo_u32 v19, v3, s26
	v_add3_u32 v13, v19, v13, v18
	v_mad_u64_u32 v[16:17], s[4:5], v4, s26, v[16:17]
	v_mul_lo_u32 v18, v4, s27
	v_mul_lo_u32 v19, v5, s26
	v_add3_u32 v17, v19, v17, v18
	global_load_ubyte v18, v[12:13], off
	global_load_ubyte v19, v[16:17], off
	s_waitcnt vmcnt(1)
	v_cmp_ne_u16_e32 vcc, 0, v18
	s_waitcnt vmcnt(0)
	v_cmp_ne_u16_e64 s[4:5], 0, v19
	s_xor_b64 s[10:11], vcc, s[4:5]
	s_mov_b64 s[4:5], -1
	s_xor_b64 s[36:37], s[10:11], -1
	s_and_saveexec_b64 s[10:11], s[36:37]
	s_cbranch_execz .LBB1077_86
; %bb.80:
	s_mov_b64 s[40:41], 1
	s_mov_b64 s[36:37], 0
                                        ; implicit-def: $sgpr38_sgpr39
	s_branch .LBB1077_83
.LBB1077_81:                            ;   in Loop: Header=BB1077_83 Depth=1
	v_mov_b32_e32 v21, s41
	v_add_co_u32_e32 v18, vcc, s40, v12
	v_addc_co_u32_e32 v19, vcc, v13, v21, vcc
	v_add_co_u32_e32 v20, vcc, s40, v16
	v_addc_co_u32_e32 v21, vcc, v17, v21, vcc
	global_load_ubyte v28, v[18:19], off
	global_load_ubyte v29, v[20:21], off
	s_waitcnt vmcnt(1)
	v_cmp_ne_u16_e32 vcc, 0, v28
	s_waitcnt vmcnt(0)
	v_cmp_ne_u16_e64 s[4:5], 0, v29
	s_xor_b64 s[42:43], vcc, s[4:5]
	s_add_u32 s4, s40, 1
	s_addc_u32 s5, s41, 0
	s_andn2_b64 s[38:39], s[38:39], exec
	s_and_b64 s[42:43], s[42:43], exec
	s_or_b64 s[38:39], s[38:39], s[42:43]
.LBB1077_82:                            ;   in Loop: Header=BB1077_83 Depth=1
	s_and_b64 s[42:43], exec, s[38:39]
	s_or_b64 s[36:37], s[42:43], s[36:37]
	v_pk_mov_b32 v[18:19], s[40:41], s[40:41] op_sel:[0,1]
	s_mov_b64 s[40:41], s[4:5]
	s_andn2_b64 exec, exec, s[36:37]
	s_cbranch_execz .LBB1077_85
.LBB1077_83:                            ; =>This Inner Loop Header: Depth=1
	s_or_b64 s[38:39], s[38:39], exec
	s_cmp_eq_u64 s[26:27], s[40:41]
	s_cbranch_scc0 .LBB1077_81
; %bb.84:                               ;   in Loop: Header=BB1077_83 Depth=1
                                        ; implicit-def: $sgpr4_sgpr5
	s_mov_b64 s[40:41], s[26:27]
	s_branch .LBB1077_82
.LBB1077_85:
	s_or_b64 exec, exec, s[36:37]
	v_cmp_gt_i64_e32 vcc, s[26:27], v[18:19]
	s_orn2_b64 s[4:5], vcc, exec
.LBB1077_86:
	s_or_b64 exec, exec, s[10:11]
	s_and_b64 s[10:11], s[4:5], exec
.LBB1077_87:
	s_or_b64 exec, exec, s[14:15]
	v_cmp_gt_u32_e32 vcc, s48, v22
	s_mov_b64 s[40:41], -1
	s_and_b64 s[4:5], vcc, s[8:9]
	s_mov_b64 s[14:15], 0
	s_mov_b64 s[36:37], 0
	s_and_saveexec_b64 s[38:39], s[4:5]
	s_cbranch_execz .LBB1077_96
; %bb.88:
	v_pk_mov_b32 v[16:17], s[16:17], s[16:17] op_sel:[0,1]
	v_mad_u64_u32 v[12:13], s[4:5], v8, s26, v[16:17]
	s_waitcnt lgkmcnt(0)
	v_mul_lo_u32 v18, v8, s27
	v_mul_lo_u32 v19, v9, s26
	v_add3_u32 v13, v19, v13, v18
	v_mad_u64_u32 v[16:17], s[4:5], v2, s26, v[16:17]
	v_mul_lo_u32 v18, v2, s27
	v_mul_lo_u32 v19, v3, s26
	v_add3_u32 v17, v19, v17, v18
	global_load_ubyte v18, v[12:13], off
	global_load_ubyte v19, v[16:17], off
	s_waitcnt vmcnt(1)
	v_cmp_ne_u16_e32 vcc, 0, v18
	s_waitcnt vmcnt(0)
	v_cmp_ne_u16_e64 s[4:5], 0, v19
	s_xor_b64 s[4:5], vcc, s[4:5]
	s_xor_b64 s[4:5], s[4:5], -1
	s_and_saveexec_b64 s[36:37], s[4:5]
	s_cbranch_execz .LBB1077_95
; %bb.89:
	s_mov_b64 s[44:45], 1
	s_mov_b64 s[40:41], 0
                                        ; implicit-def: $sgpr42_sgpr43
	s_branch .LBB1077_92
.LBB1077_90:                            ;   in Loop: Header=BB1077_92 Depth=1
	v_mov_b32_e32 v21, s45
	v_add_co_u32_e32 v18, vcc, s44, v12
	v_addc_co_u32_e32 v19, vcc, v13, v21, vcc
	v_add_co_u32_e32 v20, vcc, s44, v16
	v_addc_co_u32_e32 v21, vcc, v17, v21, vcc
	global_load_ubyte v28, v[18:19], off
	global_load_ubyte v29, v[20:21], off
	s_waitcnt vmcnt(1)
	v_cmp_ne_u16_e32 vcc, 0, v28
	s_waitcnt vmcnt(0)
	v_cmp_ne_u16_e64 s[4:5], 0, v29
	s_xor_b64 s[46:47], vcc, s[4:5]
	s_add_u32 s4, s44, 1
	s_addc_u32 s5, s45, 0
	s_andn2_b64 s[42:43], s[42:43], exec
	s_and_b64 s[46:47], s[46:47], exec
	s_or_b64 s[42:43], s[42:43], s[46:47]
.LBB1077_91:                            ;   in Loop: Header=BB1077_92 Depth=1
	s_and_b64 s[46:47], exec, s[42:43]
	s_or_b64 s[40:41], s[46:47], s[40:41]
	v_pk_mov_b32 v[18:19], s[44:45], s[44:45] op_sel:[0,1]
	s_mov_b64 s[44:45], s[4:5]
	s_andn2_b64 exec, exec, s[40:41]
	s_cbranch_execz .LBB1077_94
.LBB1077_92:                            ; =>This Inner Loop Header: Depth=1
	s_or_b64 s[42:43], s[42:43], exec
	s_cmp_eq_u64 s[26:27], s[44:45]
	s_cbranch_scc0 .LBB1077_90
; %bb.93:                               ;   in Loop: Header=BB1077_92 Depth=1
                                        ; implicit-def: $sgpr4_sgpr5
	s_mov_b64 s[44:45], s[26:27]
	s_branch .LBB1077_91
.LBB1077_94:
	s_or_b64 exec, exec, s[40:41]
	v_cmp_gt_i64_e32 vcc, s[26:27], v[18:19]
	s_orn2_b64 s[40:41], vcc, exec
.LBB1077_95:
	s_or_b64 exec, exec, s[36:37]
	s_and_b64 s[36:37], s[40:41], exec
.LBB1077_96:
	s_or_b64 exec, exec, s[38:39]
	v_cmp_gt_u32_e32 vcc, s48, v24
	s_and_b64 s[4:5], vcc, s[8:9]
	s_and_saveexec_b64 s[38:39], s[4:5]
	s_cbranch_execz .LBB1077_105
; %bb.97:
	v_pk_mov_b32 v[16:17], s[16:17], s[16:17] op_sel:[0,1]
	v_mad_u64_u32 v[12:13], s[4:5], v6, s26, v[16:17]
	s_waitcnt lgkmcnt(0)
	v_mul_lo_u32 v18, v6, s27
	v_mul_lo_u32 v19, v7, s26
	v_add3_u32 v13, v19, v13, v18
	v_mad_u64_u32 v[16:17], s[4:5], v8, s26, v[16:17]
	v_mul_lo_u32 v18, v8, s27
	v_mul_lo_u32 v19, v9, s26
	v_add3_u32 v17, v19, v17, v18
	global_load_ubyte v18, v[12:13], off
	global_load_ubyte v19, v[16:17], off
	s_waitcnt vmcnt(1)
	v_cmp_ne_u16_e32 vcc, 0, v18
	s_waitcnt vmcnt(0)
	v_cmp_ne_u16_e64 s[4:5], 0, v19
	s_xor_b64 s[14:15], vcc, s[4:5]
	s_mov_b64 s[4:5], -1
	s_xor_b64 s[40:41], s[14:15], -1
	s_and_saveexec_b64 s[14:15], s[40:41]
	s_cbranch_execz .LBB1077_104
; %bb.98:
	s_mov_b64 s[44:45], 1
	s_mov_b64 s[40:41], 0
                                        ; implicit-def: $sgpr42_sgpr43
	s_branch .LBB1077_101
.LBB1077_99:                            ;   in Loop: Header=BB1077_101 Depth=1
	v_mov_b32_e32 v21, s45
	v_add_co_u32_e32 v18, vcc, s44, v12
	v_addc_co_u32_e32 v19, vcc, v13, v21, vcc
	v_add_co_u32_e32 v20, vcc, s44, v16
	v_addc_co_u32_e32 v21, vcc, v17, v21, vcc
	global_load_ubyte v28, v[18:19], off
	global_load_ubyte v29, v[20:21], off
	s_waitcnt vmcnt(1)
	v_cmp_ne_u16_e32 vcc, 0, v28
	s_waitcnt vmcnt(0)
	v_cmp_ne_u16_e64 s[4:5], 0, v29
	s_xor_b64 s[46:47], vcc, s[4:5]
	s_add_u32 s4, s44, 1
	s_addc_u32 s5, s45, 0
	s_andn2_b64 s[42:43], s[42:43], exec
	s_and_b64 s[46:47], s[46:47], exec
	s_or_b64 s[42:43], s[42:43], s[46:47]
.LBB1077_100:                           ;   in Loop: Header=BB1077_101 Depth=1
	s_and_b64 s[46:47], exec, s[42:43]
	s_or_b64 s[40:41], s[46:47], s[40:41]
	v_pk_mov_b32 v[18:19], s[44:45], s[44:45] op_sel:[0,1]
	s_mov_b64 s[44:45], s[4:5]
	s_andn2_b64 exec, exec, s[40:41]
	s_cbranch_execz .LBB1077_103
.LBB1077_101:                           ; =>This Inner Loop Header: Depth=1
	s_or_b64 s[42:43], s[42:43], exec
	s_cmp_eq_u64 s[26:27], s[44:45]
	s_cbranch_scc0 .LBB1077_99
; %bb.102:                              ;   in Loop: Header=BB1077_101 Depth=1
                                        ; implicit-def: $sgpr4_sgpr5
	s_mov_b64 s[44:45], s[26:27]
	s_branch .LBB1077_100
.LBB1077_103:
	s_or_b64 exec, exec, s[40:41]
	v_cmp_gt_i64_e32 vcc, s[26:27], v[18:19]
	s_orn2_b64 s[4:5], vcc, exec
.LBB1077_104:
	s_or_b64 exec, exec, s[14:15]
	s_and_b64 s[14:15], s[4:5], exec
.LBB1077_105:
	s_or_b64 exec, exec, s[38:39]
	s_waitcnt lgkmcnt(0)
	s_barrier
	s_and_saveexec_b64 s[4:5], s[2:3]
	s_cbranch_execz .LBB1077_107
; %bb.106:
	v_add_u32_e32 v12, -8, v27
	s_waitcnt vmcnt(0)
	ds_read_b64 v[14:15], v12
.LBB1077_107:
	s_or_b64 exec, exec, s[4:5]
	v_cndmask_b32_e64 v13, 0, 1, s[10:11]
	v_cndmask_b32_e64 v12, 0, 1, s[36:37]
	;; [unrolled: 1-line block ×3, first 2 shown]
	v_cmp_gt_u32_e32 vcc, s48, v1
	v_lshlrev_b16_e32 v13, 8, v13
	s_mov_b64 s[14:15], -1
	s_and_b64 s[4:5], vcc, s[8:9]
	v_lshlrev_b16_e32 v18, 8, v16
	v_or_b32_sdwa v19, v12, v13 dst_sel:WORD_1 dst_unused:UNUSED_PAD src0_sel:DWORD src1_sel:DWORD
	s_mov_b64 s[8:9], 0
	s_and_saveexec_b64 s[10:11], s[4:5]
	s_cbranch_execz .LBB1077_116
; %bb.108:
	v_pk_mov_b32 v[16:17], s[16:17], s[16:17] op_sel:[0,1]
	s_waitcnt vmcnt(0) lgkmcnt(0)
	v_mad_u64_u32 v[12:13], s[4:5], v14, s26, v[16:17]
	v_mul_lo_u32 v14, v14, s27
	v_mul_lo_u32 v15, v15, s26
	v_add3_u32 v13, v15, v13, v14
	v_mad_u64_u32 v[14:15], s[4:5], v6, s26, v[16:17]
	v_mul_lo_u32 v16, v6, s27
	v_mul_lo_u32 v17, v7, s26
	v_add3_u32 v15, v17, v15, v16
	global_load_ubyte v16, v[12:13], off
	global_load_ubyte v17, v[14:15], off
	s_waitcnt vmcnt(1)
	v_cmp_ne_u16_e32 vcc, 0, v16
	s_waitcnt vmcnt(0)
	v_cmp_ne_u16_e64 s[4:5], 0, v17
	s_xor_b64 s[4:5], vcc, s[4:5]
	s_xor_b64 s[4:5], s[4:5], -1
	s_and_saveexec_b64 s[8:9], s[4:5]
	s_cbranch_execz .LBB1077_115
; %bb.109:
	s_mov_b64 s[38:39], 1
	s_mov_b64 s[14:15], 0
                                        ; implicit-def: $sgpr36_sgpr37
	s_branch .LBB1077_112
.LBB1077_110:                           ;   in Loop: Header=BB1077_112 Depth=1
	v_mov_b32_e32 v21, s39
	v_add_co_u32_e32 v16, vcc, s38, v12
	v_addc_co_u32_e32 v17, vcc, v13, v21, vcc
	v_add_co_u32_e32 v20, vcc, s38, v14
	v_addc_co_u32_e32 v21, vcc, v15, v21, vcc
	global_load_ubyte v27, v[16:17], off
	global_load_ubyte v28, v[20:21], off
	s_waitcnt vmcnt(1)
	v_cmp_ne_u16_e32 vcc, 0, v27
	s_waitcnt vmcnt(0)
	v_cmp_ne_u16_e64 s[4:5], 0, v28
	s_xor_b64 s[40:41], vcc, s[4:5]
	s_add_u32 s4, s38, 1
	s_addc_u32 s5, s39, 0
	s_andn2_b64 s[36:37], s[36:37], exec
	s_and_b64 s[40:41], s[40:41], exec
	s_or_b64 s[36:37], s[36:37], s[40:41]
.LBB1077_111:                           ;   in Loop: Header=BB1077_112 Depth=1
	s_and_b64 s[40:41], exec, s[36:37]
	s_or_b64 s[14:15], s[40:41], s[14:15]
	v_pk_mov_b32 v[16:17], s[38:39], s[38:39] op_sel:[0,1]
	s_mov_b64 s[38:39], s[4:5]
	s_andn2_b64 exec, exec, s[14:15]
	s_cbranch_execz .LBB1077_114
.LBB1077_112:                           ; =>This Inner Loop Header: Depth=1
	s_or_b64 s[36:37], s[36:37], exec
	s_cmp_eq_u64 s[26:27], s[38:39]
	s_cbranch_scc0 .LBB1077_110
; %bb.113:                              ;   in Loop: Header=BB1077_112 Depth=1
                                        ; implicit-def: $sgpr4_sgpr5
	s_mov_b64 s[38:39], s[26:27]
	s_branch .LBB1077_111
.LBB1077_114:
	s_or_b64 exec, exec, s[14:15]
	v_cmp_gt_i64_e32 vcc, s[26:27], v[16:17]
	s_orn2_b64 s[14:15], vcc, exec
.LBB1077_115:
	s_or_b64 exec, exec, s[8:9]
	s_and_b64 s[8:9], s[14:15], exec
.LBB1077_116:
	s_or_b64 exec, exec, s[10:11]
	v_cndmask_b32_e64 v13, 0, 1, s[6:7]
	v_or_b32_e32 v16, v18, v19
.LBB1077_117:
	s_mov_b64 s[14:15], -1
	s_cbranch_execnz .LBB1077_215
.LBB1077_118:
	v_lshlrev_b32_e32 v12, 5, v0
	v_sub_u32_e32 v20, v26, v12
	v_cmp_lt_i64_e64 s[10:11], s[26:27], 1
	s_mov_b64 s[6:7], 0
	v_cmp_gt_i64_e64 s[8:9], s[26:27], 0
	s_and_b64 vcc, exec, s[30:31]
	ds_write_b64 v20, v[10:11]
	s_cbranch_vccz .LBB1077_126
; %bb.119:
	v_cndmask_b32_e64 v12, 0, 1, s[8:9]
	v_cmp_ne_u32_e64 s[4:5], 1, v12
	s_andn2_b64 vcc, exec, s[8:9]
	s_cbranch_vccnz .LBB1077_127
; %bb.120:
	s_waitcnt vmcnt(0) lgkmcnt(1)
	v_pk_mov_b32 v[14:15], s[16:17], s[16:17] op_sel:[0,1]
	v_mad_u64_u32 v[12:13], s[6:7], v4, s26, v[14:15]
	v_mul_lo_u32 v16, v4, s27
	v_mul_lo_u32 v17, v5, s26
	v_add3_u32 v13, v17, v13, v16
	v_mad_u64_u32 v[14:15], s[6:7], v10, s26, v[14:15]
	v_mul_lo_u32 v16, v10, s27
	v_mul_lo_u32 v17, v11, s26
	v_add3_u32 v15, v17, v15, v16
	global_load_ubyte v16, v[12:13], off
	global_load_ubyte v17, v[14:15], off
	s_mov_b64 s[8:9], -1
	s_waitcnt vmcnt(1)
	v_cmp_ne_u16_e32 vcc, 0, v16
	s_waitcnt vmcnt(0)
	v_cmp_ne_u16_e64 s[6:7], 0, v17
	s_xor_b64 s[6:7], vcc, s[6:7]
	s_xor_b64 s[6:7], s[6:7], -1
	s_and_saveexec_b64 s[36:37], s[6:7]
	s_cbranch_execz .LBB1077_129
; %bb.121:
	s_mov_b64 s[42:43], 1
	s_mov_b64 s[38:39], 0
                                        ; implicit-def: $sgpr40_sgpr41
	s_branch .LBB1077_124
.LBB1077_122:                           ;   in Loop: Header=BB1077_124 Depth=1
	v_mov_b32_e32 v19, s43
	v_add_co_u32_e64 v16, s[6:7], s42, v12
	v_addc_co_u32_e64 v17, s[6:7], v13, v19, s[6:7]
	v_add_co_u32_e64 v18, s[6:7], s42, v14
	v_addc_co_u32_e64 v19, s[6:7], v15, v19, s[6:7]
	global_load_ubyte v21, v[16:17], off
	global_load_ubyte v26, v[18:19], off
	s_waitcnt vmcnt(1)
	v_cmp_ne_u16_e64 s[6:7], 0, v21
	s_waitcnt vmcnt(0)
	v_cmp_ne_u16_e64 s[8:9], 0, v26
	s_xor_b64 s[8:9], s[6:7], s[8:9]
	s_add_u32 s6, s42, 1
	s_addc_u32 s7, s43, 0
	s_andn2_b64 s[40:41], s[40:41], exec
	s_and_b64 s[8:9], s[8:9], exec
	s_or_b64 s[40:41], s[40:41], s[8:9]
.LBB1077_123:                           ;   in Loop: Header=BB1077_124 Depth=1
	s_and_b64 s[8:9], exec, s[40:41]
	s_or_b64 s[38:39], s[8:9], s[38:39]
	v_pk_mov_b32 v[16:17], s[42:43], s[42:43] op_sel:[0,1]
	s_mov_b64 s[42:43], s[6:7]
	s_andn2_b64 exec, exec, s[38:39]
	s_cbranch_execz .LBB1077_128
.LBB1077_124:                           ; =>This Inner Loop Header: Depth=1
	s_or_b64 s[40:41], s[40:41], exec
	s_cmp_eq_u64 s[26:27], s[42:43]
	s_cbranch_scc0 .LBB1077_122
; %bb.125:                              ;   in Loop: Header=BB1077_124 Depth=1
                                        ; implicit-def: $sgpr6_sgpr7
	s_mov_b64 s[42:43], s[26:27]
	s_branch .LBB1077_123
.LBB1077_126:
                                        ; implicit-def: $sgpr8_sgpr9
                                        ; implicit-def: $vgpr13
                                        ; implicit-def: $vgpr16
	s_cbranch_execnz .LBB1077_167
	s_branch .LBB1077_215
.LBB1077_127:
	v_mov_b32_e32 v21, 0
	s_branch .LBB1077_137
.LBB1077_128:
	s_or_b64 exec, exec, s[38:39]
	v_cmp_gt_i64_e64 s[6:7], s[26:27], v[16:17]
	s_orn2_b64 s[8:9], s[6:7], exec
.LBB1077_129:
	s_or_b64 exec, exec, s[36:37]
	v_pk_mov_b32 v[14:15], s[16:17], s[16:17] op_sel:[0,1]
	v_mad_u64_u32 v[14:15], s[6:7], v2, s26, v[14:15]
	v_mul_lo_u32 v16, v2, s27
	v_mul_lo_u32 v17, v3, s26
	v_add3_u32 v15, v17, v15, v16
	global_load_ubyte v16, v[14:15], off
	s_waitcnt vmcnt(0)
	v_cmp_ne_u16_e64 s[6:7], 0, v16
	s_xor_b64 s[36:37], vcc, s[6:7]
	s_mov_b64 s[6:7], -1
	s_xor_b64 s[38:39], s[36:37], -1
	s_and_saveexec_b64 s[36:37], s[38:39]
	s_cbranch_execz .LBB1077_136
; %bb.130:
	s_mov_b64 s[42:43], 1
	s_mov_b64 s[38:39], 0
                                        ; implicit-def: $sgpr40_sgpr41
	s_branch .LBB1077_133
.LBB1077_131:                           ;   in Loop: Header=BB1077_133 Depth=1
	v_mov_b32_e32 v19, s43
	v_add_co_u32_e32 v16, vcc, s42, v14
	v_addc_co_u32_e32 v17, vcc, v15, v19, vcc
	v_add_co_u32_e32 v18, vcc, s42, v12
	v_addc_co_u32_e32 v19, vcc, v13, v19, vcc
	global_load_ubyte v21, v[16:17], off
	global_load_ubyte v26, v[18:19], off
	s_waitcnt vmcnt(1)
	v_cmp_ne_u16_e32 vcc, 0, v21
	s_waitcnt vmcnt(0)
	v_cmp_ne_u16_e64 s[6:7], 0, v26
	s_xor_b64 s[44:45], vcc, s[6:7]
	s_add_u32 s6, s42, 1
	s_addc_u32 s7, s43, 0
	s_andn2_b64 s[40:41], s[40:41], exec
	s_and_b64 s[44:45], s[44:45], exec
	s_or_b64 s[40:41], s[40:41], s[44:45]
.LBB1077_132:                           ;   in Loop: Header=BB1077_133 Depth=1
	s_and_b64 s[44:45], exec, s[40:41]
	s_or_b64 s[38:39], s[44:45], s[38:39]
	v_pk_mov_b32 v[16:17], s[42:43], s[42:43] op_sel:[0,1]
	s_mov_b64 s[42:43], s[6:7]
	s_andn2_b64 exec, exec, s[38:39]
	s_cbranch_execz .LBB1077_135
.LBB1077_133:                           ; =>This Inner Loop Header: Depth=1
	s_or_b64 s[40:41], s[40:41], exec
	s_cmp_eq_u64 s[26:27], s[42:43]
	s_cbranch_scc0 .LBB1077_131
; %bb.134:                              ;   in Loop: Header=BB1077_133 Depth=1
                                        ; implicit-def: $sgpr6_sgpr7
	s_mov_b64 s[42:43], s[26:27]
	s_branch .LBB1077_132
.LBB1077_135:
	s_or_b64 exec, exec, s[38:39]
	v_cmp_gt_i64_e32 vcc, s[26:27], v[16:17]
	s_orn2_b64 s[6:7], vcc, exec
.LBB1077_136:
	s_or_b64 exec, exec, s[36:37]
	v_cndmask_b32_e64 v21, 0, 1, s[8:9]
.LBB1077_137:
	v_lshlrev_b16_e32 v12, 8, v0
	v_cndmask_b32_e64 v13, 0, 1, s[6:7]
	s_waitcnt vmcnt(0) lgkmcnt(1)
	v_mov_b32_e32 v14, 8
	v_lshrrev_b32_sdwa v12, v14, v12 dst_sel:BYTE_1 dst_unused:UNUSED_PAD src0_sel:DWORD src1_sel:DWORD
	v_lshlrev_b16_e32 v13, 8, v13
	v_or_b32_sdwa v12, v0, v12 dst_sel:DWORD dst_unused:UNUSED_PAD src0_sel:BYTE_0 src1_sel:DWORD
	v_or_b32_sdwa v13, v0, v13 dst_sel:WORD_1 dst_unused:UNUSED_PAD src0_sel:BYTE_0 src1_sel:DWORD
	s_and_b64 vcc, exec, s[4:5]
	v_or_b32_sdwa v26, v12, v13 dst_sel:DWORD dst_unused:UNUSED_PAD src0_sel:WORD_0 src1_sel:DWORD
	s_cbranch_vccnz .LBB1077_144
; %bb.138:
	v_pk_mov_b32 v[14:15], s[16:17], s[16:17] op_sel:[0,1]
	v_mad_u64_u32 v[12:13], s[6:7], v8, s26, v[14:15]
	v_mul_lo_u32 v16, v8, s27
	v_mul_lo_u32 v17, v9, s26
	v_add3_u32 v13, v17, v13, v16
	v_mad_u64_u32 v[14:15], s[6:7], v2, s26, v[14:15]
	v_mul_lo_u32 v16, v2, s27
	v_mul_lo_u32 v17, v3, s26
	v_add3_u32 v15, v17, v15, v16
	global_load_ubyte v16, v[12:13], off
	global_load_ubyte v17, v[14:15], off
	s_waitcnt vmcnt(1)
	v_cmp_ne_u16_e32 vcc, 0, v16
	s_waitcnt vmcnt(0)
	v_cmp_ne_u16_e64 s[6:7], 0, v17
	s_xor_b64 s[8:9], vcc, s[6:7]
	s_mov_b64 s[6:7], -1
	s_xor_b64 s[8:9], s[8:9], -1
	s_and_saveexec_b64 s[36:37], s[8:9]
	s_cbranch_execz .LBB1077_146
; %bb.139:
	s_mov_b64 s[42:43], 1
	s_mov_b64 s[38:39], 0
                                        ; implicit-def: $sgpr40_sgpr41
	s_branch .LBB1077_142
.LBB1077_140:                           ;   in Loop: Header=BB1077_142 Depth=1
	v_mov_b32_e32 v19, s43
	v_add_co_u32_e64 v16, s[6:7], s42, v12
	v_addc_co_u32_e64 v17, s[6:7], v13, v19, s[6:7]
	v_add_co_u32_e64 v18, s[6:7], s42, v14
	v_addc_co_u32_e64 v19, s[6:7], v15, v19, s[6:7]
	global_load_ubyte v27, v[16:17], off
	global_load_ubyte v28, v[18:19], off
	s_waitcnt vmcnt(1)
	v_cmp_ne_u16_e64 s[6:7], 0, v27
	s_waitcnt vmcnt(0)
	v_cmp_ne_u16_e64 s[8:9], 0, v28
	s_xor_b64 s[8:9], s[6:7], s[8:9]
	s_add_u32 s6, s42, 1
	s_addc_u32 s7, s43, 0
	s_andn2_b64 s[40:41], s[40:41], exec
	s_and_b64 s[8:9], s[8:9], exec
	s_or_b64 s[40:41], s[40:41], s[8:9]
.LBB1077_141:                           ;   in Loop: Header=BB1077_142 Depth=1
	s_and_b64 s[8:9], exec, s[40:41]
	s_or_b64 s[38:39], s[8:9], s[38:39]
	v_pk_mov_b32 v[16:17], s[42:43], s[42:43] op_sel:[0,1]
	s_mov_b64 s[42:43], s[6:7]
	s_andn2_b64 exec, exec, s[38:39]
	s_cbranch_execz .LBB1077_145
.LBB1077_142:                           ; =>This Inner Loop Header: Depth=1
	s_or_b64 s[40:41], s[40:41], exec
	s_cmp_eq_u64 s[26:27], s[42:43]
	s_cbranch_scc0 .LBB1077_140
; %bb.143:                              ;   in Loop: Header=BB1077_142 Depth=1
                                        ; implicit-def: $sgpr6_sgpr7
	s_mov_b64 s[42:43], s[26:27]
	s_branch .LBB1077_141
.LBB1077_144:
                                        ; implicit-def: $sgpr6_sgpr7
                                        ; implicit-def: $vgpr14_vgpr15
	s_cbranch_execnz .LBB1077_154
	s_branch .LBB1077_155
.LBB1077_145:
	s_or_b64 exec, exec, s[38:39]
	v_cmp_gt_i64_e64 s[6:7], s[26:27], v[16:17]
	s_orn2_b64 s[6:7], s[6:7], exec
.LBB1077_146:
	s_or_b64 exec, exec, s[36:37]
	v_pk_mov_b32 v[14:15], s[16:17], s[16:17] op_sel:[0,1]
	v_mad_u64_u32 v[16:17], s[8:9], v6, s26, v[14:15]
	v_mul_lo_u32 v14, v6, s27
	v_mul_lo_u32 v15, v7, s26
	v_add3_u32 v17, v15, v17, v14
	global_load_ubyte v18, v[16:17], off
	v_cndmask_b32_e64 v14, 0, 1, s[6:7]
	s_movk_i32 s6, 0xff
	v_mov_b32_e32 v15, 8
	v_lshrrev_b32_e32 v19, 24, v26
	v_lshrrev_b32_sdwa v27, v15, v26 dst_sel:BYTE_1 dst_unused:UNUSED_PAD src0_sel:DWORD src1_sel:DWORD
	v_lshlrev_b16_e32 v19, 8, v19
	v_and_b32_sdwa v15, v21, s6 dst_sel:DWORD dst_unused:UNUSED_PAD src0_sel:WORD_0 src1_sel:DWORD
	v_or_b32_sdwa v27, v26, v27 dst_sel:DWORD dst_unused:UNUSED_PAD src0_sel:BYTE_0 src1_sel:DWORD
	v_or_b32_sdwa v14, v14, v19 dst_sel:WORD_1 dst_unused:UNUSED_PAD src0_sel:DWORD src1_sel:DWORD
	v_or_b32_sdwa v14, v27, v14 dst_sel:DWORD dst_unused:UNUSED_PAD src0_sel:WORD_0 src1_sel:DWORD
	s_waitcnt vmcnt(0)
	v_cmp_ne_u16_e64 s[6:7], 0, v18
	s_xor_b64 s[8:9], vcc, s[6:7]
	s_mov_b64 s[6:7], -1
	s_xor_b64 s[36:37], s[8:9], -1
	s_and_saveexec_b64 s[8:9], s[36:37]
	s_cbranch_execz .LBB1077_153
; %bb.147:
	s_mov_b64 s[40:41], 1
	s_mov_b64 s[36:37], 0
                                        ; implicit-def: $sgpr38_sgpr39
	s_branch .LBB1077_150
.LBB1077_148:                           ;   in Loop: Header=BB1077_150 Depth=1
	v_mov_b32_e32 v27, s41
	v_add_co_u32_e32 v18, vcc, s40, v16
	v_addc_co_u32_e32 v19, vcc, v17, v27, vcc
	v_add_co_u32_e32 v28, vcc, s40, v12
	v_addc_co_u32_e32 v29, vcc, v13, v27, vcc
	global_load_ubyte v27, v[18:19], off
	global_load_ubyte v30, v[28:29], off
	s_waitcnt vmcnt(1)
	v_cmp_ne_u16_e32 vcc, 0, v27
	s_waitcnt vmcnt(0)
	v_cmp_ne_u16_e64 s[6:7], 0, v30
	s_xor_b64 s[42:43], vcc, s[6:7]
	s_add_u32 s6, s40, 1
	s_addc_u32 s7, s41, 0
	s_andn2_b64 s[38:39], s[38:39], exec
	s_and_b64 s[42:43], s[42:43], exec
	s_or_b64 s[38:39], s[38:39], s[42:43]
.LBB1077_149:                           ;   in Loop: Header=BB1077_150 Depth=1
	s_and_b64 s[42:43], exec, s[38:39]
	s_or_b64 s[36:37], s[42:43], s[36:37]
	v_pk_mov_b32 v[18:19], s[40:41], s[40:41] op_sel:[0,1]
	s_mov_b64 s[40:41], s[6:7]
	s_andn2_b64 exec, exec, s[36:37]
	s_cbranch_execz .LBB1077_152
.LBB1077_150:                           ; =>This Inner Loop Header: Depth=1
	s_or_b64 s[38:39], s[38:39], exec
	s_cmp_eq_u64 s[26:27], s[40:41]
	s_cbranch_scc0 .LBB1077_148
; %bb.151:                              ;   in Loop: Header=BB1077_150 Depth=1
                                        ; implicit-def: $sgpr6_sgpr7
	s_mov_b64 s[40:41], s[26:27]
	s_branch .LBB1077_149
.LBB1077_152:
	s_or_b64 exec, exec, s[36:37]
	v_cmp_gt_i64_e32 vcc, s[26:27], v[18:19]
	s_orn2_b64 s[6:7], vcc, exec
.LBB1077_153:
	s_or_b64 exec, exec, s[8:9]
	s_branch .LBB1077_155
.LBB1077_154:
	v_mov_b32_e32 v12, 8
	v_lshrrev_b32_sdwa v12, v12, v26 dst_sel:BYTE_1 dst_unused:UNUSED_PAD src0_sel:DWORD src1_sel:DWORD
	v_or_b32_sdwa v12, v26, v12 dst_sel:DWORD dst_unused:UNUSED_PAD src0_sel:BYTE_0 src1_sel:DWORD
	s_movk_i32 s8, 0xff
	v_and_b32_e32 v12, 0xffff, v12
	s_mov_b32 s9, 0xff000000
	v_and_or_b32 v14, v26, s9, v12
	v_and_b32_sdwa v15, v21, s8 dst_sel:DWORD dst_unused:UNUSED_PAD src0_sel:WORD_0 src1_sel:DWORD
	s_andn2_b64 s[6:7], s[6:7], exec
.LBB1077_155:
	v_cndmask_b32_e64 v12, 0, 1, s[6:7]
	v_lshrrev_b32_e32 v13, 24, v14
	s_movk_i32 s6, 0xff
	v_lshlrev_b16_e32 v13, 8, v13
	v_and_b32_sdwa v14, v14, s6 dst_sel:DWORD dst_unused:UNUSED_PAD src0_sel:WORD_1 src1_sel:DWORD
	v_lshlrev_b16_e32 v12, 8, v12
	v_or_b32_sdwa v13, v14, v13 dst_sel:WORD_1 dst_unused:UNUSED_PAD src0_sel:DWORD src1_sel:DWORD
	v_or_b32_e32 v12, 1, v12
	v_or_b32_sdwa v12, v12, v13 dst_sel:DWORD dst_unused:UNUSED_PAD src0_sel:WORD_0 src1_sel:DWORD
	v_and_b32_e32 v13, 0xff, v15
	s_waitcnt lgkmcnt(0)
	s_barrier
	s_waitcnt lgkmcnt(0)
                                        ; implicit-def: $sgpr8_sgpr9
                                        ; implicit-def: $vgpr16
	s_and_saveexec_b64 s[6:7], s[2:3]
	s_xor_b64 s[6:7], exec, s[6:7]
	s_cbranch_execz .LBB1077_166
; %bb.156:
	s_mov_b32 s42, 0x3020104
	s_and_b64 vcc, exec, s[4:5]
	s_mov_b64 s[4:5], 0
	s_cbranch_vccnz .LBB1077_165
; %bb.157:
	v_add_u32_e32 v14, -8, v20
	ds_read_b64 v[14:15], v14
	v_pk_mov_b32 v[16:17], s[16:17], s[16:17] op_sel:[0,1]
	s_waitcnt lgkmcnt(0)
	v_mul_lo_u32 v18, v14, s27
	v_mul_lo_u32 v19, v15, s26
	v_mad_u64_u32 v[14:15], s[4:5], v14, s26, v[16:17]
	v_add3_u32 v15, v19, v15, v18
	v_mad_u64_u32 v[16:17], s[4:5], v6, s26, v[16:17]
	v_mul_lo_u32 v18, v6, s27
	v_mul_lo_u32 v19, v7, s26
	v_add3_u32 v17, v19, v17, v18
	global_load_ubyte v18, v[14:15], off
	global_load_ubyte v19, v[16:17], off
	s_waitcnt vmcnt(1)
	v_cmp_ne_u16_e32 vcc, 0, v18
	s_waitcnt vmcnt(0)
	v_cmp_ne_u16_e64 s[4:5], 0, v19
	s_xor_b64 s[8:9], vcc, s[4:5]
	s_mov_b64 s[4:5], -1
	s_xor_b64 s[36:37], s[8:9], -1
	s_and_saveexec_b64 s[8:9], s[36:37]
	s_cbranch_execz .LBB1077_164
; %bb.158:
	s_mov_b64 s[40:41], 1
	s_mov_b64 s[36:37], 0
                                        ; implicit-def: $sgpr38_sgpr39
	s_branch .LBB1077_161
.LBB1077_159:                           ;   in Loop: Header=BB1077_161 Depth=1
	v_mov_b32_e32 v21, s41
	v_add_co_u32_e32 v18, vcc, s40, v14
	v_addc_co_u32_e32 v19, vcc, v15, v21, vcc
	v_add_co_u32_e32 v26, vcc, s40, v16
	v_addc_co_u32_e32 v27, vcc, v17, v21, vcc
	global_load_ubyte v21, v[18:19], off
	global_load_ubyte v28, v[26:27], off
	s_waitcnt vmcnt(1)
	v_cmp_ne_u16_e32 vcc, 0, v21
	s_waitcnt vmcnt(0)
	v_cmp_ne_u16_e64 s[4:5], 0, v28
	s_xor_b64 s[44:45], vcc, s[4:5]
	s_add_u32 s4, s40, 1
	s_addc_u32 s5, s41, 0
	s_andn2_b64 s[38:39], s[38:39], exec
	s_and_b64 s[44:45], s[44:45], exec
	s_or_b64 s[38:39], s[38:39], s[44:45]
.LBB1077_160:                           ;   in Loop: Header=BB1077_161 Depth=1
	s_and_b64 s[44:45], exec, s[38:39]
	s_or_b64 s[36:37], s[44:45], s[36:37]
	v_pk_mov_b32 v[18:19], s[40:41], s[40:41] op_sel:[0,1]
	s_mov_b64 s[40:41], s[4:5]
	s_andn2_b64 exec, exec, s[36:37]
	s_cbranch_execz .LBB1077_163
.LBB1077_161:                           ; =>This Inner Loop Header: Depth=1
	s_or_b64 s[38:39], s[38:39], exec
	s_cmp_eq_u64 s[26:27], s[40:41]
	s_cbranch_scc0 .LBB1077_159
; %bb.162:                              ;   in Loop: Header=BB1077_161 Depth=1
                                        ; implicit-def: $sgpr4_sgpr5
	s_mov_b64 s[40:41], s[26:27]
	s_branch .LBB1077_160
.LBB1077_163:
	s_or_b64 exec, exec, s[36:37]
	v_cmp_gt_i64_e32 vcc, s[26:27], v[18:19]
	s_orn2_b64 s[4:5], vcc, exec
.LBB1077_164:
	s_or_b64 exec, exec, s[8:9]
.LBB1077_165:
	v_perm_b32 v16, v12, v12, s42
	s_and_b64 s[8:9], s[4:5], exec
	s_or_b64 s[14:15], s[14:15], exec
.LBB1077_166:
	s_or_b64 exec, exec, s[6:7]
	s_branch .LBB1077_215
.LBB1077_167:
	v_cmp_gt_u32_e32 vcc, s48, v23
	s_xor_b64 s[6:7], s[10:11], -1
	s_mov_b64 s[38:39], -1
	s_and_b64 s[4:5], vcc, s[6:7]
	s_mov_b64 s[10:11], 0
	v_mul_lo_u32 v21, v4, s27
	v_mul_lo_u32 v26, v5, s26
	s_mov_b64 s[8:9], 0
	s_and_saveexec_b64 s[36:37], s[4:5]
	s_cbranch_execz .LBB1077_176
; %bb.168:
	s_waitcnt vmcnt(0) lgkmcnt(1)
	v_pk_mov_b32 v[14:15], s[16:17], s[16:17] op_sel:[0,1]
	v_mad_u64_u32 v[12:13], s[4:5], v4, s26, v[14:15]
	v_add3_u32 v13, v26, v13, v21
	v_mad_u64_u32 v[14:15], s[4:5], v10, s26, v[14:15]
	v_mul_lo_u32 v16, v10, s27
	v_mul_lo_u32 v17, v11, s26
	v_add3_u32 v15, v17, v15, v16
	global_load_ubyte v16, v[12:13], off
	global_load_ubyte v17, v[14:15], off
	s_waitcnt vmcnt(1)
	v_cmp_ne_u16_e32 vcc, 0, v16
	s_waitcnt vmcnt(0)
	v_cmp_ne_u16_e64 s[4:5], 0, v17
	s_xor_b64 s[4:5], vcc, s[4:5]
	s_xor_b64 s[4:5], s[4:5], -1
	s_and_saveexec_b64 s[8:9], s[4:5]
	s_cbranch_execz .LBB1077_175
; %bb.169:
	s_mov_b64 s[42:43], 1
	s_mov_b64 s[38:39], 0
                                        ; implicit-def: $sgpr40_sgpr41
	s_branch .LBB1077_172
.LBB1077_170:                           ;   in Loop: Header=BB1077_172 Depth=1
	v_mov_b32_e32 v19, s43
	v_add_co_u32_e32 v16, vcc, s42, v12
	v_addc_co_u32_e32 v17, vcc, v13, v19, vcc
	v_add_co_u32_e32 v18, vcc, s42, v14
	v_addc_co_u32_e32 v19, vcc, v15, v19, vcc
	global_load_ubyte v27, v[16:17], off
	global_load_ubyte v28, v[18:19], off
	s_waitcnt vmcnt(1)
	v_cmp_ne_u16_e32 vcc, 0, v27
	s_waitcnt vmcnt(0)
	v_cmp_ne_u16_e64 s[4:5], 0, v28
	s_xor_b64 s[44:45], vcc, s[4:5]
	s_add_u32 s4, s42, 1
	s_addc_u32 s5, s43, 0
	s_andn2_b64 s[40:41], s[40:41], exec
	s_and_b64 s[44:45], s[44:45], exec
	s_or_b64 s[40:41], s[40:41], s[44:45]
.LBB1077_171:                           ;   in Loop: Header=BB1077_172 Depth=1
	s_and_b64 s[44:45], exec, s[40:41]
	s_or_b64 s[38:39], s[44:45], s[38:39]
	v_pk_mov_b32 v[16:17], s[42:43], s[42:43] op_sel:[0,1]
	s_mov_b64 s[42:43], s[4:5]
	s_andn2_b64 exec, exec, s[38:39]
	s_cbranch_execz .LBB1077_174
.LBB1077_172:                           ; =>This Inner Loop Header: Depth=1
	s_or_b64 s[40:41], s[40:41], exec
	s_cmp_eq_u64 s[26:27], s[42:43]
	s_cbranch_scc0 .LBB1077_170
; %bb.173:                              ;   in Loop: Header=BB1077_172 Depth=1
                                        ; implicit-def: $sgpr4_sgpr5
	s_mov_b64 s[42:43], s[26:27]
	s_branch .LBB1077_171
.LBB1077_174:
	s_or_b64 exec, exec, s[38:39]
	v_cmp_gt_i64_e32 vcc, s[26:27], v[16:17]
	s_orn2_b64 s[38:39], vcc, exec
.LBB1077_175:
	s_or_b64 exec, exec, s[8:9]
	s_and_b64 s[8:9], s[38:39], exec
.LBB1077_176:
	s_or_b64 exec, exec, s[36:37]
	v_cmp_gt_u32_e32 vcc, s48, v25
	s_and_b64 s[4:5], vcc, s[6:7]
	s_waitcnt lgkmcnt(1)
	v_mul_lo_u32 v18, v2, s27
	v_mul_lo_u32 v19, v3, s26
	s_and_saveexec_b64 s[36:37], s[4:5]
	s_cbranch_execz .LBB1077_185
; %bb.177:
	s_waitcnt vmcnt(0)
	v_pk_mov_b32 v[14:15], s[16:17], s[16:17] op_sel:[0,1]
	v_mad_u64_u32 v[12:13], s[4:5], v2, s26, v[14:15]
	v_add3_u32 v13, v19, v13, v18
	v_mad_u64_u32 v[14:15], s[4:5], v4, s26, v[14:15]
	v_add3_u32 v15, v26, v15, v21
	global_load_ubyte v16, v[12:13], off
	global_load_ubyte v17, v[14:15], off
	s_waitcnt vmcnt(1)
	v_cmp_ne_u16_e32 vcc, 0, v16
	s_waitcnt vmcnt(0)
	v_cmp_ne_u16_e64 s[4:5], 0, v17
	s_xor_b64 s[10:11], vcc, s[4:5]
	s_mov_b64 s[4:5], -1
	s_xor_b64 s[38:39], s[10:11], -1
	s_and_saveexec_b64 s[10:11], s[38:39]
	s_cbranch_execz .LBB1077_184
; %bb.178:
	s_mov_b64 s[42:43], 1
	s_mov_b64 s[38:39], 0
                                        ; implicit-def: $sgpr40_sgpr41
	s_branch .LBB1077_181
.LBB1077_179:                           ;   in Loop: Header=BB1077_181 Depth=1
	v_mov_b32_e32 v21, s43
	v_add_co_u32_e32 v16, vcc, s42, v12
	v_addc_co_u32_e32 v17, vcc, v13, v21, vcc
	v_add_co_u32_e32 v26, vcc, s42, v14
	v_addc_co_u32_e32 v27, vcc, v15, v21, vcc
	global_load_ubyte v21, v[16:17], off
	global_load_ubyte v28, v[26:27], off
	s_waitcnt vmcnt(1)
	v_cmp_ne_u16_e32 vcc, 0, v21
	s_waitcnt vmcnt(0)
	v_cmp_ne_u16_e64 s[4:5], 0, v28
	s_xor_b64 s[44:45], vcc, s[4:5]
	s_add_u32 s4, s42, 1
	s_addc_u32 s5, s43, 0
	s_andn2_b64 s[40:41], s[40:41], exec
	s_and_b64 s[44:45], s[44:45], exec
	s_or_b64 s[40:41], s[40:41], s[44:45]
.LBB1077_180:                           ;   in Loop: Header=BB1077_181 Depth=1
	s_and_b64 s[44:45], exec, s[40:41]
	s_or_b64 s[38:39], s[44:45], s[38:39]
	v_pk_mov_b32 v[16:17], s[42:43], s[42:43] op_sel:[0,1]
	s_mov_b64 s[42:43], s[4:5]
	s_andn2_b64 exec, exec, s[38:39]
	s_cbranch_execz .LBB1077_183
.LBB1077_181:                           ; =>This Inner Loop Header: Depth=1
	s_or_b64 s[40:41], s[40:41], exec
	s_cmp_eq_u64 s[26:27], s[42:43]
	s_cbranch_scc0 .LBB1077_179
; %bb.182:                              ;   in Loop: Header=BB1077_181 Depth=1
                                        ; implicit-def: $sgpr4_sgpr5
	s_mov_b64 s[42:43], s[26:27]
	s_branch .LBB1077_180
.LBB1077_183:
	s_or_b64 exec, exec, s[38:39]
	v_cmp_gt_i64_e32 vcc, s[26:27], v[16:17]
	s_orn2_b64 s[4:5], vcc, exec
.LBB1077_184:
	s_or_b64 exec, exec, s[10:11]
	s_and_b64 s[10:11], s[4:5], exec
.LBB1077_185:
	s_or_b64 exec, exec, s[36:37]
	v_cmp_gt_u32_e32 vcc, s48, v22
	s_mov_b64 s[42:43], -1
	s_and_b64 s[4:5], vcc, s[6:7]
	s_mov_b64 s[36:37], 0
	v_mul_lo_u32 v21, v8, s27
	v_mul_lo_u32 v26, v9, s26
	s_mov_b64 s[38:39], 0
	s_and_saveexec_b64 s[40:41], s[4:5]
	s_cbranch_execz .LBB1077_194
; %bb.186:
	s_waitcnt vmcnt(0)
	v_pk_mov_b32 v[14:15], s[16:17], s[16:17] op_sel:[0,1]
	v_mad_u64_u32 v[12:13], s[4:5], v8, s26, v[14:15]
	v_add3_u32 v13, v26, v13, v21
	v_mad_u64_u32 v[14:15], s[4:5], v2, s26, v[14:15]
	v_add3_u32 v15, v19, v15, v18
	global_load_ubyte v16, v[12:13], off
	global_load_ubyte v17, v[14:15], off
	s_waitcnt vmcnt(1)
	v_cmp_ne_u16_e32 vcc, 0, v16
	s_waitcnt vmcnt(0)
	v_cmp_ne_u16_e64 s[4:5], 0, v17
	s_xor_b64 s[4:5], vcc, s[4:5]
	s_xor_b64 s[4:5], s[4:5], -1
	s_and_saveexec_b64 s[38:39], s[4:5]
	s_cbranch_execz .LBB1077_193
; %bb.187:
	s_mov_b64 s[46:47], 1
	s_mov_b64 s[42:43], 0
                                        ; implicit-def: $sgpr44_sgpr45
	s_branch .LBB1077_190
.LBB1077_188:                           ;   in Loop: Header=BB1077_190 Depth=1
	v_mov_b32_e32 v19, s47
	v_add_co_u32_e32 v16, vcc, s46, v12
	v_addc_co_u32_e32 v17, vcc, v13, v19, vcc
	v_add_co_u32_e32 v18, vcc, s46, v14
	v_addc_co_u32_e32 v19, vcc, v15, v19, vcc
	global_load_ubyte v27, v[16:17], off
	global_load_ubyte v28, v[18:19], off
	s_waitcnt vmcnt(1)
	v_cmp_ne_u16_e32 vcc, 0, v27
	s_waitcnt vmcnt(0)
	v_cmp_ne_u16_e64 s[4:5], 0, v28
	s_xor_b64 s[50:51], vcc, s[4:5]
	s_add_u32 s4, s46, 1
	s_addc_u32 s5, s47, 0
	s_andn2_b64 s[44:45], s[44:45], exec
	s_and_b64 s[50:51], s[50:51], exec
	s_or_b64 s[44:45], s[44:45], s[50:51]
.LBB1077_189:                           ;   in Loop: Header=BB1077_190 Depth=1
	s_and_b64 s[50:51], exec, s[44:45]
	s_or_b64 s[42:43], s[50:51], s[42:43]
	v_pk_mov_b32 v[16:17], s[46:47], s[46:47] op_sel:[0,1]
	s_mov_b64 s[46:47], s[4:5]
	s_andn2_b64 exec, exec, s[42:43]
	s_cbranch_execz .LBB1077_192
.LBB1077_190:                           ; =>This Inner Loop Header: Depth=1
	s_or_b64 s[44:45], s[44:45], exec
	s_cmp_eq_u64 s[26:27], s[46:47]
	s_cbranch_scc0 .LBB1077_188
; %bb.191:                              ;   in Loop: Header=BB1077_190 Depth=1
                                        ; implicit-def: $sgpr4_sgpr5
	s_mov_b64 s[46:47], s[26:27]
	s_branch .LBB1077_189
.LBB1077_192:
	s_or_b64 exec, exec, s[42:43]
	v_cmp_gt_i64_e32 vcc, s[26:27], v[16:17]
	s_orn2_b64 s[42:43], vcc, exec
.LBB1077_193:
	s_or_b64 exec, exec, s[38:39]
	s_and_b64 s[38:39], s[42:43], exec
.LBB1077_194:
	s_or_b64 exec, exec, s[40:41]
	v_cmp_gt_u32_e32 vcc, s48, v24
	s_and_b64 s[4:5], vcc, s[6:7]
	s_and_saveexec_b64 s[40:41], s[4:5]
	s_cbranch_execz .LBB1077_203
; %bb.195:
	s_waitcnt vmcnt(0)
	v_pk_mov_b32 v[14:15], s[16:17], s[16:17] op_sel:[0,1]
	v_mad_u64_u32 v[12:13], s[4:5], v6, s26, v[14:15]
	v_mul_lo_u32 v16, v6, s27
	v_mul_lo_u32 v17, v7, s26
	v_add3_u32 v13, v17, v13, v16
	v_mad_u64_u32 v[14:15], s[4:5], v8, s26, v[14:15]
	v_add3_u32 v15, v26, v15, v21
	global_load_ubyte v16, v[12:13], off
	global_load_ubyte v17, v[14:15], off
	s_waitcnt vmcnt(1)
	v_cmp_ne_u16_e32 vcc, 0, v16
	s_waitcnt vmcnt(0)
	v_cmp_ne_u16_e64 s[4:5], 0, v17
	s_xor_b64 s[36:37], vcc, s[4:5]
	s_mov_b64 s[4:5], -1
	s_xor_b64 s[42:43], s[36:37], -1
	s_and_saveexec_b64 s[36:37], s[42:43]
	s_cbranch_execz .LBB1077_202
; %bb.196:
	s_mov_b64 s[46:47], 1
	s_mov_b64 s[42:43], 0
                                        ; implicit-def: $sgpr44_sgpr45
	s_branch .LBB1077_199
.LBB1077_197:                           ;   in Loop: Header=BB1077_199 Depth=1
	v_mov_b32_e32 v19, s47
	v_add_co_u32_e32 v16, vcc, s46, v12
	v_addc_co_u32_e32 v17, vcc, v13, v19, vcc
	v_add_co_u32_e32 v18, vcc, s46, v14
	v_addc_co_u32_e32 v19, vcc, v15, v19, vcc
	global_load_ubyte v21, v[16:17], off
	global_load_ubyte v26, v[18:19], off
	s_waitcnt vmcnt(1)
	v_cmp_ne_u16_e32 vcc, 0, v21
	s_waitcnt vmcnt(0)
	v_cmp_ne_u16_e64 s[4:5], 0, v26
	s_xor_b64 s[50:51], vcc, s[4:5]
	s_add_u32 s4, s46, 1
	s_addc_u32 s5, s47, 0
	s_andn2_b64 s[44:45], s[44:45], exec
	s_and_b64 s[50:51], s[50:51], exec
	s_or_b64 s[44:45], s[44:45], s[50:51]
.LBB1077_198:                           ;   in Loop: Header=BB1077_199 Depth=1
	s_and_b64 s[50:51], exec, s[44:45]
	s_or_b64 s[42:43], s[50:51], s[42:43]
	v_pk_mov_b32 v[16:17], s[46:47], s[46:47] op_sel:[0,1]
	s_mov_b64 s[46:47], s[4:5]
	s_andn2_b64 exec, exec, s[42:43]
	s_cbranch_execz .LBB1077_201
.LBB1077_199:                           ; =>This Inner Loop Header: Depth=1
	s_or_b64 s[44:45], s[44:45], exec
	s_cmp_eq_u64 s[26:27], s[46:47]
	s_cbranch_scc0 .LBB1077_197
; %bb.200:                              ;   in Loop: Header=BB1077_199 Depth=1
                                        ; implicit-def: $sgpr4_sgpr5
	s_mov_b64 s[46:47], s[26:27]
	s_branch .LBB1077_198
.LBB1077_201:
	s_or_b64 exec, exec, s[42:43]
	v_cmp_gt_i64_e32 vcc, s[26:27], v[16:17]
	s_orn2_b64 s[4:5], vcc, exec
.LBB1077_202:
	s_or_b64 exec, exec, s[36:37]
	s_and_b64 s[36:37], s[4:5], exec
.LBB1077_203:
	s_or_b64 exec, exec, s[40:41]
	v_cndmask_b32_e64 v13, 0, 1, s[10:11]
	s_waitcnt vmcnt(0)
	v_cndmask_b32_e64 v14, 0, 1, s[36:37]
	v_cndmask_b32_e64 v12, 0, 1, s[38:39]
	v_lshlrev_b16_e32 v14, 8, v14
	v_lshlrev_b16_e32 v13, 8, v13
	v_or_b32_e32 v14, 1, v14
	v_or_b32_sdwa v12, v12, v13 dst_sel:WORD_1 dst_unused:UNUSED_PAD src0_sel:DWORD src1_sel:DWORD
	v_or_b32_sdwa v12, v14, v12 dst_sel:DWORD dst_unused:UNUSED_PAD src0_sel:WORD_0 src1_sel:DWORD
	v_cndmask_b32_e64 v13, 0, 1, s[8:9]
	s_waitcnt lgkmcnt(0)
	s_barrier
	s_waitcnt lgkmcnt(0)
                                        ; implicit-def: $sgpr8_sgpr9
                                        ; implicit-def: $vgpr16
	s_and_saveexec_b64 s[4:5], s[2:3]
	s_cbranch_execz .LBB1077_214
; %bb.204:
	v_cmp_gt_u32_e32 vcc, s48, v1
	s_mov_b64 s[10:11], -1
	s_and_b64 s[8:9], vcc, s[6:7]
	s_mov_b32 s38, 0x3020104
	s_mov_b64 s[2:3], 0
	s_and_saveexec_b64 s[6:7], s[8:9]
	s_cbranch_execz .LBB1077_213
; %bb.205:
	v_add_u32_e32 v14, -8, v20
	ds_read_b64 v[14:15], v14
	v_pk_mov_b32 v[16:17], s[16:17], s[16:17] op_sel:[0,1]
	s_waitcnt lgkmcnt(0)
	v_mul_lo_u32 v18, v14, s27
	v_mul_lo_u32 v19, v15, s26
	v_mad_u64_u32 v[14:15], s[2:3], v14, s26, v[16:17]
	v_add3_u32 v15, v19, v15, v18
	v_mad_u64_u32 v[16:17], s[2:3], v6, s26, v[16:17]
	v_mul_lo_u32 v18, v6, s27
	v_mul_lo_u32 v19, v7, s26
	v_add3_u32 v17, v19, v17, v18
	global_load_ubyte v18, v[14:15], off
	global_load_ubyte v19, v[16:17], off
	s_waitcnt vmcnt(1)
	v_cmp_ne_u16_e32 vcc, 0, v18
	s_waitcnt vmcnt(0)
	v_cmp_ne_u16_e64 s[2:3], 0, v19
	s_xor_b64 s[2:3], vcc, s[2:3]
	s_xor_b64 s[2:3], s[2:3], -1
	s_and_saveexec_b64 s[8:9], s[2:3]
	s_cbranch_execz .LBB1077_212
; %bb.206:
	s_mov_b64 s[36:37], 1
	s_mov_b64 s[10:11], 0
                                        ; implicit-def: $sgpr16_sgpr17
	s_branch .LBB1077_209
.LBB1077_207:                           ;   in Loop: Header=BB1077_209 Depth=1
	v_mov_b32_e32 v21, s37
	v_add_co_u32_e32 v18, vcc, s36, v14
	v_addc_co_u32_e32 v19, vcc, v15, v21, vcc
	v_add_co_u32_e32 v20, vcc, s36, v16
	v_addc_co_u32_e32 v21, vcc, v17, v21, vcc
	global_load_ubyte v26, v[18:19], off
	global_load_ubyte v27, v[20:21], off
	s_waitcnt vmcnt(1)
	v_cmp_ne_u16_e32 vcc, 0, v26
	s_waitcnt vmcnt(0)
	v_cmp_ne_u16_e64 s[2:3], 0, v27
	s_xor_b64 s[40:41], vcc, s[2:3]
	s_add_u32 s2, s36, 1
	s_addc_u32 s3, s37, 0
	s_andn2_b64 s[16:17], s[16:17], exec
	s_and_b64 s[40:41], s[40:41], exec
	s_or_b64 s[16:17], s[16:17], s[40:41]
.LBB1077_208:                           ;   in Loop: Header=BB1077_209 Depth=1
	s_and_b64 s[40:41], exec, s[16:17]
	s_or_b64 s[10:11], s[40:41], s[10:11]
	v_pk_mov_b32 v[18:19], s[36:37], s[36:37] op_sel:[0,1]
	s_mov_b64 s[36:37], s[2:3]
	s_andn2_b64 exec, exec, s[10:11]
	s_cbranch_execz .LBB1077_211
.LBB1077_209:                           ; =>This Inner Loop Header: Depth=1
	s_or_b64 s[16:17], s[16:17], exec
	s_cmp_eq_u64 s[26:27], s[36:37]
	s_cbranch_scc0 .LBB1077_207
; %bb.210:                              ;   in Loop: Header=BB1077_209 Depth=1
                                        ; implicit-def: $sgpr2_sgpr3
	s_mov_b64 s[36:37], s[26:27]
	s_branch .LBB1077_208
.LBB1077_211:
	s_or_b64 exec, exec, s[10:11]
	v_cmp_gt_i64_e32 vcc, s[26:27], v[18:19]
	s_orn2_b64 s[10:11], vcc, exec
.LBB1077_212:
	s_or_b64 exec, exec, s[8:9]
	s_and_b64 s[2:3], s[10:11], exec
.LBB1077_213:
	s_or_b64 exec, exec, s[6:7]
	v_perm_b32 v16, v12, v12, s38
	s_and_b64 s[8:9], s[2:3], exec
	s_or_b64 s[14:15], s[14:15], exec
.LBB1077_214:
	s_or_b64 exec, exec, s[4:5]
.LBB1077_215:
	s_and_saveexec_b64 s[2:3], s[14:15]
	s_cbranch_execz .LBB1077_217
; %bb.216:
	s_waitcnt vmcnt(0) lgkmcnt(0)
	v_lshrrev_b32_e32 v14, 24, v16
	s_movk_i32 s4, 0xff
	v_lshlrev_b16_e32 v14, 8, v14
	v_and_b32_sdwa v15, v16, s4 dst_sel:DWORD dst_unused:UNUSED_PAD src0_sel:WORD_1 src1_sel:DWORD
	v_or_b32_sdwa v14, v15, v14 dst_sel:WORD_1 dst_unused:UNUSED_PAD src0_sel:DWORD src1_sel:DWORD
	v_mov_b32_e32 v15, 8
	v_cndmask_b32_e64 v12, 0, 1, s[8:9]
	v_lshrrev_b32_sdwa v15, v15, v16 dst_sel:BYTE_1 dst_unused:UNUSED_PAD src0_sel:DWORD src1_sel:DWORD
	v_or_b32_e32 v12, v12, v15
	s_mov_b32 s4, 0xffff
	v_or_b32_sdwa v12, v12, v14 dst_sel:DWORD dst_unused:UNUSED_PAD src0_sel:WORD_0 src1_sel:DWORD
	v_and_b32_sdwa v13, s4, v13 dst_sel:DWORD dst_unused:UNUSED_PAD src0_sel:DWORD src1_sel:BYTE_0
.LBB1077_217:
	s_or_b64 exec, exec, s[2:3]
	s_andn2_b64 vcc, exec, s[12:13]
	s_cbranch_vccnz .LBB1077_219
; %bb.218:
	v_cmp_gt_u32_e32 vcc, s48, v1
	v_cndmask_b32_e32 v1, 0, v12, vcc
	v_and_b32_e32 v1, 0xffff00ff, v1
	v_cmp_gt_u32_e64 s[2:3], s48, v24
	v_cndmask_b32_e64 v1, v1, v12, s[2:3]
	s_waitcnt vmcnt(0) lgkmcnt(0)
	v_lshrrev_b32_e32 v14, 24, v1
	s_mov_b32 s4, 0x40c0100
	v_perm_b32 v1, v14, v1, s4
	v_cmp_gt_u32_e64 s[4:5], s48, v22
	v_cmp_gt_u32_e64 s[6:7], s48, v25
	v_cndmask_b32_e64 v1, v1, v12, s[4:5]
	s_or_b64 s[4:5], s[6:7], s[4:5]
	s_or_b64 s[2:3], s[4:5], s[2:3]
	s_or_b64 vcc, s[2:3], vcc
	v_and_b32_e32 v1, 0xffffff, v1
	v_cndmask_b32_e32 v14, 0, v13, vcc
	v_cndmask_b32_e64 v1, v1, v12, s[6:7]
	v_and_b32_e32 v14, 0xffffff00, v14
	v_cmp_gt_u32_e32 vcc, s48, v23
	v_cndmask_b32_e32 v1, v1, v12, vcc
	v_cndmask_b32_e32 v12, v14, v13, vcc
	s_mov_b32 s2, 0x3020104
	v_and_b32_e32 v13, 0xff, v12
	v_perm_b32 v12, v1, v1, s2
.LBB1077_219:
	v_and_b32_e32 v1, 0xff, v12
	v_bfe_u32 v25, v12, 8, 8
	v_bfe_u32 v27, v12, 16, 8
	s_waitcnt vmcnt(0) lgkmcnt(0)
	v_alignbit_b32 v14, v13, v12, 24
	v_and_b32_e32 v28, 0xff, v14
	v_and_b32_e32 v14, 0xff, v13
	v_add3_u32 v15, v25, v1, v27
	v_add3_u32 v31, v15, v28, v14
	v_mbcnt_lo_u32_b32 v14, -1, 0
	v_mbcnt_hi_u32_b32 v29, -1, v14
	v_and_b32_e32 v14, 15, v29
	v_cmp_eq_u32_e64 s[14:15], 0, v14
	v_cmp_lt_u32_e64 s[12:13], 1, v14
	v_cmp_lt_u32_e64 s[10:11], 3, v14
	;; [unrolled: 1-line block ×3, first 2 shown]
	v_and_b32_e32 v14, 16, v29
	v_cmp_eq_u32_e64 s[6:7], 0, v14
	v_or_b32_e32 v14, 63, v0
	v_cmp_lt_u32_e64 s[2:3], 31, v29
	v_lshrrev_b32_e32 v30, 6, v0
	v_cmp_eq_u32_e64 s[4:5], v14, v0
	s_and_b64 vcc, exec, s[34:35]
	s_barrier
	s_cbranch_vccz .LBB1077_246
; %bb.220:
	v_mov_b32_dpp v14, v31 row_shr:1 row_mask:0xf bank_mask:0xf
	v_cndmask_b32_e64 v14, v14, 0, s[14:15]
	v_add_u32_e32 v14, v14, v31
	s_nop 1
	v_mov_b32_dpp v15, v14 row_shr:2 row_mask:0xf bank_mask:0xf
	v_cndmask_b32_e64 v15, 0, v15, s[12:13]
	v_add_u32_e32 v14, v14, v15
	s_nop 1
	;; [unrolled: 4-line block ×4, first 2 shown]
	v_mov_b32_dpp v15, v14 row_bcast:15 row_mask:0xf bank_mask:0xf
	v_cndmask_b32_e64 v15, v15, 0, s[6:7]
	v_add_u32_e32 v14, v14, v15
	s_nop 1
	v_mov_b32_dpp v15, v14 row_bcast:31 row_mask:0xf bank_mask:0xf
	v_cndmask_b32_e64 v15, 0, v15, s[2:3]
	v_add_u32_e32 v14, v14, v15
	s_and_saveexec_b64 s[16:17], s[4:5]
	s_cbranch_execz .LBB1077_222
; %bb.221:
	v_lshlrev_b32_e32 v15, 2, v30
	ds_write_b32 v15, v14
.LBB1077_222:
	s_or_b64 exec, exec, s[16:17]
	v_cmp_gt_u32_e32 vcc, 4, v0
	s_waitcnt lgkmcnt(0)
	s_barrier
	s_and_saveexec_b64 s[16:17], vcc
	s_cbranch_execz .LBB1077_224
; %bb.223:
	v_lshlrev_b32_e32 v15, 2, v0
	ds_read_b32 v16, v15
	v_and_b32_e32 v17, 3, v29
	v_cmp_ne_u32_e32 vcc, 0, v17
	s_waitcnt lgkmcnt(0)
	v_mov_b32_dpp v18, v16 row_shr:1 row_mask:0xf bank_mask:0xf
	v_cndmask_b32_e32 v18, 0, v18, vcc
	v_add_u32_e32 v16, v18, v16
	v_cmp_lt_u32_e32 vcc, 1, v17
	s_nop 0
	v_mov_b32_dpp v18, v16 row_shr:2 row_mask:0xf bank_mask:0xf
	v_cndmask_b32_e32 v17, 0, v18, vcc
	v_add_u32_e32 v16, v16, v17
	ds_write_b32 v15, v16
.LBB1077_224:
	s_or_b64 exec, exec, s[16:17]
	v_cmp_gt_u32_e32 vcc, 64, v0
	v_cmp_lt_u32_e64 s[16:17], 63, v0
	s_waitcnt lgkmcnt(0)
	s_barrier
	s_waitcnt lgkmcnt(0)
                                        ; implicit-def: $vgpr24
	s_and_saveexec_b64 s[26:27], s[16:17]
	s_cbranch_execz .LBB1077_226
; %bb.225:
	v_lshl_add_u32 v15, v30, 2, -4
	ds_read_b32 v24, v15
	s_waitcnt lgkmcnt(0)
	v_add_u32_e32 v14, v24, v14
.LBB1077_226:
	s_or_b64 exec, exec, s[26:27]
	v_add_u32_e32 v15, -1, v29
	v_and_b32_e32 v16, 64, v29
	v_cmp_lt_i32_e64 s[16:17], v15, v16
	v_cndmask_b32_e64 v15, v15, v29, s[16:17]
	v_lshlrev_b32_e32 v15, 2, v15
	ds_bpermute_b32 v26, v15, v14
	v_cmp_eq_u32_e64 s[16:17], 0, v29
	s_and_saveexec_b64 s[26:27], vcc
	s_cbranch_execz .LBB1077_245
; %bb.227:
	v_mov_b32_e32 v21, 0
	ds_read_b32 v14, v21 offset:12
	s_and_saveexec_b64 s[34:35], s[16:17]
	s_cbranch_execz .LBB1077_229
; %bb.228:
	s_add_i32 s36, s33, 64
	s_mov_b32 s37, 0
	s_lshl_b64 s[36:37], s[36:37], 3
	s_add_u32 s36, s18, s36
	v_mov_b32_e32 v15, 1
	s_addc_u32 s37, s19, s37
	s_waitcnt lgkmcnt(0)
	global_store_dwordx2 v21, v[14:15], s[36:37]
.LBB1077_229:
	s_or_b64 exec, exec, s[34:35]
	v_xad_u32 v16, v29, -1, s33
	v_add_u32_e32 v20, 64, v16
	v_lshlrev_b64 v[18:19], 3, v[20:21]
	v_mov_b32_e32 v15, s19
	v_add_co_u32_e32 v22, vcc, s18, v18
	v_addc_co_u32_e32 v23, vcc, v15, v19, vcc
	global_load_dwordx2 v[18:19], v[22:23], off glc
	s_waitcnt vmcnt(0)
	v_cmp_eq_u16_sdwa s[36:37], v19, v21 src0_sel:BYTE_0 src1_sel:DWORD
	s_and_saveexec_b64 s[34:35], s[36:37]
	s_cbranch_execz .LBB1077_233
; %bb.230:
	s_mov_b64 s[36:37], 0
	v_mov_b32_e32 v15, 0
.LBB1077_231:                           ; =>This Inner Loop Header: Depth=1
	global_load_dwordx2 v[18:19], v[22:23], off glc
	s_waitcnt vmcnt(0)
	v_cmp_ne_u16_sdwa s[38:39], v19, v15 src0_sel:BYTE_0 src1_sel:DWORD
	s_or_b64 s[36:37], s[38:39], s[36:37]
	s_andn2_b64 exec, exec, s[36:37]
	s_cbranch_execnz .LBB1077_231
; %bb.232:
	s_or_b64 exec, exec, s[36:37]
.LBB1077_233:
	s_or_b64 exec, exec, s[34:35]
	v_and_b32_e32 v32, 63, v29
	v_mov_b32_e32 v15, 2
	v_cmp_ne_u32_e32 vcc, 63, v32
	v_cmp_eq_u16_sdwa s[34:35], v19, v15 src0_sel:BYTE_0 src1_sel:DWORD
	v_lshlrev_b64 v[20:21], v29, -1
	v_addc_co_u32_e32 v23, vcc, 0, v29, vcc
	v_and_b32_e32 v17, s35, v21
	v_lshlrev_b32_e32 v33, 2, v23
	v_or_b32_e32 v17, 0x80000000, v17
	ds_bpermute_b32 v23, v33, v18
	v_and_b32_e32 v22, s34, v20
	v_ffbl_b32_e32 v17, v17
	v_add_u32_e32 v17, 32, v17
	v_ffbl_b32_e32 v22, v22
	v_min_u32_e32 v17, v22, v17
	v_cmp_lt_u32_e32 vcc, v32, v17
	s_waitcnt lgkmcnt(0)
	v_cndmask_b32_e32 v22, 0, v23, vcc
	v_cmp_gt_u32_e32 vcc, 62, v32
	v_add_u32_e32 v18, v22, v18
	v_cndmask_b32_e64 v22, 0, 1, vcc
	v_lshlrev_b32_e32 v22, 1, v22
	v_add_lshl_u32 v34, v22, v29, 2
	ds_bpermute_b32 v22, v34, v18
	v_add_u32_e32 v35, 2, v32
	v_cmp_le_u32_e32 vcc, v35, v17
	v_add_u32_e32 v37, 4, v32
	v_add_u32_e32 v39, 8, v32
	s_waitcnt lgkmcnt(0)
	v_cndmask_b32_e32 v22, 0, v22, vcc
	v_cmp_gt_u32_e32 vcc, 60, v32
	v_add_u32_e32 v18, v18, v22
	v_cndmask_b32_e64 v22, 0, 1, vcc
	v_lshlrev_b32_e32 v22, 2, v22
	v_add_lshl_u32 v36, v22, v29, 2
	ds_bpermute_b32 v22, v36, v18
	v_cmp_le_u32_e32 vcc, v37, v17
	v_add_u32_e32 v42, 16, v32
	v_add_u32_e32 v44, 32, v32
	s_waitcnt lgkmcnt(0)
	v_cndmask_b32_e32 v22, 0, v22, vcc
	v_cmp_gt_u32_e32 vcc, 56, v32
	v_add_u32_e32 v18, v18, v22
	v_cndmask_b32_e64 v22, 0, 1, vcc
	v_lshlrev_b32_e32 v22, 3, v22
	v_add_lshl_u32 v38, v22, v29, 2
	ds_bpermute_b32 v22, v38, v18
	v_cmp_le_u32_e32 vcc, v39, v17
	s_waitcnt lgkmcnt(0)
	v_cndmask_b32_e32 v22, 0, v22, vcc
	v_cmp_gt_u32_e32 vcc, 48, v32
	v_add_u32_e32 v18, v18, v22
	v_cndmask_b32_e64 v22, 0, 1, vcc
	v_lshlrev_b32_e32 v22, 4, v22
	v_add_lshl_u32 v41, v22, v29, 2
	ds_bpermute_b32 v22, v41, v18
	v_cmp_le_u32_e32 vcc, v42, v17
	;; [unrolled: 9-line block ×3, first 2 shown]
	s_waitcnt lgkmcnt(0)
	v_cndmask_b32_e32 v17, 0, v22, vcc
	v_add_u32_e32 v18, v18, v17
	v_mov_b32_e32 v17, 0
	s_branch .LBB1077_235
.LBB1077_234:                           ;   in Loop: Header=BB1077_235 Depth=1
	s_or_b64 exec, exec, s[34:35]
	v_cmp_eq_u16_sdwa s[34:35], v19, v15 src0_sel:BYTE_0 src1_sel:DWORD
	v_and_b32_e32 v22, s35, v21
	v_or_b32_e32 v22, 0x80000000, v22
	ds_bpermute_b32 v45, v33, v18
	v_and_b32_e32 v23, s34, v20
	v_ffbl_b32_e32 v22, v22
	v_add_u32_e32 v22, 32, v22
	v_ffbl_b32_e32 v23, v23
	v_min_u32_e32 v22, v23, v22
	v_cmp_lt_u32_e32 vcc, v32, v22
	s_waitcnt lgkmcnt(0)
	v_cndmask_b32_e32 v23, 0, v45, vcc
	v_add_u32_e32 v18, v23, v18
	ds_bpermute_b32 v23, v34, v18
	v_cmp_le_u32_e32 vcc, v35, v22
	v_subrev_u32_e32 v16, 64, v16
	s_waitcnt lgkmcnt(0)
	v_cndmask_b32_e32 v23, 0, v23, vcc
	v_add_u32_e32 v18, v18, v23
	ds_bpermute_b32 v23, v36, v18
	v_cmp_le_u32_e32 vcc, v37, v22
	s_waitcnt lgkmcnt(0)
	v_cndmask_b32_e32 v23, 0, v23, vcc
	v_add_u32_e32 v18, v18, v23
	ds_bpermute_b32 v23, v38, v18
	v_cmp_le_u32_e32 vcc, v39, v22
	;; [unrolled: 5-line block ×4, first 2 shown]
	s_waitcnt lgkmcnt(0)
	v_cndmask_b32_e32 v22, 0, v23, vcc
	v_add3_u32 v18, v22, v40, v18
.LBB1077_235:                           ; =>This Loop Header: Depth=1
                                        ;     Child Loop BB1077_238 Depth 2
	v_cmp_ne_u16_sdwa s[34:35], v19, v15 src0_sel:BYTE_0 src1_sel:DWORD
	v_cndmask_b32_e64 v19, 0, 1, s[34:35]
	;;#ASMSTART
	;;#ASMEND
	v_cmp_ne_u32_e32 vcc, 0, v19
	s_cmp_lg_u64 vcc, exec
	v_mov_b32_e32 v40, v18
	s_cbranch_scc1 .LBB1077_240
; %bb.236:                              ;   in Loop: Header=BB1077_235 Depth=1
	v_lshlrev_b64 v[18:19], 3, v[16:17]
	v_mov_b32_e32 v23, s19
	v_add_co_u32_e32 v22, vcc, s18, v18
	v_addc_co_u32_e32 v23, vcc, v23, v19, vcc
	global_load_dwordx2 v[18:19], v[22:23], off glc
	s_waitcnt vmcnt(0)
	v_cmp_eq_u16_sdwa s[36:37], v19, v17 src0_sel:BYTE_0 src1_sel:DWORD
	s_and_saveexec_b64 s[34:35], s[36:37]
	s_cbranch_execz .LBB1077_234
; %bb.237:                              ;   in Loop: Header=BB1077_235 Depth=1
	s_mov_b64 s[36:37], 0
.LBB1077_238:                           ;   Parent Loop BB1077_235 Depth=1
                                        ; =>  This Inner Loop Header: Depth=2
	global_load_dwordx2 v[18:19], v[22:23], off glc
	s_waitcnt vmcnt(0)
	v_cmp_ne_u16_sdwa s[38:39], v19, v17 src0_sel:BYTE_0 src1_sel:DWORD
	s_or_b64 s[36:37], s[38:39], s[36:37]
	s_andn2_b64 exec, exec, s[36:37]
	s_cbranch_execnz .LBB1077_238
; %bb.239:                              ;   in Loop: Header=BB1077_235 Depth=1
	s_or_b64 exec, exec, s[36:37]
	s_branch .LBB1077_234
.LBB1077_240:                           ;   in Loop: Header=BB1077_235 Depth=1
                                        ; implicit-def: $vgpr18
                                        ; implicit-def: $vgpr19
	s_cbranch_execz .LBB1077_235
; %bb.241:
	s_and_saveexec_b64 s[34:35], s[16:17]
	s_cbranch_execz .LBB1077_243
; %bb.242:
	s_add_i32 s36, s33, 64
	s_mov_b32 s37, 0
	s_lshl_b64 s[36:37], s[36:37], 3
	s_add_u32 s36, s18, s36
	v_add_u32_e32 v16, v40, v14
	v_mov_b32_e32 v17, 2
	s_addc_u32 s37, s19, s37
	v_mov_b32_e32 v15, 0
	s_movk_i32 s33, 0x2800
	global_store_dwordx2 v15, v[16:17], s[36:37]
	v_add_u32_e64 v15, s33, 0
	ds_write2_b32 v15, v14, v40 offset1:2
.LBB1077_243:
	s_or_b64 exec, exec, s[34:35]
	s_and_b64 exec, exec, s[0:1]
	s_cbranch_execz .LBB1077_245
; %bb.244:
	v_mov_b32_e32 v14, 0
	ds_write_b32 v14, v40 offset:12
.LBB1077_245:
	s_or_b64 exec, exec, s[26:27]
	v_mov_b32_e32 v14, 0
	s_waitcnt lgkmcnt(0)
	s_barrier
	ds_read_b32 v14, v14 offset:12
	v_cndmask_b32_e64 v15, v26, v24, s[16:17]
	v_cndmask_b32_e64 v15, v15, 0, s[0:1]
	s_movk_i32 s16, 0x2800
	s_waitcnt lgkmcnt(0)
	v_add_u32_e32 v26, v14, v15
	v_add_u32_e64 v14, s16, 0
	s_barrier
	ds_read2_b32 v[14:15], v14 offset1:2
	v_add_u32_e32 v24, v26, v1
	v_add_u32_e32 v22, v24, v25
	;; [unrolled: 1-line block ×4, first 2 shown]
	v_lshrrev_b64 v[16:17], 24, v[12:13]
	s_branch .LBB1077_256
.LBB1077_246:
                                        ; implicit-def: $vgpr18
                                        ; implicit-def: $vgpr20
                                        ; implicit-def: $vgpr22
                                        ; implicit-def: $vgpr24
                                        ; implicit-def: $vgpr26
                                        ; implicit-def: $vgpr15
	v_lshrrev_b64 v[16:17], 24, v[12:13]
	s_cbranch_execz .LBB1077_256
; %bb.247:
	s_waitcnt lgkmcnt(0)
	v_mov_b32_dpp v14, v31 row_shr:1 row_mask:0xf bank_mask:0xf
	v_cndmask_b32_e64 v14, v14, 0, s[14:15]
	v_add_u32_e32 v14, v14, v31
	s_nop 1
	v_mov_b32_dpp v15, v14 row_shr:2 row_mask:0xf bank_mask:0xf
	v_cndmask_b32_e64 v15, 0, v15, s[12:13]
	v_add_u32_e32 v14, v14, v15
	s_nop 1
	;; [unrolled: 4-line block ×4, first 2 shown]
	v_mov_b32_dpp v15, v14 row_bcast:15 row_mask:0xf bank_mask:0xf
	v_cndmask_b32_e64 v15, v15, 0, s[6:7]
	v_add_u32_e32 v14, v14, v15
	s_nop 1
	v_mov_b32_dpp v15, v14 row_bcast:31 row_mask:0xf bank_mask:0xf
	v_cndmask_b32_e64 v15, 0, v15, s[2:3]
	v_add_u32_e32 v14, v14, v15
	s_and_saveexec_b64 s[2:3], s[4:5]
	s_cbranch_execz .LBB1077_249
; %bb.248:
	v_lshlrev_b32_e32 v15, 2, v30
	ds_write_b32 v15, v14
.LBB1077_249:
	s_or_b64 exec, exec, s[2:3]
	v_cmp_gt_u32_e32 vcc, 4, v0
	s_waitcnt lgkmcnt(0)
	s_barrier
	s_and_saveexec_b64 s[2:3], vcc
	s_cbranch_execz .LBB1077_251
; %bb.250:
	v_lshlrev_b32_e32 v15, 2, v0
	ds_read_b32 v17, v15
	v_and_b32_e32 v18, 3, v29
	v_cmp_ne_u32_e32 vcc, 0, v18
	s_waitcnt lgkmcnt(0)
	v_mov_b32_dpp v19, v17 row_shr:1 row_mask:0xf bank_mask:0xf
	v_cndmask_b32_e32 v19, 0, v19, vcc
	v_add_u32_e32 v17, v19, v17
	v_cmp_lt_u32_e32 vcc, 1, v18
	s_nop 0
	v_mov_b32_dpp v19, v17 row_shr:2 row_mask:0xf bank_mask:0xf
	v_cndmask_b32_e32 v18, 0, v19, vcc
	v_add_u32_e32 v17, v17, v18
	ds_write_b32 v15, v17
.LBB1077_251:
	s_or_b64 exec, exec, s[2:3]
	v_cmp_lt_u32_e32 vcc, 63, v0
	v_mov_b32_e32 v15, 0
	v_mov_b32_e32 v17, 0
	s_waitcnt lgkmcnt(0)
	s_barrier
	s_and_saveexec_b64 s[2:3], vcc
	s_cbranch_execz .LBB1077_253
; %bb.252:
	v_lshl_add_u32 v17, v30, 2, -4
	ds_read_b32 v17, v17
.LBB1077_253:
	s_or_b64 exec, exec, s[2:3]
	v_add_u32_e32 v18, -1, v29
	v_and_b32_e32 v19, 64, v29
	v_cmp_lt_i32_e32 vcc, v18, v19
	v_cndmask_b32_e32 v18, v18, v29, vcc
	s_waitcnt lgkmcnt(0)
	v_add_u32_e32 v14, v17, v14
	v_lshlrev_b32_e32 v18, 2, v18
	ds_bpermute_b32 v18, v18, v14
	ds_read_b32 v14, v15 offset:12
	s_and_saveexec_b64 s[2:3], s[0:1]
	s_cbranch_execz .LBB1077_255
; %bb.254:
	v_mov_b32_e32 v19, 0
	v_mov_b32_e32 v15, 2
	s_waitcnt lgkmcnt(0)
	global_store_dwordx2 v19, v[14:15], s[18:19] offset:512
.LBB1077_255:
	s_or_b64 exec, exec, s[2:3]
	v_cmp_eq_u32_e32 vcc, 0, v29
	s_waitcnt lgkmcnt(1)
	v_cndmask_b32_e32 v17, v18, v17, vcc
	v_cndmask_b32_e64 v26, v17, 0, s[0:1]
	v_add_u32_e32 v24, v26, v1
	v_add_u32_e32 v22, v24, v25
	;; [unrolled: 1-line block ×3, first 2 shown]
	v_mov_b32_e32 v15, 0
	v_add_u32_e32 v18, v20, v28
	s_waitcnt lgkmcnt(0)
	s_barrier
.LBB1077_256:
	s_movk_i32 s2, 0x101
	s_waitcnt lgkmcnt(0)
	v_cmp_gt_u32_e32 vcc, s2, v14
	v_lshrrev_b32_e32 v1, 8, v12
	s_mov_b64 s[2:3], -1
	s_cbranch_vccnz .LBB1077_260
; %bb.257:
	s_and_b64 vcc, exec, s[2:3]
	s_cbranch_vccnz .LBB1077_276
.LBB1077_258:
	s_and_b64 s[0:1], s[0:1], s[24:25]
	s_and_saveexec_b64 s[2:3], s[0:1]
	s_cbranch_execnz .LBB1077_290
.LBB1077_259:
	s_endpgm
.LBB1077_260:
	v_add_u32_e32 v17, v15, v14
	v_cmp_lt_u32_e32 vcc, v26, v17
	s_or_b64 s[4:5], s[30:31], vcc
	s_and_saveexec_b64 s[2:3], s[4:5]
	s_cbranch_execz .LBB1077_263
; %bb.261:
	v_and_b32_e32 v19, 1, v12
	v_cmp_eq_u32_e32 vcc, 1, v19
	s_and_b64 exec, exec, vcc
	s_cbranch_execz .LBB1077_263
; %bb.262:
	s_lshl_b64 s[4:5], s[22:23], 3
	s_add_u32 s4, s28, s4
	v_mov_b32_e32 v27, 0
	s_addc_u32 s5, s29, s5
	v_lshlrev_b64 v[28:29], 3, v[26:27]
	v_mov_b32_e32 v19, s5
	v_add_co_u32_e32 v28, vcc, s4, v28
	v_addc_co_u32_e32 v29, vcc, v19, v29, vcc
	global_store_dwordx2 v[28:29], v[6:7], off
.LBB1077_263:
	s_or_b64 exec, exec, s[2:3]
	v_cmp_lt_u32_e32 vcc, v24, v17
	s_or_b64 s[4:5], s[30:31], vcc
	s_and_saveexec_b64 s[2:3], s[4:5]
	s_cbranch_execz .LBB1077_266
; %bb.264:
	v_and_b32_e32 v19, 1, v1
	v_cmp_eq_u32_e32 vcc, 1, v19
	s_and_b64 exec, exec, vcc
	s_cbranch_execz .LBB1077_266
; %bb.265:
	s_lshl_b64 s[4:5], s[22:23], 3
	s_add_u32 s4, s28, s4
	v_mov_b32_e32 v25, 0
	s_addc_u32 s5, s29, s5
	v_lshlrev_b64 v[28:29], 3, v[24:25]
	v_mov_b32_e32 v19, s5
	v_add_co_u32_e32 v28, vcc, s4, v28
	v_addc_co_u32_e32 v29, vcc, v19, v29, vcc
	global_store_dwordx2 v[28:29], v[8:9], off
.LBB1077_266:
	s_or_b64 exec, exec, s[2:3]
	v_cmp_lt_u32_e32 vcc, v22, v17
	s_or_b64 s[4:5], s[30:31], vcc
	s_and_saveexec_b64 s[2:3], s[4:5]
	s_cbranch_execz .LBB1077_269
; %bb.267:
	v_mov_b32_e32 v19, 1
	v_and_b32_sdwa v19, v19, v12 dst_sel:DWORD dst_unused:UNUSED_PAD src0_sel:DWORD src1_sel:WORD_1
	v_cmp_eq_u32_e32 vcc, 1, v19
	s_and_b64 exec, exec, vcc
	s_cbranch_execz .LBB1077_269
; %bb.268:
	s_lshl_b64 s[4:5], s[22:23], 3
	s_add_u32 s4, s28, s4
	v_mov_b32_e32 v23, 0
	s_addc_u32 s5, s29, s5
	v_lshlrev_b64 v[28:29], 3, v[22:23]
	v_mov_b32_e32 v19, s5
	v_add_co_u32_e32 v28, vcc, s4, v28
	v_addc_co_u32_e32 v29, vcc, v19, v29, vcc
	global_store_dwordx2 v[28:29], v[2:3], off
.LBB1077_269:
	s_or_b64 exec, exec, s[2:3]
	v_cmp_lt_u32_e32 vcc, v20, v17
	s_or_b64 s[4:5], s[30:31], vcc
	s_and_saveexec_b64 s[2:3], s[4:5]
	s_cbranch_execz .LBB1077_272
; %bb.270:
	v_and_b32_e32 v19, 1, v16
	v_cmp_eq_u32_e32 vcc, 1, v19
	s_and_b64 exec, exec, vcc
	s_cbranch_execz .LBB1077_272
; %bb.271:
	s_lshl_b64 s[4:5], s[22:23], 3
	s_add_u32 s4, s28, s4
	v_mov_b32_e32 v21, 0
	s_addc_u32 s5, s29, s5
	v_lshlrev_b64 v[28:29], 3, v[20:21]
	v_mov_b32_e32 v19, s5
	v_add_co_u32_e32 v28, vcc, s4, v28
	v_addc_co_u32_e32 v29, vcc, v19, v29, vcc
	global_store_dwordx2 v[28:29], v[4:5], off
.LBB1077_272:
	s_or_b64 exec, exec, s[2:3]
	v_cmp_lt_u32_e32 vcc, v18, v17
	s_or_b64 s[4:5], s[30:31], vcc
	s_and_saveexec_b64 s[2:3], s[4:5]
	s_cbranch_execz .LBB1077_275
; %bb.273:
	v_and_b32_e32 v17, 1, v13
	v_cmp_eq_u32_e32 vcc, 1, v17
	s_and_b64 exec, exec, vcc
	s_cbranch_execz .LBB1077_275
; %bb.274:
	s_lshl_b64 s[4:5], s[22:23], 3
	s_add_u32 s4, s28, s4
	v_mov_b32_e32 v19, 0
	s_addc_u32 s5, s29, s5
	v_lshlrev_b64 v[28:29], 3, v[18:19]
	v_mov_b32_e32 v17, s5
	v_add_co_u32_e32 v28, vcc, s4, v28
	v_addc_co_u32_e32 v29, vcc, v17, v29, vcc
	global_store_dwordx2 v[28:29], v[10:11], off
.LBB1077_275:
	s_or_b64 exec, exec, s[2:3]
	s_branch .LBB1077_258
.LBB1077_276:
	v_and_b32_e32 v17, 1, v12
	v_cmp_eq_u32_e32 vcc, 1, v17
	s_and_saveexec_b64 s[2:3], vcc
	s_cbranch_execz .LBB1077_278
; %bb.277:
	v_sub_u32_e32 v17, v26, v15
	v_lshlrev_b32_e32 v17, 3, v17
	ds_write_b64 v17, v[6:7]
.LBB1077_278:
	s_or_b64 exec, exec, s[2:3]
	v_and_b32_e32 v1, 1, v1
	v_cmp_eq_u32_e32 vcc, 1, v1
	s_and_saveexec_b64 s[2:3], vcc
	s_cbranch_execz .LBB1077_280
; %bb.279:
	v_sub_u32_e32 v1, v24, v15
	v_lshlrev_b32_e32 v1, 3, v1
	ds_write_b64 v1, v[8:9]
.LBB1077_280:
	s_or_b64 exec, exec, s[2:3]
	v_mov_b32_e32 v1, 1
	v_and_b32_sdwa v1, v1, v12 dst_sel:DWORD dst_unused:UNUSED_PAD src0_sel:DWORD src1_sel:WORD_1
	v_cmp_eq_u32_e32 vcc, 1, v1
	s_and_saveexec_b64 s[2:3], vcc
	s_cbranch_execz .LBB1077_282
; %bb.281:
	v_sub_u32_e32 v1, v22, v15
	v_lshlrev_b32_e32 v1, 3, v1
	ds_write_b64 v1, v[2:3]
.LBB1077_282:
	s_or_b64 exec, exec, s[2:3]
	v_and_b32_e32 v1, 1, v16
	v_cmp_eq_u32_e32 vcc, 1, v1
	s_and_saveexec_b64 s[2:3], vcc
	s_cbranch_execz .LBB1077_284
; %bb.283:
	v_sub_u32_e32 v1, v20, v15
	v_lshlrev_b32_e32 v1, 3, v1
	ds_write_b64 v1, v[4:5]
.LBB1077_284:
	s_or_b64 exec, exec, s[2:3]
	v_and_b32_e32 v1, 1, v13
	v_cmp_eq_u32_e32 vcc, 1, v1
	s_and_saveexec_b64 s[2:3], vcc
	s_cbranch_execz .LBB1077_286
; %bb.285:
	v_sub_u32_e32 v1, v18, v15
	v_lshlrev_b32_e32 v1, 3, v1
	ds_write_b64 v1, v[10:11]
.LBB1077_286:
	s_or_b64 exec, exec, s[2:3]
	v_cmp_lt_u32_e32 vcc, v0, v14
	s_waitcnt lgkmcnt(0)
	s_barrier
	s_and_saveexec_b64 s[2:3], vcc
	s_cbranch_execz .LBB1077_289
; %bb.287:
	v_mov_b32_e32 v1, 0
	v_mov_b32_e32 v2, v15
	;; [unrolled: 1-line block ×3, first 2 shown]
	v_lshlrev_b64 v[2:3], 3, v[2:3]
	v_mov_b32_e32 v4, s29
	v_add_co_u32_e32 v2, vcc, s28, v2
	v_addc_co_u32_e32 v3, vcc, v4, v3, vcc
	s_lshl_b64 s[4:5], s[22:23], 3
	v_mov_b32_e32 v4, s5
	v_add_co_u32_e32 v2, vcc, s4, v2
	v_addc_co_u32_e32 v3, vcc, v3, v4, vcc
	v_lshlrev_b32_e32 v4, 3, v0
	s_mov_b64 s[4:5], 0
.LBB1077_288:                           ; =>This Inner Loop Header: Depth=1
	ds_read_b64 v[6:7], v4
	v_lshlrev_b64 v[8:9], 3, v[0:1]
	v_add_co_u32_e32 v8, vcc, v2, v8
	v_add_u32_e32 v0, 0x100, v0
	v_addc_co_u32_e32 v9, vcc, v3, v9, vcc
	v_cmp_ge_u32_e32 vcc, v0, v14
	v_add_u32_e32 v4, 0x800, v4
	s_or_b64 s[4:5], vcc, s[4:5]
	s_waitcnt lgkmcnt(0)
	global_store_dwordx2 v[8:9], v[6:7], off
	s_andn2_b64 exec, exec, s[4:5]
	s_cbranch_execnz .LBB1077_288
.LBB1077_289:
	s_or_b64 exec, exec, s[2:3]
	s_and_b64 s[0:1], s[0:1], s[24:25]
	s_and_saveexec_b64 s[2:3], s[0:1]
	s_cbranch_execz .LBB1077_259
.LBB1077_290:
	v_mov_b32_e32 v0, s23
	v_add_co_u32_e32 v1, vcc, s22, v14
	v_addc_co_u32_e32 v3, vcc, 0, v0, vcc
	v_add_co_u32_e32 v0, vcc, v1, v15
	v_mov_b32_e32 v2, 0
	v_addc_co_u32_e32 v1, vcc, 0, v3, vcc
	global_store_dwordx2 v2, v[0:1], s[20:21]
	s_endpgm
	.section	.rodata,"a",@progbits
	.p2align	6, 0x0
	.amdhsa_kernel _ZN7rocprim17ROCPRIM_400000_NS6detail17trampoline_kernelINS0_14default_configENS1_25partition_config_selectorILNS1_17partition_subalgoE8ElNS0_10empty_typeEbEEZZNS1_14partition_implILS5_8ELb0ES3_jPlPS6_PKS6_NS0_5tupleIJS9_S6_EEENSD_IJSA_SA_EEENS0_18inequality_wrapperIZN2at6native12_GLOBAL__N_124unique_dim_cuda_templateIbEESt5tupleIJNSH_6TensorESM_SM_EERKSM_lbbbEUlllE0_EEPmJS6_EEE10hipError_tPvRmT3_T4_T5_T6_T7_T9_mT8_P12ihipStream_tbDpT10_ENKUlT_T0_E_clISt17integral_constantIbLb0EES1B_IbLb1EEEEDaS17_S18_EUlS17_E_NS1_11comp_targetILNS1_3genE4ELNS1_11target_archE910ELNS1_3gpuE8ELNS1_3repE0EEENS1_30default_config_static_selectorELNS0_4arch9wavefront6targetE1EEEvT1_
		.amdhsa_group_segment_fixed_size 10252
		.amdhsa_private_segment_fixed_size 0
		.amdhsa_kernarg_size 136
		.amdhsa_user_sgpr_count 6
		.amdhsa_user_sgpr_private_segment_buffer 1
		.amdhsa_user_sgpr_dispatch_ptr 0
		.amdhsa_user_sgpr_queue_ptr 0
		.amdhsa_user_sgpr_kernarg_segment_ptr 1
		.amdhsa_user_sgpr_dispatch_id 0
		.amdhsa_user_sgpr_flat_scratch_init 0
		.amdhsa_user_sgpr_kernarg_preload_length 0
		.amdhsa_user_sgpr_kernarg_preload_offset 0
		.amdhsa_user_sgpr_private_segment_size 0
		.amdhsa_uses_dynamic_stack 0
		.amdhsa_system_sgpr_private_segment_wavefront_offset 0
		.amdhsa_system_sgpr_workgroup_id_x 1
		.amdhsa_system_sgpr_workgroup_id_y 0
		.amdhsa_system_sgpr_workgroup_id_z 0
		.amdhsa_system_sgpr_workgroup_info 0
		.amdhsa_system_vgpr_workitem_id 0
		.amdhsa_next_free_vgpr 46
		.amdhsa_next_free_sgpr 52
		.amdhsa_accum_offset 48
		.amdhsa_reserve_vcc 1
		.amdhsa_reserve_flat_scratch 0
		.amdhsa_float_round_mode_32 0
		.amdhsa_float_round_mode_16_64 0
		.amdhsa_float_denorm_mode_32 3
		.amdhsa_float_denorm_mode_16_64 3
		.amdhsa_dx10_clamp 1
		.amdhsa_ieee_mode 1
		.amdhsa_fp16_overflow 0
		.amdhsa_tg_split 0
		.amdhsa_exception_fp_ieee_invalid_op 0
		.amdhsa_exception_fp_denorm_src 0
		.amdhsa_exception_fp_ieee_div_zero 0
		.amdhsa_exception_fp_ieee_overflow 0
		.amdhsa_exception_fp_ieee_underflow 0
		.amdhsa_exception_fp_ieee_inexact 0
		.amdhsa_exception_int_div_zero 0
	.end_amdhsa_kernel
	.section	.text._ZN7rocprim17ROCPRIM_400000_NS6detail17trampoline_kernelINS0_14default_configENS1_25partition_config_selectorILNS1_17partition_subalgoE8ElNS0_10empty_typeEbEEZZNS1_14partition_implILS5_8ELb0ES3_jPlPS6_PKS6_NS0_5tupleIJS9_S6_EEENSD_IJSA_SA_EEENS0_18inequality_wrapperIZN2at6native12_GLOBAL__N_124unique_dim_cuda_templateIbEESt5tupleIJNSH_6TensorESM_SM_EERKSM_lbbbEUlllE0_EEPmJS6_EEE10hipError_tPvRmT3_T4_T5_T6_T7_T9_mT8_P12ihipStream_tbDpT10_ENKUlT_T0_E_clISt17integral_constantIbLb0EES1B_IbLb1EEEEDaS17_S18_EUlS17_E_NS1_11comp_targetILNS1_3genE4ELNS1_11target_archE910ELNS1_3gpuE8ELNS1_3repE0EEENS1_30default_config_static_selectorELNS0_4arch9wavefront6targetE1EEEvT1_,"axG",@progbits,_ZN7rocprim17ROCPRIM_400000_NS6detail17trampoline_kernelINS0_14default_configENS1_25partition_config_selectorILNS1_17partition_subalgoE8ElNS0_10empty_typeEbEEZZNS1_14partition_implILS5_8ELb0ES3_jPlPS6_PKS6_NS0_5tupleIJS9_S6_EEENSD_IJSA_SA_EEENS0_18inequality_wrapperIZN2at6native12_GLOBAL__N_124unique_dim_cuda_templateIbEESt5tupleIJNSH_6TensorESM_SM_EERKSM_lbbbEUlllE0_EEPmJS6_EEE10hipError_tPvRmT3_T4_T5_T6_T7_T9_mT8_P12ihipStream_tbDpT10_ENKUlT_T0_E_clISt17integral_constantIbLb0EES1B_IbLb1EEEEDaS17_S18_EUlS17_E_NS1_11comp_targetILNS1_3genE4ELNS1_11target_archE910ELNS1_3gpuE8ELNS1_3repE0EEENS1_30default_config_static_selectorELNS0_4arch9wavefront6targetE1EEEvT1_,comdat
.Lfunc_end1077:
	.size	_ZN7rocprim17ROCPRIM_400000_NS6detail17trampoline_kernelINS0_14default_configENS1_25partition_config_selectorILNS1_17partition_subalgoE8ElNS0_10empty_typeEbEEZZNS1_14partition_implILS5_8ELb0ES3_jPlPS6_PKS6_NS0_5tupleIJS9_S6_EEENSD_IJSA_SA_EEENS0_18inequality_wrapperIZN2at6native12_GLOBAL__N_124unique_dim_cuda_templateIbEESt5tupleIJNSH_6TensorESM_SM_EERKSM_lbbbEUlllE0_EEPmJS6_EEE10hipError_tPvRmT3_T4_T5_T6_T7_T9_mT8_P12ihipStream_tbDpT10_ENKUlT_T0_E_clISt17integral_constantIbLb0EES1B_IbLb1EEEEDaS17_S18_EUlS17_E_NS1_11comp_targetILNS1_3genE4ELNS1_11target_archE910ELNS1_3gpuE8ELNS1_3repE0EEENS1_30default_config_static_selectorELNS0_4arch9wavefront6targetE1EEEvT1_, .Lfunc_end1077-_ZN7rocprim17ROCPRIM_400000_NS6detail17trampoline_kernelINS0_14default_configENS1_25partition_config_selectorILNS1_17partition_subalgoE8ElNS0_10empty_typeEbEEZZNS1_14partition_implILS5_8ELb0ES3_jPlPS6_PKS6_NS0_5tupleIJS9_S6_EEENSD_IJSA_SA_EEENS0_18inequality_wrapperIZN2at6native12_GLOBAL__N_124unique_dim_cuda_templateIbEESt5tupleIJNSH_6TensorESM_SM_EERKSM_lbbbEUlllE0_EEPmJS6_EEE10hipError_tPvRmT3_T4_T5_T6_T7_T9_mT8_P12ihipStream_tbDpT10_ENKUlT_T0_E_clISt17integral_constantIbLb0EES1B_IbLb1EEEEDaS17_S18_EUlS17_E_NS1_11comp_targetILNS1_3genE4ELNS1_11target_archE910ELNS1_3gpuE8ELNS1_3repE0EEENS1_30default_config_static_selectorELNS0_4arch9wavefront6targetE1EEEvT1_
                                        ; -- End function
	.section	.AMDGPU.csdata,"",@progbits
; Kernel info:
; codeLenInByte = 10944
; NumSgprs: 56
; NumVgprs: 46
; NumAgprs: 0
; TotalNumVgprs: 46
; ScratchSize: 0
; MemoryBound: 0
; FloatMode: 240
; IeeeMode: 1
; LDSByteSize: 10252 bytes/workgroup (compile time only)
; SGPRBlocks: 6
; VGPRBlocks: 5
; NumSGPRsForWavesPerEU: 56
; NumVGPRsForWavesPerEU: 46
; AccumOffset: 48
; Occupancy: 6
; WaveLimiterHint : 1
; COMPUTE_PGM_RSRC2:SCRATCH_EN: 0
; COMPUTE_PGM_RSRC2:USER_SGPR: 6
; COMPUTE_PGM_RSRC2:TRAP_HANDLER: 0
; COMPUTE_PGM_RSRC2:TGID_X_EN: 1
; COMPUTE_PGM_RSRC2:TGID_Y_EN: 0
; COMPUTE_PGM_RSRC2:TGID_Z_EN: 0
; COMPUTE_PGM_RSRC2:TIDIG_COMP_CNT: 0
; COMPUTE_PGM_RSRC3_GFX90A:ACCUM_OFFSET: 11
; COMPUTE_PGM_RSRC3_GFX90A:TG_SPLIT: 0
	.section	.text._ZN7rocprim17ROCPRIM_400000_NS6detail17trampoline_kernelINS0_14default_configENS1_25partition_config_selectorILNS1_17partition_subalgoE8ElNS0_10empty_typeEbEEZZNS1_14partition_implILS5_8ELb0ES3_jPlPS6_PKS6_NS0_5tupleIJS9_S6_EEENSD_IJSA_SA_EEENS0_18inequality_wrapperIZN2at6native12_GLOBAL__N_124unique_dim_cuda_templateIbEESt5tupleIJNSH_6TensorESM_SM_EERKSM_lbbbEUlllE0_EEPmJS6_EEE10hipError_tPvRmT3_T4_T5_T6_T7_T9_mT8_P12ihipStream_tbDpT10_ENKUlT_T0_E_clISt17integral_constantIbLb0EES1B_IbLb1EEEEDaS17_S18_EUlS17_E_NS1_11comp_targetILNS1_3genE3ELNS1_11target_archE908ELNS1_3gpuE7ELNS1_3repE0EEENS1_30default_config_static_selectorELNS0_4arch9wavefront6targetE1EEEvT1_,"axG",@progbits,_ZN7rocprim17ROCPRIM_400000_NS6detail17trampoline_kernelINS0_14default_configENS1_25partition_config_selectorILNS1_17partition_subalgoE8ElNS0_10empty_typeEbEEZZNS1_14partition_implILS5_8ELb0ES3_jPlPS6_PKS6_NS0_5tupleIJS9_S6_EEENSD_IJSA_SA_EEENS0_18inequality_wrapperIZN2at6native12_GLOBAL__N_124unique_dim_cuda_templateIbEESt5tupleIJNSH_6TensorESM_SM_EERKSM_lbbbEUlllE0_EEPmJS6_EEE10hipError_tPvRmT3_T4_T5_T6_T7_T9_mT8_P12ihipStream_tbDpT10_ENKUlT_T0_E_clISt17integral_constantIbLb0EES1B_IbLb1EEEEDaS17_S18_EUlS17_E_NS1_11comp_targetILNS1_3genE3ELNS1_11target_archE908ELNS1_3gpuE7ELNS1_3repE0EEENS1_30default_config_static_selectorELNS0_4arch9wavefront6targetE1EEEvT1_,comdat
	.globl	_ZN7rocprim17ROCPRIM_400000_NS6detail17trampoline_kernelINS0_14default_configENS1_25partition_config_selectorILNS1_17partition_subalgoE8ElNS0_10empty_typeEbEEZZNS1_14partition_implILS5_8ELb0ES3_jPlPS6_PKS6_NS0_5tupleIJS9_S6_EEENSD_IJSA_SA_EEENS0_18inequality_wrapperIZN2at6native12_GLOBAL__N_124unique_dim_cuda_templateIbEESt5tupleIJNSH_6TensorESM_SM_EERKSM_lbbbEUlllE0_EEPmJS6_EEE10hipError_tPvRmT3_T4_T5_T6_T7_T9_mT8_P12ihipStream_tbDpT10_ENKUlT_T0_E_clISt17integral_constantIbLb0EES1B_IbLb1EEEEDaS17_S18_EUlS17_E_NS1_11comp_targetILNS1_3genE3ELNS1_11target_archE908ELNS1_3gpuE7ELNS1_3repE0EEENS1_30default_config_static_selectorELNS0_4arch9wavefront6targetE1EEEvT1_ ; -- Begin function _ZN7rocprim17ROCPRIM_400000_NS6detail17trampoline_kernelINS0_14default_configENS1_25partition_config_selectorILNS1_17partition_subalgoE8ElNS0_10empty_typeEbEEZZNS1_14partition_implILS5_8ELb0ES3_jPlPS6_PKS6_NS0_5tupleIJS9_S6_EEENSD_IJSA_SA_EEENS0_18inequality_wrapperIZN2at6native12_GLOBAL__N_124unique_dim_cuda_templateIbEESt5tupleIJNSH_6TensorESM_SM_EERKSM_lbbbEUlllE0_EEPmJS6_EEE10hipError_tPvRmT3_T4_T5_T6_T7_T9_mT8_P12ihipStream_tbDpT10_ENKUlT_T0_E_clISt17integral_constantIbLb0EES1B_IbLb1EEEEDaS17_S18_EUlS17_E_NS1_11comp_targetILNS1_3genE3ELNS1_11target_archE908ELNS1_3gpuE7ELNS1_3repE0EEENS1_30default_config_static_selectorELNS0_4arch9wavefront6targetE1EEEvT1_
	.p2align	8
	.type	_ZN7rocprim17ROCPRIM_400000_NS6detail17trampoline_kernelINS0_14default_configENS1_25partition_config_selectorILNS1_17partition_subalgoE8ElNS0_10empty_typeEbEEZZNS1_14partition_implILS5_8ELb0ES3_jPlPS6_PKS6_NS0_5tupleIJS9_S6_EEENSD_IJSA_SA_EEENS0_18inequality_wrapperIZN2at6native12_GLOBAL__N_124unique_dim_cuda_templateIbEESt5tupleIJNSH_6TensorESM_SM_EERKSM_lbbbEUlllE0_EEPmJS6_EEE10hipError_tPvRmT3_T4_T5_T6_T7_T9_mT8_P12ihipStream_tbDpT10_ENKUlT_T0_E_clISt17integral_constantIbLb0EES1B_IbLb1EEEEDaS17_S18_EUlS17_E_NS1_11comp_targetILNS1_3genE3ELNS1_11target_archE908ELNS1_3gpuE7ELNS1_3repE0EEENS1_30default_config_static_selectorELNS0_4arch9wavefront6targetE1EEEvT1_,@function
_ZN7rocprim17ROCPRIM_400000_NS6detail17trampoline_kernelINS0_14default_configENS1_25partition_config_selectorILNS1_17partition_subalgoE8ElNS0_10empty_typeEbEEZZNS1_14partition_implILS5_8ELb0ES3_jPlPS6_PKS6_NS0_5tupleIJS9_S6_EEENSD_IJSA_SA_EEENS0_18inequality_wrapperIZN2at6native12_GLOBAL__N_124unique_dim_cuda_templateIbEESt5tupleIJNSH_6TensorESM_SM_EERKSM_lbbbEUlllE0_EEPmJS6_EEE10hipError_tPvRmT3_T4_T5_T6_T7_T9_mT8_P12ihipStream_tbDpT10_ENKUlT_T0_E_clISt17integral_constantIbLb0EES1B_IbLb1EEEEDaS17_S18_EUlS17_E_NS1_11comp_targetILNS1_3genE3ELNS1_11target_archE908ELNS1_3gpuE7ELNS1_3repE0EEENS1_30default_config_static_selectorELNS0_4arch9wavefront6targetE1EEEvT1_: ; @_ZN7rocprim17ROCPRIM_400000_NS6detail17trampoline_kernelINS0_14default_configENS1_25partition_config_selectorILNS1_17partition_subalgoE8ElNS0_10empty_typeEbEEZZNS1_14partition_implILS5_8ELb0ES3_jPlPS6_PKS6_NS0_5tupleIJS9_S6_EEENSD_IJSA_SA_EEENS0_18inequality_wrapperIZN2at6native12_GLOBAL__N_124unique_dim_cuda_templateIbEESt5tupleIJNSH_6TensorESM_SM_EERKSM_lbbbEUlllE0_EEPmJS6_EEE10hipError_tPvRmT3_T4_T5_T6_T7_T9_mT8_P12ihipStream_tbDpT10_ENKUlT_T0_E_clISt17integral_constantIbLb0EES1B_IbLb1EEEEDaS17_S18_EUlS17_E_NS1_11comp_targetILNS1_3genE3ELNS1_11target_archE908ELNS1_3gpuE7ELNS1_3repE0EEENS1_30default_config_static_selectorELNS0_4arch9wavefront6targetE1EEEvT1_
; %bb.0:
	.section	.rodata,"a",@progbits
	.p2align	6, 0x0
	.amdhsa_kernel _ZN7rocprim17ROCPRIM_400000_NS6detail17trampoline_kernelINS0_14default_configENS1_25partition_config_selectorILNS1_17partition_subalgoE8ElNS0_10empty_typeEbEEZZNS1_14partition_implILS5_8ELb0ES3_jPlPS6_PKS6_NS0_5tupleIJS9_S6_EEENSD_IJSA_SA_EEENS0_18inequality_wrapperIZN2at6native12_GLOBAL__N_124unique_dim_cuda_templateIbEESt5tupleIJNSH_6TensorESM_SM_EERKSM_lbbbEUlllE0_EEPmJS6_EEE10hipError_tPvRmT3_T4_T5_T6_T7_T9_mT8_P12ihipStream_tbDpT10_ENKUlT_T0_E_clISt17integral_constantIbLb0EES1B_IbLb1EEEEDaS17_S18_EUlS17_E_NS1_11comp_targetILNS1_3genE3ELNS1_11target_archE908ELNS1_3gpuE7ELNS1_3repE0EEENS1_30default_config_static_selectorELNS0_4arch9wavefront6targetE1EEEvT1_
		.amdhsa_group_segment_fixed_size 0
		.amdhsa_private_segment_fixed_size 0
		.amdhsa_kernarg_size 136
		.amdhsa_user_sgpr_count 6
		.amdhsa_user_sgpr_private_segment_buffer 1
		.amdhsa_user_sgpr_dispatch_ptr 0
		.amdhsa_user_sgpr_queue_ptr 0
		.amdhsa_user_sgpr_kernarg_segment_ptr 1
		.amdhsa_user_sgpr_dispatch_id 0
		.amdhsa_user_sgpr_flat_scratch_init 0
		.amdhsa_user_sgpr_kernarg_preload_length 0
		.amdhsa_user_sgpr_kernarg_preload_offset 0
		.amdhsa_user_sgpr_private_segment_size 0
		.amdhsa_uses_dynamic_stack 0
		.amdhsa_system_sgpr_private_segment_wavefront_offset 0
		.amdhsa_system_sgpr_workgroup_id_x 1
		.amdhsa_system_sgpr_workgroup_id_y 0
		.amdhsa_system_sgpr_workgroup_id_z 0
		.amdhsa_system_sgpr_workgroup_info 0
		.amdhsa_system_vgpr_workitem_id 0
		.amdhsa_next_free_vgpr 1
		.amdhsa_next_free_sgpr 0
		.amdhsa_accum_offset 4
		.amdhsa_reserve_vcc 0
		.amdhsa_reserve_flat_scratch 0
		.amdhsa_float_round_mode_32 0
		.amdhsa_float_round_mode_16_64 0
		.amdhsa_float_denorm_mode_32 3
		.amdhsa_float_denorm_mode_16_64 3
		.amdhsa_dx10_clamp 1
		.amdhsa_ieee_mode 1
		.amdhsa_fp16_overflow 0
		.amdhsa_tg_split 0
		.amdhsa_exception_fp_ieee_invalid_op 0
		.amdhsa_exception_fp_denorm_src 0
		.amdhsa_exception_fp_ieee_div_zero 0
		.amdhsa_exception_fp_ieee_overflow 0
		.amdhsa_exception_fp_ieee_underflow 0
		.amdhsa_exception_fp_ieee_inexact 0
		.amdhsa_exception_int_div_zero 0
	.end_amdhsa_kernel
	.section	.text._ZN7rocprim17ROCPRIM_400000_NS6detail17trampoline_kernelINS0_14default_configENS1_25partition_config_selectorILNS1_17partition_subalgoE8ElNS0_10empty_typeEbEEZZNS1_14partition_implILS5_8ELb0ES3_jPlPS6_PKS6_NS0_5tupleIJS9_S6_EEENSD_IJSA_SA_EEENS0_18inequality_wrapperIZN2at6native12_GLOBAL__N_124unique_dim_cuda_templateIbEESt5tupleIJNSH_6TensorESM_SM_EERKSM_lbbbEUlllE0_EEPmJS6_EEE10hipError_tPvRmT3_T4_T5_T6_T7_T9_mT8_P12ihipStream_tbDpT10_ENKUlT_T0_E_clISt17integral_constantIbLb0EES1B_IbLb1EEEEDaS17_S18_EUlS17_E_NS1_11comp_targetILNS1_3genE3ELNS1_11target_archE908ELNS1_3gpuE7ELNS1_3repE0EEENS1_30default_config_static_selectorELNS0_4arch9wavefront6targetE1EEEvT1_,"axG",@progbits,_ZN7rocprim17ROCPRIM_400000_NS6detail17trampoline_kernelINS0_14default_configENS1_25partition_config_selectorILNS1_17partition_subalgoE8ElNS0_10empty_typeEbEEZZNS1_14partition_implILS5_8ELb0ES3_jPlPS6_PKS6_NS0_5tupleIJS9_S6_EEENSD_IJSA_SA_EEENS0_18inequality_wrapperIZN2at6native12_GLOBAL__N_124unique_dim_cuda_templateIbEESt5tupleIJNSH_6TensorESM_SM_EERKSM_lbbbEUlllE0_EEPmJS6_EEE10hipError_tPvRmT3_T4_T5_T6_T7_T9_mT8_P12ihipStream_tbDpT10_ENKUlT_T0_E_clISt17integral_constantIbLb0EES1B_IbLb1EEEEDaS17_S18_EUlS17_E_NS1_11comp_targetILNS1_3genE3ELNS1_11target_archE908ELNS1_3gpuE7ELNS1_3repE0EEENS1_30default_config_static_selectorELNS0_4arch9wavefront6targetE1EEEvT1_,comdat
.Lfunc_end1078:
	.size	_ZN7rocprim17ROCPRIM_400000_NS6detail17trampoline_kernelINS0_14default_configENS1_25partition_config_selectorILNS1_17partition_subalgoE8ElNS0_10empty_typeEbEEZZNS1_14partition_implILS5_8ELb0ES3_jPlPS6_PKS6_NS0_5tupleIJS9_S6_EEENSD_IJSA_SA_EEENS0_18inequality_wrapperIZN2at6native12_GLOBAL__N_124unique_dim_cuda_templateIbEESt5tupleIJNSH_6TensorESM_SM_EERKSM_lbbbEUlllE0_EEPmJS6_EEE10hipError_tPvRmT3_T4_T5_T6_T7_T9_mT8_P12ihipStream_tbDpT10_ENKUlT_T0_E_clISt17integral_constantIbLb0EES1B_IbLb1EEEEDaS17_S18_EUlS17_E_NS1_11comp_targetILNS1_3genE3ELNS1_11target_archE908ELNS1_3gpuE7ELNS1_3repE0EEENS1_30default_config_static_selectorELNS0_4arch9wavefront6targetE1EEEvT1_, .Lfunc_end1078-_ZN7rocprim17ROCPRIM_400000_NS6detail17trampoline_kernelINS0_14default_configENS1_25partition_config_selectorILNS1_17partition_subalgoE8ElNS0_10empty_typeEbEEZZNS1_14partition_implILS5_8ELb0ES3_jPlPS6_PKS6_NS0_5tupleIJS9_S6_EEENSD_IJSA_SA_EEENS0_18inequality_wrapperIZN2at6native12_GLOBAL__N_124unique_dim_cuda_templateIbEESt5tupleIJNSH_6TensorESM_SM_EERKSM_lbbbEUlllE0_EEPmJS6_EEE10hipError_tPvRmT3_T4_T5_T6_T7_T9_mT8_P12ihipStream_tbDpT10_ENKUlT_T0_E_clISt17integral_constantIbLb0EES1B_IbLb1EEEEDaS17_S18_EUlS17_E_NS1_11comp_targetILNS1_3genE3ELNS1_11target_archE908ELNS1_3gpuE7ELNS1_3repE0EEENS1_30default_config_static_selectorELNS0_4arch9wavefront6targetE1EEEvT1_
                                        ; -- End function
	.section	.AMDGPU.csdata,"",@progbits
; Kernel info:
; codeLenInByte = 0
; NumSgprs: 4
; NumVgprs: 0
; NumAgprs: 0
; TotalNumVgprs: 0
; ScratchSize: 0
; MemoryBound: 0
; FloatMode: 240
; IeeeMode: 1
; LDSByteSize: 0 bytes/workgroup (compile time only)
; SGPRBlocks: 0
; VGPRBlocks: 0
; NumSGPRsForWavesPerEU: 4
; NumVGPRsForWavesPerEU: 1
; AccumOffset: 4
; Occupancy: 8
; WaveLimiterHint : 0
; COMPUTE_PGM_RSRC2:SCRATCH_EN: 0
; COMPUTE_PGM_RSRC2:USER_SGPR: 6
; COMPUTE_PGM_RSRC2:TRAP_HANDLER: 0
; COMPUTE_PGM_RSRC2:TGID_X_EN: 1
; COMPUTE_PGM_RSRC2:TGID_Y_EN: 0
; COMPUTE_PGM_RSRC2:TGID_Z_EN: 0
; COMPUTE_PGM_RSRC2:TIDIG_COMP_CNT: 0
; COMPUTE_PGM_RSRC3_GFX90A:ACCUM_OFFSET: 0
; COMPUTE_PGM_RSRC3_GFX90A:TG_SPLIT: 0
	.section	.text._ZN7rocprim17ROCPRIM_400000_NS6detail17trampoline_kernelINS0_14default_configENS1_25partition_config_selectorILNS1_17partition_subalgoE8ElNS0_10empty_typeEbEEZZNS1_14partition_implILS5_8ELb0ES3_jPlPS6_PKS6_NS0_5tupleIJS9_S6_EEENSD_IJSA_SA_EEENS0_18inequality_wrapperIZN2at6native12_GLOBAL__N_124unique_dim_cuda_templateIbEESt5tupleIJNSH_6TensorESM_SM_EERKSM_lbbbEUlllE0_EEPmJS6_EEE10hipError_tPvRmT3_T4_T5_T6_T7_T9_mT8_P12ihipStream_tbDpT10_ENKUlT_T0_E_clISt17integral_constantIbLb0EES1B_IbLb1EEEEDaS17_S18_EUlS17_E_NS1_11comp_targetILNS1_3genE2ELNS1_11target_archE906ELNS1_3gpuE6ELNS1_3repE0EEENS1_30default_config_static_selectorELNS0_4arch9wavefront6targetE1EEEvT1_,"axG",@progbits,_ZN7rocprim17ROCPRIM_400000_NS6detail17trampoline_kernelINS0_14default_configENS1_25partition_config_selectorILNS1_17partition_subalgoE8ElNS0_10empty_typeEbEEZZNS1_14partition_implILS5_8ELb0ES3_jPlPS6_PKS6_NS0_5tupleIJS9_S6_EEENSD_IJSA_SA_EEENS0_18inequality_wrapperIZN2at6native12_GLOBAL__N_124unique_dim_cuda_templateIbEESt5tupleIJNSH_6TensorESM_SM_EERKSM_lbbbEUlllE0_EEPmJS6_EEE10hipError_tPvRmT3_T4_T5_T6_T7_T9_mT8_P12ihipStream_tbDpT10_ENKUlT_T0_E_clISt17integral_constantIbLb0EES1B_IbLb1EEEEDaS17_S18_EUlS17_E_NS1_11comp_targetILNS1_3genE2ELNS1_11target_archE906ELNS1_3gpuE6ELNS1_3repE0EEENS1_30default_config_static_selectorELNS0_4arch9wavefront6targetE1EEEvT1_,comdat
	.globl	_ZN7rocprim17ROCPRIM_400000_NS6detail17trampoline_kernelINS0_14default_configENS1_25partition_config_selectorILNS1_17partition_subalgoE8ElNS0_10empty_typeEbEEZZNS1_14partition_implILS5_8ELb0ES3_jPlPS6_PKS6_NS0_5tupleIJS9_S6_EEENSD_IJSA_SA_EEENS0_18inequality_wrapperIZN2at6native12_GLOBAL__N_124unique_dim_cuda_templateIbEESt5tupleIJNSH_6TensorESM_SM_EERKSM_lbbbEUlllE0_EEPmJS6_EEE10hipError_tPvRmT3_T4_T5_T6_T7_T9_mT8_P12ihipStream_tbDpT10_ENKUlT_T0_E_clISt17integral_constantIbLb0EES1B_IbLb1EEEEDaS17_S18_EUlS17_E_NS1_11comp_targetILNS1_3genE2ELNS1_11target_archE906ELNS1_3gpuE6ELNS1_3repE0EEENS1_30default_config_static_selectorELNS0_4arch9wavefront6targetE1EEEvT1_ ; -- Begin function _ZN7rocprim17ROCPRIM_400000_NS6detail17trampoline_kernelINS0_14default_configENS1_25partition_config_selectorILNS1_17partition_subalgoE8ElNS0_10empty_typeEbEEZZNS1_14partition_implILS5_8ELb0ES3_jPlPS6_PKS6_NS0_5tupleIJS9_S6_EEENSD_IJSA_SA_EEENS0_18inequality_wrapperIZN2at6native12_GLOBAL__N_124unique_dim_cuda_templateIbEESt5tupleIJNSH_6TensorESM_SM_EERKSM_lbbbEUlllE0_EEPmJS6_EEE10hipError_tPvRmT3_T4_T5_T6_T7_T9_mT8_P12ihipStream_tbDpT10_ENKUlT_T0_E_clISt17integral_constantIbLb0EES1B_IbLb1EEEEDaS17_S18_EUlS17_E_NS1_11comp_targetILNS1_3genE2ELNS1_11target_archE906ELNS1_3gpuE6ELNS1_3repE0EEENS1_30default_config_static_selectorELNS0_4arch9wavefront6targetE1EEEvT1_
	.p2align	8
	.type	_ZN7rocprim17ROCPRIM_400000_NS6detail17trampoline_kernelINS0_14default_configENS1_25partition_config_selectorILNS1_17partition_subalgoE8ElNS0_10empty_typeEbEEZZNS1_14partition_implILS5_8ELb0ES3_jPlPS6_PKS6_NS0_5tupleIJS9_S6_EEENSD_IJSA_SA_EEENS0_18inequality_wrapperIZN2at6native12_GLOBAL__N_124unique_dim_cuda_templateIbEESt5tupleIJNSH_6TensorESM_SM_EERKSM_lbbbEUlllE0_EEPmJS6_EEE10hipError_tPvRmT3_T4_T5_T6_T7_T9_mT8_P12ihipStream_tbDpT10_ENKUlT_T0_E_clISt17integral_constantIbLb0EES1B_IbLb1EEEEDaS17_S18_EUlS17_E_NS1_11comp_targetILNS1_3genE2ELNS1_11target_archE906ELNS1_3gpuE6ELNS1_3repE0EEENS1_30default_config_static_selectorELNS0_4arch9wavefront6targetE1EEEvT1_,@function
_ZN7rocprim17ROCPRIM_400000_NS6detail17trampoline_kernelINS0_14default_configENS1_25partition_config_selectorILNS1_17partition_subalgoE8ElNS0_10empty_typeEbEEZZNS1_14partition_implILS5_8ELb0ES3_jPlPS6_PKS6_NS0_5tupleIJS9_S6_EEENSD_IJSA_SA_EEENS0_18inequality_wrapperIZN2at6native12_GLOBAL__N_124unique_dim_cuda_templateIbEESt5tupleIJNSH_6TensorESM_SM_EERKSM_lbbbEUlllE0_EEPmJS6_EEE10hipError_tPvRmT3_T4_T5_T6_T7_T9_mT8_P12ihipStream_tbDpT10_ENKUlT_T0_E_clISt17integral_constantIbLb0EES1B_IbLb1EEEEDaS17_S18_EUlS17_E_NS1_11comp_targetILNS1_3genE2ELNS1_11target_archE906ELNS1_3gpuE6ELNS1_3repE0EEENS1_30default_config_static_selectorELNS0_4arch9wavefront6targetE1EEEvT1_: ; @_ZN7rocprim17ROCPRIM_400000_NS6detail17trampoline_kernelINS0_14default_configENS1_25partition_config_selectorILNS1_17partition_subalgoE8ElNS0_10empty_typeEbEEZZNS1_14partition_implILS5_8ELb0ES3_jPlPS6_PKS6_NS0_5tupleIJS9_S6_EEENSD_IJSA_SA_EEENS0_18inequality_wrapperIZN2at6native12_GLOBAL__N_124unique_dim_cuda_templateIbEESt5tupleIJNSH_6TensorESM_SM_EERKSM_lbbbEUlllE0_EEPmJS6_EEE10hipError_tPvRmT3_T4_T5_T6_T7_T9_mT8_P12ihipStream_tbDpT10_ENKUlT_T0_E_clISt17integral_constantIbLb0EES1B_IbLb1EEEEDaS17_S18_EUlS17_E_NS1_11comp_targetILNS1_3genE2ELNS1_11target_archE906ELNS1_3gpuE6ELNS1_3repE0EEENS1_30default_config_static_selectorELNS0_4arch9wavefront6targetE1EEEvT1_
; %bb.0:
	.section	.rodata,"a",@progbits
	.p2align	6, 0x0
	.amdhsa_kernel _ZN7rocprim17ROCPRIM_400000_NS6detail17trampoline_kernelINS0_14default_configENS1_25partition_config_selectorILNS1_17partition_subalgoE8ElNS0_10empty_typeEbEEZZNS1_14partition_implILS5_8ELb0ES3_jPlPS6_PKS6_NS0_5tupleIJS9_S6_EEENSD_IJSA_SA_EEENS0_18inequality_wrapperIZN2at6native12_GLOBAL__N_124unique_dim_cuda_templateIbEESt5tupleIJNSH_6TensorESM_SM_EERKSM_lbbbEUlllE0_EEPmJS6_EEE10hipError_tPvRmT3_T4_T5_T6_T7_T9_mT8_P12ihipStream_tbDpT10_ENKUlT_T0_E_clISt17integral_constantIbLb0EES1B_IbLb1EEEEDaS17_S18_EUlS17_E_NS1_11comp_targetILNS1_3genE2ELNS1_11target_archE906ELNS1_3gpuE6ELNS1_3repE0EEENS1_30default_config_static_selectorELNS0_4arch9wavefront6targetE1EEEvT1_
		.amdhsa_group_segment_fixed_size 0
		.amdhsa_private_segment_fixed_size 0
		.amdhsa_kernarg_size 136
		.amdhsa_user_sgpr_count 6
		.amdhsa_user_sgpr_private_segment_buffer 1
		.amdhsa_user_sgpr_dispatch_ptr 0
		.amdhsa_user_sgpr_queue_ptr 0
		.amdhsa_user_sgpr_kernarg_segment_ptr 1
		.amdhsa_user_sgpr_dispatch_id 0
		.amdhsa_user_sgpr_flat_scratch_init 0
		.amdhsa_user_sgpr_kernarg_preload_length 0
		.amdhsa_user_sgpr_kernarg_preload_offset 0
		.amdhsa_user_sgpr_private_segment_size 0
		.amdhsa_uses_dynamic_stack 0
		.amdhsa_system_sgpr_private_segment_wavefront_offset 0
		.amdhsa_system_sgpr_workgroup_id_x 1
		.amdhsa_system_sgpr_workgroup_id_y 0
		.amdhsa_system_sgpr_workgroup_id_z 0
		.amdhsa_system_sgpr_workgroup_info 0
		.amdhsa_system_vgpr_workitem_id 0
		.amdhsa_next_free_vgpr 1
		.amdhsa_next_free_sgpr 0
		.amdhsa_accum_offset 4
		.amdhsa_reserve_vcc 0
		.amdhsa_reserve_flat_scratch 0
		.amdhsa_float_round_mode_32 0
		.amdhsa_float_round_mode_16_64 0
		.amdhsa_float_denorm_mode_32 3
		.amdhsa_float_denorm_mode_16_64 3
		.amdhsa_dx10_clamp 1
		.amdhsa_ieee_mode 1
		.amdhsa_fp16_overflow 0
		.amdhsa_tg_split 0
		.amdhsa_exception_fp_ieee_invalid_op 0
		.amdhsa_exception_fp_denorm_src 0
		.amdhsa_exception_fp_ieee_div_zero 0
		.amdhsa_exception_fp_ieee_overflow 0
		.amdhsa_exception_fp_ieee_underflow 0
		.amdhsa_exception_fp_ieee_inexact 0
		.amdhsa_exception_int_div_zero 0
	.end_amdhsa_kernel
	.section	.text._ZN7rocprim17ROCPRIM_400000_NS6detail17trampoline_kernelINS0_14default_configENS1_25partition_config_selectorILNS1_17partition_subalgoE8ElNS0_10empty_typeEbEEZZNS1_14partition_implILS5_8ELb0ES3_jPlPS6_PKS6_NS0_5tupleIJS9_S6_EEENSD_IJSA_SA_EEENS0_18inequality_wrapperIZN2at6native12_GLOBAL__N_124unique_dim_cuda_templateIbEESt5tupleIJNSH_6TensorESM_SM_EERKSM_lbbbEUlllE0_EEPmJS6_EEE10hipError_tPvRmT3_T4_T5_T6_T7_T9_mT8_P12ihipStream_tbDpT10_ENKUlT_T0_E_clISt17integral_constantIbLb0EES1B_IbLb1EEEEDaS17_S18_EUlS17_E_NS1_11comp_targetILNS1_3genE2ELNS1_11target_archE906ELNS1_3gpuE6ELNS1_3repE0EEENS1_30default_config_static_selectorELNS0_4arch9wavefront6targetE1EEEvT1_,"axG",@progbits,_ZN7rocprim17ROCPRIM_400000_NS6detail17trampoline_kernelINS0_14default_configENS1_25partition_config_selectorILNS1_17partition_subalgoE8ElNS0_10empty_typeEbEEZZNS1_14partition_implILS5_8ELb0ES3_jPlPS6_PKS6_NS0_5tupleIJS9_S6_EEENSD_IJSA_SA_EEENS0_18inequality_wrapperIZN2at6native12_GLOBAL__N_124unique_dim_cuda_templateIbEESt5tupleIJNSH_6TensorESM_SM_EERKSM_lbbbEUlllE0_EEPmJS6_EEE10hipError_tPvRmT3_T4_T5_T6_T7_T9_mT8_P12ihipStream_tbDpT10_ENKUlT_T0_E_clISt17integral_constantIbLb0EES1B_IbLb1EEEEDaS17_S18_EUlS17_E_NS1_11comp_targetILNS1_3genE2ELNS1_11target_archE906ELNS1_3gpuE6ELNS1_3repE0EEENS1_30default_config_static_selectorELNS0_4arch9wavefront6targetE1EEEvT1_,comdat
.Lfunc_end1079:
	.size	_ZN7rocprim17ROCPRIM_400000_NS6detail17trampoline_kernelINS0_14default_configENS1_25partition_config_selectorILNS1_17partition_subalgoE8ElNS0_10empty_typeEbEEZZNS1_14partition_implILS5_8ELb0ES3_jPlPS6_PKS6_NS0_5tupleIJS9_S6_EEENSD_IJSA_SA_EEENS0_18inequality_wrapperIZN2at6native12_GLOBAL__N_124unique_dim_cuda_templateIbEESt5tupleIJNSH_6TensorESM_SM_EERKSM_lbbbEUlllE0_EEPmJS6_EEE10hipError_tPvRmT3_T4_T5_T6_T7_T9_mT8_P12ihipStream_tbDpT10_ENKUlT_T0_E_clISt17integral_constantIbLb0EES1B_IbLb1EEEEDaS17_S18_EUlS17_E_NS1_11comp_targetILNS1_3genE2ELNS1_11target_archE906ELNS1_3gpuE6ELNS1_3repE0EEENS1_30default_config_static_selectorELNS0_4arch9wavefront6targetE1EEEvT1_, .Lfunc_end1079-_ZN7rocprim17ROCPRIM_400000_NS6detail17trampoline_kernelINS0_14default_configENS1_25partition_config_selectorILNS1_17partition_subalgoE8ElNS0_10empty_typeEbEEZZNS1_14partition_implILS5_8ELb0ES3_jPlPS6_PKS6_NS0_5tupleIJS9_S6_EEENSD_IJSA_SA_EEENS0_18inequality_wrapperIZN2at6native12_GLOBAL__N_124unique_dim_cuda_templateIbEESt5tupleIJNSH_6TensorESM_SM_EERKSM_lbbbEUlllE0_EEPmJS6_EEE10hipError_tPvRmT3_T4_T5_T6_T7_T9_mT8_P12ihipStream_tbDpT10_ENKUlT_T0_E_clISt17integral_constantIbLb0EES1B_IbLb1EEEEDaS17_S18_EUlS17_E_NS1_11comp_targetILNS1_3genE2ELNS1_11target_archE906ELNS1_3gpuE6ELNS1_3repE0EEENS1_30default_config_static_selectorELNS0_4arch9wavefront6targetE1EEEvT1_
                                        ; -- End function
	.section	.AMDGPU.csdata,"",@progbits
; Kernel info:
; codeLenInByte = 0
; NumSgprs: 4
; NumVgprs: 0
; NumAgprs: 0
; TotalNumVgprs: 0
; ScratchSize: 0
; MemoryBound: 0
; FloatMode: 240
; IeeeMode: 1
; LDSByteSize: 0 bytes/workgroup (compile time only)
; SGPRBlocks: 0
; VGPRBlocks: 0
; NumSGPRsForWavesPerEU: 4
; NumVGPRsForWavesPerEU: 1
; AccumOffset: 4
; Occupancy: 8
; WaveLimiterHint : 0
; COMPUTE_PGM_RSRC2:SCRATCH_EN: 0
; COMPUTE_PGM_RSRC2:USER_SGPR: 6
; COMPUTE_PGM_RSRC2:TRAP_HANDLER: 0
; COMPUTE_PGM_RSRC2:TGID_X_EN: 1
; COMPUTE_PGM_RSRC2:TGID_Y_EN: 0
; COMPUTE_PGM_RSRC2:TGID_Z_EN: 0
; COMPUTE_PGM_RSRC2:TIDIG_COMP_CNT: 0
; COMPUTE_PGM_RSRC3_GFX90A:ACCUM_OFFSET: 0
; COMPUTE_PGM_RSRC3_GFX90A:TG_SPLIT: 0
	.section	.text._ZN7rocprim17ROCPRIM_400000_NS6detail17trampoline_kernelINS0_14default_configENS1_25partition_config_selectorILNS1_17partition_subalgoE8ElNS0_10empty_typeEbEEZZNS1_14partition_implILS5_8ELb0ES3_jPlPS6_PKS6_NS0_5tupleIJS9_S6_EEENSD_IJSA_SA_EEENS0_18inequality_wrapperIZN2at6native12_GLOBAL__N_124unique_dim_cuda_templateIbEESt5tupleIJNSH_6TensorESM_SM_EERKSM_lbbbEUlllE0_EEPmJS6_EEE10hipError_tPvRmT3_T4_T5_T6_T7_T9_mT8_P12ihipStream_tbDpT10_ENKUlT_T0_E_clISt17integral_constantIbLb0EES1B_IbLb1EEEEDaS17_S18_EUlS17_E_NS1_11comp_targetILNS1_3genE10ELNS1_11target_archE1200ELNS1_3gpuE4ELNS1_3repE0EEENS1_30default_config_static_selectorELNS0_4arch9wavefront6targetE1EEEvT1_,"axG",@progbits,_ZN7rocprim17ROCPRIM_400000_NS6detail17trampoline_kernelINS0_14default_configENS1_25partition_config_selectorILNS1_17partition_subalgoE8ElNS0_10empty_typeEbEEZZNS1_14partition_implILS5_8ELb0ES3_jPlPS6_PKS6_NS0_5tupleIJS9_S6_EEENSD_IJSA_SA_EEENS0_18inequality_wrapperIZN2at6native12_GLOBAL__N_124unique_dim_cuda_templateIbEESt5tupleIJNSH_6TensorESM_SM_EERKSM_lbbbEUlllE0_EEPmJS6_EEE10hipError_tPvRmT3_T4_T5_T6_T7_T9_mT8_P12ihipStream_tbDpT10_ENKUlT_T0_E_clISt17integral_constantIbLb0EES1B_IbLb1EEEEDaS17_S18_EUlS17_E_NS1_11comp_targetILNS1_3genE10ELNS1_11target_archE1200ELNS1_3gpuE4ELNS1_3repE0EEENS1_30default_config_static_selectorELNS0_4arch9wavefront6targetE1EEEvT1_,comdat
	.globl	_ZN7rocprim17ROCPRIM_400000_NS6detail17trampoline_kernelINS0_14default_configENS1_25partition_config_selectorILNS1_17partition_subalgoE8ElNS0_10empty_typeEbEEZZNS1_14partition_implILS5_8ELb0ES3_jPlPS6_PKS6_NS0_5tupleIJS9_S6_EEENSD_IJSA_SA_EEENS0_18inequality_wrapperIZN2at6native12_GLOBAL__N_124unique_dim_cuda_templateIbEESt5tupleIJNSH_6TensorESM_SM_EERKSM_lbbbEUlllE0_EEPmJS6_EEE10hipError_tPvRmT3_T4_T5_T6_T7_T9_mT8_P12ihipStream_tbDpT10_ENKUlT_T0_E_clISt17integral_constantIbLb0EES1B_IbLb1EEEEDaS17_S18_EUlS17_E_NS1_11comp_targetILNS1_3genE10ELNS1_11target_archE1200ELNS1_3gpuE4ELNS1_3repE0EEENS1_30default_config_static_selectorELNS0_4arch9wavefront6targetE1EEEvT1_ ; -- Begin function _ZN7rocprim17ROCPRIM_400000_NS6detail17trampoline_kernelINS0_14default_configENS1_25partition_config_selectorILNS1_17partition_subalgoE8ElNS0_10empty_typeEbEEZZNS1_14partition_implILS5_8ELb0ES3_jPlPS6_PKS6_NS0_5tupleIJS9_S6_EEENSD_IJSA_SA_EEENS0_18inequality_wrapperIZN2at6native12_GLOBAL__N_124unique_dim_cuda_templateIbEESt5tupleIJNSH_6TensorESM_SM_EERKSM_lbbbEUlllE0_EEPmJS6_EEE10hipError_tPvRmT3_T4_T5_T6_T7_T9_mT8_P12ihipStream_tbDpT10_ENKUlT_T0_E_clISt17integral_constantIbLb0EES1B_IbLb1EEEEDaS17_S18_EUlS17_E_NS1_11comp_targetILNS1_3genE10ELNS1_11target_archE1200ELNS1_3gpuE4ELNS1_3repE0EEENS1_30default_config_static_selectorELNS0_4arch9wavefront6targetE1EEEvT1_
	.p2align	8
	.type	_ZN7rocprim17ROCPRIM_400000_NS6detail17trampoline_kernelINS0_14default_configENS1_25partition_config_selectorILNS1_17partition_subalgoE8ElNS0_10empty_typeEbEEZZNS1_14partition_implILS5_8ELb0ES3_jPlPS6_PKS6_NS0_5tupleIJS9_S6_EEENSD_IJSA_SA_EEENS0_18inequality_wrapperIZN2at6native12_GLOBAL__N_124unique_dim_cuda_templateIbEESt5tupleIJNSH_6TensorESM_SM_EERKSM_lbbbEUlllE0_EEPmJS6_EEE10hipError_tPvRmT3_T4_T5_T6_T7_T9_mT8_P12ihipStream_tbDpT10_ENKUlT_T0_E_clISt17integral_constantIbLb0EES1B_IbLb1EEEEDaS17_S18_EUlS17_E_NS1_11comp_targetILNS1_3genE10ELNS1_11target_archE1200ELNS1_3gpuE4ELNS1_3repE0EEENS1_30default_config_static_selectorELNS0_4arch9wavefront6targetE1EEEvT1_,@function
_ZN7rocprim17ROCPRIM_400000_NS6detail17trampoline_kernelINS0_14default_configENS1_25partition_config_selectorILNS1_17partition_subalgoE8ElNS0_10empty_typeEbEEZZNS1_14partition_implILS5_8ELb0ES3_jPlPS6_PKS6_NS0_5tupleIJS9_S6_EEENSD_IJSA_SA_EEENS0_18inequality_wrapperIZN2at6native12_GLOBAL__N_124unique_dim_cuda_templateIbEESt5tupleIJNSH_6TensorESM_SM_EERKSM_lbbbEUlllE0_EEPmJS6_EEE10hipError_tPvRmT3_T4_T5_T6_T7_T9_mT8_P12ihipStream_tbDpT10_ENKUlT_T0_E_clISt17integral_constantIbLb0EES1B_IbLb1EEEEDaS17_S18_EUlS17_E_NS1_11comp_targetILNS1_3genE10ELNS1_11target_archE1200ELNS1_3gpuE4ELNS1_3repE0EEENS1_30default_config_static_selectorELNS0_4arch9wavefront6targetE1EEEvT1_: ; @_ZN7rocprim17ROCPRIM_400000_NS6detail17trampoline_kernelINS0_14default_configENS1_25partition_config_selectorILNS1_17partition_subalgoE8ElNS0_10empty_typeEbEEZZNS1_14partition_implILS5_8ELb0ES3_jPlPS6_PKS6_NS0_5tupleIJS9_S6_EEENSD_IJSA_SA_EEENS0_18inequality_wrapperIZN2at6native12_GLOBAL__N_124unique_dim_cuda_templateIbEESt5tupleIJNSH_6TensorESM_SM_EERKSM_lbbbEUlllE0_EEPmJS6_EEE10hipError_tPvRmT3_T4_T5_T6_T7_T9_mT8_P12ihipStream_tbDpT10_ENKUlT_T0_E_clISt17integral_constantIbLb0EES1B_IbLb1EEEEDaS17_S18_EUlS17_E_NS1_11comp_targetILNS1_3genE10ELNS1_11target_archE1200ELNS1_3gpuE4ELNS1_3repE0EEENS1_30default_config_static_selectorELNS0_4arch9wavefront6targetE1EEEvT1_
; %bb.0:
	.section	.rodata,"a",@progbits
	.p2align	6, 0x0
	.amdhsa_kernel _ZN7rocprim17ROCPRIM_400000_NS6detail17trampoline_kernelINS0_14default_configENS1_25partition_config_selectorILNS1_17partition_subalgoE8ElNS0_10empty_typeEbEEZZNS1_14partition_implILS5_8ELb0ES3_jPlPS6_PKS6_NS0_5tupleIJS9_S6_EEENSD_IJSA_SA_EEENS0_18inequality_wrapperIZN2at6native12_GLOBAL__N_124unique_dim_cuda_templateIbEESt5tupleIJNSH_6TensorESM_SM_EERKSM_lbbbEUlllE0_EEPmJS6_EEE10hipError_tPvRmT3_T4_T5_T6_T7_T9_mT8_P12ihipStream_tbDpT10_ENKUlT_T0_E_clISt17integral_constantIbLb0EES1B_IbLb1EEEEDaS17_S18_EUlS17_E_NS1_11comp_targetILNS1_3genE10ELNS1_11target_archE1200ELNS1_3gpuE4ELNS1_3repE0EEENS1_30default_config_static_selectorELNS0_4arch9wavefront6targetE1EEEvT1_
		.amdhsa_group_segment_fixed_size 0
		.amdhsa_private_segment_fixed_size 0
		.amdhsa_kernarg_size 136
		.amdhsa_user_sgpr_count 6
		.amdhsa_user_sgpr_private_segment_buffer 1
		.amdhsa_user_sgpr_dispatch_ptr 0
		.amdhsa_user_sgpr_queue_ptr 0
		.amdhsa_user_sgpr_kernarg_segment_ptr 1
		.amdhsa_user_sgpr_dispatch_id 0
		.amdhsa_user_sgpr_flat_scratch_init 0
		.amdhsa_user_sgpr_kernarg_preload_length 0
		.amdhsa_user_sgpr_kernarg_preload_offset 0
		.amdhsa_user_sgpr_private_segment_size 0
		.amdhsa_uses_dynamic_stack 0
		.amdhsa_system_sgpr_private_segment_wavefront_offset 0
		.amdhsa_system_sgpr_workgroup_id_x 1
		.amdhsa_system_sgpr_workgroup_id_y 0
		.amdhsa_system_sgpr_workgroup_id_z 0
		.amdhsa_system_sgpr_workgroup_info 0
		.amdhsa_system_vgpr_workitem_id 0
		.amdhsa_next_free_vgpr 1
		.amdhsa_next_free_sgpr 0
		.amdhsa_accum_offset 4
		.amdhsa_reserve_vcc 0
		.amdhsa_reserve_flat_scratch 0
		.amdhsa_float_round_mode_32 0
		.amdhsa_float_round_mode_16_64 0
		.amdhsa_float_denorm_mode_32 3
		.amdhsa_float_denorm_mode_16_64 3
		.amdhsa_dx10_clamp 1
		.amdhsa_ieee_mode 1
		.amdhsa_fp16_overflow 0
		.amdhsa_tg_split 0
		.amdhsa_exception_fp_ieee_invalid_op 0
		.amdhsa_exception_fp_denorm_src 0
		.amdhsa_exception_fp_ieee_div_zero 0
		.amdhsa_exception_fp_ieee_overflow 0
		.amdhsa_exception_fp_ieee_underflow 0
		.amdhsa_exception_fp_ieee_inexact 0
		.amdhsa_exception_int_div_zero 0
	.end_amdhsa_kernel
	.section	.text._ZN7rocprim17ROCPRIM_400000_NS6detail17trampoline_kernelINS0_14default_configENS1_25partition_config_selectorILNS1_17partition_subalgoE8ElNS0_10empty_typeEbEEZZNS1_14partition_implILS5_8ELb0ES3_jPlPS6_PKS6_NS0_5tupleIJS9_S6_EEENSD_IJSA_SA_EEENS0_18inequality_wrapperIZN2at6native12_GLOBAL__N_124unique_dim_cuda_templateIbEESt5tupleIJNSH_6TensorESM_SM_EERKSM_lbbbEUlllE0_EEPmJS6_EEE10hipError_tPvRmT3_T4_T5_T6_T7_T9_mT8_P12ihipStream_tbDpT10_ENKUlT_T0_E_clISt17integral_constantIbLb0EES1B_IbLb1EEEEDaS17_S18_EUlS17_E_NS1_11comp_targetILNS1_3genE10ELNS1_11target_archE1200ELNS1_3gpuE4ELNS1_3repE0EEENS1_30default_config_static_selectorELNS0_4arch9wavefront6targetE1EEEvT1_,"axG",@progbits,_ZN7rocprim17ROCPRIM_400000_NS6detail17trampoline_kernelINS0_14default_configENS1_25partition_config_selectorILNS1_17partition_subalgoE8ElNS0_10empty_typeEbEEZZNS1_14partition_implILS5_8ELb0ES3_jPlPS6_PKS6_NS0_5tupleIJS9_S6_EEENSD_IJSA_SA_EEENS0_18inequality_wrapperIZN2at6native12_GLOBAL__N_124unique_dim_cuda_templateIbEESt5tupleIJNSH_6TensorESM_SM_EERKSM_lbbbEUlllE0_EEPmJS6_EEE10hipError_tPvRmT3_T4_T5_T6_T7_T9_mT8_P12ihipStream_tbDpT10_ENKUlT_T0_E_clISt17integral_constantIbLb0EES1B_IbLb1EEEEDaS17_S18_EUlS17_E_NS1_11comp_targetILNS1_3genE10ELNS1_11target_archE1200ELNS1_3gpuE4ELNS1_3repE0EEENS1_30default_config_static_selectorELNS0_4arch9wavefront6targetE1EEEvT1_,comdat
.Lfunc_end1080:
	.size	_ZN7rocprim17ROCPRIM_400000_NS6detail17trampoline_kernelINS0_14default_configENS1_25partition_config_selectorILNS1_17partition_subalgoE8ElNS0_10empty_typeEbEEZZNS1_14partition_implILS5_8ELb0ES3_jPlPS6_PKS6_NS0_5tupleIJS9_S6_EEENSD_IJSA_SA_EEENS0_18inequality_wrapperIZN2at6native12_GLOBAL__N_124unique_dim_cuda_templateIbEESt5tupleIJNSH_6TensorESM_SM_EERKSM_lbbbEUlllE0_EEPmJS6_EEE10hipError_tPvRmT3_T4_T5_T6_T7_T9_mT8_P12ihipStream_tbDpT10_ENKUlT_T0_E_clISt17integral_constantIbLb0EES1B_IbLb1EEEEDaS17_S18_EUlS17_E_NS1_11comp_targetILNS1_3genE10ELNS1_11target_archE1200ELNS1_3gpuE4ELNS1_3repE0EEENS1_30default_config_static_selectorELNS0_4arch9wavefront6targetE1EEEvT1_, .Lfunc_end1080-_ZN7rocprim17ROCPRIM_400000_NS6detail17trampoline_kernelINS0_14default_configENS1_25partition_config_selectorILNS1_17partition_subalgoE8ElNS0_10empty_typeEbEEZZNS1_14partition_implILS5_8ELb0ES3_jPlPS6_PKS6_NS0_5tupleIJS9_S6_EEENSD_IJSA_SA_EEENS0_18inequality_wrapperIZN2at6native12_GLOBAL__N_124unique_dim_cuda_templateIbEESt5tupleIJNSH_6TensorESM_SM_EERKSM_lbbbEUlllE0_EEPmJS6_EEE10hipError_tPvRmT3_T4_T5_T6_T7_T9_mT8_P12ihipStream_tbDpT10_ENKUlT_T0_E_clISt17integral_constantIbLb0EES1B_IbLb1EEEEDaS17_S18_EUlS17_E_NS1_11comp_targetILNS1_3genE10ELNS1_11target_archE1200ELNS1_3gpuE4ELNS1_3repE0EEENS1_30default_config_static_selectorELNS0_4arch9wavefront6targetE1EEEvT1_
                                        ; -- End function
	.section	.AMDGPU.csdata,"",@progbits
; Kernel info:
; codeLenInByte = 0
; NumSgprs: 4
; NumVgprs: 0
; NumAgprs: 0
; TotalNumVgprs: 0
; ScratchSize: 0
; MemoryBound: 0
; FloatMode: 240
; IeeeMode: 1
; LDSByteSize: 0 bytes/workgroup (compile time only)
; SGPRBlocks: 0
; VGPRBlocks: 0
; NumSGPRsForWavesPerEU: 4
; NumVGPRsForWavesPerEU: 1
; AccumOffset: 4
; Occupancy: 8
; WaveLimiterHint : 0
; COMPUTE_PGM_RSRC2:SCRATCH_EN: 0
; COMPUTE_PGM_RSRC2:USER_SGPR: 6
; COMPUTE_PGM_RSRC2:TRAP_HANDLER: 0
; COMPUTE_PGM_RSRC2:TGID_X_EN: 1
; COMPUTE_PGM_RSRC2:TGID_Y_EN: 0
; COMPUTE_PGM_RSRC2:TGID_Z_EN: 0
; COMPUTE_PGM_RSRC2:TIDIG_COMP_CNT: 0
; COMPUTE_PGM_RSRC3_GFX90A:ACCUM_OFFSET: 0
; COMPUTE_PGM_RSRC3_GFX90A:TG_SPLIT: 0
	.section	.text._ZN7rocprim17ROCPRIM_400000_NS6detail17trampoline_kernelINS0_14default_configENS1_25partition_config_selectorILNS1_17partition_subalgoE8ElNS0_10empty_typeEbEEZZNS1_14partition_implILS5_8ELb0ES3_jPlPS6_PKS6_NS0_5tupleIJS9_S6_EEENSD_IJSA_SA_EEENS0_18inequality_wrapperIZN2at6native12_GLOBAL__N_124unique_dim_cuda_templateIbEESt5tupleIJNSH_6TensorESM_SM_EERKSM_lbbbEUlllE0_EEPmJS6_EEE10hipError_tPvRmT3_T4_T5_T6_T7_T9_mT8_P12ihipStream_tbDpT10_ENKUlT_T0_E_clISt17integral_constantIbLb0EES1B_IbLb1EEEEDaS17_S18_EUlS17_E_NS1_11comp_targetILNS1_3genE9ELNS1_11target_archE1100ELNS1_3gpuE3ELNS1_3repE0EEENS1_30default_config_static_selectorELNS0_4arch9wavefront6targetE1EEEvT1_,"axG",@progbits,_ZN7rocprim17ROCPRIM_400000_NS6detail17trampoline_kernelINS0_14default_configENS1_25partition_config_selectorILNS1_17partition_subalgoE8ElNS0_10empty_typeEbEEZZNS1_14partition_implILS5_8ELb0ES3_jPlPS6_PKS6_NS0_5tupleIJS9_S6_EEENSD_IJSA_SA_EEENS0_18inequality_wrapperIZN2at6native12_GLOBAL__N_124unique_dim_cuda_templateIbEESt5tupleIJNSH_6TensorESM_SM_EERKSM_lbbbEUlllE0_EEPmJS6_EEE10hipError_tPvRmT3_T4_T5_T6_T7_T9_mT8_P12ihipStream_tbDpT10_ENKUlT_T0_E_clISt17integral_constantIbLb0EES1B_IbLb1EEEEDaS17_S18_EUlS17_E_NS1_11comp_targetILNS1_3genE9ELNS1_11target_archE1100ELNS1_3gpuE3ELNS1_3repE0EEENS1_30default_config_static_selectorELNS0_4arch9wavefront6targetE1EEEvT1_,comdat
	.globl	_ZN7rocprim17ROCPRIM_400000_NS6detail17trampoline_kernelINS0_14default_configENS1_25partition_config_selectorILNS1_17partition_subalgoE8ElNS0_10empty_typeEbEEZZNS1_14partition_implILS5_8ELb0ES3_jPlPS6_PKS6_NS0_5tupleIJS9_S6_EEENSD_IJSA_SA_EEENS0_18inequality_wrapperIZN2at6native12_GLOBAL__N_124unique_dim_cuda_templateIbEESt5tupleIJNSH_6TensorESM_SM_EERKSM_lbbbEUlllE0_EEPmJS6_EEE10hipError_tPvRmT3_T4_T5_T6_T7_T9_mT8_P12ihipStream_tbDpT10_ENKUlT_T0_E_clISt17integral_constantIbLb0EES1B_IbLb1EEEEDaS17_S18_EUlS17_E_NS1_11comp_targetILNS1_3genE9ELNS1_11target_archE1100ELNS1_3gpuE3ELNS1_3repE0EEENS1_30default_config_static_selectorELNS0_4arch9wavefront6targetE1EEEvT1_ ; -- Begin function _ZN7rocprim17ROCPRIM_400000_NS6detail17trampoline_kernelINS0_14default_configENS1_25partition_config_selectorILNS1_17partition_subalgoE8ElNS0_10empty_typeEbEEZZNS1_14partition_implILS5_8ELb0ES3_jPlPS6_PKS6_NS0_5tupleIJS9_S6_EEENSD_IJSA_SA_EEENS0_18inequality_wrapperIZN2at6native12_GLOBAL__N_124unique_dim_cuda_templateIbEESt5tupleIJNSH_6TensorESM_SM_EERKSM_lbbbEUlllE0_EEPmJS6_EEE10hipError_tPvRmT3_T4_T5_T6_T7_T9_mT8_P12ihipStream_tbDpT10_ENKUlT_T0_E_clISt17integral_constantIbLb0EES1B_IbLb1EEEEDaS17_S18_EUlS17_E_NS1_11comp_targetILNS1_3genE9ELNS1_11target_archE1100ELNS1_3gpuE3ELNS1_3repE0EEENS1_30default_config_static_selectorELNS0_4arch9wavefront6targetE1EEEvT1_
	.p2align	8
	.type	_ZN7rocprim17ROCPRIM_400000_NS6detail17trampoline_kernelINS0_14default_configENS1_25partition_config_selectorILNS1_17partition_subalgoE8ElNS0_10empty_typeEbEEZZNS1_14partition_implILS5_8ELb0ES3_jPlPS6_PKS6_NS0_5tupleIJS9_S6_EEENSD_IJSA_SA_EEENS0_18inequality_wrapperIZN2at6native12_GLOBAL__N_124unique_dim_cuda_templateIbEESt5tupleIJNSH_6TensorESM_SM_EERKSM_lbbbEUlllE0_EEPmJS6_EEE10hipError_tPvRmT3_T4_T5_T6_T7_T9_mT8_P12ihipStream_tbDpT10_ENKUlT_T0_E_clISt17integral_constantIbLb0EES1B_IbLb1EEEEDaS17_S18_EUlS17_E_NS1_11comp_targetILNS1_3genE9ELNS1_11target_archE1100ELNS1_3gpuE3ELNS1_3repE0EEENS1_30default_config_static_selectorELNS0_4arch9wavefront6targetE1EEEvT1_,@function
_ZN7rocprim17ROCPRIM_400000_NS6detail17trampoline_kernelINS0_14default_configENS1_25partition_config_selectorILNS1_17partition_subalgoE8ElNS0_10empty_typeEbEEZZNS1_14partition_implILS5_8ELb0ES3_jPlPS6_PKS6_NS0_5tupleIJS9_S6_EEENSD_IJSA_SA_EEENS0_18inequality_wrapperIZN2at6native12_GLOBAL__N_124unique_dim_cuda_templateIbEESt5tupleIJNSH_6TensorESM_SM_EERKSM_lbbbEUlllE0_EEPmJS6_EEE10hipError_tPvRmT3_T4_T5_T6_T7_T9_mT8_P12ihipStream_tbDpT10_ENKUlT_T0_E_clISt17integral_constantIbLb0EES1B_IbLb1EEEEDaS17_S18_EUlS17_E_NS1_11comp_targetILNS1_3genE9ELNS1_11target_archE1100ELNS1_3gpuE3ELNS1_3repE0EEENS1_30default_config_static_selectorELNS0_4arch9wavefront6targetE1EEEvT1_: ; @_ZN7rocprim17ROCPRIM_400000_NS6detail17trampoline_kernelINS0_14default_configENS1_25partition_config_selectorILNS1_17partition_subalgoE8ElNS0_10empty_typeEbEEZZNS1_14partition_implILS5_8ELb0ES3_jPlPS6_PKS6_NS0_5tupleIJS9_S6_EEENSD_IJSA_SA_EEENS0_18inequality_wrapperIZN2at6native12_GLOBAL__N_124unique_dim_cuda_templateIbEESt5tupleIJNSH_6TensorESM_SM_EERKSM_lbbbEUlllE0_EEPmJS6_EEE10hipError_tPvRmT3_T4_T5_T6_T7_T9_mT8_P12ihipStream_tbDpT10_ENKUlT_T0_E_clISt17integral_constantIbLb0EES1B_IbLb1EEEEDaS17_S18_EUlS17_E_NS1_11comp_targetILNS1_3genE9ELNS1_11target_archE1100ELNS1_3gpuE3ELNS1_3repE0EEENS1_30default_config_static_selectorELNS0_4arch9wavefront6targetE1EEEvT1_
; %bb.0:
	.section	.rodata,"a",@progbits
	.p2align	6, 0x0
	.amdhsa_kernel _ZN7rocprim17ROCPRIM_400000_NS6detail17trampoline_kernelINS0_14default_configENS1_25partition_config_selectorILNS1_17partition_subalgoE8ElNS0_10empty_typeEbEEZZNS1_14partition_implILS5_8ELb0ES3_jPlPS6_PKS6_NS0_5tupleIJS9_S6_EEENSD_IJSA_SA_EEENS0_18inequality_wrapperIZN2at6native12_GLOBAL__N_124unique_dim_cuda_templateIbEESt5tupleIJNSH_6TensorESM_SM_EERKSM_lbbbEUlllE0_EEPmJS6_EEE10hipError_tPvRmT3_T4_T5_T6_T7_T9_mT8_P12ihipStream_tbDpT10_ENKUlT_T0_E_clISt17integral_constantIbLb0EES1B_IbLb1EEEEDaS17_S18_EUlS17_E_NS1_11comp_targetILNS1_3genE9ELNS1_11target_archE1100ELNS1_3gpuE3ELNS1_3repE0EEENS1_30default_config_static_selectorELNS0_4arch9wavefront6targetE1EEEvT1_
		.amdhsa_group_segment_fixed_size 0
		.amdhsa_private_segment_fixed_size 0
		.amdhsa_kernarg_size 136
		.amdhsa_user_sgpr_count 6
		.amdhsa_user_sgpr_private_segment_buffer 1
		.amdhsa_user_sgpr_dispatch_ptr 0
		.amdhsa_user_sgpr_queue_ptr 0
		.amdhsa_user_sgpr_kernarg_segment_ptr 1
		.amdhsa_user_sgpr_dispatch_id 0
		.amdhsa_user_sgpr_flat_scratch_init 0
		.amdhsa_user_sgpr_kernarg_preload_length 0
		.amdhsa_user_sgpr_kernarg_preload_offset 0
		.amdhsa_user_sgpr_private_segment_size 0
		.amdhsa_uses_dynamic_stack 0
		.amdhsa_system_sgpr_private_segment_wavefront_offset 0
		.amdhsa_system_sgpr_workgroup_id_x 1
		.amdhsa_system_sgpr_workgroup_id_y 0
		.amdhsa_system_sgpr_workgroup_id_z 0
		.amdhsa_system_sgpr_workgroup_info 0
		.amdhsa_system_vgpr_workitem_id 0
		.amdhsa_next_free_vgpr 1
		.amdhsa_next_free_sgpr 0
		.amdhsa_accum_offset 4
		.amdhsa_reserve_vcc 0
		.amdhsa_reserve_flat_scratch 0
		.amdhsa_float_round_mode_32 0
		.amdhsa_float_round_mode_16_64 0
		.amdhsa_float_denorm_mode_32 3
		.amdhsa_float_denorm_mode_16_64 3
		.amdhsa_dx10_clamp 1
		.amdhsa_ieee_mode 1
		.amdhsa_fp16_overflow 0
		.amdhsa_tg_split 0
		.amdhsa_exception_fp_ieee_invalid_op 0
		.amdhsa_exception_fp_denorm_src 0
		.amdhsa_exception_fp_ieee_div_zero 0
		.amdhsa_exception_fp_ieee_overflow 0
		.amdhsa_exception_fp_ieee_underflow 0
		.amdhsa_exception_fp_ieee_inexact 0
		.amdhsa_exception_int_div_zero 0
	.end_amdhsa_kernel
	.section	.text._ZN7rocprim17ROCPRIM_400000_NS6detail17trampoline_kernelINS0_14default_configENS1_25partition_config_selectorILNS1_17partition_subalgoE8ElNS0_10empty_typeEbEEZZNS1_14partition_implILS5_8ELb0ES3_jPlPS6_PKS6_NS0_5tupleIJS9_S6_EEENSD_IJSA_SA_EEENS0_18inequality_wrapperIZN2at6native12_GLOBAL__N_124unique_dim_cuda_templateIbEESt5tupleIJNSH_6TensorESM_SM_EERKSM_lbbbEUlllE0_EEPmJS6_EEE10hipError_tPvRmT3_T4_T5_T6_T7_T9_mT8_P12ihipStream_tbDpT10_ENKUlT_T0_E_clISt17integral_constantIbLb0EES1B_IbLb1EEEEDaS17_S18_EUlS17_E_NS1_11comp_targetILNS1_3genE9ELNS1_11target_archE1100ELNS1_3gpuE3ELNS1_3repE0EEENS1_30default_config_static_selectorELNS0_4arch9wavefront6targetE1EEEvT1_,"axG",@progbits,_ZN7rocprim17ROCPRIM_400000_NS6detail17trampoline_kernelINS0_14default_configENS1_25partition_config_selectorILNS1_17partition_subalgoE8ElNS0_10empty_typeEbEEZZNS1_14partition_implILS5_8ELb0ES3_jPlPS6_PKS6_NS0_5tupleIJS9_S6_EEENSD_IJSA_SA_EEENS0_18inequality_wrapperIZN2at6native12_GLOBAL__N_124unique_dim_cuda_templateIbEESt5tupleIJNSH_6TensorESM_SM_EERKSM_lbbbEUlllE0_EEPmJS6_EEE10hipError_tPvRmT3_T4_T5_T6_T7_T9_mT8_P12ihipStream_tbDpT10_ENKUlT_T0_E_clISt17integral_constantIbLb0EES1B_IbLb1EEEEDaS17_S18_EUlS17_E_NS1_11comp_targetILNS1_3genE9ELNS1_11target_archE1100ELNS1_3gpuE3ELNS1_3repE0EEENS1_30default_config_static_selectorELNS0_4arch9wavefront6targetE1EEEvT1_,comdat
.Lfunc_end1081:
	.size	_ZN7rocprim17ROCPRIM_400000_NS6detail17trampoline_kernelINS0_14default_configENS1_25partition_config_selectorILNS1_17partition_subalgoE8ElNS0_10empty_typeEbEEZZNS1_14partition_implILS5_8ELb0ES3_jPlPS6_PKS6_NS0_5tupleIJS9_S6_EEENSD_IJSA_SA_EEENS0_18inequality_wrapperIZN2at6native12_GLOBAL__N_124unique_dim_cuda_templateIbEESt5tupleIJNSH_6TensorESM_SM_EERKSM_lbbbEUlllE0_EEPmJS6_EEE10hipError_tPvRmT3_T4_T5_T6_T7_T9_mT8_P12ihipStream_tbDpT10_ENKUlT_T0_E_clISt17integral_constantIbLb0EES1B_IbLb1EEEEDaS17_S18_EUlS17_E_NS1_11comp_targetILNS1_3genE9ELNS1_11target_archE1100ELNS1_3gpuE3ELNS1_3repE0EEENS1_30default_config_static_selectorELNS0_4arch9wavefront6targetE1EEEvT1_, .Lfunc_end1081-_ZN7rocprim17ROCPRIM_400000_NS6detail17trampoline_kernelINS0_14default_configENS1_25partition_config_selectorILNS1_17partition_subalgoE8ElNS0_10empty_typeEbEEZZNS1_14partition_implILS5_8ELb0ES3_jPlPS6_PKS6_NS0_5tupleIJS9_S6_EEENSD_IJSA_SA_EEENS0_18inequality_wrapperIZN2at6native12_GLOBAL__N_124unique_dim_cuda_templateIbEESt5tupleIJNSH_6TensorESM_SM_EERKSM_lbbbEUlllE0_EEPmJS6_EEE10hipError_tPvRmT3_T4_T5_T6_T7_T9_mT8_P12ihipStream_tbDpT10_ENKUlT_T0_E_clISt17integral_constantIbLb0EES1B_IbLb1EEEEDaS17_S18_EUlS17_E_NS1_11comp_targetILNS1_3genE9ELNS1_11target_archE1100ELNS1_3gpuE3ELNS1_3repE0EEENS1_30default_config_static_selectorELNS0_4arch9wavefront6targetE1EEEvT1_
                                        ; -- End function
	.section	.AMDGPU.csdata,"",@progbits
; Kernel info:
; codeLenInByte = 0
; NumSgprs: 4
; NumVgprs: 0
; NumAgprs: 0
; TotalNumVgprs: 0
; ScratchSize: 0
; MemoryBound: 0
; FloatMode: 240
; IeeeMode: 1
; LDSByteSize: 0 bytes/workgroup (compile time only)
; SGPRBlocks: 0
; VGPRBlocks: 0
; NumSGPRsForWavesPerEU: 4
; NumVGPRsForWavesPerEU: 1
; AccumOffset: 4
; Occupancy: 8
; WaveLimiterHint : 0
; COMPUTE_PGM_RSRC2:SCRATCH_EN: 0
; COMPUTE_PGM_RSRC2:USER_SGPR: 6
; COMPUTE_PGM_RSRC2:TRAP_HANDLER: 0
; COMPUTE_PGM_RSRC2:TGID_X_EN: 1
; COMPUTE_PGM_RSRC2:TGID_Y_EN: 0
; COMPUTE_PGM_RSRC2:TGID_Z_EN: 0
; COMPUTE_PGM_RSRC2:TIDIG_COMP_CNT: 0
; COMPUTE_PGM_RSRC3_GFX90A:ACCUM_OFFSET: 0
; COMPUTE_PGM_RSRC3_GFX90A:TG_SPLIT: 0
	.section	.text._ZN7rocprim17ROCPRIM_400000_NS6detail17trampoline_kernelINS0_14default_configENS1_25partition_config_selectorILNS1_17partition_subalgoE8ElNS0_10empty_typeEbEEZZNS1_14partition_implILS5_8ELb0ES3_jPlPS6_PKS6_NS0_5tupleIJS9_S6_EEENSD_IJSA_SA_EEENS0_18inequality_wrapperIZN2at6native12_GLOBAL__N_124unique_dim_cuda_templateIbEESt5tupleIJNSH_6TensorESM_SM_EERKSM_lbbbEUlllE0_EEPmJS6_EEE10hipError_tPvRmT3_T4_T5_T6_T7_T9_mT8_P12ihipStream_tbDpT10_ENKUlT_T0_E_clISt17integral_constantIbLb0EES1B_IbLb1EEEEDaS17_S18_EUlS17_E_NS1_11comp_targetILNS1_3genE8ELNS1_11target_archE1030ELNS1_3gpuE2ELNS1_3repE0EEENS1_30default_config_static_selectorELNS0_4arch9wavefront6targetE1EEEvT1_,"axG",@progbits,_ZN7rocprim17ROCPRIM_400000_NS6detail17trampoline_kernelINS0_14default_configENS1_25partition_config_selectorILNS1_17partition_subalgoE8ElNS0_10empty_typeEbEEZZNS1_14partition_implILS5_8ELb0ES3_jPlPS6_PKS6_NS0_5tupleIJS9_S6_EEENSD_IJSA_SA_EEENS0_18inequality_wrapperIZN2at6native12_GLOBAL__N_124unique_dim_cuda_templateIbEESt5tupleIJNSH_6TensorESM_SM_EERKSM_lbbbEUlllE0_EEPmJS6_EEE10hipError_tPvRmT3_T4_T5_T6_T7_T9_mT8_P12ihipStream_tbDpT10_ENKUlT_T0_E_clISt17integral_constantIbLb0EES1B_IbLb1EEEEDaS17_S18_EUlS17_E_NS1_11comp_targetILNS1_3genE8ELNS1_11target_archE1030ELNS1_3gpuE2ELNS1_3repE0EEENS1_30default_config_static_selectorELNS0_4arch9wavefront6targetE1EEEvT1_,comdat
	.globl	_ZN7rocprim17ROCPRIM_400000_NS6detail17trampoline_kernelINS0_14default_configENS1_25partition_config_selectorILNS1_17partition_subalgoE8ElNS0_10empty_typeEbEEZZNS1_14partition_implILS5_8ELb0ES3_jPlPS6_PKS6_NS0_5tupleIJS9_S6_EEENSD_IJSA_SA_EEENS0_18inequality_wrapperIZN2at6native12_GLOBAL__N_124unique_dim_cuda_templateIbEESt5tupleIJNSH_6TensorESM_SM_EERKSM_lbbbEUlllE0_EEPmJS6_EEE10hipError_tPvRmT3_T4_T5_T6_T7_T9_mT8_P12ihipStream_tbDpT10_ENKUlT_T0_E_clISt17integral_constantIbLb0EES1B_IbLb1EEEEDaS17_S18_EUlS17_E_NS1_11comp_targetILNS1_3genE8ELNS1_11target_archE1030ELNS1_3gpuE2ELNS1_3repE0EEENS1_30default_config_static_selectorELNS0_4arch9wavefront6targetE1EEEvT1_ ; -- Begin function _ZN7rocprim17ROCPRIM_400000_NS6detail17trampoline_kernelINS0_14default_configENS1_25partition_config_selectorILNS1_17partition_subalgoE8ElNS0_10empty_typeEbEEZZNS1_14partition_implILS5_8ELb0ES3_jPlPS6_PKS6_NS0_5tupleIJS9_S6_EEENSD_IJSA_SA_EEENS0_18inequality_wrapperIZN2at6native12_GLOBAL__N_124unique_dim_cuda_templateIbEESt5tupleIJNSH_6TensorESM_SM_EERKSM_lbbbEUlllE0_EEPmJS6_EEE10hipError_tPvRmT3_T4_T5_T6_T7_T9_mT8_P12ihipStream_tbDpT10_ENKUlT_T0_E_clISt17integral_constantIbLb0EES1B_IbLb1EEEEDaS17_S18_EUlS17_E_NS1_11comp_targetILNS1_3genE8ELNS1_11target_archE1030ELNS1_3gpuE2ELNS1_3repE0EEENS1_30default_config_static_selectorELNS0_4arch9wavefront6targetE1EEEvT1_
	.p2align	8
	.type	_ZN7rocprim17ROCPRIM_400000_NS6detail17trampoline_kernelINS0_14default_configENS1_25partition_config_selectorILNS1_17partition_subalgoE8ElNS0_10empty_typeEbEEZZNS1_14partition_implILS5_8ELb0ES3_jPlPS6_PKS6_NS0_5tupleIJS9_S6_EEENSD_IJSA_SA_EEENS0_18inequality_wrapperIZN2at6native12_GLOBAL__N_124unique_dim_cuda_templateIbEESt5tupleIJNSH_6TensorESM_SM_EERKSM_lbbbEUlllE0_EEPmJS6_EEE10hipError_tPvRmT3_T4_T5_T6_T7_T9_mT8_P12ihipStream_tbDpT10_ENKUlT_T0_E_clISt17integral_constantIbLb0EES1B_IbLb1EEEEDaS17_S18_EUlS17_E_NS1_11comp_targetILNS1_3genE8ELNS1_11target_archE1030ELNS1_3gpuE2ELNS1_3repE0EEENS1_30default_config_static_selectorELNS0_4arch9wavefront6targetE1EEEvT1_,@function
_ZN7rocprim17ROCPRIM_400000_NS6detail17trampoline_kernelINS0_14default_configENS1_25partition_config_selectorILNS1_17partition_subalgoE8ElNS0_10empty_typeEbEEZZNS1_14partition_implILS5_8ELb0ES3_jPlPS6_PKS6_NS0_5tupleIJS9_S6_EEENSD_IJSA_SA_EEENS0_18inequality_wrapperIZN2at6native12_GLOBAL__N_124unique_dim_cuda_templateIbEESt5tupleIJNSH_6TensorESM_SM_EERKSM_lbbbEUlllE0_EEPmJS6_EEE10hipError_tPvRmT3_T4_T5_T6_T7_T9_mT8_P12ihipStream_tbDpT10_ENKUlT_T0_E_clISt17integral_constantIbLb0EES1B_IbLb1EEEEDaS17_S18_EUlS17_E_NS1_11comp_targetILNS1_3genE8ELNS1_11target_archE1030ELNS1_3gpuE2ELNS1_3repE0EEENS1_30default_config_static_selectorELNS0_4arch9wavefront6targetE1EEEvT1_: ; @_ZN7rocprim17ROCPRIM_400000_NS6detail17trampoline_kernelINS0_14default_configENS1_25partition_config_selectorILNS1_17partition_subalgoE8ElNS0_10empty_typeEbEEZZNS1_14partition_implILS5_8ELb0ES3_jPlPS6_PKS6_NS0_5tupleIJS9_S6_EEENSD_IJSA_SA_EEENS0_18inequality_wrapperIZN2at6native12_GLOBAL__N_124unique_dim_cuda_templateIbEESt5tupleIJNSH_6TensorESM_SM_EERKSM_lbbbEUlllE0_EEPmJS6_EEE10hipError_tPvRmT3_T4_T5_T6_T7_T9_mT8_P12ihipStream_tbDpT10_ENKUlT_T0_E_clISt17integral_constantIbLb0EES1B_IbLb1EEEEDaS17_S18_EUlS17_E_NS1_11comp_targetILNS1_3genE8ELNS1_11target_archE1030ELNS1_3gpuE2ELNS1_3repE0EEENS1_30default_config_static_selectorELNS0_4arch9wavefront6targetE1EEEvT1_
; %bb.0:
	.section	.rodata,"a",@progbits
	.p2align	6, 0x0
	.amdhsa_kernel _ZN7rocprim17ROCPRIM_400000_NS6detail17trampoline_kernelINS0_14default_configENS1_25partition_config_selectorILNS1_17partition_subalgoE8ElNS0_10empty_typeEbEEZZNS1_14partition_implILS5_8ELb0ES3_jPlPS6_PKS6_NS0_5tupleIJS9_S6_EEENSD_IJSA_SA_EEENS0_18inequality_wrapperIZN2at6native12_GLOBAL__N_124unique_dim_cuda_templateIbEESt5tupleIJNSH_6TensorESM_SM_EERKSM_lbbbEUlllE0_EEPmJS6_EEE10hipError_tPvRmT3_T4_T5_T6_T7_T9_mT8_P12ihipStream_tbDpT10_ENKUlT_T0_E_clISt17integral_constantIbLb0EES1B_IbLb1EEEEDaS17_S18_EUlS17_E_NS1_11comp_targetILNS1_3genE8ELNS1_11target_archE1030ELNS1_3gpuE2ELNS1_3repE0EEENS1_30default_config_static_selectorELNS0_4arch9wavefront6targetE1EEEvT1_
		.amdhsa_group_segment_fixed_size 0
		.amdhsa_private_segment_fixed_size 0
		.amdhsa_kernarg_size 136
		.amdhsa_user_sgpr_count 6
		.amdhsa_user_sgpr_private_segment_buffer 1
		.amdhsa_user_sgpr_dispatch_ptr 0
		.amdhsa_user_sgpr_queue_ptr 0
		.amdhsa_user_sgpr_kernarg_segment_ptr 1
		.amdhsa_user_sgpr_dispatch_id 0
		.amdhsa_user_sgpr_flat_scratch_init 0
		.amdhsa_user_sgpr_kernarg_preload_length 0
		.amdhsa_user_sgpr_kernarg_preload_offset 0
		.amdhsa_user_sgpr_private_segment_size 0
		.amdhsa_uses_dynamic_stack 0
		.amdhsa_system_sgpr_private_segment_wavefront_offset 0
		.amdhsa_system_sgpr_workgroup_id_x 1
		.amdhsa_system_sgpr_workgroup_id_y 0
		.amdhsa_system_sgpr_workgroup_id_z 0
		.amdhsa_system_sgpr_workgroup_info 0
		.amdhsa_system_vgpr_workitem_id 0
		.amdhsa_next_free_vgpr 1
		.amdhsa_next_free_sgpr 0
		.amdhsa_accum_offset 4
		.amdhsa_reserve_vcc 0
		.amdhsa_reserve_flat_scratch 0
		.amdhsa_float_round_mode_32 0
		.amdhsa_float_round_mode_16_64 0
		.amdhsa_float_denorm_mode_32 3
		.amdhsa_float_denorm_mode_16_64 3
		.amdhsa_dx10_clamp 1
		.amdhsa_ieee_mode 1
		.amdhsa_fp16_overflow 0
		.amdhsa_tg_split 0
		.amdhsa_exception_fp_ieee_invalid_op 0
		.amdhsa_exception_fp_denorm_src 0
		.amdhsa_exception_fp_ieee_div_zero 0
		.amdhsa_exception_fp_ieee_overflow 0
		.amdhsa_exception_fp_ieee_underflow 0
		.amdhsa_exception_fp_ieee_inexact 0
		.amdhsa_exception_int_div_zero 0
	.end_amdhsa_kernel
	.section	.text._ZN7rocprim17ROCPRIM_400000_NS6detail17trampoline_kernelINS0_14default_configENS1_25partition_config_selectorILNS1_17partition_subalgoE8ElNS0_10empty_typeEbEEZZNS1_14partition_implILS5_8ELb0ES3_jPlPS6_PKS6_NS0_5tupleIJS9_S6_EEENSD_IJSA_SA_EEENS0_18inequality_wrapperIZN2at6native12_GLOBAL__N_124unique_dim_cuda_templateIbEESt5tupleIJNSH_6TensorESM_SM_EERKSM_lbbbEUlllE0_EEPmJS6_EEE10hipError_tPvRmT3_T4_T5_T6_T7_T9_mT8_P12ihipStream_tbDpT10_ENKUlT_T0_E_clISt17integral_constantIbLb0EES1B_IbLb1EEEEDaS17_S18_EUlS17_E_NS1_11comp_targetILNS1_3genE8ELNS1_11target_archE1030ELNS1_3gpuE2ELNS1_3repE0EEENS1_30default_config_static_selectorELNS0_4arch9wavefront6targetE1EEEvT1_,"axG",@progbits,_ZN7rocprim17ROCPRIM_400000_NS6detail17trampoline_kernelINS0_14default_configENS1_25partition_config_selectorILNS1_17partition_subalgoE8ElNS0_10empty_typeEbEEZZNS1_14partition_implILS5_8ELb0ES3_jPlPS6_PKS6_NS0_5tupleIJS9_S6_EEENSD_IJSA_SA_EEENS0_18inequality_wrapperIZN2at6native12_GLOBAL__N_124unique_dim_cuda_templateIbEESt5tupleIJNSH_6TensorESM_SM_EERKSM_lbbbEUlllE0_EEPmJS6_EEE10hipError_tPvRmT3_T4_T5_T6_T7_T9_mT8_P12ihipStream_tbDpT10_ENKUlT_T0_E_clISt17integral_constantIbLb0EES1B_IbLb1EEEEDaS17_S18_EUlS17_E_NS1_11comp_targetILNS1_3genE8ELNS1_11target_archE1030ELNS1_3gpuE2ELNS1_3repE0EEENS1_30default_config_static_selectorELNS0_4arch9wavefront6targetE1EEEvT1_,comdat
.Lfunc_end1082:
	.size	_ZN7rocprim17ROCPRIM_400000_NS6detail17trampoline_kernelINS0_14default_configENS1_25partition_config_selectorILNS1_17partition_subalgoE8ElNS0_10empty_typeEbEEZZNS1_14partition_implILS5_8ELb0ES3_jPlPS6_PKS6_NS0_5tupleIJS9_S6_EEENSD_IJSA_SA_EEENS0_18inequality_wrapperIZN2at6native12_GLOBAL__N_124unique_dim_cuda_templateIbEESt5tupleIJNSH_6TensorESM_SM_EERKSM_lbbbEUlllE0_EEPmJS6_EEE10hipError_tPvRmT3_T4_T5_T6_T7_T9_mT8_P12ihipStream_tbDpT10_ENKUlT_T0_E_clISt17integral_constantIbLb0EES1B_IbLb1EEEEDaS17_S18_EUlS17_E_NS1_11comp_targetILNS1_3genE8ELNS1_11target_archE1030ELNS1_3gpuE2ELNS1_3repE0EEENS1_30default_config_static_selectorELNS0_4arch9wavefront6targetE1EEEvT1_, .Lfunc_end1082-_ZN7rocprim17ROCPRIM_400000_NS6detail17trampoline_kernelINS0_14default_configENS1_25partition_config_selectorILNS1_17partition_subalgoE8ElNS0_10empty_typeEbEEZZNS1_14partition_implILS5_8ELb0ES3_jPlPS6_PKS6_NS0_5tupleIJS9_S6_EEENSD_IJSA_SA_EEENS0_18inequality_wrapperIZN2at6native12_GLOBAL__N_124unique_dim_cuda_templateIbEESt5tupleIJNSH_6TensorESM_SM_EERKSM_lbbbEUlllE0_EEPmJS6_EEE10hipError_tPvRmT3_T4_T5_T6_T7_T9_mT8_P12ihipStream_tbDpT10_ENKUlT_T0_E_clISt17integral_constantIbLb0EES1B_IbLb1EEEEDaS17_S18_EUlS17_E_NS1_11comp_targetILNS1_3genE8ELNS1_11target_archE1030ELNS1_3gpuE2ELNS1_3repE0EEENS1_30default_config_static_selectorELNS0_4arch9wavefront6targetE1EEEvT1_
                                        ; -- End function
	.section	.AMDGPU.csdata,"",@progbits
; Kernel info:
; codeLenInByte = 0
; NumSgprs: 4
; NumVgprs: 0
; NumAgprs: 0
; TotalNumVgprs: 0
; ScratchSize: 0
; MemoryBound: 0
; FloatMode: 240
; IeeeMode: 1
; LDSByteSize: 0 bytes/workgroup (compile time only)
; SGPRBlocks: 0
; VGPRBlocks: 0
; NumSGPRsForWavesPerEU: 4
; NumVGPRsForWavesPerEU: 1
; AccumOffset: 4
; Occupancy: 8
; WaveLimiterHint : 0
; COMPUTE_PGM_RSRC2:SCRATCH_EN: 0
; COMPUTE_PGM_RSRC2:USER_SGPR: 6
; COMPUTE_PGM_RSRC2:TRAP_HANDLER: 0
; COMPUTE_PGM_RSRC2:TGID_X_EN: 1
; COMPUTE_PGM_RSRC2:TGID_Y_EN: 0
; COMPUTE_PGM_RSRC2:TGID_Z_EN: 0
; COMPUTE_PGM_RSRC2:TIDIG_COMP_CNT: 0
; COMPUTE_PGM_RSRC3_GFX90A:ACCUM_OFFSET: 0
; COMPUTE_PGM_RSRC3_GFX90A:TG_SPLIT: 0
	.section	.text._ZN7rocprim17ROCPRIM_400000_NS6detail17trampoline_kernelINS0_14default_configENS1_25partition_config_selectorILNS1_17partition_subalgoE9EllbEEZZNS1_14partition_implILS5_9ELb0ES3_jPlS8_PNS0_10empty_typeENS0_5tupleIJS8_S9_EEENSB_IJS8_SA_EEENS0_18inequality_wrapperIZN2at6native12_GLOBAL__N_124unique_dim_cuda_templateIbEESt5tupleIJNSF_6TensorESK_SK_EERKSK_lbbbEUlllE0_EEPmJS9_EEE10hipError_tPvRmT3_T4_T5_T6_T7_T9_mT8_P12ihipStream_tbDpT10_ENKUlT_T0_E_clISt17integral_constantIbLb0EES1A_EEDaS15_S16_EUlS15_E_NS1_11comp_targetILNS1_3genE0ELNS1_11target_archE4294967295ELNS1_3gpuE0ELNS1_3repE0EEENS1_30default_config_static_selectorELNS0_4arch9wavefront6targetE1EEEvT1_,"axG",@progbits,_ZN7rocprim17ROCPRIM_400000_NS6detail17trampoline_kernelINS0_14default_configENS1_25partition_config_selectorILNS1_17partition_subalgoE9EllbEEZZNS1_14partition_implILS5_9ELb0ES3_jPlS8_PNS0_10empty_typeENS0_5tupleIJS8_S9_EEENSB_IJS8_SA_EEENS0_18inequality_wrapperIZN2at6native12_GLOBAL__N_124unique_dim_cuda_templateIbEESt5tupleIJNSF_6TensorESK_SK_EERKSK_lbbbEUlllE0_EEPmJS9_EEE10hipError_tPvRmT3_T4_T5_T6_T7_T9_mT8_P12ihipStream_tbDpT10_ENKUlT_T0_E_clISt17integral_constantIbLb0EES1A_EEDaS15_S16_EUlS15_E_NS1_11comp_targetILNS1_3genE0ELNS1_11target_archE4294967295ELNS1_3gpuE0ELNS1_3repE0EEENS1_30default_config_static_selectorELNS0_4arch9wavefront6targetE1EEEvT1_,comdat
	.globl	_ZN7rocprim17ROCPRIM_400000_NS6detail17trampoline_kernelINS0_14default_configENS1_25partition_config_selectorILNS1_17partition_subalgoE9EllbEEZZNS1_14partition_implILS5_9ELb0ES3_jPlS8_PNS0_10empty_typeENS0_5tupleIJS8_S9_EEENSB_IJS8_SA_EEENS0_18inequality_wrapperIZN2at6native12_GLOBAL__N_124unique_dim_cuda_templateIbEESt5tupleIJNSF_6TensorESK_SK_EERKSK_lbbbEUlllE0_EEPmJS9_EEE10hipError_tPvRmT3_T4_T5_T6_T7_T9_mT8_P12ihipStream_tbDpT10_ENKUlT_T0_E_clISt17integral_constantIbLb0EES1A_EEDaS15_S16_EUlS15_E_NS1_11comp_targetILNS1_3genE0ELNS1_11target_archE4294967295ELNS1_3gpuE0ELNS1_3repE0EEENS1_30default_config_static_selectorELNS0_4arch9wavefront6targetE1EEEvT1_ ; -- Begin function _ZN7rocprim17ROCPRIM_400000_NS6detail17trampoline_kernelINS0_14default_configENS1_25partition_config_selectorILNS1_17partition_subalgoE9EllbEEZZNS1_14partition_implILS5_9ELb0ES3_jPlS8_PNS0_10empty_typeENS0_5tupleIJS8_S9_EEENSB_IJS8_SA_EEENS0_18inequality_wrapperIZN2at6native12_GLOBAL__N_124unique_dim_cuda_templateIbEESt5tupleIJNSF_6TensorESK_SK_EERKSK_lbbbEUlllE0_EEPmJS9_EEE10hipError_tPvRmT3_T4_T5_T6_T7_T9_mT8_P12ihipStream_tbDpT10_ENKUlT_T0_E_clISt17integral_constantIbLb0EES1A_EEDaS15_S16_EUlS15_E_NS1_11comp_targetILNS1_3genE0ELNS1_11target_archE4294967295ELNS1_3gpuE0ELNS1_3repE0EEENS1_30default_config_static_selectorELNS0_4arch9wavefront6targetE1EEEvT1_
	.p2align	8
	.type	_ZN7rocprim17ROCPRIM_400000_NS6detail17trampoline_kernelINS0_14default_configENS1_25partition_config_selectorILNS1_17partition_subalgoE9EllbEEZZNS1_14partition_implILS5_9ELb0ES3_jPlS8_PNS0_10empty_typeENS0_5tupleIJS8_S9_EEENSB_IJS8_SA_EEENS0_18inequality_wrapperIZN2at6native12_GLOBAL__N_124unique_dim_cuda_templateIbEESt5tupleIJNSF_6TensorESK_SK_EERKSK_lbbbEUlllE0_EEPmJS9_EEE10hipError_tPvRmT3_T4_T5_T6_T7_T9_mT8_P12ihipStream_tbDpT10_ENKUlT_T0_E_clISt17integral_constantIbLb0EES1A_EEDaS15_S16_EUlS15_E_NS1_11comp_targetILNS1_3genE0ELNS1_11target_archE4294967295ELNS1_3gpuE0ELNS1_3repE0EEENS1_30default_config_static_selectorELNS0_4arch9wavefront6targetE1EEEvT1_,@function
_ZN7rocprim17ROCPRIM_400000_NS6detail17trampoline_kernelINS0_14default_configENS1_25partition_config_selectorILNS1_17partition_subalgoE9EllbEEZZNS1_14partition_implILS5_9ELb0ES3_jPlS8_PNS0_10empty_typeENS0_5tupleIJS8_S9_EEENSB_IJS8_SA_EEENS0_18inequality_wrapperIZN2at6native12_GLOBAL__N_124unique_dim_cuda_templateIbEESt5tupleIJNSF_6TensorESK_SK_EERKSK_lbbbEUlllE0_EEPmJS9_EEE10hipError_tPvRmT3_T4_T5_T6_T7_T9_mT8_P12ihipStream_tbDpT10_ENKUlT_T0_E_clISt17integral_constantIbLb0EES1A_EEDaS15_S16_EUlS15_E_NS1_11comp_targetILNS1_3genE0ELNS1_11target_archE4294967295ELNS1_3gpuE0ELNS1_3repE0EEENS1_30default_config_static_selectorELNS0_4arch9wavefront6targetE1EEEvT1_: ; @_ZN7rocprim17ROCPRIM_400000_NS6detail17trampoline_kernelINS0_14default_configENS1_25partition_config_selectorILNS1_17partition_subalgoE9EllbEEZZNS1_14partition_implILS5_9ELb0ES3_jPlS8_PNS0_10empty_typeENS0_5tupleIJS8_S9_EEENSB_IJS8_SA_EEENS0_18inequality_wrapperIZN2at6native12_GLOBAL__N_124unique_dim_cuda_templateIbEESt5tupleIJNSF_6TensorESK_SK_EERKSK_lbbbEUlllE0_EEPmJS9_EEE10hipError_tPvRmT3_T4_T5_T6_T7_T9_mT8_P12ihipStream_tbDpT10_ENKUlT_T0_E_clISt17integral_constantIbLb0EES1A_EEDaS15_S16_EUlS15_E_NS1_11comp_targetILNS1_3genE0ELNS1_11target_archE4294967295ELNS1_3gpuE0ELNS1_3repE0EEENS1_30default_config_static_selectorELNS0_4arch9wavefront6targetE1EEEvT1_
; %bb.0:
	.section	.rodata,"a",@progbits
	.p2align	6, 0x0
	.amdhsa_kernel _ZN7rocprim17ROCPRIM_400000_NS6detail17trampoline_kernelINS0_14default_configENS1_25partition_config_selectorILNS1_17partition_subalgoE9EllbEEZZNS1_14partition_implILS5_9ELb0ES3_jPlS8_PNS0_10empty_typeENS0_5tupleIJS8_S9_EEENSB_IJS8_SA_EEENS0_18inequality_wrapperIZN2at6native12_GLOBAL__N_124unique_dim_cuda_templateIbEESt5tupleIJNSF_6TensorESK_SK_EERKSK_lbbbEUlllE0_EEPmJS9_EEE10hipError_tPvRmT3_T4_T5_T6_T7_T9_mT8_P12ihipStream_tbDpT10_ENKUlT_T0_E_clISt17integral_constantIbLb0EES1A_EEDaS15_S16_EUlS15_E_NS1_11comp_targetILNS1_3genE0ELNS1_11target_archE4294967295ELNS1_3gpuE0ELNS1_3repE0EEENS1_30default_config_static_selectorELNS0_4arch9wavefront6targetE1EEEvT1_
		.amdhsa_group_segment_fixed_size 0
		.amdhsa_private_segment_fixed_size 0
		.amdhsa_kernarg_size 120
		.amdhsa_user_sgpr_count 6
		.amdhsa_user_sgpr_private_segment_buffer 1
		.amdhsa_user_sgpr_dispatch_ptr 0
		.amdhsa_user_sgpr_queue_ptr 0
		.amdhsa_user_sgpr_kernarg_segment_ptr 1
		.amdhsa_user_sgpr_dispatch_id 0
		.amdhsa_user_sgpr_flat_scratch_init 0
		.amdhsa_user_sgpr_kernarg_preload_length 0
		.amdhsa_user_sgpr_kernarg_preload_offset 0
		.amdhsa_user_sgpr_private_segment_size 0
		.amdhsa_uses_dynamic_stack 0
		.amdhsa_system_sgpr_private_segment_wavefront_offset 0
		.amdhsa_system_sgpr_workgroup_id_x 1
		.amdhsa_system_sgpr_workgroup_id_y 0
		.amdhsa_system_sgpr_workgroup_id_z 0
		.amdhsa_system_sgpr_workgroup_info 0
		.amdhsa_system_vgpr_workitem_id 0
		.amdhsa_next_free_vgpr 1
		.amdhsa_next_free_sgpr 0
		.amdhsa_accum_offset 4
		.amdhsa_reserve_vcc 0
		.amdhsa_reserve_flat_scratch 0
		.amdhsa_float_round_mode_32 0
		.amdhsa_float_round_mode_16_64 0
		.amdhsa_float_denorm_mode_32 3
		.amdhsa_float_denorm_mode_16_64 3
		.amdhsa_dx10_clamp 1
		.amdhsa_ieee_mode 1
		.amdhsa_fp16_overflow 0
		.amdhsa_tg_split 0
		.amdhsa_exception_fp_ieee_invalid_op 0
		.amdhsa_exception_fp_denorm_src 0
		.amdhsa_exception_fp_ieee_div_zero 0
		.amdhsa_exception_fp_ieee_overflow 0
		.amdhsa_exception_fp_ieee_underflow 0
		.amdhsa_exception_fp_ieee_inexact 0
		.amdhsa_exception_int_div_zero 0
	.end_amdhsa_kernel
	.section	.text._ZN7rocprim17ROCPRIM_400000_NS6detail17trampoline_kernelINS0_14default_configENS1_25partition_config_selectorILNS1_17partition_subalgoE9EllbEEZZNS1_14partition_implILS5_9ELb0ES3_jPlS8_PNS0_10empty_typeENS0_5tupleIJS8_S9_EEENSB_IJS8_SA_EEENS0_18inequality_wrapperIZN2at6native12_GLOBAL__N_124unique_dim_cuda_templateIbEESt5tupleIJNSF_6TensorESK_SK_EERKSK_lbbbEUlllE0_EEPmJS9_EEE10hipError_tPvRmT3_T4_T5_T6_T7_T9_mT8_P12ihipStream_tbDpT10_ENKUlT_T0_E_clISt17integral_constantIbLb0EES1A_EEDaS15_S16_EUlS15_E_NS1_11comp_targetILNS1_3genE0ELNS1_11target_archE4294967295ELNS1_3gpuE0ELNS1_3repE0EEENS1_30default_config_static_selectorELNS0_4arch9wavefront6targetE1EEEvT1_,"axG",@progbits,_ZN7rocprim17ROCPRIM_400000_NS6detail17trampoline_kernelINS0_14default_configENS1_25partition_config_selectorILNS1_17partition_subalgoE9EllbEEZZNS1_14partition_implILS5_9ELb0ES3_jPlS8_PNS0_10empty_typeENS0_5tupleIJS8_S9_EEENSB_IJS8_SA_EEENS0_18inequality_wrapperIZN2at6native12_GLOBAL__N_124unique_dim_cuda_templateIbEESt5tupleIJNSF_6TensorESK_SK_EERKSK_lbbbEUlllE0_EEPmJS9_EEE10hipError_tPvRmT3_T4_T5_T6_T7_T9_mT8_P12ihipStream_tbDpT10_ENKUlT_T0_E_clISt17integral_constantIbLb0EES1A_EEDaS15_S16_EUlS15_E_NS1_11comp_targetILNS1_3genE0ELNS1_11target_archE4294967295ELNS1_3gpuE0ELNS1_3repE0EEENS1_30default_config_static_selectorELNS0_4arch9wavefront6targetE1EEEvT1_,comdat
.Lfunc_end1083:
	.size	_ZN7rocprim17ROCPRIM_400000_NS6detail17trampoline_kernelINS0_14default_configENS1_25partition_config_selectorILNS1_17partition_subalgoE9EllbEEZZNS1_14partition_implILS5_9ELb0ES3_jPlS8_PNS0_10empty_typeENS0_5tupleIJS8_S9_EEENSB_IJS8_SA_EEENS0_18inequality_wrapperIZN2at6native12_GLOBAL__N_124unique_dim_cuda_templateIbEESt5tupleIJNSF_6TensorESK_SK_EERKSK_lbbbEUlllE0_EEPmJS9_EEE10hipError_tPvRmT3_T4_T5_T6_T7_T9_mT8_P12ihipStream_tbDpT10_ENKUlT_T0_E_clISt17integral_constantIbLb0EES1A_EEDaS15_S16_EUlS15_E_NS1_11comp_targetILNS1_3genE0ELNS1_11target_archE4294967295ELNS1_3gpuE0ELNS1_3repE0EEENS1_30default_config_static_selectorELNS0_4arch9wavefront6targetE1EEEvT1_, .Lfunc_end1083-_ZN7rocprim17ROCPRIM_400000_NS6detail17trampoline_kernelINS0_14default_configENS1_25partition_config_selectorILNS1_17partition_subalgoE9EllbEEZZNS1_14partition_implILS5_9ELb0ES3_jPlS8_PNS0_10empty_typeENS0_5tupleIJS8_S9_EEENSB_IJS8_SA_EEENS0_18inequality_wrapperIZN2at6native12_GLOBAL__N_124unique_dim_cuda_templateIbEESt5tupleIJNSF_6TensorESK_SK_EERKSK_lbbbEUlllE0_EEPmJS9_EEE10hipError_tPvRmT3_T4_T5_T6_T7_T9_mT8_P12ihipStream_tbDpT10_ENKUlT_T0_E_clISt17integral_constantIbLb0EES1A_EEDaS15_S16_EUlS15_E_NS1_11comp_targetILNS1_3genE0ELNS1_11target_archE4294967295ELNS1_3gpuE0ELNS1_3repE0EEENS1_30default_config_static_selectorELNS0_4arch9wavefront6targetE1EEEvT1_
                                        ; -- End function
	.section	.AMDGPU.csdata,"",@progbits
; Kernel info:
; codeLenInByte = 0
; NumSgprs: 4
; NumVgprs: 0
; NumAgprs: 0
; TotalNumVgprs: 0
; ScratchSize: 0
; MemoryBound: 0
; FloatMode: 240
; IeeeMode: 1
; LDSByteSize: 0 bytes/workgroup (compile time only)
; SGPRBlocks: 0
; VGPRBlocks: 0
; NumSGPRsForWavesPerEU: 4
; NumVGPRsForWavesPerEU: 1
; AccumOffset: 4
; Occupancy: 8
; WaveLimiterHint : 0
; COMPUTE_PGM_RSRC2:SCRATCH_EN: 0
; COMPUTE_PGM_RSRC2:USER_SGPR: 6
; COMPUTE_PGM_RSRC2:TRAP_HANDLER: 0
; COMPUTE_PGM_RSRC2:TGID_X_EN: 1
; COMPUTE_PGM_RSRC2:TGID_Y_EN: 0
; COMPUTE_PGM_RSRC2:TGID_Z_EN: 0
; COMPUTE_PGM_RSRC2:TIDIG_COMP_CNT: 0
; COMPUTE_PGM_RSRC3_GFX90A:ACCUM_OFFSET: 0
; COMPUTE_PGM_RSRC3_GFX90A:TG_SPLIT: 0
	.section	.text._ZN7rocprim17ROCPRIM_400000_NS6detail17trampoline_kernelINS0_14default_configENS1_25partition_config_selectorILNS1_17partition_subalgoE9EllbEEZZNS1_14partition_implILS5_9ELb0ES3_jPlS8_PNS0_10empty_typeENS0_5tupleIJS8_S9_EEENSB_IJS8_SA_EEENS0_18inequality_wrapperIZN2at6native12_GLOBAL__N_124unique_dim_cuda_templateIbEESt5tupleIJNSF_6TensorESK_SK_EERKSK_lbbbEUlllE0_EEPmJS9_EEE10hipError_tPvRmT3_T4_T5_T6_T7_T9_mT8_P12ihipStream_tbDpT10_ENKUlT_T0_E_clISt17integral_constantIbLb0EES1A_EEDaS15_S16_EUlS15_E_NS1_11comp_targetILNS1_3genE5ELNS1_11target_archE942ELNS1_3gpuE9ELNS1_3repE0EEENS1_30default_config_static_selectorELNS0_4arch9wavefront6targetE1EEEvT1_,"axG",@progbits,_ZN7rocprim17ROCPRIM_400000_NS6detail17trampoline_kernelINS0_14default_configENS1_25partition_config_selectorILNS1_17partition_subalgoE9EllbEEZZNS1_14partition_implILS5_9ELb0ES3_jPlS8_PNS0_10empty_typeENS0_5tupleIJS8_S9_EEENSB_IJS8_SA_EEENS0_18inequality_wrapperIZN2at6native12_GLOBAL__N_124unique_dim_cuda_templateIbEESt5tupleIJNSF_6TensorESK_SK_EERKSK_lbbbEUlllE0_EEPmJS9_EEE10hipError_tPvRmT3_T4_T5_T6_T7_T9_mT8_P12ihipStream_tbDpT10_ENKUlT_T0_E_clISt17integral_constantIbLb0EES1A_EEDaS15_S16_EUlS15_E_NS1_11comp_targetILNS1_3genE5ELNS1_11target_archE942ELNS1_3gpuE9ELNS1_3repE0EEENS1_30default_config_static_selectorELNS0_4arch9wavefront6targetE1EEEvT1_,comdat
	.globl	_ZN7rocprim17ROCPRIM_400000_NS6detail17trampoline_kernelINS0_14default_configENS1_25partition_config_selectorILNS1_17partition_subalgoE9EllbEEZZNS1_14partition_implILS5_9ELb0ES3_jPlS8_PNS0_10empty_typeENS0_5tupleIJS8_S9_EEENSB_IJS8_SA_EEENS0_18inequality_wrapperIZN2at6native12_GLOBAL__N_124unique_dim_cuda_templateIbEESt5tupleIJNSF_6TensorESK_SK_EERKSK_lbbbEUlllE0_EEPmJS9_EEE10hipError_tPvRmT3_T4_T5_T6_T7_T9_mT8_P12ihipStream_tbDpT10_ENKUlT_T0_E_clISt17integral_constantIbLb0EES1A_EEDaS15_S16_EUlS15_E_NS1_11comp_targetILNS1_3genE5ELNS1_11target_archE942ELNS1_3gpuE9ELNS1_3repE0EEENS1_30default_config_static_selectorELNS0_4arch9wavefront6targetE1EEEvT1_ ; -- Begin function _ZN7rocprim17ROCPRIM_400000_NS6detail17trampoline_kernelINS0_14default_configENS1_25partition_config_selectorILNS1_17partition_subalgoE9EllbEEZZNS1_14partition_implILS5_9ELb0ES3_jPlS8_PNS0_10empty_typeENS0_5tupleIJS8_S9_EEENSB_IJS8_SA_EEENS0_18inequality_wrapperIZN2at6native12_GLOBAL__N_124unique_dim_cuda_templateIbEESt5tupleIJNSF_6TensorESK_SK_EERKSK_lbbbEUlllE0_EEPmJS9_EEE10hipError_tPvRmT3_T4_T5_T6_T7_T9_mT8_P12ihipStream_tbDpT10_ENKUlT_T0_E_clISt17integral_constantIbLb0EES1A_EEDaS15_S16_EUlS15_E_NS1_11comp_targetILNS1_3genE5ELNS1_11target_archE942ELNS1_3gpuE9ELNS1_3repE0EEENS1_30default_config_static_selectorELNS0_4arch9wavefront6targetE1EEEvT1_
	.p2align	8
	.type	_ZN7rocprim17ROCPRIM_400000_NS6detail17trampoline_kernelINS0_14default_configENS1_25partition_config_selectorILNS1_17partition_subalgoE9EllbEEZZNS1_14partition_implILS5_9ELb0ES3_jPlS8_PNS0_10empty_typeENS0_5tupleIJS8_S9_EEENSB_IJS8_SA_EEENS0_18inequality_wrapperIZN2at6native12_GLOBAL__N_124unique_dim_cuda_templateIbEESt5tupleIJNSF_6TensorESK_SK_EERKSK_lbbbEUlllE0_EEPmJS9_EEE10hipError_tPvRmT3_T4_T5_T6_T7_T9_mT8_P12ihipStream_tbDpT10_ENKUlT_T0_E_clISt17integral_constantIbLb0EES1A_EEDaS15_S16_EUlS15_E_NS1_11comp_targetILNS1_3genE5ELNS1_11target_archE942ELNS1_3gpuE9ELNS1_3repE0EEENS1_30default_config_static_selectorELNS0_4arch9wavefront6targetE1EEEvT1_,@function
_ZN7rocprim17ROCPRIM_400000_NS6detail17trampoline_kernelINS0_14default_configENS1_25partition_config_selectorILNS1_17partition_subalgoE9EllbEEZZNS1_14partition_implILS5_9ELb0ES3_jPlS8_PNS0_10empty_typeENS0_5tupleIJS8_S9_EEENSB_IJS8_SA_EEENS0_18inequality_wrapperIZN2at6native12_GLOBAL__N_124unique_dim_cuda_templateIbEESt5tupleIJNSF_6TensorESK_SK_EERKSK_lbbbEUlllE0_EEPmJS9_EEE10hipError_tPvRmT3_T4_T5_T6_T7_T9_mT8_P12ihipStream_tbDpT10_ENKUlT_T0_E_clISt17integral_constantIbLb0EES1A_EEDaS15_S16_EUlS15_E_NS1_11comp_targetILNS1_3genE5ELNS1_11target_archE942ELNS1_3gpuE9ELNS1_3repE0EEENS1_30default_config_static_selectorELNS0_4arch9wavefront6targetE1EEEvT1_: ; @_ZN7rocprim17ROCPRIM_400000_NS6detail17trampoline_kernelINS0_14default_configENS1_25partition_config_selectorILNS1_17partition_subalgoE9EllbEEZZNS1_14partition_implILS5_9ELb0ES3_jPlS8_PNS0_10empty_typeENS0_5tupleIJS8_S9_EEENSB_IJS8_SA_EEENS0_18inequality_wrapperIZN2at6native12_GLOBAL__N_124unique_dim_cuda_templateIbEESt5tupleIJNSF_6TensorESK_SK_EERKSK_lbbbEUlllE0_EEPmJS9_EEE10hipError_tPvRmT3_T4_T5_T6_T7_T9_mT8_P12ihipStream_tbDpT10_ENKUlT_T0_E_clISt17integral_constantIbLb0EES1A_EEDaS15_S16_EUlS15_E_NS1_11comp_targetILNS1_3genE5ELNS1_11target_archE942ELNS1_3gpuE9ELNS1_3repE0EEENS1_30default_config_static_selectorELNS0_4arch9wavefront6targetE1EEEvT1_
; %bb.0:
	.section	.rodata,"a",@progbits
	.p2align	6, 0x0
	.amdhsa_kernel _ZN7rocprim17ROCPRIM_400000_NS6detail17trampoline_kernelINS0_14default_configENS1_25partition_config_selectorILNS1_17partition_subalgoE9EllbEEZZNS1_14partition_implILS5_9ELb0ES3_jPlS8_PNS0_10empty_typeENS0_5tupleIJS8_S9_EEENSB_IJS8_SA_EEENS0_18inequality_wrapperIZN2at6native12_GLOBAL__N_124unique_dim_cuda_templateIbEESt5tupleIJNSF_6TensorESK_SK_EERKSK_lbbbEUlllE0_EEPmJS9_EEE10hipError_tPvRmT3_T4_T5_T6_T7_T9_mT8_P12ihipStream_tbDpT10_ENKUlT_T0_E_clISt17integral_constantIbLb0EES1A_EEDaS15_S16_EUlS15_E_NS1_11comp_targetILNS1_3genE5ELNS1_11target_archE942ELNS1_3gpuE9ELNS1_3repE0EEENS1_30default_config_static_selectorELNS0_4arch9wavefront6targetE1EEEvT1_
		.amdhsa_group_segment_fixed_size 0
		.amdhsa_private_segment_fixed_size 0
		.amdhsa_kernarg_size 120
		.amdhsa_user_sgpr_count 6
		.amdhsa_user_sgpr_private_segment_buffer 1
		.amdhsa_user_sgpr_dispatch_ptr 0
		.amdhsa_user_sgpr_queue_ptr 0
		.amdhsa_user_sgpr_kernarg_segment_ptr 1
		.amdhsa_user_sgpr_dispatch_id 0
		.amdhsa_user_sgpr_flat_scratch_init 0
		.amdhsa_user_sgpr_kernarg_preload_length 0
		.amdhsa_user_sgpr_kernarg_preload_offset 0
		.amdhsa_user_sgpr_private_segment_size 0
		.amdhsa_uses_dynamic_stack 0
		.amdhsa_system_sgpr_private_segment_wavefront_offset 0
		.amdhsa_system_sgpr_workgroup_id_x 1
		.amdhsa_system_sgpr_workgroup_id_y 0
		.amdhsa_system_sgpr_workgroup_id_z 0
		.amdhsa_system_sgpr_workgroup_info 0
		.amdhsa_system_vgpr_workitem_id 0
		.amdhsa_next_free_vgpr 1
		.amdhsa_next_free_sgpr 0
		.amdhsa_accum_offset 4
		.amdhsa_reserve_vcc 0
		.amdhsa_reserve_flat_scratch 0
		.amdhsa_float_round_mode_32 0
		.amdhsa_float_round_mode_16_64 0
		.amdhsa_float_denorm_mode_32 3
		.amdhsa_float_denorm_mode_16_64 3
		.amdhsa_dx10_clamp 1
		.amdhsa_ieee_mode 1
		.amdhsa_fp16_overflow 0
		.amdhsa_tg_split 0
		.amdhsa_exception_fp_ieee_invalid_op 0
		.amdhsa_exception_fp_denorm_src 0
		.amdhsa_exception_fp_ieee_div_zero 0
		.amdhsa_exception_fp_ieee_overflow 0
		.amdhsa_exception_fp_ieee_underflow 0
		.amdhsa_exception_fp_ieee_inexact 0
		.amdhsa_exception_int_div_zero 0
	.end_amdhsa_kernel
	.section	.text._ZN7rocprim17ROCPRIM_400000_NS6detail17trampoline_kernelINS0_14default_configENS1_25partition_config_selectorILNS1_17partition_subalgoE9EllbEEZZNS1_14partition_implILS5_9ELb0ES3_jPlS8_PNS0_10empty_typeENS0_5tupleIJS8_S9_EEENSB_IJS8_SA_EEENS0_18inequality_wrapperIZN2at6native12_GLOBAL__N_124unique_dim_cuda_templateIbEESt5tupleIJNSF_6TensorESK_SK_EERKSK_lbbbEUlllE0_EEPmJS9_EEE10hipError_tPvRmT3_T4_T5_T6_T7_T9_mT8_P12ihipStream_tbDpT10_ENKUlT_T0_E_clISt17integral_constantIbLb0EES1A_EEDaS15_S16_EUlS15_E_NS1_11comp_targetILNS1_3genE5ELNS1_11target_archE942ELNS1_3gpuE9ELNS1_3repE0EEENS1_30default_config_static_selectorELNS0_4arch9wavefront6targetE1EEEvT1_,"axG",@progbits,_ZN7rocprim17ROCPRIM_400000_NS6detail17trampoline_kernelINS0_14default_configENS1_25partition_config_selectorILNS1_17partition_subalgoE9EllbEEZZNS1_14partition_implILS5_9ELb0ES3_jPlS8_PNS0_10empty_typeENS0_5tupleIJS8_S9_EEENSB_IJS8_SA_EEENS0_18inequality_wrapperIZN2at6native12_GLOBAL__N_124unique_dim_cuda_templateIbEESt5tupleIJNSF_6TensorESK_SK_EERKSK_lbbbEUlllE0_EEPmJS9_EEE10hipError_tPvRmT3_T4_T5_T6_T7_T9_mT8_P12ihipStream_tbDpT10_ENKUlT_T0_E_clISt17integral_constantIbLb0EES1A_EEDaS15_S16_EUlS15_E_NS1_11comp_targetILNS1_3genE5ELNS1_11target_archE942ELNS1_3gpuE9ELNS1_3repE0EEENS1_30default_config_static_selectorELNS0_4arch9wavefront6targetE1EEEvT1_,comdat
.Lfunc_end1084:
	.size	_ZN7rocprim17ROCPRIM_400000_NS6detail17trampoline_kernelINS0_14default_configENS1_25partition_config_selectorILNS1_17partition_subalgoE9EllbEEZZNS1_14partition_implILS5_9ELb0ES3_jPlS8_PNS0_10empty_typeENS0_5tupleIJS8_S9_EEENSB_IJS8_SA_EEENS0_18inequality_wrapperIZN2at6native12_GLOBAL__N_124unique_dim_cuda_templateIbEESt5tupleIJNSF_6TensorESK_SK_EERKSK_lbbbEUlllE0_EEPmJS9_EEE10hipError_tPvRmT3_T4_T5_T6_T7_T9_mT8_P12ihipStream_tbDpT10_ENKUlT_T0_E_clISt17integral_constantIbLb0EES1A_EEDaS15_S16_EUlS15_E_NS1_11comp_targetILNS1_3genE5ELNS1_11target_archE942ELNS1_3gpuE9ELNS1_3repE0EEENS1_30default_config_static_selectorELNS0_4arch9wavefront6targetE1EEEvT1_, .Lfunc_end1084-_ZN7rocprim17ROCPRIM_400000_NS6detail17trampoline_kernelINS0_14default_configENS1_25partition_config_selectorILNS1_17partition_subalgoE9EllbEEZZNS1_14partition_implILS5_9ELb0ES3_jPlS8_PNS0_10empty_typeENS0_5tupleIJS8_S9_EEENSB_IJS8_SA_EEENS0_18inequality_wrapperIZN2at6native12_GLOBAL__N_124unique_dim_cuda_templateIbEESt5tupleIJNSF_6TensorESK_SK_EERKSK_lbbbEUlllE0_EEPmJS9_EEE10hipError_tPvRmT3_T4_T5_T6_T7_T9_mT8_P12ihipStream_tbDpT10_ENKUlT_T0_E_clISt17integral_constantIbLb0EES1A_EEDaS15_S16_EUlS15_E_NS1_11comp_targetILNS1_3genE5ELNS1_11target_archE942ELNS1_3gpuE9ELNS1_3repE0EEENS1_30default_config_static_selectorELNS0_4arch9wavefront6targetE1EEEvT1_
                                        ; -- End function
	.section	.AMDGPU.csdata,"",@progbits
; Kernel info:
; codeLenInByte = 0
; NumSgprs: 4
; NumVgprs: 0
; NumAgprs: 0
; TotalNumVgprs: 0
; ScratchSize: 0
; MemoryBound: 0
; FloatMode: 240
; IeeeMode: 1
; LDSByteSize: 0 bytes/workgroup (compile time only)
; SGPRBlocks: 0
; VGPRBlocks: 0
; NumSGPRsForWavesPerEU: 4
; NumVGPRsForWavesPerEU: 1
; AccumOffset: 4
; Occupancy: 8
; WaveLimiterHint : 0
; COMPUTE_PGM_RSRC2:SCRATCH_EN: 0
; COMPUTE_PGM_RSRC2:USER_SGPR: 6
; COMPUTE_PGM_RSRC2:TRAP_HANDLER: 0
; COMPUTE_PGM_RSRC2:TGID_X_EN: 1
; COMPUTE_PGM_RSRC2:TGID_Y_EN: 0
; COMPUTE_PGM_RSRC2:TGID_Z_EN: 0
; COMPUTE_PGM_RSRC2:TIDIG_COMP_CNT: 0
; COMPUTE_PGM_RSRC3_GFX90A:ACCUM_OFFSET: 0
; COMPUTE_PGM_RSRC3_GFX90A:TG_SPLIT: 0
	.section	.text._ZN7rocprim17ROCPRIM_400000_NS6detail17trampoline_kernelINS0_14default_configENS1_25partition_config_selectorILNS1_17partition_subalgoE9EllbEEZZNS1_14partition_implILS5_9ELb0ES3_jPlS8_PNS0_10empty_typeENS0_5tupleIJS8_S9_EEENSB_IJS8_SA_EEENS0_18inequality_wrapperIZN2at6native12_GLOBAL__N_124unique_dim_cuda_templateIbEESt5tupleIJNSF_6TensorESK_SK_EERKSK_lbbbEUlllE0_EEPmJS9_EEE10hipError_tPvRmT3_T4_T5_T6_T7_T9_mT8_P12ihipStream_tbDpT10_ENKUlT_T0_E_clISt17integral_constantIbLb0EES1A_EEDaS15_S16_EUlS15_E_NS1_11comp_targetILNS1_3genE4ELNS1_11target_archE910ELNS1_3gpuE8ELNS1_3repE0EEENS1_30default_config_static_selectorELNS0_4arch9wavefront6targetE1EEEvT1_,"axG",@progbits,_ZN7rocprim17ROCPRIM_400000_NS6detail17trampoline_kernelINS0_14default_configENS1_25partition_config_selectorILNS1_17partition_subalgoE9EllbEEZZNS1_14partition_implILS5_9ELb0ES3_jPlS8_PNS0_10empty_typeENS0_5tupleIJS8_S9_EEENSB_IJS8_SA_EEENS0_18inequality_wrapperIZN2at6native12_GLOBAL__N_124unique_dim_cuda_templateIbEESt5tupleIJNSF_6TensorESK_SK_EERKSK_lbbbEUlllE0_EEPmJS9_EEE10hipError_tPvRmT3_T4_T5_T6_T7_T9_mT8_P12ihipStream_tbDpT10_ENKUlT_T0_E_clISt17integral_constantIbLb0EES1A_EEDaS15_S16_EUlS15_E_NS1_11comp_targetILNS1_3genE4ELNS1_11target_archE910ELNS1_3gpuE8ELNS1_3repE0EEENS1_30default_config_static_selectorELNS0_4arch9wavefront6targetE1EEEvT1_,comdat
	.globl	_ZN7rocprim17ROCPRIM_400000_NS6detail17trampoline_kernelINS0_14default_configENS1_25partition_config_selectorILNS1_17partition_subalgoE9EllbEEZZNS1_14partition_implILS5_9ELb0ES3_jPlS8_PNS0_10empty_typeENS0_5tupleIJS8_S9_EEENSB_IJS8_SA_EEENS0_18inequality_wrapperIZN2at6native12_GLOBAL__N_124unique_dim_cuda_templateIbEESt5tupleIJNSF_6TensorESK_SK_EERKSK_lbbbEUlllE0_EEPmJS9_EEE10hipError_tPvRmT3_T4_T5_T6_T7_T9_mT8_P12ihipStream_tbDpT10_ENKUlT_T0_E_clISt17integral_constantIbLb0EES1A_EEDaS15_S16_EUlS15_E_NS1_11comp_targetILNS1_3genE4ELNS1_11target_archE910ELNS1_3gpuE8ELNS1_3repE0EEENS1_30default_config_static_selectorELNS0_4arch9wavefront6targetE1EEEvT1_ ; -- Begin function _ZN7rocprim17ROCPRIM_400000_NS6detail17trampoline_kernelINS0_14default_configENS1_25partition_config_selectorILNS1_17partition_subalgoE9EllbEEZZNS1_14partition_implILS5_9ELb0ES3_jPlS8_PNS0_10empty_typeENS0_5tupleIJS8_S9_EEENSB_IJS8_SA_EEENS0_18inequality_wrapperIZN2at6native12_GLOBAL__N_124unique_dim_cuda_templateIbEESt5tupleIJNSF_6TensorESK_SK_EERKSK_lbbbEUlllE0_EEPmJS9_EEE10hipError_tPvRmT3_T4_T5_T6_T7_T9_mT8_P12ihipStream_tbDpT10_ENKUlT_T0_E_clISt17integral_constantIbLb0EES1A_EEDaS15_S16_EUlS15_E_NS1_11comp_targetILNS1_3genE4ELNS1_11target_archE910ELNS1_3gpuE8ELNS1_3repE0EEENS1_30default_config_static_selectorELNS0_4arch9wavefront6targetE1EEEvT1_
	.p2align	8
	.type	_ZN7rocprim17ROCPRIM_400000_NS6detail17trampoline_kernelINS0_14default_configENS1_25partition_config_selectorILNS1_17partition_subalgoE9EllbEEZZNS1_14partition_implILS5_9ELb0ES3_jPlS8_PNS0_10empty_typeENS0_5tupleIJS8_S9_EEENSB_IJS8_SA_EEENS0_18inequality_wrapperIZN2at6native12_GLOBAL__N_124unique_dim_cuda_templateIbEESt5tupleIJNSF_6TensorESK_SK_EERKSK_lbbbEUlllE0_EEPmJS9_EEE10hipError_tPvRmT3_T4_T5_T6_T7_T9_mT8_P12ihipStream_tbDpT10_ENKUlT_T0_E_clISt17integral_constantIbLb0EES1A_EEDaS15_S16_EUlS15_E_NS1_11comp_targetILNS1_3genE4ELNS1_11target_archE910ELNS1_3gpuE8ELNS1_3repE0EEENS1_30default_config_static_selectorELNS0_4arch9wavefront6targetE1EEEvT1_,@function
_ZN7rocprim17ROCPRIM_400000_NS6detail17trampoline_kernelINS0_14default_configENS1_25partition_config_selectorILNS1_17partition_subalgoE9EllbEEZZNS1_14partition_implILS5_9ELb0ES3_jPlS8_PNS0_10empty_typeENS0_5tupleIJS8_S9_EEENSB_IJS8_SA_EEENS0_18inequality_wrapperIZN2at6native12_GLOBAL__N_124unique_dim_cuda_templateIbEESt5tupleIJNSF_6TensorESK_SK_EERKSK_lbbbEUlllE0_EEPmJS9_EEE10hipError_tPvRmT3_T4_T5_T6_T7_T9_mT8_P12ihipStream_tbDpT10_ENKUlT_T0_E_clISt17integral_constantIbLb0EES1A_EEDaS15_S16_EUlS15_E_NS1_11comp_targetILNS1_3genE4ELNS1_11target_archE910ELNS1_3gpuE8ELNS1_3repE0EEENS1_30default_config_static_selectorELNS0_4arch9wavefront6targetE1EEEvT1_: ; @_ZN7rocprim17ROCPRIM_400000_NS6detail17trampoline_kernelINS0_14default_configENS1_25partition_config_selectorILNS1_17partition_subalgoE9EllbEEZZNS1_14partition_implILS5_9ELb0ES3_jPlS8_PNS0_10empty_typeENS0_5tupleIJS8_S9_EEENSB_IJS8_SA_EEENS0_18inequality_wrapperIZN2at6native12_GLOBAL__N_124unique_dim_cuda_templateIbEESt5tupleIJNSF_6TensorESK_SK_EERKSK_lbbbEUlllE0_EEPmJS9_EEE10hipError_tPvRmT3_T4_T5_T6_T7_T9_mT8_P12ihipStream_tbDpT10_ENKUlT_T0_E_clISt17integral_constantIbLb0EES1A_EEDaS15_S16_EUlS15_E_NS1_11comp_targetILNS1_3genE4ELNS1_11target_archE910ELNS1_3gpuE8ELNS1_3repE0EEENS1_30default_config_static_selectorELNS0_4arch9wavefront6targetE1EEEvT1_
; %bb.0:
	s_load_dwordx8 s[20:27], s[4:5], 0x40
	s_load_dwordx4 s[0:3], s[4:5], 0x8
	s_load_dwordx2 s[12:13], s[4:5], 0x18
	s_load_dword s9, s[4:5], 0x70
	v_lshrrev_b32_e32 v18, 2, v0
	s_waitcnt lgkmcnt(0)
	v_mov_b32_e32 v2, s24
	s_lshl_b64 s[14:15], s[2:3], 3
	s_add_u32 s18, s0, s14
	s_addc_u32 s19, s1, s15
	s_add_i32 s10, s9, -1
	s_lshl_b32 s0, s10, 9
	s_add_i32 s0, s2, s0
	s_lshl_b32 s8, s6, 9
	s_sub_i32 s7, s24, s0
	s_lshl_b32 s0, s9, 9
	s_add_u32 s0, s2, s0
	s_addc_u32 s1, s3, 0
	v_mov_b32_e32 v3, s25
	s_cmp_eq_u32 s6, s10
	s_load_dwordx2 s[22:23], s[22:23], 0x0
	v_cmp_ge_u64_e32 vcc, s[0:1], v[2:3]
	s_cselect_b64 s[24:25], -1, 0
	s_mov_b32 s9, 0
	s_and_b64 s[10:11], s[24:25], vcc
	s_xor_b64 s[34:35], s[10:11], -1
	s_lshl_b64 s[16:17], s[8:9], 3
	s_add_u32 s8, s18, s16
	s_mov_b64 s[0:1], -1
	s_addc_u32 s9, s19, s17
	s_and_b64 vcc, exec, s[34:35]
	s_cbranch_vccz .LBB1085_2
; %bb.1:
	v_lshlrev_b32_e32 v1, 3, v0
	global_load_dwordx2 v[2:3], v1, s[8:9]
	global_load_dwordx2 v[4:5], v1, s[8:9] offset:1024
	global_load_dwordx2 v[6:7], v1, s[8:9] offset:2048
	;; [unrolled: 1-line block ×3, first 2 shown]
	v_or_b32_e32 v11, 0x80, v0
	v_or_b32_e32 v12, 0x100, v0
	;; [unrolled: 1-line block ×3, first 2 shown]
	v_and_b32_e32 v10, 24, v18
	v_lshrrev_b32_e32 v11, 2, v11
	v_lshrrev_b32_e32 v12, 2, v12
	;; [unrolled: 1-line block ×3, first 2 shown]
	v_add_u32_e32 v10, v10, v1
	v_and_b32_e32 v11, 56, v11
	v_and_b32_e32 v12, 0x58, v12
	;; [unrolled: 1-line block ×3, first 2 shown]
	v_add_u32_e32 v11, v11, v1
	v_add_u32_e32 v12, v12, v1
	;; [unrolled: 1-line block ×3, first 2 shown]
	s_mov_b64 s[0:1], 0
	s_waitcnt vmcnt(3)
	ds_write_b64 v10, v[2:3]
	s_waitcnt vmcnt(2)
	ds_write_b64 v11, v[4:5] offset:1024
	s_waitcnt vmcnt(1)
	ds_write_b64 v12, v[6:7] offset:2048
	;; [unrolled: 2-line block ×3, first 2 shown]
	s_waitcnt lgkmcnt(0)
	s_barrier
.LBB1085_2:
	s_load_dwordx4 s[28:31], s[4:5], 0x60
	s_andn2_b64 vcc, exec, s[0:1]
	v_cmp_gt_u32_e64 s[0:1], s7, v0
	s_cbranch_vccnz .LBB1085_12
; %bb.3:
                                        ; implicit-def: $vgpr2_vgpr3_vgpr4_vgpr5_vgpr6_vgpr7_vgpr8_vgpr9
	s_and_saveexec_b64 s[18:19], s[0:1]
	s_cbranch_execz .LBB1085_5
; %bb.4:
	v_lshlrev_b32_e32 v1, 3, v0
	global_load_dwordx2 v[2:3], v1, s[8:9]
.LBB1085_5:
	s_or_b64 exec, exec, s[18:19]
	v_or_b32_e32 v1, 0x80, v0
	v_cmp_gt_u32_e32 vcc, s7, v1
	s_and_saveexec_b64 s[0:1], vcc
	s_cbranch_execz .LBB1085_7
; %bb.6:
	v_lshlrev_b32_e32 v4, 3, v0
	global_load_dwordx2 v[4:5], v4, s[8:9] offset:1024
.LBB1085_7:
	s_or_b64 exec, exec, s[0:1]
	v_or_b32_e32 v10, 0x100, v0
	v_cmp_gt_u32_e32 vcc, s7, v10
	s_and_saveexec_b64 s[0:1], vcc
	s_cbranch_execz .LBB1085_9
; %bb.8:
	v_lshlrev_b32_e32 v6, 3, v0
	global_load_dwordx2 v[6:7], v6, s[8:9] offset:2048
.LBB1085_9:
	s_or_b64 exec, exec, s[0:1]
	v_or_b32_e32 v11, 0x180, v0
	v_cmp_gt_u32_e32 vcc, s7, v11
	s_and_saveexec_b64 s[0:1], vcc
	s_cbranch_execz .LBB1085_11
; %bb.10:
	v_lshlrev_b32_e32 v8, 3, v0
	global_load_dwordx2 v[8:9], v8, s[8:9] offset:3072
.LBB1085_11:
	s_or_b64 exec, exec, s[0:1]
	v_lshrrev_b32_e32 v1, 2, v1
	v_lshlrev_b32_e32 v13, 3, v0
	v_and_b32_e32 v1, 56, v1
	v_add_u32_e32 v1, v1, v13
	s_waitcnt vmcnt(0)
	ds_write_b64 v1, v[4:5] offset:1024
	v_lshrrev_b32_e32 v1, 2, v10
	v_and_b32_e32 v1, 0x78, v1
	v_add_u32_e32 v1, v1, v13
	ds_write_b64 v1, v[6:7] offset:2048
	v_lshrrev_b32_e32 v1, 2, v11
	v_and_b32_e32 v12, 24, v18
	v_and_b32_e32 v1, 0x78, v1
	v_add_u32_e32 v12, v12, v13
	v_add_u32_e32 v1, v1, v13
	ds_write_b64 v12, v[2:3]
	ds_write_b64 v1, v[8:9] offset:3072
	s_waitcnt lgkmcnt(0)
	s_barrier
.LBB1085_12:
	v_lshlrev_b32_e32 v1, 2, v0
	v_lshrrev_b32_e32 v2, 3, v0
	v_add_lshl_u32 v19, v2, v1, 3
	s_waitcnt lgkmcnt(0)
	ds_read2_b64 v[14:17], v19 offset1:1
	ds_read2_b64 v[10:13], v19 offset0:2 offset1:3
	s_add_u32 s0, s12, s14
	s_addc_u32 s1, s13, s15
	s_add_u32 s0, s0, s16
	s_addc_u32 s1, s1, s17
	s_mov_b64 s[12:13], -1
	s_and_b64 vcc, exec, s[34:35]
	s_waitcnt lgkmcnt(0)
	s_barrier
	s_cbranch_vccz .LBB1085_14
; %bb.13:
	v_lshlrev_b32_e32 v20, 3, v0
	global_load_dwordx2 v[2:3], v20, s[0:1]
	global_load_dwordx2 v[4:5], v20, s[0:1] offset:1024
	global_load_dwordx2 v[6:7], v20, s[0:1] offset:2048
	;; [unrolled: 1-line block ×3, first 2 shown]
	v_or_b32_e32 v22, 0x80, v0
	v_or_b32_e32 v23, 0x100, v0
	v_or_b32_e32 v24, 0x180, v0
	v_and_b32_e32 v21, 24, v18
	v_lshrrev_b32_e32 v22, 2, v22
	v_lshrrev_b32_e32 v23, 2, v23
	;; [unrolled: 1-line block ×3, first 2 shown]
	v_add_u32_e32 v21, v21, v20
	v_and_b32_e32 v22, 56, v22
	v_and_b32_e32 v23, 0x58, v23
	;; [unrolled: 1-line block ×3, first 2 shown]
	v_add_u32_e32 v22, v22, v20
	v_add_u32_e32 v23, v23, v20
	;; [unrolled: 1-line block ×3, first 2 shown]
	s_mov_b64 s[12:13], 0
	s_waitcnt vmcnt(3)
	ds_write_b64 v21, v[2:3]
	s_waitcnt vmcnt(2)
	ds_write_b64 v22, v[4:5] offset:1024
	s_waitcnt vmcnt(1)
	ds_write_b64 v23, v[6:7] offset:2048
	;; [unrolled: 2-line block ×3, first 2 shown]
	s_waitcnt lgkmcnt(0)
	s_barrier
.LBB1085_14:
	s_andn2_b64 vcc, exec, s[12:13]
	s_cbranch_vccnz .LBB1085_24
; %bb.15:
	v_cmp_gt_u32_e32 vcc, s7, v0
                                        ; implicit-def: $vgpr2_vgpr3
	s_and_saveexec_b64 s[12:13], vcc
	s_cbranch_execz .LBB1085_17
; %bb.16:
	v_lshlrev_b32_e32 v2, 3, v0
	global_load_dwordx2 v[2:3], v2, s[0:1]
.LBB1085_17:
	s_or_b64 exec, exec, s[12:13]
	v_or_b32_e32 v20, 0x80, v0
	v_cmp_gt_u32_e32 vcc, s7, v20
                                        ; implicit-def: $vgpr4_vgpr5
	s_and_saveexec_b64 s[12:13], vcc
	s_cbranch_execz .LBB1085_19
; %bb.18:
	v_lshlrev_b32_e32 v4, 3, v0
	global_load_dwordx2 v[4:5], v4, s[0:1] offset:1024
.LBB1085_19:
	s_or_b64 exec, exec, s[12:13]
	v_or_b32_e32 v21, 0x100, v0
	v_cmp_gt_u32_e32 vcc, s7, v21
                                        ; implicit-def: $vgpr6_vgpr7
	s_and_saveexec_b64 s[12:13], vcc
	s_cbranch_execz .LBB1085_21
; %bb.20:
	v_lshlrev_b32_e32 v6, 3, v0
	global_load_dwordx2 v[6:7], v6, s[0:1] offset:2048
.LBB1085_21:
	s_or_b64 exec, exec, s[12:13]
	v_or_b32_e32 v22, 0x180, v0
	v_cmp_gt_u32_e32 vcc, s7, v22
                                        ; implicit-def: $vgpr8_vgpr9
	s_and_saveexec_b64 s[12:13], vcc
	s_cbranch_execz .LBB1085_23
; %bb.22:
	v_lshlrev_b32_e32 v8, 3, v0
	global_load_dwordx2 v[8:9], v8, s[0:1] offset:3072
.LBB1085_23:
	s_or_b64 exec, exec, s[12:13]
	v_and_b32_e32 v18, 24, v18
	v_lshlrev_b32_e32 v23, 3, v0
	v_add_u32_e32 v18, v18, v23
	s_waitcnt vmcnt(0)
	ds_write_b64 v18, v[2:3]
	v_lshrrev_b32_e32 v2, 2, v20
	v_and_b32_e32 v2, 56, v2
	v_add_u32_e32 v2, v2, v23
	ds_write_b64 v2, v[4:5] offset:1024
	v_lshrrev_b32_e32 v2, 2, v21
	v_and_b32_e32 v2, 0x78, v2
	v_add_u32_e32 v2, v2, v23
	ds_write_b64 v2, v[6:7] offset:2048
	v_lshrrev_b32_e32 v2, 2, v22
	v_and_b32_e32 v2, 0x78, v2
	v_add_u32_e32 v2, v2, v23
	ds_write_b64 v2, v[8:9] offset:3072
	s_waitcnt lgkmcnt(0)
	s_barrier
.LBB1085_24:
	ds_read2_b64 v[6:9], v19 offset1:1
	ds_read2_b64 v[2:5], v19 offset0:2 offset1:3
	s_cmp_lg_u32 s6, 0
	s_cselect_b64 s[16:17], -1, 0
	s_cmp_lg_u64 s[2:3], 0
	s_cselect_b64 s[0:1], -1, 0
	s_or_b64 s[0:1], s[16:17], s[0:1]
	s_mov_b64 s[12:13], 0
	s_and_b64 vcc, exec, s[0:1]
	v_cmp_lt_i64_e64 s[14:15], s[26:27], 1
	v_cmp_gt_i64_e64 s[2:3], s[26:27], 0
	s_waitcnt lgkmcnt(0)
	s_barrier
	s_cbranch_vccz .LBB1085_33
; %bb.25:
	s_add_u32 s0, s8, -8
	s_addc_u32 s1, s9, -1
	s_load_dwordx2 s[12:13], s[0:1], 0x0
	v_lshlrev_b32_e32 v24, 3, v0
	s_mov_b64 s[8:9], 0
	s_and_b64 vcc, exec, s[34:35]
	ds_write_b64 v24, v[12:13]
	s_cbranch_vccz .LBB1085_34
; %bb.26:
	v_cndmask_b32_e64 v18, 0, 1, s[2:3]
	v_cmp_ne_u32_e64 s[0:1], 1, v18
	s_andn2_b64 vcc, exec, s[2:3]
	s_cbranch_vccnz .LBB1085_35
; %bb.27:
	v_pk_mov_b32 v[20:21], s[28:29], s[28:29] op_sel:[0,1]
	v_mad_u64_u32 v[18:19], s[2:3], v10, s26, v[20:21]
	v_mul_lo_u32 v22, v10, s27
	v_mul_lo_u32 v23, v11, s26
	v_add3_u32 v19, v23, v19, v22
	v_mad_u64_u32 v[20:21], s[2:3], v12, s26, v[20:21]
	v_mul_lo_u32 v22, v12, s27
	v_mul_lo_u32 v23, v13, s26
	v_add3_u32 v21, v23, v21, v22
	global_load_ubyte v22, v[18:19], off
	global_load_ubyte v23, v[20:21], off
	s_mov_b64 s[18:19], -1
	s_waitcnt vmcnt(1)
	v_cmp_ne_u16_e32 vcc, 0, v22
	s_waitcnt vmcnt(0)
	v_cmp_ne_u16_e64 s[2:3], 0, v23
	s_xor_b64 s[2:3], vcc, s[2:3]
	s_xor_b64 s[2:3], s[2:3], -1
	s_and_saveexec_b64 s[36:37], s[2:3]
	s_cbranch_execz .LBB1085_37
; %bb.28:
	s_mov_b64 s[40:41], 1
	s_mov_b64 s[18:19], 0
                                        ; implicit-def: $sgpr38_sgpr39
	s_branch .LBB1085_31
.LBB1085_29:                            ;   in Loop: Header=BB1085_31 Depth=1
	v_mov_b32_e32 v25, s41
	v_add_co_u32_e64 v22, s[2:3], s40, v18
	v_addc_co_u32_e64 v23, s[2:3], v19, v25, s[2:3]
	v_add_co_u32_e64 v26, s[2:3], s40, v20
	v_addc_co_u32_e64 v27, s[2:3], v21, v25, s[2:3]
	global_load_ubyte v25, v[22:23], off
	global_load_ubyte v28, v[26:27], off
	s_waitcnt vmcnt(1)
	v_cmp_ne_u16_e64 s[2:3], 0, v25
	s_waitcnt vmcnt(0)
	v_cmp_ne_u16_e64 s[8:9], 0, v28
	s_xor_b64 s[8:9], s[2:3], s[8:9]
	s_add_u32 s2, s40, 1
	s_addc_u32 s3, s41, 0
	s_andn2_b64 s[38:39], s[38:39], exec
	s_and_b64 s[8:9], s[8:9], exec
	s_or_b64 s[38:39], s[38:39], s[8:9]
.LBB1085_30:                            ;   in Loop: Header=BB1085_31 Depth=1
	s_and_b64 s[8:9], exec, s[38:39]
	s_or_b64 s[18:19], s[8:9], s[18:19]
	v_pk_mov_b32 v[22:23], s[40:41], s[40:41] op_sel:[0,1]
	s_mov_b64 s[40:41], s[2:3]
	s_andn2_b64 exec, exec, s[18:19]
	s_cbranch_execz .LBB1085_36
.LBB1085_31:                            ; =>This Inner Loop Header: Depth=1
	s_or_b64 s[38:39], s[38:39], exec
	s_cmp_eq_u64 s[26:27], s[40:41]
	s_cbranch_scc0 .LBB1085_29
; %bb.32:                               ;   in Loop: Header=BB1085_31 Depth=1
                                        ; implicit-def: $sgpr2_sgpr3
	s_mov_b64 s[40:41], s[26:27]
	s_branch .LBB1085_30
.LBB1085_33:
                                        ; implicit-def: $sgpr8_sgpr9
                                        ; implicit-def: $vgpr28
	s_branch .LBB1085_105
.LBB1085_34:
                                        ; implicit-def: $sgpr8_sgpr9
                                        ; implicit-def: $vgpr28
	s_cbranch_execnz .LBB1085_65
	s_branch .LBB1085_104
.LBB1085_35:
	v_mov_b32_e32 v25, 0
	s_and_b64 vcc, exec, s[0:1]
	s_mov_b64 s[2:3], 0
	s_cbranch_vccz .LBB1085_45
	s_branch .LBB1085_53
.LBB1085_36:
	s_or_b64 exec, exec, s[18:19]
	v_cmp_gt_i64_e64 s[2:3], s[26:27], v[22:23]
	s_orn2_b64 s[18:19], s[2:3], exec
.LBB1085_37:
	s_or_b64 exec, exec, s[36:37]
	v_pk_mov_b32 v[20:21], s[28:29], s[28:29] op_sel:[0,1]
	v_mad_u64_u32 v[20:21], s[2:3], v16, s26, v[20:21]
	v_mul_lo_u32 v22, v16, s27
	v_mul_lo_u32 v23, v17, s26
	v_add3_u32 v21, v23, v21, v22
	global_load_ubyte v22, v[20:21], off
	s_mov_b64 s[8:9], -1
	s_waitcnt vmcnt(0)
	v_cmp_ne_u16_e64 s[2:3], 0, v22
	s_xor_b64 s[2:3], vcc, s[2:3]
	s_xor_b64 s[2:3], s[2:3], -1
	s_and_saveexec_b64 s[36:37], s[2:3]
	s_cbranch_execz .LBB1085_44
; %bb.38:
	s_mov_b64 s[40:41], 1
	s_mov_b64 s[8:9], 0
                                        ; implicit-def: $sgpr38_sgpr39
	s_branch .LBB1085_41
.LBB1085_39:                            ;   in Loop: Header=BB1085_41 Depth=1
	v_mov_b32_e32 v25, s41
	v_add_co_u32_e32 v22, vcc, s40, v20
	v_addc_co_u32_e32 v23, vcc, v21, v25, vcc
	v_add_co_u32_e32 v26, vcc, s40, v18
	v_addc_co_u32_e32 v27, vcc, v19, v25, vcc
	global_load_ubyte v25, v[22:23], off
	global_load_ubyte v28, v[26:27], off
	s_waitcnt vmcnt(1)
	v_cmp_ne_u16_e32 vcc, 0, v25
	s_waitcnt vmcnt(0)
	v_cmp_ne_u16_e64 s[2:3], 0, v28
	s_xor_b64 s[42:43], vcc, s[2:3]
	s_add_u32 s2, s40, 1
	s_addc_u32 s3, s41, 0
	s_andn2_b64 s[38:39], s[38:39], exec
	s_and_b64 s[42:43], s[42:43], exec
	s_or_b64 s[38:39], s[38:39], s[42:43]
.LBB1085_40:                            ;   in Loop: Header=BB1085_41 Depth=1
	s_and_b64 s[42:43], exec, s[38:39]
	s_or_b64 s[8:9], s[42:43], s[8:9]
	v_pk_mov_b32 v[22:23], s[40:41], s[40:41] op_sel:[0,1]
	s_mov_b64 s[40:41], s[2:3]
	s_andn2_b64 exec, exec, s[8:9]
	s_cbranch_execz .LBB1085_43
.LBB1085_41:                            ; =>This Inner Loop Header: Depth=1
	s_or_b64 s[38:39], s[38:39], exec
	s_cmp_eq_u64 s[26:27], s[40:41]
	s_cbranch_scc0 .LBB1085_39
; %bb.42:                               ;   in Loop: Header=BB1085_41 Depth=1
                                        ; implicit-def: $sgpr2_sgpr3
	s_mov_b64 s[40:41], s[26:27]
	s_branch .LBB1085_40
.LBB1085_43:
	s_or_b64 exec, exec, s[8:9]
	v_cmp_gt_i64_e32 vcc, s[26:27], v[22:23]
	s_orn2_b64 s[8:9], vcc, exec
.LBB1085_44:
	s_or_b64 exec, exec, s[36:37]
	v_cndmask_b32_e64 v25, 0, 1, s[18:19]
	s_and_b64 vcc, exec, s[0:1]
	s_mov_b64 s[2:3], 0
	s_cbranch_vccnz .LBB1085_53
.LBB1085_45:
	v_pk_mov_b32 v[20:21], s[28:29], s[28:29] op_sel:[0,1]
	v_mad_u64_u32 v[18:19], s[2:3], v14, s26, v[20:21]
	v_mul_lo_u32 v22, v14, s27
	v_mul_lo_u32 v23, v15, s26
	v_add3_u32 v19, v23, v19, v22
	v_mad_u64_u32 v[20:21], s[2:3], v16, s26, v[20:21]
	v_mul_lo_u32 v22, v16, s27
	v_mul_lo_u32 v23, v17, s26
	v_add3_u32 v21, v23, v21, v22
	global_load_ubyte v22, v[18:19], off
	global_load_ubyte v23, v[20:21], off
	s_waitcnt vmcnt(1)
	v_cmp_ne_u16_e32 vcc, 0, v22
	s_waitcnt vmcnt(0)
	v_cmp_ne_u16_e64 s[2:3], 0, v23
	s_xor_b64 s[18:19], vcc, s[2:3]
	s_mov_b64 s[2:3], -1
	s_xor_b64 s[36:37], s[18:19], -1
	s_and_saveexec_b64 s[18:19], s[36:37]
	s_cbranch_execz .LBB1085_52
; %bb.46:
	s_mov_b64 s[40:41], 1
	s_mov_b64 s[36:37], 0
                                        ; implicit-def: $sgpr38_sgpr39
	s_branch .LBB1085_49
.LBB1085_47:                            ;   in Loop: Header=BB1085_49 Depth=1
	v_mov_b32_e32 v27, s41
	v_add_co_u32_e32 v22, vcc, s40, v18
	v_addc_co_u32_e32 v23, vcc, v19, v27, vcc
	v_add_co_u32_e32 v26, vcc, s40, v20
	v_addc_co_u32_e32 v27, vcc, v21, v27, vcc
	global_load_ubyte v28, v[22:23], off
	global_load_ubyte v29, v[26:27], off
	s_waitcnt vmcnt(1)
	v_cmp_ne_u16_e32 vcc, 0, v28
	s_waitcnt vmcnt(0)
	v_cmp_ne_u16_e64 s[2:3], 0, v29
	s_xor_b64 s[42:43], vcc, s[2:3]
	s_add_u32 s2, s40, 1
	s_addc_u32 s3, s41, 0
	s_andn2_b64 s[38:39], s[38:39], exec
	s_and_b64 s[42:43], s[42:43], exec
	s_or_b64 s[38:39], s[38:39], s[42:43]
.LBB1085_48:                            ;   in Loop: Header=BB1085_49 Depth=1
	s_and_b64 s[42:43], exec, s[38:39]
	s_or_b64 s[36:37], s[42:43], s[36:37]
	v_pk_mov_b32 v[22:23], s[40:41], s[40:41] op_sel:[0,1]
	s_mov_b64 s[40:41], s[2:3]
	s_andn2_b64 exec, exec, s[36:37]
	s_cbranch_execz .LBB1085_51
.LBB1085_49:                            ; =>This Inner Loop Header: Depth=1
	s_or_b64 s[38:39], s[38:39], exec
	s_cmp_eq_u64 s[26:27], s[40:41]
	s_cbranch_scc0 .LBB1085_47
; %bb.50:                               ;   in Loop: Header=BB1085_49 Depth=1
                                        ; implicit-def: $sgpr2_sgpr3
	s_mov_b64 s[40:41], s[26:27]
	s_branch .LBB1085_48
.LBB1085_51:
	s_or_b64 exec, exec, s[36:37]
	v_cmp_gt_i64_e32 vcc, s[26:27], v[22:23]
	s_orn2_b64 s[2:3], vcc, exec
.LBB1085_52:
	s_or_b64 exec, exec, s[18:19]
.LBB1085_53:
	v_cmp_ne_u32_e32 vcc, 0, v0
	s_waitcnt lgkmcnt(0)
	v_pk_mov_b32 v[20:21], s[12:13], s[12:13] op_sel:[0,1]
	s_barrier
	s_and_saveexec_b64 s[18:19], vcc
	s_cbranch_execz .LBB1085_55
; %bb.54:
	v_add_u32_e32 v18, -8, v24
	ds_read_b64 v[20:21], v18
.LBB1085_55:
	s_or_b64 exec, exec, s[18:19]
	v_cndmask_b32_e64 v19, 0, 1, s[2:3]
	v_lshlrev_b16_e32 v19, 8, v19
	v_cndmask_b32_e64 v18, 0, 1, s[8:9]
	v_or_b32_sdwa v26, v0, v19 dst_sel:DWORD dst_unused:UNUSED_PAD src0_sel:BYTE_0 src1_sel:DWORD
	v_lshlrev_b16_e32 v19, 8, v25
	v_or_b32_sdwa v25, v18, v19 dst_sel:WORD_1 dst_unused:UNUSED_PAD src0_sel:DWORD src1_sel:DWORD
	s_mov_b64 s[2:3], 0
	s_and_b64 vcc, exec, s[0:1]
	s_mov_b64 s[8:9], 0
	s_cbranch_vccnz .LBB1085_64
; %bb.56:
	v_pk_mov_b32 v[22:23], s[28:29], s[28:29] op_sel:[0,1]
	s_waitcnt lgkmcnt(0)
	v_mad_u64_u32 v[18:19], s[0:1], v20, s26, v[22:23]
	v_mul_lo_u32 v20, v20, s27
	v_mul_lo_u32 v21, v21, s26
	v_add3_u32 v19, v21, v19, v20
	v_mad_u64_u32 v[20:21], s[0:1], v14, s26, v[22:23]
	v_mul_lo_u32 v22, v14, s27
	v_mul_lo_u32 v23, v15, s26
	v_add3_u32 v21, v23, v21, v22
	global_load_ubyte v22, v[18:19], off
	global_load_ubyte v23, v[20:21], off
	s_mov_b64 s[8:9], -1
	s_waitcnt vmcnt(1)
	v_cmp_ne_u16_e32 vcc, 0, v22
	s_waitcnt vmcnt(0)
	v_cmp_ne_u16_e64 s[0:1], 0, v23
	s_xor_b64 s[0:1], vcc, s[0:1]
	s_xor_b64 s[0:1], s[0:1], -1
	s_and_saveexec_b64 s[18:19], s[0:1]
	s_cbranch_execz .LBB1085_63
; %bb.57:
	s_mov_b64 s[38:39], 1
	s_mov_b64 s[8:9], 0
                                        ; implicit-def: $sgpr36_sgpr37
	s_branch .LBB1085_60
.LBB1085_58:                            ;   in Loop: Header=BB1085_60 Depth=1
	v_mov_b32_e32 v27, s39
	v_add_co_u32_e32 v22, vcc, s38, v18
	v_addc_co_u32_e32 v23, vcc, v19, v27, vcc
	v_add_co_u32_e32 v28, vcc, s38, v20
	v_addc_co_u32_e32 v29, vcc, v21, v27, vcc
	global_load_ubyte v27, v[22:23], off
	global_load_ubyte v30, v[28:29], off
	s_waitcnt vmcnt(1)
	v_cmp_ne_u16_e32 vcc, 0, v27
	s_waitcnt vmcnt(0)
	v_cmp_ne_u16_e64 s[0:1], 0, v30
	s_xor_b64 s[40:41], vcc, s[0:1]
	s_add_u32 s0, s38, 1
	s_addc_u32 s1, s39, 0
	s_andn2_b64 s[36:37], s[36:37], exec
	s_and_b64 s[40:41], s[40:41], exec
	s_or_b64 s[36:37], s[36:37], s[40:41]
.LBB1085_59:                            ;   in Loop: Header=BB1085_60 Depth=1
	s_and_b64 s[40:41], exec, s[36:37]
	s_or_b64 s[8:9], s[40:41], s[8:9]
	v_pk_mov_b32 v[22:23], s[38:39], s[38:39] op_sel:[0,1]
	s_mov_b64 s[38:39], s[0:1]
	s_andn2_b64 exec, exec, s[8:9]
	s_cbranch_execz .LBB1085_62
.LBB1085_60:                            ; =>This Inner Loop Header: Depth=1
	s_or_b64 s[36:37], s[36:37], exec
	s_cmp_eq_u64 s[26:27], s[38:39]
	s_cbranch_scc0 .LBB1085_58
; %bb.61:                               ;   in Loop: Header=BB1085_60 Depth=1
                                        ; implicit-def: $sgpr0_sgpr1
	s_mov_b64 s[38:39], s[26:27]
	s_branch .LBB1085_59
.LBB1085_62:
	s_or_b64 exec, exec, s[8:9]
	v_cmp_gt_i64_e32 vcc, s[26:27], v[22:23]
	s_orn2_b64 s[8:9], vcc, exec
.LBB1085_63:
	s_or_b64 exec, exec, s[18:19]
.LBB1085_64:
	v_or_b32_sdwa v28, v26, v25 dst_sel:DWORD dst_unused:UNUSED_PAD src0_sel:WORD_0 src1_sel:DWORD
	s_and_b64 vcc, exec, s[2:3]
	s_cbranch_vccz .LBB1085_104
.LBB1085_65:
	v_or_b32_e32 v18, 3, v1
	v_cmp_gt_u32_e32 vcc, s7, v18
	s_xor_b64 s[2:3], s[14:15], -1
	s_mov_b64 s[36:37], -1
	s_and_b64 s[0:1], vcc, s[2:3]
	s_mov_b64 s[14:15], 0
	s_mov_b64 s[8:9], 0
	s_and_saveexec_b64 s[18:19], s[0:1]
	s_cbranch_execz .LBB1085_74
; %bb.66:
	s_waitcnt lgkmcnt(0)
	v_pk_mov_b32 v[20:21], s[28:29], s[28:29] op_sel:[0,1]
	v_mad_u64_u32 v[18:19], s[0:1], v10, s26, v[20:21]
	v_mul_lo_u32 v22, v10, s27
	v_mul_lo_u32 v23, v11, s26
	v_add3_u32 v19, v23, v19, v22
	v_mad_u64_u32 v[20:21], s[0:1], v12, s26, v[20:21]
	v_mul_lo_u32 v22, v12, s27
	v_mul_lo_u32 v23, v13, s26
	v_add3_u32 v21, v23, v21, v22
	global_load_ubyte v22, v[18:19], off
	global_load_ubyte v23, v[20:21], off
	s_waitcnt vmcnt(1)
	v_cmp_ne_u16_e32 vcc, 0, v22
	s_waitcnt vmcnt(0)
	v_cmp_ne_u16_e64 s[0:1], 0, v23
	s_xor_b64 s[0:1], vcc, s[0:1]
	s_xor_b64 s[0:1], s[0:1], -1
	s_and_saveexec_b64 s[8:9], s[0:1]
	s_cbranch_execz .LBB1085_73
; %bb.67:
	s_mov_b64 s[40:41], 1
	s_mov_b64 s[36:37], 0
                                        ; implicit-def: $sgpr38_sgpr39
	s_branch .LBB1085_70
.LBB1085_68:                            ;   in Loop: Header=BB1085_70 Depth=1
	v_mov_b32_e32 v25, s41
	v_add_co_u32_e32 v22, vcc, s40, v18
	v_addc_co_u32_e32 v23, vcc, v19, v25, vcc
	v_add_co_u32_e32 v26, vcc, s40, v20
	v_addc_co_u32_e32 v27, vcc, v21, v25, vcc
	global_load_ubyte v25, v[22:23], off
	global_load_ubyte v28, v[26:27], off
	s_waitcnt vmcnt(1)
	v_cmp_ne_u16_e32 vcc, 0, v25
	s_waitcnt vmcnt(0)
	v_cmp_ne_u16_e64 s[0:1], 0, v28
	s_xor_b64 s[42:43], vcc, s[0:1]
	s_add_u32 s0, s40, 1
	s_addc_u32 s1, s41, 0
	s_andn2_b64 s[38:39], s[38:39], exec
	s_and_b64 s[42:43], s[42:43], exec
	s_or_b64 s[38:39], s[38:39], s[42:43]
.LBB1085_69:                            ;   in Loop: Header=BB1085_70 Depth=1
	s_and_b64 s[42:43], exec, s[38:39]
	s_or_b64 s[36:37], s[42:43], s[36:37]
	v_pk_mov_b32 v[22:23], s[40:41], s[40:41] op_sel:[0,1]
	s_mov_b64 s[40:41], s[0:1]
	s_andn2_b64 exec, exec, s[36:37]
	s_cbranch_execz .LBB1085_72
.LBB1085_70:                            ; =>This Inner Loop Header: Depth=1
	s_or_b64 s[38:39], s[38:39], exec
	s_cmp_eq_u64 s[26:27], s[40:41]
	s_cbranch_scc0 .LBB1085_68
; %bb.71:                               ;   in Loop: Header=BB1085_70 Depth=1
                                        ; implicit-def: $sgpr0_sgpr1
	s_mov_b64 s[40:41], s[26:27]
	s_branch .LBB1085_69
.LBB1085_72:
	s_or_b64 exec, exec, s[36:37]
	v_cmp_gt_i64_e32 vcc, s[26:27], v[22:23]
	s_orn2_b64 s[36:37], vcc, exec
.LBB1085_73:
	s_or_b64 exec, exec, s[8:9]
	s_and_b64 s[8:9], s[36:37], exec
.LBB1085_74:
	s_or_b64 exec, exec, s[18:19]
	v_or_b32_e32 v18, 2, v1
	v_cmp_gt_u32_e32 vcc, s7, v18
	s_and_b64 s[0:1], vcc, s[2:3]
	s_and_saveexec_b64 s[18:19], s[0:1]
	s_cbranch_execz .LBB1085_83
; %bb.75:
	s_waitcnt lgkmcnt(0)
	v_pk_mov_b32 v[20:21], s[28:29], s[28:29] op_sel:[0,1]
	v_mad_u64_u32 v[18:19], s[0:1], v16, s26, v[20:21]
	v_mul_lo_u32 v22, v16, s27
	v_mul_lo_u32 v23, v17, s26
	v_add3_u32 v19, v23, v19, v22
	v_mad_u64_u32 v[20:21], s[0:1], v10, s26, v[20:21]
	v_mul_lo_u32 v22, v10, s27
	v_mul_lo_u32 v23, v11, s26
	v_add3_u32 v21, v23, v21, v22
	global_load_ubyte v22, v[18:19], off
	global_load_ubyte v23, v[20:21], off
	s_waitcnt vmcnt(1)
	v_cmp_ne_u16_e32 vcc, 0, v22
	s_waitcnt vmcnt(0)
	v_cmp_ne_u16_e64 s[0:1], 0, v23
	s_xor_b64 s[14:15], vcc, s[0:1]
	s_mov_b64 s[0:1], -1
	s_xor_b64 s[36:37], s[14:15], -1
	s_and_saveexec_b64 s[14:15], s[36:37]
	s_cbranch_execz .LBB1085_82
; %bb.76:
	s_mov_b64 s[40:41], 1
	s_mov_b64 s[36:37], 0
                                        ; implicit-def: $sgpr38_sgpr39
	s_branch .LBB1085_79
.LBB1085_77:                            ;   in Loop: Header=BB1085_79 Depth=1
	v_mov_b32_e32 v25, s41
	v_add_co_u32_e32 v22, vcc, s40, v18
	v_addc_co_u32_e32 v23, vcc, v19, v25, vcc
	v_add_co_u32_e32 v26, vcc, s40, v20
	v_addc_co_u32_e32 v27, vcc, v21, v25, vcc
	global_load_ubyte v25, v[22:23], off
	global_load_ubyte v28, v[26:27], off
	s_waitcnt vmcnt(1)
	v_cmp_ne_u16_e32 vcc, 0, v25
	s_waitcnt vmcnt(0)
	v_cmp_ne_u16_e64 s[0:1], 0, v28
	s_xor_b64 s[42:43], vcc, s[0:1]
	s_add_u32 s0, s40, 1
	s_addc_u32 s1, s41, 0
	s_andn2_b64 s[38:39], s[38:39], exec
	s_and_b64 s[42:43], s[42:43], exec
	s_or_b64 s[38:39], s[38:39], s[42:43]
.LBB1085_78:                            ;   in Loop: Header=BB1085_79 Depth=1
	s_and_b64 s[42:43], exec, s[38:39]
	s_or_b64 s[36:37], s[42:43], s[36:37]
	v_pk_mov_b32 v[22:23], s[40:41], s[40:41] op_sel:[0,1]
	s_mov_b64 s[40:41], s[0:1]
	s_andn2_b64 exec, exec, s[36:37]
	s_cbranch_execz .LBB1085_81
.LBB1085_79:                            ; =>This Inner Loop Header: Depth=1
	s_or_b64 s[38:39], s[38:39], exec
	s_cmp_eq_u64 s[26:27], s[40:41]
	s_cbranch_scc0 .LBB1085_77
; %bb.80:                               ;   in Loop: Header=BB1085_79 Depth=1
                                        ; implicit-def: $sgpr0_sgpr1
	s_mov_b64 s[40:41], s[26:27]
	s_branch .LBB1085_78
.LBB1085_81:
	s_or_b64 exec, exec, s[36:37]
	v_cmp_gt_i64_e32 vcc, s[26:27], v[22:23]
	s_orn2_b64 s[0:1], vcc, exec
.LBB1085_82:
	s_or_b64 exec, exec, s[14:15]
	s_and_b64 s[14:15], s[0:1], exec
.LBB1085_83:
	s_or_b64 exec, exec, s[18:19]
	v_or_b32_e32 v18, 1, v1
	v_cmp_gt_u32_e32 vcc, s7, v18
	s_mov_b64 s[38:39], -1
	s_and_b64 s[36:37], vcc, s[2:3]
	s_mov_b64 s[0:1], 0
	s_and_saveexec_b64 s[18:19], s[36:37]
	s_cbranch_execz .LBB1085_92
; %bb.84:
	s_waitcnt lgkmcnt(0)
	v_pk_mov_b32 v[20:21], s[28:29], s[28:29] op_sel:[0,1]
	v_mad_u64_u32 v[18:19], s[0:1], v14, s26, v[20:21]
	v_mul_lo_u32 v22, v14, s27
	v_mul_lo_u32 v23, v15, s26
	v_add3_u32 v19, v23, v19, v22
	v_mad_u64_u32 v[20:21], s[0:1], v16, s26, v[20:21]
	v_mul_lo_u32 v22, v16, s27
	v_mul_lo_u32 v23, v17, s26
	v_add3_u32 v21, v23, v21, v22
	global_load_ubyte v22, v[18:19], off
	global_load_ubyte v23, v[20:21], off
	s_waitcnt vmcnt(1)
	v_cmp_ne_u16_e32 vcc, 0, v22
	s_waitcnt vmcnt(0)
	v_cmp_ne_u16_e64 s[0:1], 0, v23
	s_xor_b64 s[0:1], vcc, s[0:1]
	s_xor_b64 s[0:1], s[0:1], -1
	s_and_saveexec_b64 s[36:37], s[0:1]
	s_cbranch_execz .LBB1085_91
; %bb.85:
	s_mov_b64 s[42:43], 1
	s_mov_b64 s[38:39], 0
                                        ; implicit-def: $sgpr40_sgpr41
	s_branch .LBB1085_88
.LBB1085_86:                            ;   in Loop: Header=BB1085_88 Depth=1
	v_mov_b32_e32 v25, s43
	v_add_co_u32_e32 v22, vcc, s42, v18
	v_addc_co_u32_e32 v23, vcc, v19, v25, vcc
	v_add_co_u32_e32 v26, vcc, s42, v20
	v_addc_co_u32_e32 v27, vcc, v21, v25, vcc
	global_load_ubyte v25, v[22:23], off
	global_load_ubyte v28, v[26:27], off
	s_waitcnt vmcnt(1)
	v_cmp_ne_u16_e32 vcc, 0, v25
	s_waitcnt vmcnt(0)
	v_cmp_ne_u16_e64 s[0:1], 0, v28
	s_xor_b64 s[44:45], vcc, s[0:1]
	s_add_u32 s0, s42, 1
	s_addc_u32 s1, s43, 0
	s_andn2_b64 s[40:41], s[40:41], exec
	s_and_b64 s[44:45], s[44:45], exec
	s_or_b64 s[40:41], s[40:41], s[44:45]
.LBB1085_87:                            ;   in Loop: Header=BB1085_88 Depth=1
	s_and_b64 s[44:45], exec, s[40:41]
	s_or_b64 s[38:39], s[44:45], s[38:39]
	v_pk_mov_b32 v[22:23], s[42:43], s[42:43] op_sel:[0,1]
	s_mov_b64 s[42:43], s[0:1]
	s_andn2_b64 exec, exec, s[38:39]
	s_cbranch_execz .LBB1085_90
.LBB1085_88:                            ; =>This Inner Loop Header: Depth=1
	s_or_b64 s[40:41], s[40:41], exec
	s_cmp_eq_u64 s[26:27], s[42:43]
	s_cbranch_scc0 .LBB1085_86
; %bb.89:                               ;   in Loop: Header=BB1085_88 Depth=1
                                        ; implicit-def: $sgpr0_sgpr1
	s_mov_b64 s[42:43], s[26:27]
	s_branch .LBB1085_87
.LBB1085_90:
	s_or_b64 exec, exec, s[38:39]
	v_cmp_gt_i64_e32 vcc, s[26:27], v[22:23]
	s_orn2_b64 s[38:39], vcc, exec
.LBB1085_91:
	s_or_b64 exec, exec, s[36:37]
	s_and_b64 s[0:1], s[38:39], exec
.LBB1085_92:
	s_or_b64 exec, exec, s[18:19]
	v_cmp_ne_u32_e32 vcc, 0, v0
	s_waitcnt lgkmcnt(0)
	v_pk_mov_b32 v[20:21], s[12:13], s[12:13] op_sel:[0,1]
	s_barrier
	s_and_saveexec_b64 s[12:13], vcc
	s_cbranch_execz .LBB1085_94
; %bb.93:
	v_add_u32_e32 v18, -8, v24
	ds_read_b64 v[20:21], v18
.LBB1085_94:
	s_or_b64 exec, exec, s[12:13]
	v_cndmask_b32_e64 v19, 0, 1, s[8:9]
	v_cndmask_b32_e64 v18, 0, 1, s[14:15]
	;; [unrolled: 1-line block ×3, first 2 shown]
	v_lshlrev_b16_e32 v19, 8, v19
	v_cmp_gt_u32_e32 vcc, s7, v1
	v_lshlrev_b16_e32 v24, 8, v22
	v_or_b32_sdwa v25, v18, v19 dst_sel:WORD_1 dst_unused:UNUSED_PAD src0_sel:DWORD src1_sel:DWORD
	s_mov_b64 s[12:13], -1
	s_and_b64 s[0:1], vcc, s[2:3]
	s_mov_b64 s[8:9], 0
	s_and_saveexec_b64 s[2:3], s[0:1]
	s_cbranch_execz .LBB1085_103
; %bb.95:
	v_pk_mov_b32 v[22:23], s[28:29], s[28:29] op_sel:[0,1]
	s_waitcnt lgkmcnt(0)
	v_mad_u64_u32 v[18:19], s[0:1], v20, s26, v[22:23]
	v_mul_lo_u32 v20, v20, s27
	v_mul_lo_u32 v21, v21, s26
	v_add3_u32 v19, v21, v19, v20
	v_mad_u64_u32 v[20:21], s[0:1], v14, s26, v[22:23]
	v_mul_lo_u32 v22, v14, s27
	v_mul_lo_u32 v23, v15, s26
	v_add3_u32 v21, v23, v21, v22
	global_load_ubyte v22, v[18:19], off
	global_load_ubyte v23, v[20:21], off
	s_waitcnt vmcnt(1)
	v_cmp_ne_u16_e32 vcc, 0, v22
	s_waitcnt vmcnt(0)
	v_cmp_ne_u16_e64 s[0:1], 0, v23
	s_xor_b64 s[0:1], vcc, s[0:1]
	s_xor_b64 s[0:1], s[0:1], -1
	s_and_saveexec_b64 s[8:9], s[0:1]
	s_cbranch_execz .LBB1085_102
; %bb.96:
	s_mov_b64 s[18:19], 1
	s_mov_b64 s[12:13], 0
                                        ; implicit-def: $sgpr14_sgpr15
	s_branch .LBB1085_99
.LBB1085_97:                            ;   in Loop: Header=BB1085_99 Depth=1
	v_mov_b32_e32 v27, s19
	v_add_co_u32_e32 v22, vcc, s18, v18
	v_addc_co_u32_e32 v23, vcc, v19, v27, vcc
	v_add_co_u32_e32 v26, vcc, s18, v20
	v_addc_co_u32_e32 v27, vcc, v21, v27, vcc
	global_load_ubyte v28, v[22:23], off
	global_load_ubyte v29, v[26:27], off
	s_waitcnt vmcnt(1)
	v_cmp_ne_u16_e32 vcc, 0, v28
	s_waitcnt vmcnt(0)
	v_cmp_ne_u16_e64 s[0:1], 0, v29
	s_xor_b64 s[36:37], vcc, s[0:1]
	s_add_u32 s0, s18, 1
	s_addc_u32 s1, s19, 0
	s_andn2_b64 s[14:15], s[14:15], exec
	s_and_b64 s[36:37], s[36:37], exec
	s_or_b64 s[14:15], s[14:15], s[36:37]
.LBB1085_98:                            ;   in Loop: Header=BB1085_99 Depth=1
	s_and_b64 s[36:37], exec, s[14:15]
	s_or_b64 s[12:13], s[36:37], s[12:13]
	v_pk_mov_b32 v[22:23], s[18:19], s[18:19] op_sel:[0,1]
	s_mov_b64 s[18:19], s[0:1]
	s_andn2_b64 exec, exec, s[12:13]
	s_cbranch_execz .LBB1085_101
.LBB1085_99:                            ; =>This Inner Loop Header: Depth=1
	s_or_b64 s[14:15], s[14:15], exec
	s_cmp_eq_u64 s[26:27], s[18:19]
	s_cbranch_scc0 .LBB1085_97
; %bb.100:                              ;   in Loop: Header=BB1085_99 Depth=1
                                        ; implicit-def: $sgpr0_sgpr1
	s_mov_b64 s[18:19], s[26:27]
	s_branch .LBB1085_98
.LBB1085_101:
	s_or_b64 exec, exec, s[12:13]
	v_cmp_gt_i64_e32 vcc, s[26:27], v[22:23]
	s_orn2_b64 s[12:13], vcc, exec
.LBB1085_102:
	s_or_b64 exec, exec, s[8:9]
	s_and_b64 s[8:9], s[12:13], exec
.LBB1085_103:
	s_or_b64 exec, exec, s[2:3]
	v_or_b32_e32 v28, v24, v25
.LBB1085_104:
	s_waitcnt lgkmcnt(0)
	s_mov_b64 s[12:13], -1
	s_cbranch_execnz .LBB1085_183
.LBB1085_105:
	v_lshlrev_b32_e32 v24, 3, v0
	v_cmp_lt_i64_e64 s[14:15], s[26:27], 1
	s_mov_b64 s[8:9], 0
	v_cmp_gt_i64_e64 s[2:3], s[26:27], 0
	s_and_b64 vcc, exec, s[34:35]
	ds_write_b64 v24, v[12:13]
	s_cbranch_vccz .LBB1085_113
; %bb.106:
	v_cndmask_b32_e64 v18, 0, 1, s[2:3]
	v_cmp_ne_u32_e64 s[0:1], 1, v18
	s_andn2_b64 vcc, exec, s[2:3]
	v_mov_b32_e32 v25, 0
	s_cbranch_vccnz .LBB1085_123
; %bb.107:
	v_pk_mov_b32 v[20:21], s[28:29], s[28:29] op_sel:[0,1]
	v_mad_u64_u32 v[18:19], s[2:3], v10, s26, v[20:21]
	v_mul_lo_u32 v22, v10, s27
	v_mul_lo_u32 v23, v11, s26
	v_add3_u32 v19, v23, v19, v22
	v_mad_u64_u32 v[20:21], s[2:3], v12, s26, v[20:21]
	v_mul_lo_u32 v22, v12, s27
	v_mul_lo_u32 v23, v13, s26
	v_add3_u32 v21, v23, v21, v22
	global_load_ubyte v22, v[18:19], off
	global_load_ubyte v23, v[20:21], off
	s_mov_b64 s[18:19], -1
	s_waitcnt vmcnt(1)
	v_cmp_ne_u16_e32 vcc, 0, v22
	s_waitcnt vmcnt(0)
	v_cmp_ne_u16_e64 s[2:3], 0, v23
	s_xor_b64 s[2:3], vcc, s[2:3]
	s_xor_b64 s[2:3], s[2:3], -1
	s_and_saveexec_b64 s[36:37], s[2:3]
	s_cbranch_execz .LBB1085_115
; %bb.108:
	s_mov_b64 s[40:41], 1
	s_mov_b64 s[18:19], 0
                                        ; implicit-def: $sgpr38_sgpr39
	s_branch .LBB1085_111
.LBB1085_109:                           ;   in Loop: Header=BB1085_111 Depth=1
	v_mov_b32_e32 v25, s41
	v_add_co_u32_e64 v22, s[2:3], s40, v18
	v_addc_co_u32_e64 v23, s[2:3], v19, v25, s[2:3]
	v_add_co_u32_e64 v26, s[2:3], s40, v20
	v_addc_co_u32_e64 v27, s[2:3], v21, v25, s[2:3]
	global_load_ubyte v25, v[22:23], off
	global_load_ubyte v28, v[26:27], off
	s_waitcnt vmcnt(1)
	v_cmp_ne_u16_e64 s[2:3], 0, v25
	s_waitcnt vmcnt(0)
	v_cmp_ne_u16_e64 s[8:9], 0, v28
	s_xor_b64 s[8:9], s[2:3], s[8:9]
	s_add_u32 s2, s40, 1
	s_addc_u32 s3, s41, 0
	s_andn2_b64 s[38:39], s[38:39], exec
	s_and_b64 s[8:9], s[8:9], exec
	s_or_b64 s[38:39], s[38:39], s[8:9]
.LBB1085_110:                           ;   in Loop: Header=BB1085_111 Depth=1
	s_and_b64 s[8:9], exec, s[38:39]
	s_or_b64 s[18:19], s[8:9], s[18:19]
	v_pk_mov_b32 v[22:23], s[40:41], s[40:41] op_sel:[0,1]
	s_mov_b64 s[40:41], s[2:3]
	s_andn2_b64 exec, exec, s[18:19]
	s_cbranch_execz .LBB1085_114
.LBB1085_111:                           ; =>This Inner Loop Header: Depth=1
	s_or_b64 s[38:39], s[38:39], exec
	s_cmp_eq_u64 s[26:27], s[40:41]
	s_cbranch_scc0 .LBB1085_109
; %bb.112:                              ;   in Loop: Header=BB1085_111 Depth=1
                                        ; implicit-def: $sgpr2_sgpr3
	s_mov_b64 s[40:41], s[26:27]
	s_branch .LBB1085_110
.LBB1085_113:
                                        ; implicit-def: $sgpr8_sgpr9
                                        ; implicit-def: $vgpr28
	s_cbranch_execnz .LBB1085_144
	s_branch .LBB1085_183
.LBB1085_114:
	s_or_b64 exec, exec, s[18:19]
	v_cmp_gt_i64_e64 s[2:3], s[26:27], v[22:23]
	s_orn2_b64 s[18:19], s[2:3], exec
.LBB1085_115:
	s_or_b64 exec, exec, s[36:37]
	v_pk_mov_b32 v[20:21], s[28:29], s[28:29] op_sel:[0,1]
	v_mad_u64_u32 v[20:21], s[2:3], v16, s26, v[20:21]
	v_mul_lo_u32 v22, v16, s27
	v_mul_lo_u32 v23, v17, s26
	v_add3_u32 v21, v23, v21, v22
	global_load_ubyte v22, v[20:21], off
	s_mov_b64 s[8:9], -1
	s_waitcnt vmcnt(0)
	v_cmp_ne_u16_e64 s[2:3], 0, v22
	s_xor_b64 s[2:3], vcc, s[2:3]
	s_xor_b64 s[2:3], s[2:3], -1
	s_and_saveexec_b64 s[36:37], s[2:3]
	s_cbranch_execz .LBB1085_122
; %bb.116:
	s_mov_b64 s[40:41], 1
	s_mov_b64 s[8:9], 0
                                        ; implicit-def: $sgpr38_sgpr39
	s_branch .LBB1085_119
.LBB1085_117:                           ;   in Loop: Header=BB1085_119 Depth=1
	v_mov_b32_e32 v25, s41
	v_add_co_u32_e32 v22, vcc, s40, v20
	v_addc_co_u32_e32 v23, vcc, v21, v25, vcc
	v_add_co_u32_e32 v26, vcc, s40, v18
	v_addc_co_u32_e32 v27, vcc, v19, v25, vcc
	global_load_ubyte v25, v[22:23], off
	global_load_ubyte v28, v[26:27], off
	s_waitcnt vmcnt(1)
	v_cmp_ne_u16_e32 vcc, 0, v25
	s_waitcnt vmcnt(0)
	v_cmp_ne_u16_e64 s[2:3], 0, v28
	s_xor_b64 s[42:43], vcc, s[2:3]
	s_add_u32 s2, s40, 1
	s_addc_u32 s3, s41, 0
	s_andn2_b64 s[38:39], s[38:39], exec
	s_and_b64 s[42:43], s[42:43], exec
	s_or_b64 s[38:39], s[38:39], s[42:43]
.LBB1085_118:                           ;   in Loop: Header=BB1085_119 Depth=1
	s_and_b64 s[42:43], exec, s[38:39]
	s_or_b64 s[8:9], s[42:43], s[8:9]
	v_pk_mov_b32 v[22:23], s[40:41], s[40:41] op_sel:[0,1]
	s_mov_b64 s[40:41], s[2:3]
	s_andn2_b64 exec, exec, s[8:9]
	s_cbranch_execz .LBB1085_121
.LBB1085_119:                           ; =>This Inner Loop Header: Depth=1
	s_or_b64 s[38:39], s[38:39], exec
	s_cmp_eq_u64 s[26:27], s[40:41]
	s_cbranch_scc0 .LBB1085_117
; %bb.120:                              ;   in Loop: Header=BB1085_119 Depth=1
                                        ; implicit-def: $sgpr2_sgpr3
	s_mov_b64 s[40:41], s[26:27]
	s_branch .LBB1085_118
.LBB1085_121:
	s_or_b64 exec, exec, s[8:9]
	v_cmp_gt_i64_e32 vcc, s[26:27], v[22:23]
	s_orn2_b64 s[8:9], vcc, exec
.LBB1085_122:
	s_or_b64 exec, exec, s[36:37]
	v_cndmask_b32_e64 v25, 0, 1, s[18:19]
.LBB1085_123:
	s_and_b64 vcc, exec, s[0:1]
	s_mov_b64 s[2:3], 0
	s_cbranch_vccnz .LBB1085_132
; %bb.124:
	v_pk_mov_b32 v[20:21], s[28:29], s[28:29] op_sel:[0,1]
	v_mad_u64_u32 v[18:19], s[2:3], v14, s26, v[20:21]
	v_mul_lo_u32 v22, v14, s27
	v_mul_lo_u32 v23, v15, s26
	v_add3_u32 v19, v23, v19, v22
	v_mad_u64_u32 v[20:21], s[2:3], v16, s26, v[20:21]
	v_mul_lo_u32 v22, v16, s27
	v_mul_lo_u32 v23, v17, s26
	v_add3_u32 v21, v23, v21, v22
	global_load_ubyte v22, v[18:19], off
	global_load_ubyte v23, v[20:21], off
	s_waitcnt vmcnt(1)
	v_cmp_ne_u16_e32 vcc, 0, v22
	s_waitcnt vmcnt(0)
	v_cmp_ne_u16_e64 s[2:3], 0, v23
	s_xor_b64 s[18:19], vcc, s[2:3]
	s_mov_b64 s[2:3], -1
	s_xor_b64 s[36:37], s[18:19], -1
	s_and_saveexec_b64 s[18:19], s[36:37]
	s_cbranch_execz .LBB1085_131
; %bb.125:
	s_mov_b64 s[40:41], 1
	s_mov_b64 s[36:37], 0
                                        ; implicit-def: $sgpr38_sgpr39
	s_branch .LBB1085_128
.LBB1085_126:                           ;   in Loop: Header=BB1085_128 Depth=1
	v_mov_b32_e32 v27, s41
	v_add_co_u32_e32 v22, vcc, s40, v18
	v_addc_co_u32_e32 v23, vcc, v19, v27, vcc
	v_add_co_u32_e32 v26, vcc, s40, v20
	v_addc_co_u32_e32 v27, vcc, v21, v27, vcc
	global_load_ubyte v28, v[22:23], off
	global_load_ubyte v29, v[26:27], off
	s_waitcnt vmcnt(1)
	v_cmp_ne_u16_e32 vcc, 0, v28
	s_waitcnt vmcnt(0)
	v_cmp_ne_u16_e64 s[2:3], 0, v29
	s_xor_b64 s[42:43], vcc, s[2:3]
	s_add_u32 s2, s40, 1
	s_addc_u32 s3, s41, 0
	s_andn2_b64 s[38:39], s[38:39], exec
	s_and_b64 s[42:43], s[42:43], exec
	s_or_b64 s[38:39], s[38:39], s[42:43]
.LBB1085_127:                           ;   in Loop: Header=BB1085_128 Depth=1
	s_and_b64 s[42:43], exec, s[38:39]
	s_or_b64 s[36:37], s[42:43], s[36:37]
	v_pk_mov_b32 v[22:23], s[40:41], s[40:41] op_sel:[0,1]
	s_mov_b64 s[40:41], s[2:3]
	s_andn2_b64 exec, exec, s[36:37]
	s_cbranch_execz .LBB1085_130
.LBB1085_128:                           ; =>This Inner Loop Header: Depth=1
	s_or_b64 s[38:39], s[38:39], exec
	s_cmp_eq_u64 s[26:27], s[40:41]
	s_cbranch_scc0 .LBB1085_126
; %bb.129:                              ;   in Loop: Header=BB1085_128 Depth=1
                                        ; implicit-def: $sgpr2_sgpr3
	s_mov_b64 s[40:41], s[26:27]
	s_branch .LBB1085_127
.LBB1085_130:
	s_or_b64 exec, exec, s[36:37]
	v_cmp_gt_i64_e32 vcc, s[26:27], v[22:23]
	s_orn2_b64 s[2:3], vcc, exec
.LBB1085_131:
	s_or_b64 exec, exec, s[18:19]
.LBB1085_132:
	v_cndmask_b32_e64 v19, 0, 1, s[2:3]
	v_cndmask_b32_e64 v18, 0, 1, s[8:9]
	v_lshlrev_b16_e32 v19, 8, v19
	v_lshlrev_b16_e32 v20, 8, v25
	v_or_b32_e32 v19, 1, v19
	v_or_b32_sdwa v18, v18, v20 dst_sel:WORD_1 dst_unused:UNUSED_PAD src0_sel:DWORD src1_sel:DWORD
	v_or_b32_sdwa v28, v19, v18 dst_sel:DWORD dst_unused:UNUSED_PAD src0_sel:WORD_0 src1_sel:DWORD
	v_cmp_ne_u32_e32 vcc, 0, v0
	s_waitcnt lgkmcnt(0)
	s_barrier
	s_waitcnt lgkmcnt(0)
                                        ; implicit-def: $sgpr8_sgpr9
	s_and_saveexec_b64 s[2:3], vcc
	s_xor_b64 s[2:3], exec, s[2:3]
	s_cbranch_execz .LBB1085_143
; %bb.133:
	s_and_b64 vcc, exec, s[0:1]
	s_mov_b64 s[0:1], 0
	s_cbranch_vccnz .LBB1085_142
; %bb.134:
	v_add_u32_e32 v18, -8, v24
	ds_read_b64 v[18:19], v18
	v_pk_mov_b32 v[20:21], s[28:29], s[28:29] op_sel:[0,1]
	s_waitcnt lgkmcnt(0)
	v_mul_lo_u32 v22, v18, s27
	v_mul_lo_u32 v23, v19, s26
	v_mad_u64_u32 v[18:19], s[0:1], v18, s26, v[20:21]
	v_add3_u32 v19, v23, v19, v22
	v_mad_u64_u32 v[20:21], s[0:1], v14, s26, v[20:21]
	v_mul_lo_u32 v22, v14, s27
	v_mul_lo_u32 v23, v15, s26
	v_add3_u32 v21, v23, v21, v22
	global_load_ubyte v22, v[18:19], off
	global_load_ubyte v23, v[20:21], off
	s_waitcnt vmcnt(1)
	v_cmp_ne_u16_e32 vcc, 0, v22
	s_waitcnt vmcnt(0)
	v_cmp_ne_u16_e64 s[0:1], 0, v23
	s_xor_b64 s[8:9], vcc, s[0:1]
	s_mov_b64 s[0:1], -1
	s_xor_b64 s[18:19], s[8:9], -1
	s_and_saveexec_b64 s[8:9], s[18:19]
	s_cbranch_execz .LBB1085_141
; %bb.135:
	s_mov_b64 s[38:39], 1
	s_mov_b64 s[18:19], 0
                                        ; implicit-def: $sgpr36_sgpr37
	s_branch .LBB1085_138
.LBB1085_136:                           ;   in Loop: Header=BB1085_138 Depth=1
	v_mov_b32_e32 v25, s39
	v_add_co_u32_e32 v22, vcc, s38, v18
	v_addc_co_u32_e32 v23, vcc, v19, v25, vcc
	v_add_co_u32_e32 v26, vcc, s38, v20
	v_addc_co_u32_e32 v27, vcc, v21, v25, vcc
	global_load_ubyte v25, v[22:23], off
	global_load_ubyte v29, v[26:27], off
	s_waitcnt vmcnt(1)
	v_cmp_ne_u16_e32 vcc, 0, v25
	s_waitcnt vmcnt(0)
	v_cmp_ne_u16_e64 s[0:1], 0, v29
	s_xor_b64 s[40:41], vcc, s[0:1]
	s_add_u32 s0, s38, 1
	s_addc_u32 s1, s39, 0
	s_andn2_b64 s[36:37], s[36:37], exec
	s_and_b64 s[40:41], s[40:41], exec
	s_or_b64 s[36:37], s[36:37], s[40:41]
.LBB1085_137:                           ;   in Loop: Header=BB1085_138 Depth=1
	s_and_b64 s[40:41], exec, s[36:37]
	s_or_b64 s[18:19], s[40:41], s[18:19]
	v_pk_mov_b32 v[22:23], s[38:39], s[38:39] op_sel:[0,1]
	s_mov_b64 s[38:39], s[0:1]
	s_andn2_b64 exec, exec, s[18:19]
	s_cbranch_execz .LBB1085_140
.LBB1085_138:                           ; =>This Inner Loop Header: Depth=1
	s_or_b64 s[36:37], s[36:37], exec
	s_cmp_eq_u64 s[26:27], s[38:39]
	s_cbranch_scc0 .LBB1085_136
; %bb.139:                              ;   in Loop: Header=BB1085_138 Depth=1
                                        ; implicit-def: $sgpr0_sgpr1
	s_mov_b64 s[38:39], s[26:27]
	s_branch .LBB1085_137
.LBB1085_140:
	s_or_b64 exec, exec, s[18:19]
	v_cmp_gt_i64_e32 vcc, s[26:27], v[22:23]
	s_orn2_b64 s[0:1], vcc, exec
.LBB1085_141:
	s_or_b64 exec, exec, s[8:9]
.LBB1085_142:
	s_and_b64 s[8:9], s[0:1], exec
	s_or_b64 s[12:13], s[12:13], exec
.LBB1085_143:
	s_or_b64 exec, exec, s[2:3]
	s_branch .LBB1085_183
.LBB1085_144:
	v_or_b32_e32 v18, 3, v1
	v_cmp_gt_u32_e32 vcc, s7, v18
	s_xor_b64 s[2:3], s[14:15], -1
	s_mov_b64 s[36:37], -1
	s_and_b64 s[0:1], vcc, s[2:3]
	s_mov_b64 s[8:9], 0
	v_mul_lo_u32 v27, v10, s27
	v_mul_lo_u32 v28, v11, s26
	s_mov_b64 s[14:15], 0
	s_and_saveexec_b64 s[18:19], s[0:1]
	s_cbranch_execz .LBB1085_153
; %bb.145:
	v_pk_mov_b32 v[20:21], s[28:29], s[28:29] op_sel:[0,1]
	v_mad_u64_u32 v[18:19], s[0:1], v10, s26, v[20:21]
	v_add3_u32 v19, v28, v19, v27
	v_mad_u64_u32 v[20:21], s[0:1], v12, s26, v[20:21]
	v_mul_lo_u32 v22, v12, s27
	v_mul_lo_u32 v23, v13, s26
	v_add3_u32 v21, v23, v21, v22
	global_load_ubyte v22, v[18:19], off
	global_load_ubyte v23, v[20:21], off
	s_waitcnt vmcnt(1)
	v_cmp_ne_u16_e32 vcc, 0, v22
	s_waitcnt vmcnt(0)
	v_cmp_ne_u16_e64 s[0:1], 0, v23
	s_xor_b64 s[0:1], vcc, s[0:1]
	s_xor_b64 s[0:1], s[0:1], -1
	s_and_saveexec_b64 s[14:15], s[0:1]
	s_cbranch_execz .LBB1085_152
; %bb.146:
	s_mov_b64 s[40:41], 1
	s_mov_b64 s[36:37], 0
                                        ; implicit-def: $sgpr38_sgpr39
	s_branch .LBB1085_149
.LBB1085_147:                           ;   in Loop: Header=BB1085_149 Depth=1
	v_mov_b32_e32 v25, s41
	v_add_co_u32_e32 v22, vcc, s40, v18
	v_addc_co_u32_e32 v23, vcc, v19, v25, vcc
	v_add_co_u32_e32 v30, vcc, s40, v20
	v_addc_co_u32_e32 v31, vcc, v21, v25, vcc
	global_load_ubyte v25, v[22:23], off
	global_load_ubyte v26, v[30:31], off
	s_waitcnt vmcnt(1)
	v_cmp_ne_u16_e32 vcc, 0, v25
	s_waitcnt vmcnt(0)
	v_cmp_ne_u16_e64 s[0:1], 0, v26
	s_xor_b64 s[42:43], vcc, s[0:1]
	s_add_u32 s0, s40, 1
	s_addc_u32 s1, s41, 0
	s_andn2_b64 s[38:39], s[38:39], exec
	s_and_b64 s[42:43], s[42:43], exec
	s_or_b64 s[38:39], s[38:39], s[42:43]
.LBB1085_148:                           ;   in Loop: Header=BB1085_149 Depth=1
	s_and_b64 s[42:43], exec, s[38:39]
	s_or_b64 s[36:37], s[42:43], s[36:37]
	v_pk_mov_b32 v[22:23], s[40:41], s[40:41] op_sel:[0,1]
	s_mov_b64 s[40:41], s[0:1]
	s_andn2_b64 exec, exec, s[36:37]
	s_cbranch_execz .LBB1085_151
.LBB1085_149:                           ; =>This Inner Loop Header: Depth=1
	s_or_b64 s[38:39], s[38:39], exec
	s_cmp_eq_u64 s[26:27], s[40:41]
	s_cbranch_scc0 .LBB1085_147
; %bb.150:                              ;   in Loop: Header=BB1085_149 Depth=1
                                        ; implicit-def: $sgpr0_sgpr1
	s_mov_b64 s[40:41], s[26:27]
	s_branch .LBB1085_148
.LBB1085_151:
	s_or_b64 exec, exec, s[36:37]
	v_cmp_gt_i64_e32 vcc, s[26:27], v[22:23]
	s_orn2_b64 s[36:37], vcc, exec
.LBB1085_152:
	s_or_b64 exec, exec, s[14:15]
	s_and_b64 s[14:15], s[36:37], exec
.LBB1085_153:
	s_or_b64 exec, exec, s[18:19]
	v_or_b32_e32 v18, 2, v1
	v_cmp_gt_u32_e32 vcc, s7, v18
	s_and_b64 s[0:1], vcc, s[2:3]
	v_mul_lo_u32 v25, v16, s27
	v_mul_lo_u32 v26, v17, s26
	s_and_saveexec_b64 s[18:19], s[0:1]
	s_cbranch_execz .LBB1085_162
; %bb.154:
	v_pk_mov_b32 v[20:21], s[28:29], s[28:29] op_sel:[0,1]
	v_mad_u64_u32 v[18:19], s[0:1], v16, s26, v[20:21]
	v_add3_u32 v19, v26, v19, v25
	v_mad_u64_u32 v[20:21], s[0:1], v10, s26, v[20:21]
	v_add3_u32 v21, v28, v21, v27
	global_load_ubyte v22, v[18:19], off
	global_load_ubyte v23, v[20:21], off
	s_waitcnt vmcnt(1)
	v_cmp_ne_u16_e32 vcc, 0, v22
	s_waitcnt vmcnt(0)
	v_cmp_ne_u16_e64 s[0:1], 0, v23
	s_xor_b64 s[8:9], vcc, s[0:1]
	s_mov_b64 s[0:1], -1
	s_xor_b64 s[36:37], s[8:9], -1
	s_and_saveexec_b64 s[8:9], s[36:37]
	s_cbranch_execz .LBB1085_161
; %bb.155:
	s_mov_b64 s[40:41], 1
	s_mov_b64 s[36:37], 0
                                        ; implicit-def: $sgpr38_sgpr39
	s_branch .LBB1085_158
.LBB1085_156:                           ;   in Loop: Header=BB1085_158 Depth=1
	v_mov_b32_e32 v27, s41
	v_add_co_u32_e32 v22, vcc, s40, v18
	v_addc_co_u32_e32 v23, vcc, v19, v27, vcc
	v_add_co_u32_e32 v28, vcc, s40, v20
	v_addc_co_u32_e32 v29, vcc, v21, v27, vcc
	global_load_ubyte v27, v[22:23], off
	global_load_ubyte v30, v[28:29], off
	s_waitcnt vmcnt(1)
	v_cmp_ne_u16_e32 vcc, 0, v27
	s_waitcnt vmcnt(0)
	v_cmp_ne_u16_e64 s[0:1], 0, v30
	s_xor_b64 s[42:43], vcc, s[0:1]
	s_add_u32 s0, s40, 1
	s_addc_u32 s1, s41, 0
	s_andn2_b64 s[38:39], s[38:39], exec
	s_and_b64 s[42:43], s[42:43], exec
	s_or_b64 s[38:39], s[38:39], s[42:43]
.LBB1085_157:                           ;   in Loop: Header=BB1085_158 Depth=1
	s_and_b64 s[42:43], exec, s[38:39]
	s_or_b64 s[36:37], s[42:43], s[36:37]
	v_pk_mov_b32 v[22:23], s[40:41], s[40:41] op_sel:[0,1]
	s_mov_b64 s[40:41], s[0:1]
	s_andn2_b64 exec, exec, s[36:37]
	s_cbranch_execz .LBB1085_160
.LBB1085_158:                           ; =>This Inner Loop Header: Depth=1
	s_or_b64 s[38:39], s[38:39], exec
	s_cmp_eq_u64 s[26:27], s[40:41]
	s_cbranch_scc0 .LBB1085_156
; %bb.159:                              ;   in Loop: Header=BB1085_158 Depth=1
                                        ; implicit-def: $sgpr0_sgpr1
	s_mov_b64 s[40:41], s[26:27]
	s_branch .LBB1085_157
.LBB1085_160:
	s_or_b64 exec, exec, s[36:37]
	v_cmp_gt_i64_e32 vcc, s[26:27], v[22:23]
	s_orn2_b64 s[0:1], vcc, exec
.LBB1085_161:
	s_or_b64 exec, exec, s[8:9]
	s_and_b64 s[8:9], s[0:1], exec
.LBB1085_162:
	s_or_b64 exec, exec, s[18:19]
	v_or_b32_e32 v18, 1, v1
	v_cmp_gt_u32_e32 vcc, s7, v18
	s_mov_b64 s[38:39], -1
	s_and_b64 s[36:37], vcc, s[2:3]
	s_mov_b64 s[0:1], 0
	s_and_saveexec_b64 s[18:19], s[36:37]
	s_cbranch_execz .LBB1085_171
; %bb.163:
	v_pk_mov_b32 v[20:21], s[28:29], s[28:29] op_sel:[0,1]
	v_mad_u64_u32 v[18:19], s[0:1], v14, s26, v[20:21]
	v_mul_lo_u32 v22, v14, s27
	v_mul_lo_u32 v23, v15, s26
	v_add3_u32 v19, v23, v19, v22
	v_mad_u64_u32 v[20:21], s[0:1], v16, s26, v[20:21]
	v_add3_u32 v21, v26, v21, v25
	global_load_ubyte v22, v[18:19], off
	global_load_ubyte v23, v[20:21], off
	s_waitcnt vmcnt(1)
	v_cmp_ne_u16_e32 vcc, 0, v22
	s_waitcnt vmcnt(0)
	v_cmp_ne_u16_e64 s[0:1], 0, v23
	s_xor_b64 s[0:1], vcc, s[0:1]
	s_xor_b64 s[0:1], s[0:1], -1
	s_and_saveexec_b64 s[36:37], s[0:1]
	s_cbranch_execz .LBB1085_170
; %bb.164:
	s_mov_b64 s[42:43], 1
	s_mov_b64 s[38:39], 0
                                        ; implicit-def: $sgpr40_sgpr41
	s_branch .LBB1085_167
.LBB1085_165:                           ;   in Loop: Header=BB1085_167 Depth=1
	v_mov_b32_e32 v25, s43
	v_add_co_u32_e32 v22, vcc, s42, v18
	v_addc_co_u32_e32 v23, vcc, v19, v25, vcc
	v_add_co_u32_e32 v26, vcc, s42, v20
	v_addc_co_u32_e32 v27, vcc, v21, v25, vcc
	global_load_ubyte v25, v[22:23], off
	global_load_ubyte v28, v[26:27], off
	s_waitcnt vmcnt(1)
	v_cmp_ne_u16_e32 vcc, 0, v25
	s_waitcnt vmcnt(0)
	v_cmp_ne_u16_e64 s[0:1], 0, v28
	s_xor_b64 s[44:45], vcc, s[0:1]
	s_add_u32 s0, s42, 1
	s_addc_u32 s1, s43, 0
	s_andn2_b64 s[40:41], s[40:41], exec
	s_and_b64 s[44:45], s[44:45], exec
	s_or_b64 s[40:41], s[40:41], s[44:45]
.LBB1085_166:                           ;   in Loop: Header=BB1085_167 Depth=1
	s_and_b64 s[44:45], exec, s[40:41]
	s_or_b64 s[38:39], s[44:45], s[38:39]
	v_pk_mov_b32 v[22:23], s[42:43], s[42:43] op_sel:[0,1]
	s_mov_b64 s[42:43], s[0:1]
	s_andn2_b64 exec, exec, s[38:39]
	s_cbranch_execz .LBB1085_169
.LBB1085_167:                           ; =>This Inner Loop Header: Depth=1
	s_or_b64 s[40:41], s[40:41], exec
	s_cmp_eq_u64 s[26:27], s[42:43]
	s_cbranch_scc0 .LBB1085_165
; %bb.168:                              ;   in Loop: Header=BB1085_167 Depth=1
                                        ; implicit-def: $sgpr0_sgpr1
	s_mov_b64 s[42:43], s[26:27]
	s_branch .LBB1085_166
.LBB1085_169:
	s_or_b64 exec, exec, s[38:39]
	v_cmp_gt_i64_e32 vcc, s[26:27], v[22:23]
	s_orn2_b64 s[38:39], vcc, exec
.LBB1085_170:
	s_or_b64 exec, exec, s[36:37]
	s_and_b64 s[0:1], s[38:39], exec
.LBB1085_171:
	s_or_b64 exec, exec, s[18:19]
	v_cndmask_b32_e64 v19, 0, 1, s[14:15]
	v_cndmask_b32_e64 v20, 0, 1, s[0:1]
	v_cndmask_b32_e64 v18, 0, 1, s[8:9]
	v_lshlrev_b16_e32 v20, 8, v20
	v_lshlrev_b16_e32 v19, 8, v19
	v_or_b32_e32 v20, 1, v20
	v_or_b32_sdwa v18, v18, v19 dst_sel:WORD_1 dst_unused:UNUSED_PAD src0_sel:DWORD src1_sel:DWORD
	v_or_b32_sdwa v28, v20, v18 dst_sel:DWORD dst_unused:UNUSED_PAD src0_sel:WORD_0 src1_sel:DWORD
	v_cmp_ne_u32_e32 vcc, 0, v0
	s_waitcnt lgkmcnt(0)
	s_barrier
	s_waitcnt lgkmcnt(0)
                                        ; implicit-def: $sgpr8_sgpr9
	s_and_saveexec_b64 s[14:15], vcc
	s_cbranch_execz .LBB1085_182
; %bb.172:
	v_cmp_gt_u32_e32 vcc, s7, v1
	s_mov_b64 s[18:19], -1
	s_and_b64 s[8:9], vcc, s[2:3]
	s_mov_b64 s[0:1], 0
	s_and_saveexec_b64 s[2:3], s[8:9]
	s_cbranch_execz .LBB1085_181
; %bb.173:
	v_add_u32_e32 v18, -8, v24
	ds_read_b64 v[18:19], v18
	v_pk_mov_b32 v[20:21], s[28:29], s[28:29] op_sel:[0,1]
	s_waitcnt lgkmcnt(0)
	v_mul_lo_u32 v22, v18, s27
	v_mul_lo_u32 v23, v19, s26
	v_mad_u64_u32 v[18:19], s[0:1], v18, s26, v[20:21]
	v_add3_u32 v19, v23, v19, v22
	v_mad_u64_u32 v[20:21], s[0:1], v14, s26, v[20:21]
	v_mul_lo_u32 v22, v14, s27
	v_mul_lo_u32 v23, v15, s26
	v_add3_u32 v21, v23, v21, v22
	global_load_ubyte v22, v[18:19], off
	global_load_ubyte v23, v[20:21], off
	s_waitcnt vmcnt(1)
	v_cmp_ne_u16_e32 vcc, 0, v22
	s_waitcnt vmcnt(0)
	v_cmp_ne_u16_e64 s[0:1], 0, v23
	s_xor_b64 s[0:1], vcc, s[0:1]
	s_xor_b64 s[0:1], s[0:1], -1
	s_and_saveexec_b64 s[8:9], s[0:1]
	s_cbranch_execz .LBB1085_180
; %bb.174:
	s_mov_b64 s[36:37], 1
	s_mov_b64 s[18:19], 0
                                        ; implicit-def: $sgpr28_sgpr29
	s_branch .LBB1085_177
.LBB1085_175:                           ;   in Loop: Header=BB1085_177 Depth=1
	v_mov_b32_e32 v25, s37
	v_add_co_u32_e32 v22, vcc, s36, v18
	v_addc_co_u32_e32 v23, vcc, v19, v25, vcc
	v_add_co_u32_e32 v24, vcc, s36, v20
	v_addc_co_u32_e32 v25, vcc, v21, v25, vcc
	global_load_ubyte v26, v[22:23], off
	global_load_ubyte v27, v[24:25], off
	s_waitcnt vmcnt(1)
	v_cmp_ne_u16_e32 vcc, 0, v26
	s_waitcnt vmcnt(0)
	v_cmp_ne_u16_e64 s[0:1], 0, v27
	s_xor_b64 s[38:39], vcc, s[0:1]
	s_add_u32 s0, s36, 1
	s_addc_u32 s1, s37, 0
	s_andn2_b64 s[28:29], s[28:29], exec
	s_and_b64 s[38:39], s[38:39], exec
	s_or_b64 s[28:29], s[28:29], s[38:39]
.LBB1085_176:                           ;   in Loop: Header=BB1085_177 Depth=1
	s_and_b64 s[38:39], exec, s[28:29]
	s_or_b64 s[18:19], s[38:39], s[18:19]
	v_pk_mov_b32 v[22:23], s[36:37], s[36:37] op_sel:[0,1]
	s_mov_b64 s[36:37], s[0:1]
	s_andn2_b64 exec, exec, s[18:19]
	s_cbranch_execz .LBB1085_179
.LBB1085_177:                           ; =>This Inner Loop Header: Depth=1
	s_or_b64 s[28:29], s[28:29], exec
	s_cmp_eq_u64 s[26:27], s[36:37]
	s_cbranch_scc0 .LBB1085_175
; %bb.178:                              ;   in Loop: Header=BB1085_177 Depth=1
                                        ; implicit-def: $sgpr0_sgpr1
	s_mov_b64 s[36:37], s[26:27]
	s_branch .LBB1085_176
.LBB1085_179:
	s_or_b64 exec, exec, s[18:19]
	v_cmp_gt_i64_e32 vcc, s[26:27], v[22:23]
	s_orn2_b64 s[18:19], vcc, exec
.LBB1085_180:
	s_or_b64 exec, exec, s[8:9]
	s_and_b64 s[0:1], s[18:19], exec
.LBB1085_181:
	s_or_b64 exec, exec, s[2:3]
	s_and_b64 s[8:9], s[0:1], exec
	s_or_b64 s[12:13], s[12:13], exec
.LBB1085_182:
	s_or_b64 exec, exec, s[14:15]
.LBB1085_183:
	s_and_saveexec_b64 s[0:1], s[12:13]
; %bb.184:
	v_and_b32_e32 v18, 0xffffff00, v28
	v_cndmask_b32_e64 v19, 0, 1, s[8:9]
	v_or_b32_e32 v18, v19, v18
	v_and_b32_e32 v18, 0xffff, v18
	s_mov_b32 s2, 0xffff0000
	v_and_or_b32 v28, v28, s2, v18
; %bb.185:
	s_or_b64 exec, exec, s[0:1]
	s_andn2_b64 vcc, exec, s[10:11]
	s_cbranch_vccnz .LBB1085_187
; %bb.186:
	v_cmp_gt_u32_e32 vcc, s7, v1
	v_cndmask_b32_e32 v18, 0, v28, vcc
	v_or_b32_e32 v19, 1, v1
	v_and_b32_e32 v18, 0xff, v18
	v_cmp_gt_u32_e32 vcc, s7, v19
	v_cndmask_b32_e32 v18, v18, v28, vcc
	v_or_b32_e32 v19, 2, v1
	v_and_b32_e32 v18, 0xffff, v18
	;; [unrolled: 4-line block ×3, first 2 shown]
	v_cmp_gt_u32_e32 vcc, s7, v19
	v_cndmask_b32_e32 v28, v18, v28, vcc
.LBB1085_187:
	v_bfe_u32 v30, v28, 16, 8
	v_lshrrev_b32_e32 v29, 24, v28
	v_add_u32_sdwa v18, v28, v28 dst_sel:DWORD dst_unused:UNUSED_PAD src0_sel:BYTE_1 src1_sel:BYTE_0
	v_add3_u32 v33, v18, v30, v29
	v_mbcnt_lo_u32_b32 v18, -1, 0
	v_mbcnt_hi_u32_b32 v31, -1, v18
	v_and_b32_e32 v18, 15, v31
	v_cmp_eq_u32_e64 s[14:15], 0, v18
	v_cmp_lt_u32_e64 s[12:13], 1, v18
	v_cmp_lt_u32_e64 s[10:11], 3, v18
	;; [unrolled: 1-line block ×3, first 2 shown]
	v_and_b32_e32 v18, 16, v31
	v_cmp_eq_u32_e64 s[18:19], 0, v18
	v_or_b32_e32 v18, 63, v0
	v_cmp_lt_u32_e64 s[0:1], 31, v31
	v_lshrrev_b32_e32 v32, 6, v0
	v_cmp_eq_u32_e64 s[2:3], v18, v0
	s_and_b64 vcc, exec, s[16:17]
	s_waitcnt lgkmcnt(0)
	s_barrier
	s_cbranch_vccz .LBB1085_214
; %bb.188:
	v_mov_b32_dpp v18, v33 row_shr:1 row_mask:0xf bank_mask:0xf
	v_cndmask_b32_e64 v18, v18, 0, s[14:15]
	v_add_u32_e32 v18, v18, v33
	s_nop 1
	v_mov_b32_dpp v19, v18 row_shr:2 row_mask:0xf bank_mask:0xf
	v_cndmask_b32_e64 v19, 0, v19, s[12:13]
	v_add_u32_e32 v18, v18, v19
	s_nop 1
	;; [unrolled: 4-line block ×4, first 2 shown]
	v_mov_b32_dpp v19, v18 row_bcast:15 row_mask:0xf bank_mask:0xf
	v_cndmask_b32_e64 v19, v19, 0, s[18:19]
	v_add_u32_e32 v18, v18, v19
	s_nop 1
	v_mov_b32_dpp v19, v18 row_bcast:31 row_mask:0xf bank_mask:0xf
	v_cndmask_b32_e64 v19, 0, v19, s[0:1]
	v_add_u32_e32 v18, v18, v19
	s_and_saveexec_b64 s[16:17], s[2:3]
	s_cbranch_execz .LBB1085_190
; %bb.189:
	v_lshlrev_b32_e32 v19, 2, v32
	ds_write_b32 v19, v18
.LBB1085_190:
	s_or_b64 exec, exec, s[16:17]
	v_cmp_gt_u32_e32 vcc, 2, v0
	s_waitcnt lgkmcnt(0)
	s_barrier
	s_and_saveexec_b64 s[16:17], vcc
	s_cbranch_execz .LBB1085_192
; %bb.191:
	ds_read_b32 v19, v1
	v_bfe_i32 v20, v31, 0, 1
	s_waitcnt lgkmcnt(0)
	v_mov_b32_dpp v21, v19 row_shr:1 row_mask:0xf bank_mask:0xf
	v_and_b32_e32 v20, v20, v21
	v_add_u32_e32 v19, v20, v19
	ds_write_b32 v1, v19
.LBB1085_192:
	s_or_b64 exec, exec, s[16:17]
	v_cmp_gt_u32_e32 vcc, 64, v0
	v_cmp_lt_u32_e64 s[16:17], 63, v0
	s_waitcnt lgkmcnt(0)
	s_barrier
	s_waitcnt lgkmcnt(0)
                                        ; implicit-def: $vgpr34
	s_and_saveexec_b64 s[26:27], s[16:17]
	s_cbranch_execz .LBB1085_194
; %bb.193:
	v_lshl_add_u32 v19, v32, 2, -4
	ds_read_b32 v34, v19
	s_waitcnt lgkmcnt(0)
	v_add_u32_e32 v18, v34, v18
.LBB1085_194:
	s_or_b64 exec, exec, s[26:27]
	v_add_u32_e32 v19, -1, v31
	v_and_b32_e32 v20, 64, v31
	v_cmp_lt_i32_e64 s[16:17], v19, v20
	v_cndmask_b32_e64 v19, v19, v31, s[16:17]
	v_lshlrev_b32_e32 v19, 2, v19
	ds_bpermute_b32 v35, v19, v18
	v_cmp_eq_u32_e64 s[16:17], 0, v31
	s_and_saveexec_b64 s[26:27], vcc
	s_cbranch_execz .LBB1085_213
; %bb.195:
	v_mov_b32_e32 v25, 0
	ds_read_b32 v18, v25 offset:4
	s_and_saveexec_b64 s[28:29], s[16:17]
	s_cbranch_execz .LBB1085_197
; %bb.196:
	s_add_i32 s36, s6, 64
	s_mov_b32 s37, 0
	s_lshl_b64 s[36:37], s[36:37], 3
	s_add_u32 s36, s30, s36
	v_mov_b32_e32 v19, 1
	s_addc_u32 s37, s31, s37
	s_waitcnt lgkmcnt(0)
	global_store_dwordx2 v25, v[18:19], s[36:37]
.LBB1085_197:
	s_or_b64 exec, exec, s[28:29]
	v_xad_u32 v20, v31, -1, s6
	v_add_u32_e32 v24, 64, v20
	v_lshlrev_b64 v[22:23], 3, v[24:25]
	v_mov_b32_e32 v19, s31
	v_add_co_u32_e32 v26, vcc, s30, v22
	v_addc_co_u32_e32 v27, vcc, v19, v23, vcc
	global_load_dwordx2 v[22:23], v[26:27], off glc
	s_waitcnt vmcnt(0)
	v_cmp_eq_u16_sdwa s[36:37], v23, v25 src0_sel:BYTE_0 src1_sel:DWORD
	s_and_saveexec_b64 s[28:29], s[36:37]
	s_cbranch_execz .LBB1085_201
; %bb.198:
	s_mov_b64 s[36:37], 0
	v_mov_b32_e32 v19, 0
.LBB1085_199:                           ; =>This Inner Loop Header: Depth=1
	global_load_dwordx2 v[22:23], v[26:27], off glc
	s_waitcnt vmcnt(0)
	v_cmp_ne_u16_sdwa s[38:39], v23, v19 src0_sel:BYTE_0 src1_sel:DWORD
	s_or_b64 s[36:37], s[38:39], s[36:37]
	s_andn2_b64 exec, exec, s[36:37]
	s_cbranch_execnz .LBB1085_199
; %bb.200:
	s_or_b64 exec, exec, s[36:37]
.LBB1085_201:
	s_or_b64 exec, exec, s[28:29]
	v_and_b32_e32 v36, 63, v31
	v_mov_b32_e32 v19, 2
	v_cmp_ne_u32_e32 vcc, 63, v36
	v_cmp_eq_u16_sdwa s[28:29], v23, v19 src0_sel:BYTE_0 src1_sel:DWORD
	v_lshlrev_b64 v[24:25], v31, -1
	v_addc_co_u32_e32 v27, vcc, 0, v31, vcc
	v_and_b32_e32 v21, s29, v25
	v_lshlrev_b32_e32 v37, 2, v27
	v_or_b32_e32 v21, 0x80000000, v21
	ds_bpermute_b32 v27, v37, v22
	v_and_b32_e32 v26, s28, v24
	v_ffbl_b32_e32 v21, v21
	v_add_u32_e32 v21, 32, v21
	v_ffbl_b32_e32 v26, v26
	v_min_u32_e32 v21, v26, v21
	v_cmp_lt_u32_e32 vcc, v36, v21
	s_waitcnt lgkmcnt(0)
	v_cndmask_b32_e32 v26, 0, v27, vcc
	v_cmp_gt_u32_e32 vcc, 62, v36
	v_add_u32_e32 v22, v26, v22
	v_cndmask_b32_e64 v26, 0, 1, vcc
	v_lshlrev_b32_e32 v26, 1, v26
	v_add_lshl_u32 v38, v26, v31, 2
	ds_bpermute_b32 v26, v38, v22
	v_add_u32_e32 v39, 2, v36
	v_cmp_le_u32_e32 vcc, v39, v21
	v_add_u32_e32 v41, 4, v36
	v_add_u32_e32 v43, 8, v36
	s_waitcnt lgkmcnt(0)
	v_cndmask_b32_e32 v26, 0, v26, vcc
	v_cmp_gt_u32_e32 vcc, 60, v36
	v_add_u32_e32 v22, v22, v26
	v_cndmask_b32_e64 v26, 0, 1, vcc
	v_lshlrev_b32_e32 v26, 2, v26
	v_add_lshl_u32 v40, v26, v31, 2
	ds_bpermute_b32 v26, v40, v22
	v_cmp_le_u32_e32 vcc, v41, v21
	v_add_u32_e32 v46, 16, v36
	v_add_u32_e32 v48, 32, v36
	s_waitcnt lgkmcnt(0)
	v_cndmask_b32_e32 v26, 0, v26, vcc
	v_cmp_gt_u32_e32 vcc, 56, v36
	v_add_u32_e32 v22, v22, v26
	v_cndmask_b32_e64 v26, 0, 1, vcc
	v_lshlrev_b32_e32 v26, 3, v26
	v_add_lshl_u32 v42, v26, v31, 2
	ds_bpermute_b32 v26, v42, v22
	v_cmp_le_u32_e32 vcc, v43, v21
	s_waitcnt lgkmcnt(0)
	v_cndmask_b32_e32 v26, 0, v26, vcc
	v_cmp_gt_u32_e32 vcc, 48, v36
	v_add_u32_e32 v22, v22, v26
	v_cndmask_b32_e64 v26, 0, 1, vcc
	v_lshlrev_b32_e32 v26, 4, v26
	v_add_lshl_u32 v45, v26, v31, 2
	ds_bpermute_b32 v26, v45, v22
	v_cmp_le_u32_e32 vcc, v46, v21
	;; [unrolled: 9-line block ×3, first 2 shown]
	s_waitcnt lgkmcnt(0)
	v_cndmask_b32_e32 v21, 0, v26, vcc
	v_add_u32_e32 v22, v22, v21
	v_mov_b32_e32 v21, 0
	s_branch .LBB1085_203
.LBB1085_202:                           ;   in Loop: Header=BB1085_203 Depth=1
	s_or_b64 exec, exec, s[28:29]
	v_cmp_eq_u16_sdwa s[28:29], v23, v19 src0_sel:BYTE_0 src1_sel:DWORD
	v_and_b32_e32 v26, s29, v25
	v_or_b32_e32 v26, 0x80000000, v26
	ds_bpermute_b32 v49, v37, v22
	v_and_b32_e32 v27, s28, v24
	v_ffbl_b32_e32 v26, v26
	v_add_u32_e32 v26, 32, v26
	v_ffbl_b32_e32 v27, v27
	v_min_u32_e32 v26, v27, v26
	v_cmp_lt_u32_e32 vcc, v36, v26
	s_waitcnt lgkmcnt(0)
	v_cndmask_b32_e32 v27, 0, v49, vcc
	v_add_u32_e32 v22, v27, v22
	ds_bpermute_b32 v27, v38, v22
	v_cmp_le_u32_e32 vcc, v39, v26
	v_subrev_u32_e32 v20, 64, v20
	s_waitcnt lgkmcnt(0)
	v_cndmask_b32_e32 v27, 0, v27, vcc
	v_add_u32_e32 v22, v22, v27
	ds_bpermute_b32 v27, v40, v22
	v_cmp_le_u32_e32 vcc, v41, v26
	s_waitcnt lgkmcnt(0)
	v_cndmask_b32_e32 v27, 0, v27, vcc
	v_add_u32_e32 v22, v22, v27
	ds_bpermute_b32 v27, v42, v22
	v_cmp_le_u32_e32 vcc, v43, v26
	;; [unrolled: 5-line block ×4, first 2 shown]
	s_waitcnt lgkmcnt(0)
	v_cndmask_b32_e32 v26, 0, v27, vcc
	v_add3_u32 v22, v26, v44, v22
.LBB1085_203:                           ; =>This Loop Header: Depth=1
                                        ;     Child Loop BB1085_206 Depth 2
	v_cmp_ne_u16_sdwa s[28:29], v23, v19 src0_sel:BYTE_0 src1_sel:DWORD
	v_cndmask_b32_e64 v23, 0, 1, s[28:29]
	;;#ASMSTART
	;;#ASMEND
	v_cmp_ne_u32_e32 vcc, 0, v23
	s_cmp_lg_u64 vcc, exec
	v_mov_b32_e32 v44, v22
	s_cbranch_scc1 .LBB1085_208
; %bb.204:                              ;   in Loop: Header=BB1085_203 Depth=1
	v_lshlrev_b64 v[22:23], 3, v[20:21]
	v_mov_b32_e32 v27, s31
	v_add_co_u32_e32 v26, vcc, s30, v22
	v_addc_co_u32_e32 v27, vcc, v27, v23, vcc
	global_load_dwordx2 v[22:23], v[26:27], off glc
	s_waitcnt vmcnt(0)
	v_cmp_eq_u16_sdwa s[36:37], v23, v21 src0_sel:BYTE_0 src1_sel:DWORD
	s_and_saveexec_b64 s[28:29], s[36:37]
	s_cbranch_execz .LBB1085_202
; %bb.205:                              ;   in Loop: Header=BB1085_203 Depth=1
	s_mov_b64 s[36:37], 0
.LBB1085_206:                           ;   Parent Loop BB1085_203 Depth=1
                                        ; =>  This Inner Loop Header: Depth=2
	global_load_dwordx2 v[22:23], v[26:27], off glc
	s_waitcnt vmcnt(0)
	v_cmp_ne_u16_sdwa s[38:39], v23, v21 src0_sel:BYTE_0 src1_sel:DWORD
	s_or_b64 s[36:37], s[38:39], s[36:37]
	s_andn2_b64 exec, exec, s[36:37]
	s_cbranch_execnz .LBB1085_206
; %bb.207:                              ;   in Loop: Header=BB1085_203 Depth=1
	s_or_b64 exec, exec, s[36:37]
	s_branch .LBB1085_202
.LBB1085_208:                           ;   in Loop: Header=BB1085_203 Depth=1
                                        ; implicit-def: $vgpr22
                                        ; implicit-def: $vgpr23
	s_cbranch_execz .LBB1085_203
; %bb.209:
	s_and_saveexec_b64 s[28:29], s[16:17]
	s_cbranch_execz .LBB1085_211
; %bb.210:
	s_add_i32 s6, s6, 64
	s_mov_b32 s7, 0
	s_lshl_b64 s[6:7], s[6:7], 3
	s_add_u32 s6, s30, s6
	v_add_u32_e32 v20, v44, v18
	v_mov_b32_e32 v21, 2
	s_addc_u32 s7, s31, s7
	v_mov_b32_e32 v19, 0
	global_store_dwordx2 v19, v[20:21], s[6:7]
	s_movk_i32 s6, 0x1000
	v_add_u32_e64 v19, s6, 0
	ds_write2_b32 v19, v18, v44 offset0:32 offset1:34
.LBB1085_211:
	s_or_b64 exec, exec, s[28:29]
	v_cmp_eq_u32_e32 vcc, 0, v0
	s_and_b64 exec, exec, vcc
	s_cbranch_execz .LBB1085_213
; %bb.212:
	v_mov_b32_e32 v18, 0
	ds_write_b32 v18, v44 offset:4
.LBB1085_213:
	s_or_b64 exec, exec, s[26:27]
	v_mov_b32_e32 v19, 0
	s_waitcnt lgkmcnt(0)
	s_barrier
	ds_read_b32 v19, v19 offset:4
	s_movk_i32 s6, 0x1000
	v_add_u32_e64 v20, s6, 0
	v_cndmask_b32_e64 v18, v35, v34, s[16:17]
	v_cmp_ne_u32_e32 vcc, 0, v0
	s_waitcnt lgkmcnt(0)
	s_barrier
	ds_read2_b32 v[26:27], v20 offset0:32 offset1:34
	v_cndmask_b32_e32 v18, 0, v18, vcc
	v_add_u32_e32 v24, v19, v18
	v_add_u32_sdwa v22, v24, v28 dst_sel:DWORD dst_unused:UNUSED_PAD src0_sel:DWORD src1_sel:BYTE_0
	v_add_u32_sdwa v20, v22, v28 dst_sel:DWORD dst_unused:UNUSED_PAD src0_sel:DWORD src1_sel:BYTE_1
	v_add_u32_e32 v18, v20, v30
	s_waitcnt lgkmcnt(0)
	v_readfirstlane_b32 s26, v26
	v_readfirstlane_b32 s16, v27
	s_branch .LBB1085_224
.LBB1085_214:
                                        ; implicit-def: $vgpr18
                                        ; implicit-def: $vgpr20
                                        ; implicit-def: $vgpr22
                                        ; implicit-def: $vgpr24
                                        ; implicit-def: $sgpr16
                                        ; implicit-def: $sgpr26
	s_cbranch_execz .LBB1085_224
; %bb.215:
	s_nop 0
	v_mov_b32_dpp v18, v33 row_shr:1 row_mask:0xf bank_mask:0xf
	v_cndmask_b32_e64 v18, v18, 0, s[14:15]
	v_add_u32_e32 v18, v18, v33
	s_nop 1
	v_mov_b32_dpp v19, v18 row_shr:2 row_mask:0xf bank_mask:0xf
	v_cndmask_b32_e64 v19, 0, v19, s[12:13]
	v_add_u32_e32 v18, v18, v19
	;; [unrolled: 4-line block ×4, first 2 shown]
	s_nop 1
	v_mov_b32_dpp v19, v18 row_bcast:15 row_mask:0xf bank_mask:0xf
	v_cndmask_b32_e64 v19, v19, 0, s[18:19]
	v_add_u32_e32 v18, v18, v19
	s_nop 1
	v_mov_b32_dpp v19, v18 row_bcast:31 row_mask:0xf bank_mask:0xf
	v_cndmask_b32_e64 v19, 0, v19, s[0:1]
	v_add_u32_e32 v18, v18, v19
	s_and_saveexec_b64 s[0:1], s[2:3]
	s_cbranch_execz .LBB1085_217
; %bb.216:
	v_lshlrev_b32_e32 v19, 2, v32
	ds_write_b32 v19, v18
.LBB1085_217:
	s_or_b64 exec, exec, s[0:1]
	v_cmp_gt_u32_e32 vcc, 2, v0
	s_waitcnt lgkmcnt(0)
	s_barrier
	s_and_saveexec_b64 s[0:1], vcc
	s_cbranch_execz .LBB1085_219
; %bb.218:
	ds_read_b32 v19, v1
	v_bfe_i32 v20, v31, 0, 1
	s_waitcnt lgkmcnt(0)
	v_mov_b32_dpp v21, v19 row_shr:1 row_mask:0xf bank_mask:0xf
	v_and_b32_e32 v20, v20, v21
	v_add_u32_e32 v19, v20, v19
	ds_write_b32 v1, v19
.LBB1085_219:
	s_or_b64 exec, exec, s[0:1]
	v_cmp_lt_u32_e32 vcc, 63, v0
	v_mov_b32_e32 v19, 0
	v_mov_b32_e32 v1, 0
	s_waitcnt lgkmcnt(0)
	s_barrier
	s_and_saveexec_b64 s[0:1], vcc
	s_cbranch_execz .LBB1085_221
; %bb.220:
	v_lshl_add_u32 v1, v32, 2, -4
	ds_read_b32 v1, v1
.LBB1085_221:
	s_or_b64 exec, exec, s[0:1]
	v_add_u32_e32 v20, -1, v31
	v_and_b32_e32 v21, 64, v31
	v_cmp_lt_i32_e32 vcc, v20, v21
	v_cndmask_b32_e32 v20, v20, v31, vcc
	s_waitcnt lgkmcnt(0)
	v_add_u32_e32 v18, v1, v18
	v_lshlrev_b32_e32 v20, 2, v20
	ds_read_b32 v19, v19 offset:4
	ds_bpermute_b32 v18, v20, v18
	s_mov_b32 s16, 0
	v_cmp_eq_u32_e32 vcc, 0, v0
	s_waitcnt lgkmcnt(1)
	v_readfirstlane_b32 s26, v19
	s_and_saveexec_b64 s[0:1], vcc
	s_cbranch_execz .LBB1085_223
; %bb.222:
	v_mov_b32_e32 v19, 0
	v_mov_b32_e32 v20, s26
	;; [unrolled: 1-line block ×3, first 2 shown]
	global_store_dwordx2 v19, v[20:21], s[30:31] offset:512
.LBB1085_223:
	s_or_b64 exec, exec, s[0:1]
	v_cmp_eq_u32_e64 s[0:1], 0, v31
	s_waitcnt lgkmcnt(0)
	v_cndmask_b32_e64 v1, v18, v1, s[0:1]
	v_cndmask_b32_e64 v24, v1, 0, vcc
	v_add_u32_sdwa v22, v24, v28 dst_sel:DWORD dst_unused:UNUSED_PAD src0_sel:DWORD src1_sel:BYTE_0
	v_add_u32_sdwa v20, v22, v28 dst_sel:DWORD dst_unused:UNUSED_PAD src0_sel:DWORD src1_sel:BYTE_1
	v_add_u32_e32 v18, v20, v30
	s_barrier
.LBB1085_224:
	s_load_dwordx4 s[4:7], s[4:5], 0x28
	s_cmpk_lt_u32 s26, 0x81
	s_cselect_b64 s[2:3], -1, 0
	v_lshrrev_b32_e32 v1, 8, v28
	s_mov_b64 s[0:1], -1
	s_and_b64 vcc, exec, s[2:3]
	s_cbranch_vccz .LBB1085_238
; %bb.225:
	s_add_i32 s8, s16, s26
	v_cmp_gt_u32_e32 vcc, s8, v24
	s_or_b64 s[10:11], s[34:35], vcc
	s_and_saveexec_b64 s[0:1], s[10:11]
	s_cbranch_execz .LBB1085_228
; %bb.226:
	v_and_b32_e32 v19, 1, v28
	v_cmp_eq_u32_e32 vcc, 1, v19
	s_and_b64 exec, exec, vcc
	s_cbranch_execz .LBB1085_228
; %bb.227:
	s_lshl_b64 s[10:11], s[22:23], 3
	s_waitcnt lgkmcnt(0)
	s_add_u32 s9, s4, s10
	v_mov_b32_e32 v25, 0
	s_addc_u32 s10, s5, s11
	v_lshlrev_b64 v[26:27], 3, v[24:25]
	v_mov_b32_e32 v19, s10
	v_add_co_u32_e32 v26, vcc, s9, v26
	v_addc_co_u32_e32 v27, vcc, v19, v27, vcc
	global_store_dwordx2 v[26:27], v[14:15], off
.LBB1085_228:
	s_or_b64 exec, exec, s[0:1]
	v_cmp_gt_u32_e32 vcc, s8, v22
	s_or_b64 s[10:11], s[34:35], vcc
	s_and_saveexec_b64 s[0:1], s[10:11]
	s_cbranch_execz .LBB1085_231
; %bb.229:
	v_and_b32_e32 v19, 1, v1
	v_cmp_eq_u32_e32 vcc, 1, v19
	s_and_b64 exec, exec, vcc
	s_cbranch_execz .LBB1085_231
; %bb.230:
	s_lshl_b64 s[10:11], s[22:23], 3
	s_waitcnt lgkmcnt(0)
	s_add_u32 s9, s4, s10
	v_mov_b32_e32 v23, 0
	s_addc_u32 s10, s5, s11
	v_lshlrev_b64 v[26:27], 3, v[22:23]
	v_mov_b32_e32 v19, s10
	v_add_co_u32_e32 v26, vcc, s9, v26
	v_addc_co_u32_e32 v27, vcc, v19, v27, vcc
	global_store_dwordx2 v[26:27], v[16:17], off
.LBB1085_231:
	s_or_b64 exec, exec, s[0:1]
	v_cmp_gt_u32_e32 vcc, s8, v20
	s_or_b64 s[10:11], s[34:35], vcc
	s_and_saveexec_b64 s[0:1], s[10:11]
	s_cbranch_execz .LBB1085_234
; %bb.232:
	v_mov_b32_e32 v19, 1
	v_and_b32_sdwa v19, v19, v28 dst_sel:DWORD dst_unused:UNUSED_PAD src0_sel:DWORD src1_sel:WORD_1
	v_cmp_eq_u32_e32 vcc, 1, v19
	s_and_b64 exec, exec, vcc
	s_cbranch_execz .LBB1085_234
; %bb.233:
	s_lshl_b64 s[10:11], s[22:23], 3
	s_waitcnt lgkmcnt(0)
	s_add_u32 s9, s4, s10
	v_mov_b32_e32 v21, 0
	s_addc_u32 s10, s5, s11
	v_lshlrev_b64 v[26:27], 3, v[20:21]
	v_mov_b32_e32 v19, s10
	v_add_co_u32_e32 v26, vcc, s9, v26
	v_addc_co_u32_e32 v27, vcc, v19, v27, vcc
	global_store_dwordx2 v[26:27], v[10:11], off
.LBB1085_234:
	s_or_b64 exec, exec, s[0:1]
	v_cmp_gt_u32_e32 vcc, s8, v18
	s_or_b64 s[8:9], s[34:35], vcc
	s_and_saveexec_b64 s[0:1], s[8:9]
	s_cbranch_execz .LBB1085_237
; %bb.235:
	v_and_b32_e32 v19, 1, v29
	v_cmp_eq_u32_e32 vcc, 1, v19
	s_and_b64 exec, exec, vcc
	s_cbranch_execz .LBB1085_237
; %bb.236:
	s_lshl_b64 s[8:9], s[22:23], 3
	s_waitcnt lgkmcnt(0)
	s_add_u32 s8, s4, s8
	v_mov_b32_e32 v19, 0
	s_addc_u32 s9, s5, s9
	v_lshlrev_b64 v[26:27], 3, v[18:19]
	v_mov_b32_e32 v19, s9
	v_add_co_u32_e32 v26, vcc, s8, v26
	v_addc_co_u32_e32 v27, vcc, v19, v27, vcc
	global_store_dwordx2 v[26:27], v[12:13], off
.LBB1085_237:
	s_or_b64 exec, exec, s[0:1]
	s_mov_b64 s[0:1], 0
.LBB1085_238:
	v_and_b32_e32 v26, 1, v28
	s_and_b64 vcc, exec, s[0:1]
	v_cmp_eq_u32_e64 s[0:1], 1, v26
	s_cbranch_vccz .LBB1085_251
; %bb.239:
	s_and_saveexec_b64 s[8:9], s[0:1]
	s_cbranch_execz .LBB1085_241
; %bb.240:
	v_subrev_u32_e32 v19, s16, v24
	v_lshlrev_b32_e32 v19, 3, v19
	ds_write_b64 v19, v[14:15]
.LBB1085_241:
	s_or_b64 exec, exec, s[8:9]
	v_and_b32_e32 v14, 1, v1
	v_cmp_eq_u32_e32 vcc, 1, v14
	s_and_saveexec_b64 s[0:1], vcc
	s_cbranch_execz .LBB1085_243
; %bb.242:
	v_subrev_u32_e32 v14, s16, v22
	v_lshlrev_b32_e32 v14, 3, v14
	ds_write_b64 v14, v[16:17]
.LBB1085_243:
	s_or_b64 exec, exec, s[0:1]
	v_mov_b32_e32 v14, 1
	v_and_b32_sdwa v14, v14, v28 dst_sel:DWORD dst_unused:UNUSED_PAD src0_sel:DWORD src1_sel:WORD_1
	v_cmp_eq_u32_e32 vcc, 1, v14
	s_and_saveexec_b64 s[0:1], vcc
	s_cbranch_execz .LBB1085_245
; %bb.244:
	v_subrev_u32_e32 v14, s16, v20
	v_lshlrev_b32_e32 v14, 3, v14
	ds_write_b64 v14, v[10:11]
.LBB1085_245:
	s_or_b64 exec, exec, s[0:1]
	v_and_b32_e32 v10, 1, v29
	v_cmp_eq_u32_e32 vcc, 1, v10
	s_and_saveexec_b64 s[0:1], vcc
	s_cbranch_execz .LBB1085_247
; %bb.246:
	v_subrev_u32_e32 v10, s16, v18
	v_lshlrev_b32_e32 v10, 3, v10
	ds_write_b64 v10, v[12:13]
.LBB1085_247:
	s_or_b64 exec, exec, s[0:1]
	v_cmp_gt_u32_e32 vcc, s26, v0
	s_waitcnt lgkmcnt(0)
	s_barrier
	s_and_saveexec_b64 s[0:1], vcc
	s_cbranch_execz .LBB1085_250
; %bb.248:
	s_mov_b32 s17, 0
	s_lshl_b64 s[8:9], s[16:17], 3
	s_add_u32 s8, s4, s8
	s_addc_u32 s9, s5, s9
	s_lshl_b64 s[4:5], s[22:23], 3
	s_add_u32 s8, s8, s4
	s_addc_u32 s9, s9, s5
	v_lshlrev_b32_e32 v12, 3, v0
	s_mov_b64 s[4:5], 0
	v_mov_b32_e32 v11, 0
	v_mov_b32_e32 v13, s9
	;; [unrolled: 1-line block ×3, first 2 shown]
.LBB1085_249:                           ; =>This Inner Loop Header: Depth=1
	ds_read_b64 v[14:15], v12
	v_lshlrev_b64 v[16:17], 3, v[10:11]
	v_add_co_u32_e32 v16, vcc, s8, v16
	v_add_u32_e32 v10, 0x80, v10
	v_addc_co_u32_e32 v17, vcc, v13, v17, vcc
	v_cmp_le_u32_e32 vcc, s26, v10
	v_add_u32_e32 v12, 0x400, v12
	s_or_b64 s[4:5], vcc, s[4:5]
	s_waitcnt lgkmcnt(0)
	global_store_dwordx2 v[16:17], v[14:15], off
	s_andn2_b64 exec, exec, s[4:5]
	s_cbranch_execnz .LBB1085_249
.LBB1085_250:
	s_or_b64 exec, exec, s[0:1]
.LBB1085_251:
	s_mov_b64 s[0:1], -1
	s_and_b64 vcc, exec, s[2:3]
	s_waitcnt lgkmcnt(0)
	s_barrier
	s_cbranch_vccnz .LBB1085_255
; %bb.252:
	s_and_b64 vcc, exec, s[0:1]
	s_cbranch_vccnz .LBB1085_268
.LBB1085_253:
	v_cmp_eq_u32_e32 vcc, 0, v0
	s_and_b64 s[0:1], vcc, s[24:25]
	s_and_saveexec_b64 s[2:3], s[0:1]
	s_cbranch_execnz .LBB1085_280
.LBB1085_254:
	s_endpgm
.LBB1085_255:
	s_add_i32 s2, s16, s26
	v_cmp_gt_u32_e32 vcc, s2, v24
	s_or_b64 s[4:5], s[34:35], vcc
	s_and_saveexec_b64 s[0:1], s[4:5]
	s_cbranch_execz .LBB1085_258
; %bb.256:
	v_cmp_eq_u32_e32 vcc, 1, v26
	s_and_b64 exec, exec, vcc
	s_cbranch_execz .LBB1085_258
; %bb.257:
	s_lshl_b64 s[4:5], s[22:23], 3
	s_add_u32 s3, s6, s4
	v_mov_b32_e32 v25, 0
	s_addc_u32 s4, s7, s5
	v_lshlrev_b64 v[10:11], 3, v[24:25]
	v_mov_b32_e32 v12, s4
	v_add_co_u32_e32 v10, vcc, s3, v10
	v_addc_co_u32_e32 v11, vcc, v12, v11, vcc
	global_store_dwordx2 v[10:11], v[6:7], off
.LBB1085_258:
	s_or_b64 exec, exec, s[0:1]
	v_cmp_gt_u32_e32 vcc, s2, v22
	s_or_b64 s[4:5], s[34:35], vcc
	s_and_saveexec_b64 s[0:1], s[4:5]
	s_cbranch_execz .LBB1085_261
; %bb.259:
	v_and_b32_e32 v10, 1, v1
	v_cmp_eq_u32_e32 vcc, 1, v10
	s_and_b64 exec, exec, vcc
	s_cbranch_execz .LBB1085_261
; %bb.260:
	s_lshl_b64 s[4:5], s[22:23], 3
	s_add_u32 s3, s6, s4
	v_mov_b32_e32 v23, 0
	s_addc_u32 s4, s7, s5
	v_lshlrev_b64 v[10:11], 3, v[22:23]
	v_mov_b32_e32 v12, s4
	v_add_co_u32_e32 v10, vcc, s3, v10
	v_addc_co_u32_e32 v11, vcc, v12, v11, vcc
	global_store_dwordx2 v[10:11], v[8:9], off
.LBB1085_261:
	s_or_b64 exec, exec, s[0:1]
	v_cmp_gt_u32_e32 vcc, s2, v20
	s_or_b64 s[4:5], s[34:35], vcc
	s_and_saveexec_b64 s[0:1], s[4:5]
	s_cbranch_execz .LBB1085_264
; %bb.262:
	v_mov_b32_e32 v10, 1
	v_and_b32_sdwa v10, v10, v28 dst_sel:DWORD dst_unused:UNUSED_PAD src0_sel:DWORD src1_sel:WORD_1
	v_cmp_eq_u32_e32 vcc, 1, v10
	s_and_b64 exec, exec, vcc
	s_cbranch_execz .LBB1085_264
; %bb.263:
	s_lshl_b64 s[4:5], s[22:23], 3
	s_add_u32 s3, s6, s4
	v_mov_b32_e32 v21, 0
	s_addc_u32 s4, s7, s5
	v_lshlrev_b64 v[10:11], 3, v[20:21]
	v_mov_b32_e32 v12, s4
	v_add_co_u32_e32 v10, vcc, s3, v10
	v_addc_co_u32_e32 v11, vcc, v12, v11, vcc
	global_store_dwordx2 v[10:11], v[2:3], off
.LBB1085_264:
	s_or_b64 exec, exec, s[0:1]
	v_cmp_gt_u32_e32 vcc, s2, v18
	s_or_b64 s[2:3], s[34:35], vcc
	s_and_saveexec_b64 s[0:1], s[2:3]
	s_cbranch_execz .LBB1085_267
; %bb.265:
	v_and_b32_e32 v10, 1, v29
	v_cmp_eq_u32_e32 vcc, 1, v10
	s_and_b64 exec, exec, vcc
	s_cbranch_execz .LBB1085_267
; %bb.266:
	s_lshl_b64 s[2:3], s[22:23], 3
	s_add_u32 s2, s6, s2
	v_mov_b32_e32 v19, 0
	s_addc_u32 s3, s7, s3
	v_lshlrev_b64 v[10:11], 3, v[18:19]
	v_mov_b32_e32 v12, s3
	v_add_co_u32_e32 v10, vcc, s2, v10
	v_addc_co_u32_e32 v11, vcc, v12, v11, vcc
	global_store_dwordx2 v[10:11], v[4:5], off
.LBB1085_267:
	s_or_b64 exec, exec, s[0:1]
	s_branch .LBB1085_253
.LBB1085_268:
	v_cmp_eq_u32_e32 vcc, 1, v26
	s_and_saveexec_b64 s[0:1], vcc
	s_cbranch_execz .LBB1085_270
; %bb.269:
	v_subrev_u32_e32 v10, s16, v24
	v_lshlrev_b32_e32 v10, 3, v10
	ds_write_b64 v10, v[6:7]
.LBB1085_270:
	s_or_b64 exec, exec, s[0:1]
	v_and_b32_e32 v1, 1, v1
	v_cmp_eq_u32_e32 vcc, 1, v1
	s_and_saveexec_b64 s[0:1], vcc
	s_cbranch_execz .LBB1085_272
; %bb.271:
	v_subrev_u32_e32 v1, s16, v22
	v_lshlrev_b32_e32 v1, 3, v1
	ds_write_b64 v1, v[8:9]
.LBB1085_272:
	s_or_b64 exec, exec, s[0:1]
	v_mov_b32_e32 v1, 1
	v_and_b32_sdwa v1, v1, v28 dst_sel:DWORD dst_unused:UNUSED_PAD src0_sel:DWORD src1_sel:WORD_1
	v_cmp_eq_u32_e32 vcc, 1, v1
	s_and_saveexec_b64 s[0:1], vcc
	s_cbranch_execz .LBB1085_274
; %bb.273:
	v_subrev_u32_e32 v1, s16, v20
	v_lshlrev_b32_e32 v1, 3, v1
	ds_write_b64 v1, v[2:3]
.LBB1085_274:
	s_or_b64 exec, exec, s[0:1]
	v_and_b32_e32 v1, 1, v29
	v_cmp_eq_u32_e32 vcc, 1, v1
	s_and_saveexec_b64 s[0:1], vcc
	s_cbranch_execz .LBB1085_276
; %bb.275:
	v_subrev_u32_e32 v1, s16, v18
	v_lshlrev_b32_e32 v1, 3, v1
	ds_write_b64 v1, v[4:5]
.LBB1085_276:
	s_or_b64 exec, exec, s[0:1]
	v_cmp_gt_u32_e32 vcc, s26, v0
	s_waitcnt lgkmcnt(0)
	s_barrier
	s_and_saveexec_b64 s[0:1], vcc
	s_cbranch_execz .LBB1085_279
; %bb.277:
	s_mov_b32 s17, 0
	s_lshl_b64 s[2:3], s[16:17], 3
	s_add_u32 s4, s6, s2
	s_addc_u32 s5, s7, s3
	s_lshl_b64 s[2:3], s[22:23], 3
	s_add_u32 s4, s4, s2
	s_addc_u32 s5, s5, s3
	v_lshlrev_b32_e32 v1, 3, v0
	s_mov_b64 s[2:3], 0
	v_mov_b32_e32 v3, 0
	v_mov_b32_e32 v4, s5
	;; [unrolled: 1-line block ×3, first 2 shown]
.LBB1085_278:                           ; =>This Inner Loop Header: Depth=1
	ds_read_b64 v[6:7], v1
	v_lshlrev_b64 v[8:9], 3, v[2:3]
	v_add_co_u32_e32 v8, vcc, s4, v8
	v_add_u32_e32 v2, 0x80, v2
	v_addc_co_u32_e32 v9, vcc, v4, v9, vcc
	v_cmp_le_u32_e32 vcc, s26, v2
	v_add_u32_e32 v1, 0x400, v1
	s_or_b64 s[2:3], vcc, s[2:3]
	s_waitcnt lgkmcnt(0)
	global_store_dwordx2 v[8:9], v[6:7], off
	s_andn2_b64 exec, exec, s[2:3]
	s_cbranch_execnz .LBB1085_278
.LBB1085_279:
	s_or_b64 exec, exec, s[0:1]
	v_cmp_eq_u32_e32 vcc, 0, v0
	s_and_b64 s[0:1], vcc, s[24:25]
	s_and_saveexec_b64 s[2:3], s[0:1]
	s_cbranch_execz .LBB1085_254
.LBB1085_280:
	s_add_u32 s0, s22, s26
	s_addc_u32 s1, s23, 0
	s_add_u32 s0, s0, s16
	s_addc_u32 s1, s1, 0
	v_mov_b32_e32 v2, 0
	v_pk_mov_b32 v[0:1], s[0:1], s[0:1] op_sel:[0,1]
	global_store_dwordx2 v2, v[0:1], s[20:21]
	s_endpgm
	.section	.rodata,"a",@progbits
	.p2align	6, 0x0
	.amdhsa_kernel _ZN7rocprim17ROCPRIM_400000_NS6detail17trampoline_kernelINS0_14default_configENS1_25partition_config_selectorILNS1_17partition_subalgoE9EllbEEZZNS1_14partition_implILS5_9ELb0ES3_jPlS8_PNS0_10empty_typeENS0_5tupleIJS8_S9_EEENSB_IJS8_SA_EEENS0_18inequality_wrapperIZN2at6native12_GLOBAL__N_124unique_dim_cuda_templateIbEESt5tupleIJNSF_6TensorESK_SK_EERKSK_lbbbEUlllE0_EEPmJS9_EEE10hipError_tPvRmT3_T4_T5_T6_T7_T9_mT8_P12ihipStream_tbDpT10_ENKUlT_T0_E_clISt17integral_constantIbLb0EES1A_EEDaS15_S16_EUlS15_E_NS1_11comp_targetILNS1_3genE4ELNS1_11target_archE910ELNS1_3gpuE8ELNS1_3repE0EEENS1_30default_config_static_selectorELNS0_4arch9wavefront6targetE1EEEvT1_
		.amdhsa_group_segment_fixed_size 4236
		.amdhsa_private_segment_fixed_size 0
		.amdhsa_kernarg_size 120
		.amdhsa_user_sgpr_count 6
		.amdhsa_user_sgpr_private_segment_buffer 1
		.amdhsa_user_sgpr_dispatch_ptr 0
		.amdhsa_user_sgpr_queue_ptr 0
		.amdhsa_user_sgpr_kernarg_segment_ptr 1
		.amdhsa_user_sgpr_dispatch_id 0
		.amdhsa_user_sgpr_flat_scratch_init 0
		.amdhsa_user_sgpr_kernarg_preload_length 0
		.amdhsa_user_sgpr_kernarg_preload_offset 0
		.amdhsa_user_sgpr_private_segment_size 0
		.amdhsa_uses_dynamic_stack 0
		.amdhsa_system_sgpr_private_segment_wavefront_offset 0
		.amdhsa_system_sgpr_workgroup_id_x 1
		.amdhsa_system_sgpr_workgroup_id_y 0
		.amdhsa_system_sgpr_workgroup_id_z 0
		.amdhsa_system_sgpr_workgroup_info 0
		.amdhsa_system_vgpr_workitem_id 0
		.amdhsa_next_free_vgpr 50
		.amdhsa_next_free_sgpr 46
		.amdhsa_accum_offset 52
		.amdhsa_reserve_vcc 1
		.amdhsa_reserve_flat_scratch 0
		.amdhsa_float_round_mode_32 0
		.amdhsa_float_round_mode_16_64 0
		.amdhsa_float_denorm_mode_32 3
		.amdhsa_float_denorm_mode_16_64 3
		.amdhsa_dx10_clamp 1
		.amdhsa_ieee_mode 1
		.amdhsa_fp16_overflow 0
		.amdhsa_tg_split 0
		.amdhsa_exception_fp_ieee_invalid_op 0
		.amdhsa_exception_fp_denorm_src 0
		.amdhsa_exception_fp_ieee_div_zero 0
		.amdhsa_exception_fp_ieee_overflow 0
		.amdhsa_exception_fp_ieee_underflow 0
		.amdhsa_exception_fp_ieee_inexact 0
		.amdhsa_exception_int_div_zero 0
	.end_amdhsa_kernel
	.section	.text._ZN7rocprim17ROCPRIM_400000_NS6detail17trampoline_kernelINS0_14default_configENS1_25partition_config_selectorILNS1_17partition_subalgoE9EllbEEZZNS1_14partition_implILS5_9ELb0ES3_jPlS8_PNS0_10empty_typeENS0_5tupleIJS8_S9_EEENSB_IJS8_SA_EEENS0_18inequality_wrapperIZN2at6native12_GLOBAL__N_124unique_dim_cuda_templateIbEESt5tupleIJNSF_6TensorESK_SK_EERKSK_lbbbEUlllE0_EEPmJS9_EEE10hipError_tPvRmT3_T4_T5_T6_T7_T9_mT8_P12ihipStream_tbDpT10_ENKUlT_T0_E_clISt17integral_constantIbLb0EES1A_EEDaS15_S16_EUlS15_E_NS1_11comp_targetILNS1_3genE4ELNS1_11target_archE910ELNS1_3gpuE8ELNS1_3repE0EEENS1_30default_config_static_selectorELNS0_4arch9wavefront6targetE1EEEvT1_,"axG",@progbits,_ZN7rocprim17ROCPRIM_400000_NS6detail17trampoline_kernelINS0_14default_configENS1_25partition_config_selectorILNS1_17partition_subalgoE9EllbEEZZNS1_14partition_implILS5_9ELb0ES3_jPlS8_PNS0_10empty_typeENS0_5tupleIJS8_S9_EEENSB_IJS8_SA_EEENS0_18inequality_wrapperIZN2at6native12_GLOBAL__N_124unique_dim_cuda_templateIbEESt5tupleIJNSF_6TensorESK_SK_EERKSK_lbbbEUlllE0_EEPmJS9_EEE10hipError_tPvRmT3_T4_T5_T6_T7_T9_mT8_P12ihipStream_tbDpT10_ENKUlT_T0_E_clISt17integral_constantIbLb0EES1A_EEDaS15_S16_EUlS15_E_NS1_11comp_targetILNS1_3genE4ELNS1_11target_archE910ELNS1_3gpuE8ELNS1_3repE0EEENS1_30default_config_static_selectorELNS0_4arch9wavefront6targetE1EEEvT1_,comdat
.Lfunc_end1085:
	.size	_ZN7rocprim17ROCPRIM_400000_NS6detail17trampoline_kernelINS0_14default_configENS1_25partition_config_selectorILNS1_17partition_subalgoE9EllbEEZZNS1_14partition_implILS5_9ELb0ES3_jPlS8_PNS0_10empty_typeENS0_5tupleIJS8_S9_EEENSB_IJS8_SA_EEENS0_18inequality_wrapperIZN2at6native12_GLOBAL__N_124unique_dim_cuda_templateIbEESt5tupleIJNSF_6TensorESK_SK_EERKSK_lbbbEUlllE0_EEPmJS9_EEE10hipError_tPvRmT3_T4_T5_T6_T7_T9_mT8_P12ihipStream_tbDpT10_ENKUlT_T0_E_clISt17integral_constantIbLb0EES1A_EEDaS15_S16_EUlS15_E_NS1_11comp_targetILNS1_3genE4ELNS1_11target_archE910ELNS1_3gpuE8ELNS1_3repE0EEENS1_30default_config_static_selectorELNS0_4arch9wavefront6targetE1EEEvT1_, .Lfunc_end1085-_ZN7rocprim17ROCPRIM_400000_NS6detail17trampoline_kernelINS0_14default_configENS1_25partition_config_selectorILNS1_17partition_subalgoE9EllbEEZZNS1_14partition_implILS5_9ELb0ES3_jPlS8_PNS0_10empty_typeENS0_5tupleIJS8_S9_EEENSB_IJS8_SA_EEENS0_18inequality_wrapperIZN2at6native12_GLOBAL__N_124unique_dim_cuda_templateIbEESt5tupleIJNSF_6TensorESK_SK_EERKSK_lbbbEUlllE0_EEPmJS9_EEE10hipError_tPvRmT3_T4_T5_T6_T7_T9_mT8_P12ihipStream_tbDpT10_ENKUlT_T0_E_clISt17integral_constantIbLb0EES1A_EEDaS15_S16_EUlS15_E_NS1_11comp_targetILNS1_3genE4ELNS1_11target_archE910ELNS1_3gpuE8ELNS1_3repE0EEENS1_30default_config_static_selectorELNS0_4arch9wavefront6targetE1EEEvT1_
                                        ; -- End function
	.section	.AMDGPU.csdata,"",@progbits
; Kernel info:
; codeLenInByte = 10028
; NumSgprs: 50
; NumVgprs: 50
; NumAgprs: 0
; TotalNumVgprs: 50
; ScratchSize: 0
; MemoryBound: 0
; FloatMode: 240
; IeeeMode: 1
; LDSByteSize: 4236 bytes/workgroup (compile time only)
; SGPRBlocks: 6
; VGPRBlocks: 6
; NumSGPRsForWavesPerEU: 50
; NumVGPRsForWavesPerEU: 50
; AccumOffset: 52
; Occupancy: 8
; WaveLimiterHint : 1
; COMPUTE_PGM_RSRC2:SCRATCH_EN: 0
; COMPUTE_PGM_RSRC2:USER_SGPR: 6
; COMPUTE_PGM_RSRC2:TRAP_HANDLER: 0
; COMPUTE_PGM_RSRC2:TGID_X_EN: 1
; COMPUTE_PGM_RSRC2:TGID_Y_EN: 0
; COMPUTE_PGM_RSRC2:TGID_Z_EN: 0
; COMPUTE_PGM_RSRC2:TIDIG_COMP_CNT: 0
; COMPUTE_PGM_RSRC3_GFX90A:ACCUM_OFFSET: 12
; COMPUTE_PGM_RSRC3_GFX90A:TG_SPLIT: 0
	.section	.text._ZN7rocprim17ROCPRIM_400000_NS6detail17trampoline_kernelINS0_14default_configENS1_25partition_config_selectorILNS1_17partition_subalgoE9EllbEEZZNS1_14partition_implILS5_9ELb0ES3_jPlS8_PNS0_10empty_typeENS0_5tupleIJS8_S9_EEENSB_IJS8_SA_EEENS0_18inequality_wrapperIZN2at6native12_GLOBAL__N_124unique_dim_cuda_templateIbEESt5tupleIJNSF_6TensorESK_SK_EERKSK_lbbbEUlllE0_EEPmJS9_EEE10hipError_tPvRmT3_T4_T5_T6_T7_T9_mT8_P12ihipStream_tbDpT10_ENKUlT_T0_E_clISt17integral_constantIbLb0EES1A_EEDaS15_S16_EUlS15_E_NS1_11comp_targetILNS1_3genE3ELNS1_11target_archE908ELNS1_3gpuE7ELNS1_3repE0EEENS1_30default_config_static_selectorELNS0_4arch9wavefront6targetE1EEEvT1_,"axG",@progbits,_ZN7rocprim17ROCPRIM_400000_NS6detail17trampoline_kernelINS0_14default_configENS1_25partition_config_selectorILNS1_17partition_subalgoE9EllbEEZZNS1_14partition_implILS5_9ELb0ES3_jPlS8_PNS0_10empty_typeENS0_5tupleIJS8_S9_EEENSB_IJS8_SA_EEENS0_18inequality_wrapperIZN2at6native12_GLOBAL__N_124unique_dim_cuda_templateIbEESt5tupleIJNSF_6TensorESK_SK_EERKSK_lbbbEUlllE0_EEPmJS9_EEE10hipError_tPvRmT3_T4_T5_T6_T7_T9_mT8_P12ihipStream_tbDpT10_ENKUlT_T0_E_clISt17integral_constantIbLb0EES1A_EEDaS15_S16_EUlS15_E_NS1_11comp_targetILNS1_3genE3ELNS1_11target_archE908ELNS1_3gpuE7ELNS1_3repE0EEENS1_30default_config_static_selectorELNS0_4arch9wavefront6targetE1EEEvT1_,comdat
	.globl	_ZN7rocprim17ROCPRIM_400000_NS6detail17trampoline_kernelINS0_14default_configENS1_25partition_config_selectorILNS1_17partition_subalgoE9EllbEEZZNS1_14partition_implILS5_9ELb0ES3_jPlS8_PNS0_10empty_typeENS0_5tupleIJS8_S9_EEENSB_IJS8_SA_EEENS0_18inequality_wrapperIZN2at6native12_GLOBAL__N_124unique_dim_cuda_templateIbEESt5tupleIJNSF_6TensorESK_SK_EERKSK_lbbbEUlllE0_EEPmJS9_EEE10hipError_tPvRmT3_T4_T5_T6_T7_T9_mT8_P12ihipStream_tbDpT10_ENKUlT_T0_E_clISt17integral_constantIbLb0EES1A_EEDaS15_S16_EUlS15_E_NS1_11comp_targetILNS1_3genE3ELNS1_11target_archE908ELNS1_3gpuE7ELNS1_3repE0EEENS1_30default_config_static_selectorELNS0_4arch9wavefront6targetE1EEEvT1_ ; -- Begin function _ZN7rocprim17ROCPRIM_400000_NS6detail17trampoline_kernelINS0_14default_configENS1_25partition_config_selectorILNS1_17partition_subalgoE9EllbEEZZNS1_14partition_implILS5_9ELb0ES3_jPlS8_PNS0_10empty_typeENS0_5tupleIJS8_S9_EEENSB_IJS8_SA_EEENS0_18inequality_wrapperIZN2at6native12_GLOBAL__N_124unique_dim_cuda_templateIbEESt5tupleIJNSF_6TensorESK_SK_EERKSK_lbbbEUlllE0_EEPmJS9_EEE10hipError_tPvRmT3_T4_T5_T6_T7_T9_mT8_P12ihipStream_tbDpT10_ENKUlT_T0_E_clISt17integral_constantIbLb0EES1A_EEDaS15_S16_EUlS15_E_NS1_11comp_targetILNS1_3genE3ELNS1_11target_archE908ELNS1_3gpuE7ELNS1_3repE0EEENS1_30default_config_static_selectorELNS0_4arch9wavefront6targetE1EEEvT1_
	.p2align	8
	.type	_ZN7rocprim17ROCPRIM_400000_NS6detail17trampoline_kernelINS0_14default_configENS1_25partition_config_selectorILNS1_17partition_subalgoE9EllbEEZZNS1_14partition_implILS5_9ELb0ES3_jPlS8_PNS0_10empty_typeENS0_5tupleIJS8_S9_EEENSB_IJS8_SA_EEENS0_18inequality_wrapperIZN2at6native12_GLOBAL__N_124unique_dim_cuda_templateIbEESt5tupleIJNSF_6TensorESK_SK_EERKSK_lbbbEUlllE0_EEPmJS9_EEE10hipError_tPvRmT3_T4_T5_T6_T7_T9_mT8_P12ihipStream_tbDpT10_ENKUlT_T0_E_clISt17integral_constantIbLb0EES1A_EEDaS15_S16_EUlS15_E_NS1_11comp_targetILNS1_3genE3ELNS1_11target_archE908ELNS1_3gpuE7ELNS1_3repE0EEENS1_30default_config_static_selectorELNS0_4arch9wavefront6targetE1EEEvT1_,@function
_ZN7rocprim17ROCPRIM_400000_NS6detail17trampoline_kernelINS0_14default_configENS1_25partition_config_selectorILNS1_17partition_subalgoE9EllbEEZZNS1_14partition_implILS5_9ELb0ES3_jPlS8_PNS0_10empty_typeENS0_5tupleIJS8_S9_EEENSB_IJS8_SA_EEENS0_18inequality_wrapperIZN2at6native12_GLOBAL__N_124unique_dim_cuda_templateIbEESt5tupleIJNSF_6TensorESK_SK_EERKSK_lbbbEUlllE0_EEPmJS9_EEE10hipError_tPvRmT3_T4_T5_T6_T7_T9_mT8_P12ihipStream_tbDpT10_ENKUlT_T0_E_clISt17integral_constantIbLb0EES1A_EEDaS15_S16_EUlS15_E_NS1_11comp_targetILNS1_3genE3ELNS1_11target_archE908ELNS1_3gpuE7ELNS1_3repE0EEENS1_30default_config_static_selectorELNS0_4arch9wavefront6targetE1EEEvT1_: ; @_ZN7rocprim17ROCPRIM_400000_NS6detail17trampoline_kernelINS0_14default_configENS1_25partition_config_selectorILNS1_17partition_subalgoE9EllbEEZZNS1_14partition_implILS5_9ELb0ES3_jPlS8_PNS0_10empty_typeENS0_5tupleIJS8_S9_EEENSB_IJS8_SA_EEENS0_18inequality_wrapperIZN2at6native12_GLOBAL__N_124unique_dim_cuda_templateIbEESt5tupleIJNSF_6TensorESK_SK_EERKSK_lbbbEUlllE0_EEPmJS9_EEE10hipError_tPvRmT3_T4_T5_T6_T7_T9_mT8_P12ihipStream_tbDpT10_ENKUlT_T0_E_clISt17integral_constantIbLb0EES1A_EEDaS15_S16_EUlS15_E_NS1_11comp_targetILNS1_3genE3ELNS1_11target_archE908ELNS1_3gpuE7ELNS1_3repE0EEENS1_30default_config_static_selectorELNS0_4arch9wavefront6targetE1EEEvT1_
; %bb.0:
	.section	.rodata,"a",@progbits
	.p2align	6, 0x0
	.amdhsa_kernel _ZN7rocprim17ROCPRIM_400000_NS6detail17trampoline_kernelINS0_14default_configENS1_25partition_config_selectorILNS1_17partition_subalgoE9EllbEEZZNS1_14partition_implILS5_9ELb0ES3_jPlS8_PNS0_10empty_typeENS0_5tupleIJS8_S9_EEENSB_IJS8_SA_EEENS0_18inequality_wrapperIZN2at6native12_GLOBAL__N_124unique_dim_cuda_templateIbEESt5tupleIJNSF_6TensorESK_SK_EERKSK_lbbbEUlllE0_EEPmJS9_EEE10hipError_tPvRmT3_T4_T5_T6_T7_T9_mT8_P12ihipStream_tbDpT10_ENKUlT_T0_E_clISt17integral_constantIbLb0EES1A_EEDaS15_S16_EUlS15_E_NS1_11comp_targetILNS1_3genE3ELNS1_11target_archE908ELNS1_3gpuE7ELNS1_3repE0EEENS1_30default_config_static_selectorELNS0_4arch9wavefront6targetE1EEEvT1_
		.amdhsa_group_segment_fixed_size 0
		.amdhsa_private_segment_fixed_size 0
		.amdhsa_kernarg_size 120
		.amdhsa_user_sgpr_count 6
		.amdhsa_user_sgpr_private_segment_buffer 1
		.amdhsa_user_sgpr_dispatch_ptr 0
		.amdhsa_user_sgpr_queue_ptr 0
		.amdhsa_user_sgpr_kernarg_segment_ptr 1
		.amdhsa_user_sgpr_dispatch_id 0
		.amdhsa_user_sgpr_flat_scratch_init 0
		.amdhsa_user_sgpr_kernarg_preload_length 0
		.amdhsa_user_sgpr_kernarg_preload_offset 0
		.amdhsa_user_sgpr_private_segment_size 0
		.amdhsa_uses_dynamic_stack 0
		.amdhsa_system_sgpr_private_segment_wavefront_offset 0
		.amdhsa_system_sgpr_workgroup_id_x 1
		.amdhsa_system_sgpr_workgroup_id_y 0
		.amdhsa_system_sgpr_workgroup_id_z 0
		.amdhsa_system_sgpr_workgroup_info 0
		.amdhsa_system_vgpr_workitem_id 0
		.amdhsa_next_free_vgpr 1
		.amdhsa_next_free_sgpr 0
		.amdhsa_accum_offset 4
		.amdhsa_reserve_vcc 0
		.amdhsa_reserve_flat_scratch 0
		.amdhsa_float_round_mode_32 0
		.amdhsa_float_round_mode_16_64 0
		.amdhsa_float_denorm_mode_32 3
		.amdhsa_float_denorm_mode_16_64 3
		.amdhsa_dx10_clamp 1
		.amdhsa_ieee_mode 1
		.amdhsa_fp16_overflow 0
		.amdhsa_tg_split 0
		.amdhsa_exception_fp_ieee_invalid_op 0
		.amdhsa_exception_fp_denorm_src 0
		.amdhsa_exception_fp_ieee_div_zero 0
		.amdhsa_exception_fp_ieee_overflow 0
		.amdhsa_exception_fp_ieee_underflow 0
		.amdhsa_exception_fp_ieee_inexact 0
		.amdhsa_exception_int_div_zero 0
	.end_amdhsa_kernel
	.section	.text._ZN7rocprim17ROCPRIM_400000_NS6detail17trampoline_kernelINS0_14default_configENS1_25partition_config_selectorILNS1_17partition_subalgoE9EllbEEZZNS1_14partition_implILS5_9ELb0ES3_jPlS8_PNS0_10empty_typeENS0_5tupleIJS8_S9_EEENSB_IJS8_SA_EEENS0_18inequality_wrapperIZN2at6native12_GLOBAL__N_124unique_dim_cuda_templateIbEESt5tupleIJNSF_6TensorESK_SK_EERKSK_lbbbEUlllE0_EEPmJS9_EEE10hipError_tPvRmT3_T4_T5_T6_T7_T9_mT8_P12ihipStream_tbDpT10_ENKUlT_T0_E_clISt17integral_constantIbLb0EES1A_EEDaS15_S16_EUlS15_E_NS1_11comp_targetILNS1_3genE3ELNS1_11target_archE908ELNS1_3gpuE7ELNS1_3repE0EEENS1_30default_config_static_selectorELNS0_4arch9wavefront6targetE1EEEvT1_,"axG",@progbits,_ZN7rocprim17ROCPRIM_400000_NS6detail17trampoline_kernelINS0_14default_configENS1_25partition_config_selectorILNS1_17partition_subalgoE9EllbEEZZNS1_14partition_implILS5_9ELb0ES3_jPlS8_PNS0_10empty_typeENS0_5tupleIJS8_S9_EEENSB_IJS8_SA_EEENS0_18inequality_wrapperIZN2at6native12_GLOBAL__N_124unique_dim_cuda_templateIbEESt5tupleIJNSF_6TensorESK_SK_EERKSK_lbbbEUlllE0_EEPmJS9_EEE10hipError_tPvRmT3_T4_T5_T6_T7_T9_mT8_P12ihipStream_tbDpT10_ENKUlT_T0_E_clISt17integral_constantIbLb0EES1A_EEDaS15_S16_EUlS15_E_NS1_11comp_targetILNS1_3genE3ELNS1_11target_archE908ELNS1_3gpuE7ELNS1_3repE0EEENS1_30default_config_static_selectorELNS0_4arch9wavefront6targetE1EEEvT1_,comdat
.Lfunc_end1086:
	.size	_ZN7rocprim17ROCPRIM_400000_NS6detail17trampoline_kernelINS0_14default_configENS1_25partition_config_selectorILNS1_17partition_subalgoE9EllbEEZZNS1_14partition_implILS5_9ELb0ES3_jPlS8_PNS0_10empty_typeENS0_5tupleIJS8_S9_EEENSB_IJS8_SA_EEENS0_18inequality_wrapperIZN2at6native12_GLOBAL__N_124unique_dim_cuda_templateIbEESt5tupleIJNSF_6TensorESK_SK_EERKSK_lbbbEUlllE0_EEPmJS9_EEE10hipError_tPvRmT3_T4_T5_T6_T7_T9_mT8_P12ihipStream_tbDpT10_ENKUlT_T0_E_clISt17integral_constantIbLb0EES1A_EEDaS15_S16_EUlS15_E_NS1_11comp_targetILNS1_3genE3ELNS1_11target_archE908ELNS1_3gpuE7ELNS1_3repE0EEENS1_30default_config_static_selectorELNS0_4arch9wavefront6targetE1EEEvT1_, .Lfunc_end1086-_ZN7rocprim17ROCPRIM_400000_NS6detail17trampoline_kernelINS0_14default_configENS1_25partition_config_selectorILNS1_17partition_subalgoE9EllbEEZZNS1_14partition_implILS5_9ELb0ES3_jPlS8_PNS0_10empty_typeENS0_5tupleIJS8_S9_EEENSB_IJS8_SA_EEENS0_18inequality_wrapperIZN2at6native12_GLOBAL__N_124unique_dim_cuda_templateIbEESt5tupleIJNSF_6TensorESK_SK_EERKSK_lbbbEUlllE0_EEPmJS9_EEE10hipError_tPvRmT3_T4_T5_T6_T7_T9_mT8_P12ihipStream_tbDpT10_ENKUlT_T0_E_clISt17integral_constantIbLb0EES1A_EEDaS15_S16_EUlS15_E_NS1_11comp_targetILNS1_3genE3ELNS1_11target_archE908ELNS1_3gpuE7ELNS1_3repE0EEENS1_30default_config_static_selectorELNS0_4arch9wavefront6targetE1EEEvT1_
                                        ; -- End function
	.section	.AMDGPU.csdata,"",@progbits
; Kernel info:
; codeLenInByte = 0
; NumSgprs: 4
; NumVgprs: 0
; NumAgprs: 0
; TotalNumVgprs: 0
; ScratchSize: 0
; MemoryBound: 0
; FloatMode: 240
; IeeeMode: 1
; LDSByteSize: 0 bytes/workgroup (compile time only)
; SGPRBlocks: 0
; VGPRBlocks: 0
; NumSGPRsForWavesPerEU: 4
; NumVGPRsForWavesPerEU: 1
; AccumOffset: 4
; Occupancy: 8
; WaveLimiterHint : 0
; COMPUTE_PGM_RSRC2:SCRATCH_EN: 0
; COMPUTE_PGM_RSRC2:USER_SGPR: 6
; COMPUTE_PGM_RSRC2:TRAP_HANDLER: 0
; COMPUTE_PGM_RSRC2:TGID_X_EN: 1
; COMPUTE_PGM_RSRC2:TGID_Y_EN: 0
; COMPUTE_PGM_RSRC2:TGID_Z_EN: 0
; COMPUTE_PGM_RSRC2:TIDIG_COMP_CNT: 0
; COMPUTE_PGM_RSRC3_GFX90A:ACCUM_OFFSET: 0
; COMPUTE_PGM_RSRC3_GFX90A:TG_SPLIT: 0
	.section	.text._ZN7rocprim17ROCPRIM_400000_NS6detail17trampoline_kernelINS0_14default_configENS1_25partition_config_selectorILNS1_17partition_subalgoE9EllbEEZZNS1_14partition_implILS5_9ELb0ES3_jPlS8_PNS0_10empty_typeENS0_5tupleIJS8_S9_EEENSB_IJS8_SA_EEENS0_18inequality_wrapperIZN2at6native12_GLOBAL__N_124unique_dim_cuda_templateIbEESt5tupleIJNSF_6TensorESK_SK_EERKSK_lbbbEUlllE0_EEPmJS9_EEE10hipError_tPvRmT3_T4_T5_T6_T7_T9_mT8_P12ihipStream_tbDpT10_ENKUlT_T0_E_clISt17integral_constantIbLb0EES1A_EEDaS15_S16_EUlS15_E_NS1_11comp_targetILNS1_3genE2ELNS1_11target_archE906ELNS1_3gpuE6ELNS1_3repE0EEENS1_30default_config_static_selectorELNS0_4arch9wavefront6targetE1EEEvT1_,"axG",@progbits,_ZN7rocprim17ROCPRIM_400000_NS6detail17trampoline_kernelINS0_14default_configENS1_25partition_config_selectorILNS1_17partition_subalgoE9EllbEEZZNS1_14partition_implILS5_9ELb0ES3_jPlS8_PNS0_10empty_typeENS0_5tupleIJS8_S9_EEENSB_IJS8_SA_EEENS0_18inequality_wrapperIZN2at6native12_GLOBAL__N_124unique_dim_cuda_templateIbEESt5tupleIJNSF_6TensorESK_SK_EERKSK_lbbbEUlllE0_EEPmJS9_EEE10hipError_tPvRmT3_T4_T5_T6_T7_T9_mT8_P12ihipStream_tbDpT10_ENKUlT_T0_E_clISt17integral_constantIbLb0EES1A_EEDaS15_S16_EUlS15_E_NS1_11comp_targetILNS1_3genE2ELNS1_11target_archE906ELNS1_3gpuE6ELNS1_3repE0EEENS1_30default_config_static_selectorELNS0_4arch9wavefront6targetE1EEEvT1_,comdat
	.globl	_ZN7rocprim17ROCPRIM_400000_NS6detail17trampoline_kernelINS0_14default_configENS1_25partition_config_selectorILNS1_17partition_subalgoE9EllbEEZZNS1_14partition_implILS5_9ELb0ES3_jPlS8_PNS0_10empty_typeENS0_5tupleIJS8_S9_EEENSB_IJS8_SA_EEENS0_18inequality_wrapperIZN2at6native12_GLOBAL__N_124unique_dim_cuda_templateIbEESt5tupleIJNSF_6TensorESK_SK_EERKSK_lbbbEUlllE0_EEPmJS9_EEE10hipError_tPvRmT3_T4_T5_T6_T7_T9_mT8_P12ihipStream_tbDpT10_ENKUlT_T0_E_clISt17integral_constantIbLb0EES1A_EEDaS15_S16_EUlS15_E_NS1_11comp_targetILNS1_3genE2ELNS1_11target_archE906ELNS1_3gpuE6ELNS1_3repE0EEENS1_30default_config_static_selectorELNS0_4arch9wavefront6targetE1EEEvT1_ ; -- Begin function _ZN7rocprim17ROCPRIM_400000_NS6detail17trampoline_kernelINS0_14default_configENS1_25partition_config_selectorILNS1_17partition_subalgoE9EllbEEZZNS1_14partition_implILS5_9ELb0ES3_jPlS8_PNS0_10empty_typeENS0_5tupleIJS8_S9_EEENSB_IJS8_SA_EEENS0_18inequality_wrapperIZN2at6native12_GLOBAL__N_124unique_dim_cuda_templateIbEESt5tupleIJNSF_6TensorESK_SK_EERKSK_lbbbEUlllE0_EEPmJS9_EEE10hipError_tPvRmT3_T4_T5_T6_T7_T9_mT8_P12ihipStream_tbDpT10_ENKUlT_T0_E_clISt17integral_constantIbLb0EES1A_EEDaS15_S16_EUlS15_E_NS1_11comp_targetILNS1_3genE2ELNS1_11target_archE906ELNS1_3gpuE6ELNS1_3repE0EEENS1_30default_config_static_selectorELNS0_4arch9wavefront6targetE1EEEvT1_
	.p2align	8
	.type	_ZN7rocprim17ROCPRIM_400000_NS6detail17trampoline_kernelINS0_14default_configENS1_25partition_config_selectorILNS1_17partition_subalgoE9EllbEEZZNS1_14partition_implILS5_9ELb0ES3_jPlS8_PNS0_10empty_typeENS0_5tupleIJS8_S9_EEENSB_IJS8_SA_EEENS0_18inequality_wrapperIZN2at6native12_GLOBAL__N_124unique_dim_cuda_templateIbEESt5tupleIJNSF_6TensorESK_SK_EERKSK_lbbbEUlllE0_EEPmJS9_EEE10hipError_tPvRmT3_T4_T5_T6_T7_T9_mT8_P12ihipStream_tbDpT10_ENKUlT_T0_E_clISt17integral_constantIbLb0EES1A_EEDaS15_S16_EUlS15_E_NS1_11comp_targetILNS1_3genE2ELNS1_11target_archE906ELNS1_3gpuE6ELNS1_3repE0EEENS1_30default_config_static_selectorELNS0_4arch9wavefront6targetE1EEEvT1_,@function
_ZN7rocprim17ROCPRIM_400000_NS6detail17trampoline_kernelINS0_14default_configENS1_25partition_config_selectorILNS1_17partition_subalgoE9EllbEEZZNS1_14partition_implILS5_9ELb0ES3_jPlS8_PNS0_10empty_typeENS0_5tupleIJS8_S9_EEENSB_IJS8_SA_EEENS0_18inequality_wrapperIZN2at6native12_GLOBAL__N_124unique_dim_cuda_templateIbEESt5tupleIJNSF_6TensorESK_SK_EERKSK_lbbbEUlllE0_EEPmJS9_EEE10hipError_tPvRmT3_T4_T5_T6_T7_T9_mT8_P12ihipStream_tbDpT10_ENKUlT_T0_E_clISt17integral_constantIbLb0EES1A_EEDaS15_S16_EUlS15_E_NS1_11comp_targetILNS1_3genE2ELNS1_11target_archE906ELNS1_3gpuE6ELNS1_3repE0EEENS1_30default_config_static_selectorELNS0_4arch9wavefront6targetE1EEEvT1_: ; @_ZN7rocprim17ROCPRIM_400000_NS6detail17trampoline_kernelINS0_14default_configENS1_25partition_config_selectorILNS1_17partition_subalgoE9EllbEEZZNS1_14partition_implILS5_9ELb0ES3_jPlS8_PNS0_10empty_typeENS0_5tupleIJS8_S9_EEENSB_IJS8_SA_EEENS0_18inequality_wrapperIZN2at6native12_GLOBAL__N_124unique_dim_cuda_templateIbEESt5tupleIJNSF_6TensorESK_SK_EERKSK_lbbbEUlllE0_EEPmJS9_EEE10hipError_tPvRmT3_T4_T5_T6_T7_T9_mT8_P12ihipStream_tbDpT10_ENKUlT_T0_E_clISt17integral_constantIbLb0EES1A_EEDaS15_S16_EUlS15_E_NS1_11comp_targetILNS1_3genE2ELNS1_11target_archE906ELNS1_3gpuE6ELNS1_3repE0EEENS1_30default_config_static_selectorELNS0_4arch9wavefront6targetE1EEEvT1_
; %bb.0:
	.section	.rodata,"a",@progbits
	.p2align	6, 0x0
	.amdhsa_kernel _ZN7rocprim17ROCPRIM_400000_NS6detail17trampoline_kernelINS0_14default_configENS1_25partition_config_selectorILNS1_17partition_subalgoE9EllbEEZZNS1_14partition_implILS5_9ELb0ES3_jPlS8_PNS0_10empty_typeENS0_5tupleIJS8_S9_EEENSB_IJS8_SA_EEENS0_18inequality_wrapperIZN2at6native12_GLOBAL__N_124unique_dim_cuda_templateIbEESt5tupleIJNSF_6TensorESK_SK_EERKSK_lbbbEUlllE0_EEPmJS9_EEE10hipError_tPvRmT3_T4_T5_T6_T7_T9_mT8_P12ihipStream_tbDpT10_ENKUlT_T0_E_clISt17integral_constantIbLb0EES1A_EEDaS15_S16_EUlS15_E_NS1_11comp_targetILNS1_3genE2ELNS1_11target_archE906ELNS1_3gpuE6ELNS1_3repE0EEENS1_30default_config_static_selectorELNS0_4arch9wavefront6targetE1EEEvT1_
		.amdhsa_group_segment_fixed_size 0
		.amdhsa_private_segment_fixed_size 0
		.amdhsa_kernarg_size 120
		.amdhsa_user_sgpr_count 6
		.amdhsa_user_sgpr_private_segment_buffer 1
		.amdhsa_user_sgpr_dispatch_ptr 0
		.amdhsa_user_sgpr_queue_ptr 0
		.amdhsa_user_sgpr_kernarg_segment_ptr 1
		.amdhsa_user_sgpr_dispatch_id 0
		.amdhsa_user_sgpr_flat_scratch_init 0
		.amdhsa_user_sgpr_kernarg_preload_length 0
		.amdhsa_user_sgpr_kernarg_preload_offset 0
		.amdhsa_user_sgpr_private_segment_size 0
		.amdhsa_uses_dynamic_stack 0
		.amdhsa_system_sgpr_private_segment_wavefront_offset 0
		.amdhsa_system_sgpr_workgroup_id_x 1
		.amdhsa_system_sgpr_workgroup_id_y 0
		.amdhsa_system_sgpr_workgroup_id_z 0
		.amdhsa_system_sgpr_workgroup_info 0
		.amdhsa_system_vgpr_workitem_id 0
		.amdhsa_next_free_vgpr 1
		.amdhsa_next_free_sgpr 0
		.amdhsa_accum_offset 4
		.amdhsa_reserve_vcc 0
		.amdhsa_reserve_flat_scratch 0
		.amdhsa_float_round_mode_32 0
		.amdhsa_float_round_mode_16_64 0
		.amdhsa_float_denorm_mode_32 3
		.amdhsa_float_denorm_mode_16_64 3
		.amdhsa_dx10_clamp 1
		.amdhsa_ieee_mode 1
		.amdhsa_fp16_overflow 0
		.amdhsa_tg_split 0
		.amdhsa_exception_fp_ieee_invalid_op 0
		.amdhsa_exception_fp_denorm_src 0
		.amdhsa_exception_fp_ieee_div_zero 0
		.amdhsa_exception_fp_ieee_overflow 0
		.amdhsa_exception_fp_ieee_underflow 0
		.amdhsa_exception_fp_ieee_inexact 0
		.amdhsa_exception_int_div_zero 0
	.end_amdhsa_kernel
	.section	.text._ZN7rocprim17ROCPRIM_400000_NS6detail17trampoline_kernelINS0_14default_configENS1_25partition_config_selectorILNS1_17partition_subalgoE9EllbEEZZNS1_14partition_implILS5_9ELb0ES3_jPlS8_PNS0_10empty_typeENS0_5tupleIJS8_S9_EEENSB_IJS8_SA_EEENS0_18inequality_wrapperIZN2at6native12_GLOBAL__N_124unique_dim_cuda_templateIbEESt5tupleIJNSF_6TensorESK_SK_EERKSK_lbbbEUlllE0_EEPmJS9_EEE10hipError_tPvRmT3_T4_T5_T6_T7_T9_mT8_P12ihipStream_tbDpT10_ENKUlT_T0_E_clISt17integral_constantIbLb0EES1A_EEDaS15_S16_EUlS15_E_NS1_11comp_targetILNS1_3genE2ELNS1_11target_archE906ELNS1_3gpuE6ELNS1_3repE0EEENS1_30default_config_static_selectorELNS0_4arch9wavefront6targetE1EEEvT1_,"axG",@progbits,_ZN7rocprim17ROCPRIM_400000_NS6detail17trampoline_kernelINS0_14default_configENS1_25partition_config_selectorILNS1_17partition_subalgoE9EllbEEZZNS1_14partition_implILS5_9ELb0ES3_jPlS8_PNS0_10empty_typeENS0_5tupleIJS8_S9_EEENSB_IJS8_SA_EEENS0_18inequality_wrapperIZN2at6native12_GLOBAL__N_124unique_dim_cuda_templateIbEESt5tupleIJNSF_6TensorESK_SK_EERKSK_lbbbEUlllE0_EEPmJS9_EEE10hipError_tPvRmT3_T4_T5_T6_T7_T9_mT8_P12ihipStream_tbDpT10_ENKUlT_T0_E_clISt17integral_constantIbLb0EES1A_EEDaS15_S16_EUlS15_E_NS1_11comp_targetILNS1_3genE2ELNS1_11target_archE906ELNS1_3gpuE6ELNS1_3repE0EEENS1_30default_config_static_selectorELNS0_4arch9wavefront6targetE1EEEvT1_,comdat
.Lfunc_end1087:
	.size	_ZN7rocprim17ROCPRIM_400000_NS6detail17trampoline_kernelINS0_14default_configENS1_25partition_config_selectorILNS1_17partition_subalgoE9EllbEEZZNS1_14partition_implILS5_9ELb0ES3_jPlS8_PNS0_10empty_typeENS0_5tupleIJS8_S9_EEENSB_IJS8_SA_EEENS0_18inequality_wrapperIZN2at6native12_GLOBAL__N_124unique_dim_cuda_templateIbEESt5tupleIJNSF_6TensorESK_SK_EERKSK_lbbbEUlllE0_EEPmJS9_EEE10hipError_tPvRmT3_T4_T5_T6_T7_T9_mT8_P12ihipStream_tbDpT10_ENKUlT_T0_E_clISt17integral_constantIbLb0EES1A_EEDaS15_S16_EUlS15_E_NS1_11comp_targetILNS1_3genE2ELNS1_11target_archE906ELNS1_3gpuE6ELNS1_3repE0EEENS1_30default_config_static_selectorELNS0_4arch9wavefront6targetE1EEEvT1_, .Lfunc_end1087-_ZN7rocprim17ROCPRIM_400000_NS6detail17trampoline_kernelINS0_14default_configENS1_25partition_config_selectorILNS1_17partition_subalgoE9EllbEEZZNS1_14partition_implILS5_9ELb0ES3_jPlS8_PNS0_10empty_typeENS0_5tupleIJS8_S9_EEENSB_IJS8_SA_EEENS0_18inequality_wrapperIZN2at6native12_GLOBAL__N_124unique_dim_cuda_templateIbEESt5tupleIJNSF_6TensorESK_SK_EERKSK_lbbbEUlllE0_EEPmJS9_EEE10hipError_tPvRmT3_T4_T5_T6_T7_T9_mT8_P12ihipStream_tbDpT10_ENKUlT_T0_E_clISt17integral_constantIbLb0EES1A_EEDaS15_S16_EUlS15_E_NS1_11comp_targetILNS1_3genE2ELNS1_11target_archE906ELNS1_3gpuE6ELNS1_3repE0EEENS1_30default_config_static_selectorELNS0_4arch9wavefront6targetE1EEEvT1_
                                        ; -- End function
	.section	.AMDGPU.csdata,"",@progbits
; Kernel info:
; codeLenInByte = 0
; NumSgprs: 4
; NumVgprs: 0
; NumAgprs: 0
; TotalNumVgprs: 0
; ScratchSize: 0
; MemoryBound: 0
; FloatMode: 240
; IeeeMode: 1
; LDSByteSize: 0 bytes/workgroup (compile time only)
; SGPRBlocks: 0
; VGPRBlocks: 0
; NumSGPRsForWavesPerEU: 4
; NumVGPRsForWavesPerEU: 1
; AccumOffset: 4
; Occupancy: 8
; WaveLimiterHint : 0
; COMPUTE_PGM_RSRC2:SCRATCH_EN: 0
; COMPUTE_PGM_RSRC2:USER_SGPR: 6
; COMPUTE_PGM_RSRC2:TRAP_HANDLER: 0
; COMPUTE_PGM_RSRC2:TGID_X_EN: 1
; COMPUTE_PGM_RSRC2:TGID_Y_EN: 0
; COMPUTE_PGM_RSRC2:TGID_Z_EN: 0
; COMPUTE_PGM_RSRC2:TIDIG_COMP_CNT: 0
; COMPUTE_PGM_RSRC3_GFX90A:ACCUM_OFFSET: 0
; COMPUTE_PGM_RSRC3_GFX90A:TG_SPLIT: 0
	.section	.text._ZN7rocprim17ROCPRIM_400000_NS6detail17trampoline_kernelINS0_14default_configENS1_25partition_config_selectorILNS1_17partition_subalgoE9EllbEEZZNS1_14partition_implILS5_9ELb0ES3_jPlS8_PNS0_10empty_typeENS0_5tupleIJS8_S9_EEENSB_IJS8_SA_EEENS0_18inequality_wrapperIZN2at6native12_GLOBAL__N_124unique_dim_cuda_templateIbEESt5tupleIJNSF_6TensorESK_SK_EERKSK_lbbbEUlllE0_EEPmJS9_EEE10hipError_tPvRmT3_T4_T5_T6_T7_T9_mT8_P12ihipStream_tbDpT10_ENKUlT_T0_E_clISt17integral_constantIbLb0EES1A_EEDaS15_S16_EUlS15_E_NS1_11comp_targetILNS1_3genE10ELNS1_11target_archE1200ELNS1_3gpuE4ELNS1_3repE0EEENS1_30default_config_static_selectorELNS0_4arch9wavefront6targetE1EEEvT1_,"axG",@progbits,_ZN7rocprim17ROCPRIM_400000_NS6detail17trampoline_kernelINS0_14default_configENS1_25partition_config_selectorILNS1_17partition_subalgoE9EllbEEZZNS1_14partition_implILS5_9ELb0ES3_jPlS8_PNS0_10empty_typeENS0_5tupleIJS8_S9_EEENSB_IJS8_SA_EEENS0_18inequality_wrapperIZN2at6native12_GLOBAL__N_124unique_dim_cuda_templateIbEESt5tupleIJNSF_6TensorESK_SK_EERKSK_lbbbEUlllE0_EEPmJS9_EEE10hipError_tPvRmT3_T4_T5_T6_T7_T9_mT8_P12ihipStream_tbDpT10_ENKUlT_T0_E_clISt17integral_constantIbLb0EES1A_EEDaS15_S16_EUlS15_E_NS1_11comp_targetILNS1_3genE10ELNS1_11target_archE1200ELNS1_3gpuE4ELNS1_3repE0EEENS1_30default_config_static_selectorELNS0_4arch9wavefront6targetE1EEEvT1_,comdat
	.globl	_ZN7rocprim17ROCPRIM_400000_NS6detail17trampoline_kernelINS0_14default_configENS1_25partition_config_selectorILNS1_17partition_subalgoE9EllbEEZZNS1_14partition_implILS5_9ELb0ES3_jPlS8_PNS0_10empty_typeENS0_5tupleIJS8_S9_EEENSB_IJS8_SA_EEENS0_18inequality_wrapperIZN2at6native12_GLOBAL__N_124unique_dim_cuda_templateIbEESt5tupleIJNSF_6TensorESK_SK_EERKSK_lbbbEUlllE0_EEPmJS9_EEE10hipError_tPvRmT3_T4_T5_T6_T7_T9_mT8_P12ihipStream_tbDpT10_ENKUlT_T0_E_clISt17integral_constantIbLb0EES1A_EEDaS15_S16_EUlS15_E_NS1_11comp_targetILNS1_3genE10ELNS1_11target_archE1200ELNS1_3gpuE4ELNS1_3repE0EEENS1_30default_config_static_selectorELNS0_4arch9wavefront6targetE1EEEvT1_ ; -- Begin function _ZN7rocprim17ROCPRIM_400000_NS6detail17trampoline_kernelINS0_14default_configENS1_25partition_config_selectorILNS1_17partition_subalgoE9EllbEEZZNS1_14partition_implILS5_9ELb0ES3_jPlS8_PNS0_10empty_typeENS0_5tupleIJS8_S9_EEENSB_IJS8_SA_EEENS0_18inequality_wrapperIZN2at6native12_GLOBAL__N_124unique_dim_cuda_templateIbEESt5tupleIJNSF_6TensorESK_SK_EERKSK_lbbbEUlllE0_EEPmJS9_EEE10hipError_tPvRmT3_T4_T5_T6_T7_T9_mT8_P12ihipStream_tbDpT10_ENKUlT_T0_E_clISt17integral_constantIbLb0EES1A_EEDaS15_S16_EUlS15_E_NS1_11comp_targetILNS1_3genE10ELNS1_11target_archE1200ELNS1_3gpuE4ELNS1_3repE0EEENS1_30default_config_static_selectorELNS0_4arch9wavefront6targetE1EEEvT1_
	.p2align	8
	.type	_ZN7rocprim17ROCPRIM_400000_NS6detail17trampoline_kernelINS0_14default_configENS1_25partition_config_selectorILNS1_17partition_subalgoE9EllbEEZZNS1_14partition_implILS5_9ELb0ES3_jPlS8_PNS0_10empty_typeENS0_5tupleIJS8_S9_EEENSB_IJS8_SA_EEENS0_18inequality_wrapperIZN2at6native12_GLOBAL__N_124unique_dim_cuda_templateIbEESt5tupleIJNSF_6TensorESK_SK_EERKSK_lbbbEUlllE0_EEPmJS9_EEE10hipError_tPvRmT3_T4_T5_T6_T7_T9_mT8_P12ihipStream_tbDpT10_ENKUlT_T0_E_clISt17integral_constantIbLb0EES1A_EEDaS15_S16_EUlS15_E_NS1_11comp_targetILNS1_3genE10ELNS1_11target_archE1200ELNS1_3gpuE4ELNS1_3repE0EEENS1_30default_config_static_selectorELNS0_4arch9wavefront6targetE1EEEvT1_,@function
_ZN7rocprim17ROCPRIM_400000_NS6detail17trampoline_kernelINS0_14default_configENS1_25partition_config_selectorILNS1_17partition_subalgoE9EllbEEZZNS1_14partition_implILS5_9ELb0ES3_jPlS8_PNS0_10empty_typeENS0_5tupleIJS8_S9_EEENSB_IJS8_SA_EEENS0_18inequality_wrapperIZN2at6native12_GLOBAL__N_124unique_dim_cuda_templateIbEESt5tupleIJNSF_6TensorESK_SK_EERKSK_lbbbEUlllE0_EEPmJS9_EEE10hipError_tPvRmT3_T4_T5_T6_T7_T9_mT8_P12ihipStream_tbDpT10_ENKUlT_T0_E_clISt17integral_constantIbLb0EES1A_EEDaS15_S16_EUlS15_E_NS1_11comp_targetILNS1_3genE10ELNS1_11target_archE1200ELNS1_3gpuE4ELNS1_3repE0EEENS1_30default_config_static_selectorELNS0_4arch9wavefront6targetE1EEEvT1_: ; @_ZN7rocprim17ROCPRIM_400000_NS6detail17trampoline_kernelINS0_14default_configENS1_25partition_config_selectorILNS1_17partition_subalgoE9EllbEEZZNS1_14partition_implILS5_9ELb0ES3_jPlS8_PNS0_10empty_typeENS0_5tupleIJS8_S9_EEENSB_IJS8_SA_EEENS0_18inequality_wrapperIZN2at6native12_GLOBAL__N_124unique_dim_cuda_templateIbEESt5tupleIJNSF_6TensorESK_SK_EERKSK_lbbbEUlllE0_EEPmJS9_EEE10hipError_tPvRmT3_T4_T5_T6_T7_T9_mT8_P12ihipStream_tbDpT10_ENKUlT_T0_E_clISt17integral_constantIbLb0EES1A_EEDaS15_S16_EUlS15_E_NS1_11comp_targetILNS1_3genE10ELNS1_11target_archE1200ELNS1_3gpuE4ELNS1_3repE0EEENS1_30default_config_static_selectorELNS0_4arch9wavefront6targetE1EEEvT1_
; %bb.0:
	.section	.rodata,"a",@progbits
	.p2align	6, 0x0
	.amdhsa_kernel _ZN7rocprim17ROCPRIM_400000_NS6detail17trampoline_kernelINS0_14default_configENS1_25partition_config_selectorILNS1_17partition_subalgoE9EllbEEZZNS1_14partition_implILS5_9ELb0ES3_jPlS8_PNS0_10empty_typeENS0_5tupleIJS8_S9_EEENSB_IJS8_SA_EEENS0_18inequality_wrapperIZN2at6native12_GLOBAL__N_124unique_dim_cuda_templateIbEESt5tupleIJNSF_6TensorESK_SK_EERKSK_lbbbEUlllE0_EEPmJS9_EEE10hipError_tPvRmT3_T4_T5_T6_T7_T9_mT8_P12ihipStream_tbDpT10_ENKUlT_T0_E_clISt17integral_constantIbLb0EES1A_EEDaS15_S16_EUlS15_E_NS1_11comp_targetILNS1_3genE10ELNS1_11target_archE1200ELNS1_3gpuE4ELNS1_3repE0EEENS1_30default_config_static_selectorELNS0_4arch9wavefront6targetE1EEEvT1_
		.amdhsa_group_segment_fixed_size 0
		.amdhsa_private_segment_fixed_size 0
		.amdhsa_kernarg_size 120
		.amdhsa_user_sgpr_count 6
		.amdhsa_user_sgpr_private_segment_buffer 1
		.amdhsa_user_sgpr_dispatch_ptr 0
		.amdhsa_user_sgpr_queue_ptr 0
		.amdhsa_user_sgpr_kernarg_segment_ptr 1
		.amdhsa_user_sgpr_dispatch_id 0
		.amdhsa_user_sgpr_flat_scratch_init 0
		.amdhsa_user_sgpr_kernarg_preload_length 0
		.amdhsa_user_sgpr_kernarg_preload_offset 0
		.amdhsa_user_sgpr_private_segment_size 0
		.amdhsa_uses_dynamic_stack 0
		.amdhsa_system_sgpr_private_segment_wavefront_offset 0
		.amdhsa_system_sgpr_workgroup_id_x 1
		.amdhsa_system_sgpr_workgroup_id_y 0
		.amdhsa_system_sgpr_workgroup_id_z 0
		.amdhsa_system_sgpr_workgroup_info 0
		.amdhsa_system_vgpr_workitem_id 0
		.amdhsa_next_free_vgpr 1
		.amdhsa_next_free_sgpr 0
		.amdhsa_accum_offset 4
		.amdhsa_reserve_vcc 0
		.amdhsa_reserve_flat_scratch 0
		.amdhsa_float_round_mode_32 0
		.amdhsa_float_round_mode_16_64 0
		.amdhsa_float_denorm_mode_32 3
		.amdhsa_float_denorm_mode_16_64 3
		.amdhsa_dx10_clamp 1
		.amdhsa_ieee_mode 1
		.amdhsa_fp16_overflow 0
		.amdhsa_tg_split 0
		.amdhsa_exception_fp_ieee_invalid_op 0
		.amdhsa_exception_fp_denorm_src 0
		.amdhsa_exception_fp_ieee_div_zero 0
		.amdhsa_exception_fp_ieee_overflow 0
		.amdhsa_exception_fp_ieee_underflow 0
		.amdhsa_exception_fp_ieee_inexact 0
		.amdhsa_exception_int_div_zero 0
	.end_amdhsa_kernel
	.section	.text._ZN7rocprim17ROCPRIM_400000_NS6detail17trampoline_kernelINS0_14default_configENS1_25partition_config_selectorILNS1_17partition_subalgoE9EllbEEZZNS1_14partition_implILS5_9ELb0ES3_jPlS8_PNS0_10empty_typeENS0_5tupleIJS8_S9_EEENSB_IJS8_SA_EEENS0_18inequality_wrapperIZN2at6native12_GLOBAL__N_124unique_dim_cuda_templateIbEESt5tupleIJNSF_6TensorESK_SK_EERKSK_lbbbEUlllE0_EEPmJS9_EEE10hipError_tPvRmT3_T4_T5_T6_T7_T9_mT8_P12ihipStream_tbDpT10_ENKUlT_T0_E_clISt17integral_constantIbLb0EES1A_EEDaS15_S16_EUlS15_E_NS1_11comp_targetILNS1_3genE10ELNS1_11target_archE1200ELNS1_3gpuE4ELNS1_3repE0EEENS1_30default_config_static_selectorELNS0_4arch9wavefront6targetE1EEEvT1_,"axG",@progbits,_ZN7rocprim17ROCPRIM_400000_NS6detail17trampoline_kernelINS0_14default_configENS1_25partition_config_selectorILNS1_17partition_subalgoE9EllbEEZZNS1_14partition_implILS5_9ELb0ES3_jPlS8_PNS0_10empty_typeENS0_5tupleIJS8_S9_EEENSB_IJS8_SA_EEENS0_18inequality_wrapperIZN2at6native12_GLOBAL__N_124unique_dim_cuda_templateIbEESt5tupleIJNSF_6TensorESK_SK_EERKSK_lbbbEUlllE0_EEPmJS9_EEE10hipError_tPvRmT3_T4_T5_T6_T7_T9_mT8_P12ihipStream_tbDpT10_ENKUlT_T0_E_clISt17integral_constantIbLb0EES1A_EEDaS15_S16_EUlS15_E_NS1_11comp_targetILNS1_3genE10ELNS1_11target_archE1200ELNS1_3gpuE4ELNS1_3repE0EEENS1_30default_config_static_selectorELNS0_4arch9wavefront6targetE1EEEvT1_,comdat
.Lfunc_end1088:
	.size	_ZN7rocprim17ROCPRIM_400000_NS6detail17trampoline_kernelINS0_14default_configENS1_25partition_config_selectorILNS1_17partition_subalgoE9EllbEEZZNS1_14partition_implILS5_9ELb0ES3_jPlS8_PNS0_10empty_typeENS0_5tupleIJS8_S9_EEENSB_IJS8_SA_EEENS0_18inequality_wrapperIZN2at6native12_GLOBAL__N_124unique_dim_cuda_templateIbEESt5tupleIJNSF_6TensorESK_SK_EERKSK_lbbbEUlllE0_EEPmJS9_EEE10hipError_tPvRmT3_T4_T5_T6_T7_T9_mT8_P12ihipStream_tbDpT10_ENKUlT_T0_E_clISt17integral_constantIbLb0EES1A_EEDaS15_S16_EUlS15_E_NS1_11comp_targetILNS1_3genE10ELNS1_11target_archE1200ELNS1_3gpuE4ELNS1_3repE0EEENS1_30default_config_static_selectorELNS0_4arch9wavefront6targetE1EEEvT1_, .Lfunc_end1088-_ZN7rocprim17ROCPRIM_400000_NS6detail17trampoline_kernelINS0_14default_configENS1_25partition_config_selectorILNS1_17partition_subalgoE9EllbEEZZNS1_14partition_implILS5_9ELb0ES3_jPlS8_PNS0_10empty_typeENS0_5tupleIJS8_S9_EEENSB_IJS8_SA_EEENS0_18inequality_wrapperIZN2at6native12_GLOBAL__N_124unique_dim_cuda_templateIbEESt5tupleIJNSF_6TensorESK_SK_EERKSK_lbbbEUlllE0_EEPmJS9_EEE10hipError_tPvRmT3_T4_T5_T6_T7_T9_mT8_P12ihipStream_tbDpT10_ENKUlT_T0_E_clISt17integral_constantIbLb0EES1A_EEDaS15_S16_EUlS15_E_NS1_11comp_targetILNS1_3genE10ELNS1_11target_archE1200ELNS1_3gpuE4ELNS1_3repE0EEENS1_30default_config_static_selectorELNS0_4arch9wavefront6targetE1EEEvT1_
                                        ; -- End function
	.section	.AMDGPU.csdata,"",@progbits
; Kernel info:
; codeLenInByte = 0
; NumSgprs: 4
; NumVgprs: 0
; NumAgprs: 0
; TotalNumVgprs: 0
; ScratchSize: 0
; MemoryBound: 0
; FloatMode: 240
; IeeeMode: 1
; LDSByteSize: 0 bytes/workgroup (compile time only)
; SGPRBlocks: 0
; VGPRBlocks: 0
; NumSGPRsForWavesPerEU: 4
; NumVGPRsForWavesPerEU: 1
; AccumOffset: 4
; Occupancy: 8
; WaveLimiterHint : 0
; COMPUTE_PGM_RSRC2:SCRATCH_EN: 0
; COMPUTE_PGM_RSRC2:USER_SGPR: 6
; COMPUTE_PGM_RSRC2:TRAP_HANDLER: 0
; COMPUTE_PGM_RSRC2:TGID_X_EN: 1
; COMPUTE_PGM_RSRC2:TGID_Y_EN: 0
; COMPUTE_PGM_RSRC2:TGID_Z_EN: 0
; COMPUTE_PGM_RSRC2:TIDIG_COMP_CNT: 0
; COMPUTE_PGM_RSRC3_GFX90A:ACCUM_OFFSET: 0
; COMPUTE_PGM_RSRC3_GFX90A:TG_SPLIT: 0
	.section	.text._ZN7rocprim17ROCPRIM_400000_NS6detail17trampoline_kernelINS0_14default_configENS1_25partition_config_selectorILNS1_17partition_subalgoE9EllbEEZZNS1_14partition_implILS5_9ELb0ES3_jPlS8_PNS0_10empty_typeENS0_5tupleIJS8_S9_EEENSB_IJS8_SA_EEENS0_18inequality_wrapperIZN2at6native12_GLOBAL__N_124unique_dim_cuda_templateIbEESt5tupleIJNSF_6TensorESK_SK_EERKSK_lbbbEUlllE0_EEPmJS9_EEE10hipError_tPvRmT3_T4_T5_T6_T7_T9_mT8_P12ihipStream_tbDpT10_ENKUlT_T0_E_clISt17integral_constantIbLb0EES1A_EEDaS15_S16_EUlS15_E_NS1_11comp_targetILNS1_3genE9ELNS1_11target_archE1100ELNS1_3gpuE3ELNS1_3repE0EEENS1_30default_config_static_selectorELNS0_4arch9wavefront6targetE1EEEvT1_,"axG",@progbits,_ZN7rocprim17ROCPRIM_400000_NS6detail17trampoline_kernelINS0_14default_configENS1_25partition_config_selectorILNS1_17partition_subalgoE9EllbEEZZNS1_14partition_implILS5_9ELb0ES3_jPlS8_PNS0_10empty_typeENS0_5tupleIJS8_S9_EEENSB_IJS8_SA_EEENS0_18inequality_wrapperIZN2at6native12_GLOBAL__N_124unique_dim_cuda_templateIbEESt5tupleIJNSF_6TensorESK_SK_EERKSK_lbbbEUlllE0_EEPmJS9_EEE10hipError_tPvRmT3_T4_T5_T6_T7_T9_mT8_P12ihipStream_tbDpT10_ENKUlT_T0_E_clISt17integral_constantIbLb0EES1A_EEDaS15_S16_EUlS15_E_NS1_11comp_targetILNS1_3genE9ELNS1_11target_archE1100ELNS1_3gpuE3ELNS1_3repE0EEENS1_30default_config_static_selectorELNS0_4arch9wavefront6targetE1EEEvT1_,comdat
	.globl	_ZN7rocprim17ROCPRIM_400000_NS6detail17trampoline_kernelINS0_14default_configENS1_25partition_config_selectorILNS1_17partition_subalgoE9EllbEEZZNS1_14partition_implILS5_9ELb0ES3_jPlS8_PNS0_10empty_typeENS0_5tupleIJS8_S9_EEENSB_IJS8_SA_EEENS0_18inequality_wrapperIZN2at6native12_GLOBAL__N_124unique_dim_cuda_templateIbEESt5tupleIJNSF_6TensorESK_SK_EERKSK_lbbbEUlllE0_EEPmJS9_EEE10hipError_tPvRmT3_T4_T5_T6_T7_T9_mT8_P12ihipStream_tbDpT10_ENKUlT_T0_E_clISt17integral_constantIbLb0EES1A_EEDaS15_S16_EUlS15_E_NS1_11comp_targetILNS1_3genE9ELNS1_11target_archE1100ELNS1_3gpuE3ELNS1_3repE0EEENS1_30default_config_static_selectorELNS0_4arch9wavefront6targetE1EEEvT1_ ; -- Begin function _ZN7rocprim17ROCPRIM_400000_NS6detail17trampoline_kernelINS0_14default_configENS1_25partition_config_selectorILNS1_17partition_subalgoE9EllbEEZZNS1_14partition_implILS5_9ELb0ES3_jPlS8_PNS0_10empty_typeENS0_5tupleIJS8_S9_EEENSB_IJS8_SA_EEENS0_18inequality_wrapperIZN2at6native12_GLOBAL__N_124unique_dim_cuda_templateIbEESt5tupleIJNSF_6TensorESK_SK_EERKSK_lbbbEUlllE0_EEPmJS9_EEE10hipError_tPvRmT3_T4_T5_T6_T7_T9_mT8_P12ihipStream_tbDpT10_ENKUlT_T0_E_clISt17integral_constantIbLb0EES1A_EEDaS15_S16_EUlS15_E_NS1_11comp_targetILNS1_3genE9ELNS1_11target_archE1100ELNS1_3gpuE3ELNS1_3repE0EEENS1_30default_config_static_selectorELNS0_4arch9wavefront6targetE1EEEvT1_
	.p2align	8
	.type	_ZN7rocprim17ROCPRIM_400000_NS6detail17trampoline_kernelINS0_14default_configENS1_25partition_config_selectorILNS1_17partition_subalgoE9EllbEEZZNS1_14partition_implILS5_9ELb0ES3_jPlS8_PNS0_10empty_typeENS0_5tupleIJS8_S9_EEENSB_IJS8_SA_EEENS0_18inequality_wrapperIZN2at6native12_GLOBAL__N_124unique_dim_cuda_templateIbEESt5tupleIJNSF_6TensorESK_SK_EERKSK_lbbbEUlllE0_EEPmJS9_EEE10hipError_tPvRmT3_T4_T5_T6_T7_T9_mT8_P12ihipStream_tbDpT10_ENKUlT_T0_E_clISt17integral_constantIbLb0EES1A_EEDaS15_S16_EUlS15_E_NS1_11comp_targetILNS1_3genE9ELNS1_11target_archE1100ELNS1_3gpuE3ELNS1_3repE0EEENS1_30default_config_static_selectorELNS0_4arch9wavefront6targetE1EEEvT1_,@function
_ZN7rocprim17ROCPRIM_400000_NS6detail17trampoline_kernelINS0_14default_configENS1_25partition_config_selectorILNS1_17partition_subalgoE9EllbEEZZNS1_14partition_implILS5_9ELb0ES3_jPlS8_PNS0_10empty_typeENS0_5tupleIJS8_S9_EEENSB_IJS8_SA_EEENS0_18inequality_wrapperIZN2at6native12_GLOBAL__N_124unique_dim_cuda_templateIbEESt5tupleIJNSF_6TensorESK_SK_EERKSK_lbbbEUlllE0_EEPmJS9_EEE10hipError_tPvRmT3_T4_T5_T6_T7_T9_mT8_P12ihipStream_tbDpT10_ENKUlT_T0_E_clISt17integral_constantIbLb0EES1A_EEDaS15_S16_EUlS15_E_NS1_11comp_targetILNS1_3genE9ELNS1_11target_archE1100ELNS1_3gpuE3ELNS1_3repE0EEENS1_30default_config_static_selectorELNS0_4arch9wavefront6targetE1EEEvT1_: ; @_ZN7rocprim17ROCPRIM_400000_NS6detail17trampoline_kernelINS0_14default_configENS1_25partition_config_selectorILNS1_17partition_subalgoE9EllbEEZZNS1_14partition_implILS5_9ELb0ES3_jPlS8_PNS0_10empty_typeENS0_5tupleIJS8_S9_EEENSB_IJS8_SA_EEENS0_18inequality_wrapperIZN2at6native12_GLOBAL__N_124unique_dim_cuda_templateIbEESt5tupleIJNSF_6TensorESK_SK_EERKSK_lbbbEUlllE0_EEPmJS9_EEE10hipError_tPvRmT3_T4_T5_T6_T7_T9_mT8_P12ihipStream_tbDpT10_ENKUlT_T0_E_clISt17integral_constantIbLb0EES1A_EEDaS15_S16_EUlS15_E_NS1_11comp_targetILNS1_3genE9ELNS1_11target_archE1100ELNS1_3gpuE3ELNS1_3repE0EEENS1_30default_config_static_selectorELNS0_4arch9wavefront6targetE1EEEvT1_
; %bb.0:
	.section	.rodata,"a",@progbits
	.p2align	6, 0x0
	.amdhsa_kernel _ZN7rocprim17ROCPRIM_400000_NS6detail17trampoline_kernelINS0_14default_configENS1_25partition_config_selectorILNS1_17partition_subalgoE9EllbEEZZNS1_14partition_implILS5_9ELb0ES3_jPlS8_PNS0_10empty_typeENS0_5tupleIJS8_S9_EEENSB_IJS8_SA_EEENS0_18inequality_wrapperIZN2at6native12_GLOBAL__N_124unique_dim_cuda_templateIbEESt5tupleIJNSF_6TensorESK_SK_EERKSK_lbbbEUlllE0_EEPmJS9_EEE10hipError_tPvRmT3_T4_T5_T6_T7_T9_mT8_P12ihipStream_tbDpT10_ENKUlT_T0_E_clISt17integral_constantIbLb0EES1A_EEDaS15_S16_EUlS15_E_NS1_11comp_targetILNS1_3genE9ELNS1_11target_archE1100ELNS1_3gpuE3ELNS1_3repE0EEENS1_30default_config_static_selectorELNS0_4arch9wavefront6targetE1EEEvT1_
		.amdhsa_group_segment_fixed_size 0
		.amdhsa_private_segment_fixed_size 0
		.amdhsa_kernarg_size 120
		.amdhsa_user_sgpr_count 6
		.amdhsa_user_sgpr_private_segment_buffer 1
		.amdhsa_user_sgpr_dispatch_ptr 0
		.amdhsa_user_sgpr_queue_ptr 0
		.amdhsa_user_sgpr_kernarg_segment_ptr 1
		.amdhsa_user_sgpr_dispatch_id 0
		.amdhsa_user_sgpr_flat_scratch_init 0
		.amdhsa_user_sgpr_kernarg_preload_length 0
		.amdhsa_user_sgpr_kernarg_preload_offset 0
		.amdhsa_user_sgpr_private_segment_size 0
		.amdhsa_uses_dynamic_stack 0
		.amdhsa_system_sgpr_private_segment_wavefront_offset 0
		.amdhsa_system_sgpr_workgroup_id_x 1
		.amdhsa_system_sgpr_workgroup_id_y 0
		.amdhsa_system_sgpr_workgroup_id_z 0
		.amdhsa_system_sgpr_workgroup_info 0
		.amdhsa_system_vgpr_workitem_id 0
		.amdhsa_next_free_vgpr 1
		.amdhsa_next_free_sgpr 0
		.amdhsa_accum_offset 4
		.amdhsa_reserve_vcc 0
		.amdhsa_reserve_flat_scratch 0
		.amdhsa_float_round_mode_32 0
		.amdhsa_float_round_mode_16_64 0
		.amdhsa_float_denorm_mode_32 3
		.amdhsa_float_denorm_mode_16_64 3
		.amdhsa_dx10_clamp 1
		.amdhsa_ieee_mode 1
		.amdhsa_fp16_overflow 0
		.amdhsa_tg_split 0
		.amdhsa_exception_fp_ieee_invalid_op 0
		.amdhsa_exception_fp_denorm_src 0
		.amdhsa_exception_fp_ieee_div_zero 0
		.amdhsa_exception_fp_ieee_overflow 0
		.amdhsa_exception_fp_ieee_underflow 0
		.amdhsa_exception_fp_ieee_inexact 0
		.amdhsa_exception_int_div_zero 0
	.end_amdhsa_kernel
	.section	.text._ZN7rocprim17ROCPRIM_400000_NS6detail17trampoline_kernelINS0_14default_configENS1_25partition_config_selectorILNS1_17partition_subalgoE9EllbEEZZNS1_14partition_implILS5_9ELb0ES3_jPlS8_PNS0_10empty_typeENS0_5tupleIJS8_S9_EEENSB_IJS8_SA_EEENS0_18inequality_wrapperIZN2at6native12_GLOBAL__N_124unique_dim_cuda_templateIbEESt5tupleIJNSF_6TensorESK_SK_EERKSK_lbbbEUlllE0_EEPmJS9_EEE10hipError_tPvRmT3_T4_T5_T6_T7_T9_mT8_P12ihipStream_tbDpT10_ENKUlT_T0_E_clISt17integral_constantIbLb0EES1A_EEDaS15_S16_EUlS15_E_NS1_11comp_targetILNS1_3genE9ELNS1_11target_archE1100ELNS1_3gpuE3ELNS1_3repE0EEENS1_30default_config_static_selectorELNS0_4arch9wavefront6targetE1EEEvT1_,"axG",@progbits,_ZN7rocprim17ROCPRIM_400000_NS6detail17trampoline_kernelINS0_14default_configENS1_25partition_config_selectorILNS1_17partition_subalgoE9EllbEEZZNS1_14partition_implILS5_9ELb0ES3_jPlS8_PNS0_10empty_typeENS0_5tupleIJS8_S9_EEENSB_IJS8_SA_EEENS0_18inequality_wrapperIZN2at6native12_GLOBAL__N_124unique_dim_cuda_templateIbEESt5tupleIJNSF_6TensorESK_SK_EERKSK_lbbbEUlllE0_EEPmJS9_EEE10hipError_tPvRmT3_T4_T5_T6_T7_T9_mT8_P12ihipStream_tbDpT10_ENKUlT_T0_E_clISt17integral_constantIbLb0EES1A_EEDaS15_S16_EUlS15_E_NS1_11comp_targetILNS1_3genE9ELNS1_11target_archE1100ELNS1_3gpuE3ELNS1_3repE0EEENS1_30default_config_static_selectorELNS0_4arch9wavefront6targetE1EEEvT1_,comdat
.Lfunc_end1089:
	.size	_ZN7rocprim17ROCPRIM_400000_NS6detail17trampoline_kernelINS0_14default_configENS1_25partition_config_selectorILNS1_17partition_subalgoE9EllbEEZZNS1_14partition_implILS5_9ELb0ES3_jPlS8_PNS0_10empty_typeENS0_5tupleIJS8_S9_EEENSB_IJS8_SA_EEENS0_18inequality_wrapperIZN2at6native12_GLOBAL__N_124unique_dim_cuda_templateIbEESt5tupleIJNSF_6TensorESK_SK_EERKSK_lbbbEUlllE0_EEPmJS9_EEE10hipError_tPvRmT3_T4_T5_T6_T7_T9_mT8_P12ihipStream_tbDpT10_ENKUlT_T0_E_clISt17integral_constantIbLb0EES1A_EEDaS15_S16_EUlS15_E_NS1_11comp_targetILNS1_3genE9ELNS1_11target_archE1100ELNS1_3gpuE3ELNS1_3repE0EEENS1_30default_config_static_selectorELNS0_4arch9wavefront6targetE1EEEvT1_, .Lfunc_end1089-_ZN7rocprim17ROCPRIM_400000_NS6detail17trampoline_kernelINS0_14default_configENS1_25partition_config_selectorILNS1_17partition_subalgoE9EllbEEZZNS1_14partition_implILS5_9ELb0ES3_jPlS8_PNS0_10empty_typeENS0_5tupleIJS8_S9_EEENSB_IJS8_SA_EEENS0_18inequality_wrapperIZN2at6native12_GLOBAL__N_124unique_dim_cuda_templateIbEESt5tupleIJNSF_6TensorESK_SK_EERKSK_lbbbEUlllE0_EEPmJS9_EEE10hipError_tPvRmT3_T4_T5_T6_T7_T9_mT8_P12ihipStream_tbDpT10_ENKUlT_T0_E_clISt17integral_constantIbLb0EES1A_EEDaS15_S16_EUlS15_E_NS1_11comp_targetILNS1_3genE9ELNS1_11target_archE1100ELNS1_3gpuE3ELNS1_3repE0EEENS1_30default_config_static_selectorELNS0_4arch9wavefront6targetE1EEEvT1_
                                        ; -- End function
	.section	.AMDGPU.csdata,"",@progbits
; Kernel info:
; codeLenInByte = 0
; NumSgprs: 4
; NumVgprs: 0
; NumAgprs: 0
; TotalNumVgprs: 0
; ScratchSize: 0
; MemoryBound: 0
; FloatMode: 240
; IeeeMode: 1
; LDSByteSize: 0 bytes/workgroup (compile time only)
; SGPRBlocks: 0
; VGPRBlocks: 0
; NumSGPRsForWavesPerEU: 4
; NumVGPRsForWavesPerEU: 1
; AccumOffset: 4
; Occupancy: 8
; WaveLimiterHint : 0
; COMPUTE_PGM_RSRC2:SCRATCH_EN: 0
; COMPUTE_PGM_RSRC2:USER_SGPR: 6
; COMPUTE_PGM_RSRC2:TRAP_HANDLER: 0
; COMPUTE_PGM_RSRC2:TGID_X_EN: 1
; COMPUTE_PGM_RSRC2:TGID_Y_EN: 0
; COMPUTE_PGM_RSRC2:TGID_Z_EN: 0
; COMPUTE_PGM_RSRC2:TIDIG_COMP_CNT: 0
; COMPUTE_PGM_RSRC3_GFX90A:ACCUM_OFFSET: 0
; COMPUTE_PGM_RSRC3_GFX90A:TG_SPLIT: 0
	.section	.text._ZN7rocprim17ROCPRIM_400000_NS6detail17trampoline_kernelINS0_14default_configENS1_25partition_config_selectorILNS1_17partition_subalgoE9EllbEEZZNS1_14partition_implILS5_9ELb0ES3_jPlS8_PNS0_10empty_typeENS0_5tupleIJS8_S9_EEENSB_IJS8_SA_EEENS0_18inequality_wrapperIZN2at6native12_GLOBAL__N_124unique_dim_cuda_templateIbEESt5tupleIJNSF_6TensorESK_SK_EERKSK_lbbbEUlllE0_EEPmJS9_EEE10hipError_tPvRmT3_T4_T5_T6_T7_T9_mT8_P12ihipStream_tbDpT10_ENKUlT_T0_E_clISt17integral_constantIbLb0EES1A_EEDaS15_S16_EUlS15_E_NS1_11comp_targetILNS1_3genE8ELNS1_11target_archE1030ELNS1_3gpuE2ELNS1_3repE0EEENS1_30default_config_static_selectorELNS0_4arch9wavefront6targetE1EEEvT1_,"axG",@progbits,_ZN7rocprim17ROCPRIM_400000_NS6detail17trampoline_kernelINS0_14default_configENS1_25partition_config_selectorILNS1_17partition_subalgoE9EllbEEZZNS1_14partition_implILS5_9ELb0ES3_jPlS8_PNS0_10empty_typeENS0_5tupleIJS8_S9_EEENSB_IJS8_SA_EEENS0_18inequality_wrapperIZN2at6native12_GLOBAL__N_124unique_dim_cuda_templateIbEESt5tupleIJNSF_6TensorESK_SK_EERKSK_lbbbEUlllE0_EEPmJS9_EEE10hipError_tPvRmT3_T4_T5_T6_T7_T9_mT8_P12ihipStream_tbDpT10_ENKUlT_T0_E_clISt17integral_constantIbLb0EES1A_EEDaS15_S16_EUlS15_E_NS1_11comp_targetILNS1_3genE8ELNS1_11target_archE1030ELNS1_3gpuE2ELNS1_3repE0EEENS1_30default_config_static_selectorELNS0_4arch9wavefront6targetE1EEEvT1_,comdat
	.globl	_ZN7rocprim17ROCPRIM_400000_NS6detail17trampoline_kernelINS0_14default_configENS1_25partition_config_selectorILNS1_17partition_subalgoE9EllbEEZZNS1_14partition_implILS5_9ELb0ES3_jPlS8_PNS0_10empty_typeENS0_5tupleIJS8_S9_EEENSB_IJS8_SA_EEENS0_18inequality_wrapperIZN2at6native12_GLOBAL__N_124unique_dim_cuda_templateIbEESt5tupleIJNSF_6TensorESK_SK_EERKSK_lbbbEUlllE0_EEPmJS9_EEE10hipError_tPvRmT3_T4_T5_T6_T7_T9_mT8_P12ihipStream_tbDpT10_ENKUlT_T0_E_clISt17integral_constantIbLb0EES1A_EEDaS15_S16_EUlS15_E_NS1_11comp_targetILNS1_3genE8ELNS1_11target_archE1030ELNS1_3gpuE2ELNS1_3repE0EEENS1_30default_config_static_selectorELNS0_4arch9wavefront6targetE1EEEvT1_ ; -- Begin function _ZN7rocprim17ROCPRIM_400000_NS6detail17trampoline_kernelINS0_14default_configENS1_25partition_config_selectorILNS1_17partition_subalgoE9EllbEEZZNS1_14partition_implILS5_9ELb0ES3_jPlS8_PNS0_10empty_typeENS0_5tupleIJS8_S9_EEENSB_IJS8_SA_EEENS0_18inequality_wrapperIZN2at6native12_GLOBAL__N_124unique_dim_cuda_templateIbEESt5tupleIJNSF_6TensorESK_SK_EERKSK_lbbbEUlllE0_EEPmJS9_EEE10hipError_tPvRmT3_T4_T5_T6_T7_T9_mT8_P12ihipStream_tbDpT10_ENKUlT_T0_E_clISt17integral_constantIbLb0EES1A_EEDaS15_S16_EUlS15_E_NS1_11comp_targetILNS1_3genE8ELNS1_11target_archE1030ELNS1_3gpuE2ELNS1_3repE0EEENS1_30default_config_static_selectorELNS0_4arch9wavefront6targetE1EEEvT1_
	.p2align	8
	.type	_ZN7rocprim17ROCPRIM_400000_NS6detail17trampoline_kernelINS0_14default_configENS1_25partition_config_selectorILNS1_17partition_subalgoE9EllbEEZZNS1_14partition_implILS5_9ELb0ES3_jPlS8_PNS0_10empty_typeENS0_5tupleIJS8_S9_EEENSB_IJS8_SA_EEENS0_18inequality_wrapperIZN2at6native12_GLOBAL__N_124unique_dim_cuda_templateIbEESt5tupleIJNSF_6TensorESK_SK_EERKSK_lbbbEUlllE0_EEPmJS9_EEE10hipError_tPvRmT3_T4_T5_T6_T7_T9_mT8_P12ihipStream_tbDpT10_ENKUlT_T0_E_clISt17integral_constantIbLb0EES1A_EEDaS15_S16_EUlS15_E_NS1_11comp_targetILNS1_3genE8ELNS1_11target_archE1030ELNS1_3gpuE2ELNS1_3repE0EEENS1_30default_config_static_selectorELNS0_4arch9wavefront6targetE1EEEvT1_,@function
_ZN7rocprim17ROCPRIM_400000_NS6detail17trampoline_kernelINS0_14default_configENS1_25partition_config_selectorILNS1_17partition_subalgoE9EllbEEZZNS1_14partition_implILS5_9ELb0ES3_jPlS8_PNS0_10empty_typeENS0_5tupleIJS8_S9_EEENSB_IJS8_SA_EEENS0_18inequality_wrapperIZN2at6native12_GLOBAL__N_124unique_dim_cuda_templateIbEESt5tupleIJNSF_6TensorESK_SK_EERKSK_lbbbEUlllE0_EEPmJS9_EEE10hipError_tPvRmT3_T4_T5_T6_T7_T9_mT8_P12ihipStream_tbDpT10_ENKUlT_T0_E_clISt17integral_constantIbLb0EES1A_EEDaS15_S16_EUlS15_E_NS1_11comp_targetILNS1_3genE8ELNS1_11target_archE1030ELNS1_3gpuE2ELNS1_3repE0EEENS1_30default_config_static_selectorELNS0_4arch9wavefront6targetE1EEEvT1_: ; @_ZN7rocprim17ROCPRIM_400000_NS6detail17trampoline_kernelINS0_14default_configENS1_25partition_config_selectorILNS1_17partition_subalgoE9EllbEEZZNS1_14partition_implILS5_9ELb0ES3_jPlS8_PNS0_10empty_typeENS0_5tupleIJS8_S9_EEENSB_IJS8_SA_EEENS0_18inequality_wrapperIZN2at6native12_GLOBAL__N_124unique_dim_cuda_templateIbEESt5tupleIJNSF_6TensorESK_SK_EERKSK_lbbbEUlllE0_EEPmJS9_EEE10hipError_tPvRmT3_T4_T5_T6_T7_T9_mT8_P12ihipStream_tbDpT10_ENKUlT_T0_E_clISt17integral_constantIbLb0EES1A_EEDaS15_S16_EUlS15_E_NS1_11comp_targetILNS1_3genE8ELNS1_11target_archE1030ELNS1_3gpuE2ELNS1_3repE0EEENS1_30default_config_static_selectorELNS0_4arch9wavefront6targetE1EEEvT1_
; %bb.0:
	.section	.rodata,"a",@progbits
	.p2align	6, 0x0
	.amdhsa_kernel _ZN7rocprim17ROCPRIM_400000_NS6detail17trampoline_kernelINS0_14default_configENS1_25partition_config_selectorILNS1_17partition_subalgoE9EllbEEZZNS1_14partition_implILS5_9ELb0ES3_jPlS8_PNS0_10empty_typeENS0_5tupleIJS8_S9_EEENSB_IJS8_SA_EEENS0_18inequality_wrapperIZN2at6native12_GLOBAL__N_124unique_dim_cuda_templateIbEESt5tupleIJNSF_6TensorESK_SK_EERKSK_lbbbEUlllE0_EEPmJS9_EEE10hipError_tPvRmT3_T4_T5_T6_T7_T9_mT8_P12ihipStream_tbDpT10_ENKUlT_T0_E_clISt17integral_constantIbLb0EES1A_EEDaS15_S16_EUlS15_E_NS1_11comp_targetILNS1_3genE8ELNS1_11target_archE1030ELNS1_3gpuE2ELNS1_3repE0EEENS1_30default_config_static_selectorELNS0_4arch9wavefront6targetE1EEEvT1_
		.amdhsa_group_segment_fixed_size 0
		.amdhsa_private_segment_fixed_size 0
		.amdhsa_kernarg_size 120
		.amdhsa_user_sgpr_count 6
		.amdhsa_user_sgpr_private_segment_buffer 1
		.amdhsa_user_sgpr_dispatch_ptr 0
		.amdhsa_user_sgpr_queue_ptr 0
		.amdhsa_user_sgpr_kernarg_segment_ptr 1
		.amdhsa_user_sgpr_dispatch_id 0
		.amdhsa_user_sgpr_flat_scratch_init 0
		.amdhsa_user_sgpr_kernarg_preload_length 0
		.amdhsa_user_sgpr_kernarg_preload_offset 0
		.amdhsa_user_sgpr_private_segment_size 0
		.amdhsa_uses_dynamic_stack 0
		.amdhsa_system_sgpr_private_segment_wavefront_offset 0
		.amdhsa_system_sgpr_workgroup_id_x 1
		.amdhsa_system_sgpr_workgroup_id_y 0
		.amdhsa_system_sgpr_workgroup_id_z 0
		.amdhsa_system_sgpr_workgroup_info 0
		.amdhsa_system_vgpr_workitem_id 0
		.amdhsa_next_free_vgpr 1
		.amdhsa_next_free_sgpr 0
		.amdhsa_accum_offset 4
		.amdhsa_reserve_vcc 0
		.amdhsa_reserve_flat_scratch 0
		.amdhsa_float_round_mode_32 0
		.amdhsa_float_round_mode_16_64 0
		.amdhsa_float_denorm_mode_32 3
		.amdhsa_float_denorm_mode_16_64 3
		.amdhsa_dx10_clamp 1
		.amdhsa_ieee_mode 1
		.amdhsa_fp16_overflow 0
		.amdhsa_tg_split 0
		.amdhsa_exception_fp_ieee_invalid_op 0
		.amdhsa_exception_fp_denorm_src 0
		.amdhsa_exception_fp_ieee_div_zero 0
		.amdhsa_exception_fp_ieee_overflow 0
		.amdhsa_exception_fp_ieee_underflow 0
		.amdhsa_exception_fp_ieee_inexact 0
		.amdhsa_exception_int_div_zero 0
	.end_amdhsa_kernel
	.section	.text._ZN7rocprim17ROCPRIM_400000_NS6detail17trampoline_kernelINS0_14default_configENS1_25partition_config_selectorILNS1_17partition_subalgoE9EllbEEZZNS1_14partition_implILS5_9ELb0ES3_jPlS8_PNS0_10empty_typeENS0_5tupleIJS8_S9_EEENSB_IJS8_SA_EEENS0_18inequality_wrapperIZN2at6native12_GLOBAL__N_124unique_dim_cuda_templateIbEESt5tupleIJNSF_6TensorESK_SK_EERKSK_lbbbEUlllE0_EEPmJS9_EEE10hipError_tPvRmT3_T4_T5_T6_T7_T9_mT8_P12ihipStream_tbDpT10_ENKUlT_T0_E_clISt17integral_constantIbLb0EES1A_EEDaS15_S16_EUlS15_E_NS1_11comp_targetILNS1_3genE8ELNS1_11target_archE1030ELNS1_3gpuE2ELNS1_3repE0EEENS1_30default_config_static_selectorELNS0_4arch9wavefront6targetE1EEEvT1_,"axG",@progbits,_ZN7rocprim17ROCPRIM_400000_NS6detail17trampoline_kernelINS0_14default_configENS1_25partition_config_selectorILNS1_17partition_subalgoE9EllbEEZZNS1_14partition_implILS5_9ELb0ES3_jPlS8_PNS0_10empty_typeENS0_5tupleIJS8_S9_EEENSB_IJS8_SA_EEENS0_18inequality_wrapperIZN2at6native12_GLOBAL__N_124unique_dim_cuda_templateIbEESt5tupleIJNSF_6TensorESK_SK_EERKSK_lbbbEUlllE0_EEPmJS9_EEE10hipError_tPvRmT3_T4_T5_T6_T7_T9_mT8_P12ihipStream_tbDpT10_ENKUlT_T0_E_clISt17integral_constantIbLb0EES1A_EEDaS15_S16_EUlS15_E_NS1_11comp_targetILNS1_3genE8ELNS1_11target_archE1030ELNS1_3gpuE2ELNS1_3repE0EEENS1_30default_config_static_selectorELNS0_4arch9wavefront6targetE1EEEvT1_,comdat
.Lfunc_end1090:
	.size	_ZN7rocprim17ROCPRIM_400000_NS6detail17trampoline_kernelINS0_14default_configENS1_25partition_config_selectorILNS1_17partition_subalgoE9EllbEEZZNS1_14partition_implILS5_9ELb0ES3_jPlS8_PNS0_10empty_typeENS0_5tupleIJS8_S9_EEENSB_IJS8_SA_EEENS0_18inequality_wrapperIZN2at6native12_GLOBAL__N_124unique_dim_cuda_templateIbEESt5tupleIJNSF_6TensorESK_SK_EERKSK_lbbbEUlllE0_EEPmJS9_EEE10hipError_tPvRmT3_T4_T5_T6_T7_T9_mT8_P12ihipStream_tbDpT10_ENKUlT_T0_E_clISt17integral_constantIbLb0EES1A_EEDaS15_S16_EUlS15_E_NS1_11comp_targetILNS1_3genE8ELNS1_11target_archE1030ELNS1_3gpuE2ELNS1_3repE0EEENS1_30default_config_static_selectorELNS0_4arch9wavefront6targetE1EEEvT1_, .Lfunc_end1090-_ZN7rocprim17ROCPRIM_400000_NS6detail17trampoline_kernelINS0_14default_configENS1_25partition_config_selectorILNS1_17partition_subalgoE9EllbEEZZNS1_14partition_implILS5_9ELb0ES3_jPlS8_PNS0_10empty_typeENS0_5tupleIJS8_S9_EEENSB_IJS8_SA_EEENS0_18inequality_wrapperIZN2at6native12_GLOBAL__N_124unique_dim_cuda_templateIbEESt5tupleIJNSF_6TensorESK_SK_EERKSK_lbbbEUlllE0_EEPmJS9_EEE10hipError_tPvRmT3_T4_T5_T6_T7_T9_mT8_P12ihipStream_tbDpT10_ENKUlT_T0_E_clISt17integral_constantIbLb0EES1A_EEDaS15_S16_EUlS15_E_NS1_11comp_targetILNS1_3genE8ELNS1_11target_archE1030ELNS1_3gpuE2ELNS1_3repE0EEENS1_30default_config_static_selectorELNS0_4arch9wavefront6targetE1EEEvT1_
                                        ; -- End function
	.section	.AMDGPU.csdata,"",@progbits
; Kernel info:
; codeLenInByte = 0
; NumSgprs: 4
; NumVgprs: 0
; NumAgprs: 0
; TotalNumVgprs: 0
; ScratchSize: 0
; MemoryBound: 0
; FloatMode: 240
; IeeeMode: 1
; LDSByteSize: 0 bytes/workgroup (compile time only)
; SGPRBlocks: 0
; VGPRBlocks: 0
; NumSGPRsForWavesPerEU: 4
; NumVGPRsForWavesPerEU: 1
; AccumOffset: 4
; Occupancy: 8
; WaveLimiterHint : 0
; COMPUTE_PGM_RSRC2:SCRATCH_EN: 0
; COMPUTE_PGM_RSRC2:USER_SGPR: 6
; COMPUTE_PGM_RSRC2:TRAP_HANDLER: 0
; COMPUTE_PGM_RSRC2:TGID_X_EN: 1
; COMPUTE_PGM_RSRC2:TGID_Y_EN: 0
; COMPUTE_PGM_RSRC2:TGID_Z_EN: 0
; COMPUTE_PGM_RSRC2:TIDIG_COMP_CNT: 0
; COMPUTE_PGM_RSRC3_GFX90A:ACCUM_OFFSET: 0
; COMPUTE_PGM_RSRC3_GFX90A:TG_SPLIT: 0
	.section	.text._ZN7rocprim17ROCPRIM_400000_NS6detail17trampoline_kernelINS0_14default_configENS1_25partition_config_selectorILNS1_17partition_subalgoE9EllbEEZZNS1_14partition_implILS5_9ELb0ES3_jPlS8_PNS0_10empty_typeENS0_5tupleIJS8_S9_EEENSB_IJS8_SA_EEENS0_18inequality_wrapperIZN2at6native12_GLOBAL__N_124unique_dim_cuda_templateIbEESt5tupleIJNSF_6TensorESK_SK_EERKSK_lbbbEUlllE0_EEPmJS9_EEE10hipError_tPvRmT3_T4_T5_T6_T7_T9_mT8_P12ihipStream_tbDpT10_ENKUlT_T0_E_clISt17integral_constantIbLb1EES1A_EEDaS15_S16_EUlS15_E_NS1_11comp_targetILNS1_3genE0ELNS1_11target_archE4294967295ELNS1_3gpuE0ELNS1_3repE0EEENS1_30default_config_static_selectorELNS0_4arch9wavefront6targetE1EEEvT1_,"axG",@progbits,_ZN7rocprim17ROCPRIM_400000_NS6detail17trampoline_kernelINS0_14default_configENS1_25partition_config_selectorILNS1_17partition_subalgoE9EllbEEZZNS1_14partition_implILS5_9ELb0ES3_jPlS8_PNS0_10empty_typeENS0_5tupleIJS8_S9_EEENSB_IJS8_SA_EEENS0_18inequality_wrapperIZN2at6native12_GLOBAL__N_124unique_dim_cuda_templateIbEESt5tupleIJNSF_6TensorESK_SK_EERKSK_lbbbEUlllE0_EEPmJS9_EEE10hipError_tPvRmT3_T4_T5_T6_T7_T9_mT8_P12ihipStream_tbDpT10_ENKUlT_T0_E_clISt17integral_constantIbLb1EES1A_EEDaS15_S16_EUlS15_E_NS1_11comp_targetILNS1_3genE0ELNS1_11target_archE4294967295ELNS1_3gpuE0ELNS1_3repE0EEENS1_30default_config_static_selectorELNS0_4arch9wavefront6targetE1EEEvT1_,comdat
	.globl	_ZN7rocprim17ROCPRIM_400000_NS6detail17trampoline_kernelINS0_14default_configENS1_25partition_config_selectorILNS1_17partition_subalgoE9EllbEEZZNS1_14partition_implILS5_9ELb0ES3_jPlS8_PNS0_10empty_typeENS0_5tupleIJS8_S9_EEENSB_IJS8_SA_EEENS0_18inequality_wrapperIZN2at6native12_GLOBAL__N_124unique_dim_cuda_templateIbEESt5tupleIJNSF_6TensorESK_SK_EERKSK_lbbbEUlllE0_EEPmJS9_EEE10hipError_tPvRmT3_T4_T5_T6_T7_T9_mT8_P12ihipStream_tbDpT10_ENKUlT_T0_E_clISt17integral_constantIbLb1EES1A_EEDaS15_S16_EUlS15_E_NS1_11comp_targetILNS1_3genE0ELNS1_11target_archE4294967295ELNS1_3gpuE0ELNS1_3repE0EEENS1_30default_config_static_selectorELNS0_4arch9wavefront6targetE1EEEvT1_ ; -- Begin function _ZN7rocprim17ROCPRIM_400000_NS6detail17trampoline_kernelINS0_14default_configENS1_25partition_config_selectorILNS1_17partition_subalgoE9EllbEEZZNS1_14partition_implILS5_9ELb0ES3_jPlS8_PNS0_10empty_typeENS0_5tupleIJS8_S9_EEENSB_IJS8_SA_EEENS0_18inequality_wrapperIZN2at6native12_GLOBAL__N_124unique_dim_cuda_templateIbEESt5tupleIJNSF_6TensorESK_SK_EERKSK_lbbbEUlllE0_EEPmJS9_EEE10hipError_tPvRmT3_T4_T5_T6_T7_T9_mT8_P12ihipStream_tbDpT10_ENKUlT_T0_E_clISt17integral_constantIbLb1EES1A_EEDaS15_S16_EUlS15_E_NS1_11comp_targetILNS1_3genE0ELNS1_11target_archE4294967295ELNS1_3gpuE0ELNS1_3repE0EEENS1_30default_config_static_selectorELNS0_4arch9wavefront6targetE1EEEvT1_
	.p2align	8
	.type	_ZN7rocprim17ROCPRIM_400000_NS6detail17trampoline_kernelINS0_14default_configENS1_25partition_config_selectorILNS1_17partition_subalgoE9EllbEEZZNS1_14partition_implILS5_9ELb0ES3_jPlS8_PNS0_10empty_typeENS0_5tupleIJS8_S9_EEENSB_IJS8_SA_EEENS0_18inequality_wrapperIZN2at6native12_GLOBAL__N_124unique_dim_cuda_templateIbEESt5tupleIJNSF_6TensorESK_SK_EERKSK_lbbbEUlllE0_EEPmJS9_EEE10hipError_tPvRmT3_T4_T5_T6_T7_T9_mT8_P12ihipStream_tbDpT10_ENKUlT_T0_E_clISt17integral_constantIbLb1EES1A_EEDaS15_S16_EUlS15_E_NS1_11comp_targetILNS1_3genE0ELNS1_11target_archE4294967295ELNS1_3gpuE0ELNS1_3repE0EEENS1_30default_config_static_selectorELNS0_4arch9wavefront6targetE1EEEvT1_,@function
_ZN7rocprim17ROCPRIM_400000_NS6detail17trampoline_kernelINS0_14default_configENS1_25partition_config_selectorILNS1_17partition_subalgoE9EllbEEZZNS1_14partition_implILS5_9ELb0ES3_jPlS8_PNS0_10empty_typeENS0_5tupleIJS8_S9_EEENSB_IJS8_SA_EEENS0_18inequality_wrapperIZN2at6native12_GLOBAL__N_124unique_dim_cuda_templateIbEESt5tupleIJNSF_6TensorESK_SK_EERKSK_lbbbEUlllE0_EEPmJS9_EEE10hipError_tPvRmT3_T4_T5_T6_T7_T9_mT8_P12ihipStream_tbDpT10_ENKUlT_T0_E_clISt17integral_constantIbLb1EES1A_EEDaS15_S16_EUlS15_E_NS1_11comp_targetILNS1_3genE0ELNS1_11target_archE4294967295ELNS1_3gpuE0ELNS1_3repE0EEENS1_30default_config_static_selectorELNS0_4arch9wavefront6targetE1EEEvT1_: ; @_ZN7rocprim17ROCPRIM_400000_NS6detail17trampoline_kernelINS0_14default_configENS1_25partition_config_selectorILNS1_17partition_subalgoE9EllbEEZZNS1_14partition_implILS5_9ELb0ES3_jPlS8_PNS0_10empty_typeENS0_5tupleIJS8_S9_EEENSB_IJS8_SA_EEENS0_18inequality_wrapperIZN2at6native12_GLOBAL__N_124unique_dim_cuda_templateIbEESt5tupleIJNSF_6TensorESK_SK_EERKSK_lbbbEUlllE0_EEPmJS9_EEE10hipError_tPvRmT3_T4_T5_T6_T7_T9_mT8_P12ihipStream_tbDpT10_ENKUlT_T0_E_clISt17integral_constantIbLb1EES1A_EEDaS15_S16_EUlS15_E_NS1_11comp_targetILNS1_3genE0ELNS1_11target_archE4294967295ELNS1_3gpuE0ELNS1_3repE0EEENS1_30default_config_static_selectorELNS0_4arch9wavefront6targetE1EEEvT1_
; %bb.0:
	.section	.rodata,"a",@progbits
	.p2align	6, 0x0
	.amdhsa_kernel _ZN7rocprim17ROCPRIM_400000_NS6detail17trampoline_kernelINS0_14default_configENS1_25partition_config_selectorILNS1_17partition_subalgoE9EllbEEZZNS1_14partition_implILS5_9ELb0ES3_jPlS8_PNS0_10empty_typeENS0_5tupleIJS8_S9_EEENSB_IJS8_SA_EEENS0_18inequality_wrapperIZN2at6native12_GLOBAL__N_124unique_dim_cuda_templateIbEESt5tupleIJNSF_6TensorESK_SK_EERKSK_lbbbEUlllE0_EEPmJS9_EEE10hipError_tPvRmT3_T4_T5_T6_T7_T9_mT8_P12ihipStream_tbDpT10_ENKUlT_T0_E_clISt17integral_constantIbLb1EES1A_EEDaS15_S16_EUlS15_E_NS1_11comp_targetILNS1_3genE0ELNS1_11target_archE4294967295ELNS1_3gpuE0ELNS1_3repE0EEENS1_30default_config_static_selectorELNS0_4arch9wavefront6targetE1EEEvT1_
		.amdhsa_group_segment_fixed_size 0
		.amdhsa_private_segment_fixed_size 0
		.amdhsa_kernarg_size 136
		.amdhsa_user_sgpr_count 6
		.amdhsa_user_sgpr_private_segment_buffer 1
		.amdhsa_user_sgpr_dispatch_ptr 0
		.amdhsa_user_sgpr_queue_ptr 0
		.amdhsa_user_sgpr_kernarg_segment_ptr 1
		.amdhsa_user_sgpr_dispatch_id 0
		.amdhsa_user_sgpr_flat_scratch_init 0
		.amdhsa_user_sgpr_kernarg_preload_length 0
		.amdhsa_user_sgpr_kernarg_preload_offset 0
		.amdhsa_user_sgpr_private_segment_size 0
		.amdhsa_uses_dynamic_stack 0
		.amdhsa_system_sgpr_private_segment_wavefront_offset 0
		.amdhsa_system_sgpr_workgroup_id_x 1
		.amdhsa_system_sgpr_workgroup_id_y 0
		.amdhsa_system_sgpr_workgroup_id_z 0
		.amdhsa_system_sgpr_workgroup_info 0
		.amdhsa_system_vgpr_workitem_id 0
		.amdhsa_next_free_vgpr 1
		.amdhsa_next_free_sgpr 0
		.amdhsa_accum_offset 4
		.amdhsa_reserve_vcc 0
		.amdhsa_reserve_flat_scratch 0
		.amdhsa_float_round_mode_32 0
		.amdhsa_float_round_mode_16_64 0
		.amdhsa_float_denorm_mode_32 3
		.amdhsa_float_denorm_mode_16_64 3
		.amdhsa_dx10_clamp 1
		.amdhsa_ieee_mode 1
		.amdhsa_fp16_overflow 0
		.amdhsa_tg_split 0
		.amdhsa_exception_fp_ieee_invalid_op 0
		.amdhsa_exception_fp_denorm_src 0
		.amdhsa_exception_fp_ieee_div_zero 0
		.amdhsa_exception_fp_ieee_overflow 0
		.amdhsa_exception_fp_ieee_underflow 0
		.amdhsa_exception_fp_ieee_inexact 0
		.amdhsa_exception_int_div_zero 0
	.end_amdhsa_kernel
	.section	.text._ZN7rocprim17ROCPRIM_400000_NS6detail17trampoline_kernelINS0_14default_configENS1_25partition_config_selectorILNS1_17partition_subalgoE9EllbEEZZNS1_14partition_implILS5_9ELb0ES3_jPlS8_PNS0_10empty_typeENS0_5tupleIJS8_S9_EEENSB_IJS8_SA_EEENS0_18inequality_wrapperIZN2at6native12_GLOBAL__N_124unique_dim_cuda_templateIbEESt5tupleIJNSF_6TensorESK_SK_EERKSK_lbbbEUlllE0_EEPmJS9_EEE10hipError_tPvRmT3_T4_T5_T6_T7_T9_mT8_P12ihipStream_tbDpT10_ENKUlT_T0_E_clISt17integral_constantIbLb1EES1A_EEDaS15_S16_EUlS15_E_NS1_11comp_targetILNS1_3genE0ELNS1_11target_archE4294967295ELNS1_3gpuE0ELNS1_3repE0EEENS1_30default_config_static_selectorELNS0_4arch9wavefront6targetE1EEEvT1_,"axG",@progbits,_ZN7rocprim17ROCPRIM_400000_NS6detail17trampoline_kernelINS0_14default_configENS1_25partition_config_selectorILNS1_17partition_subalgoE9EllbEEZZNS1_14partition_implILS5_9ELb0ES3_jPlS8_PNS0_10empty_typeENS0_5tupleIJS8_S9_EEENSB_IJS8_SA_EEENS0_18inequality_wrapperIZN2at6native12_GLOBAL__N_124unique_dim_cuda_templateIbEESt5tupleIJNSF_6TensorESK_SK_EERKSK_lbbbEUlllE0_EEPmJS9_EEE10hipError_tPvRmT3_T4_T5_T6_T7_T9_mT8_P12ihipStream_tbDpT10_ENKUlT_T0_E_clISt17integral_constantIbLb1EES1A_EEDaS15_S16_EUlS15_E_NS1_11comp_targetILNS1_3genE0ELNS1_11target_archE4294967295ELNS1_3gpuE0ELNS1_3repE0EEENS1_30default_config_static_selectorELNS0_4arch9wavefront6targetE1EEEvT1_,comdat
.Lfunc_end1091:
	.size	_ZN7rocprim17ROCPRIM_400000_NS6detail17trampoline_kernelINS0_14default_configENS1_25partition_config_selectorILNS1_17partition_subalgoE9EllbEEZZNS1_14partition_implILS5_9ELb0ES3_jPlS8_PNS0_10empty_typeENS0_5tupleIJS8_S9_EEENSB_IJS8_SA_EEENS0_18inequality_wrapperIZN2at6native12_GLOBAL__N_124unique_dim_cuda_templateIbEESt5tupleIJNSF_6TensorESK_SK_EERKSK_lbbbEUlllE0_EEPmJS9_EEE10hipError_tPvRmT3_T4_T5_T6_T7_T9_mT8_P12ihipStream_tbDpT10_ENKUlT_T0_E_clISt17integral_constantIbLb1EES1A_EEDaS15_S16_EUlS15_E_NS1_11comp_targetILNS1_3genE0ELNS1_11target_archE4294967295ELNS1_3gpuE0ELNS1_3repE0EEENS1_30default_config_static_selectorELNS0_4arch9wavefront6targetE1EEEvT1_, .Lfunc_end1091-_ZN7rocprim17ROCPRIM_400000_NS6detail17trampoline_kernelINS0_14default_configENS1_25partition_config_selectorILNS1_17partition_subalgoE9EllbEEZZNS1_14partition_implILS5_9ELb0ES3_jPlS8_PNS0_10empty_typeENS0_5tupleIJS8_S9_EEENSB_IJS8_SA_EEENS0_18inequality_wrapperIZN2at6native12_GLOBAL__N_124unique_dim_cuda_templateIbEESt5tupleIJNSF_6TensorESK_SK_EERKSK_lbbbEUlllE0_EEPmJS9_EEE10hipError_tPvRmT3_T4_T5_T6_T7_T9_mT8_P12ihipStream_tbDpT10_ENKUlT_T0_E_clISt17integral_constantIbLb1EES1A_EEDaS15_S16_EUlS15_E_NS1_11comp_targetILNS1_3genE0ELNS1_11target_archE4294967295ELNS1_3gpuE0ELNS1_3repE0EEENS1_30default_config_static_selectorELNS0_4arch9wavefront6targetE1EEEvT1_
                                        ; -- End function
	.section	.AMDGPU.csdata,"",@progbits
; Kernel info:
; codeLenInByte = 0
; NumSgprs: 4
; NumVgprs: 0
; NumAgprs: 0
; TotalNumVgprs: 0
; ScratchSize: 0
; MemoryBound: 0
; FloatMode: 240
; IeeeMode: 1
; LDSByteSize: 0 bytes/workgroup (compile time only)
; SGPRBlocks: 0
; VGPRBlocks: 0
; NumSGPRsForWavesPerEU: 4
; NumVGPRsForWavesPerEU: 1
; AccumOffset: 4
; Occupancy: 8
; WaveLimiterHint : 0
; COMPUTE_PGM_RSRC2:SCRATCH_EN: 0
; COMPUTE_PGM_RSRC2:USER_SGPR: 6
; COMPUTE_PGM_RSRC2:TRAP_HANDLER: 0
; COMPUTE_PGM_RSRC2:TGID_X_EN: 1
; COMPUTE_PGM_RSRC2:TGID_Y_EN: 0
; COMPUTE_PGM_RSRC2:TGID_Z_EN: 0
; COMPUTE_PGM_RSRC2:TIDIG_COMP_CNT: 0
; COMPUTE_PGM_RSRC3_GFX90A:ACCUM_OFFSET: 0
; COMPUTE_PGM_RSRC3_GFX90A:TG_SPLIT: 0
	.section	.text._ZN7rocprim17ROCPRIM_400000_NS6detail17trampoline_kernelINS0_14default_configENS1_25partition_config_selectorILNS1_17partition_subalgoE9EllbEEZZNS1_14partition_implILS5_9ELb0ES3_jPlS8_PNS0_10empty_typeENS0_5tupleIJS8_S9_EEENSB_IJS8_SA_EEENS0_18inequality_wrapperIZN2at6native12_GLOBAL__N_124unique_dim_cuda_templateIbEESt5tupleIJNSF_6TensorESK_SK_EERKSK_lbbbEUlllE0_EEPmJS9_EEE10hipError_tPvRmT3_T4_T5_T6_T7_T9_mT8_P12ihipStream_tbDpT10_ENKUlT_T0_E_clISt17integral_constantIbLb1EES1A_EEDaS15_S16_EUlS15_E_NS1_11comp_targetILNS1_3genE5ELNS1_11target_archE942ELNS1_3gpuE9ELNS1_3repE0EEENS1_30default_config_static_selectorELNS0_4arch9wavefront6targetE1EEEvT1_,"axG",@progbits,_ZN7rocprim17ROCPRIM_400000_NS6detail17trampoline_kernelINS0_14default_configENS1_25partition_config_selectorILNS1_17partition_subalgoE9EllbEEZZNS1_14partition_implILS5_9ELb0ES3_jPlS8_PNS0_10empty_typeENS0_5tupleIJS8_S9_EEENSB_IJS8_SA_EEENS0_18inequality_wrapperIZN2at6native12_GLOBAL__N_124unique_dim_cuda_templateIbEESt5tupleIJNSF_6TensorESK_SK_EERKSK_lbbbEUlllE0_EEPmJS9_EEE10hipError_tPvRmT3_T4_T5_T6_T7_T9_mT8_P12ihipStream_tbDpT10_ENKUlT_T0_E_clISt17integral_constantIbLb1EES1A_EEDaS15_S16_EUlS15_E_NS1_11comp_targetILNS1_3genE5ELNS1_11target_archE942ELNS1_3gpuE9ELNS1_3repE0EEENS1_30default_config_static_selectorELNS0_4arch9wavefront6targetE1EEEvT1_,comdat
	.globl	_ZN7rocprim17ROCPRIM_400000_NS6detail17trampoline_kernelINS0_14default_configENS1_25partition_config_selectorILNS1_17partition_subalgoE9EllbEEZZNS1_14partition_implILS5_9ELb0ES3_jPlS8_PNS0_10empty_typeENS0_5tupleIJS8_S9_EEENSB_IJS8_SA_EEENS0_18inequality_wrapperIZN2at6native12_GLOBAL__N_124unique_dim_cuda_templateIbEESt5tupleIJNSF_6TensorESK_SK_EERKSK_lbbbEUlllE0_EEPmJS9_EEE10hipError_tPvRmT3_T4_T5_T6_T7_T9_mT8_P12ihipStream_tbDpT10_ENKUlT_T0_E_clISt17integral_constantIbLb1EES1A_EEDaS15_S16_EUlS15_E_NS1_11comp_targetILNS1_3genE5ELNS1_11target_archE942ELNS1_3gpuE9ELNS1_3repE0EEENS1_30default_config_static_selectorELNS0_4arch9wavefront6targetE1EEEvT1_ ; -- Begin function _ZN7rocprim17ROCPRIM_400000_NS6detail17trampoline_kernelINS0_14default_configENS1_25partition_config_selectorILNS1_17partition_subalgoE9EllbEEZZNS1_14partition_implILS5_9ELb0ES3_jPlS8_PNS0_10empty_typeENS0_5tupleIJS8_S9_EEENSB_IJS8_SA_EEENS0_18inequality_wrapperIZN2at6native12_GLOBAL__N_124unique_dim_cuda_templateIbEESt5tupleIJNSF_6TensorESK_SK_EERKSK_lbbbEUlllE0_EEPmJS9_EEE10hipError_tPvRmT3_T4_T5_T6_T7_T9_mT8_P12ihipStream_tbDpT10_ENKUlT_T0_E_clISt17integral_constantIbLb1EES1A_EEDaS15_S16_EUlS15_E_NS1_11comp_targetILNS1_3genE5ELNS1_11target_archE942ELNS1_3gpuE9ELNS1_3repE0EEENS1_30default_config_static_selectorELNS0_4arch9wavefront6targetE1EEEvT1_
	.p2align	8
	.type	_ZN7rocprim17ROCPRIM_400000_NS6detail17trampoline_kernelINS0_14default_configENS1_25partition_config_selectorILNS1_17partition_subalgoE9EllbEEZZNS1_14partition_implILS5_9ELb0ES3_jPlS8_PNS0_10empty_typeENS0_5tupleIJS8_S9_EEENSB_IJS8_SA_EEENS0_18inequality_wrapperIZN2at6native12_GLOBAL__N_124unique_dim_cuda_templateIbEESt5tupleIJNSF_6TensorESK_SK_EERKSK_lbbbEUlllE0_EEPmJS9_EEE10hipError_tPvRmT3_T4_T5_T6_T7_T9_mT8_P12ihipStream_tbDpT10_ENKUlT_T0_E_clISt17integral_constantIbLb1EES1A_EEDaS15_S16_EUlS15_E_NS1_11comp_targetILNS1_3genE5ELNS1_11target_archE942ELNS1_3gpuE9ELNS1_3repE0EEENS1_30default_config_static_selectorELNS0_4arch9wavefront6targetE1EEEvT1_,@function
_ZN7rocprim17ROCPRIM_400000_NS6detail17trampoline_kernelINS0_14default_configENS1_25partition_config_selectorILNS1_17partition_subalgoE9EllbEEZZNS1_14partition_implILS5_9ELb0ES3_jPlS8_PNS0_10empty_typeENS0_5tupleIJS8_S9_EEENSB_IJS8_SA_EEENS0_18inequality_wrapperIZN2at6native12_GLOBAL__N_124unique_dim_cuda_templateIbEESt5tupleIJNSF_6TensorESK_SK_EERKSK_lbbbEUlllE0_EEPmJS9_EEE10hipError_tPvRmT3_T4_T5_T6_T7_T9_mT8_P12ihipStream_tbDpT10_ENKUlT_T0_E_clISt17integral_constantIbLb1EES1A_EEDaS15_S16_EUlS15_E_NS1_11comp_targetILNS1_3genE5ELNS1_11target_archE942ELNS1_3gpuE9ELNS1_3repE0EEENS1_30default_config_static_selectorELNS0_4arch9wavefront6targetE1EEEvT1_: ; @_ZN7rocprim17ROCPRIM_400000_NS6detail17trampoline_kernelINS0_14default_configENS1_25partition_config_selectorILNS1_17partition_subalgoE9EllbEEZZNS1_14partition_implILS5_9ELb0ES3_jPlS8_PNS0_10empty_typeENS0_5tupleIJS8_S9_EEENSB_IJS8_SA_EEENS0_18inequality_wrapperIZN2at6native12_GLOBAL__N_124unique_dim_cuda_templateIbEESt5tupleIJNSF_6TensorESK_SK_EERKSK_lbbbEUlllE0_EEPmJS9_EEE10hipError_tPvRmT3_T4_T5_T6_T7_T9_mT8_P12ihipStream_tbDpT10_ENKUlT_T0_E_clISt17integral_constantIbLb1EES1A_EEDaS15_S16_EUlS15_E_NS1_11comp_targetILNS1_3genE5ELNS1_11target_archE942ELNS1_3gpuE9ELNS1_3repE0EEENS1_30default_config_static_selectorELNS0_4arch9wavefront6targetE1EEEvT1_
; %bb.0:
	.section	.rodata,"a",@progbits
	.p2align	6, 0x0
	.amdhsa_kernel _ZN7rocprim17ROCPRIM_400000_NS6detail17trampoline_kernelINS0_14default_configENS1_25partition_config_selectorILNS1_17partition_subalgoE9EllbEEZZNS1_14partition_implILS5_9ELb0ES3_jPlS8_PNS0_10empty_typeENS0_5tupleIJS8_S9_EEENSB_IJS8_SA_EEENS0_18inequality_wrapperIZN2at6native12_GLOBAL__N_124unique_dim_cuda_templateIbEESt5tupleIJNSF_6TensorESK_SK_EERKSK_lbbbEUlllE0_EEPmJS9_EEE10hipError_tPvRmT3_T4_T5_T6_T7_T9_mT8_P12ihipStream_tbDpT10_ENKUlT_T0_E_clISt17integral_constantIbLb1EES1A_EEDaS15_S16_EUlS15_E_NS1_11comp_targetILNS1_3genE5ELNS1_11target_archE942ELNS1_3gpuE9ELNS1_3repE0EEENS1_30default_config_static_selectorELNS0_4arch9wavefront6targetE1EEEvT1_
		.amdhsa_group_segment_fixed_size 0
		.amdhsa_private_segment_fixed_size 0
		.amdhsa_kernarg_size 136
		.amdhsa_user_sgpr_count 6
		.amdhsa_user_sgpr_private_segment_buffer 1
		.amdhsa_user_sgpr_dispatch_ptr 0
		.amdhsa_user_sgpr_queue_ptr 0
		.amdhsa_user_sgpr_kernarg_segment_ptr 1
		.amdhsa_user_sgpr_dispatch_id 0
		.amdhsa_user_sgpr_flat_scratch_init 0
		.amdhsa_user_sgpr_kernarg_preload_length 0
		.amdhsa_user_sgpr_kernarg_preload_offset 0
		.amdhsa_user_sgpr_private_segment_size 0
		.amdhsa_uses_dynamic_stack 0
		.amdhsa_system_sgpr_private_segment_wavefront_offset 0
		.amdhsa_system_sgpr_workgroup_id_x 1
		.amdhsa_system_sgpr_workgroup_id_y 0
		.amdhsa_system_sgpr_workgroup_id_z 0
		.amdhsa_system_sgpr_workgroup_info 0
		.amdhsa_system_vgpr_workitem_id 0
		.amdhsa_next_free_vgpr 1
		.amdhsa_next_free_sgpr 0
		.amdhsa_accum_offset 4
		.amdhsa_reserve_vcc 0
		.amdhsa_reserve_flat_scratch 0
		.amdhsa_float_round_mode_32 0
		.amdhsa_float_round_mode_16_64 0
		.amdhsa_float_denorm_mode_32 3
		.amdhsa_float_denorm_mode_16_64 3
		.amdhsa_dx10_clamp 1
		.amdhsa_ieee_mode 1
		.amdhsa_fp16_overflow 0
		.amdhsa_tg_split 0
		.amdhsa_exception_fp_ieee_invalid_op 0
		.amdhsa_exception_fp_denorm_src 0
		.amdhsa_exception_fp_ieee_div_zero 0
		.amdhsa_exception_fp_ieee_overflow 0
		.amdhsa_exception_fp_ieee_underflow 0
		.amdhsa_exception_fp_ieee_inexact 0
		.amdhsa_exception_int_div_zero 0
	.end_amdhsa_kernel
	.section	.text._ZN7rocprim17ROCPRIM_400000_NS6detail17trampoline_kernelINS0_14default_configENS1_25partition_config_selectorILNS1_17partition_subalgoE9EllbEEZZNS1_14partition_implILS5_9ELb0ES3_jPlS8_PNS0_10empty_typeENS0_5tupleIJS8_S9_EEENSB_IJS8_SA_EEENS0_18inequality_wrapperIZN2at6native12_GLOBAL__N_124unique_dim_cuda_templateIbEESt5tupleIJNSF_6TensorESK_SK_EERKSK_lbbbEUlllE0_EEPmJS9_EEE10hipError_tPvRmT3_T4_T5_T6_T7_T9_mT8_P12ihipStream_tbDpT10_ENKUlT_T0_E_clISt17integral_constantIbLb1EES1A_EEDaS15_S16_EUlS15_E_NS1_11comp_targetILNS1_3genE5ELNS1_11target_archE942ELNS1_3gpuE9ELNS1_3repE0EEENS1_30default_config_static_selectorELNS0_4arch9wavefront6targetE1EEEvT1_,"axG",@progbits,_ZN7rocprim17ROCPRIM_400000_NS6detail17trampoline_kernelINS0_14default_configENS1_25partition_config_selectorILNS1_17partition_subalgoE9EllbEEZZNS1_14partition_implILS5_9ELb0ES3_jPlS8_PNS0_10empty_typeENS0_5tupleIJS8_S9_EEENSB_IJS8_SA_EEENS0_18inequality_wrapperIZN2at6native12_GLOBAL__N_124unique_dim_cuda_templateIbEESt5tupleIJNSF_6TensorESK_SK_EERKSK_lbbbEUlllE0_EEPmJS9_EEE10hipError_tPvRmT3_T4_T5_T6_T7_T9_mT8_P12ihipStream_tbDpT10_ENKUlT_T0_E_clISt17integral_constantIbLb1EES1A_EEDaS15_S16_EUlS15_E_NS1_11comp_targetILNS1_3genE5ELNS1_11target_archE942ELNS1_3gpuE9ELNS1_3repE0EEENS1_30default_config_static_selectorELNS0_4arch9wavefront6targetE1EEEvT1_,comdat
.Lfunc_end1092:
	.size	_ZN7rocprim17ROCPRIM_400000_NS6detail17trampoline_kernelINS0_14default_configENS1_25partition_config_selectorILNS1_17partition_subalgoE9EllbEEZZNS1_14partition_implILS5_9ELb0ES3_jPlS8_PNS0_10empty_typeENS0_5tupleIJS8_S9_EEENSB_IJS8_SA_EEENS0_18inequality_wrapperIZN2at6native12_GLOBAL__N_124unique_dim_cuda_templateIbEESt5tupleIJNSF_6TensorESK_SK_EERKSK_lbbbEUlllE0_EEPmJS9_EEE10hipError_tPvRmT3_T4_T5_T6_T7_T9_mT8_P12ihipStream_tbDpT10_ENKUlT_T0_E_clISt17integral_constantIbLb1EES1A_EEDaS15_S16_EUlS15_E_NS1_11comp_targetILNS1_3genE5ELNS1_11target_archE942ELNS1_3gpuE9ELNS1_3repE0EEENS1_30default_config_static_selectorELNS0_4arch9wavefront6targetE1EEEvT1_, .Lfunc_end1092-_ZN7rocprim17ROCPRIM_400000_NS6detail17trampoline_kernelINS0_14default_configENS1_25partition_config_selectorILNS1_17partition_subalgoE9EllbEEZZNS1_14partition_implILS5_9ELb0ES3_jPlS8_PNS0_10empty_typeENS0_5tupleIJS8_S9_EEENSB_IJS8_SA_EEENS0_18inequality_wrapperIZN2at6native12_GLOBAL__N_124unique_dim_cuda_templateIbEESt5tupleIJNSF_6TensorESK_SK_EERKSK_lbbbEUlllE0_EEPmJS9_EEE10hipError_tPvRmT3_T4_T5_T6_T7_T9_mT8_P12ihipStream_tbDpT10_ENKUlT_T0_E_clISt17integral_constantIbLb1EES1A_EEDaS15_S16_EUlS15_E_NS1_11comp_targetILNS1_3genE5ELNS1_11target_archE942ELNS1_3gpuE9ELNS1_3repE0EEENS1_30default_config_static_selectorELNS0_4arch9wavefront6targetE1EEEvT1_
                                        ; -- End function
	.section	.AMDGPU.csdata,"",@progbits
; Kernel info:
; codeLenInByte = 0
; NumSgprs: 4
; NumVgprs: 0
; NumAgprs: 0
; TotalNumVgprs: 0
; ScratchSize: 0
; MemoryBound: 0
; FloatMode: 240
; IeeeMode: 1
; LDSByteSize: 0 bytes/workgroup (compile time only)
; SGPRBlocks: 0
; VGPRBlocks: 0
; NumSGPRsForWavesPerEU: 4
; NumVGPRsForWavesPerEU: 1
; AccumOffset: 4
; Occupancy: 8
; WaveLimiterHint : 0
; COMPUTE_PGM_RSRC2:SCRATCH_EN: 0
; COMPUTE_PGM_RSRC2:USER_SGPR: 6
; COMPUTE_PGM_RSRC2:TRAP_HANDLER: 0
; COMPUTE_PGM_RSRC2:TGID_X_EN: 1
; COMPUTE_PGM_RSRC2:TGID_Y_EN: 0
; COMPUTE_PGM_RSRC2:TGID_Z_EN: 0
; COMPUTE_PGM_RSRC2:TIDIG_COMP_CNT: 0
; COMPUTE_PGM_RSRC3_GFX90A:ACCUM_OFFSET: 0
; COMPUTE_PGM_RSRC3_GFX90A:TG_SPLIT: 0
	.section	.text._ZN7rocprim17ROCPRIM_400000_NS6detail17trampoline_kernelINS0_14default_configENS1_25partition_config_selectorILNS1_17partition_subalgoE9EllbEEZZNS1_14partition_implILS5_9ELb0ES3_jPlS8_PNS0_10empty_typeENS0_5tupleIJS8_S9_EEENSB_IJS8_SA_EEENS0_18inequality_wrapperIZN2at6native12_GLOBAL__N_124unique_dim_cuda_templateIbEESt5tupleIJNSF_6TensorESK_SK_EERKSK_lbbbEUlllE0_EEPmJS9_EEE10hipError_tPvRmT3_T4_T5_T6_T7_T9_mT8_P12ihipStream_tbDpT10_ENKUlT_T0_E_clISt17integral_constantIbLb1EES1A_EEDaS15_S16_EUlS15_E_NS1_11comp_targetILNS1_3genE4ELNS1_11target_archE910ELNS1_3gpuE8ELNS1_3repE0EEENS1_30default_config_static_selectorELNS0_4arch9wavefront6targetE1EEEvT1_,"axG",@progbits,_ZN7rocprim17ROCPRIM_400000_NS6detail17trampoline_kernelINS0_14default_configENS1_25partition_config_selectorILNS1_17partition_subalgoE9EllbEEZZNS1_14partition_implILS5_9ELb0ES3_jPlS8_PNS0_10empty_typeENS0_5tupleIJS8_S9_EEENSB_IJS8_SA_EEENS0_18inequality_wrapperIZN2at6native12_GLOBAL__N_124unique_dim_cuda_templateIbEESt5tupleIJNSF_6TensorESK_SK_EERKSK_lbbbEUlllE0_EEPmJS9_EEE10hipError_tPvRmT3_T4_T5_T6_T7_T9_mT8_P12ihipStream_tbDpT10_ENKUlT_T0_E_clISt17integral_constantIbLb1EES1A_EEDaS15_S16_EUlS15_E_NS1_11comp_targetILNS1_3genE4ELNS1_11target_archE910ELNS1_3gpuE8ELNS1_3repE0EEENS1_30default_config_static_selectorELNS0_4arch9wavefront6targetE1EEEvT1_,comdat
	.globl	_ZN7rocprim17ROCPRIM_400000_NS6detail17trampoline_kernelINS0_14default_configENS1_25partition_config_selectorILNS1_17partition_subalgoE9EllbEEZZNS1_14partition_implILS5_9ELb0ES3_jPlS8_PNS0_10empty_typeENS0_5tupleIJS8_S9_EEENSB_IJS8_SA_EEENS0_18inequality_wrapperIZN2at6native12_GLOBAL__N_124unique_dim_cuda_templateIbEESt5tupleIJNSF_6TensorESK_SK_EERKSK_lbbbEUlllE0_EEPmJS9_EEE10hipError_tPvRmT3_T4_T5_T6_T7_T9_mT8_P12ihipStream_tbDpT10_ENKUlT_T0_E_clISt17integral_constantIbLb1EES1A_EEDaS15_S16_EUlS15_E_NS1_11comp_targetILNS1_3genE4ELNS1_11target_archE910ELNS1_3gpuE8ELNS1_3repE0EEENS1_30default_config_static_selectorELNS0_4arch9wavefront6targetE1EEEvT1_ ; -- Begin function _ZN7rocprim17ROCPRIM_400000_NS6detail17trampoline_kernelINS0_14default_configENS1_25partition_config_selectorILNS1_17partition_subalgoE9EllbEEZZNS1_14partition_implILS5_9ELb0ES3_jPlS8_PNS0_10empty_typeENS0_5tupleIJS8_S9_EEENSB_IJS8_SA_EEENS0_18inequality_wrapperIZN2at6native12_GLOBAL__N_124unique_dim_cuda_templateIbEESt5tupleIJNSF_6TensorESK_SK_EERKSK_lbbbEUlllE0_EEPmJS9_EEE10hipError_tPvRmT3_T4_T5_T6_T7_T9_mT8_P12ihipStream_tbDpT10_ENKUlT_T0_E_clISt17integral_constantIbLb1EES1A_EEDaS15_S16_EUlS15_E_NS1_11comp_targetILNS1_3genE4ELNS1_11target_archE910ELNS1_3gpuE8ELNS1_3repE0EEENS1_30default_config_static_selectorELNS0_4arch9wavefront6targetE1EEEvT1_
	.p2align	8
	.type	_ZN7rocprim17ROCPRIM_400000_NS6detail17trampoline_kernelINS0_14default_configENS1_25partition_config_selectorILNS1_17partition_subalgoE9EllbEEZZNS1_14partition_implILS5_9ELb0ES3_jPlS8_PNS0_10empty_typeENS0_5tupleIJS8_S9_EEENSB_IJS8_SA_EEENS0_18inequality_wrapperIZN2at6native12_GLOBAL__N_124unique_dim_cuda_templateIbEESt5tupleIJNSF_6TensorESK_SK_EERKSK_lbbbEUlllE0_EEPmJS9_EEE10hipError_tPvRmT3_T4_T5_T6_T7_T9_mT8_P12ihipStream_tbDpT10_ENKUlT_T0_E_clISt17integral_constantIbLb1EES1A_EEDaS15_S16_EUlS15_E_NS1_11comp_targetILNS1_3genE4ELNS1_11target_archE910ELNS1_3gpuE8ELNS1_3repE0EEENS1_30default_config_static_selectorELNS0_4arch9wavefront6targetE1EEEvT1_,@function
_ZN7rocprim17ROCPRIM_400000_NS6detail17trampoline_kernelINS0_14default_configENS1_25partition_config_selectorILNS1_17partition_subalgoE9EllbEEZZNS1_14partition_implILS5_9ELb0ES3_jPlS8_PNS0_10empty_typeENS0_5tupleIJS8_S9_EEENSB_IJS8_SA_EEENS0_18inequality_wrapperIZN2at6native12_GLOBAL__N_124unique_dim_cuda_templateIbEESt5tupleIJNSF_6TensorESK_SK_EERKSK_lbbbEUlllE0_EEPmJS9_EEE10hipError_tPvRmT3_T4_T5_T6_T7_T9_mT8_P12ihipStream_tbDpT10_ENKUlT_T0_E_clISt17integral_constantIbLb1EES1A_EEDaS15_S16_EUlS15_E_NS1_11comp_targetILNS1_3genE4ELNS1_11target_archE910ELNS1_3gpuE8ELNS1_3repE0EEENS1_30default_config_static_selectorELNS0_4arch9wavefront6targetE1EEEvT1_: ; @_ZN7rocprim17ROCPRIM_400000_NS6detail17trampoline_kernelINS0_14default_configENS1_25partition_config_selectorILNS1_17partition_subalgoE9EllbEEZZNS1_14partition_implILS5_9ELb0ES3_jPlS8_PNS0_10empty_typeENS0_5tupleIJS8_S9_EEENSB_IJS8_SA_EEENS0_18inequality_wrapperIZN2at6native12_GLOBAL__N_124unique_dim_cuda_templateIbEESt5tupleIJNSF_6TensorESK_SK_EERKSK_lbbbEUlllE0_EEPmJS9_EEE10hipError_tPvRmT3_T4_T5_T6_T7_T9_mT8_P12ihipStream_tbDpT10_ENKUlT_T0_E_clISt17integral_constantIbLb1EES1A_EEDaS15_S16_EUlS15_E_NS1_11comp_targetILNS1_3genE4ELNS1_11target_archE910ELNS1_3gpuE8ELNS1_3repE0EEENS1_30default_config_static_selectorELNS0_4arch9wavefront6targetE1EEEvT1_
; %bb.0:
	s_load_dwordx4 s[8:11], s[4:5], 0x8
	s_load_dwordx2 s[14:15], s[4:5], 0x18
	s_load_dwordx8 s[20:27], s[4:5], 0x40
	s_load_dwordx4 s[16:19], s[4:5], 0x60
	v_cmp_ne_u32_e64 s[2:3], 0, v0
	v_cmp_eq_u32_e64 s[0:1], 0, v0
	s_and_saveexec_b64 s[6:7], s[0:1]
	s_cbranch_execz .LBB1093_4
; %bb.1:
	s_mov_b64 s[28:29], exec
	v_mbcnt_lo_u32_b32 v1, s28, 0
	v_mbcnt_hi_u32_b32 v1, s29, v1
	v_cmp_eq_u32_e32 vcc, 0, v1
                                        ; implicit-def: $vgpr2
	s_and_saveexec_b64 s[12:13], vcc
	s_cbranch_execz .LBB1093_3
; %bb.2:
	s_load_dwordx2 s[30:31], s[4:5], 0x78
	s_bcnt1_i32_b64 s28, s[28:29]
	v_mov_b32_e32 v2, 0
	v_mov_b32_e32 v3, s28
	s_waitcnt lgkmcnt(0)
	global_atomic_add v2, v2, v3, s[30:31] glc
.LBB1093_3:
	s_or_b64 exec, exec, s[12:13]
	s_waitcnt vmcnt(0)
	v_readfirstlane_b32 s12, v2
	v_add_u32_e32 v1, s12, v1
	v_mov_b32_e32 v2, 0
	ds_write_b32 v2, v1
.LBB1093_4:
	s_or_b64 exec, exec, s[6:7]
	v_mov_b32_e32 v1, 0
	s_load_dwordx4 s[28:31], s[4:5], 0x28
	s_load_dword s6, s[4:5], 0x70
	s_waitcnt lgkmcnt(0)
	s_barrier
	ds_read_b32 v6, v1
	s_waitcnt lgkmcnt(0)
	s_barrier
	global_load_dwordx2 v[2:3], v1, s[22:23]
	s_lshl_b64 s[36:37], s[10:11], 3
	s_add_u32 s22, s8, s36
	s_addc_u32 s23, s9, s37
	s_add_i32 s12, s6, -1
	s_lshl_b32 s8, s6, 9
	s_lshl_b32 s6, s12, 9
	s_add_i32 s6, s10, s6
	v_readfirstlane_b32 s33, v6
	s_sub_i32 s48, s24, s6
	s_lshl_b32 s6, s33, 9
	s_add_u32 s8, s10, s8
	s_addc_u32 s9, s11, 0
	v_mov_b32_e32 v4, s24
	v_mov_b32_e32 v5, s25
	s_cmp_eq_u32 s33, s12
	v_cmp_ge_u64_e32 vcc, s[8:9], v[4:5]
	s_cselect_b64 s[24:25], -1, 0
	s_mov_b32 s7, 0
	s_and_b64 s[12:13], vcc, s[24:25]
	s_lshl_b64 s[8:9], s[6:7], 3
	s_xor_b64 s[34:35], s[12:13], -1
	s_add_u32 s6, s22, s8
	s_mov_b64 s[4:5], -1
	v_lshrrev_b32_e32 v18, 2, v0
	s_addc_u32 s7, s23, s9
	s_and_b64 vcc, exec, s[34:35]
	s_waitcnt vmcnt(0)
	v_readfirstlane_b32 s22, v2
	v_readfirstlane_b32 s23, v3
	s_cbranch_vccz .LBB1093_6
; %bb.5:
	v_lshlrev_b32_e32 v1, 3, v0
	global_load_dwordx2 v[2:3], v1, s[6:7]
	global_load_dwordx2 v[4:5], v1, s[6:7] offset:1024
	global_load_dwordx2 v[6:7], v1, s[6:7] offset:2048
	global_load_dwordx2 v[8:9], v1, s[6:7] offset:3072
	v_or_b32_e32 v11, 0x80, v0
	v_or_b32_e32 v12, 0x100, v0
	;; [unrolled: 1-line block ×3, first 2 shown]
	v_and_b32_e32 v10, 24, v18
	v_lshrrev_b32_e32 v11, 2, v11
	v_lshrrev_b32_e32 v12, 2, v12
	;; [unrolled: 1-line block ×3, first 2 shown]
	v_add_u32_e32 v10, v10, v1
	v_and_b32_e32 v11, 56, v11
	v_and_b32_e32 v12, 0x58, v12
	v_and_b32_e32 v13, 0x78, v13
	v_add_u32_e32 v11, v11, v1
	v_add_u32_e32 v12, v12, v1
	;; [unrolled: 1-line block ×3, first 2 shown]
	s_mov_b64 s[4:5], 0
	s_waitcnt vmcnt(3)
	ds_write_b64 v10, v[2:3]
	s_waitcnt vmcnt(2)
	ds_write_b64 v11, v[4:5] offset:1024
	s_waitcnt vmcnt(1)
	ds_write_b64 v12, v[6:7] offset:2048
	;; [unrolled: 2-line block ×3, first 2 shown]
	s_waitcnt lgkmcnt(0)
	s_barrier
.LBB1093_6:
	s_andn2_b64 vcc, exec, s[4:5]
	v_cmp_gt_u32_e64 s[4:5], s48, v0
	s_cbranch_vccnz .LBB1093_16
; %bb.7:
                                        ; implicit-def: $vgpr2_vgpr3_vgpr4_vgpr5_vgpr6_vgpr7_vgpr8_vgpr9
	s_and_saveexec_b64 s[38:39], s[4:5]
	s_cbranch_execz .LBB1093_9
; %bb.8:
	v_lshlrev_b32_e32 v1, 3, v0
	global_load_dwordx2 v[2:3], v1, s[6:7]
.LBB1093_9:
	s_or_b64 exec, exec, s[38:39]
	v_or_b32_e32 v1, 0x80, v0
	v_cmp_gt_u32_e32 vcc, s48, v1
	s_and_saveexec_b64 s[4:5], vcc
	s_cbranch_execz .LBB1093_11
; %bb.10:
	v_lshlrev_b32_e32 v4, 3, v0
	global_load_dwordx2 v[4:5], v4, s[6:7] offset:1024
.LBB1093_11:
	s_or_b64 exec, exec, s[4:5]
	v_or_b32_e32 v10, 0x100, v0
	v_cmp_gt_u32_e32 vcc, s48, v10
	s_and_saveexec_b64 s[4:5], vcc
	s_cbranch_execz .LBB1093_13
; %bb.12:
	v_lshlrev_b32_e32 v6, 3, v0
	global_load_dwordx2 v[6:7], v6, s[6:7] offset:2048
.LBB1093_13:
	;; [unrolled: 9-line block ×3, first 2 shown]
	s_or_b64 exec, exec, s[4:5]
	v_lshrrev_b32_e32 v1, 2, v1
	v_lshlrev_b32_e32 v13, 3, v0
	v_and_b32_e32 v1, 56, v1
	v_add_u32_e32 v1, v1, v13
	s_waitcnt vmcnt(0)
	ds_write_b64 v1, v[4:5] offset:1024
	v_lshrrev_b32_e32 v1, 2, v10
	v_and_b32_e32 v1, 0x78, v1
	v_add_u32_e32 v1, v1, v13
	ds_write_b64 v1, v[6:7] offset:2048
	v_lshrrev_b32_e32 v1, 2, v11
	v_and_b32_e32 v12, 24, v18
	v_and_b32_e32 v1, 0x78, v1
	v_add_u32_e32 v12, v12, v13
	v_add_u32_e32 v1, v1, v13
	ds_write_b64 v12, v[2:3]
	ds_write_b64 v1, v[8:9] offset:3072
	s_waitcnt lgkmcnt(0)
	s_barrier
.LBB1093_16:
	v_lshlrev_b32_e32 v1, 2, v0
	v_lshrrev_b32_e32 v2, 3, v0
	v_add_lshl_u32 v19, v2, v1, 3
	ds_read2_b64 v[14:17], v19 offset1:1
	ds_read2_b64 v[10:13], v19 offset0:2 offset1:3
	s_add_u32 s4, s14, s36
	s_addc_u32 s5, s15, s37
	s_add_u32 s4, s4, s8
	s_addc_u32 s5, s5, s9
	s_mov_b64 s[8:9], -1
	s_and_b64 vcc, exec, s[34:35]
	s_waitcnt lgkmcnt(0)
	s_barrier
	s_cbranch_vccz .LBB1093_18
; %bb.17:
	v_lshlrev_b32_e32 v20, 3, v0
	global_load_dwordx2 v[2:3], v20, s[4:5]
	global_load_dwordx2 v[4:5], v20, s[4:5] offset:1024
	global_load_dwordx2 v[6:7], v20, s[4:5] offset:2048
	;; [unrolled: 1-line block ×3, first 2 shown]
	v_or_b32_e32 v22, 0x80, v0
	v_or_b32_e32 v23, 0x100, v0
	v_or_b32_e32 v24, 0x180, v0
	v_and_b32_e32 v21, 24, v18
	v_lshrrev_b32_e32 v22, 2, v22
	v_lshrrev_b32_e32 v23, 2, v23
	;; [unrolled: 1-line block ×3, first 2 shown]
	v_add_u32_e32 v21, v21, v20
	v_and_b32_e32 v22, 56, v22
	v_and_b32_e32 v23, 0x58, v23
	;; [unrolled: 1-line block ×3, first 2 shown]
	v_add_u32_e32 v22, v22, v20
	v_add_u32_e32 v23, v23, v20
	;; [unrolled: 1-line block ×3, first 2 shown]
	s_mov_b64 s[8:9], 0
	s_waitcnt vmcnt(3)
	ds_write_b64 v21, v[2:3]
	s_waitcnt vmcnt(2)
	ds_write_b64 v22, v[4:5] offset:1024
	s_waitcnt vmcnt(1)
	ds_write_b64 v23, v[6:7] offset:2048
	;; [unrolled: 2-line block ×3, first 2 shown]
	s_waitcnt lgkmcnt(0)
	s_barrier
.LBB1093_18:
	s_andn2_b64 vcc, exec, s[8:9]
	s_cbranch_vccnz .LBB1093_28
; %bb.19:
	v_cmp_gt_u32_e32 vcc, s48, v0
                                        ; implicit-def: $vgpr2_vgpr3
	s_and_saveexec_b64 s[8:9], vcc
	s_cbranch_execz .LBB1093_21
; %bb.20:
	v_lshlrev_b32_e32 v2, 3, v0
	global_load_dwordx2 v[2:3], v2, s[4:5]
.LBB1093_21:
	s_or_b64 exec, exec, s[8:9]
	v_or_b32_e32 v20, 0x80, v0
	v_cmp_gt_u32_e32 vcc, s48, v20
                                        ; implicit-def: $vgpr4_vgpr5
	s_and_saveexec_b64 s[8:9], vcc
	s_cbranch_execz .LBB1093_23
; %bb.22:
	v_lshlrev_b32_e32 v4, 3, v0
	global_load_dwordx2 v[4:5], v4, s[4:5] offset:1024
.LBB1093_23:
	s_or_b64 exec, exec, s[8:9]
	v_or_b32_e32 v21, 0x100, v0
	v_cmp_gt_u32_e32 vcc, s48, v21
                                        ; implicit-def: $vgpr6_vgpr7
	s_and_saveexec_b64 s[8:9], vcc
	s_cbranch_execz .LBB1093_25
; %bb.24:
	v_lshlrev_b32_e32 v6, 3, v0
	global_load_dwordx2 v[6:7], v6, s[4:5] offset:2048
.LBB1093_25:
	s_or_b64 exec, exec, s[8:9]
	v_or_b32_e32 v22, 0x180, v0
	v_cmp_gt_u32_e32 vcc, s48, v22
                                        ; implicit-def: $vgpr8_vgpr9
	s_and_saveexec_b64 s[8:9], vcc
	s_cbranch_execz .LBB1093_27
; %bb.26:
	v_lshlrev_b32_e32 v8, 3, v0
	global_load_dwordx2 v[8:9], v8, s[4:5] offset:3072
.LBB1093_27:
	s_or_b64 exec, exec, s[8:9]
	v_and_b32_e32 v18, 24, v18
	v_lshlrev_b32_e32 v23, 3, v0
	v_add_u32_e32 v18, v18, v23
	s_waitcnt vmcnt(0)
	ds_write_b64 v18, v[2:3]
	v_lshrrev_b32_e32 v2, 2, v20
	v_and_b32_e32 v2, 56, v2
	v_add_u32_e32 v2, v2, v23
	ds_write_b64 v2, v[4:5] offset:1024
	v_lshrrev_b32_e32 v2, 2, v21
	v_and_b32_e32 v2, 0x78, v2
	v_add_u32_e32 v2, v2, v23
	ds_write_b64 v2, v[6:7] offset:2048
	;; [unrolled: 4-line block ×3, first 2 shown]
	s_waitcnt lgkmcnt(0)
	s_barrier
.LBB1093_28:
	ds_read2_b64 v[6:9], v19 offset1:1
	ds_read2_b64 v[2:5], v19 offset0:2 offset1:3
	s_cmp_lg_u32 s33, 0
	s_cselect_b64 s[36:37], -1, 0
	s_cmp_lg_u64 s[10:11], 0
	s_cselect_b64 s[4:5], -1, 0
	s_or_b64 s[4:5], s[4:5], s[36:37]
	s_mov_b64 s[14:15], 0
	s_and_b64 vcc, exec, s[4:5]
	v_cmp_lt_i64_e64 s[10:11], s[26:27], 1
	v_cmp_gt_i64_e64 s[38:39], s[26:27], 0
	s_waitcnt lgkmcnt(0)
	s_barrier
	s_cbranch_vccz .LBB1093_37
; %bb.29:
	v_mov_b32_e32 v27, 0
	global_load_dwordx2 v[18:19], v27, s[6:7] offset:-8
	v_lshlrev_b32_e32 v26, 3, v0
	s_mov_b64 s[8:9], 0
	s_and_b64 vcc, exec, s[34:35]
	ds_write_b64 v26, v[12:13]
	s_cbranch_vccz .LBB1093_38
; %bb.30:
	v_cndmask_b32_e64 v20, 0, 1, s[38:39]
	v_cmp_ne_u32_e64 s[4:5], 1, v20
	s_andn2_b64 vcc, exec, s[38:39]
	s_cbranch_vccnz .LBB1093_48
; %bb.31:
	v_pk_mov_b32 v[22:23], s[16:17], s[16:17] op_sel:[0,1]
	v_mad_u64_u32 v[20:21], s[6:7], v10, s26, v[22:23]
	v_mul_lo_u32 v24, v10, s27
	v_mul_lo_u32 v25, v11, s26
	v_add3_u32 v21, v25, v21, v24
	v_mad_u64_u32 v[22:23], s[6:7], v12, s26, v[22:23]
	v_mul_lo_u32 v24, v12, s27
	v_mul_lo_u32 v25, v13, s26
	v_add3_u32 v23, v25, v23, v24
	global_load_ubyte v24, v[20:21], off
	global_load_ubyte v25, v[22:23], off
	s_mov_b64 s[14:15], -1
	s_waitcnt vmcnt(1)
	v_cmp_ne_u16_e32 vcc, 0, v24
	s_waitcnt vmcnt(0)
	v_cmp_ne_u16_e64 s[6:7], 0, v25
	s_xor_b64 s[6:7], vcc, s[6:7]
	s_xor_b64 s[6:7], s[6:7], -1
	s_and_saveexec_b64 s[38:39], s[6:7]
	s_cbranch_execz .LBB1093_40
; %bb.32:
	s_mov_b64 s[42:43], 1
	s_mov_b64 s[14:15], 0
                                        ; implicit-def: $sgpr40_sgpr41
	s_branch .LBB1093_35
.LBB1093_33:                            ;   in Loop: Header=BB1093_35 Depth=1
	v_mov_b32_e32 v27, s43
	v_add_co_u32_e64 v24, s[6:7], s42, v20
	v_addc_co_u32_e64 v25, s[6:7], v21, v27, s[6:7]
	v_add_co_u32_e64 v28, s[6:7], s42, v22
	v_addc_co_u32_e64 v29, s[6:7], v23, v27, s[6:7]
	global_load_ubyte v27, v[24:25], off
	global_load_ubyte v30, v[28:29], off
	s_waitcnt vmcnt(1)
	v_cmp_ne_u16_e64 s[6:7], 0, v27
	s_waitcnt vmcnt(0)
	v_cmp_ne_u16_e64 s[8:9], 0, v30
	s_xor_b64 s[8:9], s[6:7], s[8:9]
	s_add_u32 s6, s42, 1
	s_addc_u32 s7, s43, 0
	s_andn2_b64 s[40:41], s[40:41], exec
	s_and_b64 s[8:9], s[8:9], exec
	s_or_b64 s[40:41], s[40:41], s[8:9]
.LBB1093_34:                            ;   in Loop: Header=BB1093_35 Depth=1
	s_and_b64 s[8:9], exec, s[40:41]
	s_or_b64 s[14:15], s[8:9], s[14:15]
	v_pk_mov_b32 v[24:25], s[42:43], s[42:43] op_sel:[0,1]
	s_mov_b64 s[42:43], s[6:7]
	s_andn2_b64 exec, exec, s[14:15]
	s_cbranch_execz .LBB1093_39
.LBB1093_35:                            ; =>This Inner Loop Header: Depth=1
	s_or_b64 s[40:41], s[40:41], exec
	s_cmp_eq_u64 s[26:27], s[42:43]
	s_cbranch_scc0 .LBB1093_33
; %bb.36:                               ;   in Loop: Header=BB1093_35 Depth=1
                                        ; implicit-def: $sgpr6_sgpr7
	s_mov_b64 s[42:43], s[26:27]
	s_branch .LBB1093_34
.LBB1093_37:
                                        ; implicit-def: $sgpr8_sgpr9
                                        ; implicit-def: $vgpr28
	s_branch .LBB1093_109
.LBB1093_38:
                                        ; implicit-def: $sgpr8_sgpr9
                                        ; implicit-def: $vgpr28
	s_cbranch_execnz .LBB1093_69
	s_branch .LBB1093_108
.LBB1093_39:
	s_or_b64 exec, exec, s[14:15]
	v_cmp_gt_i64_e64 s[6:7], s[26:27], v[24:25]
	s_orn2_b64 s[14:15], s[6:7], exec
.LBB1093_40:
	s_or_b64 exec, exec, s[38:39]
	v_pk_mov_b32 v[22:23], s[16:17], s[16:17] op_sel:[0,1]
	v_mad_u64_u32 v[22:23], s[6:7], v16, s26, v[22:23]
	v_mul_lo_u32 v24, v16, s27
	v_mul_lo_u32 v25, v17, s26
	v_add3_u32 v23, v25, v23, v24
	global_load_ubyte v24, v[22:23], off
	s_mov_b64 s[8:9], -1
	s_waitcnt vmcnt(0)
	v_cmp_ne_u16_e64 s[6:7], 0, v24
	s_xor_b64 s[6:7], vcc, s[6:7]
	s_xor_b64 s[6:7], s[6:7], -1
	s_and_saveexec_b64 s[38:39], s[6:7]
	s_cbranch_execz .LBB1093_47
; %bb.41:
	s_mov_b64 s[42:43], 1
	s_mov_b64 s[8:9], 0
                                        ; implicit-def: $sgpr40_sgpr41
	s_branch .LBB1093_44
.LBB1093_42:                            ;   in Loop: Header=BB1093_44 Depth=1
	v_mov_b32_e32 v27, s43
	v_add_co_u32_e32 v24, vcc, s42, v22
	v_addc_co_u32_e32 v25, vcc, v23, v27, vcc
	v_add_co_u32_e32 v28, vcc, s42, v20
	v_addc_co_u32_e32 v29, vcc, v21, v27, vcc
	global_load_ubyte v27, v[24:25], off
	global_load_ubyte v30, v[28:29], off
	s_waitcnt vmcnt(1)
	v_cmp_ne_u16_e32 vcc, 0, v27
	s_waitcnt vmcnt(0)
	v_cmp_ne_u16_e64 s[6:7], 0, v30
	s_xor_b64 s[44:45], vcc, s[6:7]
	s_add_u32 s6, s42, 1
	s_addc_u32 s7, s43, 0
	s_andn2_b64 s[40:41], s[40:41], exec
	s_and_b64 s[44:45], s[44:45], exec
	s_or_b64 s[40:41], s[40:41], s[44:45]
.LBB1093_43:                            ;   in Loop: Header=BB1093_44 Depth=1
	s_and_b64 s[44:45], exec, s[40:41]
	s_or_b64 s[8:9], s[44:45], s[8:9]
	v_pk_mov_b32 v[24:25], s[42:43], s[42:43] op_sel:[0,1]
	s_mov_b64 s[42:43], s[6:7]
	s_andn2_b64 exec, exec, s[8:9]
	s_cbranch_execz .LBB1093_46
.LBB1093_44:                            ; =>This Inner Loop Header: Depth=1
	s_or_b64 s[40:41], s[40:41], exec
	s_cmp_eq_u64 s[26:27], s[42:43]
	s_cbranch_scc0 .LBB1093_42
; %bb.45:                               ;   in Loop: Header=BB1093_44 Depth=1
                                        ; implicit-def: $sgpr6_sgpr7
	s_mov_b64 s[42:43], s[26:27]
	s_branch .LBB1093_43
.LBB1093_46:
	s_or_b64 exec, exec, s[8:9]
	v_cmp_gt_i64_e32 vcc, s[26:27], v[24:25]
	s_orn2_b64 s[8:9], vcc, exec
.LBB1093_47:
	s_or_b64 exec, exec, s[38:39]
	v_cndmask_b32_e64 v27, 0, 1, s[14:15]
.LBB1093_48:
	s_and_b64 vcc, exec, s[4:5]
	s_mov_b64 s[6:7], 0
	s_cbranch_vccnz .LBB1093_57
; %bb.49:
	v_pk_mov_b32 v[22:23], s[16:17], s[16:17] op_sel:[0,1]
	v_mad_u64_u32 v[20:21], s[6:7], v14, s26, v[22:23]
	v_mul_lo_u32 v24, v14, s27
	v_mul_lo_u32 v25, v15, s26
	v_add3_u32 v21, v25, v21, v24
	v_mad_u64_u32 v[22:23], s[6:7], v16, s26, v[22:23]
	v_mul_lo_u32 v24, v16, s27
	v_mul_lo_u32 v25, v17, s26
	v_add3_u32 v23, v25, v23, v24
	global_load_ubyte v24, v[20:21], off
	global_load_ubyte v25, v[22:23], off
	s_waitcnt vmcnt(1)
	v_cmp_ne_u16_e32 vcc, 0, v24
	s_waitcnt vmcnt(0)
	v_cmp_ne_u16_e64 s[6:7], 0, v25
	s_xor_b64 s[14:15], vcc, s[6:7]
	s_mov_b64 s[6:7], -1
	s_xor_b64 s[38:39], s[14:15], -1
	s_and_saveexec_b64 s[14:15], s[38:39]
	s_cbranch_execz .LBB1093_56
; %bb.50:
	s_mov_b64 s[42:43], 1
	s_mov_b64 s[38:39], 0
                                        ; implicit-def: $sgpr40_sgpr41
	s_branch .LBB1093_53
.LBB1093_51:                            ;   in Loop: Header=BB1093_53 Depth=1
	v_mov_b32_e32 v29, s43
	v_add_co_u32_e32 v24, vcc, s42, v20
	v_addc_co_u32_e32 v25, vcc, v21, v29, vcc
	v_add_co_u32_e32 v28, vcc, s42, v22
	v_addc_co_u32_e32 v29, vcc, v23, v29, vcc
	global_load_ubyte v30, v[24:25], off
	global_load_ubyte v31, v[28:29], off
	s_waitcnt vmcnt(1)
	v_cmp_ne_u16_e32 vcc, 0, v30
	s_waitcnt vmcnt(0)
	v_cmp_ne_u16_e64 s[6:7], 0, v31
	s_xor_b64 s[44:45], vcc, s[6:7]
	s_add_u32 s6, s42, 1
	s_addc_u32 s7, s43, 0
	s_andn2_b64 s[40:41], s[40:41], exec
	s_and_b64 s[44:45], s[44:45], exec
	s_or_b64 s[40:41], s[40:41], s[44:45]
.LBB1093_52:                            ;   in Loop: Header=BB1093_53 Depth=1
	s_and_b64 s[44:45], exec, s[40:41]
	s_or_b64 s[38:39], s[44:45], s[38:39]
	v_pk_mov_b32 v[24:25], s[42:43], s[42:43] op_sel:[0,1]
	s_mov_b64 s[42:43], s[6:7]
	s_andn2_b64 exec, exec, s[38:39]
	s_cbranch_execz .LBB1093_55
.LBB1093_53:                            ; =>This Inner Loop Header: Depth=1
	s_or_b64 s[40:41], s[40:41], exec
	s_cmp_eq_u64 s[26:27], s[42:43]
	s_cbranch_scc0 .LBB1093_51
; %bb.54:                               ;   in Loop: Header=BB1093_53 Depth=1
                                        ; implicit-def: $sgpr6_sgpr7
	s_mov_b64 s[42:43], s[26:27]
	s_branch .LBB1093_52
.LBB1093_55:
	s_or_b64 exec, exec, s[38:39]
	v_cmp_gt_i64_e32 vcc, s[26:27], v[24:25]
	s_orn2_b64 s[6:7], vcc, exec
.LBB1093_56:
	s_or_b64 exec, exec, s[14:15]
.LBB1093_57:
	s_waitcnt vmcnt(0)
	v_pk_mov_b32 v[22:23], v[18:19], v[18:19] op_sel:[0,1]
	s_waitcnt lgkmcnt(0)
	s_barrier
	s_and_saveexec_b64 s[14:15], s[2:3]
	s_cbranch_execz .LBB1093_59
; %bb.58:
	v_add_u32_e32 v20, -8, v26
	ds_read_b64 v[22:23], v20
.LBB1093_59:
	s_or_b64 exec, exec, s[14:15]
	v_cndmask_b32_e64 v21, 0, 1, s[6:7]
	v_lshlrev_b16_e32 v21, 8, v21
	v_cndmask_b32_e64 v20, 0, 1, s[8:9]
	v_or_b32_sdwa v28, v0, v21 dst_sel:DWORD dst_unused:UNUSED_PAD src0_sel:BYTE_0 src1_sel:DWORD
	v_lshlrev_b16_e32 v21, 8, v27
	v_or_b32_sdwa v27, v20, v21 dst_sel:WORD_1 dst_unused:UNUSED_PAD src0_sel:DWORD src1_sel:DWORD
	s_mov_b64 s[6:7], 0
	s_and_b64 vcc, exec, s[4:5]
	s_mov_b64 s[8:9], 0
	s_cbranch_vccnz .LBB1093_68
; %bb.60:
	v_pk_mov_b32 v[24:25], s[16:17], s[16:17] op_sel:[0,1]
	s_waitcnt lgkmcnt(0)
	v_mad_u64_u32 v[20:21], s[4:5], v22, s26, v[24:25]
	v_mul_lo_u32 v22, v22, s27
	v_mul_lo_u32 v23, v23, s26
	v_add3_u32 v21, v23, v21, v22
	v_mad_u64_u32 v[22:23], s[4:5], v14, s26, v[24:25]
	v_mul_lo_u32 v24, v14, s27
	v_mul_lo_u32 v25, v15, s26
	v_add3_u32 v23, v25, v23, v24
	global_load_ubyte v24, v[20:21], off
	global_load_ubyte v25, v[22:23], off
	s_mov_b64 s[8:9], -1
	s_waitcnt vmcnt(1)
	v_cmp_ne_u16_e32 vcc, 0, v24
	s_waitcnt vmcnt(0)
	v_cmp_ne_u16_e64 s[4:5], 0, v25
	s_xor_b64 s[4:5], vcc, s[4:5]
	s_xor_b64 s[4:5], s[4:5], -1
	s_and_saveexec_b64 s[14:15], s[4:5]
	s_cbranch_execz .LBB1093_67
; %bb.61:
	s_mov_b64 s[40:41], 1
	s_mov_b64 s[8:9], 0
                                        ; implicit-def: $sgpr38_sgpr39
	s_branch .LBB1093_64
.LBB1093_62:                            ;   in Loop: Header=BB1093_64 Depth=1
	v_mov_b32_e32 v29, s41
	v_add_co_u32_e32 v24, vcc, s40, v20
	v_addc_co_u32_e32 v25, vcc, v21, v29, vcc
	v_add_co_u32_e32 v30, vcc, s40, v22
	v_addc_co_u32_e32 v31, vcc, v23, v29, vcc
	global_load_ubyte v29, v[24:25], off
	global_load_ubyte v32, v[30:31], off
	s_waitcnt vmcnt(1)
	v_cmp_ne_u16_e32 vcc, 0, v29
	s_waitcnt vmcnt(0)
	v_cmp_ne_u16_e64 s[4:5], 0, v32
	s_xor_b64 s[42:43], vcc, s[4:5]
	s_add_u32 s4, s40, 1
	s_addc_u32 s5, s41, 0
	s_andn2_b64 s[38:39], s[38:39], exec
	s_and_b64 s[42:43], s[42:43], exec
	s_or_b64 s[38:39], s[38:39], s[42:43]
.LBB1093_63:                            ;   in Loop: Header=BB1093_64 Depth=1
	s_and_b64 s[42:43], exec, s[38:39]
	s_or_b64 s[8:9], s[42:43], s[8:9]
	v_pk_mov_b32 v[24:25], s[40:41], s[40:41] op_sel:[0,1]
	s_mov_b64 s[40:41], s[4:5]
	s_andn2_b64 exec, exec, s[8:9]
	s_cbranch_execz .LBB1093_66
.LBB1093_64:                            ; =>This Inner Loop Header: Depth=1
	s_or_b64 s[38:39], s[38:39], exec
	s_cmp_eq_u64 s[26:27], s[40:41]
	s_cbranch_scc0 .LBB1093_62
; %bb.65:                               ;   in Loop: Header=BB1093_64 Depth=1
                                        ; implicit-def: $sgpr4_sgpr5
	s_mov_b64 s[40:41], s[26:27]
	s_branch .LBB1093_63
.LBB1093_66:
	s_or_b64 exec, exec, s[8:9]
	v_cmp_gt_i64_e32 vcc, s[26:27], v[24:25]
	s_orn2_b64 s[8:9], vcc, exec
.LBB1093_67:
	s_or_b64 exec, exec, s[14:15]
.LBB1093_68:
	v_or_b32_sdwa v28, v28, v27 dst_sel:DWORD dst_unused:UNUSED_PAD src0_sel:WORD_0 src1_sel:DWORD
	s_and_b64 vcc, exec, s[6:7]
	s_cbranch_vccz .LBB1093_108
.LBB1093_69:
	v_or_b32_e32 v20, 3, v1
	v_cmp_gt_u32_e32 vcc, s48, v20
	s_xor_b64 s[6:7], s[10:11], -1
	s_mov_b64 s[38:39], -1
	s_and_b64 s[4:5], vcc, s[6:7]
	s_mov_b64 s[10:11], 0
	s_mov_b64 s[8:9], 0
	s_and_saveexec_b64 s[14:15], s[4:5]
	s_cbranch_execz .LBB1093_78
; %bb.70:
	s_waitcnt lgkmcnt(0)
	v_pk_mov_b32 v[22:23], s[16:17], s[16:17] op_sel:[0,1]
	v_mad_u64_u32 v[20:21], s[4:5], v10, s26, v[22:23]
	v_mul_lo_u32 v24, v10, s27
	v_mul_lo_u32 v25, v11, s26
	v_add3_u32 v21, v25, v21, v24
	v_mad_u64_u32 v[22:23], s[4:5], v12, s26, v[22:23]
	v_mul_lo_u32 v24, v12, s27
	v_mul_lo_u32 v25, v13, s26
	v_add3_u32 v23, v25, v23, v24
	global_load_ubyte v24, v[20:21], off
	global_load_ubyte v25, v[22:23], off
	s_waitcnt vmcnt(1)
	v_cmp_ne_u16_e32 vcc, 0, v24
	s_waitcnt vmcnt(0)
	v_cmp_ne_u16_e64 s[4:5], 0, v25
	s_xor_b64 s[4:5], vcc, s[4:5]
	s_xor_b64 s[4:5], s[4:5], -1
	s_and_saveexec_b64 s[8:9], s[4:5]
	s_cbranch_execz .LBB1093_77
; %bb.71:
	s_mov_b64 s[42:43], 1
	s_mov_b64 s[38:39], 0
                                        ; implicit-def: $sgpr40_sgpr41
	s_branch .LBB1093_74
.LBB1093_72:                            ;   in Loop: Header=BB1093_74 Depth=1
	v_mov_b32_e32 v27, s43
	v_add_co_u32_e32 v24, vcc, s42, v20
	v_addc_co_u32_e32 v25, vcc, v21, v27, vcc
	v_add_co_u32_e32 v28, vcc, s42, v22
	v_addc_co_u32_e32 v29, vcc, v23, v27, vcc
	global_load_ubyte v27, v[24:25], off
	global_load_ubyte v30, v[28:29], off
	s_waitcnt vmcnt(1)
	v_cmp_ne_u16_e32 vcc, 0, v27
	s_waitcnt vmcnt(0)
	v_cmp_ne_u16_e64 s[4:5], 0, v30
	s_xor_b64 s[44:45], vcc, s[4:5]
	s_add_u32 s4, s42, 1
	s_addc_u32 s5, s43, 0
	s_andn2_b64 s[40:41], s[40:41], exec
	s_and_b64 s[44:45], s[44:45], exec
	s_or_b64 s[40:41], s[40:41], s[44:45]
.LBB1093_73:                            ;   in Loop: Header=BB1093_74 Depth=1
	s_and_b64 s[44:45], exec, s[40:41]
	s_or_b64 s[38:39], s[44:45], s[38:39]
	v_pk_mov_b32 v[24:25], s[42:43], s[42:43] op_sel:[0,1]
	s_mov_b64 s[42:43], s[4:5]
	s_andn2_b64 exec, exec, s[38:39]
	s_cbranch_execz .LBB1093_76
.LBB1093_74:                            ; =>This Inner Loop Header: Depth=1
	s_or_b64 s[40:41], s[40:41], exec
	s_cmp_eq_u64 s[26:27], s[42:43]
	s_cbranch_scc0 .LBB1093_72
; %bb.75:                               ;   in Loop: Header=BB1093_74 Depth=1
                                        ; implicit-def: $sgpr4_sgpr5
	s_mov_b64 s[42:43], s[26:27]
	s_branch .LBB1093_73
.LBB1093_76:
	s_or_b64 exec, exec, s[38:39]
	v_cmp_gt_i64_e32 vcc, s[26:27], v[24:25]
	s_orn2_b64 s[38:39], vcc, exec
.LBB1093_77:
	s_or_b64 exec, exec, s[8:9]
	s_and_b64 s[8:9], s[38:39], exec
.LBB1093_78:
	s_or_b64 exec, exec, s[14:15]
	v_or_b32_e32 v20, 2, v1
	v_cmp_gt_u32_e32 vcc, s48, v20
	s_and_b64 s[4:5], vcc, s[6:7]
	s_and_saveexec_b64 s[14:15], s[4:5]
	s_cbranch_execz .LBB1093_87
; %bb.79:
	s_waitcnt lgkmcnt(0)
	v_pk_mov_b32 v[22:23], s[16:17], s[16:17] op_sel:[0,1]
	v_mad_u64_u32 v[20:21], s[4:5], v16, s26, v[22:23]
	v_mul_lo_u32 v24, v16, s27
	v_mul_lo_u32 v25, v17, s26
	v_add3_u32 v21, v25, v21, v24
	v_mad_u64_u32 v[22:23], s[4:5], v10, s26, v[22:23]
	v_mul_lo_u32 v24, v10, s27
	v_mul_lo_u32 v25, v11, s26
	v_add3_u32 v23, v25, v23, v24
	global_load_ubyte v24, v[20:21], off
	global_load_ubyte v25, v[22:23], off
	s_waitcnt vmcnt(1)
	v_cmp_ne_u16_e32 vcc, 0, v24
	s_waitcnt vmcnt(0)
	v_cmp_ne_u16_e64 s[4:5], 0, v25
	s_xor_b64 s[10:11], vcc, s[4:5]
	s_mov_b64 s[4:5], -1
	s_xor_b64 s[38:39], s[10:11], -1
	s_and_saveexec_b64 s[10:11], s[38:39]
	s_cbranch_execz .LBB1093_86
; %bb.80:
	s_mov_b64 s[42:43], 1
	s_mov_b64 s[38:39], 0
                                        ; implicit-def: $sgpr40_sgpr41
	s_branch .LBB1093_83
.LBB1093_81:                            ;   in Loop: Header=BB1093_83 Depth=1
	v_mov_b32_e32 v27, s43
	v_add_co_u32_e32 v24, vcc, s42, v20
	v_addc_co_u32_e32 v25, vcc, v21, v27, vcc
	v_add_co_u32_e32 v28, vcc, s42, v22
	v_addc_co_u32_e32 v29, vcc, v23, v27, vcc
	global_load_ubyte v27, v[24:25], off
	global_load_ubyte v30, v[28:29], off
	s_waitcnt vmcnt(1)
	v_cmp_ne_u16_e32 vcc, 0, v27
	s_waitcnt vmcnt(0)
	v_cmp_ne_u16_e64 s[4:5], 0, v30
	s_xor_b64 s[44:45], vcc, s[4:5]
	s_add_u32 s4, s42, 1
	s_addc_u32 s5, s43, 0
	s_andn2_b64 s[40:41], s[40:41], exec
	s_and_b64 s[44:45], s[44:45], exec
	s_or_b64 s[40:41], s[40:41], s[44:45]
.LBB1093_82:                            ;   in Loop: Header=BB1093_83 Depth=1
	s_and_b64 s[44:45], exec, s[40:41]
	s_or_b64 s[38:39], s[44:45], s[38:39]
	v_pk_mov_b32 v[24:25], s[42:43], s[42:43] op_sel:[0,1]
	s_mov_b64 s[42:43], s[4:5]
	s_andn2_b64 exec, exec, s[38:39]
	s_cbranch_execz .LBB1093_85
.LBB1093_83:                            ; =>This Inner Loop Header: Depth=1
	s_or_b64 s[40:41], s[40:41], exec
	s_cmp_eq_u64 s[26:27], s[42:43]
	s_cbranch_scc0 .LBB1093_81
; %bb.84:                               ;   in Loop: Header=BB1093_83 Depth=1
                                        ; implicit-def: $sgpr4_sgpr5
	s_mov_b64 s[42:43], s[26:27]
	s_branch .LBB1093_82
.LBB1093_85:
	s_or_b64 exec, exec, s[38:39]
	v_cmp_gt_i64_e32 vcc, s[26:27], v[24:25]
	s_orn2_b64 s[4:5], vcc, exec
.LBB1093_86:
	s_or_b64 exec, exec, s[10:11]
	s_and_b64 s[10:11], s[4:5], exec
.LBB1093_87:
	s_or_b64 exec, exec, s[14:15]
	v_or_b32_e32 v20, 1, v1
	v_cmp_gt_u32_e32 vcc, s48, v20
	s_mov_b64 s[40:41], -1
	s_and_b64 s[38:39], vcc, s[6:7]
	s_mov_b64 s[4:5], 0
	s_and_saveexec_b64 s[14:15], s[38:39]
	s_cbranch_execz .LBB1093_96
; %bb.88:
	s_waitcnt lgkmcnt(0)
	v_pk_mov_b32 v[22:23], s[16:17], s[16:17] op_sel:[0,1]
	v_mad_u64_u32 v[20:21], s[4:5], v14, s26, v[22:23]
	v_mul_lo_u32 v24, v14, s27
	v_mul_lo_u32 v25, v15, s26
	v_add3_u32 v21, v25, v21, v24
	v_mad_u64_u32 v[22:23], s[4:5], v16, s26, v[22:23]
	v_mul_lo_u32 v24, v16, s27
	v_mul_lo_u32 v25, v17, s26
	v_add3_u32 v23, v25, v23, v24
	global_load_ubyte v24, v[20:21], off
	global_load_ubyte v25, v[22:23], off
	s_waitcnt vmcnt(1)
	v_cmp_ne_u16_e32 vcc, 0, v24
	s_waitcnt vmcnt(0)
	v_cmp_ne_u16_e64 s[4:5], 0, v25
	s_xor_b64 s[4:5], vcc, s[4:5]
	s_xor_b64 s[4:5], s[4:5], -1
	s_and_saveexec_b64 s[38:39], s[4:5]
	s_cbranch_execz .LBB1093_95
; %bb.89:
	s_mov_b64 s[44:45], 1
	s_mov_b64 s[40:41], 0
                                        ; implicit-def: $sgpr42_sgpr43
	s_branch .LBB1093_92
.LBB1093_90:                            ;   in Loop: Header=BB1093_92 Depth=1
	v_mov_b32_e32 v27, s45
	v_add_co_u32_e32 v24, vcc, s44, v20
	v_addc_co_u32_e32 v25, vcc, v21, v27, vcc
	v_add_co_u32_e32 v28, vcc, s44, v22
	v_addc_co_u32_e32 v29, vcc, v23, v27, vcc
	global_load_ubyte v27, v[24:25], off
	global_load_ubyte v30, v[28:29], off
	s_waitcnt vmcnt(1)
	v_cmp_ne_u16_e32 vcc, 0, v27
	s_waitcnt vmcnt(0)
	v_cmp_ne_u16_e64 s[4:5], 0, v30
	s_xor_b64 s[46:47], vcc, s[4:5]
	s_add_u32 s4, s44, 1
	s_addc_u32 s5, s45, 0
	s_andn2_b64 s[42:43], s[42:43], exec
	s_and_b64 s[46:47], s[46:47], exec
	s_or_b64 s[42:43], s[42:43], s[46:47]
.LBB1093_91:                            ;   in Loop: Header=BB1093_92 Depth=1
	s_and_b64 s[46:47], exec, s[42:43]
	s_or_b64 s[40:41], s[46:47], s[40:41]
	v_pk_mov_b32 v[24:25], s[44:45], s[44:45] op_sel:[0,1]
	s_mov_b64 s[44:45], s[4:5]
	s_andn2_b64 exec, exec, s[40:41]
	s_cbranch_execz .LBB1093_94
.LBB1093_92:                            ; =>This Inner Loop Header: Depth=1
	s_or_b64 s[42:43], s[42:43], exec
	s_cmp_eq_u64 s[26:27], s[44:45]
	s_cbranch_scc0 .LBB1093_90
; %bb.93:                               ;   in Loop: Header=BB1093_92 Depth=1
                                        ; implicit-def: $sgpr4_sgpr5
	s_mov_b64 s[44:45], s[26:27]
	s_branch .LBB1093_91
.LBB1093_94:
	s_or_b64 exec, exec, s[40:41]
	v_cmp_gt_i64_e32 vcc, s[26:27], v[24:25]
	s_orn2_b64 s[40:41], vcc, exec
.LBB1093_95:
	s_or_b64 exec, exec, s[38:39]
	s_and_b64 s[4:5], s[40:41], exec
.LBB1093_96:
	s_or_b64 exec, exec, s[14:15]
	s_waitcnt lgkmcnt(0)
	s_barrier
	s_and_saveexec_b64 s[14:15], s[2:3]
	s_cbranch_execz .LBB1093_98
; %bb.97:
	s_waitcnt vmcnt(0)
	v_add_u32_e32 v18, -8, v26
	ds_read_b64 v[18:19], v18
.LBB1093_98:
	s_or_b64 exec, exec, s[14:15]
	v_cndmask_b32_e64 v21, 0, 1, s[8:9]
	v_cndmask_b32_e64 v20, 0, 1, s[10:11]
	;; [unrolled: 1-line block ×3, first 2 shown]
	v_lshlrev_b16_e32 v21, 8, v21
	v_cmp_gt_u32_e32 vcc, s48, v1
	v_lshlrev_b16_e32 v24, 8, v22
	v_or_b32_sdwa v25, v20, v21 dst_sel:WORD_1 dst_unused:UNUSED_PAD src0_sel:DWORD src1_sel:DWORD
	s_mov_b64 s[10:11], -1
	s_and_b64 s[4:5], vcc, s[6:7]
	s_mov_b64 s[8:9], 0
	s_and_saveexec_b64 s[6:7], s[4:5]
	s_cbranch_execz .LBB1093_107
; %bb.99:
	v_pk_mov_b32 v[22:23], s[16:17], s[16:17] op_sel:[0,1]
	s_waitcnt vmcnt(0) lgkmcnt(0)
	v_mad_u64_u32 v[20:21], s[4:5], v18, s26, v[22:23]
	v_mul_lo_u32 v18, v18, s27
	v_mul_lo_u32 v19, v19, s26
	v_add3_u32 v21, v19, v21, v18
	v_mad_u64_u32 v[18:19], s[4:5], v14, s26, v[22:23]
	v_mul_lo_u32 v22, v14, s27
	v_mul_lo_u32 v23, v15, s26
	v_add3_u32 v19, v23, v19, v22
	global_load_ubyte v22, v[20:21], off
	global_load_ubyte v23, v[18:19], off
	s_waitcnt vmcnt(1)
	v_cmp_ne_u16_e32 vcc, 0, v22
	s_waitcnt vmcnt(0)
	v_cmp_ne_u16_e64 s[4:5], 0, v23
	s_xor_b64 s[4:5], vcc, s[4:5]
	s_xor_b64 s[4:5], s[4:5], -1
	s_and_saveexec_b64 s[8:9], s[4:5]
	s_cbranch_execz .LBB1093_106
; %bb.100:
	s_mov_b64 s[38:39], 1
	s_mov_b64 s[10:11], 0
                                        ; implicit-def: $sgpr14_sgpr15
	s_branch .LBB1093_103
.LBB1093_101:                           ;   in Loop: Header=BB1093_103 Depth=1
	v_mov_b32_e32 v27, s39
	v_add_co_u32_e32 v22, vcc, s38, v20
	v_addc_co_u32_e32 v23, vcc, v21, v27, vcc
	v_add_co_u32_e32 v26, vcc, s38, v18
	v_addc_co_u32_e32 v27, vcc, v19, v27, vcc
	global_load_ubyte v28, v[22:23], off
	global_load_ubyte v29, v[26:27], off
	s_waitcnt vmcnt(1)
	v_cmp_ne_u16_e32 vcc, 0, v28
	s_waitcnt vmcnt(0)
	v_cmp_ne_u16_e64 s[4:5], 0, v29
	s_xor_b64 s[40:41], vcc, s[4:5]
	s_add_u32 s4, s38, 1
	s_addc_u32 s5, s39, 0
	s_andn2_b64 s[14:15], s[14:15], exec
	s_and_b64 s[40:41], s[40:41], exec
	s_or_b64 s[14:15], s[14:15], s[40:41]
.LBB1093_102:                           ;   in Loop: Header=BB1093_103 Depth=1
	s_and_b64 s[40:41], exec, s[14:15]
	s_or_b64 s[10:11], s[40:41], s[10:11]
	v_pk_mov_b32 v[22:23], s[38:39], s[38:39] op_sel:[0,1]
	s_mov_b64 s[38:39], s[4:5]
	s_andn2_b64 exec, exec, s[10:11]
	s_cbranch_execz .LBB1093_105
.LBB1093_103:                           ; =>This Inner Loop Header: Depth=1
	s_or_b64 s[14:15], s[14:15], exec
	s_cmp_eq_u64 s[26:27], s[38:39]
	s_cbranch_scc0 .LBB1093_101
; %bb.104:                              ;   in Loop: Header=BB1093_103 Depth=1
                                        ; implicit-def: $sgpr4_sgpr5
	s_mov_b64 s[38:39], s[26:27]
	s_branch .LBB1093_102
.LBB1093_105:
	s_or_b64 exec, exec, s[10:11]
	v_cmp_gt_i64_e32 vcc, s[26:27], v[22:23]
	s_orn2_b64 s[10:11], vcc, exec
.LBB1093_106:
	s_or_b64 exec, exec, s[8:9]
	s_and_b64 s[8:9], s[10:11], exec
.LBB1093_107:
	s_or_b64 exec, exec, s[6:7]
	v_or_b32_e32 v28, v24, v25
.LBB1093_108:
	s_mov_b64 s[14:15], -1
	s_cbranch_execnz .LBB1093_187
.LBB1093_109:
	v_lshlrev_b32_e32 v24, 3, v0
	v_cmp_lt_i64_e64 s[10:11], s[26:27], 1
	s_mov_b64 s[8:9], 0
	v_cmp_gt_i64_e64 s[6:7], s[26:27], 0
	s_and_b64 vcc, exec, s[34:35]
	ds_write_b64 v24, v[12:13]
	s_cbranch_vccz .LBB1093_117
; %bb.110:
	s_waitcnt vmcnt(0) lgkmcnt(1)
	v_cndmask_b32_e64 v18, 0, 1, s[6:7]
	v_cmp_ne_u32_e64 s[4:5], 1, v18
	s_andn2_b64 vcc, exec, s[6:7]
	v_mov_b32_e32 v25, 0
	s_cbranch_vccnz .LBB1093_127
; %bb.111:
	v_pk_mov_b32 v[20:21], s[16:17], s[16:17] op_sel:[0,1]
	v_mad_u64_u32 v[18:19], s[6:7], v10, s26, v[20:21]
	v_mul_lo_u32 v22, v10, s27
	v_mul_lo_u32 v23, v11, s26
	v_add3_u32 v19, v23, v19, v22
	v_mad_u64_u32 v[20:21], s[6:7], v12, s26, v[20:21]
	v_mul_lo_u32 v22, v12, s27
	v_mul_lo_u32 v23, v13, s26
	v_add3_u32 v21, v23, v21, v22
	global_load_ubyte v22, v[18:19], off
	global_load_ubyte v23, v[20:21], off
	s_mov_b64 s[38:39], -1
	s_waitcnt vmcnt(1)
	v_cmp_ne_u16_e32 vcc, 0, v22
	s_waitcnt vmcnt(0)
	v_cmp_ne_u16_e64 s[6:7], 0, v23
	s_xor_b64 s[6:7], vcc, s[6:7]
	s_xor_b64 s[6:7], s[6:7], -1
	s_and_saveexec_b64 s[40:41], s[6:7]
	s_cbranch_execz .LBB1093_119
; %bb.112:
	s_mov_b64 s[44:45], 1
	s_mov_b64 s[38:39], 0
                                        ; implicit-def: $sgpr42_sgpr43
	s_branch .LBB1093_115
.LBB1093_113:                           ;   in Loop: Header=BB1093_115 Depth=1
	v_mov_b32_e32 v25, s45
	v_add_co_u32_e64 v22, s[6:7], s44, v18
	v_addc_co_u32_e64 v23, s[6:7], v19, v25, s[6:7]
	v_add_co_u32_e64 v26, s[6:7], s44, v20
	v_addc_co_u32_e64 v27, s[6:7], v21, v25, s[6:7]
	global_load_ubyte v25, v[22:23], off
	global_load_ubyte v28, v[26:27], off
	s_waitcnt vmcnt(1)
	v_cmp_ne_u16_e64 s[6:7], 0, v25
	s_waitcnt vmcnt(0)
	v_cmp_ne_u16_e64 s[8:9], 0, v28
	s_xor_b64 s[8:9], s[6:7], s[8:9]
	s_add_u32 s6, s44, 1
	s_addc_u32 s7, s45, 0
	s_andn2_b64 s[42:43], s[42:43], exec
	s_and_b64 s[8:9], s[8:9], exec
	s_or_b64 s[42:43], s[42:43], s[8:9]
.LBB1093_114:                           ;   in Loop: Header=BB1093_115 Depth=1
	s_and_b64 s[8:9], exec, s[42:43]
	s_or_b64 s[38:39], s[8:9], s[38:39]
	v_pk_mov_b32 v[22:23], s[44:45], s[44:45] op_sel:[0,1]
	s_mov_b64 s[44:45], s[6:7]
	s_andn2_b64 exec, exec, s[38:39]
	s_cbranch_execz .LBB1093_118
.LBB1093_115:                           ; =>This Inner Loop Header: Depth=1
	s_or_b64 s[42:43], s[42:43], exec
	s_cmp_eq_u64 s[26:27], s[44:45]
	s_cbranch_scc0 .LBB1093_113
; %bb.116:                              ;   in Loop: Header=BB1093_115 Depth=1
                                        ; implicit-def: $sgpr6_sgpr7
	s_mov_b64 s[44:45], s[26:27]
	s_branch .LBB1093_114
.LBB1093_117:
                                        ; implicit-def: $sgpr8_sgpr9
                                        ; implicit-def: $vgpr28
	s_cbranch_execnz .LBB1093_148
	s_branch .LBB1093_187
.LBB1093_118:
	s_or_b64 exec, exec, s[38:39]
	v_cmp_gt_i64_e64 s[6:7], s[26:27], v[22:23]
	s_orn2_b64 s[38:39], s[6:7], exec
.LBB1093_119:
	s_or_b64 exec, exec, s[40:41]
	v_pk_mov_b32 v[20:21], s[16:17], s[16:17] op_sel:[0,1]
	v_mad_u64_u32 v[20:21], s[6:7], v16, s26, v[20:21]
	v_mul_lo_u32 v22, v16, s27
	v_mul_lo_u32 v23, v17, s26
	v_add3_u32 v21, v23, v21, v22
	global_load_ubyte v22, v[20:21], off
	s_mov_b64 s[8:9], -1
	s_waitcnt vmcnt(0)
	v_cmp_ne_u16_e64 s[6:7], 0, v22
	s_xor_b64 s[6:7], vcc, s[6:7]
	s_xor_b64 s[6:7], s[6:7], -1
	s_and_saveexec_b64 s[40:41], s[6:7]
	s_cbranch_execz .LBB1093_126
; %bb.120:
	s_mov_b64 s[44:45], 1
	s_mov_b64 s[8:9], 0
                                        ; implicit-def: $sgpr42_sgpr43
	s_branch .LBB1093_123
.LBB1093_121:                           ;   in Loop: Header=BB1093_123 Depth=1
	v_mov_b32_e32 v25, s45
	v_add_co_u32_e32 v22, vcc, s44, v20
	v_addc_co_u32_e32 v23, vcc, v21, v25, vcc
	v_add_co_u32_e32 v26, vcc, s44, v18
	v_addc_co_u32_e32 v27, vcc, v19, v25, vcc
	global_load_ubyte v25, v[22:23], off
	global_load_ubyte v28, v[26:27], off
	s_waitcnt vmcnt(1)
	v_cmp_ne_u16_e32 vcc, 0, v25
	s_waitcnt vmcnt(0)
	v_cmp_ne_u16_e64 s[6:7], 0, v28
	s_xor_b64 s[46:47], vcc, s[6:7]
	s_add_u32 s6, s44, 1
	s_addc_u32 s7, s45, 0
	s_andn2_b64 s[42:43], s[42:43], exec
	s_and_b64 s[46:47], s[46:47], exec
	s_or_b64 s[42:43], s[42:43], s[46:47]
.LBB1093_122:                           ;   in Loop: Header=BB1093_123 Depth=1
	s_and_b64 s[46:47], exec, s[42:43]
	s_or_b64 s[8:9], s[46:47], s[8:9]
	v_pk_mov_b32 v[22:23], s[44:45], s[44:45] op_sel:[0,1]
	s_mov_b64 s[44:45], s[6:7]
	s_andn2_b64 exec, exec, s[8:9]
	s_cbranch_execz .LBB1093_125
.LBB1093_123:                           ; =>This Inner Loop Header: Depth=1
	s_or_b64 s[42:43], s[42:43], exec
	s_cmp_eq_u64 s[26:27], s[44:45]
	s_cbranch_scc0 .LBB1093_121
; %bb.124:                              ;   in Loop: Header=BB1093_123 Depth=1
                                        ; implicit-def: $sgpr6_sgpr7
	s_mov_b64 s[44:45], s[26:27]
	s_branch .LBB1093_122
.LBB1093_125:
	s_or_b64 exec, exec, s[8:9]
	v_cmp_gt_i64_e32 vcc, s[26:27], v[22:23]
	s_orn2_b64 s[8:9], vcc, exec
.LBB1093_126:
	s_or_b64 exec, exec, s[40:41]
	v_cndmask_b32_e64 v25, 0, 1, s[38:39]
.LBB1093_127:
	s_and_b64 vcc, exec, s[4:5]
	s_mov_b64 s[6:7], 0
	s_cbranch_vccnz .LBB1093_136
; %bb.128:
	v_pk_mov_b32 v[20:21], s[16:17], s[16:17] op_sel:[0,1]
	v_mad_u64_u32 v[18:19], s[6:7], v14, s26, v[20:21]
	v_mul_lo_u32 v22, v14, s27
	v_mul_lo_u32 v23, v15, s26
	v_add3_u32 v19, v23, v19, v22
	v_mad_u64_u32 v[20:21], s[6:7], v16, s26, v[20:21]
	v_mul_lo_u32 v22, v16, s27
	v_mul_lo_u32 v23, v17, s26
	v_add3_u32 v21, v23, v21, v22
	global_load_ubyte v22, v[18:19], off
	global_load_ubyte v23, v[20:21], off
	s_waitcnt vmcnt(1)
	v_cmp_ne_u16_e32 vcc, 0, v22
	s_waitcnt vmcnt(0)
	v_cmp_ne_u16_e64 s[6:7], 0, v23
	s_xor_b64 s[38:39], vcc, s[6:7]
	s_mov_b64 s[6:7], -1
	s_xor_b64 s[40:41], s[38:39], -1
	s_and_saveexec_b64 s[38:39], s[40:41]
	s_cbranch_execz .LBB1093_135
; %bb.129:
	s_mov_b64 s[44:45], 1
	s_mov_b64 s[40:41], 0
                                        ; implicit-def: $sgpr42_sgpr43
	s_branch .LBB1093_132
.LBB1093_130:                           ;   in Loop: Header=BB1093_132 Depth=1
	v_mov_b32_e32 v27, s45
	v_add_co_u32_e32 v22, vcc, s44, v18
	v_addc_co_u32_e32 v23, vcc, v19, v27, vcc
	v_add_co_u32_e32 v26, vcc, s44, v20
	v_addc_co_u32_e32 v27, vcc, v21, v27, vcc
	global_load_ubyte v28, v[22:23], off
	global_load_ubyte v29, v[26:27], off
	s_waitcnt vmcnt(1)
	v_cmp_ne_u16_e32 vcc, 0, v28
	s_waitcnt vmcnt(0)
	v_cmp_ne_u16_e64 s[6:7], 0, v29
	s_xor_b64 s[46:47], vcc, s[6:7]
	s_add_u32 s6, s44, 1
	s_addc_u32 s7, s45, 0
	s_andn2_b64 s[42:43], s[42:43], exec
	s_and_b64 s[46:47], s[46:47], exec
	s_or_b64 s[42:43], s[42:43], s[46:47]
.LBB1093_131:                           ;   in Loop: Header=BB1093_132 Depth=1
	s_and_b64 s[46:47], exec, s[42:43]
	s_or_b64 s[40:41], s[46:47], s[40:41]
	v_pk_mov_b32 v[22:23], s[44:45], s[44:45] op_sel:[0,1]
	s_mov_b64 s[44:45], s[6:7]
	s_andn2_b64 exec, exec, s[40:41]
	s_cbranch_execz .LBB1093_134
.LBB1093_132:                           ; =>This Inner Loop Header: Depth=1
	s_or_b64 s[42:43], s[42:43], exec
	s_cmp_eq_u64 s[26:27], s[44:45]
	s_cbranch_scc0 .LBB1093_130
; %bb.133:                              ;   in Loop: Header=BB1093_132 Depth=1
                                        ; implicit-def: $sgpr6_sgpr7
	s_mov_b64 s[44:45], s[26:27]
	s_branch .LBB1093_131
.LBB1093_134:
	s_or_b64 exec, exec, s[40:41]
	v_cmp_gt_i64_e32 vcc, s[26:27], v[22:23]
	s_orn2_b64 s[6:7], vcc, exec
.LBB1093_135:
	s_or_b64 exec, exec, s[38:39]
.LBB1093_136:
	v_cndmask_b32_e64 v19, 0, 1, s[6:7]
	v_cndmask_b32_e64 v18, 0, 1, s[8:9]
	v_lshlrev_b16_e32 v19, 8, v19
	v_lshlrev_b16_e32 v20, 8, v25
	v_or_b32_e32 v19, 1, v19
	v_or_b32_sdwa v18, v18, v20 dst_sel:WORD_1 dst_unused:UNUSED_PAD src0_sel:DWORD src1_sel:DWORD
	v_or_b32_sdwa v28, v19, v18 dst_sel:DWORD dst_unused:UNUSED_PAD src0_sel:WORD_0 src1_sel:DWORD
	s_waitcnt lgkmcnt(0)
	s_barrier
	s_waitcnt lgkmcnt(0)
                                        ; implicit-def: $sgpr8_sgpr9
	s_and_saveexec_b64 s[6:7], s[2:3]
	s_xor_b64 s[6:7], exec, s[6:7]
	s_cbranch_execz .LBB1093_147
; %bb.137:
	s_and_b64 vcc, exec, s[4:5]
	s_mov_b64 s[4:5], 0
	s_cbranch_vccnz .LBB1093_146
; %bb.138:
	v_add_u32_e32 v18, -8, v24
	ds_read_b64 v[18:19], v18
	v_pk_mov_b32 v[20:21], s[16:17], s[16:17] op_sel:[0,1]
	s_waitcnt lgkmcnt(0)
	v_mul_lo_u32 v22, v18, s27
	v_mul_lo_u32 v23, v19, s26
	v_mad_u64_u32 v[18:19], s[4:5], v18, s26, v[20:21]
	v_add3_u32 v19, v23, v19, v22
	v_mad_u64_u32 v[20:21], s[4:5], v14, s26, v[20:21]
	v_mul_lo_u32 v22, v14, s27
	v_mul_lo_u32 v23, v15, s26
	v_add3_u32 v21, v23, v21, v22
	global_load_ubyte v22, v[18:19], off
	global_load_ubyte v23, v[20:21], off
	s_waitcnt vmcnt(1)
	v_cmp_ne_u16_e32 vcc, 0, v22
	s_waitcnt vmcnt(0)
	v_cmp_ne_u16_e64 s[4:5], 0, v23
	s_xor_b64 s[8:9], vcc, s[4:5]
	s_mov_b64 s[4:5], -1
	s_xor_b64 s[38:39], s[8:9], -1
	s_and_saveexec_b64 s[8:9], s[38:39]
	s_cbranch_execz .LBB1093_145
; %bb.139:
	s_mov_b64 s[42:43], 1
	s_mov_b64 s[38:39], 0
                                        ; implicit-def: $sgpr40_sgpr41
	s_branch .LBB1093_142
.LBB1093_140:                           ;   in Loop: Header=BB1093_142 Depth=1
	v_mov_b32_e32 v25, s43
	v_add_co_u32_e32 v22, vcc, s42, v18
	v_addc_co_u32_e32 v23, vcc, v19, v25, vcc
	v_add_co_u32_e32 v26, vcc, s42, v20
	v_addc_co_u32_e32 v27, vcc, v21, v25, vcc
	global_load_ubyte v25, v[22:23], off
	global_load_ubyte v29, v[26:27], off
	s_waitcnt vmcnt(1)
	v_cmp_ne_u16_e32 vcc, 0, v25
	s_waitcnt vmcnt(0)
	v_cmp_ne_u16_e64 s[4:5], 0, v29
	s_xor_b64 s[44:45], vcc, s[4:5]
	s_add_u32 s4, s42, 1
	s_addc_u32 s5, s43, 0
	s_andn2_b64 s[40:41], s[40:41], exec
	s_and_b64 s[44:45], s[44:45], exec
	s_or_b64 s[40:41], s[40:41], s[44:45]
.LBB1093_141:                           ;   in Loop: Header=BB1093_142 Depth=1
	s_and_b64 s[44:45], exec, s[40:41]
	s_or_b64 s[38:39], s[44:45], s[38:39]
	v_pk_mov_b32 v[22:23], s[42:43], s[42:43] op_sel:[0,1]
	s_mov_b64 s[42:43], s[4:5]
	s_andn2_b64 exec, exec, s[38:39]
	s_cbranch_execz .LBB1093_144
.LBB1093_142:                           ; =>This Inner Loop Header: Depth=1
	s_or_b64 s[40:41], s[40:41], exec
	s_cmp_eq_u64 s[26:27], s[42:43]
	s_cbranch_scc0 .LBB1093_140
; %bb.143:                              ;   in Loop: Header=BB1093_142 Depth=1
                                        ; implicit-def: $sgpr4_sgpr5
	s_mov_b64 s[42:43], s[26:27]
	s_branch .LBB1093_141
.LBB1093_144:
	s_or_b64 exec, exec, s[38:39]
	v_cmp_gt_i64_e32 vcc, s[26:27], v[22:23]
	s_orn2_b64 s[4:5], vcc, exec
.LBB1093_145:
	s_or_b64 exec, exec, s[8:9]
.LBB1093_146:
	s_and_b64 s[8:9], s[4:5], exec
	s_or_b64 s[14:15], s[14:15], exec
.LBB1093_147:
	s_or_b64 exec, exec, s[6:7]
	s_branch .LBB1093_187
.LBB1093_148:
	s_waitcnt vmcnt(0) lgkmcnt(1)
	v_or_b32_e32 v18, 3, v1
	v_cmp_gt_u32_e32 vcc, s48, v18
	s_xor_b64 s[6:7], s[10:11], -1
	s_mov_b64 s[40:41], -1
	s_and_b64 s[4:5], vcc, s[6:7]
	s_mov_b64 s[8:9], 0
	v_mul_lo_u32 v27, v10, s27
	v_mul_lo_u32 v28, v11, s26
	s_mov_b64 s[10:11], 0
	s_and_saveexec_b64 s[38:39], s[4:5]
	s_cbranch_execz .LBB1093_157
; %bb.149:
	v_pk_mov_b32 v[20:21], s[16:17], s[16:17] op_sel:[0,1]
	v_mad_u64_u32 v[18:19], s[4:5], v10, s26, v[20:21]
	v_add3_u32 v19, v28, v19, v27
	v_mad_u64_u32 v[20:21], s[4:5], v12, s26, v[20:21]
	v_mul_lo_u32 v22, v12, s27
	v_mul_lo_u32 v23, v13, s26
	v_add3_u32 v21, v23, v21, v22
	global_load_ubyte v22, v[18:19], off
	global_load_ubyte v23, v[20:21], off
	s_waitcnt vmcnt(1)
	v_cmp_ne_u16_e32 vcc, 0, v22
	s_waitcnt vmcnt(0)
	v_cmp_ne_u16_e64 s[4:5], 0, v23
	s_xor_b64 s[4:5], vcc, s[4:5]
	s_xor_b64 s[4:5], s[4:5], -1
	s_and_saveexec_b64 s[10:11], s[4:5]
	s_cbranch_execz .LBB1093_156
; %bb.150:
	s_mov_b64 s[44:45], 1
	s_mov_b64 s[40:41], 0
                                        ; implicit-def: $sgpr42_sgpr43
	s_branch .LBB1093_153
.LBB1093_151:                           ;   in Loop: Header=BB1093_153 Depth=1
	v_mov_b32_e32 v25, s45
	v_add_co_u32_e32 v22, vcc, s44, v18
	v_addc_co_u32_e32 v23, vcc, v19, v25, vcc
	v_add_co_u32_e32 v30, vcc, s44, v20
	v_addc_co_u32_e32 v31, vcc, v21, v25, vcc
	global_load_ubyte v25, v[22:23], off
	global_load_ubyte v26, v[30:31], off
	s_waitcnt vmcnt(1)
	v_cmp_ne_u16_e32 vcc, 0, v25
	s_waitcnt vmcnt(0)
	v_cmp_ne_u16_e64 s[4:5], 0, v26
	s_xor_b64 s[46:47], vcc, s[4:5]
	s_add_u32 s4, s44, 1
	s_addc_u32 s5, s45, 0
	s_andn2_b64 s[42:43], s[42:43], exec
	s_and_b64 s[46:47], s[46:47], exec
	s_or_b64 s[42:43], s[42:43], s[46:47]
.LBB1093_152:                           ;   in Loop: Header=BB1093_153 Depth=1
	s_and_b64 s[46:47], exec, s[42:43]
	s_or_b64 s[40:41], s[46:47], s[40:41]
	v_pk_mov_b32 v[22:23], s[44:45], s[44:45] op_sel:[0,1]
	s_mov_b64 s[44:45], s[4:5]
	s_andn2_b64 exec, exec, s[40:41]
	s_cbranch_execz .LBB1093_155
.LBB1093_153:                           ; =>This Inner Loop Header: Depth=1
	s_or_b64 s[42:43], s[42:43], exec
	s_cmp_eq_u64 s[26:27], s[44:45]
	s_cbranch_scc0 .LBB1093_151
; %bb.154:                              ;   in Loop: Header=BB1093_153 Depth=1
                                        ; implicit-def: $sgpr4_sgpr5
	s_mov_b64 s[44:45], s[26:27]
	s_branch .LBB1093_152
.LBB1093_155:
	s_or_b64 exec, exec, s[40:41]
	v_cmp_gt_i64_e32 vcc, s[26:27], v[22:23]
	s_orn2_b64 s[40:41], vcc, exec
.LBB1093_156:
	s_or_b64 exec, exec, s[10:11]
	s_and_b64 s[10:11], s[40:41], exec
.LBB1093_157:
	s_or_b64 exec, exec, s[38:39]
	v_or_b32_e32 v18, 2, v1
	v_cmp_gt_u32_e32 vcc, s48, v18
	s_and_b64 s[4:5], vcc, s[6:7]
	v_mul_lo_u32 v25, v16, s27
	v_mul_lo_u32 v26, v17, s26
	s_and_saveexec_b64 s[38:39], s[4:5]
	s_cbranch_execz .LBB1093_166
; %bb.158:
	v_pk_mov_b32 v[20:21], s[16:17], s[16:17] op_sel:[0,1]
	v_mad_u64_u32 v[18:19], s[4:5], v16, s26, v[20:21]
	v_add3_u32 v19, v26, v19, v25
	v_mad_u64_u32 v[20:21], s[4:5], v10, s26, v[20:21]
	v_add3_u32 v21, v28, v21, v27
	global_load_ubyte v22, v[18:19], off
	global_load_ubyte v23, v[20:21], off
	s_waitcnt vmcnt(1)
	v_cmp_ne_u16_e32 vcc, 0, v22
	s_waitcnt vmcnt(0)
	v_cmp_ne_u16_e64 s[4:5], 0, v23
	s_xor_b64 s[8:9], vcc, s[4:5]
	s_mov_b64 s[4:5], -1
	s_xor_b64 s[40:41], s[8:9], -1
	s_and_saveexec_b64 s[8:9], s[40:41]
	s_cbranch_execz .LBB1093_165
; %bb.159:
	s_mov_b64 s[44:45], 1
	s_mov_b64 s[40:41], 0
                                        ; implicit-def: $sgpr42_sgpr43
	s_branch .LBB1093_162
.LBB1093_160:                           ;   in Loop: Header=BB1093_162 Depth=1
	v_mov_b32_e32 v27, s45
	v_add_co_u32_e32 v22, vcc, s44, v18
	v_addc_co_u32_e32 v23, vcc, v19, v27, vcc
	v_add_co_u32_e32 v28, vcc, s44, v20
	v_addc_co_u32_e32 v29, vcc, v21, v27, vcc
	global_load_ubyte v27, v[22:23], off
	global_load_ubyte v30, v[28:29], off
	s_waitcnt vmcnt(1)
	v_cmp_ne_u16_e32 vcc, 0, v27
	s_waitcnt vmcnt(0)
	v_cmp_ne_u16_e64 s[4:5], 0, v30
	s_xor_b64 s[46:47], vcc, s[4:5]
	s_add_u32 s4, s44, 1
	s_addc_u32 s5, s45, 0
	s_andn2_b64 s[42:43], s[42:43], exec
	s_and_b64 s[46:47], s[46:47], exec
	s_or_b64 s[42:43], s[42:43], s[46:47]
.LBB1093_161:                           ;   in Loop: Header=BB1093_162 Depth=1
	s_and_b64 s[46:47], exec, s[42:43]
	s_or_b64 s[40:41], s[46:47], s[40:41]
	v_pk_mov_b32 v[22:23], s[44:45], s[44:45] op_sel:[0,1]
	s_mov_b64 s[44:45], s[4:5]
	s_andn2_b64 exec, exec, s[40:41]
	s_cbranch_execz .LBB1093_164
.LBB1093_162:                           ; =>This Inner Loop Header: Depth=1
	s_or_b64 s[42:43], s[42:43], exec
	s_cmp_eq_u64 s[26:27], s[44:45]
	s_cbranch_scc0 .LBB1093_160
; %bb.163:                              ;   in Loop: Header=BB1093_162 Depth=1
                                        ; implicit-def: $sgpr4_sgpr5
	s_mov_b64 s[44:45], s[26:27]
	s_branch .LBB1093_161
.LBB1093_164:
	s_or_b64 exec, exec, s[40:41]
	v_cmp_gt_i64_e32 vcc, s[26:27], v[22:23]
	s_orn2_b64 s[4:5], vcc, exec
.LBB1093_165:
	s_or_b64 exec, exec, s[8:9]
	s_and_b64 s[8:9], s[4:5], exec
.LBB1093_166:
	s_or_b64 exec, exec, s[38:39]
	v_or_b32_e32 v18, 1, v1
	v_cmp_gt_u32_e32 vcc, s48, v18
	s_mov_b64 s[42:43], -1
	s_and_b64 s[40:41], vcc, s[6:7]
	s_mov_b64 s[4:5], 0
	s_and_saveexec_b64 s[38:39], s[40:41]
	s_cbranch_execz .LBB1093_175
; %bb.167:
	v_pk_mov_b32 v[20:21], s[16:17], s[16:17] op_sel:[0,1]
	v_mad_u64_u32 v[18:19], s[4:5], v14, s26, v[20:21]
	v_mul_lo_u32 v22, v14, s27
	v_mul_lo_u32 v23, v15, s26
	v_add3_u32 v19, v23, v19, v22
	v_mad_u64_u32 v[20:21], s[4:5], v16, s26, v[20:21]
	v_add3_u32 v21, v26, v21, v25
	global_load_ubyte v22, v[18:19], off
	global_load_ubyte v23, v[20:21], off
	s_waitcnt vmcnt(1)
	v_cmp_ne_u16_e32 vcc, 0, v22
	s_waitcnt vmcnt(0)
	v_cmp_ne_u16_e64 s[4:5], 0, v23
	s_xor_b64 s[4:5], vcc, s[4:5]
	s_xor_b64 s[4:5], s[4:5], -1
	s_and_saveexec_b64 s[40:41], s[4:5]
	s_cbranch_execz .LBB1093_174
; %bb.168:
	s_mov_b64 s[46:47], 1
	s_mov_b64 s[42:43], 0
                                        ; implicit-def: $sgpr44_sgpr45
	s_branch .LBB1093_171
.LBB1093_169:                           ;   in Loop: Header=BB1093_171 Depth=1
	v_mov_b32_e32 v25, s47
	v_add_co_u32_e32 v22, vcc, s46, v18
	v_addc_co_u32_e32 v23, vcc, v19, v25, vcc
	v_add_co_u32_e32 v26, vcc, s46, v20
	v_addc_co_u32_e32 v27, vcc, v21, v25, vcc
	global_load_ubyte v25, v[22:23], off
	global_load_ubyte v28, v[26:27], off
	s_waitcnt vmcnt(1)
	v_cmp_ne_u16_e32 vcc, 0, v25
	s_waitcnt vmcnt(0)
	v_cmp_ne_u16_e64 s[4:5], 0, v28
	s_xor_b64 s[50:51], vcc, s[4:5]
	s_add_u32 s4, s46, 1
	s_addc_u32 s5, s47, 0
	s_andn2_b64 s[44:45], s[44:45], exec
	s_and_b64 s[50:51], s[50:51], exec
	s_or_b64 s[44:45], s[44:45], s[50:51]
.LBB1093_170:                           ;   in Loop: Header=BB1093_171 Depth=1
	s_and_b64 s[50:51], exec, s[44:45]
	s_or_b64 s[42:43], s[50:51], s[42:43]
	v_pk_mov_b32 v[22:23], s[46:47], s[46:47] op_sel:[0,1]
	s_mov_b64 s[46:47], s[4:5]
	s_andn2_b64 exec, exec, s[42:43]
	s_cbranch_execz .LBB1093_173
.LBB1093_171:                           ; =>This Inner Loop Header: Depth=1
	s_or_b64 s[44:45], s[44:45], exec
	s_cmp_eq_u64 s[26:27], s[46:47]
	s_cbranch_scc0 .LBB1093_169
; %bb.172:                              ;   in Loop: Header=BB1093_171 Depth=1
                                        ; implicit-def: $sgpr4_sgpr5
	s_mov_b64 s[46:47], s[26:27]
	s_branch .LBB1093_170
.LBB1093_173:
	s_or_b64 exec, exec, s[42:43]
	v_cmp_gt_i64_e32 vcc, s[26:27], v[22:23]
	s_orn2_b64 s[42:43], vcc, exec
.LBB1093_174:
	s_or_b64 exec, exec, s[40:41]
	s_and_b64 s[4:5], s[42:43], exec
.LBB1093_175:
	s_or_b64 exec, exec, s[38:39]
	v_cndmask_b32_e64 v19, 0, 1, s[10:11]
	v_cndmask_b32_e64 v20, 0, 1, s[4:5]
	;; [unrolled: 1-line block ×3, first 2 shown]
	v_lshlrev_b16_e32 v20, 8, v20
	v_lshlrev_b16_e32 v19, 8, v19
	v_or_b32_e32 v20, 1, v20
	v_or_b32_sdwa v18, v18, v19 dst_sel:WORD_1 dst_unused:UNUSED_PAD src0_sel:DWORD src1_sel:DWORD
	v_or_b32_sdwa v28, v20, v18 dst_sel:DWORD dst_unused:UNUSED_PAD src0_sel:WORD_0 src1_sel:DWORD
	s_waitcnt lgkmcnt(0)
	s_barrier
	s_waitcnt lgkmcnt(0)
                                        ; implicit-def: $sgpr8_sgpr9
	s_and_saveexec_b64 s[4:5], s[2:3]
	s_cbranch_execz .LBB1093_186
; %bb.176:
	v_cmp_gt_u32_e32 vcc, s48, v1
	s_mov_b64 s[10:11], -1
	s_and_b64 s[8:9], vcc, s[6:7]
	s_mov_b64 s[2:3], 0
	s_and_saveexec_b64 s[6:7], s[8:9]
	s_cbranch_execz .LBB1093_185
; %bb.177:
	v_add_u32_e32 v18, -8, v24
	ds_read_b64 v[18:19], v18
	v_pk_mov_b32 v[20:21], s[16:17], s[16:17] op_sel:[0,1]
	s_waitcnt lgkmcnt(0)
	v_mul_lo_u32 v22, v18, s27
	v_mul_lo_u32 v23, v19, s26
	v_mad_u64_u32 v[18:19], s[2:3], v18, s26, v[20:21]
	v_add3_u32 v19, v23, v19, v22
	v_mad_u64_u32 v[20:21], s[2:3], v14, s26, v[20:21]
	v_mul_lo_u32 v22, v14, s27
	v_mul_lo_u32 v23, v15, s26
	v_add3_u32 v21, v23, v21, v22
	global_load_ubyte v22, v[18:19], off
	global_load_ubyte v23, v[20:21], off
	s_waitcnt vmcnt(1)
	v_cmp_ne_u16_e32 vcc, 0, v22
	s_waitcnt vmcnt(0)
	v_cmp_ne_u16_e64 s[2:3], 0, v23
	s_xor_b64 s[2:3], vcc, s[2:3]
	s_xor_b64 s[2:3], s[2:3], -1
	s_and_saveexec_b64 s[8:9], s[2:3]
	s_cbranch_execz .LBB1093_184
; %bb.178:
	s_mov_b64 s[38:39], 1
	s_mov_b64 s[10:11], 0
                                        ; implicit-def: $sgpr16_sgpr17
	s_branch .LBB1093_181
.LBB1093_179:                           ;   in Loop: Header=BB1093_181 Depth=1
	v_mov_b32_e32 v25, s39
	v_add_co_u32_e32 v22, vcc, s38, v18
	v_addc_co_u32_e32 v23, vcc, v19, v25, vcc
	v_add_co_u32_e32 v24, vcc, s38, v20
	v_addc_co_u32_e32 v25, vcc, v21, v25, vcc
	global_load_ubyte v26, v[22:23], off
	global_load_ubyte v27, v[24:25], off
	s_waitcnt vmcnt(1)
	v_cmp_ne_u16_e32 vcc, 0, v26
	s_waitcnt vmcnt(0)
	v_cmp_ne_u16_e64 s[2:3], 0, v27
	s_xor_b64 s[40:41], vcc, s[2:3]
	s_add_u32 s2, s38, 1
	s_addc_u32 s3, s39, 0
	s_andn2_b64 s[16:17], s[16:17], exec
	s_and_b64 s[40:41], s[40:41], exec
	s_or_b64 s[16:17], s[16:17], s[40:41]
.LBB1093_180:                           ;   in Loop: Header=BB1093_181 Depth=1
	s_and_b64 s[40:41], exec, s[16:17]
	s_or_b64 s[10:11], s[40:41], s[10:11]
	v_pk_mov_b32 v[22:23], s[38:39], s[38:39] op_sel:[0,1]
	s_mov_b64 s[38:39], s[2:3]
	s_andn2_b64 exec, exec, s[10:11]
	s_cbranch_execz .LBB1093_183
.LBB1093_181:                           ; =>This Inner Loop Header: Depth=1
	s_or_b64 s[16:17], s[16:17], exec
	s_cmp_eq_u64 s[26:27], s[38:39]
	s_cbranch_scc0 .LBB1093_179
; %bb.182:                              ;   in Loop: Header=BB1093_181 Depth=1
                                        ; implicit-def: $sgpr2_sgpr3
	s_mov_b64 s[38:39], s[26:27]
	s_branch .LBB1093_180
.LBB1093_183:
	s_or_b64 exec, exec, s[10:11]
	v_cmp_gt_i64_e32 vcc, s[26:27], v[22:23]
	s_orn2_b64 s[10:11], vcc, exec
.LBB1093_184:
	s_or_b64 exec, exec, s[8:9]
	s_and_b64 s[2:3], s[10:11], exec
.LBB1093_185:
	s_or_b64 exec, exec, s[6:7]
	s_and_b64 s[8:9], s[2:3], exec
	s_or_b64 s[14:15], s[14:15], exec
.LBB1093_186:
	s_or_b64 exec, exec, s[4:5]
.LBB1093_187:
	s_and_saveexec_b64 s[2:3], s[14:15]
	s_cbranch_execz .LBB1093_189
; %bb.188:
	s_waitcnt vmcnt(0) lgkmcnt(0)
	v_and_b32_e32 v18, 0xffffff00, v28
	v_cndmask_b32_e64 v19, 0, 1, s[8:9]
	v_or_b32_e32 v18, v19, v18
	v_and_b32_e32 v18, 0xffff, v18
	s_mov_b32 s4, 0xffff0000
	v_and_or_b32 v28, v28, s4, v18
.LBB1093_189:
	s_or_b64 exec, exec, s[2:3]
	s_andn2_b64 vcc, exec, s[12:13]
	s_cbranch_vccnz .LBB1093_191
; %bb.190:
	v_cmp_gt_u32_e32 vcc, s48, v1
	s_waitcnt vmcnt(0) lgkmcnt(0)
	v_cndmask_b32_e32 v18, 0, v28, vcc
	v_or_b32_e32 v19, 1, v1
	v_and_b32_e32 v18, 0xff, v18
	v_cmp_gt_u32_e32 vcc, s48, v19
	v_cndmask_b32_e32 v18, v18, v28, vcc
	v_or_b32_e32 v19, 2, v1
	v_and_b32_e32 v18, 0xffff, v18
	v_cmp_gt_u32_e32 vcc, s48, v19
	;; [unrolled: 4-line block ×3, first 2 shown]
	v_cndmask_b32_e32 v28, v18, v28, vcc
.LBB1093_191:
	v_bfe_u32 v30, v28, 16, 8
	v_lshrrev_b32_e32 v29, 24, v28
	s_waitcnt vmcnt(0) lgkmcnt(0)
	v_add_u32_sdwa v18, v28, v28 dst_sel:DWORD dst_unused:UNUSED_PAD src0_sel:BYTE_1 src1_sel:BYTE_0
	v_add3_u32 v33, v18, v30, v29
	v_mbcnt_lo_u32_b32 v18, -1, 0
	v_mbcnt_hi_u32_b32 v31, -1, v18
	v_and_b32_e32 v18, 15, v31
	v_cmp_eq_u32_e64 s[14:15], 0, v18
	v_cmp_lt_u32_e64 s[12:13], 1, v18
	v_cmp_lt_u32_e64 s[10:11], 3, v18
	;; [unrolled: 1-line block ×3, first 2 shown]
	v_and_b32_e32 v18, 16, v31
	v_cmp_eq_u32_e64 s[6:7], 0, v18
	v_or_b32_e32 v18, 63, v0
	v_cmp_lt_u32_e64 s[2:3], 31, v31
	v_lshrrev_b32_e32 v32, 6, v0
	v_cmp_eq_u32_e64 s[4:5], v18, v0
	s_and_b64 vcc, exec, s[36:37]
	s_barrier
	s_cbranch_vccz .LBB1093_222
; %bb.192:
	v_mov_b32_dpp v18, v33 row_shr:1 row_mask:0xf bank_mask:0xf
	v_cndmask_b32_e64 v18, v18, 0, s[14:15]
	v_add_u32_e32 v18, v18, v33
	s_nop 1
	v_mov_b32_dpp v19, v18 row_shr:2 row_mask:0xf bank_mask:0xf
	v_cndmask_b32_e64 v19, 0, v19, s[12:13]
	v_add_u32_e32 v18, v18, v19
	s_nop 1
	;; [unrolled: 4-line block ×4, first 2 shown]
	v_mov_b32_dpp v19, v18 row_bcast:15 row_mask:0xf bank_mask:0xf
	v_cndmask_b32_e64 v19, v19, 0, s[6:7]
	v_add_u32_e32 v18, v18, v19
	s_nop 1
	v_mov_b32_dpp v19, v18 row_bcast:31 row_mask:0xf bank_mask:0xf
	v_cndmask_b32_e64 v19, 0, v19, s[2:3]
	v_add_u32_e32 v18, v18, v19
	s_and_saveexec_b64 s[16:17], s[4:5]
	s_cbranch_execz .LBB1093_194
; %bb.193:
	v_lshlrev_b32_e32 v19, 2, v32
	ds_write_b32 v19, v18
.LBB1093_194:
	s_or_b64 exec, exec, s[16:17]
	v_cmp_gt_u32_e32 vcc, 2, v0
	s_waitcnt lgkmcnt(0)
	s_barrier
	s_and_saveexec_b64 s[16:17], vcc
	s_cbranch_execz .LBB1093_196
; %bb.195:
	ds_read_b32 v19, v1
	v_bfe_i32 v20, v31, 0, 1
	s_waitcnt lgkmcnt(0)
	v_mov_b32_dpp v21, v19 row_shr:1 row_mask:0xf bank_mask:0xf
	v_and_b32_e32 v20, v20, v21
	v_add_u32_e32 v19, v20, v19
	ds_write_b32 v1, v19
.LBB1093_196:
	s_or_b64 exec, exec, s[16:17]
	v_cmp_gt_u32_e32 vcc, 64, v0
	v_cmp_lt_u32_e64 s[16:17], 63, v0
	s_waitcnt lgkmcnt(0)
	s_barrier
	s_waitcnt lgkmcnt(0)
                                        ; implicit-def: $vgpr34
	s_and_saveexec_b64 s[26:27], s[16:17]
	s_cbranch_execz .LBB1093_198
; %bb.197:
	v_lshl_add_u32 v19, v32, 2, -4
	ds_read_b32 v34, v19
	s_waitcnt lgkmcnt(0)
	v_add_u32_e32 v18, v34, v18
.LBB1093_198:
	s_or_b64 exec, exec, s[26:27]
	v_add_u32_e32 v19, -1, v31
	v_and_b32_e32 v20, 64, v31
	v_cmp_lt_i32_e64 s[16:17], v19, v20
	v_cndmask_b32_e64 v19, v19, v31, s[16:17]
	v_lshlrev_b32_e32 v19, 2, v19
	ds_bpermute_b32 v35, v19, v18
	v_cmp_eq_u32_e64 s[16:17], 0, v31
	s_and_saveexec_b64 s[26:27], vcc
	s_cbranch_execz .LBB1093_221
; %bb.199:
	v_mov_b32_e32 v27, 0
	ds_read_b32 v18, v27 offset:4
	s_and_saveexec_b64 s[36:37], s[16:17]
	s_cbranch_execz .LBB1093_201
; %bb.200:
	s_add_i32 s38, s33, 64
	s_mov_b32 s39, 0
	s_lshl_b64 s[38:39], s[38:39], 3
	s_add_u32 s38, s18, s38
	v_mov_b32_e32 v19, 1
	s_addc_u32 s39, s19, s39
	s_waitcnt lgkmcnt(0)
	global_store_dwordx2 v27, v[18:19], s[38:39]
.LBB1093_201:
	s_or_b64 exec, exec, s[36:37]
	v_xad_u32 v20, v31, -1, s33
	v_add_u32_e32 v26, 64, v20
	v_lshlrev_b64 v[22:23], 3, v[26:27]
	v_mov_b32_e32 v19, s19
	v_add_co_u32_e32 v22, vcc, s18, v22
	v_addc_co_u32_e32 v23, vcc, v19, v23, vcc
	global_load_dwordx2 v[24:25], v[22:23], off glc
	s_waitcnt vmcnt(0)
	v_cmp_eq_u16_sdwa s[38:39], v25, v27 src0_sel:BYTE_0 src1_sel:DWORD
	s_and_saveexec_b64 s[36:37], s[38:39]
	s_cbranch_execz .LBB1093_207
; %bb.202:
	s_mov_b32 s40, 1
	s_mov_b64 s[38:39], 0
	v_mov_b32_e32 v19, 0
.LBB1093_203:                           ; =>This Loop Header: Depth=1
                                        ;     Child Loop BB1093_204 Depth 2
	s_max_u32 s41, s40, 1
.LBB1093_204:                           ;   Parent Loop BB1093_203 Depth=1
                                        ; =>  This Inner Loop Header: Depth=2
	s_add_i32 s41, s41, -1
	s_cmp_eq_u32 s41, 0
	s_sleep 1
	s_cbranch_scc0 .LBB1093_204
; %bb.205:                              ;   in Loop: Header=BB1093_203 Depth=1
	global_load_dwordx2 v[24:25], v[22:23], off glc
	s_cmp_lt_u32 s40, 32
	s_cselect_b64 s[42:43], -1, 0
	s_cmp_lg_u64 s[42:43], 0
	s_addc_u32 s40, s40, 0
	s_waitcnt vmcnt(0)
	v_cmp_ne_u16_sdwa s[42:43], v25, v19 src0_sel:BYTE_0 src1_sel:DWORD
	s_or_b64 s[38:39], s[42:43], s[38:39]
	s_andn2_b64 exec, exec, s[38:39]
	s_cbranch_execnz .LBB1093_203
; %bb.206:
	s_or_b64 exec, exec, s[38:39]
.LBB1093_207:
	s_or_b64 exec, exec, s[36:37]
	v_and_b32_e32 v36, 63, v31
	v_mov_b32_e32 v19, 2
	v_cmp_ne_u32_e32 vcc, 63, v36
	v_cmp_eq_u16_sdwa s[36:37], v25, v19 src0_sel:BYTE_0 src1_sel:DWORD
	v_lshlrev_b64 v[22:23], v31, -1
	v_addc_co_u32_e32 v27, vcc, 0, v31, vcc
	v_and_b32_e32 v21, s37, v23
	v_lshlrev_b32_e32 v37, 2, v27
	v_or_b32_e32 v21, 0x80000000, v21
	ds_bpermute_b32 v27, v37, v24
	v_and_b32_e32 v26, s36, v22
	v_ffbl_b32_e32 v21, v21
	v_add_u32_e32 v21, 32, v21
	v_ffbl_b32_e32 v26, v26
	v_min_u32_e32 v21, v26, v21
	v_cmp_lt_u32_e32 vcc, v36, v21
	s_waitcnt lgkmcnt(0)
	v_cndmask_b32_e32 v26, 0, v27, vcc
	v_cmp_gt_u32_e32 vcc, 62, v36
	v_add_u32_e32 v24, v26, v24
	v_cndmask_b32_e64 v26, 0, 1, vcc
	v_lshlrev_b32_e32 v26, 1, v26
	v_add_lshl_u32 v38, v26, v31, 2
	ds_bpermute_b32 v26, v38, v24
	v_add_u32_e32 v39, 2, v36
	v_cmp_le_u32_e32 vcc, v39, v21
	v_add_u32_e32 v41, 4, v36
	v_add_u32_e32 v43, 8, v36
	s_waitcnt lgkmcnt(0)
	v_cndmask_b32_e32 v26, 0, v26, vcc
	v_cmp_gt_u32_e32 vcc, 60, v36
	v_add_u32_e32 v24, v24, v26
	v_cndmask_b32_e64 v26, 0, 1, vcc
	v_lshlrev_b32_e32 v26, 2, v26
	v_add_lshl_u32 v40, v26, v31, 2
	ds_bpermute_b32 v26, v40, v24
	v_cmp_le_u32_e32 vcc, v41, v21
	v_add_u32_e32 v46, 16, v36
	v_add_u32_e32 v48, 32, v36
	s_waitcnt lgkmcnt(0)
	v_cndmask_b32_e32 v26, 0, v26, vcc
	v_cmp_gt_u32_e32 vcc, 56, v36
	v_add_u32_e32 v24, v24, v26
	v_cndmask_b32_e64 v26, 0, 1, vcc
	v_lshlrev_b32_e32 v26, 3, v26
	v_add_lshl_u32 v42, v26, v31, 2
	ds_bpermute_b32 v26, v42, v24
	v_cmp_le_u32_e32 vcc, v43, v21
	s_waitcnt lgkmcnt(0)
	v_cndmask_b32_e32 v26, 0, v26, vcc
	v_cmp_gt_u32_e32 vcc, 48, v36
	v_add_u32_e32 v24, v24, v26
	v_cndmask_b32_e64 v26, 0, 1, vcc
	v_lshlrev_b32_e32 v26, 4, v26
	v_add_lshl_u32 v45, v26, v31, 2
	ds_bpermute_b32 v26, v45, v24
	v_cmp_le_u32_e32 vcc, v46, v21
	;; [unrolled: 9-line block ×3, first 2 shown]
	s_waitcnt lgkmcnt(0)
	v_cndmask_b32_e32 v21, 0, v26, vcc
	v_add_u32_e32 v24, v24, v21
	v_mov_b32_e32 v21, 0
	s_branch .LBB1093_209
.LBB1093_208:                           ;   in Loop: Header=BB1093_209 Depth=1
	s_or_b64 exec, exec, s[36:37]
	v_cmp_eq_u16_sdwa s[36:37], v25, v19 src0_sel:BYTE_0 src1_sel:DWORD
	v_and_b32_e32 v26, s37, v23
	v_or_b32_e32 v26, 0x80000000, v26
	ds_bpermute_b32 v49, v37, v24
	v_and_b32_e32 v27, s36, v22
	v_ffbl_b32_e32 v26, v26
	v_add_u32_e32 v26, 32, v26
	v_ffbl_b32_e32 v27, v27
	v_min_u32_e32 v26, v27, v26
	v_cmp_lt_u32_e32 vcc, v36, v26
	s_waitcnt lgkmcnt(0)
	v_cndmask_b32_e32 v27, 0, v49, vcc
	v_add_u32_e32 v24, v27, v24
	ds_bpermute_b32 v27, v38, v24
	v_cmp_le_u32_e32 vcc, v39, v26
	v_subrev_u32_e32 v20, 64, v20
	s_waitcnt lgkmcnt(0)
	v_cndmask_b32_e32 v27, 0, v27, vcc
	v_add_u32_e32 v24, v24, v27
	ds_bpermute_b32 v27, v40, v24
	v_cmp_le_u32_e32 vcc, v41, v26
	s_waitcnt lgkmcnt(0)
	v_cndmask_b32_e32 v27, 0, v27, vcc
	v_add_u32_e32 v24, v24, v27
	ds_bpermute_b32 v27, v42, v24
	v_cmp_le_u32_e32 vcc, v43, v26
	;; [unrolled: 5-line block ×4, first 2 shown]
	s_waitcnt lgkmcnt(0)
	v_cndmask_b32_e32 v26, 0, v27, vcc
	v_add3_u32 v24, v26, v44, v24
.LBB1093_209:                           ; =>This Loop Header: Depth=1
                                        ;     Child Loop BB1093_212 Depth 2
                                        ;       Child Loop BB1093_213 Depth 3
	v_cmp_ne_u16_sdwa s[36:37], v25, v19 src0_sel:BYTE_0 src1_sel:DWORD
	v_cndmask_b32_e64 v25, 0, 1, s[36:37]
	;;#ASMSTART
	;;#ASMEND
	v_cmp_ne_u32_e32 vcc, 0, v25
	s_cmp_lg_u64 vcc, exec
	v_mov_b32_e32 v44, v24
	s_cbranch_scc1 .LBB1093_216
; %bb.210:                              ;   in Loop: Header=BB1093_209 Depth=1
	v_lshlrev_b64 v[24:25], 3, v[20:21]
	v_mov_b32_e32 v27, s19
	v_add_co_u32_e32 v26, vcc, s18, v24
	v_addc_co_u32_e32 v27, vcc, v27, v25, vcc
	global_load_dwordx2 v[24:25], v[26:27], off glc
	s_waitcnt vmcnt(0)
	v_cmp_eq_u16_sdwa s[38:39], v25, v21 src0_sel:BYTE_0 src1_sel:DWORD
	s_and_saveexec_b64 s[36:37], s[38:39]
	s_cbranch_execz .LBB1093_208
; %bb.211:                              ;   in Loop: Header=BB1093_209 Depth=1
	s_mov_b32 s40, 1
	s_mov_b64 s[38:39], 0
.LBB1093_212:                           ;   Parent Loop BB1093_209 Depth=1
                                        ; =>  This Loop Header: Depth=2
                                        ;       Child Loop BB1093_213 Depth 3
	s_max_u32 s41, s40, 1
.LBB1093_213:                           ;   Parent Loop BB1093_209 Depth=1
                                        ;     Parent Loop BB1093_212 Depth=2
                                        ; =>    This Inner Loop Header: Depth=3
	s_add_i32 s41, s41, -1
	s_cmp_eq_u32 s41, 0
	s_sleep 1
	s_cbranch_scc0 .LBB1093_213
; %bb.214:                              ;   in Loop: Header=BB1093_212 Depth=2
	global_load_dwordx2 v[24:25], v[26:27], off glc
	s_cmp_lt_u32 s40, 32
	s_cselect_b64 s[42:43], -1, 0
	s_cmp_lg_u64 s[42:43], 0
	s_addc_u32 s40, s40, 0
	s_waitcnt vmcnt(0)
	v_cmp_ne_u16_sdwa s[42:43], v25, v21 src0_sel:BYTE_0 src1_sel:DWORD
	s_or_b64 s[38:39], s[42:43], s[38:39]
	s_andn2_b64 exec, exec, s[38:39]
	s_cbranch_execnz .LBB1093_212
; %bb.215:                              ;   in Loop: Header=BB1093_209 Depth=1
	s_or_b64 exec, exec, s[38:39]
	s_branch .LBB1093_208
.LBB1093_216:                           ;   in Loop: Header=BB1093_209 Depth=1
                                        ; implicit-def: $vgpr24
                                        ; implicit-def: $vgpr25
	s_cbranch_execz .LBB1093_209
; %bb.217:
	s_and_saveexec_b64 s[36:37], s[16:17]
	s_cbranch_execz .LBB1093_219
; %bb.218:
	s_add_i32 s38, s33, 64
	s_mov_b32 s39, 0
	s_lshl_b64 s[38:39], s[38:39], 3
	s_add_u32 s38, s18, s38
	v_add_u32_e32 v20, v44, v18
	v_mov_b32_e32 v21, 2
	s_addc_u32 s39, s19, s39
	v_mov_b32_e32 v19, 0
	s_movk_i32 s33, 0x1000
	global_store_dwordx2 v19, v[20:21], s[38:39]
	v_add_u32_e64 v19, s33, 0
	ds_write2_b32 v19, v18, v44 offset0:32 offset1:34
.LBB1093_219:
	s_or_b64 exec, exec, s[36:37]
	s_and_b64 exec, exec, s[0:1]
	s_cbranch_execz .LBB1093_221
; %bb.220:
	v_mov_b32_e32 v18, 0
	ds_write_b32 v18, v44 offset:4
.LBB1093_221:
	s_or_b64 exec, exec, s[26:27]
	v_mov_b32_e32 v19, 0
	s_waitcnt lgkmcnt(0)
	s_barrier
	ds_read_b32 v19, v19 offset:4
	v_cndmask_b32_e64 v18, v35, v34, s[16:17]
	s_movk_i32 s16, 0x1000
	v_add_u32_e64 v20, s16, 0
	s_waitcnt lgkmcnt(0)
	s_barrier
	ds_read2_b32 v[26:27], v20 offset0:32 offset1:34
	v_cndmask_b32_e64 v18, v18, 0, s[0:1]
	v_add_u32_e32 v24, v19, v18
	v_add_u32_sdwa v22, v24, v28 dst_sel:DWORD dst_unused:UNUSED_PAD src0_sel:DWORD src1_sel:BYTE_0
	v_add_u32_sdwa v20, v22, v28 dst_sel:DWORD dst_unused:UNUSED_PAD src0_sel:DWORD src1_sel:BYTE_1
	v_add_u32_e32 v18, v20, v30
	s_waitcnt lgkmcnt(0)
	v_readfirstlane_b32 s33, v26
	v_readfirstlane_b32 s16, v27
	s_branch .LBB1093_232
.LBB1093_222:
                                        ; implicit-def: $vgpr18
                                        ; implicit-def: $vgpr20
                                        ; implicit-def: $vgpr22
                                        ; implicit-def: $vgpr24
                                        ; implicit-def: $sgpr16
                                        ; implicit-def: $sgpr33
	s_cbranch_execz .LBB1093_232
; %bb.223:
	s_nop 0
	v_mov_b32_dpp v18, v33 row_shr:1 row_mask:0xf bank_mask:0xf
	v_cndmask_b32_e64 v18, v18, 0, s[14:15]
	v_add_u32_e32 v18, v18, v33
	s_nop 1
	v_mov_b32_dpp v19, v18 row_shr:2 row_mask:0xf bank_mask:0xf
	v_cndmask_b32_e64 v19, 0, v19, s[12:13]
	v_add_u32_e32 v18, v18, v19
	s_nop 1
	v_mov_b32_dpp v19, v18 row_shr:4 row_mask:0xf bank_mask:0xf
	v_cndmask_b32_e64 v19, 0, v19, s[10:11]
	v_add_u32_e32 v18, v18, v19
	s_nop 1
	v_mov_b32_dpp v19, v18 row_shr:8 row_mask:0xf bank_mask:0xf
	v_cndmask_b32_e64 v19, 0, v19, s[8:9]
	v_add_u32_e32 v18, v18, v19
	s_nop 1
	v_mov_b32_dpp v19, v18 row_bcast:15 row_mask:0xf bank_mask:0xf
	v_cndmask_b32_e64 v19, v19, 0, s[6:7]
	v_add_u32_e32 v18, v18, v19
	s_nop 1
	v_mov_b32_dpp v19, v18 row_bcast:31 row_mask:0xf bank_mask:0xf
	v_cndmask_b32_e64 v19, 0, v19, s[2:3]
	v_add_u32_e32 v18, v18, v19
	s_and_saveexec_b64 s[2:3], s[4:5]
	s_cbranch_execz .LBB1093_225
; %bb.224:
	v_lshlrev_b32_e32 v19, 2, v32
	ds_write_b32 v19, v18
.LBB1093_225:
	s_or_b64 exec, exec, s[2:3]
	v_cmp_gt_u32_e32 vcc, 2, v0
	s_waitcnt lgkmcnt(0)
	s_barrier
	s_and_saveexec_b64 s[2:3], vcc
	s_cbranch_execz .LBB1093_227
; %bb.226:
	ds_read_b32 v19, v1
	v_bfe_i32 v20, v31, 0, 1
	s_waitcnt lgkmcnt(0)
	v_mov_b32_dpp v21, v19 row_shr:1 row_mask:0xf bank_mask:0xf
	v_and_b32_e32 v20, v20, v21
	v_add_u32_e32 v19, v20, v19
	ds_write_b32 v1, v19
.LBB1093_227:
	s_or_b64 exec, exec, s[2:3]
	v_cmp_lt_u32_e32 vcc, 63, v0
	v_mov_b32_e32 v19, 0
	v_mov_b32_e32 v1, 0
	s_waitcnt lgkmcnt(0)
	s_barrier
	s_and_saveexec_b64 s[2:3], vcc
	s_cbranch_execz .LBB1093_229
; %bb.228:
	v_lshl_add_u32 v1, v32, 2, -4
	ds_read_b32 v1, v1
.LBB1093_229:
	s_or_b64 exec, exec, s[2:3]
	v_add_u32_e32 v20, -1, v31
	v_and_b32_e32 v21, 64, v31
	v_cmp_lt_i32_e32 vcc, v20, v21
	v_cndmask_b32_e32 v20, v20, v31, vcc
	s_waitcnt lgkmcnt(0)
	v_add_u32_e32 v18, v1, v18
	v_lshlrev_b32_e32 v20, 2, v20
	ds_read_b32 v19, v19 offset:4
	ds_bpermute_b32 v18, v20, v18
	s_waitcnt lgkmcnt(1)
	v_readfirstlane_b32 s33, v19
	s_and_saveexec_b64 s[2:3], s[0:1]
	s_cbranch_execz .LBB1093_231
; %bb.230:
	v_mov_b32_e32 v19, 0
	v_mov_b32_e32 v20, s33
	;; [unrolled: 1-line block ×3, first 2 shown]
	global_store_dwordx2 v19, v[20:21], s[18:19] offset:512
.LBB1093_231:
	s_or_b64 exec, exec, s[2:3]
	v_cmp_eq_u32_e32 vcc, 0, v31
	s_waitcnt lgkmcnt(0)
	v_cndmask_b32_e32 v1, v18, v1, vcc
	v_cndmask_b32_e64 v24, v1, 0, s[0:1]
	v_add_u32_sdwa v22, v24, v28 dst_sel:DWORD dst_unused:UNUSED_PAD src0_sel:DWORD src1_sel:BYTE_0
	v_add_u32_sdwa v20, v22, v28 dst_sel:DWORD dst_unused:UNUSED_PAD src0_sel:DWORD src1_sel:BYTE_1
	s_mov_b32 s16, 0
	v_add_u32_e32 v18, v20, v30
	s_barrier
.LBB1093_232:
	s_cmpk_lt_u32 s33, 0x81
	s_cselect_b64 s[4:5], -1, 0
	v_lshrrev_b32_e32 v1, 8, v28
	s_mov_b64 s[2:3], -1
	s_and_b64 vcc, exec, s[4:5]
	s_cbranch_vccz .LBB1093_246
; %bb.233:
	s_add_i32 s6, s16, s33
	v_cmp_gt_u32_e32 vcc, s6, v24
	s_or_b64 s[8:9], s[34:35], vcc
	s_and_saveexec_b64 s[2:3], s[8:9]
	s_cbranch_execz .LBB1093_236
; %bb.234:
	v_and_b32_e32 v19, 1, v28
	v_cmp_eq_u32_e32 vcc, 1, v19
	s_and_b64 exec, exec, vcc
	s_cbranch_execz .LBB1093_236
; %bb.235:
	s_lshl_b64 s[8:9], s[22:23], 3
	s_add_u32 s7, s28, s8
	v_mov_b32_e32 v25, 0
	s_addc_u32 s8, s29, s9
	v_lshlrev_b64 v[26:27], 3, v[24:25]
	v_mov_b32_e32 v19, s8
	v_add_co_u32_e32 v26, vcc, s7, v26
	v_addc_co_u32_e32 v27, vcc, v19, v27, vcc
	global_store_dwordx2 v[26:27], v[14:15], off
.LBB1093_236:
	s_or_b64 exec, exec, s[2:3]
	v_cmp_gt_u32_e32 vcc, s6, v22
	s_or_b64 s[8:9], s[34:35], vcc
	s_and_saveexec_b64 s[2:3], s[8:9]
	s_cbranch_execz .LBB1093_239
; %bb.237:
	v_and_b32_e32 v19, 1, v1
	v_cmp_eq_u32_e32 vcc, 1, v19
	s_and_b64 exec, exec, vcc
	s_cbranch_execz .LBB1093_239
; %bb.238:
	s_lshl_b64 s[8:9], s[22:23], 3
	s_add_u32 s7, s28, s8
	v_mov_b32_e32 v23, 0
	s_addc_u32 s8, s29, s9
	v_lshlrev_b64 v[26:27], 3, v[22:23]
	v_mov_b32_e32 v19, s8
	v_add_co_u32_e32 v26, vcc, s7, v26
	v_addc_co_u32_e32 v27, vcc, v19, v27, vcc
	global_store_dwordx2 v[26:27], v[16:17], off
.LBB1093_239:
	s_or_b64 exec, exec, s[2:3]
	v_cmp_gt_u32_e32 vcc, s6, v20
	s_or_b64 s[8:9], s[34:35], vcc
	s_and_saveexec_b64 s[2:3], s[8:9]
	s_cbranch_execz .LBB1093_242
; %bb.240:
	v_mov_b32_e32 v19, 1
	v_and_b32_sdwa v19, v19, v28 dst_sel:DWORD dst_unused:UNUSED_PAD src0_sel:DWORD src1_sel:WORD_1
	v_cmp_eq_u32_e32 vcc, 1, v19
	s_and_b64 exec, exec, vcc
	s_cbranch_execz .LBB1093_242
; %bb.241:
	s_lshl_b64 s[8:9], s[22:23], 3
	s_add_u32 s7, s28, s8
	v_mov_b32_e32 v21, 0
	s_addc_u32 s8, s29, s9
	v_lshlrev_b64 v[26:27], 3, v[20:21]
	v_mov_b32_e32 v19, s8
	v_add_co_u32_e32 v26, vcc, s7, v26
	v_addc_co_u32_e32 v27, vcc, v19, v27, vcc
	global_store_dwordx2 v[26:27], v[10:11], off
.LBB1093_242:
	s_or_b64 exec, exec, s[2:3]
	v_cmp_gt_u32_e32 vcc, s6, v18
	s_or_b64 s[6:7], s[34:35], vcc
	s_and_saveexec_b64 s[2:3], s[6:7]
	s_cbranch_execz .LBB1093_245
; %bb.243:
	v_and_b32_e32 v19, 1, v29
	v_cmp_eq_u32_e32 vcc, 1, v19
	s_and_b64 exec, exec, vcc
	s_cbranch_execz .LBB1093_245
; %bb.244:
	s_lshl_b64 s[6:7], s[22:23], 3
	s_add_u32 s6, s28, s6
	v_mov_b32_e32 v19, 0
	s_addc_u32 s7, s29, s7
	v_lshlrev_b64 v[26:27], 3, v[18:19]
	v_mov_b32_e32 v19, s7
	v_add_co_u32_e32 v26, vcc, s6, v26
	v_addc_co_u32_e32 v27, vcc, v19, v27, vcc
	global_store_dwordx2 v[26:27], v[12:13], off
.LBB1093_245:
	s_or_b64 exec, exec, s[2:3]
	s_mov_b64 s[2:3], 0
.LBB1093_246:
	v_and_b32_e32 v26, 1, v28
	s_and_b64 vcc, exec, s[2:3]
	v_cmp_eq_u32_e64 s[2:3], 1, v26
	s_cbranch_vccz .LBB1093_259
; %bb.247:
	s_and_saveexec_b64 s[6:7], s[2:3]
	s_cbranch_execz .LBB1093_249
; %bb.248:
	v_subrev_u32_e32 v19, s16, v24
	v_lshlrev_b32_e32 v19, 3, v19
	ds_write_b64 v19, v[14:15]
.LBB1093_249:
	s_or_b64 exec, exec, s[6:7]
	v_and_b32_e32 v14, 1, v1
	v_cmp_eq_u32_e32 vcc, 1, v14
	s_and_saveexec_b64 s[2:3], vcc
	s_cbranch_execz .LBB1093_251
; %bb.250:
	v_subrev_u32_e32 v14, s16, v22
	v_lshlrev_b32_e32 v14, 3, v14
	ds_write_b64 v14, v[16:17]
.LBB1093_251:
	s_or_b64 exec, exec, s[2:3]
	v_mov_b32_e32 v14, 1
	v_and_b32_sdwa v14, v14, v28 dst_sel:DWORD dst_unused:UNUSED_PAD src0_sel:DWORD src1_sel:WORD_1
	v_cmp_eq_u32_e32 vcc, 1, v14
	s_and_saveexec_b64 s[2:3], vcc
	s_cbranch_execz .LBB1093_253
; %bb.252:
	v_subrev_u32_e32 v14, s16, v20
	v_lshlrev_b32_e32 v14, 3, v14
	ds_write_b64 v14, v[10:11]
.LBB1093_253:
	s_or_b64 exec, exec, s[2:3]
	v_and_b32_e32 v10, 1, v29
	v_cmp_eq_u32_e32 vcc, 1, v10
	s_and_saveexec_b64 s[2:3], vcc
	s_cbranch_execz .LBB1093_255
; %bb.254:
	v_subrev_u32_e32 v10, s16, v18
	v_lshlrev_b32_e32 v10, 3, v10
	ds_write_b64 v10, v[12:13]
.LBB1093_255:
	s_or_b64 exec, exec, s[2:3]
	v_cmp_gt_u32_e32 vcc, s33, v0
	s_waitcnt lgkmcnt(0)
	s_barrier
	s_and_saveexec_b64 s[2:3], vcc
	s_cbranch_execz .LBB1093_258
; %bb.256:
	s_mov_b32 s17, 0
	s_lshl_b64 s[6:7], s[16:17], 3
	s_add_u32 s8, s28, s6
	s_addc_u32 s9, s29, s7
	s_lshl_b64 s[6:7], s[22:23], 3
	s_add_u32 s8, s8, s6
	s_addc_u32 s9, s9, s7
	v_lshlrev_b32_e32 v12, 3, v0
	s_mov_b64 s[6:7], 0
	v_mov_b32_e32 v11, 0
	v_mov_b32_e32 v13, s9
	;; [unrolled: 1-line block ×3, first 2 shown]
.LBB1093_257:                           ; =>This Inner Loop Header: Depth=1
	ds_read_b64 v[14:15], v12
	v_lshlrev_b64 v[16:17], 3, v[10:11]
	v_add_co_u32_e32 v16, vcc, s8, v16
	v_add_u32_e32 v10, 0x80, v10
	v_addc_co_u32_e32 v17, vcc, v13, v17, vcc
	v_cmp_le_u32_e32 vcc, s33, v10
	v_add_u32_e32 v12, 0x400, v12
	s_or_b64 s[6:7], vcc, s[6:7]
	s_waitcnt lgkmcnt(0)
	global_store_dwordx2 v[16:17], v[14:15], off
	s_andn2_b64 exec, exec, s[6:7]
	s_cbranch_execnz .LBB1093_257
.LBB1093_258:
	s_or_b64 exec, exec, s[2:3]
.LBB1093_259:
	s_mov_b64 s[2:3], -1
	s_and_b64 vcc, exec, s[4:5]
	s_barrier
	s_cbranch_vccnz .LBB1093_263
; %bb.260:
	s_and_b64 vcc, exec, s[2:3]
	s_cbranch_vccnz .LBB1093_276
.LBB1093_261:
	s_and_b64 s[0:1], s[0:1], s[24:25]
	s_and_saveexec_b64 s[2:3], s[0:1]
	s_cbranch_execnz .LBB1093_288
.LBB1093_262:
	s_endpgm
.LBB1093_263:
	s_add_i32 s4, s16, s33
	v_cmp_gt_u32_e32 vcc, s4, v24
	s_or_b64 s[6:7], s[34:35], vcc
	s_and_saveexec_b64 s[2:3], s[6:7]
	s_cbranch_execz .LBB1093_266
; %bb.264:
	v_cmp_eq_u32_e32 vcc, 1, v26
	s_and_b64 exec, exec, vcc
	s_cbranch_execz .LBB1093_266
; %bb.265:
	s_lshl_b64 s[6:7], s[22:23], 3
	s_add_u32 s5, s30, s6
	v_mov_b32_e32 v25, 0
	s_addc_u32 s6, s31, s7
	v_lshlrev_b64 v[10:11], 3, v[24:25]
	v_mov_b32_e32 v12, s6
	v_add_co_u32_e32 v10, vcc, s5, v10
	v_addc_co_u32_e32 v11, vcc, v12, v11, vcc
	global_store_dwordx2 v[10:11], v[6:7], off
.LBB1093_266:
	s_or_b64 exec, exec, s[2:3]
	v_cmp_gt_u32_e32 vcc, s4, v22
	s_or_b64 s[6:7], s[34:35], vcc
	s_and_saveexec_b64 s[2:3], s[6:7]
	s_cbranch_execz .LBB1093_269
; %bb.267:
	v_and_b32_e32 v10, 1, v1
	v_cmp_eq_u32_e32 vcc, 1, v10
	s_and_b64 exec, exec, vcc
	s_cbranch_execz .LBB1093_269
; %bb.268:
	s_lshl_b64 s[6:7], s[22:23], 3
	s_add_u32 s5, s30, s6
	v_mov_b32_e32 v23, 0
	s_addc_u32 s6, s31, s7
	v_lshlrev_b64 v[10:11], 3, v[22:23]
	v_mov_b32_e32 v12, s6
	v_add_co_u32_e32 v10, vcc, s5, v10
	v_addc_co_u32_e32 v11, vcc, v12, v11, vcc
	global_store_dwordx2 v[10:11], v[8:9], off
.LBB1093_269:
	s_or_b64 exec, exec, s[2:3]
	v_cmp_gt_u32_e32 vcc, s4, v20
	s_or_b64 s[6:7], s[34:35], vcc
	s_and_saveexec_b64 s[2:3], s[6:7]
	s_cbranch_execz .LBB1093_272
; %bb.270:
	v_mov_b32_e32 v10, 1
	v_and_b32_sdwa v10, v10, v28 dst_sel:DWORD dst_unused:UNUSED_PAD src0_sel:DWORD src1_sel:WORD_1
	v_cmp_eq_u32_e32 vcc, 1, v10
	s_and_b64 exec, exec, vcc
	s_cbranch_execz .LBB1093_272
; %bb.271:
	s_lshl_b64 s[6:7], s[22:23], 3
	s_add_u32 s5, s30, s6
	v_mov_b32_e32 v21, 0
	s_addc_u32 s6, s31, s7
	v_lshlrev_b64 v[10:11], 3, v[20:21]
	v_mov_b32_e32 v12, s6
	v_add_co_u32_e32 v10, vcc, s5, v10
	v_addc_co_u32_e32 v11, vcc, v12, v11, vcc
	global_store_dwordx2 v[10:11], v[2:3], off
.LBB1093_272:
	s_or_b64 exec, exec, s[2:3]
	v_cmp_gt_u32_e32 vcc, s4, v18
	s_or_b64 s[4:5], s[34:35], vcc
	s_and_saveexec_b64 s[2:3], s[4:5]
	s_cbranch_execz .LBB1093_275
; %bb.273:
	v_and_b32_e32 v10, 1, v29
	v_cmp_eq_u32_e32 vcc, 1, v10
	s_and_b64 exec, exec, vcc
	s_cbranch_execz .LBB1093_275
; %bb.274:
	s_lshl_b64 s[4:5], s[22:23], 3
	s_add_u32 s4, s30, s4
	v_mov_b32_e32 v19, 0
	s_addc_u32 s5, s31, s5
	v_lshlrev_b64 v[10:11], 3, v[18:19]
	v_mov_b32_e32 v12, s5
	v_add_co_u32_e32 v10, vcc, s4, v10
	v_addc_co_u32_e32 v11, vcc, v12, v11, vcc
	global_store_dwordx2 v[10:11], v[4:5], off
.LBB1093_275:
	s_or_b64 exec, exec, s[2:3]
	s_branch .LBB1093_261
.LBB1093_276:
	v_cmp_eq_u32_e32 vcc, 1, v26
	s_and_saveexec_b64 s[2:3], vcc
	s_cbranch_execz .LBB1093_278
; %bb.277:
	v_subrev_u32_e32 v10, s16, v24
	v_lshlrev_b32_e32 v10, 3, v10
	ds_write_b64 v10, v[6:7]
.LBB1093_278:
	s_or_b64 exec, exec, s[2:3]
	v_and_b32_e32 v1, 1, v1
	v_cmp_eq_u32_e32 vcc, 1, v1
	s_and_saveexec_b64 s[2:3], vcc
	s_cbranch_execz .LBB1093_280
; %bb.279:
	v_subrev_u32_e32 v1, s16, v22
	v_lshlrev_b32_e32 v1, 3, v1
	ds_write_b64 v1, v[8:9]
.LBB1093_280:
	s_or_b64 exec, exec, s[2:3]
	v_mov_b32_e32 v1, 1
	v_and_b32_sdwa v1, v1, v28 dst_sel:DWORD dst_unused:UNUSED_PAD src0_sel:DWORD src1_sel:WORD_1
	v_cmp_eq_u32_e32 vcc, 1, v1
	s_and_saveexec_b64 s[2:3], vcc
	s_cbranch_execz .LBB1093_282
; %bb.281:
	v_subrev_u32_e32 v1, s16, v20
	v_lshlrev_b32_e32 v1, 3, v1
	ds_write_b64 v1, v[2:3]
.LBB1093_282:
	s_or_b64 exec, exec, s[2:3]
	v_and_b32_e32 v1, 1, v29
	v_cmp_eq_u32_e32 vcc, 1, v1
	s_and_saveexec_b64 s[2:3], vcc
	s_cbranch_execz .LBB1093_284
; %bb.283:
	v_subrev_u32_e32 v1, s16, v18
	v_lshlrev_b32_e32 v1, 3, v1
	ds_write_b64 v1, v[4:5]
.LBB1093_284:
	s_or_b64 exec, exec, s[2:3]
	v_cmp_gt_u32_e32 vcc, s33, v0
	s_waitcnt lgkmcnt(0)
	s_barrier
	s_and_saveexec_b64 s[2:3], vcc
	s_cbranch_execz .LBB1093_287
; %bb.285:
	s_mov_b32 s17, 0
	s_lshl_b64 s[4:5], s[16:17], 3
	s_add_u32 s6, s30, s4
	s_addc_u32 s7, s31, s5
	s_lshl_b64 s[4:5], s[22:23], 3
	s_add_u32 s6, s6, s4
	s_addc_u32 s7, s7, s5
	v_lshlrev_b32_e32 v2, 3, v0
	s_mov_b64 s[4:5], 0
	v_mov_b32_e32 v1, 0
	v_mov_b32_e32 v3, s7
.LBB1093_286:                           ; =>This Inner Loop Header: Depth=1
	ds_read_b64 v[4:5], v2
	v_lshlrev_b64 v[6:7], 3, v[0:1]
	v_add_co_u32_e32 v6, vcc, s6, v6
	v_add_u32_e32 v0, 0x80, v0
	v_addc_co_u32_e32 v7, vcc, v3, v7, vcc
	v_cmp_le_u32_e32 vcc, s33, v0
	v_add_u32_e32 v2, 0x400, v2
	s_or_b64 s[4:5], vcc, s[4:5]
	s_waitcnt lgkmcnt(0)
	global_store_dwordx2 v[6:7], v[4:5], off
	s_andn2_b64 exec, exec, s[4:5]
	s_cbranch_execnz .LBB1093_286
.LBB1093_287:
	s_or_b64 exec, exec, s[2:3]
	s_and_b64 s[0:1], s[0:1], s[24:25]
	s_and_saveexec_b64 s[2:3], s[0:1]
	s_cbranch_execz .LBB1093_262
.LBB1093_288:
	s_add_u32 s0, s22, s33
	s_addc_u32 s1, s23, 0
	s_add_u32 s0, s0, s16
	s_addc_u32 s1, s1, 0
	v_mov_b32_e32 v2, 0
	v_pk_mov_b32 v[0:1], s[0:1], s[0:1] op_sel:[0,1]
	global_store_dwordx2 v2, v[0:1], s[20:21]
	s_endpgm
	.section	.rodata,"a",@progbits
	.p2align	6, 0x0
	.amdhsa_kernel _ZN7rocprim17ROCPRIM_400000_NS6detail17trampoline_kernelINS0_14default_configENS1_25partition_config_selectorILNS1_17partition_subalgoE9EllbEEZZNS1_14partition_implILS5_9ELb0ES3_jPlS8_PNS0_10empty_typeENS0_5tupleIJS8_S9_EEENSB_IJS8_SA_EEENS0_18inequality_wrapperIZN2at6native12_GLOBAL__N_124unique_dim_cuda_templateIbEESt5tupleIJNSF_6TensorESK_SK_EERKSK_lbbbEUlllE0_EEPmJS9_EEE10hipError_tPvRmT3_T4_T5_T6_T7_T9_mT8_P12ihipStream_tbDpT10_ENKUlT_T0_E_clISt17integral_constantIbLb1EES1A_EEDaS15_S16_EUlS15_E_NS1_11comp_targetILNS1_3genE4ELNS1_11target_archE910ELNS1_3gpuE8ELNS1_3repE0EEENS1_30default_config_static_selectorELNS0_4arch9wavefront6targetE1EEEvT1_
		.amdhsa_group_segment_fixed_size 4236
		.amdhsa_private_segment_fixed_size 0
		.amdhsa_kernarg_size 136
		.amdhsa_user_sgpr_count 6
		.amdhsa_user_sgpr_private_segment_buffer 1
		.amdhsa_user_sgpr_dispatch_ptr 0
		.amdhsa_user_sgpr_queue_ptr 0
		.amdhsa_user_sgpr_kernarg_segment_ptr 1
		.amdhsa_user_sgpr_dispatch_id 0
		.amdhsa_user_sgpr_flat_scratch_init 0
		.amdhsa_user_sgpr_kernarg_preload_length 0
		.amdhsa_user_sgpr_kernarg_preload_offset 0
		.amdhsa_user_sgpr_private_segment_size 0
		.amdhsa_uses_dynamic_stack 0
		.amdhsa_system_sgpr_private_segment_wavefront_offset 0
		.amdhsa_system_sgpr_workgroup_id_x 1
		.amdhsa_system_sgpr_workgroup_id_y 0
		.amdhsa_system_sgpr_workgroup_id_z 0
		.amdhsa_system_sgpr_workgroup_info 0
		.amdhsa_system_vgpr_workitem_id 0
		.amdhsa_next_free_vgpr 50
		.amdhsa_next_free_sgpr 52
		.amdhsa_accum_offset 52
		.amdhsa_reserve_vcc 1
		.amdhsa_reserve_flat_scratch 0
		.amdhsa_float_round_mode_32 0
		.amdhsa_float_round_mode_16_64 0
		.amdhsa_float_denorm_mode_32 3
		.amdhsa_float_denorm_mode_16_64 3
		.amdhsa_dx10_clamp 1
		.amdhsa_ieee_mode 1
		.amdhsa_fp16_overflow 0
		.amdhsa_tg_split 0
		.amdhsa_exception_fp_ieee_invalid_op 0
		.amdhsa_exception_fp_denorm_src 0
		.amdhsa_exception_fp_ieee_div_zero 0
		.amdhsa_exception_fp_ieee_overflow 0
		.amdhsa_exception_fp_ieee_underflow 0
		.amdhsa_exception_fp_ieee_inexact 0
		.amdhsa_exception_int_div_zero 0
	.end_amdhsa_kernel
	.section	.text._ZN7rocprim17ROCPRIM_400000_NS6detail17trampoline_kernelINS0_14default_configENS1_25partition_config_selectorILNS1_17partition_subalgoE9EllbEEZZNS1_14partition_implILS5_9ELb0ES3_jPlS8_PNS0_10empty_typeENS0_5tupleIJS8_S9_EEENSB_IJS8_SA_EEENS0_18inequality_wrapperIZN2at6native12_GLOBAL__N_124unique_dim_cuda_templateIbEESt5tupleIJNSF_6TensorESK_SK_EERKSK_lbbbEUlllE0_EEPmJS9_EEE10hipError_tPvRmT3_T4_T5_T6_T7_T9_mT8_P12ihipStream_tbDpT10_ENKUlT_T0_E_clISt17integral_constantIbLb1EES1A_EEDaS15_S16_EUlS15_E_NS1_11comp_targetILNS1_3genE4ELNS1_11target_archE910ELNS1_3gpuE8ELNS1_3repE0EEENS1_30default_config_static_selectorELNS0_4arch9wavefront6targetE1EEEvT1_,"axG",@progbits,_ZN7rocprim17ROCPRIM_400000_NS6detail17trampoline_kernelINS0_14default_configENS1_25partition_config_selectorILNS1_17partition_subalgoE9EllbEEZZNS1_14partition_implILS5_9ELb0ES3_jPlS8_PNS0_10empty_typeENS0_5tupleIJS8_S9_EEENSB_IJS8_SA_EEENS0_18inequality_wrapperIZN2at6native12_GLOBAL__N_124unique_dim_cuda_templateIbEESt5tupleIJNSF_6TensorESK_SK_EERKSK_lbbbEUlllE0_EEPmJS9_EEE10hipError_tPvRmT3_T4_T5_T6_T7_T9_mT8_P12ihipStream_tbDpT10_ENKUlT_T0_E_clISt17integral_constantIbLb1EES1A_EEDaS15_S16_EUlS15_E_NS1_11comp_targetILNS1_3genE4ELNS1_11target_archE910ELNS1_3gpuE8ELNS1_3repE0EEENS1_30default_config_static_selectorELNS0_4arch9wavefront6targetE1EEEvT1_,comdat
.Lfunc_end1093:
	.size	_ZN7rocprim17ROCPRIM_400000_NS6detail17trampoline_kernelINS0_14default_configENS1_25partition_config_selectorILNS1_17partition_subalgoE9EllbEEZZNS1_14partition_implILS5_9ELb0ES3_jPlS8_PNS0_10empty_typeENS0_5tupleIJS8_S9_EEENSB_IJS8_SA_EEENS0_18inequality_wrapperIZN2at6native12_GLOBAL__N_124unique_dim_cuda_templateIbEESt5tupleIJNSF_6TensorESK_SK_EERKSK_lbbbEUlllE0_EEPmJS9_EEE10hipError_tPvRmT3_T4_T5_T6_T7_T9_mT8_P12ihipStream_tbDpT10_ENKUlT_T0_E_clISt17integral_constantIbLb1EES1A_EEDaS15_S16_EUlS15_E_NS1_11comp_targetILNS1_3genE4ELNS1_11target_archE910ELNS1_3gpuE8ELNS1_3repE0EEENS1_30default_config_static_selectorELNS0_4arch9wavefront6targetE1EEEvT1_, .Lfunc_end1093-_ZN7rocprim17ROCPRIM_400000_NS6detail17trampoline_kernelINS0_14default_configENS1_25partition_config_selectorILNS1_17partition_subalgoE9EllbEEZZNS1_14partition_implILS5_9ELb0ES3_jPlS8_PNS0_10empty_typeENS0_5tupleIJS8_S9_EEENSB_IJS8_SA_EEENS0_18inequality_wrapperIZN2at6native12_GLOBAL__N_124unique_dim_cuda_templateIbEESt5tupleIJNSF_6TensorESK_SK_EERKSK_lbbbEUlllE0_EEPmJS9_EEE10hipError_tPvRmT3_T4_T5_T6_T7_T9_mT8_P12ihipStream_tbDpT10_ENKUlT_T0_E_clISt17integral_constantIbLb1EES1A_EEDaS15_S16_EUlS15_E_NS1_11comp_targetILNS1_3genE4ELNS1_11target_archE910ELNS1_3gpuE8ELNS1_3repE0EEENS1_30default_config_static_selectorELNS0_4arch9wavefront6targetE1EEEvT1_
                                        ; -- End function
	.section	.AMDGPU.csdata,"",@progbits
; Kernel info:
; codeLenInByte = 10192
; NumSgprs: 56
; NumVgprs: 50
; NumAgprs: 0
; TotalNumVgprs: 50
; ScratchSize: 0
; MemoryBound: 0
; FloatMode: 240
; IeeeMode: 1
; LDSByteSize: 4236 bytes/workgroup (compile time only)
; SGPRBlocks: 6
; VGPRBlocks: 6
; NumSGPRsForWavesPerEU: 56
; NumVGPRsForWavesPerEU: 50
; AccumOffset: 52
; Occupancy: 8
; WaveLimiterHint : 1
; COMPUTE_PGM_RSRC2:SCRATCH_EN: 0
; COMPUTE_PGM_RSRC2:USER_SGPR: 6
; COMPUTE_PGM_RSRC2:TRAP_HANDLER: 0
; COMPUTE_PGM_RSRC2:TGID_X_EN: 1
; COMPUTE_PGM_RSRC2:TGID_Y_EN: 0
; COMPUTE_PGM_RSRC2:TGID_Z_EN: 0
; COMPUTE_PGM_RSRC2:TIDIG_COMP_CNT: 0
; COMPUTE_PGM_RSRC3_GFX90A:ACCUM_OFFSET: 12
; COMPUTE_PGM_RSRC3_GFX90A:TG_SPLIT: 0
	.section	.text._ZN7rocprim17ROCPRIM_400000_NS6detail17trampoline_kernelINS0_14default_configENS1_25partition_config_selectorILNS1_17partition_subalgoE9EllbEEZZNS1_14partition_implILS5_9ELb0ES3_jPlS8_PNS0_10empty_typeENS0_5tupleIJS8_S9_EEENSB_IJS8_SA_EEENS0_18inequality_wrapperIZN2at6native12_GLOBAL__N_124unique_dim_cuda_templateIbEESt5tupleIJNSF_6TensorESK_SK_EERKSK_lbbbEUlllE0_EEPmJS9_EEE10hipError_tPvRmT3_T4_T5_T6_T7_T9_mT8_P12ihipStream_tbDpT10_ENKUlT_T0_E_clISt17integral_constantIbLb1EES1A_EEDaS15_S16_EUlS15_E_NS1_11comp_targetILNS1_3genE3ELNS1_11target_archE908ELNS1_3gpuE7ELNS1_3repE0EEENS1_30default_config_static_selectorELNS0_4arch9wavefront6targetE1EEEvT1_,"axG",@progbits,_ZN7rocprim17ROCPRIM_400000_NS6detail17trampoline_kernelINS0_14default_configENS1_25partition_config_selectorILNS1_17partition_subalgoE9EllbEEZZNS1_14partition_implILS5_9ELb0ES3_jPlS8_PNS0_10empty_typeENS0_5tupleIJS8_S9_EEENSB_IJS8_SA_EEENS0_18inequality_wrapperIZN2at6native12_GLOBAL__N_124unique_dim_cuda_templateIbEESt5tupleIJNSF_6TensorESK_SK_EERKSK_lbbbEUlllE0_EEPmJS9_EEE10hipError_tPvRmT3_T4_T5_T6_T7_T9_mT8_P12ihipStream_tbDpT10_ENKUlT_T0_E_clISt17integral_constantIbLb1EES1A_EEDaS15_S16_EUlS15_E_NS1_11comp_targetILNS1_3genE3ELNS1_11target_archE908ELNS1_3gpuE7ELNS1_3repE0EEENS1_30default_config_static_selectorELNS0_4arch9wavefront6targetE1EEEvT1_,comdat
	.globl	_ZN7rocprim17ROCPRIM_400000_NS6detail17trampoline_kernelINS0_14default_configENS1_25partition_config_selectorILNS1_17partition_subalgoE9EllbEEZZNS1_14partition_implILS5_9ELb0ES3_jPlS8_PNS0_10empty_typeENS0_5tupleIJS8_S9_EEENSB_IJS8_SA_EEENS0_18inequality_wrapperIZN2at6native12_GLOBAL__N_124unique_dim_cuda_templateIbEESt5tupleIJNSF_6TensorESK_SK_EERKSK_lbbbEUlllE0_EEPmJS9_EEE10hipError_tPvRmT3_T4_T5_T6_T7_T9_mT8_P12ihipStream_tbDpT10_ENKUlT_T0_E_clISt17integral_constantIbLb1EES1A_EEDaS15_S16_EUlS15_E_NS1_11comp_targetILNS1_3genE3ELNS1_11target_archE908ELNS1_3gpuE7ELNS1_3repE0EEENS1_30default_config_static_selectorELNS0_4arch9wavefront6targetE1EEEvT1_ ; -- Begin function _ZN7rocprim17ROCPRIM_400000_NS6detail17trampoline_kernelINS0_14default_configENS1_25partition_config_selectorILNS1_17partition_subalgoE9EllbEEZZNS1_14partition_implILS5_9ELb0ES3_jPlS8_PNS0_10empty_typeENS0_5tupleIJS8_S9_EEENSB_IJS8_SA_EEENS0_18inequality_wrapperIZN2at6native12_GLOBAL__N_124unique_dim_cuda_templateIbEESt5tupleIJNSF_6TensorESK_SK_EERKSK_lbbbEUlllE0_EEPmJS9_EEE10hipError_tPvRmT3_T4_T5_T6_T7_T9_mT8_P12ihipStream_tbDpT10_ENKUlT_T0_E_clISt17integral_constantIbLb1EES1A_EEDaS15_S16_EUlS15_E_NS1_11comp_targetILNS1_3genE3ELNS1_11target_archE908ELNS1_3gpuE7ELNS1_3repE0EEENS1_30default_config_static_selectorELNS0_4arch9wavefront6targetE1EEEvT1_
	.p2align	8
	.type	_ZN7rocprim17ROCPRIM_400000_NS6detail17trampoline_kernelINS0_14default_configENS1_25partition_config_selectorILNS1_17partition_subalgoE9EllbEEZZNS1_14partition_implILS5_9ELb0ES3_jPlS8_PNS0_10empty_typeENS0_5tupleIJS8_S9_EEENSB_IJS8_SA_EEENS0_18inequality_wrapperIZN2at6native12_GLOBAL__N_124unique_dim_cuda_templateIbEESt5tupleIJNSF_6TensorESK_SK_EERKSK_lbbbEUlllE0_EEPmJS9_EEE10hipError_tPvRmT3_T4_T5_T6_T7_T9_mT8_P12ihipStream_tbDpT10_ENKUlT_T0_E_clISt17integral_constantIbLb1EES1A_EEDaS15_S16_EUlS15_E_NS1_11comp_targetILNS1_3genE3ELNS1_11target_archE908ELNS1_3gpuE7ELNS1_3repE0EEENS1_30default_config_static_selectorELNS0_4arch9wavefront6targetE1EEEvT1_,@function
_ZN7rocprim17ROCPRIM_400000_NS6detail17trampoline_kernelINS0_14default_configENS1_25partition_config_selectorILNS1_17partition_subalgoE9EllbEEZZNS1_14partition_implILS5_9ELb0ES3_jPlS8_PNS0_10empty_typeENS0_5tupleIJS8_S9_EEENSB_IJS8_SA_EEENS0_18inequality_wrapperIZN2at6native12_GLOBAL__N_124unique_dim_cuda_templateIbEESt5tupleIJNSF_6TensorESK_SK_EERKSK_lbbbEUlllE0_EEPmJS9_EEE10hipError_tPvRmT3_T4_T5_T6_T7_T9_mT8_P12ihipStream_tbDpT10_ENKUlT_T0_E_clISt17integral_constantIbLb1EES1A_EEDaS15_S16_EUlS15_E_NS1_11comp_targetILNS1_3genE3ELNS1_11target_archE908ELNS1_3gpuE7ELNS1_3repE0EEENS1_30default_config_static_selectorELNS0_4arch9wavefront6targetE1EEEvT1_: ; @_ZN7rocprim17ROCPRIM_400000_NS6detail17trampoline_kernelINS0_14default_configENS1_25partition_config_selectorILNS1_17partition_subalgoE9EllbEEZZNS1_14partition_implILS5_9ELb0ES3_jPlS8_PNS0_10empty_typeENS0_5tupleIJS8_S9_EEENSB_IJS8_SA_EEENS0_18inequality_wrapperIZN2at6native12_GLOBAL__N_124unique_dim_cuda_templateIbEESt5tupleIJNSF_6TensorESK_SK_EERKSK_lbbbEUlllE0_EEPmJS9_EEE10hipError_tPvRmT3_T4_T5_T6_T7_T9_mT8_P12ihipStream_tbDpT10_ENKUlT_T0_E_clISt17integral_constantIbLb1EES1A_EEDaS15_S16_EUlS15_E_NS1_11comp_targetILNS1_3genE3ELNS1_11target_archE908ELNS1_3gpuE7ELNS1_3repE0EEENS1_30default_config_static_selectorELNS0_4arch9wavefront6targetE1EEEvT1_
; %bb.0:
	.section	.rodata,"a",@progbits
	.p2align	6, 0x0
	.amdhsa_kernel _ZN7rocprim17ROCPRIM_400000_NS6detail17trampoline_kernelINS0_14default_configENS1_25partition_config_selectorILNS1_17partition_subalgoE9EllbEEZZNS1_14partition_implILS5_9ELb0ES3_jPlS8_PNS0_10empty_typeENS0_5tupleIJS8_S9_EEENSB_IJS8_SA_EEENS0_18inequality_wrapperIZN2at6native12_GLOBAL__N_124unique_dim_cuda_templateIbEESt5tupleIJNSF_6TensorESK_SK_EERKSK_lbbbEUlllE0_EEPmJS9_EEE10hipError_tPvRmT3_T4_T5_T6_T7_T9_mT8_P12ihipStream_tbDpT10_ENKUlT_T0_E_clISt17integral_constantIbLb1EES1A_EEDaS15_S16_EUlS15_E_NS1_11comp_targetILNS1_3genE3ELNS1_11target_archE908ELNS1_3gpuE7ELNS1_3repE0EEENS1_30default_config_static_selectorELNS0_4arch9wavefront6targetE1EEEvT1_
		.amdhsa_group_segment_fixed_size 0
		.amdhsa_private_segment_fixed_size 0
		.amdhsa_kernarg_size 136
		.amdhsa_user_sgpr_count 6
		.amdhsa_user_sgpr_private_segment_buffer 1
		.amdhsa_user_sgpr_dispatch_ptr 0
		.amdhsa_user_sgpr_queue_ptr 0
		.amdhsa_user_sgpr_kernarg_segment_ptr 1
		.amdhsa_user_sgpr_dispatch_id 0
		.amdhsa_user_sgpr_flat_scratch_init 0
		.amdhsa_user_sgpr_kernarg_preload_length 0
		.amdhsa_user_sgpr_kernarg_preload_offset 0
		.amdhsa_user_sgpr_private_segment_size 0
		.amdhsa_uses_dynamic_stack 0
		.amdhsa_system_sgpr_private_segment_wavefront_offset 0
		.amdhsa_system_sgpr_workgroup_id_x 1
		.amdhsa_system_sgpr_workgroup_id_y 0
		.amdhsa_system_sgpr_workgroup_id_z 0
		.amdhsa_system_sgpr_workgroup_info 0
		.amdhsa_system_vgpr_workitem_id 0
		.amdhsa_next_free_vgpr 1
		.amdhsa_next_free_sgpr 0
		.amdhsa_accum_offset 4
		.amdhsa_reserve_vcc 0
		.amdhsa_reserve_flat_scratch 0
		.amdhsa_float_round_mode_32 0
		.amdhsa_float_round_mode_16_64 0
		.amdhsa_float_denorm_mode_32 3
		.amdhsa_float_denorm_mode_16_64 3
		.amdhsa_dx10_clamp 1
		.amdhsa_ieee_mode 1
		.amdhsa_fp16_overflow 0
		.amdhsa_tg_split 0
		.amdhsa_exception_fp_ieee_invalid_op 0
		.amdhsa_exception_fp_denorm_src 0
		.amdhsa_exception_fp_ieee_div_zero 0
		.amdhsa_exception_fp_ieee_overflow 0
		.amdhsa_exception_fp_ieee_underflow 0
		.amdhsa_exception_fp_ieee_inexact 0
		.amdhsa_exception_int_div_zero 0
	.end_amdhsa_kernel
	.section	.text._ZN7rocprim17ROCPRIM_400000_NS6detail17trampoline_kernelINS0_14default_configENS1_25partition_config_selectorILNS1_17partition_subalgoE9EllbEEZZNS1_14partition_implILS5_9ELb0ES3_jPlS8_PNS0_10empty_typeENS0_5tupleIJS8_S9_EEENSB_IJS8_SA_EEENS0_18inequality_wrapperIZN2at6native12_GLOBAL__N_124unique_dim_cuda_templateIbEESt5tupleIJNSF_6TensorESK_SK_EERKSK_lbbbEUlllE0_EEPmJS9_EEE10hipError_tPvRmT3_T4_T5_T6_T7_T9_mT8_P12ihipStream_tbDpT10_ENKUlT_T0_E_clISt17integral_constantIbLb1EES1A_EEDaS15_S16_EUlS15_E_NS1_11comp_targetILNS1_3genE3ELNS1_11target_archE908ELNS1_3gpuE7ELNS1_3repE0EEENS1_30default_config_static_selectorELNS0_4arch9wavefront6targetE1EEEvT1_,"axG",@progbits,_ZN7rocprim17ROCPRIM_400000_NS6detail17trampoline_kernelINS0_14default_configENS1_25partition_config_selectorILNS1_17partition_subalgoE9EllbEEZZNS1_14partition_implILS5_9ELb0ES3_jPlS8_PNS0_10empty_typeENS0_5tupleIJS8_S9_EEENSB_IJS8_SA_EEENS0_18inequality_wrapperIZN2at6native12_GLOBAL__N_124unique_dim_cuda_templateIbEESt5tupleIJNSF_6TensorESK_SK_EERKSK_lbbbEUlllE0_EEPmJS9_EEE10hipError_tPvRmT3_T4_T5_T6_T7_T9_mT8_P12ihipStream_tbDpT10_ENKUlT_T0_E_clISt17integral_constantIbLb1EES1A_EEDaS15_S16_EUlS15_E_NS1_11comp_targetILNS1_3genE3ELNS1_11target_archE908ELNS1_3gpuE7ELNS1_3repE0EEENS1_30default_config_static_selectorELNS0_4arch9wavefront6targetE1EEEvT1_,comdat
.Lfunc_end1094:
	.size	_ZN7rocprim17ROCPRIM_400000_NS6detail17trampoline_kernelINS0_14default_configENS1_25partition_config_selectorILNS1_17partition_subalgoE9EllbEEZZNS1_14partition_implILS5_9ELb0ES3_jPlS8_PNS0_10empty_typeENS0_5tupleIJS8_S9_EEENSB_IJS8_SA_EEENS0_18inequality_wrapperIZN2at6native12_GLOBAL__N_124unique_dim_cuda_templateIbEESt5tupleIJNSF_6TensorESK_SK_EERKSK_lbbbEUlllE0_EEPmJS9_EEE10hipError_tPvRmT3_T4_T5_T6_T7_T9_mT8_P12ihipStream_tbDpT10_ENKUlT_T0_E_clISt17integral_constantIbLb1EES1A_EEDaS15_S16_EUlS15_E_NS1_11comp_targetILNS1_3genE3ELNS1_11target_archE908ELNS1_3gpuE7ELNS1_3repE0EEENS1_30default_config_static_selectorELNS0_4arch9wavefront6targetE1EEEvT1_, .Lfunc_end1094-_ZN7rocprim17ROCPRIM_400000_NS6detail17trampoline_kernelINS0_14default_configENS1_25partition_config_selectorILNS1_17partition_subalgoE9EllbEEZZNS1_14partition_implILS5_9ELb0ES3_jPlS8_PNS0_10empty_typeENS0_5tupleIJS8_S9_EEENSB_IJS8_SA_EEENS0_18inequality_wrapperIZN2at6native12_GLOBAL__N_124unique_dim_cuda_templateIbEESt5tupleIJNSF_6TensorESK_SK_EERKSK_lbbbEUlllE0_EEPmJS9_EEE10hipError_tPvRmT3_T4_T5_T6_T7_T9_mT8_P12ihipStream_tbDpT10_ENKUlT_T0_E_clISt17integral_constantIbLb1EES1A_EEDaS15_S16_EUlS15_E_NS1_11comp_targetILNS1_3genE3ELNS1_11target_archE908ELNS1_3gpuE7ELNS1_3repE0EEENS1_30default_config_static_selectorELNS0_4arch9wavefront6targetE1EEEvT1_
                                        ; -- End function
	.section	.AMDGPU.csdata,"",@progbits
; Kernel info:
; codeLenInByte = 0
; NumSgprs: 4
; NumVgprs: 0
; NumAgprs: 0
; TotalNumVgprs: 0
; ScratchSize: 0
; MemoryBound: 0
; FloatMode: 240
; IeeeMode: 1
; LDSByteSize: 0 bytes/workgroup (compile time only)
; SGPRBlocks: 0
; VGPRBlocks: 0
; NumSGPRsForWavesPerEU: 4
; NumVGPRsForWavesPerEU: 1
; AccumOffset: 4
; Occupancy: 8
; WaveLimiterHint : 0
; COMPUTE_PGM_RSRC2:SCRATCH_EN: 0
; COMPUTE_PGM_RSRC2:USER_SGPR: 6
; COMPUTE_PGM_RSRC2:TRAP_HANDLER: 0
; COMPUTE_PGM_RSRC2:TGID_X_EN: 1
; COMPUTE_PGM_RSRC2:TGID_Y_EN: 0
; COMPUTE_PGM_RSRC2:TGID_Z_EN: 0
; COMPUTE_PGM_RSRC2:TIDIG_COMP_CNT: 0
; COMPUTE_PGM_RSRC3_GFX90A:ACCUM_OFFSET: 0
; COMPUTE_PGM_RSRC3_GFX90A:TG_SPLIT: 0
	.section	.text._ZN7rocprim17ROCPRIM_400000_NS6detail17trampoline_kernelINS0_14default_configENS1_25partition_config_selectorILNS1_17partition_subalgoE9EllbEEZZNS1_14partition_implILS5_9ELb0ES3_jPlS8_PNS0_10empty_typeENS0_5tupleIJS8_S9_EEENSB_IJS8_SA_EEENS0_18inequality_wrapperIZN2at6native12_GLOBAL__N_124unique_dim_cuda_templateIbEESt5tupleIJNSF_6TensorESK_SK_EERKSK_lbbbEUlllE0_EEPmJS9_EEE10hipError_tPvRmT3_T4_T5_T6_T7_T9_mT8_P12ihipStream_tbDpT10_ENKUlT_T0_E_clISt17integral_constantIbLb1EES1A_EEDaS15_S16_EUlS15_E_NS1_11comp_targetILNS1_3genE2ELNS1_11target_archE906ELNS1_3gpuE6ELNS1_3repE0EEENS1_30default_config_static_selectorELNS0_4arch9wavefront6targetE1EEEvT1_,"axG",@progbits,_ZN7rocprim17ROCPRIM_400000_NS6detail17trampoline_kernelINS0_14default_configENS1_25partition_config_selectorILNS1_17partition_subalgoE9EllbEEZZNS1_14partition_implILS5_9ELb0ES3_jPlS8_PNS0_10empty_typeENS0_5tupleIJS8_S9_EEENSB_IJS8_SA_EEENS0_18inequality_wrapperIZN2at6native12_GLOBAL__N_124unique_dim_cuda_templateIbEESt5tupleIJNSF_6TensorESK_SK_EERKSK_lbbbEUlllE0_EEPmJS9_EEE10hipError_tPvRmT3_T4_T5_T6_T7_T9_mT8_P12ihipStream_tbDpT10_ENKUlT_T0_E_clISt17integral_constantIbLb1EES1A_EEDaS15_S16_EUlS15_E_NS1_11comp_targetILNS1_3genE2ELNS1_11target_archE906ELNS1_3gpuE6ELNS1_3repE0EEENS1_30default_config_static_selectorELNS0_4arch9wavefront6targetE1EEEvT1_,comdat
	.globl	_ZN7rocprim17ROCPRIM_400000_NS6detail17trampoline_kernelINS0_14default_configENS1_25partition_config_selectorILNS1_17partition_subalgoE9EllbEEZZNS1_14partition_implILS5_9ELb0ES3_jPlS8_PNS0_10empty_typeENS0_5tupleIJS8_S9_EEENSB_IJS8_SA_EEENS0_18inequality_wrapperIZN2at6native12_GLOBAL__N_124unique_dim_cuda_templateIbEESt5tupleIJNSF_6TensorESK_SK_EERKSK_lbbbEUlllE0_EEPmJS9_EEE10hipError_tPvRmT3_T4_T5_T6_T7_T9_mT8_P12ihipStream_tbDpT10_ENKUlT_T0_E_clISt17integral_constantIbLb1EES1A_EEDaS15_S16_EUlS15_E_NS1_11comp_targetILNS1_3genE2ELNS1_11target_archE906ELNS1_3gpuE6ELNS1_3repE0EEENS1_30default_config_static_selectorELNS0_4arch9wavefront6targetE1EEEvT1_ ; -- Begin function _ZN7rocprim17ROCPRIM_400000_NS6detail17trampoline_kernelINS0_14default_configENS1_25partition_config_selectorILNS1_17partition_subalgoE9EllbEEZZNS1_14partition_implILS5_9ELb0ES3_jPlS8_PNS0_10empty_typeENS0_5tupleIJS8_S9_EEENSB_IJS8_SA_EEENS0_18inequality_wrapperIZN2at6native12_GLOBAL__N_124unique_dim_cuda_templateIbEESt5tupleIJNSF_6TensorESK_SK_EERKSK_lbbbEUlllE0_EEPmJS9_EEE10hipError_tPvRmT3_T4_T5_T6_T7_T9_mT8_P12ihipStream_tbDpT10_ENKUlT_T0_E_clISt17integral_constantIbLb1EES1A_EEDaS15_S16_EUlS15_E_NS1_11comp_targetILNS1_3genE2ELNS1_11target_archE906ELNS1_3gpuE6ELNS1_3repE0EEENS1_30default_config_static_selectorELNS0_4arch9wavefront6targetE1EEEvT1_
	.p2align	8
	.type	_ZN7rocprim17ROCPRIM_400000_NS6detail17trampoline_kernelINS0_14default_configENS1_25partition_config_selectorILNS1_17partition_subalgoE9EllbEEZZNS1_14partition_implILS5_9ELb0ES3_jPlS8_PNS0_10empty_typeENS0_5tupleIJS8_S9_EEENSB_IJS8_SA_EEENS0_18inequality_wrapperIZN2at6native12_GLOBAL__N_124unique_dim_cuda_templateIbEESt5tupleIJNSF_6TensorESK_SK_EERKSK_lbbbEUlllE0_EEPmJS9_EEE10hipError_tPvRmT3_T4_T5_T6_T7_T9_mT8_P12ihipStream_tbDpT10_ENKUlT_T0_E_clISt17integral_constantIbLb1EES1A_EEDaS15_S16_EUlS15_E_NS1_11comp_targetILNS1_3genE2ELNS1_11target_archE906ELNS1_3gpuE6ELNS1_3repE0EEENS1_30default_config_static_selectorELNS0_4arch9wavefront6targetE1EEEvT1_,@function
_ZN7rocprim17ROCPRIM_400000_NS6detail17trampoline_kernelINS0_14default_configENS1_25partition_config_selectorILNS1_17partition_subalgoE9EllbEEZZNS1_14partition_implILS5_9ELb0ES3_jPlS8_PNS0_10empty_typeENS0_5tupleIJS8_S9_EEENSB_IJS8_SA_EEENS0_18inequality_wrapperIZN2at6native12_GLOBAL__N_124unique_dim_cuda_templateIbEESt5tupleIJNSF_6TensorESK_SK_EERKSK_lbbbEUlllE0_EEPmJS9_EEE10hipError_tPvRmT3_T4_T5_T6_T7_T9_mT8_P12ihipStream_tbDpT10_ENKUlT_T0_E_clISt17integral_constantIbLb1EES1A_EEDaS15_S16_EUlS15_E_NS1_11comp_targetILNS1_3genE2ELNS1_11target_archE906ELNS1_3gpuE6ELNS1_3repE0EEENS1_30default_config_static_selectorELNS0_4arch9wavefront6targetE1EEEvT1_: ; @_ZN7rocprim17ROCPRIM_400000_NS6detail17trampoline_kernelINS0_14default_configENS1_25partition_config_selectorILNS1_17partition_subalgoE9EllbEEZZNS1_14partition_implILS5_9ELb0ES3_jPlS8_PNS0_10empty_typeENS0_5tupleIJS8_S9_EEENSB_IJS8_SA_EEENS0_18inequality_wrapperIZN2at6native12_GLOBAL__N_124unique_dim_cuda_templateIbEESt5tupleIJNSF_6TensorESK_SK_EERKSK_lbbbEUlllE0_EEPmJS9_EEE10hipError_tPvRmT3_T4_T5_T6_T7_T9_mT8_P12ihipStream_tbDpT10_ENKUlT_T0_E_clISt17integral_constantIbLb1EES1A_EEDaS15_S16_EUlS15_E_NS1_11comp_targetILNS1_3genE2ELNS1_11target_archE906ELNS1_3gpuE6ELNS1_3repE0EEENS1_30default_config_static_selectorELNS0_4arch9wavefront6targetE1EEEvT1_
; %bb.0:
	.section	.rodata,"a",@progbits
	.p2align	6, 0x0
	.amdhsa_kernel _ZN7rocprim17ROCPRIM_400000_NS6detail17trampoline_kernelINS0_14default_configENS1_25partition_config_selectorILNS1_17partition_subalgoE9EllbEEZZNS1_14partition_implILS5_9ELb0ES3_jPlS8_PNS0_10empty_typeENS0_5tupleIJS8_S9_EEENSB_IJS8_SA_EEENS0_18inequality_wrapperIZN2at6native12_GLOBAL__N_124unique_dim_cuda_templateIbEESt5tupleIJNSF_6TensorESK_SK_EERKSK_lbbbEUlllE0_EEPmJS9_EEE10hipError_tPvRmT3_T4_T5_T6_T7_T9_mT8_P12ihipStream_tbDpT10_ENKUlT_T0_E_clISt17integral_constantIbLb1EES1A_EEDaS15_S16_EUlS15_E_NS1_11comp_targetILNS1_3genE2ELNS1_11target_archE906ELNS1_3gpuE6ELNS1_3repE0EEENS1_30default_config_static_selectorELNS0_4arch9wavefront6targetE1EEEvT1_
		.amdhsa_group_segment_fixed_size 0
		.amdhsa_private_segment_fixed_size 0
		.amdhsa_kernarg_size 136
		.amdhsa_user_sgpr_count 6
		.amdhsa_user_sgpr_private_segment_buffer 1
		.amdhsa_user_sgpr_dispatch_ptr 0
		.amdhsa_user_sgpr_queue_ptr 0
		.amdhsa_user_sgpr_kernarg_segment_ptr 1
		.amdhsa_user_sgpr_dispatch_id 0
		.amdhsa_user_sgpr_flat_scratch_init 0
		.amdhsa_user_sgpr_kernarg_preload_length 0
		.amdhsa_user_sgpr_kernarg_preload_offset 0
		.amdhsa_user_sgpr_private_segment_size 0
		.amdhsa_uses_dynamic_stack 0
		.amdhsa_system_sgpr_private_segment_wavefront_offset 0
		.amdhsa_system_sgpr_workgroup_id_x 1
		.amdhsa_system_sgpr_workgroup_id_y 0
		.amdhsa_system_sgpr_workgroup_id_z 0
		.amdhsa_system_sgpr_workgroup_info 0
		.amdhsa_system_vgpr_workitem_id 0
		.amdhsa_next_free_vgpr 1
		.amdhsa_next_free_sgpr 0
		.amdhsa_accum_offset 4
		.amdhsa_reserve_vcc 0
		.amdhsa_reserve_flat_scratch 0
		.amdhsa_float_round_mode_32 0
		.amdhsa_float_round_mode_16_64 0
		.amdhsa_float_denorm_mode_32 3
		.amdhsa_float_denorm_mode_16_64 3
		.amdhsa_dx10_clamp 1
		.amdhsa_ieee_mode 1
		.amdhsa_fp16_overflow 0
		.amdhsa_tg_split 0
		.amdhsa_exception_fp_ieee_invalid_op 0
		.amdhsa_exception_fp_denorm_src 0
		.amdhsa_exception_fp_ieee_div_zero 0
		.amdhsa_exception_fp_ieee_overflow 0
		.amdhsa_exception_fp_ieee_underflow 0
		.amdhsa_exception_fp_ieee_inexact 0
		.amdhsa_exception_int_div_zero 0
	.end_amdhsa_kernel
	.section	.text._ZN7rocprim17ROCPRIM_400000_NS6detail17trampoline_kernelINS0_14default_configENS1_25partition_config_selectorILNS1_17partition_subalgoE9EllbEEZZNS1_14partition_implILS5_9ELb0ES3_jPlS8_PNS0_10empty_typeENS0_5tupleIJS8_S9_EEENSB_IJS8_SA_EEENS0_18inequality_wrapperIZN2at6native12_GLOBAL__N_124unique_dim_cuda_templateIbEESt5tupleIJNSF_6TensorESK_SK_EERKSK_lbbbEUlllE0_EEPmJS9_EEE10hipError_tPvRmT3_T4_T5_T6_T7_T9_mT8_P12ihipStream_tbDpT10_ENKUlT_T0_E_clISt17integral_constantIbLb1EES1A_EEDaS15_S16_EUlS15_E_NS1_11comp_targetILNS1_3genE2ELNS1_11target_archE906ELNS1_3gpuE6ELNS1_3repE0EEENS1_30default_config_static_selectorELNS0_4arch9wavefront6targetE1EEEvT1_,"axG",@progbits,_ZN7rocprim17ROCPRIM_400000_NS6detail17trampoline_kernelINS0_14default_configENS1_25partition_config_selectorILNS1_17partition_subalgoE9EllbEEZZNS1_14partition_implILS5_9ELb0ES3_jPlS8_PNS0_10empty_typeENS0_5tupleIJS8_S9_EEENSB_IJS8_SA_EEENS0_18inequality_wrapperIZN2at6native12_GLOBAL__N_124unique_dim_cuda_templateIbEESt5tupleIJNSF_6TensorESK_SK_EERKSK_lbbbEUlllE0_EEPmJS9_EEE10hipError_tPvRmT3_T4_T5_T6_T7_T9_mT8_P12ihipStream_tbDpT10_ENKUlT_T0_E_clISt17integral_constantIbLb1EES1A_EEDaS15_S16_EUlS15_E_NS1_11comp_targetILNS1_3genE2ELNS1_11target_archE906ELNS1_3gpuE6ELNS1_3repE0EEENS1_30default_config_static_selectorELNS0_4arch9wavefront6targetE1EEEvT1_,comdat
.Lfunc_end1095:
	.size	_ZN7rocprim17ROCPRIM_400000_NS6detail17trampoline_kernelINS0_14default_configENS1_25partition_config_selectorILNS1_17partition_subalgoE9EllbEEZZNS1_14partition_implILS5_9ELb0ES3_jPlS8_PNS0_10empty_typeENS0_5tupleIJS8_S9_EEENSB_IJS8_SA_EEENS0_18inequality_wrapperIZN2at6native12_GLOBAL__N_124unique_dim_cuda_templateIbEESt5tupleIJNSF_6TensorESK_SK_EERKSK_lbbbEUlllE0_EEPmJS9_EEE10hipError_tPvRmT3_T4_T5_T6_T7_T9_mT8_P12ihipStream_tbDpT10_ENKUlT_T0_E_clISt17integral_constantIbLb1EES1A_EEDaS15_S16_EUlS15_E_NS1_11comp_targetILNS1_3genE2ELNS1_11target_archE906ELNS1_3gpuE6ELNS1_3repE0EEENS1_30default_config_static_selectorELNS0_4arch9wavefront6targetE1EEEvT1_, .Lfunc_end1095-_ZN7rocprim17ROCPRIM_400000_NS6detail17trampoline_kernelINS0_14default_configENS1_25partition_config_selectorILNS1_17partition_subalgoE9EllbEEZZNS1_14partition_implILS5_9ELb0ES3_jPlS8_PNS0_10empty_typeENS0_5tupleIJS8_S9_EEENSB_IJS8_SA_EEENS0_18inequality_wrapperIZN2at6native12_GLOBAL__N_124unique_dim_cuda_templateIbEESt5tupleIJNSF_6TensorESK_SK_EERKSK_lbbbEUlllE0_EEPmJS9_EEE10hipError_tPvRmT3_T4_T5_T6_T7_T9_mT8_P12ihipStream_tbDpT10_ENKUlT_T0_E_clISt17integral_constantIbLb1EES1A_EEDaS15_S16_EUlS15_E_NS1_11comp_targetILNS1_3genE2ELNS1_11target_archE906ELNS1_3gpuE6ELNS1_3repE0EEENS1_30default_config_static_selectorELNS0_4arch9wavefront6targetE1EEEvT1_
                                        ; -- End function
	.section	.AMDGPU.csdata,"",@progbits
; Kernel info:
; codeLenInByte = 0
; NumSgprs: 4
; NumVgprs: 0
; NumAgprs: 0
; TotalNumVgprs: 0
; ScratchSize: 0
; MemoryBound: 0
; FloatMode: 240
; IeeeMode: 1
; LDSByteSize: 0 bytes/workgroup (compile time only)
; SGPRBlocks: 0
; VGPRBlocks: 0
; NumSGPRsForWavesPerEU: 4
; NumVGPRsForWavesPerEU: 1
; AccumOffset: 4
; Occupancy: 8
; WaveLimiterHint : 0
; COMPUTE_PGM_RSRC2:SCRATCH_EN: 0
; COMPUTE_PGM_RSRC2:USER_SGPR: 6
; COMPUTE_PGM_RSRC2:TRAP_HANDLER: 0
; COMPUTE_PGM_RSRC2:TGID_X_EN: 1
; COMPUTE_PGM_RSRC2:TGID_Y_EN: 0
; COMPUTE_PGM_RSRC2:TGID_Z_EN: 0
; COMPUTE_PGM_RSRC2:TIDIG_COMP_CNT: 0
; COMPUTE_PGM_RSRC3_GFX90A:ACCUM_OFFSET: 0
; COMPUTE_PGM_RSRC3_GFX90A:TG_SPLIT: 0
	.section	.text._ZN7rocprim17ROCPRIM_400000_NS6detail17trampoline_kernelINS0_14default_configENS1_25partition_config_selectorILNS1_17partition_subalgoE9EllbEEZZNS1_14partition_implILS5_9ELb0ES3_jPlS8_PNS0_10empty_typeENS0_5tupleIJS8_S9_EEENSB_IJS8_SA_EEENS0_18inequality_wrapperIZN2at6native12_GLOBAL__N_124unique_dim_cuda_templateIbEESt5tupleIJNSF_6TensorESK_SK_EERKSK_lbbbEUlllE0_EEPmJS9_EEE10hipError_tPvRmT3_T4_T5_T6_T7_T9_mT8_P12ihipStream_tbDpT10_ENKUlT_T0_E_clISt17integral_constantIbLb1EES1A_EEDaS15_S16_EUlS15_E_NS1_11comp_targetILNS1_3genE10ELNS1_11target_archE1200ELNS1_3gpuE4ELNS1_3repE0EEENS1_30default_config_static_selectorELNS0_4arch9wavefront6targetE1EEEvT1_,"axG",@progbits,_ZN7rocprim17ROCPRIM_400000_NS6detail17trampoline_kernelINS0_14default_configENS1_25partition_config_selectorILNS1_17partition_subalgoE9EllbEEZZNS1_14partition_implILS5_9ELb0ES3_jPlS8_PNS0_10empty_typeENS0_5tupleIJS8_S9_EEENSB_IJS8_SA_EEENS0_18inequality_wrapperIZN2at6native12_GLOBAL__N_124unique_dim_cuda_templateIbEESt5tupleIJNSF_6TensorESK_SK_EERKSK_lbbbEUlllE0_EEPmJS9_EEE10hipError_tPvRmT3_T4_T5_T6_T7_T9_mT8_P12ihipStream_tbDpT10_ENKUlT_T0_E_clISt17integral_constantIbLb1EES1A_EEDaS15_S16_EUlS15_E_NS1_11comp_targetILNS1_3genE10ELNS1_11target_archE1200ELNS1_3gpuE4ELNS1_3repE0EEENS1_30default_config_static_selectorELNS0_4arch9wavefront6targetE1EEEvT1_,comdat
	.globl	_ZN7rocprim17ROCPRIM_400000_NS6detail17trampoline_kernelINS0_14default_configENS1_25partition_config_selectorILNS1_17partition_subalgoE9EllbEEZZNS1_14partition_implILS5_9ELb0ES3_jPlS8_PNS0_10empty_typeENS0_5tupleIJS8_S9_EEENSB_IJS8_SA_EEENS0_18inequality_wrapperIZN2at6native12_GLOBAL__N_124unique_dim_cuda_templateIbEESt5tupleIJNSF_6TensorESK_SK_EERKSK_lbbbEUlllE0_EEPmJS9_EEE10hipError_tPvRmT3_T4_T5_T6_T7_T9_mT8_P12ihipStream_tbDpT10_ENKUlT_T0_E_clISt17integral_constantIbLb1EES1A_EEDaS15_S16_EUlS15_E_NS1_11comp_targetILNS1_3genE10ELNS1_11target_archE1200ELNS1_3gpuE4ELNS1_3repE0EEENS1_30default_config_static_selectorELNS0_4arch9wavefront6targetE1EEEvT1_ ; -- Begin function _ZN7rocprim17ROCPRIM_400000_NS6detail17trampoline_kernelINS0_14default_configENS1_25partition_config_selectorILNS1_17partition_subalgoE9EllbEEZZNS1_14partition_implILS5_9ELb0ES3_jPlS8_PNS0_10empty_typeENS0_5tupleIJS8_S9_EEENSB_IJS8_SA_EEENS0_18inequality_wrapperIZN2at6native12_GLOBAL__N_124unique_dim_cuda_templateIbEESt5tupleIJNSF_6TensorESK_SK_EERKSK_lbbbEUlllE0_EEPmJS9_EEE10hipError_tPvRmT3_T4_T5_T6_T7_T9_mT8_P12ihipStream_tbDpT10_ENKUlT_T0_E_clISt17integral_constantIbLb1EES1A_EEDaS15_S16_EUlS15_E_NS1_11comp_targetILNS1_3genE10ELNS1_11target_archE1200ELNS1_3gpuE4ELNS1_3repE0EEENS1_30default_config_static_selectorELNS0_4arch9wavefront6targetE1EEEvT1_
	.p2align	8
	.type	_ZN7rocprim17ROCPRIM_400000_NS6detail17trampoline_kernelINS0_14default_configENS1_25partition_config_selectorILNS1_17partition_subalgoE9EllbEEZZNS1_14partition_implILS5_9ELb0ES3_jPlS8_PNS0_10empty_typeENS0_5tupleIJS8_S9_EEENSB_IJS8_SA_EEENS0_18inequality_wrapperIZN2at6native12_GLOBAL__N_124unique_dim_cuda_templateIbEESt5tupleIJNSF_6TensorESK_SK_EERKSK_lbbbEUlllE0_EEPmJS9_EEE10hipError_tPvRmT3_T4_T5_T6_T7_T9_mT8_P12ihipStream_tbDpT10_ENKUlT_T0_E_clISt17integral_constantIbLb1EES1A_EEDaS15_S16_EUlS15_E_NS1_11comp_targetILNS1_3genE10ELNS1_11target_archE1200ELNS1_3gpuE4ELNS1_3repE0EEENS1_30default_config_static_selectorELNS0_4arch9wavefront6targetE1EEEvT1_,@function
_ZN7rocprim17ROCPRIM_400000_NS6detail17trampoline_kernelINS0_14default_configENS1_25partition_config_selectorILNS1_17partition_subalgoE9EllbEEZZNS1_14partition_implILS5_9ELb0ES3_jPlS8_PNS0_10empty_typeENS0_5tupleIJS8_S9_EEENSB_IJS8_SA_EEENS0_18inequality_wrapperIZN2at6native12_GLOBAL__N_124unique_dim_cuda_templateIbEESt5tupleIJNSF_6TensorESK_SK_EERKSK_lbbbEUlllE0_EEPmJS9_EEE10hipError_tPvRmT3_T4_T5_T6_T7_T9_mT8_P12ihipStream_tbDpT10_ENKUlT_T0_E_clISt17integral_constantIbLb1EES1A_EEDaS15_S16_EUlS15_E_NS1_11comp_targetILNS1_3genE10ELNS1_11target_archE1200ELNS1_3gpuE4ELNS1_3repE0EEENS1_30default_config_static_selectorELNS0_4arch9wavefront6targetE1EEEvT1_: ; @_ZN7rocprim17ROCPRIM_400000_NS6detail17trampoline_kernelINS0_14default_configENS1_25partition_config_selectorILNS1_17partition_subalgoE9EllbEEZZNS1_14partition_implILS5_9ELb0ES3_jPlS8_PNS0_10empty_typeENS0_5tupleIJS8_S9_EEENSB_IJS8_SA_EEENS0_18inequality_wrapperIZN2at6native12_GLOBAL__N_124unique_dim_cuda_templateIbEESt5tupleIJNSF_6TensorESK_SK_EERKSK_lbbbEUlllE0_EEPmJS9_EEE10hipError_tPvRmT3_T4_T5_T6_T7_T9_mT8_P12ihipStream_tbDpT10_ENKUlT_T0_E_clISt17integral_constantIbLb1EES1A_EEDaS15_S16_EUlS15_E_NS1_11comp_targetILNS1_3genE10ELNS1_11target_archE1200ELNS1_3gpuE4ELNS1_3repE0EEENS1_30default_config_static_selectorELNS0_4arch9wavefront6targetE1EEEvT1_
; %bb.0:
	.section	.rodata,"a",@progbits
	.p2align	6, 0x0
	.amdhsa_kernel _ZN7rocprim17ROCPRIM_400000_NS6detail17trampoline_kernelINS0_14default_configENS1_25partition_config_selectorILNS1_17partition_subalgoE9EllbEEZZNS1_14partition_implILS5_9ELb0ES3_jPlS8_PNS0_10empty_typeENS0_5tupleIJS8_S9_EEENSB_IJS8_SA_EEENS0_18inequality_wrapperIZN2at6native12_GLOBAL__N_124unique_dim_cuda_templateIbEESt5tupleIJNSF_6TensorESK_SK_EERKSK_lbbbEUlllE0_EEPmJS9_EEE10hipError_tPvRmT3_T4_T5_T6_T7_T9_mT8_P12ihipStream_tbDpT10_ENKUlT_T0_E_clISt17integral_constantIbLb1EES1A_EEDaS15_S16_EUlS15_E_NS1_11comp_targetILNS1_3genE10ELNS1_11target_archE1200ELNS1_3gpuE4ELNS1_3repE0EEENS1_30default_config_static_selectorELNS0_4arch9wavefront6targetE1EEEvT1_
		.amdhsa_group_segment_fixed_size 0
		.amdhsa_private_segment_fixed_size 0
		.amdhsa_kernarg_size 136
		.amdhsa_user_sgpr_count 6
		.amdhsa_user_sgpr_private_segment_buffer 1
		.amdhsa_user_sgpr_dispatch_ptr 0
		.amdhsa_user_sgpr_queue_ptr 0
		.amdhsa_user_sgpr_kernarg_segment_ptr 1
		.amdhsa_user_sgpr_dispatch_id 0
		.amdhsa_user_sgpr_flat_scratch_init 0
		.amdhsa_user_sgpr_kernarg_preload_length 0
		.amdhsa_user_sgpr_kernarg_preload_offset 0
		.amdhsa_user_sgpr_private_segment_size 0
		.amdhsa_uses_dynamic_stack 0
		.amdhsa_system_sgpr_private_segment_wavefront_offset 0
		.amdhsa_system_sgpr_workgroup_id_x 1
		.amdhsa_system_sgpr_workgroup_id_y 0
		.amdhsa_system_sgpr_workgroup_id_z 0
		.amdhsa_system_sgpr_workgroup_info 0
		.amdhsa_system_vgpr_workitem_id 0
		.amdhsa_next_free_vgpr 1
		.amdhsa_next_free_sgpr 0
		.amdhsa_accum_offset 4
		.amdhsa_reserve_vcc 0
		.amdhsa_reserve_flat_scratch 0
		.amdhsa_float_round_mode_32 0
		.amdhsa_float_round_mode_16_64 0
		.amdhsa_float_denorm_mode_32 3
		.amdhsa_float_denorm_mode_16_64 3
		.amdhsa_dx10_clamp 1
		.amdhsa_ieee_mode 1
		.amdhsa_fp16_overflow 0
		.amdhsa_tg_split 0
		.amdhsa_exception_fp_ieee_invalid_op 0
		.amdhsa_exception_fp_denorm_src 0
		.amdhsa_exception_fp_ieee_div_zero 0
		.amdhsa_exception_fp_ieee_overflow 0
		.amdhsa_exception_fp_ieee_underflow 0
		.amdhsa_exception_fp_ieee_inexact 0
		.amdhsa_exception_int_div_zero 0
	.end_amdhsa_kernel
	.section	.text._ZN7rocprim17ROCPRIM_400000_NS6detail17trampoline_kernelINS0_14default_configENS1_25partition_config_selectorILNS1_17partition_subalgoE9EllbEEZZNS1_14partition_implILS5_9ELb0ES3_jPlS8_PNS0_10empty_typeENS0_5tupleIJS8_S9_EEENSB_IJS8_SA_EEENS0_18inequality_wrapperIZN2at6native12_GLOBAL__N_124unique_dim_cuda_templateIbEESt5tupleIJNSF_6TensorESK_SK_EERKSK_lbbbEUlllE0_EEPmJS9_EEE10hipError_tPvRmT3_T4_T5_T6_T7_T9_mT8_P12ihipStream_tbDpT10_ENKUlT_T0_E_clISt17integral_constantIbLb1EES1A_EEDaS15_S16_EUlS15_E_NS1_11comp_targetILNS1_3genE10ELNS1_11target_archE1200ELNS1_3gpuE4ELNS1_3repE0EEENS1_30default_config_static_selectorELNS0_4arch9wavefront6targetE1EEEvT1_,"axG",@progbits,_ZN7rocprim17ROCPRIM_400000_NS6detail17trampoline_kernelINS0_14default_configENS1_25partition_config_selectorILNS1_17partition_subalgoE9EllbEEZZNS1_14partition_implILS5_9ELb0ES3_jPlS8_PNS0_10empty_typeENS0_5tupleIJS8_S9_EEENSB_IJS8_SA_EEENS0_18inequality_wrapperIZN2at6native12_GLOBAL__N_124unique_dim_cuda_templateIbEESt5tupleIJNSF_6TensorESK_SK_EERKSK_lbbbEUlllE0_EEPmJS9_EEE10hipError_tPvRmT3_T4_T5_T6_T7_T9_mT8_P12ihipStream_tbDpT10_ENKUlT_T0_E_clISt17integral_constantIbLb1EES1A_EEDaS15_S16_EUlS15_E_NS1_11comp_targetILNS1_3genE10ELNS1_11target_archE1200ELNS1_3gpuE4ELNS1_3repE0EEENS1_30default_config_static_selectorELNS0_4arch9wavefront6targetE1EEEvT1_,comdat
.Lfunc_end1096:
	.size	_ZN7rocprim17ROCPRIM_400000_NS6detail17trampoline_kernelINS0_14default_configENS1_25partition_config_selectorILNS1_17partition_subalgoE9EllbEEZZNS1_14partition_implILS5_9ELb0ES3_jPlS8_PNS0_10empty_typeENS0_5tupleIJS8_S9_EEENSB_IJS8_SA_EEENS0_18inequality_wrapperIZN2at6native12_GLOBAL__N_124unique_dim_cuda_templateIbEESt5tupleIJNSF_6TensorESK_SK_EERKSK_lbbbEUlllE0_EEPmJS9_EEE10hipError_tPvRmT3_T4_T5_T6_T7_T9_mT8_P12ihipStream_tbDpT10_ENKUlT_T0_E_clISt17integral_constantIbLb1EES1A_EEDaS15_S16_EUlS15_E_NS1_11comp_targetILNS1_3genE10ELNS1_11target_archE1200ELNS1_3gpuE4ELNS1_3repE0EEENS1_30default_config_static_selectorELNS0_4arch9wavefront6targetE1EEEvT1_, .Lfunc_end1096-_ZN7rocprim17ROCPRIM_400000_NS6detail17trampoline_kernelINS0_14default_configENS1_25partition_config_selectorILNS1_17partition_subalgoE9EllbEEZZNS1_14partition_implILS5_9ELb0ES3_jPlS8_PNS0_10empty_typeENS0_5tupleIJS8_S9_EEENSB_IJS8_SA_EEENS0_18inequality_wrapperIZN2at6native12_GLOBAL__N_124unique_dim_cuda_templateIbEESt5tupleIJNSF_6TensorESK_SK_EERKSK_lbbbEUlllE0_EEPmJS9_EEE10hipError_tPvRmT3_T4_T5_T6_T7_T9_mT8_P12ihipStream_tbDpT10_ENKUlT_T0_E_clISt17integral_constantIbLb1EES1A_EEDaS15_S16_EUlS15_E_NS1_11comp_targetILNS1_3genE10ELNS1_11target_archE1200ELNS1_3gpuE4ELNS1_3repE0EEENS1_30default_config_static_selectorELNS0_4arch9wavefront6targetE1EEEvT1_
                                        ; -- End function
	.section	.AMDGPU.csdata,"",@progbits
; Kernel info:
; codeLenInByte = 0
; NumSgprs: 4
; NumVgprs: 0
; NumAgprs: 0
; TotalNumVgprs: 0
; ScratchSize: 0
; MemoryBound: 0
; FloatMode: 240
; IeeeMode: 1
; LDSByteSize: 0 bytes/workgroup (compile time only)
; SGPRBlocks: 0
; VGPRBlocks: 0
; NumSGPRsForWavesPerEU: 4
; NumVGPRsForWavesPerEU: 1
; AccumOffset: 4
; Occupancy: 8
; WaveLimiterHint : 0
; COMPUTE_PGM_RSRC2:SCRATCH_EN: 0
; COMPUTE_PGM_RSRC2:USER_SGPR: 6
; COMPUTE_PGM_RSRC2:TRAP_HANDLER: 0
; COMPUTE_PGM_RSRC2:TGID_X_EN: 1
; COMPUTE_PGM_RSRC2:TGID_Y_EN: 0
; COMPUTE_PGM_RSRC2:TGID_Z_EN: 0
; COMPUTE_PGM_RSRC2:TIDIG_COMP_CNT: 0
; COMPUTE_PGM_RSRC3_GFX90A:ACCUM_OFFSET: 0
; COMPUTE_PGM_RSRC3_GFX90A:TG_SPLIT: 0
	.section	.text._ZN7rocprim17ROCPRIM_400000_NS6detail17trampoline_kernelINS0_14default_configENS1_25partition_config_selectorILNS1_17partition_subalgoE9EllbEEZZNS1_14partition_implILS5_9ELb0ES3_jPlS8_PNS0_10empty_typeENS0_5tupleIJS8_S9_EEENSB_IJS8_SA_EEENS0_18inequality_wrapperIZN2at6native12_GLOBAL__N_124unique_dim_cuda_templateIbEESt5tupleIJNSF_6TensorESK_SK_EERKSK_lbbbEUlllE0_EEPmJS9_EEE10hipError_tPvRmT3_T4_T5_T6_T7_T9_mT8_P12ihipStream_tbDpT10_ENKUlT_T0_E_clISt17integral_constantIbLb1EES1A_EEDaS15_S16_EUlS15_E_NS1_11comp_targetILNS1_3genE9ELNS1_11target_archE1100ELNS1_3gpuE3ELNS1_3repE0EEENS1_30default_config_static_selectorELNS0_4arch9wavefront6targetE1EEEvT1_,"axG",@progbits,_ZN7rocprim17ROCPRIM_400000_NS6detail17trampoline_kernelINS0_14default_configENS1_25partition_config_selectorILNS1_17partition_subalgoE9EllbEEZZNS1_14partition_implILS5_9ELb0ES3_jPlS8_PNS0_10empty_typeENS0_5tupleIJS8_S9_EEENSB_IJS8_SA_EEENS0_18inequality_wrapperIZN2at6native12_GLOBAL__N_124unique_dim_cuda_templateIbEESt5tupleIJNSF_6TensorESK_SK_EERKSK_lbbbEUlllE0_EEPmJS9_EEE10hipError_tPvRmT3_T4_T5_T6_T7_T9_mT8_P12ihipStream_tbDpT10_ENKUlT_T0_E_clISt17integral_constantIbLb1EES1A_EEDaS15_S16_EUlS15_E_NS1_11comp_targetILNS1_3genE9ELNS1_11target_archE1100ELNS1_3gpuE3ELNS1_3repE0EEENS1_30default_config_static_selectorELNS0_4arch9wavefront6targetE1EEEvT1_,comdat
	.globl	_ZN7rocprim17ROCPRIM_400000_NS6detail17trampoline_kernelINS0_14default_configENS1_25partition_config_selectorILNS1_17partition_subalgoE9EllbEEZZNS1_14partition_implILS5_9ELb0ES3_jPlS8_PNS0_10empty_typeENS0_5tupleIJS8_S9_EEENSB_IJS8_SA_EEENS0_18inequality_wrapperIZN2at6native12_GLOBAL__N_124unique_dim_cuda_templateIbEESt5tupleIJNSF_6TensorESK_SK_EERKSK_lbbbEUlllE0_EEPmJS9_EEE10hipError_tPvRmT3_T4_T5_T6_T7_T9_mT8_P12ihipStream_tbDpT10_ENKUlT_T0_E_clISt17integral_constantIbLb1EES1A_EEDaS15_S16_EUlS15_E_NS1_11comp_targetILNS1_3genE9ELNS1_11target_archE1100ELNS1_3gpuE3ELNS1_3repE0EEENS1_30default_config_static_selectorELNS0_4arch9wavefront6targetE1EEEvT1_ ; -- Begin function _ZN7rocprim17ROCPRIM_400000_NS6detail17trampoline_kernelINS0_14default_configENS1_25partition_config_selectorILNS1_17partition_subalgoE9EllbEEZZNS1_14partition_implILS5_9ELb0ES3_jPlS8_PNS0_10empty_typeENS0_5tupleIJS8_S9_EEENSB_IJS8_SA_EEENS0_18inequality_wrapperIZN2at6native12_GLOBAL__N_124unique_dim_cuda_templateIbEESt5tupleIJNSF_6TensorESK_SK_EERKSK_lbbbEUlllE0_EEPmJS9_EEE10hipError_tPvRmT3_T4_T5_T6_T7_T9_mT8_P12ihipStream_tbDpT10_ENKUlT_T0_E_clISt17integral_constantIbLb1EES1A_EEDaS15_S16_EUlS15_E_NS1_11comp_targetILNS1_3genE9ELNS1_11target_archE1100ELNS1_3gpuE3ELNS1_3repE0EEENS1_30default_config_static_selectorELNS0_4arch9wavefront6targetE1EEEvT1_
	.p2align	8
	.type	_ZN7rocprim17ROCPRIM_400000_NS6detail17trampoline_kernelINS0_14default_configENS1_25partition_config_selectorILNS1_17partition_subalgoE9EllbEEZZNS1_14partition_implILS5_9ELb0ES3_jPlS8_PNS0_10empty_typeENS0_5tupleIJS8_S9_EEENSB_IJS8_SA_EEENS0_18inequality_wrapperIZN2at6native12_GLOBAL__N_124unique_dim_cuda_templateIbEESt5tupleIJNSF_6TensorESK_SK_EERKSK_lbbbEUlllE0_EEPmJS9_EEE10hipError_tPvRmT3_T4_T5_T6_T7_T9_mT8_P12ihipStream_tbDpT10_ENKUlT_T0_E_clISt17integral_constantIbLb1EES1A_EEDaS15_S16_EUlS15_E_NS1_11comp_targetILNS1_3genE9ELNS1_11target_archE1100ELNS1_3gpuE3ELNS1_3repE0EEENS1_30default_config_static_selectorELNS0_4arch9wavefront6targetE1EEEvT1_,@function
_ZN7rocprim17ROCPRIM_400000_NS6detail17trampoline_kernelINS0_14default_configENS1_25partition_config_selectorILNS1_17partition_subalgoE9EllbEEZZNS1_14partition_implILS5_9ELb0ES3_jPlS8_PNS0_10empty_typeENS0_5tupleIJS8_S9_EEENSB_IJS8_SA_EEENS0_18inequality_wrapperIZN2at6native12_GLOBAL__N_124unique_dim_cuda_templateIbEESt5tupleIJNSF_6TensorESK_SK_EERKSK_lbbbEUlllE0_EEPmJS9_EEE10hipError_tPvRmT3_T4_T5_T6_T7_T9_mT8_P12ihipStream_tbDpT10_ENKUlT_T0_E_clISt17integral_constantIbLb1EES1A_EEDaS15_S16_EUlS15_E_NS1_11comp_targetILNS1_3genE9ELNS1_11target_archE1100ELNS1_3gpuE3ELNS1_3repE0EEENS1_30default_config_static_selectorELNS0_4arch9wavefront6targetE1EEEvT1_: ; @_ZN7rocprim17ROCPRIM_400000_NS6detail17trampoline_kernelINS0_14default_configENS1_25partition_config_selectorILNS1_17partition_subalgoE9EllbEEZZNS1_14partition_implILS5_9ELb0ES3_jPlS8_PNS0_10empty_typeENS0_5tupleIJS8_S9_EEENSB_IJS8_SA_EEENS0_18inequality_wrapperIZN2at6native12_GLOBAL__N_124unique_dim_cuda_templateIbEESt5tupleIJNSF_6TensorESK_SK_EERKSK_lbbbEUlllE0_EEPmJS9_EEE10hipError_tPvRmT3_T4_T5_T6_T7_T9_mT8_P12ihipStream_tbDpT10_ENKUlT_T0_E_clISt17integral_constantIbLb1EES1A_EEDaS15_S16_EUlS15_E_NS1_11comp_targetILNS1_3genE9ELNS1_11target_archE1100ELNS1_3gpuE3ELNS1_3repE0EEENS1_30default_config_static_selectorELNS0_4arch9wavefront6targetE1EEEvT1_
; %bb.0:
	.section	.rodata,"a",@progbits
	.p2align	6, 0x0
	.amdhsa_kernel _ZN7rocprim17ROCPRIM_400000_NS6detail17trampoline_kernelINS0_14default_configENS1_25partition_config_selectorILNS1_17partition_subalgoE9EllbEEZZNS1_14partition_implILS5_9ELb0ES3_jPlS8_PNS0_10empty_typeENS0_5tupleIJS8_S9_EEENSB_IJS8_SA_EEENS0_18inequality_wrapperIZN2at6native12_GLOBAL__N_124unique_dim_cuda_templateIbEESt5tupleIJNSF_6TensorESK_SK_EERKSK_lbbbEUlllE0_EEPmJS9_EEE10hipError_tPvRmT3_T4_T5_T6_T7_T9_mT8_P12ihipStream_tbDpT10_ENKUlT_T0_E_clISt17integral_constantIbLb1EES1A_EEDaS15_S16_EUlS15_E_NS1_11comp_targetILNS1_3genE9ELNS1_11target_archE1100ELNS1_3gpuE3ELNS1_3repE0EEENS1_30default_config_static_selectorELNS0_4arch9wavefront6targetE1EEEvT1_
		.amdhsa_group_segment_fixed_size 0
		.amdhsa_private_segment_fixed_size 0
		.amdhsa_kernarg_size 136
		.amdhsa_user_sgpr_count 6
		.amdhsa_user_sgpr_private_segment_buffer 1
		.amdhsa_user_sgpr_dispatch_ptr 0
		.amdhsa_user_sgpr_queue_ptr 0
		.amdhsa_user_sgpr_kernarg_segment_ptr 1
		.amdhsa_user_sgpr_dispatch_id 0
		.amdhsa_user_sgpr_flat_scratch_init 0
		.amdhsa_user_sgpr_kernarg_preload_length 0
		.amdhsa_user_sgpr_kernarg_preload_offset 0
		.amdhsa_user_sgpr_private_segment_size 0
		.amdhsa_uses_dynamic_stack 0
		.amdhsa_system_sgpr_private_segment_wavefront_offset 0
		.amdhsa_system_sgpr_workgroup_id_x 1
		.amdhsa_system_sgpr_workgroup_id_y 0
		.amdhsa_system_sgpr_workgroup_id_z 0
		.amdhsa_system_sgpr_workgroup_info 0
		.amdhsa_system_vgpr_workitem_id 0
		.amdhsa_next_free_vgpr 1
		.amdhsa_next_free_sgpr 0
		.amdhsa_accum_offset 4
		.amdhsa_reserve_vcc 0
		.amdhsa_reserve_flat_scratch 0
		.amdhsa_float_round_mode_32 0
		.amdhsa_float_round_mode_16_64 0
		.amdhsa_float_denorm_mode_32 3
		.amdhsa_float_denorm_mode_16_64 3
		.amdhsa_dx10_clamp 1
		.amdhsa_ieee_mode 1
		.amdhsa_fp16_overflow 0
		.amdhsa_tg_split 0
		.amdhsa_exception_fp_ieee_invalid_op 0
		.amdhsa_exception_fp_denorm_src 0
		.amdhsa_exception_fp_ieee_div_zero 0
		.amdhsa_exception_fp_ieee_overflow 0
		.amdhsa_exception_fp_ieee_underflow 0
		.amdhsa_exception_fp_ieee_inexact 0
		.amdhsa_exception_int_div_zero 0
	.end_amdhsa_kernel
	.section	.text._ZN7rocprim17ROCPRIM_400000_NS6detail17trampoline_kernelINS0_14default_configENS1_25partition_config_selectorILNS1_17partition_subalgoE9EllbEEZZNS1_14partition_implILS5_9ELb0ES3_jPlS8_PNS0_10empty_typeENS0_5tupleIJS8_S9_EEENSB_IJS8_SA_EEENS0_18inequality_wrapperIZN2at6native12_GLOBAL__N_124unique_dim_cuda_templateIbEESt5tupleIJNSF_6TensorESK_SK_EERKSK_lbbbEUlllE0_EEPmJS9_EEE10hipError_tPvRmT3_T4_T5_T6_T7_T9_mT8_P12ihipStream_tbDpT10_ENKUlT_T0_E_clISt17integral_constantIbLb1EES1A_EEDaS15_S16_EUlS15_E_NS1_11comp_targetILNS1_3genE9ELNS1_11target_archE1100ELNS1_3gpuE3ELNS1_3repE0EEENS1_30default_config_static_selectorELNS0_4arch9wavefront6targetE1EEEvT1_,"axG",@progbits,_ZN7rocprim17ROCPRIM_400000_NS6detail17trampoline_kernelINS0_14default_configENS1_25partition_config_selectorILNS1_17partition_subalgoE9EllbEEZZNS1_14partition_implILS5_9ELb0ES3_jPlS8_PNS0_10empty_typeENS0_5tupleIJS8_S9_EEENSB_IJS8_SA_EEENS0_18inequality_wrapperIZN2at6native12_GLOBAL__N_124unique_dim_cuda_templateIbEESt5tupleIJNSF_6TensorESK_SK_EERKSK_lbbbEUlllE0_EEPmJS9_EEE10hipError_tPvRmT3_T4_T5_T6_T7_T9_mT8_P12ihipStream_tbDpT10_ENKUlT_T0_E_clISt17integral_constantIbLb1EES1A_EEDaS15_S16_EUlS15_E_NS1_11comp_targetILNS1_3genE9ELNS1_11target_archE1100ELNS1_3gpuE3ELNS1_3repE0EEENS1_30default_config_static_selectorELNS0_4arch9wavefront6targetE1EEEvT1_,comdat
.Lfunc_end1097:
	.size	_ZN7rocprim17ROCPRIM_400000_NS6detail17trampoline_kernelINS0_14default_configENS1_25partition_config_selectorILNS1_17partition_subalgoE9EllbEEZZNS1_14partition_implILS5_9ELb0ES3_jPlS8_PNS0_10empty_typeENS0_5tupleIJS8_S9_EEENSB_IJS8_SA_EEENS0_18inequality_wrapperIZN2at6native12_GLOBAL__N_124unique_dim_cuda_templateIbEESt5tupleIJNSF_6TensorESK_SK_EERKSK_lbbbEUlllE0_EEPmJS9_EEE10hipError_tPvRmT3_T4_T5_T6_T7_T9_mT8_P12ihipStream_tbDpT10_ENKUlT_T0_E_clISt17integral_constantIbLb1EES1A_EEDaS15_S16_EUlS15_E_NS1_11comp_targetILNS1_3genE9ELNS1_11target_archE1100ELNS1_3gpuE3ELNS1_3repE0EEENS1_30default_config_static_selectorELNS0_4arch9wavefront6targetE1EEEvT1_, .Lfunc_end1097-_ZN7rocprim17ROCPRIM_400000_NS6detail17trampoline_kernelINS0_14default_configENS1_25partition_config_selectorILNS1_17partition_subalgoE9EllbEEZZNS1_14partition_implILS5_9ELb0ES3_jPlS8_PNS0_10empty_typeENS0_5tupleIJS8_S9_EEENSB_IJS8_SA_EEENS0_18inequality_wrapperIZN2at6native12_GLOBAL__N_124unique_dim_cuda_templateIbEESt5tupleIJNSF_6TensorESK_SK_EERKSK_lbbbEUlllE0_EEPmJS9_EEE10hipError_tPvRmT3_T4_T5_T6_T7_T9_mT8_P12ihipStream_tbDpT10_ENKUlT_T0_E_clISt17integral_constantIbLb1EES1A_EEDaS15_S16_EUlS15_E_NS1_11comp_targetILNS1_3genE9ELNS1_11target_archE1100ELNS1_3gpuE3ELNS1_3repE0EEENS1_30default_config_static_selectorELNS0_4arch9wavefront6targetE1EEEvT1_
                                        ; -- End function
	.section	.AMDGPU.csdata,"",@progbits
; Kernel info:
; codeLenInByte = 0
; NumSgprs: 4
; NumVgprs: 0
; NumAgprs: 0
; TotalNumVgprs: 0
; ScratchSize: 0
; MemoryBound: 0
; FloatMode: 240
; IeeeMode: 1
; LDSByteSize: 0 bytes/workgroup (compile time only)
; SGPRBlocks: 0
; VGPRBlocks: 0
; NumSGPRsForWavesPerEU: 4
; NumVGPRsForWavesPerEU: 1
; AccumOffset: 4
; Occupancy: 8
; WaveLimiterHint : 0
; COMPUTE_PGM_RSRC2:SCRATCH_EN: 0
; COMPUTE_PGM_RSRC2:USER_SGPR: 6
; COMPUTE_PGM_RSRC2:TRAP_HANDLER: 0
; COMPUTE_PGM_RSRC2:TGID_X_EN: 1
; COMPUTE_PGM_RSRC2:TGID_Y_EN: 0
; COMPUTE_PGM_RSRC2:TGID_Z_EN: 0
; COMPUTE_PGM_RSRC2:TIDIG_COMP_CNT: 0
; COMPUTE_PGM_RSRC3_GFX90A:ACCUM_OFFSET: 0
; COMPUTE_PGM_RSRC3_GFX90A:TG_SPLIT: 0
	.section	.text._ZN7rocprim17ROCPRIM_400000_NS6detail17trampoline_kernelINS0_14default_configENS1_25partition_config_selectorILNS1_17partition_subalgoE9EllbEEZZNS1_14partition_implILS5_9ELb0ES3_jPlS8_PNS0_10empty_typeENS0_5tupleIJS8_S9_EEENSB_IJS8_SA_EEENS0_18inequality_wrapperIZN2at6native12_GLOBAL__N_124unique_dim_cuda_templateIbEESt5tupleIJNSF_6TensorESK_SK_EERKSK_lbbbEUlllE0_EEPmJS9_EEE10hipError_tPvRmT3_T4_T5_T6_T7_T9_mT8_P12ihipStream_tbDpT10_ENKUlT_T0_E_clISt17integral_constantIbLb1EES1A_EEDaS15_S16_EUlS15_E_NS1_11comp_targetILNS1_3genE8ELNS1_11target_archE1030ELNS1_3gpuE2ELNS1_3repE0EEENS1_30default_config_static_selectorELNS0_4arch9wavefront6targetE1EEEvT1_,"axG",@progbits,_ZN7rocprim17ROCPRIM_400000_NS6detail17trampoline_kernelINS0_14default_configENS1_25partition_config_selectorILNS1_17partition_subalgoE9EllbEEZZNS1_14partition_implILS5_9ELb0ES3_jPlS8_PNS0_10empty_typeENS0_5tupleIJS8_S9_EEENSB_IJS8_SA_EEENS0_18inequality_wrapperIZN2at6native12_GLOBAL__N_124unique_dim_cuda_templateIbEESt5tupleIJNSF_6TensorESK_SK_EERKSK_lbbbEUlllE0_EEPmJS9_EEE10hipError_tPvRmT3_T4_T5_T6_T7_T9_mT8_P12ihipStream_tbDpT10_ENKUlT_T0_E_clISt17integral_constantIbLb1EES1A_EEDaS15_S16_EUlS15_E_NS1_11comp_targetILNS1_3genE8ELNS1_11target_archE1030ELNS1_3gpuE2ELNS1_3repE0EEENS1_30default_config_static_selectorELNS0_4arch9wavefront6targetE1EEEvT1_,comdat
	.globl	_ZN7rocprim17ROCPRIM_400000_NS6detail17trampoline_kernelINS0_14default_configENS1_25partition_config_selectorILNS1_17partition_subalgoE9EllbEEZZNS1_14partition_implILS5_9ELb0ES3_jPlS8_PNS0_10empty_typeENS0_5tupleIJS8_S9_EEENSB_IJS8_SA_EEENS0_18inequality_wrapperIZN2at6native12_GLOBAL__N_124unique_dim_cuda_templateIbEESt5tupleIJNSF_6TensorESK_SK_EERKSK_lbbbEUlllE0_EEPmJS9_EEE10hipError_tPvRmT3_T4_T5_T6_T7_T9_mT8_P12ihipStream_tbDpT10_ENKUlT_T0_E_clISt17integral_constantIbLb1EES1A_EEDaS15_S16_EUlS15_E_NS1_11comp_targetILNS1_3genE8ELNS1_11target_archE1030ELNS1_3gpuE2ELNS1_3repE0EEENS1_30default_config_static_selectorELNS0_4arch9wavefront6targetE1EEEvT1_ ; -- Begin function _ZN7rocprim17ROCPRIM_400000_NS6detail17trampoline_kernelINS0_14default_configENS1_25partition_config_selectorILNS1_17partition_subalgoE9EllbEEZZNS1_14partition_implILS5_9ELb0ES3_jPlS8_PNS0_10empty_typeENS0_5tupleIJS8_S9_EEENSB_IJS8_SA_EEENS0_18inequality_wrapperIZN2at6native12_GLOBAL__N_124unique_dim_cuda_templateIbEESt5tupleIJNSF_6TensorESK_SK_EERKSK_lbbbEUlllE0_EEPmJS9_EEE10hipError_tPvRmT3_T4_T5_T6_T7_T9_mT8_P12ihipStream_tbDpT10_ENKUlT_T0_E_clISt17integral_constantIbLb1EES1A_EEDaS15_S16_EUlS15_E_NS1_11comp_targetILNS1_3genE8ELNS1_11target_archE1030ELNS1_3gpuE2ELNS1_3repE0EEENS1_30default_config_static_selectorELNS0_4arch9wavefront6targetE1EEEvT1_
	.p2align	8
	.type	_ZN7rocprim17ROCPRIM_400000_NS6detail17trampoline_kernelINS0_14default_configENS1_25partition_config_selectorILNS1_17partition_subalgoE9EllbEEZZNS1_14partition_implILS5_9ELb0ES3_jPlS8_PNS0_10empty_typeENS0_5tupleIJS8_S9_EEENSB_IJS8_SA_EEENS0_18inequality_wrapperIZN2at6native12_GLOBAL__N_124unique_dim_cuda_templateIbEESt5tupleIJNSF_6TensorESK_SK_EERKSK_lbbbEUlllE0_EEPmJS9_EEE10hipError_tPvRmT3_T4_T5_T6_T7_T9_mT8_P12ihipStream_tbDpT10_ENKUlT_T0_E_clISt17integral_constantIbLb1EES1A_EEDaS15_S16_EUlS15_E_NS1_11comp_targetILNS1_3genE8ELNS1_11target_archE1030ELNS1_3gpuE2ELNS1_3repE0EEENS1_30default_config_static_selectorELNS0_4arch9wavefront6targetE1EEEvT1_,@function
_ZN7rocprim17ROCPRIM_400000_NS6detail17trampoline_kernelINS0_14default_configENS1_25partition_config_selectorILNS1_17partition_subalgoE9EllbEEZZNS1_14partition_implILS5_9ELb0ES3_jPlS8_PNS0_10empty_typeENS0_5tupleIJS8_S9_EEENSB_IJS8_SA_EEENS0_18inequality_wrapperIZN2at6native12_GLOBAL__N_124unique_dim_cuda_templateIbEESt5tupleIJNSF_6TensorESK_SK_EERKSK_lbbbEUlllE0_EEPmJS9_EEE10hipError_tPvRmT3_T4_T5_T6_T7_T9_mT8_P12ihipStream_tbDpT10_ENKUlT_T0_E_clISt17integral_constantIbLb1EES1A_EEDaS15_S16_EUlS15_E_NS1_11comp_targetILNS1_3genE8ELNS1_11target_archE1030ELNS1_3gpuE2ELNS1_3repE0EEENS1_30default_config_static_selectorELNS0_4arch9wavefront6targetE1EEEvT1_: ; @_ZN7rocprim17ROCPRIM_400000_NS6detail17trampoline_kernelINS0_14default_configENS1_25partition_config_selectorILNS1_17partition_subalgoE9EllbEEZZNS1_14partition_implILS5_9ELb0ES3_jPlS8_PNS0_10empty_typeENS0_5tupleIJS8_S9_EEENSB_IJS8_SA_EEENS0_18inequality_wrapperIZN2at6native12_GLOBAL__N_124unique_dim_cuda_templateIbEESt5tupleIJNSF_6TensorESK_SK_EERKSK_lbbbEUlllE0_EEPmJS9_EEE10hipError_tPvRmT3_T4_T5_T6_T7_T9_mT8_P12ihipStream_tbDpT10_ENKUlT_T0_E_clISt17integral_constantIbLb1EES1A_EEDaS15_S16_EUlS15_E_NS1_11comp_targetILNS1_3genE8ELNS1_11target_archE1030ELNS1_3gpuE2ELNS1_3repE0EEENS1_30default_config_static_selectorELNS0_4arch9wavefront6targetE1EEEvT1_
; %bb.0:
	.section	.rodata,"a",@progbits
	.p2align	6, 0x0
	.amdhsa_kernel _ZN7rocprim17ROCPRIM_400000_NS6detail17trampoline_kernelINS0_14default_configENS1_25partition_config_selectorILNS1_17partition_subalgoE9EllbEEZZNS1_14partition_implILS5_9ELb0ES3_jPlS8_PNS0_10empty_typeENS0_5tupleIJS8_S9_EEENSB_IJS8_SA_EEENS0_18inequality_wrapperIZN2at6native12_GLOBAL__N_124unique_dim_cuda_templateIbEESt5tupleIJNSF_6TensorESK_SK_EERKSK_lbbbEUlllE0_EEPmJS9_EEE10hipError_tPvRmT3_T4_T5_T6_T7_T9_mT8_P12ihipStream_tbDpT10_ENKUlT_T0_E_clISt17integral_constantIbLb1EES1A_EEDaS15_S16_EUlS15_E_NS1_11comp_targetILNS1_3genE8ELNS1_11target_archE1030ELNS1_3gpuE2ELNS1_3repE0EEENS1_30default_config_static_selectorELNS0_4arch9wavefront6targetE1EEEvT1_
		.amdhsa_group_segment_fixed_size 0
		.amdhsa_private_segment_fixed_size 0
		.amdhsa_kernarg_size 136
		.amdhsa_user_sgpr_count 6
		.amdhsa_user_sgpr_private_segment_buffer 1
		.amdhsa_user_sgpr_dispatch_ptr 0
		.amdhsa_user_sgpr_queue_ptr 0
		.amdhsa_user_sgpr_kernarg_segment_ptr 1
		.amdhsa_user_sgpr_dispatch_id 0
		.amdhsa_user_sgpr_flat_scratch_init 0
		.amdhsa_user_sgpr_kernarg_preload_length 0
		.amdhsa_user_sgpr_kernarg_preload_offset 0
		.amdhsa_user_sgpr_private_segment_size 0
		.amdhsa_uses_dynamic_stack 0
		.amdhsa_system_sgpr_private_segment_wavefront_offset 0
		.amdhsa_system_sgpr_workgroup_id_x 1
		.amdhsa_system_sgpr_workgroup_id_y 0
		.amdhsa_system_sgpr_workgroup_id_z 0
		.amdhsa_system_sgpr_workgroup_info 0
		.amdhsa_system_vgpr_workitem_id 0
		.amdhsa_next_free_vgpr 1
		.amdhsa_next_free_sgpr 0
		.amdhsa_accum_offset 4
		.amdhsa_reserve_vcc 0
		.amdhsa_reserve_flat_scratch 0
		.amdhsa_float_round_mode_32 0
		.amdhsa_float_round_mode_16_64 0
		.amdhsa_float_denorm_mode_32 3
		.amdhsa_float_denorm_mode_16_64 3
		.amdhsa_dx10_clamp 1
		.amdhsa_ieee_mode 1
		.amdhsa_fp16_overflow 0
		.amdhsa_tg_split 0
		.amdhsa_exception_fp_ieee_invalid_op 0
		.amdhsa_exception_fp_denorm_src 0
		.amdhsa_exception_fp_ieee_div_zero 0
		.amdhsa_exception_fp_ieee_overflow 0
		.amdhsa_exception_fp_ieee_underflow 0
		.amdhsa_exception_fp_ieee_inexact 0
		.amdhsa_exception_int_div_zero 0
	.end_amdhsa_kernel
	.section	.text._ZN7rocprim17ROCPRIM_400000_NS6detail17trampoline_kernelINS0_14default_configENS1_25partition_config_selectorILNS1_17partition_subalgoE9EllbEEZZNS1_14partition_implILS5_9ELb0ES3_jPlS8_PNS0_10empty_typeENS0_5tupleIJS8_S9_EEENSB_IJS8_SA_EEENS0_18inequality_wrapperIZN2at6native12_GLOBAL__N_124unique_dim_cuda_templateIbEESt5tupleIJNSF_6TensorESK_SK_EERKSK_lbbbEUlllE0_EEPmJS9_EEE10hipError_tPvRmT3_T4_T5_T6_T7_T9_mT8_P12ihipStream_tbDpT10_ENKUlT_T0_E_clISt17integral_constantIbLb1EES1A_EEDaS15_S16_EUlS15_E_NS1_11comp_targetILNS1_3genE8ELNS1_11target_archE1030ELNS1_3gpuE2ELNS1_3repE0EEENS1_30default_config_static_selectorELNS0_4arch9wavefront6targetE1EEEvT1_,"axG",@progbits,_ZN7rocprim17ROCPRIM_400000_NS6detail17trampoline_kernelINS0_14default_configENS1_25partition_config_selectorILNS1_17partition_subalgoE9EllbEEZZNS1_14partition_implILS5_9ELb0ES3_jPlS8_PNS0_10empty_typeENS0_5tupleIJS8_S9_EEENSB_IJS8_SA_EEENS0_18inequality_wrapperIZN2at6native12_GLOBAL__N_124unique_dim_cuda_templateIbEESt5tupleIJNSF_6TensorESK_SK_EERKSK_lbbbEUlllE0_EEPmJS9_EEE10hipError_tPvRmT3_T4_T5_T6_T7_T9_mT8_P12ihipStream_tbDpT10_ENKUlT_T0_E_clISt17integral_constantIbLb1EES1A_EEDaS15_S16_EUlS15_E_NS1_11comp_targetILNS1_3genE8ELNS1_11target_archE1030ELNS1_3gpuE2ELNS1_3repE0EEENS1_30default_config_static_selectorELNS0_4arch9wavefront6targetE1EEEvT1_,comdat
.Lfunc_end1098:
	.size	_ZN7rocprim17ROCPRIM_400000_NS6detail17trampoline_kernelINS0_14default_configENS1_25partition_config_selectorILNS1_17partition_subalgoE9EllbEEZZNS1_14partition_implILS5_9ELb0ES3_jPlS8_PNS0_10empty_typeENS0_5tupleIJS8_S9_EEENSB_IJS8_SA_EEENS0_18inequality_wrapperIZN2at6native12_GLOBAL__N_124unique_dim_cuda_templateIbEESt5tupleIJNSF_6TensorESK_SK_EERKSK_lbbbEUlllE0_EEPmJS9_EEE10hipError_tPvRmT3_T4_T5_T6_T7_T9_mT8_P12ihipStream_tbDpT10_ENKUlT_T0_E_clISt17integral_constantIbLb1EES1A_EEDaS15_S16_EUlS15_E_NS1_11comp_targetILNS1_3genE8ELNS1_11target_archE1030ELNS1_3gpuE2ELNS1_3repE0EEENS1_30default_config_static_selectorELNS0_4arch9wavefront6targetE1EEEvT1_, .Lfunc_end1098-_ZN7rocprim17ROCPRIM_400000_NS6detail17trampoline_kernelINS0_14default_configENS1_25partition_config_selectorILNS1_17partition_subalgoE9EllbEEZZNS1_14partition_implILS5_9ELb0ES3_jPlS8_PNS0_10empty_typeENS0_5tupleIJS8_S9_EEENSB_IJS8_SA_EEENS0_18inequality_wrapperIZN2at6native12_GLOBAL__N_124unique_dim_cuda_templateIbEESt5tupleIJNSF_6TensorESK_SK_EERKSK_lbbbEUlllE0_EEPmJS9_EEE10hipError_tPvRmT3_T4_T5_T6_T7_T9_mT8_P12ihipStream_tbDpT10_ENKUlT_T0_E_clISt17integral_constantIbLb1EES1A_EEDaS15_S16_EUlS15_E_NS1_11comp_targetILNS1_3genE8ELNS1_11target_archE1030ELNS1_3gpuE2ELNS1_3repE0EEENS1_30default_config_static_selectorELNS0_4arch9wavefront6targetE1EEEvT1_
                                        ; -- End function
	.section	.AMDGPU.csdata,"",@progbits
; Kernel info:
; codeLenInByte = 0
; NumSgprs: 4
; NumVgprs: 0
; NumAgprs: 0
; TotalNumVgprs: 0
; ScratchSize: 0
; MemoryBound: 0
; FloatMode: 240
; IeeeMode: 1
; LDSByteSize: 0 bytes/workgroup (compile time only)
; SGPRBlocks: 0
; VGPRBlocks: 0
; NumSGPRsForWavesPerEU: 4
; NumVGPRsForWavesPerEU: 1
; AccumOffset: 4
; Occupancy: 8
; WaveLimiterHint : 0
; COMPUTE_PGM_RSRC2:SCRATCH_EN: 0
; COMPUTE_PGM_RSRC2:USER_SGPR: 6
; COMPUTE_PGM_RSRC2:TRAP_HANDLER: 0
; COMPUTE_PGM_RSRC2:TGID_X_EN: 1
; COMPUTE_PGM_RSRC2:TGID_Y_EN: 0
; COMPUTE_PGM_RSRC2:TGID_Z_EN: 0
; COMPUTE_PGM_RSRC2:TIDIG_COMP_CNT: 0
; COMPUTE_PGM_RSRC3_GFX90A:ACCUM_OFFSET: 0
; COMPUTE_PGM_RSRC3_GFX90A:TG_SPLIT: 0
	.section	.text._ZN7rocprim17ROCPRIM_400000_NS6detail17trampoline_kernelINS0_14default_configENS1_25partition_config_selectorILNS1_17partition_subalgoE9EllbEEZZNS1_14partition_implILS5_9ELb0ES3_jPlS8_PNS0_10empty_typeENS0_5tupleIJS8_S9_EEENSB_IJS8_SA_EEENS0_18inequality_wrapperIZN2at6native12_GLOBAL__N_124unique_dim_cuda_templateIbEESt5tupleIJNSF_6TensorESK_SK_EERKSK_lbbbEUlllE0_EEPmJS9_EEE10hipError_tPvRmT3_T4_T5_T6_T7_T9_mT8_P12ihipStream_tbDpT10_ENKUlT_T0_E_clISt17integral_constantIbLb1EES19_IbLb0EEEEDaS15_S16_EUlS15_E_NS1_11comp_targetILNS1_3genE0ELNS1_11target_archE4294967295ELNS1_3gpuE0ELNS1_3repE0EEENS1_30default_config_static_selectorELNS0_4arch9wavefront6targetE1EEEvT1_,"axG",@progbits,_ZN7rocprim17ROCPRIM_400000_NS6detail17trampoline_kernelINS0_14default_configENS1_25partition_config_selectorILNS1_17partition_subalgoE9EllbEEZZNS1_14partition_implILS5_9ELb0ES3_jPlS8_PNS0_10empty_typeENS0_5tupleIJS8_S9_EEENSB_IJS8_SA_EEENS0_18inequality_wrapperIZN2at6native12_GLOBAL__N_124unique_dim_cuda_templateIbEESt5tupleIJNSF_6TensorESK_SK_EERKSK_lbbbEUlllE0_EEPmJS9_EEE10hipError_tPvRmT3_T4_T5_T6_T7_T9_mT8_P12ihipStream_tbDpT10_ENKUlT_T0_E_clISt17integral_constantIbLb1EES19_IbLb0EEEEDaS15_S16_EUlS15_E_NS1_11comp_targetILNS1_3genE0ELNS1_11target_archE4294967295ELNS1_3gpuE0ELNS1_3repE0EEENS1_30default_config_static_selectorELNS0_4arch9wavefront6targetE1EEEvT1_,comdat
	.globl	_ZN7rocprim17ROCPRIM_400000_NS6detail17trampoline_kernelINS0_14default_configENS1_25partition_config_selectorILNS1_17partition_subalgoE9EllbEEZZNS1_14partition_implILS5_9ELb0ES3_jPlS8_PNS0_10empty_typeENS0_5tupleIJS8_S9_EEENSB_IJS8_SA_EEENS0_18inequality_wrapperIZN2at6native12_GLOBAL__N_124unique_dim_cuda_templateIbEESt5tupleIJNSF_6TensorESK_SK_EERKSK_lbbbEUlllE0_EEPmJS9_EEE10hipError_tPvRmT3_T4_T5_T6_T7_T9_mT8_P12ihipStream_tbDpT10_ENKUlT_T0_E_clISt17integral_constantIbLb1EES19_IbLb0EEEEDaS15_S16_EUlS15_E_NS1_11comp_targetILNS1_3genE0ELNS1_11target_archE4294967295ELNS1_3gpuE0ELNS1_3repE0EEENS1_30default_config_static_selectorELNS0_4arch9wavefront6targetE1EEEvT1_ ; -- Begin function _ZN7rocprim17ROCPRIM_400000_NS6detail17trampoline_kernelINS0_14default_configENS1_25partition_config_selectorILNS1_17partition_subalgoE9EllbEEZZNS1_14partition_implILS5_9ELb0ES3_jPlS8_PNS0_10empty_typeENS0_5tupleIJS8_S9_EEENSB_IJS8_SA_EEENS0_18inequality_wrapperIZN2at6native12_GLOBAL__N_124unique_dim_cuda_templateIbEESt5tupleIJNSF_6TensorESK_SK_EERKSK_lbbbEUlllE0_EEPmJS9_EEE10hipError_tPvRmT3_T4_T5_T6_T7_T9_mT8_P12ihipStream_tbDpT10_ENKUlT_T0_E_clISt17integral_constantIbLb1EES19_IbLb0EEEEDaS15_S16_EUlS15_E_NS1_11comp_targetILNS1_3genE0ELNS1_11target_archE4294967295ELNS1_3gpuE0ELNS1_3repE0EEENS1_30default_config_static_selectorELNS0_4arch9wavefront6targetE1EEEvT1_
	.p2align	8
	.type	_ZN7rocprim17ROCPRIM_400000_NS6detail17trampoline_kernelINS0_14default_configENS1_25partition_config_selectorILNS1_17partition_subalgoE9EllbEEZZNS1_14partition_implILS5_9ELb0ES3_jPlS8_PNS0_10empty_typeENS0_5tupleIJS8_S9_EEENSB_IJS8_SA_EEENS0_18inequality_wrapperIZN2at6native12_GLOBAL__N_124unique_dim_cuda_templateIbEESt5tupleIJNSF_6TensorESK_SK_EERKSK_lbbbEUlllE0_EEPmJS9_EEE10hipError_tPvRmT3_T4_T5_T6_T7_T9_mT8_P12ihipStream_tbDpT10_ENKUlT_T0_E_clISt17integral_constantIbLb1EES19_IbLb0EEEEDaS15_S16_EUlS15_E_NS1_11comp_targetILNS1_3genE0ELNS1_11target_archE4294967295ELNS1_3gpuE0ELNS1_3repE0EEENS1_30default_config_static_selectorELNS0_4arch9wavefront6targetE1EEEvT1_,@function
_ZN7rocprim17ROCPRIM_400000_NS6detail17trampoline_kernelINS0_14default_configENS1_25partition_config_selectorILNS1_17partition_subalgoE9EllbEEZZNS1_14partition_implILS5_9ELb0ES3_jPlS8_PNS0_10empty_typeENS0_5tupleIJS8_S9_EEENSB_IJS8_SA_EEENS0_18inequality_wrapperIZN2at6native12_GLOBAL__N_124unique_dim_cuda_templateIbEESt5tupleIJNSF_6TensorESK_SK_EERKSK_lbbbEUlllE0_EEPmJS9_EEE10hipError_tPvRmT3_T4_T5_T6_T7_T9_mT8_P12ihipStream_tbDpT10_ENKUlT_T0_E_clISt17integral_constantIbLb1EES19_IbLb0EEEEDaS15_S16_EUlS15_E_NS1_11comp_targetILNS1_3genE0ELNS1_11target_archE4294967295ELNS1_3gpuE0ELNS1_3repE0EEENS1_30default_config_static_selectorELNS0_4arch9wavefront6targetE1EEEvT1_: ; @_ZN7rocprim17ROCPRIM_400000_NS6detail17trampoline_kernelINS0_14default_configENS1_25partition_config_selectorILNS1_17partition_subalgoE9EllbEEZZNS1_14partition_implILS5_9ELb0ES3_jPlS8_PNS0_10empty_typeENS0_5tupleIJS8_S9_EEENSB_IJS8_SA_EEENS0_18inequality_wrapperIZN2at6native12_GLOBAL__N_124unique_dim_cuda_templateIbEESt5tupleIJNSF_6TensorESK_SK_EERKSK_lbbbEUlllE0_EEPmJS9_EEE10hipError_tPvRmT3_T4_T5_T6_T7_T9_mT8_P12ihipStream_tbDpT10_ENKUlT_T0_E_clISt17integral_constantIbLb1EES19_IbLb0EEEEDaS15_S16_EUlS15_E_NS1_11comp_targetILNS1_3genE0ELNS1_11target_archE4294967295ELNS1_3gpuE0ELNS1_3repE0EEENS1_30default_config_static_selectorELNS0_4arch9wavefront6targetE1EEEvT1_
; %bb.0:
	.section	.rodata,"a",@progbits
	.p2align	6, 0x0
	.amdhsa_kernel _ZN7rocprim17ROCPRIM_400000_NS6detail17trampoline_kernelINS0_14default_configENS1_25partition_config_selectorILNS1_17partition_subalgoE9EllbEEZZNS1_14partition_implILS5_9ELb0ES3_jPlS8_PNS0_10empty_typeENS0_5tupleIJS8_S9_EEENSB_IJS8_SA_EEENS0_18inequality_wrapperIZN2at6native12_GLOBAL__N_124unique_dim_cuda_templateIbEESt5tupleIJNSF_6TensorESK_SK_EERKSK_lbbbEUlllE0_EEPmJS9_EEE10hipError_tPvRmT3_T4_T5_T6_T7_T9_mT8_P12ihipStream_tbDpT10_ENKUlT_T0_E_clISt17integral_constantIbLb1EES19_IbLb0EEEEDaS15_S16_EUlS15_E_NS1_11comp_targetILNS1_3genE0ELNS1_11target_archE4294967295ELNS1_3gpuE0ELNS1_3repE0EEENS1_30default_config_static_selectorELNS0_4arch9wavefront6targetE1EEEvT1_
		.amdhsa_group_segment_fixed_size 0
		.amdhsa_private_segment_fixed_size 0
		.amdhsa_kernarg_size 120
		.amdhsa_user_sgpr_count 6
		.amdhsa_user_sgpr_private_segment_buffer 1
		.amdhsa_user_sgpr_dispatch_ptr 0
		.amdhsa_user_sgpr_queue_ptr 0
		.amdhsa_user_sgpr_kernarg_segment_ptr 1
		.amdhsa_user_sgpr_dispatch_id 0
		.amdhsa_user_sgpr_flat_scratch_init 0
		.amdhsa_user_sgpr_kernarg_preload_length 0
		.amdhsa_user_sgpr_kernarg_preload_offset 0
		.amdhsa_user_sgpr_private_segment_size 0
		.amdhsa_uses_dynamic_stack 0
		.amdhsa_system_sgpr_private_segment_wavefront_offset 0
		.amdhsa_system_sgpr_workgroup_id_x 1
		.amdhsa_system_sgpr_workgroup_id_y 0
		.amdhsa_system_sgpr_workgroup_id_z 0
		.amdhsa_system_sgpr_workgroup_info 0
		.amdhsa_system_vgpr_workitem_id 0
		.amdhsa_next_free_vgpr 1
		.amdhsa_next_free_sgpr 0
		.amdhsa_accum_offset 4
		.amdhsa_reserve_vcc 0
		.amdhsa_reserve_flat_scratch 0
		.amdhsa_float_round_mode_32 0
		.amdhsa_float_round_mode_16_64 0
		.amdhsa_float_denorm_mode_32 3
		.amdhsa_float_denorm_mode_16_64 3
		.amdhsa_dx10_clamp 1
		.amdhsa_ieee_mode 1
		.amdhsa_fp16_overflow 0
		.amdhsa_tg_split 0
		.amdhsa_exception_fp_ieee_invalid_op 0
		.amdhsa_exception_fp_denorm_src 0
		.amdhsa_exception_fp_ieee_div_zero 0
		.amdhsa_exception_fp_ieee_overflow 0
		.amdhsa_exception_fp_ieee_underflow 0
		.amdhsa_exception_fp_ieee_inexact 0
		.amdhsa_exception_int_div_zero 0
	.end_amdhsa_kernel
	.section	.text._ZN7rocprim17ROCPRIM_400000_NS6detail17trampoline_kernelINS0_14default_configENS1_25partition_config_selectorILNS1_17partition_subalgoE9EllbEEZZNS1_14partition_implILS5_9ELb0ES3_jPlS8_PNS0_10empty_typeENS0_5tupleIJS8_S9_EEENSB_IJS8_SA_EEENS0_18inequality_wrapperIZN2at6native12_GLOBAL__N_124unique_dim_cuda_templateIbEESt5tupleIJNSF_6TensorESK_SK_EERKSK_lbbbEUlllE0_EEPmJS9_EEE10hipError_tPvRmT3_T4_T5_T6_T7_T9_mT8_P12ihipStream_tbDpT10_ENKUlT_T0_E_clISt17integral_constantIbLb1EES19_IbLb0EEEEDaS15_S16_EUlS15_E_NS1_11comp_targetILNS1_3genE0ELNS1_11target_archE4294967295ELNS1_3gpuE0ELNS1_3repE0EEENS1_30default_config_static_selectorELNS0_4arch9wavefront6targetE1EEEvT1_,"axG",@progbits,_ZN7rocprim17ROCPRIM_400000_NS6detail17trampoline_kernelINS0_14default_configENS1_25partition_config_selectorILNS1_17partition_subalgoE9EllbEEZZNS1_14partition_implILS5_9ELb0ES3_jPlS8_PNS0_10empty_typeENS0_5tupleIJS8_S9_EEENSB_IJS8_SA_EEENS0_18inequality_wrapperIZN2at6native12_GLOBAL__N_124unique_dim_cuda_templateIbEESt5tupleIJNSF_6TensorESK_SK_EERKSK_lbbbEUlllE0_EEPmJS9_EEE10hipError_tPvRmT3_T4_T5_T6_T7_T9_mT8_P12ihipStream_tbDpT10_ENKUlT_T0_E_clISt17integral_constantIbLb1EES19_IbLb0EEEEDaS15_S16_EUlS15_E_NS1_11comp_targetILNS1_3genE0ELNS1_11target_archE4294967295ELNS1_3gpuE0ELNS1_3repE0EEENS1_30default_config_static_selectorELNS0_4arch9wavefront6targetE1EEEvT1_,comdat
.Lfunc_end1099:
	.size	_ZN7rocprim17ROCPRIM_400000_NS6detail17trampoline_kernelINS0_14default_configENS1_25partition_config_selectorILNS1_17partition_subalgoE9EllbEEZZNS1_14partition_implILS5_9ELb0ES3_jPlS8_PNS0_10empty_typeENS0_5tupleIJS8_S9_EEENSB_IJS8_SA_EEENS0_18inequality_wrapperIZN2at6native12_GLOBAL__N_124unique_dim_cuda_templateIbEESt5tupleIJNSF_6TensorESK_SK_EERKSK_lbbbEUlllE0_EEPmJS9_EEE10hipError_tPvRmT3_T4_T5_T6_T7_T9_mT8_P12ihipStream_tbDpT10_ENKUlT_T0_E_clISt17integral_constantIbLb1EES19_IbLb0EEEEDaS15_S16_EUlS15_E_NS1_11comp_targetILNS1_3genE0ELNS1_11target_archE4294967295ELNS1_3gpuE0ELNS1_3repE0EEENS1_30default_config_static_selectorELNS0_4arch9wavefront6targetE1EEEvT1_, .Lfunc_end1099-_ZN7rocprim17ROCPRIM_400000_NS6detail17trampoline_kernelINS0_14default_configENS1_25partition_config_selectorILNS1_17partition_subalgoE9EllbEEZZNS1_14partition_implILS5_9ELb0ES3_jPlS8_PNS0_10empty_typeENS0_5tupleIJS8_S9_EEENSB_IJS8_SA_EEENS0_18inequality_wrapperIZN2at6native12_GLOBAL__N_124unique_dim_cuda_templateIbEESt5tupleIJNSF_6TensorESK_SK_EERKSK_lbbbEUlllE0_EEPmJS9_EEE10hipError_tPvRmT3_T4_T5_T6_T7_T9_mT8_P12ihipStream_tbDpT10_ENKUlT_T0_E_clISt17integral_constantIbLb1EES19_IbLb0EEEEDaS15_S16_EUlS15_E_NS1_11comp_targetILNS1_3genE0ELNS1_11target_archE4294967295ELNS1_3gpuE0ELNS1_3repE0EEENS1_30default_config_static_selectorELNS0_4arch9wavefront6targetE1EEEvT1_
                                        ; -- End function
	.section	.AMDGPU.csdata,"",@progbits
; Kernel info:
; codeLenInByte = 0
; NumSgprs: 4
; NumVgprs: 0
; NumAgprs: 0
; TotalNumVgprs: 0
; ScratchSize: 0
; MemoryBound: 0
; FloatMode: 240
; IeeeMode: 1
; LDSByteSize: 0 bytes/workgroup (compile time only)
; SGPRBlocks: 0
; VGPRBlocks: 0
; NumSGPRsForWavesPerEU: 4
; NumVGPRsForWavesPerEU: 1
; AccumOffset: 4
; Occupancy: 8
; WaveLimiterHint : 0
; COMPUTE_PGM_RSRC2:SCRATCH_EN: 0
; COMPUTE_PGM_RSRC2:USER_SGPR: 6
; COMPUTE_PGM_RSRC2:TRAP_HANDLER: 0
; COMPUTE_PGM_RSRC2:TGID_X_EN: 1
; COMPUTE_PGM_RSRC2:TGID_Y_EN: 0
; COMPUTE_PGM_RSRC2:TGID_Z_EN: 0
; COMPUTE_PGM_RSRC2:TIDIG_COMP_CNT: 0
; COMPUTE_PGM_RSRC3_GFX90A:ACCUM_OFFSET: 0
; COMPUTE_PGM_RSRC3_GFX90A:TG_SPLIT: 0
	.section	.text._ZN7rocprim17ROCPRIM_400000_NS6detail17trampoline_kernelINS0_14default_configENS1_25partition_config_selectorILNS1_17partition_subalgoE9EllbEEZZNS1_14partition_implILS5_9ELb0ES3_jPlS8_PNS0_10empty_typeENS0_5tupleIJS8_S9_EEENSB_IJS8_SA_EEENS0_18inequality_wrapperIZN2at6native12_GLOBAL__N_124unique_dim_cuda_templateIbEESt5tupleIJNSF_6TensorESK_SK_EERKSK_lbbbEUlllE0_EEPmJS9_EEE10hipError_tPvRmT3_T4_T5_T6_T7_T9_mT8_P12ihipStream_tbDpT10_ENKUlT_T0_E_clISt17integral_constantIbLb1EES19_IbLb0EEEEDaS15_S16_EUlS15_E_NS1_11comp_targetILNS1_3genE5ELNS1_11target_archE942ELNS1_3gpuE9ELNS1_3repE0EEENS1_30default_config_static_selectorELNS0_4arch9wavefront6targetE1EEEvT1_,"axG",@progbits,_ZN7rocprim17ROCPRIM_400000_NS6detail17trampoline_kernelINS0_14default_configENS1_25partition_config_selectorILNS1_17partition_subalgoE9EllbEEZZNS1_14partition_implILS5_9ELb0ES3_jPlS8_PNS0_10empty_typeENS0_5tupleIJS8_S9_EEENSB_IJS8_SA_EEENS0_18inequality_wrapperIZN2at6native12_GLOBAL__N_124unique_dim_cuda_templateIbEESt5tupleIJNSF_6TensorESK_SK_EERKSK_lbbbEUlllE0_EEPmJS9_EEE10hipError_tPvRmT3_T4_T5_T6_T7_T9_mT8_P12ihipStream_tbDpT10_ENKUlT_T0_E_clISt17integral_constantIbLb1EES19_IbLb0EEEEDaS15_S16_EUlS15_E_NS1_11comp_targetILNS1_3genE5ELNS1_11target_archE942ELNS1_3gpuE9ELNS1_3repE0EEENS1_30default_config_static_selectorELNS0_4arch9wavefront6targetE1EEEvT1_,comdat
	.globl	_ZN7rocprim17ROCPRIM_400000_NS6detail17trampoline_kernelINS0_14default_configENS1_25partition_config_selectorILNS1_17partition_subalgoE9EllbEEZZNS1_14partition_implILS5_9ELb0ES3_jPlS8_PNS0_10empty_typeENS0_5tupleIJS8_S9_EEENSB_IJS8_SA_EEENS0_18inequality_wrapperIZN2at6native12_GLOBAL__N_124unique_dim_cuda_templateIbEESt5tupleIJNSF_6TensorESK_SK_EERKSK_lbbbEUlllE0_EEPmJS9_EEE10hipError_tPvRmT3_T4_T5_T6_T7_T9_mT8_P12ihipStream_tbDpT10_ENKUlT_T0_E_clISt17integral_constantIbLb1EES19_IbLb0EEEEDaS15_S16_EUlS15_E_NS1_11comp_targetILNS1_3genE5ELNS1_11target_archE942ELNS1_3gpuE9ELNS1_3repE0EEENS1_30default_config_static_selectorELNS0_4arch9wavefront6targetE1EEEvT1_ ; -- Begin function _ZN7rocprim17ROCPRIM_400000_NS6detail17trampoline_kernelINS0_14default_configENS1_25partition_config_selectorILNS1_17partition_subalgoE9EllbEEZZNS1_14partition_implILS5_9ELb0ES3_jPlS8_PNS0_10empty_typeENS0_5tupleIJS8_S9_EEENSB_IJS8_SA_EEENS0_18inequality_wrapperIZN2at6native12_GLOBAL__N_124unique_dim_cuda_templateIbEESt5tupleIJNSF_6TensorESK_SK_EERKSK_lbbbEUlllE0_EEPmJS9_EEE10hipError_tPvRmT3_T4_T5_T6_T7_T9_mT8_P12ihipStream_tbDpT10_ENKUlT_T0_E_clISt17integral_constantIbLb1EES19_IbLb0EEEEDaS15_S16_EUlS15_E_NS1_11comp_targetILNS1_3genE5ELNS1_11target_archE942ELNS1_3gpuE9ELNS1_3repE0EEENS1_30default_config_static_selectorELNS0_4arch9wavefront6targetE1EEEvT1_
	.p2align	8
	.type	_ZN7rocprim17ROCPRIM_400000_NS6detail17trampoline_kernelINS0_14default_configENS1_25partition_config_selectorILNS1_17partition_subalgoE9EllbEEZZNS1_14partition_implILS5_9ELb0ES3_jPlS8_PNS0_10empty_typeENS0_5tupleIJS8_S9_EEENSB_IJS8_SA_EEENS0_18inequality_wrapperIZN2at6native12_GLOBAL__N_124unique_dim_cuda_templateIbEESt5tupleIJNSF_6TensorESK_SK_EERKSK_lbbbEUlllE0_EEPmJS9_EEE10hipError_tPvRmT3_T4_T5_T6_T7_T9_mT8_P12ihipStream_tbDpT10_ENKUlT_T0_E_clISt17integral_constantIbLb1EES19_IbLb0EEEEDaS15_S16_EUlS15_E_NS1_11comp_targetILNS1_3genE5ELNS1_11target_archE942ELNS1_3gpuE9ELNS1_3repE0EEENS1_30default_config_static_selectorELNS0_4arch9wavefront6targetE1EEEvT1_,@function
_ZN7rocprim17ROCPRIM_400000_NS6detail17trampoline_kernelINS0_14default_configENS1_25partition_config_selectorILNS1_17partition_subalgoE9EllbEEZZNS1_14partition_implILS5_9ELb0ES3_jPlS8_PNS0_10empty_typeENS0_5tupleIJS8_S9_EEENSB_IJS8_SA_EEENS0_18inequality_wrapperIZN2at6native12_GLOBAL__N_124unique_dim_cuda_templateIbEESt5tupleIJNSF_6TensorESK_SK_EERKSK_lbbbEUlllE0_EEPmJS9_EEE10hipError_tPvRmT3_T4_T5_T6_T7_T9_mT8_P12ihipStream_tbDpT10_ENKUlT_T0_E_clISt17integral_constantIbLb1EES19_IbLb0EEEEDaS15_S16_EUlS15_E_NS1_11comp_targetILNS1_3genE5ELNS1_11target_archE942ELNS1_3gpuE9ELNS1_3repE0EEENS1_30default_config_static_selectorELNS0_4arch9wavefront6targetE1EEEvT1_: ; @_ZN7rocprim17ROCPRIM_400000_NS6detail17trampoline_kernelINS0_14default_configENS1_25partition_config_selectorILNS1_17partition_subalgoE9EllbEEZZNS1_14partition_implILS5_9ELb0ES3_jPlS8_PNS0_10empty_typeENS0_5tupleIJS8_S9_EEENSB_IJS8_SA_EEENS0_18inequality_wrapperIZN2at6native12_GLOBAL__N_124unique_dim_cuda_templateIbEESt5tupleIJNSF_6TensorESK_SK_EERKSK_lbbbEUlllE0_EEPmJS9_EEE10hipError_tPvRmT3_T4_T5_T6_T7_T9_mT8_P12ihipStream_tbDpT10_ENKUlT_T0_E_clISt17integral_constantIbLb1EES19_IbLb0EEEEDaS15_S16_EUlS15_E_NS1_11comp_targetILNS1_3genE5ELNS1_11target_archE942ELNS1_3gpuE9ELNS1_3repE0EEENS1_30default_config_static_selectorELNS0_4arch9wavefront6targetE1EEEvT1_
; %bb.0:
	.section	.rodata,"a",@progbits
	.p2align	6, 0x0
	.amdhsa_kernel _ZN7rocprim17ROCPRIM_400000_NS6detail17trampoline_kernelINS0_14default_configENS1_25partition_config_selectorILNS1_17partition_subalgoE9EllbEEZZNS1_14partition_implILS5_9ELb0ES3_jPlS8_PNS0_10empty_typeENS0_5tupleIJS8_S9_EEENSB_IJS8_SA_EEENS0_18inequality_wrapperIZN2at6native12_GLOBAL__N_124unique_dim_cuda_templateIbEESt5tupleIJNSF_6TensorESK_SK_EERKSK_lbbbEUlllE0_EEPmJS9_EEE10hipError_tPvRmT3_T4_T5_T6_T7_T9_mT8_P12ihipStream_tbDpT10_ENKUlT_T0_E_clISt17integral_constantIbLb1EES19_IbLb0EEEEDaS15_S16_EUlS15_E_NS1_11comp_targetILNS1_3genE5ELNS1_11target_archE942ELNS1_3gpuE9ELNS1_3repE0EEENS1_30default_config_static_selectorELNS0_4arch9wavefront6targetE1EEEvT1_
		.amdhsa_group_segment_fixed_size 0
		.amdhsa_private_segment_fixed_size 0
		.amdhsa_kernarg_size 120
		.amdhsa_user_sgpr_count 6
		.amdhsa_user_sgpr_private_segment_buffer 1
		.amdhsa_user_sgpr_dispatch_ptr 0
		.amdhsa_user_sgpr_queue_ptr 0
		.amdhsa_user_sgpr_kernarg_segment_ptr 1
		.amdhsa_user_sgpr_dispatch_id 0
		.amdhsa_user_sgpr_flat_scratch_init 0
		.amdhsa_user_sgpr_kernarg_preload_length 0
		.amdhsa_user_sgpr_kernarg_preload_offset 0
		.amdhsa_user_sgpr_private_segment_size 0
		.amdhsa_uses_dynamic_stack 0
		.amdhsa_system_sgpr_private_segment_wavefront_offset 0
		.amdhsa_system_sgpr_workgroup_id_x 1
		.amdhsa_system_sgpr_workgroup_id_y 0
		.amdhsa_system_sgpr_workgroup_id_z 0
		.amdhsa_system_sgpr_workgroup_info 0
		.amdhsa_system_vgpr_workitem_id 0
		.amdhsa_next_free_vgpr 1
		.amdhsa_next_free_sgpr 0
		.amdhsa_accum_offset 4
		.amdhsa_reserve_vcc 0
		.amdhsa_reserve_flat_scratch 0
		.amdhsa_float_round_mode_32 0
		.amdhsa_float_round_mode_16_64 0
		.amdhsa_float_denorm_mode_32 3
		.amdhsa_float_denorm_mode_16_64 3
		.amdhsa_dx10_clamp 1
		.amdhsa_ieee_mode 1
		.amdhsa_fp16_overflow 0
		.amdhsa_tg_split 0
		.amdhsa_exception_fp_ieee_invalid_op 0
		.amdhsa_exception_fp_denorm_src 0
		.amdhsa_exception_fp_ieee_div_zero 0
		.amdhsa_exception_fp_ieee_overflow 0
		.amdhsa_exception_fp_ieee_underflow 0
		.amdhsa_exception_fp_ieee_inexact 0
		.amdhsa_exception_int_div_zero 0
	.end_amdhsa_kernel
	.section	.text._ZN7rocprim17ROCPRIM_400000_NS6detail17trampoline_kernelINS0_14default_configENS1_25partition_config_selectorILNS1_17partition_subalgoE9EllbEEZZNS1_14partition_implILS5_9ELb0ES3_jPlS8_PNS0_10empty_typeENS0_5tupleIJS8_S9_EEENSB_IJS8_SA_EEENS0_18inequality_wrapperIZN2at6native12_GLOBAL__N_124unique_dim_cuda_templateIbEESt5tupleIJNSF_6TensorESK_SK_EERKSK_lbbbEUlllE0_EEPmJS9_EEE10hipError_tPvRmT3_T4_T5_T6_T7_T9_mT8_P12ihipStream_tbDpT10_ENKUlT_T0_E_clISt17integral_constantIbLb1EES19_IbLb0EEEEDaS15_S16_EUlS15_E_NS1_11comp_targetILNS1_3genE5ELNS1_11target_archE942ELNS1_3gpuE9ELNS1_3repE0EEENS1_30default_config_static_selectorELNS0_4arch9wavefront6targetE1EEEvT1_,"axG",@progbits,_ZN7rocprim17ROCPRIM_400000_NS6detail17trampoline_kernelINS0_14default_configENS1_25partition_config_selectorILNS1_17partition_subalgoE9EllbEEZZNS1_14partition_implILS5_9ELb0ES3_jPlS8_PNS0_10empty_typeENS0_5tupleIJS8_S9_EEENSB_IJS8_SA_EEENS0_18inequality_wrapperIZN2at6native12_GLOBAL__N_124unique_dim_cuda_templateIbEESt5tupleIJNSF_6TensorESK_SK_EERKSK_lbbbEUlllE0_EEPmJS9_EEE10hipError_tPvRmT3_T4_T5_T6_T7_T9_mT8_P12ihipStream_tbDpT10_ENKUlT_T0_E_clISt17integral_constantIbLb1EES19_IbLb0EEEEDaS15_S16_EUlS15_E_NS1_11comp_targetILNS1_3genE5ELNS1_11target_archE942ELNS1_3gpuE9ELNS1_3repE0EEENS1_30default_config_static_selectorELNS0_4arch9wavefront6targetE1EEEvT1_,comdat
.Lfunc_end1100:
	.size	_ZN7rocprim17ROCPRIM_400000_NS6detail17trampoline_kernelINS0_14default_configENS1_25partition_config_selectorILNS1_17partition_subalgoE9EllbEEZZNS1_14partition_implILS5_9ELb0ES3_jPlS8_PNS0_10empty_typeENS0_5tupleIJS8_S9_EEENSB_IJS8_SA_EEENS0_18inequality_wrapperIZN2at6native12_GLOBAL__N_124unique_dim_cuda_templateIbEESt5tupleIJNSF_6TensorESK_SK_EERKSK_lbbbEUlllE0_EEPmJS9_EEE10hipError_tPvRmT3_T4_T5_T6_T7_T9_mT8_P12ihipStream_tbDpT10_ENKUlT_T0_E_clISt17integral_constantIbLb1EES19_IbLb0EEEEDaS15_S16_EUlS15_E_NS1_11comp_targetILNS1_3genE5ELNS1_11target_archE942ELNS1_3gpuE9ELNS1_3repE0EEENS1_30default_config_static_selectorELNS0_4arch9wavefront6targetE1EEEvT1_, .Lfunc_end1100-_ZN7rocprim17ROCPRIM_400000_NS6detail17trampoline_kernelINS0_14default_configENS1_25partition_config_selectorILNS1_17partition_subalgoE9EllbEEZZNS1_14partition_implILS5_9ELb0ES3_jPlS8_PNS0_10empty_typeENS0_5tupleIJS8_S9_EEENSB_IJS8_SA_EEENS0_18inequality_wrapperIZN2at6native12_GLOBAL__N_124unique_dim_cuda_templateIbEESt5tupleIJNSF_6TensorESK_SK_EERKSK_lbbbEUlllE0_EEPmJS9_EEE10hipError_tPvRmT3_T4_T5_T6_T7_T9_mT8_P12ihipStream_tbDpT10_ENKUlT_T0_E_clISt17integral_constantIbLb1EES19_IbLb0EEEEDaS15_S16_EUlS15_E_NS1_11comp_targetILNS1_3genE5ELNS1_11target_archE942ELNS1_3gpuE9ELNS1_3repE0EEENS1_30default_config_static_selectorELNS0_4arch9wavefront6targetE1EEEvT1_
                                        ; -- End function
	.section	.AMDGPU.csdata,"",@progbits
; Kernel info:
; codeLenInByte = 0
; NumSgprs: 4
; NumVgprs: 0
; NumAgprs: 0
; TotalNumVgprs: 0
; ScratchSize: 0
; MemoryBound: 0
; FloatMode: 240
; IeeeMode: 1
; LDSByteSize: 0 bytes/workgroup (compile time only)
; SGPRBlocks: 0
; VGPRBlocks: 0
; NumSGPRsForWavesPerEU: 4
; NumVGPRsForWavesPerEU: 1
; AccumOffset: 4
; Occupancy: 8
; WaveLimiterHint : 0
; COMPUTE_PGM_RSRC2:SCRATCH_EN: 0
; COMPUTE_PGM_RSRC2:USER_SGPR: 6
; COMPUTE_PGM_RSRC2:TRAP_HANDLER: 0
; COMPUTE_PGM_RSRC2:TGID_X_EN: 1
; COMPUTE_PGM_RSRC2:TGID_Y_EN: 0
; COMPUTE_PGM_RSRC2:TGID_Z_EN: 0
; COMPUTE_PGM_RSRC2:TIDIG_COMP_CNT: 0
; COMPUTE_PGM_RSRC3_GFX90A:ACCUM_OFFSET: 0
; COMPUTE_PGM_RSRC3_GFX90A:TG_SPLIT: 0
	.section	.text._ZN7rocprim17ROCPRIM_400000_NS6detail17trampoline_kernelINS0_14default_configENS1_25partition_config_selectorILNS1_17partition_subalgoE9EllbEEZZNS1_14partition_implILS5_9ELb0ES3_jPlS8_PNS0_10empty_typeENS0_5tupleIJS8_S9_EEENSB_IJS8_SA_EEENS0_18inequality_wrapperIZN2at6native12_GLOBAL__N_124unique_dim_cuda_templateIbEESt5tupleIJNSF_6TensorESK_SK_EERKSK_lbbbEUlllE0_EEPmJS9_EEE10hipError_tPvRmT3_T4_T5_T6_T7_T9_mT8_P12ihipStream_tbDpT10_ENKUlT_T0_E_clISt17integral_constantIbLb1EES19_IbLb0EEEEDaS15_S16_EUlS15_E_NS1_11comp_targetILNS1_3genE4ELNS1_11target_archE910ELNS1_3gpuE8ELNS1_3repE0EEENS1_30default_config_static_selectorELNS0_4arch9wavefront6targetE1EEEvT1_,"axG",@progbits,_ZN7rocprim17ROCPRIM_400000_NS6detail17trampoline_kernelINS0_14default_configENS1_25partition_config_selectorILNS1_17partition_subalgoE9EllbEEZZNS1_14partition_implILS5_9ELb0ES3_jPlS8_PNS0_10empty_typeENS0_5tupleIJS8_S9_EEENSB_IJS8_SA_EEENS0_18inequality_wrapperIZN2at6native12_GLOBAL__N_124unique_dim_cuda_templateIbEESt5tupleIJNSF_6TensorESK_SK_EERKSK_lbbbEUlllE0_EEPmJS9_EEE10hipError_tPvRmT3_T4_T5_T6_T7_T9_mT8_P12ihipStream_tbDpT10_ENKUlT_T0_E_clISt17integral_constantIbLb1EES19_IbLb0EEEEDaS15_S16_EUlS15_E_NS1_11comp_targetILNS1_3genE4ELNS1_11target_archE910ELNS1_3gpuE8ELNS1_3repE0EEENS1_30default_config_static_selectorELNS0_4arch9wavefront6targetE1EEEvT1_,comdat
	.globl	_ZN7rocprim17ROCPRIM_400000_NS6detail17trampoline_kernelINS0_14default_configENS1_25partition_config_selectorILNS1_17partition_subalgoE9EllbEEZZNS1_14partition_implILS5_9ELb0ES3_jPlS8_PNS0_10empty_typeENS0_5tupleIJS8_S9_EEENSB_IJS8_SA_EEENS0_18inequality_wrapperIZN2at6native12_GLOBAL__N_124unique_dim_cuda_templateIbEESt5tupleIJNSF_6TensorESK_SK_EERKSK_lbbbEUlllE0_EEPmJS9_EEE10hipError_tPvRmT3_T4_T5_T6_T7_T9_mT8_P12ihipStream_tbDpT10_ENKUlT_T0_E_clISt17integral_constantIbLb1EES19_IbLb0EEEEDaS15_S16_EUlS15_E_NS1_11comp_targetILNS1_3genE4ELNS1_11target_archE910ELNS1_3gpuE8ELNS1_3repE0EEENS1_30default_config_static_selectorELNS0_4arch9wavefront6targetE1EEEvT1_ ; -- Begin function _ZN7rocprim17ROCPRIM_400000_NS6detail17trampoline_kernelINS0_14default_configENS1_25partition_config_selectorILNS1_17partition_subalgoE9EllbEEZZNS1_14partition_implILS5_9ELb0ES3_jPlS8_PNS0_10empty_typeENS0_5tupleIJS8_S9_EEENSB_IJS8_SA_EEENS0_18inequality_wrapperIZN2at6native12_GLOBAL__N_124unique_dim_cuda_templateIbEESt5tupleIJNSF_6TensorESK_SK_EERKSK_lbbbEUlllE0_EEPmJS9_EEE10hipError_tPvRmT3_T4_T5_T6_T7_T9_mT8_P12ihipStream_tbDpT10_ENKUlT_T0_E_clISt17integral_constantIbLb1EES19_IbLb0EEEEDaS15_S16_EUlS15_E_NS1_11comp_targetILNS1_3genE4ELNS1_11target_archE910ELNS1_3gpuE8ELNS1_3repE0EEENS1_30default_config_static_selectorELNS0_4arch9wavefront6targetE1EEEvT1_
	.p2align	8
	.type	_ZN7rocprim17ROCPRIM_400000_NS6detail17trampoline_kernelINS0_14default_configENS1_25partition_config_selectorILNS1_17partition_subalgoE9EllbEEZZNS1_14partition_implILS5_9ELb0ES3_jPlS8_PNS0_10empty_typeENS0_5tupleIJS8_S9_EEENSB_IJS8_SA_EEENS0_18inequality_wrapperIZN2at6native12_GLOBAL__N_124unique_dim_cuda_templateIbEESt5tupleIJNSF_6TensorESK_SK_EERKSK_lbbbEUlllE0_EEPmJS9_EEE10hipError_tPvRmT3_T4_T5_T6_T7_T9_mT8_P12ihipStream_tbDpT10_ENKUlT_T0_E_clISt17integral_constantIbLb1EES19_IbLb0EEEEDaS15_S16_EUlS15_E_NS1_11comp_targetILNS1_3genE4ELNS1_11target_archE910ELNS1_3gpuE8ELNS1_3repE0EEENS1_30default_config_static_selectorELNS0_4arch9wavefront6targetE1EEEvT1_,@function
_ZN7rocprim17ROCPRIM_400000_NS6detail17trampoline_kernelINS0_14default_configENS1_25partition_config_selectorILNS1_17partition_subalgoE9EllbEEZZNS1_14partition_implILS5_9ELb0ES3_jPlS8_PNS0_10empty_typeENS0_5tupleIJS8_S9_EEENSB_IJS8_SA_EEENS0_18inequality_wrapperIZN2at6native12_GLOBAL__N_124unique_dim_cuda_templateIbEESt5tupleIJNSF_6TensorESK_SK_EERKSK_lbbbEUlllE0_EEPmJS9_EEE10hipError_tPvRmT3_T4_T5_T6_T7_T9_mT8_P12ihipStream_tbDpT10_ENKUlT_T0_E_clISt17integral_constantIbLb1EES19_IbLb0EEEEDaS15_S16_EUlS15_E_NS1_11comp_targetILNS1_3genE4ELNS1_11target_archE910ELNS1_3gpuE8ELNS1_3repE0EEENS1_30default_config_static_selectorELNS0_4arch9wavefront6targetE1EEEvT1_: ; @_ZN7rocprim17ROCPRIM_400000_NS6detail17trampoline_kernelINS0_14default_configENS1_25partition_config_selectorILNS1_17partition_subalgoE9EllbEEZZNS1_14partition_implILS5_9ELb0ES3_jPlS8_PNS0_10empty_typeENS0_5tupleIJS8_S9_EEENSB_IJS8_SA_EEENS0_18inequality_wrapperIZN2at6native12_GLOBAL__N_124unique_dim_cuda_templateIbEESt5tupleIJNSF_6TensorESK_SK_EERKSK_lbbbEUlllE0_EEPmJS9_EEE10hipError_tPvRmT3_T4_T5_T6_T7_T9_mT8_P12ihipStream_tbDpT10_ENKUlT_T0_E_clISt17integral_constantIbLb1EES19_IbLb0EEEEDaS15_S16_EUlS15_E_NS1_11comp_targetILNS1_3genE4ELNS1_11target_archE910ELNS1_3gpuE8ELNS1_3repE0EEENS1_30default_config_static_selectorELNS0_4arch9wavefront6targetE1EEEvT1_
; %bb.0:
	s_load_dwordx8 s[20:27], s[4:5], 0x40
	s_load_dwordx4 s[0:3], s[4:5], 0x8
	s_load_dwordx2 s[12:13], s[4:5], 0x18
	s_load_dword s9, s[4:5], 0x70
	v_lshrrev_b32_e32 v18, 2, v0
	s_waitcnt lgkmcnt(0)
	v_mov_b32_e32 v2, s24
	s_lshl_b64 s[14:15], s[2:3], 3
	s_add_u32 s18, s0, s14
	s_addc_u32 s19, s1, s15
	s_add_i32 s10, s9, -1
	s_lshl_b32 s0, s10, 9
	s_add_i32 s0, s2, s0
	s_lshl_b32 s8, s6, 9
	s_sub_i32 s7, s24, s0
	s_lshl_b32 s0, s9, 9
	s_add_u32 s0, s2, s0
	s_addc_u32 s1, s3, 0
	v_mov_b32_e32 v3, s25
	s_cmp_eq_u32 s6, s10
	s_load_dwordx2 s[22:23], s[22:23], 0x0
	v_cmp_ge_u64_e32 vcc, s[0:1], v[2:3]
	s_cselect_b64 s[24:25], -1, 0
	s_mov_b32 s9, 0
	s_and_b64 s[10:11], s[24:25], vcc
	s_xor_b64 s[34:35], s[10:11], -1
	s_lshl_b64 s[16:17], s[8:9], 3
	s_add_u32 s8, s18, s16
	s_mov_b64 s[0:1], -1
	s_addc_u32 s9, s19, s17
	s_and_b64 vcc, exec, s[34:35]
	s_cbranch_vccz .LBB1101_2
; %bb.1:
	v_lshlrev_b32_e32 v1, 3, v0
	global_load_dwordx2 v[2:3], v1, s[8:9]
	global_load_dwordx2 v[4:5], v1, s[8:9] offset:1024
	global_load_dwordx2 v[6:7], v1, s[8:9] offset:2048
	;; [unrolled: 1-line block ×3, first 2 shown]
	v_or_b32_e32 v11, 0x80, v0
	v_or_b32_e32 v12, 0x100, v0
	;; [unrolled: 1-line block ×3, first 2 shown]
	v_and_b32_e32 v10, 24, v18
	v_lshrrev_b32_e32 v11, 2, v11
	v_lshrrev_b32_e32 v12, 2, v12
	v_lshrrev_b32_e32 v13, 2, v13
	v_add_u32_e32 v10, v10, v1
	v_and_b32_e32 v11, 56, v11
	v_and_b32_e32 v12, 0x58, v12
	;; [unrolled: 1-line block ×3, first 2 shown]
	v_add_u32_e32 v11, v11, v1
	v_add_u32_e32 v12, v12, v1
	;; [unrolled: 1-line block ×3, first 2 shown]
	s_mov_b64 s[0:1], 0
	s_waitcnt vmcnt(3)
	ds_write_b64 v10, v[2:3]
	s_waitcnt vmcnt(2)
	ds_write_b64 v11, v[4:5] offset:1024
	s_waitcnt vmcnt(1)
	ds_write_b64 v12, v[6:7] offset:2048
	;; [unrolled: 2-line block ×3, first 2 shown]
	s_waitcnt lgkmcnt(0)
	s_barrier
.LBB1101_2:
	s_load_dwordx4 s[28:31], s[4:5], 0x60
	s_andn2_b64 vcc, exec, s[0:1]
	v_cmp_gt_u32_e64 s[0:1], s7, v0
	s_cbranch_vccnz .LBB1101_12
; %bb.3:
                                        ; implicit-def: $vgpr2_vgpr3_vgpr4_vgpr5_vgpr6_vgpr7_vgpr8_vgpr9
	s_and_saveexec_b64 s[18:19], s[0:1]
	s_cbranch_execz .LBB1101_5
; %bb.4:
	v_lshlrev_b32_e32 v1, 3, v0
	global_load_dwordx2 v[2:3], v1, s[8:9]
.LBB1101_5:
	s_or_b64 exec, exec, s[18:19]
	v_or_b32_e32 v1, 0x80, v0
	v_cmp_gt_u32_e32 vcc, s7, v1
	s_and_saveexec_b64 s[0:1], vcc
	s_cbranch_execz .LBB1101_7
; %bb.6:
	v_lshlrev_b32_e32 v4, 3, v0
	global_load_dwordx2 v[4:5], v4, s[8:9] offset:1024
.LBB1101_7:
	s_or_b64 exec, exec, s[0:1]
	v_or_b32_e32 v10, 0x100, v0
	v_cmp_gt_u32_e32 vcc, s7, v10
	s_and_saveexec_b64 s[0:1], vcc
	s_cbranch_execz .LBB1101_9
; %bb.8:
	v_lshlrev_b32_e32 v6, 3, v0
	global_load_dwordx2 v[6:7], v6, s[8:9] offset:2048
.LBB1101_9:
	;; [unrolled: 9-line block ×3, first 2 shown]
	s_or_b64 exec, exec, s[0:1]
	v_lshrrev_b32_e32 v1, 2, v1
	v_lshlrev_b32_e32 v13, 3, v0
	v_and_b32_e32 v1, 56, v1
	v_add_u32_e32 v1, v1, v13
	s_waitcnt vmcnt(0)
	ds_write_b64 v1, v[4:5] offset:1024
	v_lshrrev_b32_e32 v1, 2, v10
	v_and_b32_e32 v1, 0x78, v1
	v_add_u32_e32 v1, v1, v13
	ds_write_b64 v1, v[6:7] offset:2048
	v_lshrrev_b32_e32 v1, 2, v11
	v_and_b32_e32 v12, 24, v18
	v_and_b32_e32 v1, 0x78, v1
	v_add_u32_e32 v12, v12, v13
	v_add_u32_e32 v1, v1, v13
	ds_write_b64 v12, v[2:3]
	ds_write_b64 v1, v[8:9] offset:3072
	s_waitcnt lgkmcnt(0)
	s_barrier
.LBB1101_12:
	v_lshlrev_b32_e32 v1, 2, v0
	v_lshrrev_b32_e32 v2, 3, v0
	v_add_lshl_u32 v19, v2, v1, 3
	s_waitcnt lgkmcnt(0)
	ds_read2_b64 v[14:17], v19 offset1:1
	ds_read2_b64 v[10:13], v19 offset0:2 offset1:3
	s_add_u32 s0, s12, s14
	s_addc_u32 s1, s13, s15
	s_add_u32 s0, s0, s16
	s_addc_u32 s1, s1, s17
	s_mov_b64 s[12:13], -1
	s_and_b64 vcc, exec, s[34:35]
	s_waitcnt lgkmcnt(0)
	s_barrier
	s_cbranch_vccz .LBB1101_14
; %bb.13:
	v_lshlrev_b32_e32 v20, 3, v0
	global_load_dwordx2 v[2:3], v20, s[0:1]
	global_load_dwordx2 v[4:5], v20, s[0:1] offset:1024
	global_load_dwordx2 v[6:7], v20, s[0:1] offset:2048
	;; [unrolled: 1-line block ×3, first 2 shown]
	v_or_b32_e32 v22, 0x80, v0
	v_or_b32_e32 v23, 0x100, v0
	;; [unrolled: 1-line block ×3, first 2 shown]
	v_and_b32_e32 v21, 24, v18
	v_lshrrev_b32_e32 v22, 2, v22
	v_lshrrev_b32_e32 v23, 2, v23
	;; [unrolled: 1-line block ×3, first 2 shown]
	v_add_u32_e32 v21, v21, v20
	v_and_b32_e32 v22, 56, v22
	v_and_b32_e32 v23, 0x58, v23
	;; [unrolled: 1-line block ×3, first 2 shown]
	v_add_u32_e32 v22, v22, v20
	v_add_u32_e32 v23, v23, v20
	;; [unrolled: 1-line block ×3, first 2 shown]
	s_mov_b64 s[12:13], 0
	s_waitcnt vmcnt(3)
	ds_write_b64 v21, v[2:3]
	s_waitcnt vmcnt(2)
	ds_write_b64 v22, v[4:5] offset:1024
	s_waitcnt vmcnt(1)
	ds_write_b64 v23, v[6:7] offset:2048
	;; [unrolled: 2-line block ×3, first 2 shown]
	s_waitcnt lgkmcnt(0)
	s_barrier
.LBB1101_14:
	s_andn2_b64 vcc, exec, s[12:13]
	s_cbranch_vccnz .LBB1101_24
; %bb.15:
	v_cmp_gt_u32_e32 vcc, s7, v0
                                        ; implicit-def: $vgpr2_vgpr3
	s_and_saveexec_b64 s[12:13], vcc
	s_cbranch_execz .LBB1101_17
; %bb.16:
	v_lshlrev_b32_e32 v2, 3, v0
	global_load_dwordx2 v[2:3], v2, s[0:1]
.LBB1101_17:
	s_or_b64 exec, exec, s[12:13]
	v_or_b32_e32 v20, 0x80, v0
	v_cmp_gt_u32_e32 vcc, s7, v20
                                        ; implicit-def: $vgpr4_vgpr5
	s_and_saveexec_b64 s[12:13], vcc
	s_cbranch_execz .LBB1101_19
; %bb.18:
	v_lshlrev_b32_e32 v4, 3, v0
	global_load_dwordx2 v[4:5], v4, s[0:1] offset:1024
.LBB1101_19:
	s_or_b64 exec, exec, s[12:13]
	v_or_b32_e32 v21, 0x100, v0
	v_cmp_gt_u32_e32 vcc, s7, v21
                                        ; implicit-def: $vgpr6_vgpr7
	s_and_saveexec_b64 s[12:13], vcc
	s_cbranch_execz .LBB1101_21
; %bb.20:
	v_lshlrev_b32_e32 v6, 3, v0
	global_load_dwordx2 v[6:7], v6, s[0:1] offset:2048
.LBB1101_21:
	s_or_b64 exec, exec, s[12:13]
	v_or_b32_e32 v22, 0x180, v0
	v_cmp_gt_u32_e32 vcc, s7, v22
                                        ; implicit-def: $vgpr8_vgpr9
	s_and_saveexec_b64 s[12:13], vcc
	s_cbranch_execz .LBB1101_23
; %bb.22:
	v_lshlrev_b32_e32 v8, 3, v0
	global_load_dwordx2 v[8:9], v8, s[0:1] offset:3072
.LBB1101_23:
	s_or_b64 exec, exec, s[12:13]
	v_and_b32_e32 v18, 24, v18
	v_lshlrev_b32_e32 v23, 3, v0
	v_add_u32_e32 v18, v18, v23
	s_waitcnt vmcnt(0)
	ds_write_b64 v18, v[2:3]
	v_lshrrev_b32_e32 v2, 2, v20
	v_and_b32_e32 v2, 56, v2
	v_add_u32_e32 v2, v2, v23
	ds_write_b64 v2, v[4:5] offset:1024
	v_lshrrev_b32_e32 v2, 2, v21
	v_and_b32_e32 v2, 0x78, v2
	v_add_u32_e32 v2, v2, v23
	ds_write_b64 v2, v[6:7] offset:2048
	;; [unrolled: 4-line block ×3, first 2 shown]
	s_waitcnt lgkmcnt(0)
	s_barrier
.LBB1101_24:
	ds_read2_b64 v[6:9], v19 offset1:1
	ds_read2_b64 v[2:5], v19 offset0:2 offset1:3
	s_cmp_lg_u32 s6, 0
	s_cselect_b64 s[16:17], -1, 0
	s_cmp_lg_u64 s[2:3], 0
	s_cselect_b64 s[0:1], -1, 0
	s_or_b64 s[0:1], s[16:17], s[0:1]
	s_mov_b64 s[12:13], 0
	s_and_b64 vcc, exec, s[0:1]
	v_cmp_lt_i64_e64 s[14:15], s[26:27], 1
	v_cmp_gt_i64_e64 s[2:3], s[26:27], 0
	s_waitcnt lgkmcnt(0)
	s_barrier
	s_cbranch_vccz .LBB1101_33
; %bb.25:
	s_add_u32 s0, s8, -8
	s_addc_u32 s1, s9, -1
	s_load_dwordx2 s[12:13], s[0:1], 0x0
	v_lshlrev_b32_e32 v24, 3, v0
	s_mov_b64 s[8:9], 0
	s_and_b64 vcc, exec, s[34:35]
	ds_write_b64 v24, v[12:13]
	s_cbranch_vccz .LBB1101_34
; %bb.26:
	v_cndmask_b32_e64 v18, 0, 1, s[2:3]
	v_cmp_ne_u32_e64 s[0:1], 1, v18
	s_andn2_b64 vcc, exec, s[2:3]
	s_cbranch_vccnz .LBB1101_35
; %bb.27:
	v_pk_mov_b32 v[20:21], s[28:29], s[28:29] op_sel:[0,1]
	v_mad_u64_u32 v[18:19], s[2:3], v10, s26, v[20:21]
	v_mul_lo_u32 v22, v10, s27
	v_mul_lo_u32 v23, v11, s26
	v_add3_u32 v19, v23, v19, v22
	v_mad_u64_u32 v[20:21], s[2:3], v12, s26, v[20:21]
	v_mul_lo_u32 v22, v12, s27
	v_mul_lo_u32 v23, v13, s26
	v_add3_u32 v21, v23, v21, v22
	global_load_ubyte v22, v[18:19], off
	global_load_ubyte v23, v[20:21], off
	s_mov_b64 s[18:19], -1
	s_waitcnt vmcnt(1)
	v_cmp_ne_u16_e32 vcc, 0, v22
	s_waitcnt vmcnt(0)
	v_cmp_ne_u16_e64 s[2:3], 0, v23
	s_xor_b64 s[2:3], vcc, s[2:3]
	s_xor_b64 s[2:3], s[2:3], -1
	s_and_saveexec_b64 s[36:37], s[2:3]
	s_cbranch_execz .LBB1101_37
; %bb.28:
	s_mov_b64 s[40:41], 1
	s_mov_b64 s[18:19], 0
                                        ; implicit-def: $sgpr38_sgpr39
	s_branch .LBB1101_31
.LBB1101_29:                            ;   in Loop: Header=BB1101_31 Depth=1
	v_mov_b32_e32 v25, s41
	v_add_co_u32_e64 v22, s[2:3], s40, v18
	v_addc_co_u32_e64 v23, s[2:3], v19, v25, s[2:3]
	v_add_co_u32_e64 v26, s[2:3], s40, v20
	v_addc_co_u32_e64 v27, s[2:3], v21, v25, s[2:3]
	global_load_ubyte v25, v[22:23], off
	global_load_ubyte v28, v[26:27], off
	s_waitcnt vmcnt(1)
	v_cmp_ne_u16_e64 s[2:3], 0, v25
	s_waitcnt vmcnt(0)
	v_cmp_ne_u16_e64 s[8:9], 0, v28
	s_xor_b64 s[8:9], s[2:3], s[8:9]
	s_add_u32 s2, s40, 1
	s_addc_u32 s3, s41, 0
	s_andn2_b64 s[38:39], s[38:39], exec
	s_and_b64 s[8:9], s[8:9], exec
	s_or_b64 s[38:39], s[38:39], s[8:9]
.LBB1101_30:                            ;   in Loop: Header=BB1101_31 Depth=1
	s_and_b64 s[8:9], exec, s[38:39]
	s_or_b64 s[18:19], s[8:9], s[18:19]
	v_pk_mov_b32 v[22:23], s[40:41], s[40:41] op_sel:[0,1]
	s_mov_b64 s[40:41], s[2:3]
	s_andn2_b64 exec, exec, s[18:19]
	s_cbranch_execz .LBB1101_36
.LBB1101_31:                            ; =>This Inner Loop Header: Depth=1
	s_or_b64 s[38:39], s[38:39], exec
	s_cmp_eq_u64 s[26:27], s[40:41]
	s_cbranch_scc0 .LBB1101_29
; %bb.32:                               ;   in Loop: Header=BB1101_31 Depth=1
                                        ; implicit-def: $sgpr2_sgpr3
	s_mov_b64 s[40:41], s[26:27]
	s_branch .LBB1101_30
.LBB1101_33:
                                        ; implicit-def: $sgpr8_sgpr9
                                        ; implicit-def: $vgpr28
	s_branch .LBB1101_105
.LBB1101_34:
                                        ; implicit-def: $sgpr8_sgpr9
                                        ; implicit-def: $vgpr28
	s_cbranch_execnz .LBB1101_65
	s_branch .LBB1101_104
.LBB1101_35:
	v_mov_b32_e32 v25, 0
	s_and_b64 vcc, exec, s[0:1]
	s_mov_b64 s[2:3], 0
	s_cbranch_vccz .LBB1101_45
	s_branch .LBB1101_53
.LBB1101_36:
	s_or_b64 exec, exec, s[18:19]
	v_cmp_gt_i64_e64 s[2:3], s[26:27], v[22:23]
	s_orn2_b64 s[18:19], s[2:3], exec
.LBB1101_37:
	s_or_b64 exec, exec, s[36:37]
	v_pk_mov_b32 v[20:21], s[28:29], s[28:29] op_sel:[0,1]
	v_mad_u64_u32 v[20:21], s[2:3], v16, s26, v[20:21]
	v_mul_lo_u32 v22, v16, s27
	v_mul_lo_u32 v23, v17, s26
	v_add3_u32 v21, v23, v21, v22
	global_load_ubyte v22, v[20:21], off
	s_mov_b64 s[8:9], -1
	s_waitcnt vmcnt(0)
	v_cmp_ne_u16_e64 s[2:3], 0, v22
	s_xor_b64 s[2:3], vcc, s[2:3]
	s_xor_b64 s[2:3], s[2:3], -1
	s_and_saveexec_b64 s[36:37], s[2:3]
	s_cbranch_execz .LBB1101_44
; %bb.38:
	s_mov_b64 s[40:41], 1
	s_mov_b64 s[8:9], 0
                                        ; implicit-def: $sgpr38_sgpr39
	s_branch .LBB1101_41
.LBB1101_39:                            ;   in Loop: Header=BB1101_41 Depth=1
	v_mov_b32_e32 v25, s41
	v_add_co_u32_e32 v22, vcc, s40, v20
	v_addc_co_u32_e32 v23, vcc, v21, v25, vcc
	v_add_co_u32_e32 v26, vcc, s40, v18
	v_addc_co_u32_e32 v27, vcc, v19, v25, vcc
	global_load_ubyte v25, v[22:23], off
	global_load_ubyte v28, v[26:27], off
	s_waitcnt vmcnt(1)
	v_cmp_ne_u16_e32 vcc, 0, v25
	s_waitcnt vmcnt(0)
	v_cmp_ne_u16_e64 s[2:3], 0, v28
	s_xor_b64 s[42:43], vcc, s[2:3]
	s_add_u32 s2, s40, 1
	s_addc_u32 s3, s41, 0
	s_andn2_b64 s[38:39], s[38:39], exec
	s_and_b64 s[42:43], s[42:43], exec
	s_or_b64 s[38:39], s[38:39], s[42:43]
.LBB1101_40:                            ;   in Loop: Header=BB1101_41 Depth=1
	s_and_b64 s[42:43], exec, s[38:39]
	s_or_b64 s[8:9], s[42:43], s[8:9]
	v_pk_mov_b32 v[22:23], s[40:41], s[40:41] op_sel:[0,1]
	s_mov_b64 s[40:41], s[2:3]
	s_andn2_b64 exec, exec, s[8:9]
	s_cbranch_execz .LBB1101_43
.LBB1101_41:                            ; =>This Inner Loop Header: Depth=1
	s_or_b64 s[38:39], s[38:39], exec
	s_cmp_eq_u64 s[26:27], s[40:41]
	s_cbranch_scc0 .LBB1101_39
; %bb.42:                               ;   in Loop: Header=BB1101_41 Depth=1
                                        ; implicit-def: $sgpr2_sgpr3
	s_mov_b64 s[40:41], s[26:27]
	s_branch .LBB1101_40
.LBB1101_43:
	s_or_b64 exec, exec, s[8:9]
	v_cmp_gt_i64_e32 vcc, s[26:27], v[22:23]
	s_orn2_b64 s[8:9], vcc, exec
.LBB1101_44:
	s_or_b64 exec, exec, s[36:37]
	v_cndmask_b32_e64 v25, 0, 1, s[18:19]
	s_and_b64 vcc, exec, s[0:1]
	s_mov_b64 s[2:3], 0
	s_cbranch_vccnz .LBB1101_53
.LBB1101_45:
	v_pk_mov_b32 v[20:21], s[28:29], s[28:29] op_sel:[0,1]
	v_mad_u64_u32 v[18:19], s[2:3], v14, s26, v[20:21]
	v_mul_lo_u32 v22, v14, s27
	v_mul_lo_u32 v23, v15, s26
	v_add3_u32 v19, v23, v19, v22
	v_mad_u64_u32 v[20:21], s[2:3], v16, s26, v[20:21]
	v_mul_lo_u32 v22, v16, s27
	v_mul_lo_u32 v23, v17, s26
	v_add3_u32 v21, v23, v21, v22
	global_load_ubyte v22, v[18:19], off
	global_load_ubyte v23, v[20:21], off
	s_waitcnt vmcnt(1)
	v_cmp_ne_u16_e32 vcc, 0, v22
	s_waitcnt vmcnt(0)
	v_cmp_ne_u16_e64 s[2:3], 0, v23
	s_xor_b64 s[18:19], vcc, s[2:3]
	s_mov_b64 s[2:3], -1
	s_xor_b64 s[36:37], s[18:19], -1
	s_and_saveexec_b64 s[18:19], s[36:37]
	s_cbranch_execz .LBB1101_52
; %bb.46:
	s_mov_b64 s[40:41], 1
	s_mov_b64 s[36:37], 0
                                        ; implicit-def: $sgpr38_sgpr39
	s_branch .LBB1101_49
.LBB1101_47:                            ;   in Loop: Header=BB1101_49 Depth=1
	v_mov_b32_e32 v27, s41
	v_add_co_u32_e32 v22, vcc, s40, v18
	v_addc_co_u32_e32 v23, vcc, v19, v27, vcc
	v_add_co_u32_e32 v26, vcc, s40, v20
	v_addc_co_u32_e32 v27, vcc, v21, v27, vcc
	global_load_ubyte v28, v[22:23], off
	global_load_ubyte v29, v[26:27], off
	s_waitcnt vmcnt(1)
	v_cmp_ne_u16_e32 vcc, 0, v28
	s_waitcnt vmcnt(0)
	v_cmp_ne_u16_e64 s[2:3], 0, v29
	s_xor_b64 s[42:43], vcc, s[2:3]
	s_add_u32 s2, s40, 1
	s_addc_u32 s3, s41, 0
	s_andn2_b64 s[38:39], s[38:39], exec
	s_and_b64 s[42:43], s[42:43], exec
	s_or_b64 s[38:39], s[38:39], s[42:43]
.LBB1101_48:                            ;   in Loop: Header=BB1101_49 Depth=1
	s_and_b64 s[42:43], exec, s[38:39]
	s_or_b64 s[36:37], s[42:43], s[36:37]
	v_pk_mov_b32 v[22:23], s[40:41], s[40:41] op_sel:[0,1]
	s_mov_b64 s[40:41], s[2:3]
	s_andn2_b64 exec, exec, s[36:37]
	s_cbranch_execz .LBB1101_51
.LBB1101_49:                            ; =>This Inner Loop Header: Depth=1
	s_or_b64 s[38:39], s[38:39], exec
	s_cmp_eq_u64 s[26:27], s[40:41]
	s_cbranch_scc0 .LBB1101_47
; %bb.50:                               ;   in Loop: Header=BB1101_49 Depth=1
                                        ; implicit-def: $sgpr2_sgpr3
	s_mov_b64 s[40:41], s[26:27]
	s_branch .LBB1101_48
.LBB1101_51:
	s_or_b64 exec, exec, s[36:37]
	v_cmp_gt_i64_e32 vcc, s[26:27], v[22:23]
	s_orn2_b64 s[2:3], vcc, exec
.LBB1101_52:
	s_or_b64 exec, exec, s[18:19]
.LBB1101_53:
	v_cmp_ne_u32_e32 vcc, 0, v0
	s_waitcnt lgkmcnt(0)
	v_pk_mov_b32 v[20:21], s[12:13], s[12:13] op_sel:[0,1]
	s_barrier
	s_and_saveexec_b64 s[18:19], vcc
	s_cbranch_execz .LBB1101_55
; %bb.54:
	v_add_u32_e32 v18, -8, v24
	ds_read_b64 v[20:21], v18
.LBB1101_55:
	s_or_b64 exec, exec, s[18:19]
	v_cndmask_b32_e64 v19, 0, 1, s[2:3]
	v_lshlrev_b16_e32 v19, 8, v19
	v_cndmask_b32_e64 v18, 0, 1, s[8:9]
	v_or_b32_sdwa v26, v0, v19 dst_sel:DWORD dst_unused:UNUSED_PAD src0_sel:BYTE_0 src1_sel:DWORD
	v_lshlrev_b16_e32 v19, 8, v25
	v_or_b32_sdwa v25, v18, v19 dst_sel:WORD_1 dst_unused:UNUSED_PAD src0_sel:DWORD src1_sel:DWORD
	s_mov_b64 s[2:3], 0
	s_and_b64 vcc, exec, s[0:1]
	s_mov_b64 s[8:9], 0
	s_cbranch_vccnz .LBB1101_64
; %bb.56:
	v_pk_mov_b32 v[22:23], s[28:29], s[28:29] op_sel:[0,1]
	s_waitcnt lgkmcnt(0)
	v_mad_u64_u32 v[18:19], s[0:1], v20, s26, v[22:23]
	v_mul_lo_u32 v20, v20, s27
	v_mul_lo_u32 v21, v21, s26
	v_add3_u32 v19, v21, v19, v20
	v_mad_u64_u32 v[20:21], s[0:1], v14, s26, v[22:23]
	v_mul_lo_u32 v22, v14, s27
	v_mul_lo_u32 v23, v15, s26
	v_add3_u32 v21, v23, v21, v22
	global_load_ubyte v22, v[18:19], off
	global_load_ubyte v23, v[20:21], off
	s_mov_b64 s[8:9], -1
	s_waitcnt vmcnt(1)
	v_cmp_ne_u16_e32 vcc, 0, v22
	s_waitcnt vmcnt(0)
	v_cmp_ne_u16_e64 s[0:1], 0, v23
	s_xor_b64 s[0:1], vcc, s[0:1]
	s_xor_b64 s[0:1], s[0:1], -1
	s_and_saveexec_b64 s[18:19], s[0:1]
	s_cbranch_execz .LBB1101_63
; %bb.57:
	s_mov_b64 s[38:39], 1
	s_mov_b64 s[8:9], 0
                                        ; implicit-def: $sgpr36_sgpr37
	s_branch .LBB1101_60
.LBB1101_58:                            ;   in Loop: Header=BB1101_60 Depth=1
	v_mov_b32_e32 v27, s39
	v_add_co_u32_e32 v22, vcc, s38, v18
	v_addc_co_u32_e32 v23, vcc, v19, v27, vcc
	v_add_co_u32_e32 v28, vcc, s38, v20
	v_addc_co_u32_e32 v29, vcc, v21, v27, vcc
	global_load_ubyte v27, v[22:23], off
	global_load_ubyte v30, v[28:29], off
	s_waitcnt vmcnt(1)
	v_cmp_ne_u16_e32 vcc, 0, v27
	s_waitcnt vmcnt(0)
	v_cmp_ne_u16_e64 s[0:1], 0, v30
	s_xor_b64 s[40:41], vcc, s[0:1]
	s_add_u32 s0, s38, 1
	s_addc_u32 s1, s39, 0
	s_andn2_b64 s[36:37], s[36:37], exec
	s_and_b64 s[40:41], s[40:41], exec
	s_or_b64 s[36:37], s[36:37], s[40:41]
.LBB1101_59:                            ;   in Loop: Header=BB1101_60 Depth=1
	s_and_b64 s[40:41], exec, s[36:37]
	s_or_b64 s[8:9], s[40:41], s[8:9]
	v_pk_mov_b32 v[22:23], s[38:39], s[38:39] op_sel:[0,1]
	s_mov_b64 s[38:39], s[0:1]
	s_andn2_b64 exec, exec, s[8:9]
	s_cbranch_execz .LBB1101_62
.LBB1101_60:                            ; =>This Inner Loop Header: Depth=1
	s_or_b64 s[36:37], s[36:37], exec
	s_cmp_eq_u64 s[26:27], s[38:39]
	s_cbranch_scc0 .LBB1101_58
; %bb.61:                               ;   in Loop: Header=BB1101_60 Depth=1
                                        ; implicit-def: $sgpr0_sgpr1
	s_mov_b64 s[38:39], s[26:27]
	s_branch .LBB1101_59
.LBB1101_62:
	s_or_b64 exec, exec, s[8:9]
	v_cmp_gt_i64_e32 vcc, s[26:27], v[22:23]
	s_orn2_b64 s[8:9], vcc, exec
.LBB1101_63:
	s_or_b64 exec, exec, s[18:19]
.LBB1101_64:
	v_or_b32_sdwa v28, v26, v25 dst_sel:DWORD dst_unused:UNUSED_PAD src0_sel:WORD_0 src1_sel:DWORD
	s_and_b64 vcc, exec, s[2:3]
	s_cbranch_vccz .LBB1101_104
.LBB1101_65:
	v_or_b32_e32 v18, 3, v1
	v_cmp_gt_u32_e32 vcc, s7, v18
	s_xor_b64 s[2:3], s[14:15], -1
	s_mov_b64 s[36:37], -1
	s_and_b64 s[0:1], vcc, s[2:3]
	s_mov_b64 s[14:15], 0
	s_mov_b64 s[8:9], 0
	s_and_saveexec_b64 s[18:19], s[0:1]
	s_cbranch_execz .LBB1101_74
; %bb.66:
	s_waitcnt lgkmcnt(0)
	v_pk_mov_b32 v[20:21], s[28:29], s[28:29] op_sel:[0,1]
	v_mad_u64_u32 v[18:19], s[0:1], v10, s26, v[20:21]
	v_mul_lo_u32 v22, v10, s27
	v_mul_lo_u32 v23, v11, s26
	v_add3_u32 v19, v23, v19, v22
	v_mad_u64_u32 v[20:21], s[0:1], v12, s26, v[20:21]
	v_mul_lo_u32 v22, v12, s27
	v_mul_lo_u32 v23, v13, s26
	v_add3_u32 v21, v23, v21, v22
	global_load_ubyte v22, v[18:19], off
	global_load_ubyte v23, v[20:21], off
	s_waitcnt vmcnt(1)
	v_cmp_ne_u16_e32 vcc, 0, v22
	s_waitcnt vmcnt(0)
	v_cmp_ne_u16_e64 s[0:1], 0, v23
	s_xor_b64 s[0:1], vcc, s[0:1]
	s_xor_b64 s[0:1], s[0:1], -1
	s_and_saveexec_b64 s[8:9], s[0:1]
	s_cbranch_execz .LBB1101_73
; %bb.67:
	s_mov_b64 s[40:41], 1
	s_mov_b64 s[36:37], 0
                                        ; implicit-def: $sgpr38_sgpr39
	s_branch .LBB1101_70
.LBB1101_68:                            ;   in Loop: Header=BB1101_70 Depth=1
	v_mov_b32_e32 v25, s41
	v_add_co_u32_e32 v22, vcc, s40, v18
	v_addc_co_u32_e32 v23, vcc, v19, v25, vcc
	v_add_co_u32_e32 v26, vcc, s40, v20
	v_addc_co_u32_e32 v27, vcc, v21, v25, vcc
	global_load_ubyte v25, v[22:23], off
	global_load_ubyte v28, v[26:27], off
	s_waitcnt vmcnt(1)
	v_cmp_ne_u16_e32 vcc, 0, v25
	s_waitcnt vmcnt(0)
	v_cmp_ne_u16_e64 s[0:1], 0, v28
	s_xor_b64 s[42:43], vcc, s[0:1]
	s_add_u32 s0, s40, 1
	s_addc_u32 s1, s41, 0
	s_andn2_b64 s[38:39], s[38:39], exec
	s_and_b64 s[42:43], s[42:43], exec
	s_or_b64 s[38:39], s[38:39], s[42:43]
.LBB1101_69:                            ;   in Loop: Header=BB1101_70 Depth=1
	s_and_b64 s[42:43], exec, s[38:39]
	s_or_b64 s[36:37], s[42:43], s[36:37]
	v_pk_mov_b32 v[22:23], s[40:41], s[40:41] op_sel:[0,1]
	s_mov_b64 s[40:41], s[0:1]
	s_andn2_b64 exec, exec, s[36:37]
	s_cbranch_execz .LBB1101_72
.LBB1101_70:                            ; =>This Inner Loop Header: Depth=1
	s_or_b64 s[38:39], s[38:39], exec
	s_cmp_eq_u64 s[26:27], s[40:41]
	s_cbranch_scc0 .LBB1101_68
; %bb.71:                               ;   in Loop: Header=BB1101_70 Depth=1
                                        ; implicit-def: $sgpr0_sgpr1
	s_mov_b64 s[40:41], s[26:27]
	s_branch .LBB1101_69
.LBB1101_72:
	s_or_b64 exec, exec, s[36:37]
	v_cmp_gt_i64_e32 vcc, s[26:27], v[22:23]
	s_orn2_b64 s[36:37], vcc, exec
.LBB1101_73:
	s_or_b64 exec, exec, s[8:9]
	s_and_b64 s[8:9], s[36:37], exec
.LBB1101_74:
	s_or_b64 exec, exec, s[18:19]
	v_or_b32_e32 v18, 2, v1
	v_cmp_gt_u32_e32 vcc, s7, v18
	s_and_b64 s[0:1], vcc, s[2:3]
	s_and_saveexec_b64 s[18:19], s[0:1]
	s_cbranch_execz .LBB1101_83
; %bb.75:
	s_waitcnt lgkmcnt(0)
	v_pk_mov_b32 v[20:21], s[28:29], s[28:29] op_sel:[0,1]
	v_mad_u64_u32 v[18:19], s[0:1], v16, s26, v[20:21]
	v_mul_lo_u32 v22, v16, s27
	v_mul_lo_u32 v23, v17, s26
	v_add3_u32 v19, v23, v19, v22
	v_mad_u64_u32 v[20:21], s[0:1], v10, s26, v[20:21]
	v_mul_lo_u32 v22, v10, s27
	v_mul_lo_u32 v23, v11, s26
	v_add3_u32 v21, v23, v21, v22
	global_load_ubyte v22, v[18:19], off
	global_load_ubyte v23, v[20:21], off
	s_waitcnt vmcnt(1)
	v_cmp_ne_u16_e32 vcc, 0, v22
	s_waitcnt vmcnt(0)
	v_cmp_ne_u16_e64 s[0:1], 0, v23
	s_xor_b64 s[14:15], vcc, s[0:1]
	s_mov_b64 s[0:1], -1
	s_xor_b64 s[36:37], s[14:15], -1
	s_and_saveexec_b64 s[14:15], s[36:37]
	s_cbranch_execz .LBB1101_82
; %bb.76:
	s_mov_b64 s[40:41], 1
	s_mov_b64 s[36:37], 0
                                        ; implicit-def: $sgpr38_sgpr39
	s_branch .LBB1101_79
.LBB1101_77:                            ;   in Loop: Header=BB1101_79 Depth=1
	v_mov_b32_e32 v25, s41
	v_add_co_u32_e32 v22, vcc, s40, v18
	v_addc_co_u32_e32 v23, vcc, v19, v25, vcc
	v_add_co_u32_e32 v26, vcc, s40, v20
	v_addc_co_u32_e32 v27, vcc, v21, v25, vcc
	global_load_ubyte v25, v[22:23], off
	global_load_ubyte v28, v[26:27], off
	s_waitcnt vmcnt(1)
	v_cmp_ne_u16_e32 vcc, 0, v25
	s_waitcnt vmcnt(0)
	v_cmp_ne_u16_e64 s[0:1], 0, v28
	s_xor_b64 s[42:43], vcc, s[0:1]
	s_add_u32 s0, s40, 1
	s_addc_u32 s1, s41, 0
	s_andn2_b64 s[38:39], s[38:39], exec
	s_and_b64 s[42:43], s[42:43], exec
	s_or_b64 s[38:39], s[38:39], s[42:43]
.LBB1101_78:                            ;   in Loop: Header=BB1101_79 Depth=1
	s_and_b64 s[42:43], exec, s[38:39]
	s_or_b64 s[36:37], s[42:43], s[36:37]
	v_pk_mov_b32 v[22:23], s[40:41], s[40:41] op_sel:[0,1]
	s_mov_b64 s[40:41], s[0:1]
	s_andn2_b64 exec, exec, s[36:37]
	s_cbranch_execz .LBB1101_81
.LBB1101_79:                            ; =>This Inner Loop Header: Depth=1
	s_or_b64 s[38:39], s[38:39], exec
	s_cmp_eq_u64 s[26:27], s[40:41]
	s_cbranch_scc0 .LBB1101_77
; %bb.80:                               ;   in Loop: Header=BB1101_79 Depth=1
                                        ; implicit-def: $sgpr0_sgpr1
	s_mov_b64 s[40:41], s[26:27]
	s_branch .LBB1101_78
.LBB1101_81:
	s_or_b64 exec, exec, s[36:37]
	v_cmp_gt_i64_e32 vcc, s[26:27], v[22:23]
	s_orn2_b64 s[0:1], vcc, exec
.LBB1101_82:
	s_or_b64 exec, exec, s[14:15]
	s_and_b64 s[14:15], s[0:1], exec
.LBB1101_83:
	s_or_b64 exec, exec, s[18:19]
	v_or_b32_e32 v18, 1, v1
	v_cmp_gt_u32_e32 vcc, s7, v18
	s_mov_b64 s[38:39], -1
	s_and_b64 s[36:37], vcc, s[2:3]
	s_mov_b64 s[0:1], 0
	s_and_saveexec_b64 s[18:19], s[36:37]
	s_cbranch_execz .LBB1101_92
; %bb.84:
	s_waitcnt lgkmcnt(0)
	v_pk_mov_b32 v[20:21], s[28:29], s[28:29] op_sel:[0,1]
	v_mad_u64_u32 v[18:19], s[0:1], v14, s26, v[20:21]
	v_mul_lo_u32 v22, v14, s27
	v_mul_lo_u32 v23, v15, s26
	v_add3_u32 v19, v23, v19, v22
	v_mad_u64_u32 v[20:21], s[0:1], v16, s26, v[20:21]
	v_mul_lo_u32 v22, v16, s27
	v_mul_lo_u32 v23, v17, s26
	v_add3_u32 v21, v23, v21, v22
	global_load_ubyte v22, v[18:19], off
	global_load_ubyte v23, v[20:21], off
	s_waitcnt vmcnt(1)
	v_cmp_ne_u16_e32 vcc, 0, v22
	s_waitcnt vmcnt(0)
	v_cmp_ne_u16_e64 s[0:1], 0, v23
	s_xor_b64 s[0:1], vcc, s[0:1]
	s_xor_b64 s[0:1], s[0:1], -1
	s_and_saveexec_b64 s[36:37], s[0:1]
	s_cbranch_execz .LBB1101_91
; %bb.85:
	s_mov_b64 s[42:43], 1
	s_mov_b64 s[38:39], 0
                                        ; implicit-def: $sgpr40_sgpr41
	s_branch .LBB1101_88
.LBB1101_86:                            ;   in Loop: Header=BB1101_88 Depth=1
	v_mov_b32_e32 v25, s43
	v_add_co_u32_e32 v22, vcc, s42, v18
	v_addc_co_u32_e32 v23, vcc, v19, v25, vcc
	v_add_co_u32_e32 v26, vcc, s42, v20
	v_addc_co_u32_e32 v27, vcc, v21, v25, vcc
	global_load_ubyte v25, v[22:23], off
	global_load_ubyte v28, v[26:27], off
	s_waitcnt vmcnt(1)
	v_cmp_ne_u16_e32 vcc, 0, v25
	s_waitcnt vmcnt(0)
	v_cmp_ne_u16_e64 s[0:1], 0, v28
	s_xor_b64 s[44:45], vcc, s[0:1]
	s_add_u32 s0, s42, 1
	s_addc_u32 s1, s43, 0
	s_andn2_b64 s[40:41], s[40:41], exec
	s_and_b64 s[44:45], s[44:45], exec
	s_or_b64 s[40:41], s[40:41], s[44:45]
.LBB1101_87:                            ;   in Loop: Header=BB1101_88 Depth=1
	s_and_b64 s[44:45], exec, s[40:41]
	s_or_b64 s[38:39], s[44:45], s[38:39]
	v_pk_mov_b32 v[22:23], s[42:43], s[42:43] op_sel:[0,1]
	s_mov_b64 s[42:43], s[0:1]
	s_andn2_b64 exec, exec, s[38:39]
	s_cbranch_execz .LBB1101_90
.LBB1101_88:                            ; =>This Inner Loop Header: Depth=1
	s_or_b64 s[40:41], s[40:41], exec
	s_cmp_eq_u64 s[26:27], s[42:43]
	s_cbranch_scc0 .LBB1101_86
; %bb.89:                               ;   in Loop: Header=BB1101_88 Depth=1
                                        ; implicit-def: $sgpr0_sgpr1
	s_mov_b64 s[42:43], s[26:27]
	s_branch .LBB1101_87
.LBB1101_90:
	s_or_b64 exec, exec, s[38:39]
	v_cmp_gt_i64_e32 vcc, s[26:27], v[22:23]
	s_orn2_b64 s[38:39], vcc, exec
.LBB1101_91:
	s_or_b64 exec, exec, s[36:37]
	s_and_b64 s[0:1], s[38:39], exec
.LBB1101_92:
	s_or_b64 exec, exec, s[18:19]
	v_cmp_ne_u32_e32 vcc, 0, v0
	s_waitcnt lgkmcnt(0)
	v_pk_mov_b32 v[20:21], s[12:13], s[12:13] op_sel:[0,1]
	s_barrier
	s_and_saveexec_b64 s[12:13], vcc
	s_cbranch_execz .LBB1101_94
; %bb.93:
	v_add_u32_e32 v18, -8, v24
	ds_read_b64 v[20:21], v18
.LBB1101_94:
	s_or_b64 exec, exec, s[12:13]
	v_cndmask_b32_e64 v19, 0, 1, s[8:9]
	v_cndmask_b32_e64 v18, 0, 1, s[14:15]
	;; [unrolled: 1-line block ×3, first 2 shown]
	v_lshlrev_b16_e32 v19, 8, v19
	v_cmp_gt_u32_e32 vcc, s7, v1
	v_lshlrev_b16_e32 v24, 8, v22
	v_or_b32_sdwa v25, v18, v19 dst_sel:WORD_1 dst_unused:UNUSED_PAD src0_sel:DWORD src1_sel:DWORD
	s_mov_b64 s[12:13], -1
	s_and_b64 s[0:1], vcc, s[2:3]
	s_mov_b64 s[8:9], 0
	s_and_saveexec_b64 s[2:3], s[0:1]
	s_cbranch_execz .LBB1101_103
; %bb.95:
	v_pk_mov_b32 v[22:23], s[28:29], s[28:29] op_sel:[0,1]
	s_waitcnt lgkmcnt(0)
	v_mad_u64_u32 v[18:19], s[0:1], v20, s26, v[22:23]
	v_mul_lo_u32 v20, v20, s27
	v_mul_lo_u32 v21, v21, s26
	v_add3_u32 v19, v21, v19, v20
	v_mad_u64_u32 v[20:21], s[0:1], v14, s26, v[22:23]
	v_mul_lo_u32 v22, v14, s27
	v_mul_lo_u32 v23, v15, s26
	v_add3_u32 v21, v23, v21, v22
	global_load_ubyte v22, v[18:19], off
	global_load_ubyte v23, v[20:21], off
	s_waitcnt vmcnt(1)
	v_cmp_ne_u16_e32 vcc, 0, v22
	s_waitcnt vmcnt(0)
	v_cmp_ne_u16_e64 s[0:1], 0, v23
	s_xor_b64 s[0:1], vcc, s[0:1]
	s_xor_b64 s[0:1], s[0:1], -1
	s_and_saveexec_b64 s[8:9], s[0:1]
	s_cbranch_execz .LBB1101_102
; %bb.96:
	s_mov_b64 s[18:19], 1
	s_mov_b64 s[12:13], 0
                                        ; implicit-def: $sgpr14_sgpr15
	s_branch .LBB1101_99
.LBB1101_97:                            ;   in Loop: Header=BB1101_99 Depth=1
	v_mov_b32_e32 v27, s19
	v_add_co_u32_e32 v22, vcc, s18, v18
	v_addc_co_u32_e32 v23, vcc, v19, v27, vcc
	v_add_co_u32_e32 v26, vcc, s18, v20
	v_addc_co_u32_e32 v27, vcc, v21, v27, vcc
	global_load_ubyte v28, v[22:23], off
	global_load_ubyte v29, v[26:27], off
	s_waitcnt vmcnt(1)
	v_cmp_ne_u16_e32 vcc, 0, v28
	s_waitcnt vmcnt(0)
	v_cmp_ne_u16_e64 s[0:1], 0, v29
	s_xor_b64 s[36:37], vcc, s[0:1]
	s_add_u32 s0, s18, 1
	s_addc_u32 s1, s19, 0
	s_andn2_b64 s[14:15], s[14:15], exec
	s_and_b64 s[36:37], s[36:37], exec
	s_or_b64 s[14:15], s[14:15], s[36:37]
.LBB1101_98:                            ;   in Loop: Header=BB1101_99 Depth=1
	s_and_b64 s[36:37], exec, s[14:15]
	s_or_b64 s[12:13], s[36:37], s[12:13]
	v_pk_mov_b32 v[22:23], s[18:19], s[18:19] op_sel:[0,1]
	s_mov_b64 s[18:19], s[0:1]
	s_andn2_b64 exec, exec, s[12:13]
	s_cbranch_execz .LBB1101_101
.LBB1101_99:                            ; =>This Inner Loop Header: Depth=1
	s_or_b64 s[14:15], s[14:15], exec
	s_cmp_eq_u64 s[26:27], s[18:19]
	s_cbranch_scc0 .LBB1101_97
; %bb.100:                              ;   in Loop: Header=BB1101_99 Depth=1
                                        ; implicit-def: $sgpr0_sgpr1
	s_mov_b64 s[18:19], s[26:27]
	s_branch .LBB1101_98
.LBB1101_101:
	s_or_b64 exec, exec, s[12:13]
	v_cmp_gt_i64_e32 vcc, s[26:27], v[22:23]
	s_orn2_b64 s[12:13], vcc, exec
.LBB1101_102:
	s_or_b64 exec, exec, s[8:9]
	s_and_b64 s[8:9], s[12:13], exec
.LBB1101_103:
	s_or_b64 exec, exec, s[2:3]
	v_or_b32_e32 v28, v24, v25
.LBB1101_104:
	s_waitcnt lgkmcnt(0)
	s_mov_b64 s[12:13], -1
	s_cbranch_execnz .LBB1101_183
.LBB1101_105:
	v_lshlrev_b32_e32 v24, 3, v0
	v_cmp_lt_i64_e64 s[14:15], s[26:27], 1
	s_mov_b64 s[8:9], 0
	v_cmp_gt_i64_e64 s[2:3], s[26:27], 0
	s_and_b64 vcc, exec, s[34:35]
	ds_write_b64 v24, v[12:13]
	s_cbranch_vccz .LBB1101_113
; %bb.106:
	v_cndmask_b32_e64 v18, 0, 1, s[2:3]
	v_cmp_ne_u32_e64 s[0:1], 1, v18
	s_andn2_b64 vcc, exec, s[2:3]
	v_mov_b32_e32 v25, 0
	s_cbranch_vccnz .LBB1101_123
; %bb.107:
	v_pk_mov_b32 v[20:21], s[28:29], s[28:29] op_sel:[0,1]
	v_mad_u64_u32 v[18:19], s[2:3], v10, s26, v[20:21]
	v_mul_lo_u32 v22, v10, s27
	v_mul_lo_u32 v23, v11, s26
	v_add3_u32 v19, v23, v19, v22
	v_mad_u64_u32 v[20:21], s[2:3], v12, s26, v[20:21]
	v_mul_lo_u32 v22, v12, s27
	v_mul_lo_u32 v23, v13, s26
	v_add3_u32 v21, v23, v21, v22
	global_load_ubyte v22, v[18:19], off
	global_load_ubyte v23, v[20:21], off
	s_mov_b64 s[18:19], -1
	s_waitcnt vmcnt(1)
	v_cmp_ne_u16_e32 vcc, 0, v22
	s_waitcnt vmcnt(0)
	v_cmp_ne_u16_e64 s[2:3], 0, v23
	s_xor_b64 s[2:3], vcc, s[2:3]
	s_xor_b64 s[2:3], s[2:3], -1
	s_and_saveexec_b64 s[36:37], s[2:3]
	s_cbranch_execz .LBB1101_115
; %bb.108:
	s_mov_b64 s[40:41], 1
	s_mov_b64 s[18:19], 0
                                        ; implicit-def: $sgpr38_sgpr39
	s_branch .LBB1101_111
.LBB1101_109:                           ;   in Loop: Header=BB1101_111 Depth=1
	v_mov_b32_e32 v25, s41
	v_add_co_u32_e64 v22, s[2:3], s40, v18
	v_addc_co_u32_e64 v23, s[2:3], v19, v25, s[2:3]
	v_add_co_u32_e64 v26, s[2:3], s40, v20
	v_addc_co_u32_e64 v27, s[2:3], v21, v25, s[2:3]
	global_load_ubyte v25, v[22:23], off
	global_load_ubyte v28, v[26:27], off
	s_waitcnt vmcnt(1)
	v_cmp_ne_u16_e64 s[2:3], 0, v25
	s_waitcnt vmcnt(0)
	v_cmp_ne_u16_e64 s[8:9], 0, v28
	s_xor_b64 s[8:9], s[2:3], s[8:9]
	s_add_u32 s2, s40, 1
	s_addc_u32 s3, s41, 0
	s_andn2_b64 s[38:39], s[38:39], exec
	s_and_b64 s[8:9], s[8:9], exec
	s_or_b64 s[38:39], s[38:39], s[8:9]
.LBB1101_110:                           ;   in Loop: Header=BB1101_111 Depth=1
	s_and_b64 s[8:9], exec, s[38:39]
	s_or_b64 s[18:19], s[8:9], s[18:19]
	v_pk_mov_b32 v[22:23], s[40:41], s[40:41] op_sel:[0,1]
	s_mov_b64 s[40:41], s[2:3]
	s_andn2_b64 exec, exec, s[18:19]
	s_cbranch_execz .LBB1101_114
.LBB1101_111:                           ; =>This Inner Loop Header: Depth=1
	s_or_b64 s[38:39], s[38:39], exec
	s_cmp_eq_u64 s[26:27], s[40:41]
	s_cbranch_scc0 .LBB1101_109
; %bb.112:                              ;   in Loop: Header=BB1101_111 Depth=1
                                        ; implicit-def: $sgpr2_sgpr3
	s_mov_b64 s[40:41], s[26:27]
	s_branch .LBB1101_110
.LBB1101_113:
                                        ; implicit-def: $sgpr8_sgpr9
                                        ; implicit-def: $vgpr28
	s_cbranch_execnz .LBB1101_144
	s_branch .LBB1101_183
.LBB1101_114:
	s_or_b64 exec, exec, s[18:19]
	v_cmp_gt_i64_e64 s[2:3], s[26:27], v[22:23]
	s_orn2_b64 s[18:19], s[2:3], exec
.LBB1101_115:
	s_or_b64 exec, exec, s[36:37]
	v_pk_mov_b32 v[20:21], s[28:29], s[28:29] op_sel:[0,1]
	v_mad_u64_u32 v[20:21], s[2:3], v16, s26, v[20:21]
	v_mul_lo_u32 v22, v16, s27
	v_mul_lo_u32 v23, v17, s26
	v_add3_u32 v21, v23, v21, v22
	global_load_ubyte v22, v[20:21], off
	s_mov_b64 s[8:9], -1
	s_waitcnt vmcnt(0)
	v_cmp_ne_u16_e64 s[2:3], 0, v22
	s_xor_b64 s[2:3], vcc, s[2:3]
	s_xor_b64 s[2:3], s[2:3], -1
	s_and_saveexec_b64 s[36:37], s[2:3]
	s_cbranch_execz .LBB1101_122
; %bb.116:
	s_mov_b64 s[40:41], 1
	s_mov_b64 s[8:9], 0
                                        ; implicit-def: $sgpr38_sgpr39
	s_branch .LBB1101_119
.LBB1101_117:                           ;   in Loop: Header=BB1101_119 Depth=1
	v_mov_b32_e32 v25, s41
	v_add_co_u32_e32 v22, vcc, s40, v20
	v_addc_co_u32_e32 v23, vcc, v21, v25, vcc
	v_add_co_u32_e32 v26, vcc, s40, v18
	v_addc_co_u32_e32 v27, vcc, v19, v25, vcc
	global_load_ubyte v25, v[22:23], off
	global_load_ubyte v28, v[26:27], off
	s_waitcnt vmcnt(1)
	v_cmp_ne_u16_e32 vcc, 0, v25
	s_waitcnt vmcnt(0)
	v_cmp_ne_u16_e64 s[2:3], 0, v28
	s_xor_b64 s[42:43], vcc, s[2:3]
	s_add_u32 s2, s40, 1
	s_addc_u32 s3, s41, 0
	s_andn2_b64 s[38:39], s[38:39], exec
	s_and_b64 s[42:43], s[42:43], exec
	s_or_b64 s[38:39], s[38:39], s[42:43]
.LBB1101_118:                           ;   in Loop: Header=BB1101_119 Depth=1
	s_and_b64 s[42:43], exec, s[38:39]
	s_or_b64 s[8:9], s[42:43], s[8:9]
	v_pk_mov_b32 v[22:23], s[40:41], s[40:41] op_sel:[0,1]
	s_mov_b64 s[40:41], s[2:3]
	s_andn2_b64 exec, exec, s[8:9]
	s_cbranch_execz .LBB1101_121
.LBB1101_119:                           ; =>This Inner Loop Header: Depth=1
	s_or_b64 s[38:39], s[38:39], exec
	s_cmp_eq_u64 s[26:27], s[40:41]
	s_cbranch_scc0 .LBB1101_117
; %bb.120:                              ;   in Loop: Header=BB1101_119 Depth=1
                                        ; implicit-def: $sgpr2_sgpr3
	s_mov_b64 s[40:41], s[26:27]
	s_branch .LBB1101_118
.LBB1101_121:
	s_or_b64 exec, exec, s[8:9]
	v_cmp_gt_i64_e32 vcc, s[26:27], v[22:23]
	s_orn2_b64 s[8:9], vcc, exec
.LBB1101_122:
	s_or_b64 exec, exec, s[36:37]
	v_cndmask_b32_e64 v25, 0, 1, s[18:19]
.LBB1101_123:
	s_and_b64 vcc, exec, s[0:1]
	s_mov_b64 s[2:3], 0
	s_cbranch_vccnz .LBB1101_132
; %bb.124:
	v_pk_mov_b32 v[20:21], s[28:29], s[28:29] op_sel:[0,1]
	v_mad_u64_u32 v[18:19], s[2:3], v14, s26, v[20:21]
	v_mul_lo_u32 v22, v14, s27
	v_mul_lo_u32 v23, v15, s26
	v_add3_u32 v19, v23, v19, v22
	v_mad_u64_u32 v[20:21], s[2:3], v16, s26, v[20:21]
	v_mul_lo_u32 v22, v16, s27
	v_mul_lo_u32 v23, v17, s26
	v_add3_u32 v21, v23, v21, v22
	global_load_ubyte v22, v[18:19], off
	global_load_ubyte v23, v[20:21], off
	s_waitcnt vmcnt(1)
	v_cmp_ne_u16_e32 vcc, 0, v22
	s_waitcnt vmcnt(0)
	v_cmp_ne_u16_e64 s[2:3], 0, v23
	s_xor_b64 s[18:19], vcc, s[2:3]
	s_mov_b64 s[2:3], -1
	s_xor_b64 s[36:37], s[18:19], -1
	s_and_saveexec_b64 s[18:19], s[36:37]
	s_cbranch_execz .LBB1101_131
; %bb.125:
	s_mov_b64 s[40:41], 1
	s_mov_b64 s[36:37], 0
                                        ; implicit-def: $sgpr38_sgpr39
	s_branch .LBB1101_128
.LBB1101_126:                           ;   in Loop: Header=BB1101_128 Depth=1
	v_mov_b32_e32 v27, s41
	v_add_co_u32_e32 v22, vcc, s40, v18
	v_addc_co_u32_e32 v23, vcc, v19, v27, vcc
	v_add_co_u32_e32 v26, vcc, s40, v20
	v_addc_co_u32_e32 v27, vcc, v21, v27, vcc
	global_load_ubyte v28, v[22:23], off
	global_load_ubyte v29, v[26:27], off
	s_waitcnt vmcnt(1)
	v_cmp_ne_u16_e32 vcc, 0, v28
	s_waitcnt vmcnt(0)
	v_cmp_ne_u16_e64 s[2:3], 0, v29
	s_xor_b64 s[42:43], vcc, s[2:3]
	s_add_u32 s2, s40, 1
	s_addc_u32 s3, s41, 0
	s_andn2_b64 s[38:39], s[38:39], exec
	s_and_b64 s[42:43], s[42:43], exec
	s_or_b64 s[38:39], s[38:39], s[42:43]
.LBB1101_127:                           ;   in Loop: Header=BB1101_128 Depth=1
	s_and_b64 s[42:43], exec, s[38:39]
	s_or_b64 s[36:37], s[42:43], s[36:37]
	v_pk_mov_b32 v[22:23], s[40:41], s[40:41] op_sel:[0,1]
	s_mov_b64 s[40:41], s[2:3]
	s_andn2_b64 exec, exec, s[36:37]
	s_cbranch_execz .LBB1101_130
.LBB1101_128:                           ; =>This Inner Loop Header: Depth=1
	s_or_b64 s[38:39], s[38:39], exec
	s_cmp_eq_u64 s[26:27], s[40:41]
	s_cbranch_scc0 .LBB1101_126
; %bb.129:                              ;   in Loop: Header=BB1101_128 Depth=1
                                        ; implicit-def: $sgpr2_sgpr3
	s_mov_b64 s[40:41], s[26:27]
	s_branch .LBB1101_127
.LBB1101_130:
	s_or_b64 exec, exec, s[36:37]
	v_cmp_gt_i64_e32 vcc, s[26:27], v[22:23]
	s_orn2_b64 s[2:3], vcc, exec
.LBB1101_131:
	s_or_b64 exec, exec, s[18:19]
.LBB1101_132:
	v_cndmask_b32_e64 v19, 0, 1, s[2:3]
	v_cndmask_b32_e64 v18, 0, 1, s[8:9]
	v_lshlrev_b16_e32 v19, 8, v19
	v_lshlrev_b16_e32 v20, 8, v25
	v_or_b32_e32 v19, 1, v19
	v_or_b32_sdwa v18, v18, v20 dst_sel:WORD_1 dst_unused:UNUSED_PAD src0_sel:DWORD src1_sel:DWORD
	v_or_b32_sdwa v28, v19, v18 dst_sel:DWORD dst_unused:UNUSED_PAD src0_sel:WORD_0 src1_sel:DWORD
	v_cmp_ne_u32_e32 vcc, 0, v0
	s_waitcnt lgkmcnt(0)
	s_barrier
	s_waitcnt lgkmcnt(0)
                                        ; implicit-def: $sgpr8_sgpr9
	s_and_saveexec_b64 s[2:3], vcc
	s_xor_b64 s[2:3], exec, s[2:3]
	s_cbranch_execz .LBB1101_143
; %bb.133:
	s_and_b64 vcc, exec, s[0:1]
	s_mov_b64 s[0:1], 0
	s_cbranch_vccnz .LBB1101_142
; %bb.134:
	v_add_u32_e32 v18, -8, v24
	ds_read_b64 v[18:19], v18
	v_pk_mov_b32 v[20:21], s[28:29], s[28:29] op_sel:[0,1]
	s_waitcnt lgkmcnt(0)
	v_mul_lo_u32 v22, v18, s27
	v_mul_lo_u32 v23, v19, s26
	v_mad_u64_u32 v[18:19], s[0:1], v18, s26, v[20:21]
	v_add3_u32 v19, v23, v19, v22
	v_mad_u64_u32 v[20:21], s[0:1], v14, s26, v[20:21]
	v_mul_lo_u32 v22, v14, s27
	v_mul_lo_u32 v23, v15, s26
	v_add3_u32 v21, v23, v21, v22
	global_load_ubyte v22, v[18:19], off
	global_load_ubyte v23, v[20:21], off
	s_waitcnt vmcnt(1)
	v_cmp_ne_u16_e32 vcc, 0, v22
	s_waitcnt vmcnt(0)
	v_cmp_ne_u16_e64 s[0:1], 0, v23
	s_xor_b64 s[8:9], vcc, s[0:1]
	s_mov_b64 s[0:1], -1
	s_xor_b64 s[18:19], s[8:9], -1
	s_and_saveexec_b64 s[8:9], s[18:19]
	s_cbranch_execz .LBB1101_141
; %bb.135:
	s_mov_b64 s[38:39], 1
	s_mov_b64 s[18:19], 0
                                        ; implicit-def: $sgpr36_sgpr37
	s_branch .LBB1101_138
.LBB1101_136:                           ;   in Loop: Header=BB1101_138 Depth=1
	v_mov_b32_e32 v25, s39
	v_add_co_u32_e32 v22, vcc, s38, v18
	v_addc_co_u32_e32 v23, vcc, v19, v25, vcc
	v_add_co_u32_e32 v26, vcc, s38, v20
	v_addc_co_u32_e32 v27, vcc, v21, v25, vcc
	global_load_ubyte v25, v[22:23], off
	global_load_ubyte v29, v[26:27], off
	s_waitcnt vmcnt(1)
	v_cmp_ne_u16_e32 vcc, 0, v25
	s_waitcnt vmcnt(0)
	v_cmp_ne_u16_e64 s[0:1], 0, v29
	s_xor_b64 s[40:41], vcc, s[0:1]
	s_add_u32 s0, s38, 1
	s_addc_u32 s1, s39, 0
	s_andn2_b64 s[36:37], s[36:37], exec
	s_and_b64 s[40:41], s[40:41], exec
	s_or_b64 s[36:37], s[36:37], s[40:41]
.LBB1101_137:                           ;   in Loop: Header=BB1101_138 Depth=1
	s_and_b64 s[40:41], exec, s[36:37]
	s_or_b64 s[18:19], s[40:41], s[18:19]
	v_pk_mov_b32 v[22:23], s[38:39], s[38:39] op_sel:[0,1]
	s_mov_b64 s[38:39], s[0:1]
	s_andn2_b64 exec, exec, s[18:19]
	s_cbranch_execz .LBB1101_140
.LBB1101_138:                           ; =>This Inner Loop Header: Depth=1
	s_or_b64 s[36:37], s[36:37], exec
	s_cmp_eq_u64 s[26:27], s[38:39]
	s_cbranch_scc0 .LBB1101_136
; %bb.139:                              ;   in Loop: Header=BB1101_138 Depth=1
                                        ; implicit-def: $sgpr0_sgpr1
	s_mov_b64 s[38:39], s[26:27]
	s_branch .LBB1101_137
.LBB1101_140:
	s_or_b64 exec, exec, s[18:19]
	v_cmp_gt_i64_e32 vcc, s[26:27], v[22:23]
	s_orn2_b64 s[0:1], vcc, exec
.LBB1101_141:
	s_or_b64 exec, exec, s[8:9]
.LBB1101_142:
	s_and_b64 s[8:9], s[0:1], exec
	s_or_b64 s[12:13], s[12:13], exec
.LBB1101_143:
	s_or_b64 exec, exec, s[2:3]
	s_branch .LBB1101_183
.LBB1101_144:
	v_or_b32_e32 v18, 3, v1
	v_cmp_gt_u32_e32 vcc, s7, v18
	s_xor_b64 s[2:3], s[14:15], -1
	s_mov_b64 s[36:37], -1
	s_and_b64 s[0:1], vcc, s[2:3]
	s_mov_b64 s[8:9], 0
	v_mul_lo_u32 v27, v10, s27
	v_mul_lo_u32 v28, v11, s26
	s_mov_b64 s[14:15], 0
	s_and_saveexec_b64 s[18:19], s[0:1]
	s_cbranch_execz .LBB1101_153
; %bb.145:
	v_pk_mov_b32 v[20:21], s[28:29], s[28:29] op_sel:[0,1]
	v_mad_u64_u32 v[18:19], s[0:1], v10, s26, v[20:21]
	v_add3_u32 v19, v28, v19, v27
	v_mad_u64_u32 v[20:21], s[0:1], v12, s26, v[20:21]
	v_mul_lo_u32 v22, v12, s27
	v_mul_lo_u32 v23, v13, s26
	v_add3_u32 v21, v23, v21, v22
	global_load_ubyte v22, v[18:19], off
	global_load_ubyte v23, v[20:21], off
	s_waitcnt vmcnt(1)
	v_cmp_ne_u16_e32 vcc, 0, v22
	s_waitcnt vmcnt(0)
	v_cmp_ne_u16_e64 s[0:1], 0, v23
	s_xor_b64 s[0:1], vcc, s[0:1]
	s_xor_b64 s[0:1], s[0:1], -1
	s_and_saveexec_b64 s[14:15], s[0:1]
	s_cbranch_execz .LBB1101_152
; %bb.146:
	s_mov_b64 s[40:41], 1
	s_mov_b64 s[36:37], 0
                                        ; implicit-def: $sgpr38_sgpr39
	s_branch .LBB1101_149
.LBB1101_147:                           ;   in Loop: Header=BB1101_149 Depth=1
	v_mov_b32_e32 v25, s41
	v_add_co_u32_e32 v22, vcc, s40, v18
	v_addc_co_u32_e32 v23, vcc, v19, v25, vcc
	v_add_co_u32_e32 v30, vcc, s40, v20
	v_addc_co_u32_e32 v31, vcc, v21, v25, vcc
	global_load_ubyte v25, v[22:23], off
	global_load_ubyte v26, v[30:31], off
	s_waitcnt vmcnt(1)
	v_cmp_ne_u16_e32 vcc, 0, v25
	s_waitcnt vmcnt(0)
	v_cmp_ne_u16_e64 s[0:1], 0, v26
	s_xor_b64 s[42:43], vcc, s[0:1]
	s_add_u32 s0, s40, 1
	s_addc_u32 s1, s41, 0
	s_andn2_b64 s[38:39], s[38:39], exec
	s_and_b64 s[42:43], s[42:43], exec
	s_or_b64 s[38:39], s[38:39], s[42:43]
.LBB1101_148:                           ;   in Loop: Header=BB1101_149 Depth=1
	s_and_b64 s[42:43], exec, s[38:39]
	s_or_b64 s[36:37], s[42:43], s[36:37]
	v_pk_mov_b32 v[22:23], s[40:41], s[40:41] op_sel:[0,1]
	s_mov_b64 s[40:41], s[0:1]
	s_andn2_b64 exec, exec, s[36:37]
	s_cbranch_execz .LBB1101_151
.LBB1101_149:                           ; =>This Inner Loop Header: Depth=1
	s_or_b64 s[38:39], s[38:39], exec
	s_cmp_eq_u64 s[26:27], s[40:41]
	s_cbranch_scc0 .LBB1101_147
; %bb.150:                              ;   in Loop: Header=BB1101_149 Depth=1
                                        ; implicit-def: $sgpr0_sgpr1
	s_mov_b64 s[40:41], s[26:27]
	s_branch .LBB1101_148
.LBB1101_151:
	s_or_b64 exec, exec, s[36:37]
	v_cmp_gt_i64_e32 vcc, s[26:27], v[22:23]
	s_orn2_b64 s[36:37], vcc, exec
.LBB1101_152:
	s_or_b64 exec, exec, s[14:15]
	s_and_b64 s[14:15], s[36:37], exec
.LBB1101_153:
	s_or_b64 exec, exec, s[18:19]
	v_or_b32_e32 v18, 2, v1
	v_cmp_gt_u32_e32 vcc, s7, v18
	s_and_b64 s[0:1], vcc, s[2:3]
	v_mul_lo_u32 v25, v16, s27
	v_mul_lo_u32 v26, v17, s26
	s_and_saveexec_b64 s[18:19], s[0:1]
	s_cbranch_execz .LBB1101_162
; %bb.154:
	v_pk_mov_b32 v[20:21], s[28:29], s[28:29] op_sel:[0,1]
	v_mad_u64_u32 v[18:19], s[0:1], v16, s26, v[20:21]
	v_add3_u32 v19, v26, v19, v25
	v_mad_u64_u32 v[20:21], s[0:1], v10, s26, v[20:21]
	v_add3_u32 v21, v28, v21, v27
	global_load_ubyte v22, v[18:19], off
	global_load_ubyte v23, v[20:21], off
	s_waitcnt vmcnt(1)
	v_cmp_ne_u16_e32 vcc, 0, v22
	s_waitcnt vmcnt(0)
	v_cmp_ne_u16_e64 s[0:1], 0, v23
	s_xor_b64 s[8:9], vcc, s[0:1]
	s_mov_b64 s[0:1], -1
	s_xor_b64 s[36:37], s[8:9], -1
	s_and_saveexec_b64 s[8:9], s[36:37]
	s_cbranch_execz .LBB1101_161
; %bb.155:
	s_mov_b64 s[40:41], 1
	s_mov_b64 s[36:37], 0
                                        ; implicit-def: $sgpr38_sgpr39
	s_branch .LBB1101_158
.LBB1101_156:                           ;   in Loop: Header=BB1101_158 Depth=1
	v_mov_b32_e32 v27, s41
	v_add_co_u32_e32 v22, vcc, s40, v18
	v_addc_co_u32_e32 v23, vcc, v19, v27, vcc
	v_add_co_u32_e32 v28, vcc, s40, v20
	v_addc_co_u32_e32 v29, vcc, v21, v27, vcc
	global_load_ubyte v27, v[22:23], off
	global_load_ubyte v30, v[28:29], off
	s_waitcnt vmcnt(1)
	v_cmp_ne_u16_e32 vcc, 0, v27
	s_waitcnt vmcnt(0)
	v_cmp_ne_u16_e64 s[0:1], 0, v30
	s_xor_b64 s[42:43], vcc, s[0:1]
	s_add_u32 s0, s40, 1
	s_addc_u32 s1, s41, 0
	s_andn2_b64 s[38:39], s[38:39], exec
	s_and_b64 s[42:43], s[42:43], exec
	s_or_b64 s[38:39], s[38:39], s[42:43]
.LBB1101_157:                           ;   in Loop: Header=BB1101_158 Depth=1
	s_and_b64 s[42:43], exec, s[38:39]
	s_or_b64 s[36:37], s[42:43], s[36:37]
	v_pk_mov_b32 v[22:23], s[40:41], s[40:41] op_sel:[0,1]
	s_mov_b64 s[40:41], s[0:1]
	s_andn2_b64 exec, exec, s[36:37]
	s_cbranch_execz .LBB1101_160
.LBB1101_158:                           ; =>This Inner Loop Header: Depth=1
	s_or_b64 s[38:39], s[38:39], exec
	s_cmp_eq_u64 s[26:27], s[40:41]
	s_cbranch_scc0 .LBB1101_156
; %bb.159:                              ;   in Loop: Header=BB1101_158 Depth=1
                                        ; implicit-def: $sgpr0_sgpr1
	s_mov_b64 s[40:41], s[26:27]
	s_branch .LBB1101_157
.LBB1101_160:
	s_or_b64 exec, exec, s[36:37]
	v_cmp_gt_i64_e32 vcc, s[26:27], v[22:23]
	s_orn2_b64 s[0:1], vcc, exec
.LBB1101_161:
	s_or_b64 exec, exec, s[8:9]
	s_and_b64 s[8:9], s[0:1], exec
.LBB1101_162:
	s_or_b64 exec, exec, s[18:19]
	v_or_b32_e32 v18, 1, v1
	v_cmp_gt_u32_e32 vcc, s7, v18
	s_mov_b64 s[38:39], -1
	s_and_b64 s[36:37], vcc, s[2:3]
	s_mov_b64 s[0:1], 0
	s_and_saveexec_b64 s[18:19], s[36:37]
	s_cbranch_execz .LBB1101_171
; %bb.163:
	v_pk_mov_b32 v[20:21], s[28:29], s[28:29] op_sel:[0,1]
	v_mad_u64_u32 v[18:19], s[0:1], v14, s26, v[20:21]
	v_mul_lo_u32 v22, v14, s27
	v_mul_lo_u32 v23, v15, s26
	v_add3_u32 v19, v23, v19, v22
	v_mad_u64_u32 v[20:21], s[0:1], v16, s26, v[20:21]
	v_add3_u32 v21, v26, v21, v25
	global_load_ubyte v22, v[18:19], off
	global_load_ubyte v23, v[20:21], off
	s_waitcnt vmcnt(1)
	v_cmp_ne_u16_e32 vcc, 0, v22
	s_waitcnt vmcnt(0)
	v_cmp_ne_u16_e64 s[0:1], 0, v23
	s_xor_b64 s[0:1], vcc, s[0:1]
	s_xor_b64 s[0:1], s[0:1], -1
	s_and_saveexec_b64 s[36:37], s[0:1]
	s_cbranch_execz .LBB1101_170
; %bb.164:
	s_mov_b64 s[42:43], 1
	s_mov_b64 s[38:39], 0
                                        ; implicit-def: $sgpr40_sgpr41
	s_branch .LBB1101_167
.LBB1101_165:                           ;   in Loop: Header=BB1101_167 Depth=1
	v_mov_b32_e32 v25, s43
	v_add_co_u32_e32 v22, vcc, s42, v18
	v_addc_co_u32_e32 v23, vcc, v19, v25, vcc
	v_add_co_u32_e32 v26, vcc, s42, v20
	v_addc_co_u32_e32 v27, vcc, v21, v25, vcc
	global_load_ubyte v25, v[22:23], off
	global_load_ubyte v28, v[26:27], off
	s_waitcnt vmcnt(1)
	v_cmp_ne_u16_e32 vcc, 0, v25
	s_waitcnt vmcnt(0)
	v_cmp_ne_u16_e64 s[0:1], 0, v28
	s_xor_b64 s[44:45], vcc, s[0:1]
	s_add_u32 s0, s42, 1
	s_addc_u32 s1, s43, 0
	s_andn2_b64 s[40:41], s[40:41], exec
	s_and_b64 s[44:45], s[44:45], exec
	s_or_b64 s[40:41], s[40:41], s[44:45]
.LBB1101_166:                           ;   in Loop: Header=BB1101_167 Depth=1
	s_and_b64 s[44:45], exec, s[40:41]
	s_or_b64 s[38:39], s[44:45], s[38:39]
	v_pk_mov_b32 v[22:23], s[42:43], s[42:43] op_sel:[0,1]
	s_mov_b64 s[42:43], s[0:1]
	s_andn2_b64 exec, exec, s[38:39]
	s_cbranch_execz .LBB1101_169
.LBB1101_167:                           ; =>This Inner Loop Header: Depth=1
	s_or_b64 s[40:41], s[40:41], exec
	s_cmp_eq_u64 s[26:27], s[42:43]
	s_cbranch_scc0 .LBB1101_165
; %bb.168:                              ;   in Loop: Header=BB1101_167 Depth=1
                                        ; implicit-def: $sgpr0_sgpr1
	s_mov_b64 s[42:43], s[26:27]
	s_branch .LBB1101_166
.LBB1101_169:
	s_or_b64 exec, exec, s[38:39]
	v_cmp_gt_i64_e32 vcc, s[26:27], v[22:23]
	s_orn2_b64 s[38:39], vcc, exec
.LBB1101_170:
	s_or_b64 exec, exec, s[36:37]
	s_and_b64 s[0:1], s[38:39], exec
.LBB1101_171:
	s_or_b64 exec, exec, s[18:19]
	v_cndmask_b32_e64 v19, 0, 1, s[14:15]
	v_cndmask_b32_e64 v20, 0, 1, s[0:1]
	;; [unrolled: 1-line block ×3, first 2 shown]
	v_lshlrev_b16_e32 v20, 8, v20
	v_lshlrev_b16_e32 v19, 8, v19
	v_or_b32_e32 v20, 1, v20
	v_or_b32_sdwa v18, v18, v19 dst_sel:WORD_1 dst_unused:UNUSED_PAD src0_sel:DWORD src1_sel:DWORD
	v_or_b32_sdwa v28, v20, v18 dst_sel:DWORD dst_unused:UNUSED_PAD src0_sel:WORD_0 src1_sel:DWORD
	v_cmp_ne_u32_e32 vcc, 0, v0
	s_waitcnt lgkmcnt(0)
	s_barrier
	s_waitcnt lgkmcnt(0)
                                        ; implicit-def: $sgpr8_sgpr9
	s_and_saveexec_b64 s[14:15], vcc
	s_cbranch_execz .LBB1101_182
; %bb.172:
	v_cmp_gt_u32_e32 vcc, s7, v1
	s_mov_b64 s[18:19], -1
	s_and_b64 s[8:9], vcc, s[2:3]
	s_mov_b64 s[0:1], 0
	s_and_saveexec_b64 s[2:3], s[8:9]
	s_cbranch_execz .LBB1101_181
; %bb.173:
	v_add_u32_e32 v18, -8, v24
	ds_read_b64 v[18:19], v18
	v_pk_mov_b32 v[20:21], s[28:29], s[28:29] op_sel:[0,1]
	s_waitcnt lgkmcnt(0)
	v_mul_lo_u32 v22, v18, s27
	v_mul_lo_u32 v23, v19, s26
	v_mad_u64_u32 v[18:19], s[0:1], v18, s26, v[20:21]
	v_add3_u32 v19, v23, v19, v22
	v_mad_u64_u32 v[20:21], s[0:1], v14, s26, v[20:21]
	v_mul_lo_u32 v22, v14, s27
	v_mul_lo_u32 v23, v15, s26
	v_add3_u32 v21, v23, v21, v22
	global_load_ubyte v22, v[18:19], off
	global_load_ubyte v23, v[20:21], off
	s_waitcnt vmcnt(1)
	v_cmp_ne_u16_e32 vcc, 0, v22
	s_waitcnt vmcnt(0)
	v_cmp_ne_u16_e64 s[0:1], 0, v23
	s_xor_b64 s[0:1], vcc, s[0:1]
	s_xor_b64 s[0:1], s[0:1], -1
	s_and_saveexec_b64 s[8:9], s[0:1]
	s_cbranch_execz .LBB1101_180
; %bb.174:
	s_mov_b64 s[36:37], 1
	s_mov_b64 s[18:19], 0
                                        ; implicit-def: $sgpr28_sgpr29
	s_branch .LBB1101_177
.LBB1101_175:                           ;   in Loop: Header=BB1101_177 Depth=1
	v_mov_b32_e32 v25, s37
	v_add_co_u32_e32 v22, vcc, s36, v18
	v_addc_co_u32_e32 v23, vcc, v19, v25, vcc
	v_add_co_u32_e32 v24, vcc, s36, v20
	v_addc_co_u32_e32 v25, vcc, v21, v25, vcc
	global_load_ubyte v26, v[22:23], off
	global_load_ubyte v27, v[24:25], off
	s_waitcnt vmcnt(1)
	v_cmp_ne_u16_e32 vcc, 0, v26
	s_waitcnt vmcnt(0)
	v_cmp_ne_u16_e64 s[0:1], 0, v27
	s_xor_b64 s[38:39], vcc, s[0:1]
	s_add_u32 s0, s36, 1
	s_addc_u32 s1, s37, 0
	s_andn2_b64 s[28:29], s[28:29], exec
	s_and_b64 s[38:39], s[38:39], exec
	s_or_b64 s[28:29], s[28:29], s[38:39]
.LBB1101_176:                           ;   in Loop: Header=BB1101_177 Depth=1
	s_and_b64 s[38:39], exec, s[28:29]
	s_or_b64 s[18:19], s[38:39], s[18:19]
	v_pk_mov_b32 v[22:23], s[36:37], s[36:37] op_sel:[0,1]
	s_mov_b64 s[36:37], s[0:1]
	s_andn2_b64 exec, exec, s[18:19]
	s_cbranch_execz .LBB1101_179
.LBB1101_177:                           ; =>This Inner Loop Header: Depth=1
	s_or_b64 s[28:29], s[28:29], exec
	s_cmp_eq_u64 s[26:27], s[36:37]
	s_cbranch_scc0 .LBB1101_175
; %bb.178:                              ;   in Loop: Header=BB1101_177 Depth=1
                                        ; implicit-def: $sgpr0_sgpr1
	s_mov_b64 s[36:37], s[26:27]
	s_branch .LBB1101_176
.LBB1101_179:
	s_or_b64 exec, exec, s[18:19]
	v_cmp_gt_i64_e32 vcc, s[26:27], v[22:23]
	s_orn2_b64 s[18:19], vcc, exec
.LBB1101_180:
	s_or_b64 exec, exec, s[8:9]
	s_and_b64 s[0:1], s[18:19], exec
.LBB1101_181:
	s_or_b64 exec, exec, s[2:3]
	s_and_b64 s[8:9], s[0:1], exec
	s_or_b64 s[12:13], s[12:13], exec
.LBB1101_182:
	s_or_b64 exec, exec, s[14:15]
.LBB1101_183:
	s_and_saveexec_b64 s[0:1], s[12:13]
; %bb.184:
	v_and_b32_e32 v18, 0xffffff00, v28
	v_cndmask_b32_e64 v19, 0, 1, s[8:9]
	v_or_b32_e32 v18, v19, v18
	v_and_b32_e32 v18, 0xffff, v18
	s_mov_b32 s2, 0xffff0000
	v_and_or_b32 v28, v28, s2, v18
; %bb.185:
	s_or_b64 exec, exec, s[0:1]
	s_andn2_b64 vcc, exec, s[10:11]
	s_cbranch_vccnz .LBB1101_187
; %bb.186:
	v_cmp_gt_u32_e32 vcc, s7, v1
	v_cndmask_b32_e32 v18, 0, v28, vcc
	v_or_b32_e32 v19, 1, v1
	v_and_b32_e32 v18, 0xff, v18
	v_cmp_gt_u32_e32 vcc, s7, v19
	v_cndmask_b32_e32 v18, v18, v28, vcc
	v_or_b32_e32 v19, 2, v1
	v_and_b32_e32 v18, 0xffff, v18
	;; [unrolled: 4-line block ×3, first 2 shown]
	v_cmp_gt_u32_e32 vcc, s7, v19
	v_cndmask_b32_e32 v28, v18, v28, vcc
.LBB1101_187:
	v_bfe_u32 v30, v28, 16, 8
	v_lshrrev_b32_e32 v29, 24, v28
	v_add_u32_sdwa v18, v28, v28 dst_sel:DWORD dst_unused:UNUSED_PAD src0_sel:BYTE_1 src1_sel:BYTE_0
	v_add3_u32 v33, v18, v30, v29
	v_mbcnt_lo_u32_b32 v18, -1, 0
	v_mbcnt_hi_u32_b32 v31, -1, v18
	v_and_b32_e32 v18, 15, v31
	v_cmp_eq_u32_e64 s[14:15], 0, v18
	v_cmp_lt_u32_e64 s[12:13], 1, v18
	v_cmp_lt_u32_e64 s[10:11], 3, v18
	;; [unrolled: 1-line block ×3, first 2 shown]
	v_and_b32_e32 v18, 16, v31
	v_cmp_eq_u32_e64 s[18:19], 0, v18
	v_or_b32_e32 v18, 63, v0
	v_cmp_lt_u32_e64 s[0:1], 31, v31
	v_lshrrev_b32_e32 v32, 6, v0
	v_cmp_eq_u32_e64 s[2:3], v18, v0
	s_and_b64 vcc, exec, s[16:17]
	s_waitcnt lgkmcnt(0)
	s_barrier
	s_cbranch_vccz .LBB1101_218
; %bb.188:
	v_mov_b32_dpp v18, v33 row_shr:1 row_mask:0xf bank_mask:0xf
	v_cndmask_b32_e64 v18, v18, 0, s[14:15]
	v_add_u32_e32 v18, v18, v33
	s_nop 1
	v_mov_b32_dpp v19, v18 row_shr:2 row_mask:0xf bank_mask:0xf
	v_cndmask_b32_e64 v19, 0, v19, s[12:13]
	v_add_u32_e32 v18, v18, v19
	s_nop 1
	;; [unrolled: 4-line block ×4, first 2 shown]
	v_mov_b32_dpp v19, v18 row_bcast:15 row_mask:0xf bank_mask:0xf
	v_cndmask_b32_e64 v19, v19, 0, s[18:19]
	v_add_u32_e32 v18, v18, v19
	s_nop 1
	v_mov_b32_dpp v19, v18 row_bcast:31 row_mask:0xf bank_mask:0xf
	v_cndmask_b32_e64 v19, 0, v19, s[0:1]
	v_add_u32_e32 v18, v18, v19
	s_and_saveexec_b64 s[16:17], s[2:3]
	s_cbranch_execz .LBB1101_190
; %bb.189:
	v_lshlrev_b32_e32 v19, 2, v32
	ds_write_b32 v19, v18
.LBB1101_190:
	s_or_b64 exec, exec, s[16:17]
	v_cmp_gt_u32_e32 vcc, 2, v0
	s_waitcnt lgkmcnt(0)
	s_barrier
	s_and_saveexec_b64 s[16:17], vcc
	s_cbranch_execz .LBB1101_192
; %bb.191:
	ds_read_b32 v19, v1
	v_bfe_i32 v20, v31, 0, 1
	s_waitcnt lgkmcnt(0)
	v_mov_b32_dpp v21, v19 row_shr:1 row_mask:0xf bank_mask:0xf
	v_and_b32_e32 v20, v20, v21
	v_add_u32_e32 v19, v20, v19
	ds_write_b32 v1, v19
.LBB1101_192:
	s_or_b64 exec, exec, s[16:17]
	v_cmp_gt_u32_e32 vcc, 64, v0
	v_cmp_lt_u32_e64 s[16:17], 63, v0
	s_waitcnt lgkmcnt(0)
	s_barrier
	s_waitcnt lgkmcnt(0)
                                        ; implicit-def: $vgpr34
	s_and_saveexec_b64 s[26:27], s[16:17]
	s_cbranch_execz .LBB1101_194
; %bb.193:
	v_lshl_add_u32 v19, v32, 2, -4
	ds_read_b32 v34, v19
	s_waitcnt lgkmcnt(0)
	v_add_u32_e32 v18, v34, v18
.LBB1101_194:
	s_or_b64 exec, exec, s[26:27]
	v_add_u32_e32 v19, -1, v31
	v_and_b32_e32 v20, 64, v31
	v_cmp_lt_i32_e64 s[16:17], v19, v20
	v_cndmask_b32_e64 v19, v19, v31, s[16:17]
	v_lshlrev_b32_e32 v19, 2, v19
	ds_bpermute_b32 v35, v19, v18
	v_cmp_eq_u32_e64 s[16:17], 0, v31
	s_and_saveexec_b64 s[26:27], vcc
	s_cbranch_execz .LBB1101_217
; %bb.195:
	v_mov_b32_e32 v27, 0
	ds_read_b32 v18, v27 offset:4
	s_and_saveexec_b64 s[28:29], s[16:17]
	s_cbranch_execz .LBB1101_197
; %bb.196:
	s_add_i32 s36, s6, 64
	s_mov_b32 s37, 0
	s_lshl_b64 s[36:37], s[36:37], 3
	s_add_u32 s36, s30, s36
	v_mov_b32_e32 v19, 1
	s_addc_u32 s37, s31, s37
	s_waitcnt lgkmcnt(0)
	global_store_dwordx2 v27, v[18:19], s[36:37]
.LBB1101_197:
	s_or_b64 exec, exec, s[28:29]
	v_xad_u32 v20, v31, -1, s6
	v_add_u32_e32 v26, 64, v20
	v_lshlrev_b64 v[22:23], 3, v[26:27]
	v_mov_b32_e32 v19, s31
	v_add_co_u32_e32 v22, vcc, s30, v22
	v_addc_co_u32_e32 v23, vcc, v19, v23, vcc
	global_load_dwordx2 v[24:25], v[22:23], off glc
	s_waitcnt vmcnt(0)
	v_cmp_eq_u16_sdwa s[36:37], v25, v27 src0_sel:BYTE_0 src1_sel:DWORD
	s_and_saveexec_b64 s[28:29], s[36:37]
	s_cbranch_execz .LBB1101_203
; %bb.198:
	s_mov_b32 s7, 1
	s_mov_b64 s[36:37], 0
	v_mov_b32_e32 v19, 0
.LBB1101_199:                           ; =>This Loop Header: Depth=1
                                        ;     Child Loop BB1101_200 Depth 2
	s_max_u32 s33, s7, 1
.LBB1101_200:                           ;   Parent Loop BB1101_199 Depth=1
                                        ; =>  This Inner Loop Header: Depth=2
	s_add_i32 s33, s33, -1
	s_cmp_eq_u32 s33, 0
	s_sleep 1
	s_cbranch_scc0 .LBB1101_200
; %bb.201:                              ;   in Loop: Header=BB1101_199 Depth=1
	global_load_dwordx2 v[24:25], v[22:23], off glc
	s_cmp_lt_u32 s7, 32
	s_cselect_b64 s[38:39], -1, 0
	s_cmp_lg_u64 s[38:39], 0
	s_addc_u32 s7, s7, 0
	s_waitcnt vmcnt(0)
	v_cmp_ne_u16_sdwa s[38:39], v25, v19 src0_sel:BYTE_0 src1_sel:DWORD
	s_or_b64 s[36:37], s[38:39], s[36:37]
	s_andn2_b64 exec, exec, s[36:37]
	s_cbranch_execnz .LBB1101_199
; %bb.202:
	s_or_b64 exec, exec, s[36:37]
.LBB1101_203:
	s_or_b64 exec, exec, s[28:29]
	v_and_b32_e32 v36, 63, v31
	v_mov_b32_e32 v19, 2
	v_cmp_ne_u32_e32 vcc, 63, v36
	v_cmp_eq_u16_sdwa s[28:29], v25, v19 src0_sel:BYTE_0 src1_sel:DWORD
	v_lshlrev_b64 v[22:23], v31, -1
	v_addc_co_u32_e32 v27, vcc, 0, v31, vcc
	v_and_b32_e32 v21, s29, v23
	v_lshlrev_b32_e32 v37, 2, v27
	v_or_b32_e32 v21, 0x80000000, v21
	ds_bpermute_b32 v27, v37, v24
	v_and_b32_e32 v26, s28, v22
	v_ffbl_b32_e32 v21, v21
	v_add_u32_e32 v21, 32, v21
	v_ffbl_b32_e32 v26, v26
	v_min_u32_e32 v21, v26, v21
	v_cmp_lt_u32_e32 vcc, v36, v21
	s_waitcnt lgkmcnt(0)
	v_cndmask_b32_e32 v26, 0, v27, vcc
	v_cmp_gt_u32_e32 vcc, 62, v36
	v_add_u32_e32 v24, v26, v24
	v_cndmask_b32_e64 v26, 0, 1, vcc
	v_lshlrev_b32_e32 v26, 1, v26
	v_add_lshl_u32 v38, v26, v31, 2
	ds_bpermute_b32 v26, v38, v24
	v_add_u32_e32 v39, 2, v36
	v_cmp_le_u32_e32 vcc, v39, v21
	v_add_u32_e32 v41, 4, v36
	v_add_u32_e32 v43, 8, v36
	s_waitcnt lgkmcnt(0)
	v_cndmask_b32_e32 v26, 0, v26, vcc
	v_cmp_gt_u32_e32 vcc, 60, v36
	v_add_u32_e32 v24, v24, v26
	v_cndmask_b32_e64 v26, 0, 1, vcc
	v_lshlrev_b32_e32 v26, 2, v26
	v_add_lshl_u32 v40, v26, v31, 2
	ds_bpermute_b32 v26, v40, v24
	v_cmp_le_u32_e32 vcc, v41, v21
	v_add_u32_e32 v46, 16, v36
	v_add_u32_e32 v48, 32, v36
	s_waitcnt lgkmcnt(0)
	v_cndmask_b32_e32 v26, 0, v26, vcc
	v_cmp_gt_u32_e32 vcc, 56, v36
	v_add_u32_e32 v24, v24, v26
	v_cndmask_b32_e64 v26, 0, 1, vcc
	v_lshlrev_b32_e32 v26, 3, v26
	v_add_lshl_u32 v42, v26, v31, 2
	ds_bpermute_b32 v26, v42, v24
	v_cmp_le_u32_e32 vcc, v43, v21
	s_waitcnt lgkmcnt(0)
	v_cndmask_b32_e32 v26, 0, v26, vcc
	v_cmp_gt_u32_e32 vcc, 48, v36
	v_add_u32_e32 v24, v24, v26
	v_cndmask_b32_e64 v26, 0, 1, vcc
	v_lshlrev_b32_e32 v26, 4, v26
	v_add_lshl_u32 v45, v26, v31, 2
	ds_bpermute_b32 v26, v45, v24
	v_cmp_le_u32_e32 vcc, v46, v21
	s_waitcnt lgkmcnt(0)
	v_cndmask_b32_e32 v26, 0, v26, vcc
	v_cmp_gt_u32_e32 vcc, 32, v36
	v_add_u32_e32 v24, v24, v26
	v_cndmask_b32_e64 v26, 0, 1, vcc
	v_lshlrev_b32_e32 v26, 5, v26
	v_add_lshl_u32 v47, v26, v31, 2
	ds_bpermute_b32 v26, v47, v24
	v_cmp_le_u32_e32 vcc, v48, v21
	s_waitcnt lgkmcnt(0)
	v_cndmask_b32_e32 v21, 0, v26, vcc
	v_add_u32_e32 v24, v24, v21
	v_mov_b32_e32 v21, 0
	s_branch .LBB1101_205
.LBB1101_204:                           ;   in Loop: Header=BB1101_205 Depth=1
	s_or_b64 exec, exec, s[28:29]
	v_cmp_eq_u16_sdwa s[28:29], v25, v19 src0_sel:BYTE_0 src1_sel:DWORD
	v_and_b32_e32 v26, s29, v23
	v_or_b32_e32 v26, 0x80000000, v26
	ds_bpermute_b32 v49, v37, v24
	v_and_b32_e32 v27, s28, v22
	v_ffbl_b32_e32 v26, v26
	v_add_u32_e32 v26, 32, v26
	v_ffbl_b32_e32 v27, v27
	v_min_u32_e32 v26, v27, v26
	v_cmp_lt_u32_e32 vcc, v36, v26
	s_waitcnt lgkmcnt(0)
	v_cndmask_b32_e32 v27, 0, v49, vcc
	v_add_u32_e32 v24, v27, v24
	ds_bpermute_b32 v27, v38, v24
	v_cmp_le_u32_e32 vcc, v39, v26
	v_subrev_u32_e32 v20, 64, v20
	s_waitcnt lgkmcnt(0)
	v_cndmask_b32_e32 v27, 0, v27, vcc
	v_add_u32_e32 v24, v24, v27
	ds_bpermute_b32 v27, v40, v24
	v_cmp_le_u32_e32 vcc, v41, v26
	s_waitcnt lgkmcnt(0)
	v_cndmask_b32_e32 v27, 0, v27, vcc
	v_add_u32_e32 v24, v24, v27
	ds_bpermute_b32 v27, v42, v24
	v_cmp_le_u32_e32 vcc, v43, v26
	;; [unrolled: 5-line block ×4, first 2 shown]
	s_waitcnt lgkmcnt(0)
	v_cndmask_b32_e32 v26, 0, v27, vcc
	v_add3_u32 v24, v26, v44, v24
.LBB1101_205:                           ; =>This Loop Header: Depth=1
                                        ;     Child Loop BB1101_208 Depth 2
                                        ;       Child Loop BB1101_209 Depth 3
	v_cmp_ne_u16_sdwa s[28:29], v25, v19 src0_sel:BYTE_0 src1_sel:DWORD
	v_cndmask_b32_e64 v25, 0, 1, s[28:29]
	;;#ASMSTART
	;;#ASMEND
	v_cmp_ne_u32_e32 vcc, 0, v25
	s_cmp_lg_u64 vcc, exec
	v_mov_b32_e32 v44, v24
	s_cbranch_scc1 .LBB1101_212
; %bb.206:                              ;   in Loop: Header=BB1101_205 Depth=1
	v_lshlrev_b64 v[24:25], 3, v[20:21]
	v_mov_b32_e32 v27, s31
	v_add_co_u32_e32 v26, vcc, s30, v24
	v_addc_co_u32_e32 v27, vcc, v27, v25, vcc
	global_load_dwordx2 v[24:25], v[26:27], off glc
	s_waitcnt vmcnt(0)
	v_cmp_eq_u16_sdwa s[36:37], v25, v21 src0_sel:BYTE_0 src1_sel:DWORD
	s_and_saveexec_b64 s[28:29], s[36:37]
	s_cbranch_execz .LBB1101_204
; %bb.207:                              ;   in Loop: Header=BB1101_205 Depth=1
	s_mov_b32 s7, 1
	s_mov_b64 s[36:37], 0
.LBB1101_208:                           ;   Parent Loop BB1101_205 Depth=1
                                        ; =>  This Loop Header: Depth=2
                                        ;       Child Loop BB1101_209 Depth 3
	s_max_u32 s33, s7, 1
.LBB1101_209:                           ;   Parent Loop BB1101_205 Depth=1
                                        ;     Parent Loop BB1101_208 Depth=2
                                        ; =>    This Inner Loop Header: Depth=3
	s_add_i32 s33, s33, -1
	s_cmp_eq_u32 s33, 0
	s_sleep 1
	s_cbranch_scc0 .LBB1101_209
; %bb.210:                              ;   in Loop: Header=BB1101_208 Depth=2
	global_load_dwordx2 v[24:25], v[26:27], off glc
	s_cmp_lt_u32 s7, 32
	s_cselect_b64 s[38:39], -1, 0
	s_cmp_lg_u64 s[38:39], 0
	s_addc_u32 s7, s7, 0
	s_waitcnt vmcnt(0)
	v_cmp_ne_u16_sdwa s[38:39], v25, v21 src0_sel:BYTE_0 src1_sel:DWORD
	s_or_b64 s[36:37], s[38:39], s[36:37]
	s_andn2_b64 exec, exec, s[36:37]
	s_cbranch_execnz .LBB1101_208
; %bb.211:                              ;   in Loop: Header=BB1101_205 Depth=1
	s_or_b64 exec, exec, s[36:37]
	s_branch .LBB1101_204
.LBB1101_212:                           ;   in Loop: Header=BB1101_205 Depth=1
                                        ; implicit-def: $vgpr24
                                        ; implicit-def: $vgpr25
	s_cbranch_execz .LBB1101_205
; %bb.213:
	s_and_saveexec_b64 s[28:29], s[16:17]
	s_cbranch_execz .LBB1101_215
; %bb.214:
	s_add_i32 s6, s6, 64
	s_mov_b32 s7, 0
	s_lshl_b64 s[6:7], s[6:7], 3
	s_add_u32 s6, s30, s6
	v_add_u32_e32 v20, v44, v18
	v_mov_b32_e32 v21, 2
	s_addc_u32 s7, s31, s7
	v_mov_b32_e32 v19, 0
	global_store_dwordx2 v19, v[20:21], s[6:7]
	s_movk_i32 s6, 0x1000
	v_add_u32_e64 v19, s6, 0
	ds_write2_b32 v19, v18, v44 offset0:32 offset1:34
.LBB1101_215:
	s_or_b64 exec, exec, s[28:29]
	v_cmp_eq_u32_e32 vcc, 0, v0
	s_and_b64 exec, exec, vcc
	s_cbranch_execz .LBB1101_217
; %bb.216:
	v_mov_b32_e32 v18, 0
	ds_write_b32 v18, v44 offset:4
.LBB1101_217:
	s_or_b64 exec, exec, s[26:27]
	v_mov_b32_e32 v19, 0
	s_waitcnt lgkmcnt(0)
	s_barrier
	ds_read_b32 v19, v19 offset:4
	s_movk_i32 s6, 0x1000
	v_add_u32_e64 v20, s6, 0
	v_cndmask_b32_e64 v18, v35, v34, s[16:17]
	v_cmp_ne_u32_e32 vcc, 0, v0
	s_waitcnt lgkmcnt(0)
	s_barrier
	ds_read2_b32 v[26:27], v20 offset0:32 offset1:34
	v_cndmask_b32_e32 v18, 0, v18, vcc
	v_add_u32_e32 v24, v19, v18
	v_add_u32_sdwa v22, v24, v28 dst_sel:DWORD dst_unused:UNUSED_PAD src0_sel:DWORD src1_sel:BYTE_0
	v_add_u32_sdwa v20, v22, v28 dst_sel:DWORD dst_unused:UNUSED_PAD src0_sel:DWORD src1_sel:BYTE_1
	v_add_u32_e32 v18, v20, v30
	s_waitcnt lgkmcnt(0)
	v_readfirstlane_b32 s26, v26
	v_readfirstlane_b32 s16, v27
	s_branch .LBB1101_228
.LBB1101_218:
                                        ; implicit-def: $vgpr18
                                        ; implicit-def: $vgpr20
                                        ; implicit-def: $vgpr22
                                        ; implicit-def: $vgpr24
                                        ; implicit-def: $sgpr16
                                        ; implicit-def: $sgpr26
	s_cbranch_execz .LBB1101_228
; %bb.219:
	s_nop 0
	v_mov_b32_dpp v18, v33 row_shr:1 row_mask:0xf bank_mask:0xf
	v_cndmask_b32_e64 v18, v18, 0, s[14:15]
	v_add_u32_e32 v18, v18, v33
	s_nop 1
	v_mov_b32_dpp v19, v18 row_shr:2 row_mask:0xf bank_mask:0xf
	v_cndmask_b32_e64 v19, 0, v19, s[12:13]
	v_add_u32_e32 v18, v18, v19
	;; [unrolled: 4-line block ×4, first 2 shown]
	s_nop 1
	v_mov_b32_dpp v19, v18 row_bcast:15 row_mask:0xf bank_mask:0xf
	v_cndmask_b32_e64 v19, v19, 0, s[18:19]
	v_add_u32_e32 v18, v18, v19
	s_nop 1
	v_mov_b32_dpp v19, v18 row_bcast:31 row_mask:0xf bank_mask:0xf
	v_cndmask_b32_e64 v19, 0, v19, s[0:1]
	v_add_u32_e32 v18, v18, v19
	s_and_saveexec_b64 s[0:1], s[2:3]
	s_cbranch_execz .LBB1101_221
; %bb.220:
	v_lshlrev_b32_e32 v19, 2, v32
	ds_write_b32 v19, v18
.LBB1101_221:
	s_or_b64 exec, exec, s[0:1]
	v_cmp_gt_u32_e32 vcc, 2, v0
	s_waitcnt lgkmcnt(0)
	s_barrier
	s_and_saveexec_b64 s[0:1], vcc
	s_cbranch_execz .LBB1101_223
; %bb.222:
	ds_read_b32 v19, v1
	v_bfe_i32 v20, v31, 0, 1
	s_waitcnt lgkmcnt(0)
	v_mov_b32_dpp v21, v19 row_shr:1 row_mask:0xf bank_mask:0xf
	v_and_b32_e32 v20, v20, v21
	v_add_u32_e32 v19, v20, v19
	ds_write_b32 v1, v19
.LBB1101_223:
	s_or_b64 exec, exec, s[0:1]
	v_cmp_lt_u32_e32 vcc, 63, v0
	v_mov_b32_e32 v19, 0
	v_mov_b32_e32 v1, 0
	s_waitcnt lgkmcnt(0)
	s_barrier
	s_and_saveexec_b64 s[0:1], vcc
	s_cbranch_execz .LBB1101_225
; %bb.224:
	v_lshl_add_u32 v1, v32, 2, -4
	ds_read_b32 v1, v1
.LBB1101_225:
	s_or_b64 exec, exec, s[0:1]
	v_add_u32_e32 v20, -1, v31
	v_and_b32_e32 v21, 64, v31
	v_cmp_lt_i32_e32 vcc, v20, v21
	v_cndmask_b32_e32 v20, v20, v31, vcc
	s_waitcnt lgkmcnt(0)
	v_add_u32_e32 v18, v1, v18
	v_lshlrev_b32_e32 v20, 2, v20
	ds_read_b32 v19, v19 offset:4
	ds_bpermute_b32 v18, v20, v18
	s_mov_b32 s16, 0
	v_cmp_eq_u32_e32 vcc, 0, v0
	s_waitcnt lgkmcnt(1)
	v_readfirstlane_b32 s26, v19
	s_and_saveexec_b64 s[0:1], vcc
	s_cbranch_execz .LBB1101_227
; %bb.226:
	v_mov_b32_e32 v19, 0
	v_mov_b32_e32 v20, s26
	;; [unrolled: 1-line block ×3, first 2 shown]
	global_store_dwordx2 v19, v[20:21], s[30:31] offset:512
.LBB1101_227:
	s_or_b64 exec, exec, s[0:1]
	v_cmp_eq_u32_e64 s[0:1], 0, v31
	s_waitcnt lgkmcnt(0)
	v_cndmask_b32_e64 v1, v18, v1, s[0:1]
	v_cndmask_b32_e64 v24, v1, 0, vcc
	v_add_u32_sdwa v22, v24, v28 dst_sel:DWORD dst_unused:UNUSED_PAD src0_sel:DWORD src1_sel:BYTE_0
	v_add_u32_sdwa v20, v22, v28 dst_sel:DWORD dst_unused:UNUSED_PAD src0_sel:DWORD src1_sel:BYTE_1
	v_add_u32_e32 v18, v20, v30
	s_barrier
.LBB1101_228:
	s_load_dwordx4 s[4:7], s[4:5], 0x28
	s_cmpk_lt_u32 s26, 0x81
	s_cselect_b64 s[2:3], -1, 0
	v_lshrrev_b32_e32 v1, 8, v28
	s_mov_b64 s[0:1], -1
	s_and_b64 vcc, exec, s[2:3]
	s_cbranch_vccz .LBB1101_242
; %bb.229:
	s_add_i32 s8, s16, s26
	v_cmp_gt_u32_e32 vcc, s8, v24
	s_or_b64 s[10:11], s[34:35], vcc
	s_and_saveexec_b64 s[0:1], s[10:11]
	s_cbranch_execz .LBB1101_232
; %bb.230:
	v_and_b32_e32 v19, 1, v28
	v_cmp_eq_u32_e32 vcc, 1, v19
	s_and_b64 exec, exec, vcc
	s_cbranch_execz .LBB1101_232
; %bb.231:
	s_lshl_b64 s[10:11], s[22:23], 3
	s_waitcnt lgkmcnt(0)
	s_add_u32 s9, s4, s10
	v_mov_b32_e32 v25, 0
	s_addc_u32 s10, s5, s11
	v_lshlrev_b64 v[26:27], 3, v[24:25]
	v_mov_b32_e32 v19, s10
	v_add_co_u32_e32 v26, vcc, s9, v26
	v_addc_co_u32_e32 v27, vcc, v19, v27, vcc
	global_store_dwordx2 v[26:27], v[14:15], off
.LBB1101_232:
	s_or_b64 exec, exec, s[0:1]
	v_cmp_gt_u32_e32 vcc, s8, v22
	s_or_b64 s[10:11], s[34:35], vcc
	s_and_saveexec_b64 s[0:1], s[10:11]
	s_cbranch_execz .LBB1101_235
; %bb.233:
	v_and_b32_e32 v19, 1, v1
	v_cmp_eq_u32_e32 vcc, 1, v19
	s_and_b64 exec, exec, vcc
	s_cbranch_execz .LBB1101_235
; %bb.234:
	s_lshl_b64 s[10:11], s[22:23], 3
	s_waitcnt lgkmcnt(0)
	s_add_u32 s9, s4, s10
	v_mov_b32_e32 v23, 0
	s_addc_u32 s10, s5, s11
	v_lshlrev_b64 v[26:27], 3, v[22:23]
	v_mov_b32_e32 v19, s10
	v_add_co_u32_e32 v26, vcc, s9, v26
	v_addc_co_u32_e32 v27, vcc, v19, v27, vcc
	global_store_dwordx2 v[26:27], v[16:17], off
.LBB1101_235:
	s_or_b64 exec, exec, s[0:1]
	v_cmp_gt_u32_e32 vcc, s8, v20
	s_or_b64 s[10:11], s[34:35], vcc
	s_and_saveexec_b64 s[0:1], s[10:11]
	s_cbranch_execz .LBB1101_238
; %bb.236:
	v_mov_b32_e32 v19, 1
	v_and_b32_sdwa v19, v19, v28 dst_sel:DWORD dst_unused:UNUSED_PAD src0_sel:DWORD src1_sel:WORD_1
	v_cmp_eq_u32_e32 vcc, 1, v19
	s_and_b64 exec, exec, vcc
	s_cbranch_execz .LBB1101_238
; %bb.237:
	s_lshl_b64 s[10:11], s[22:23], 3
	s_waitcnt lgkmcnt(0)
	s_add_u32 s9, s4, s10
	v_mov_b32_e32 v21, 0
	s_addc_u32 s10, s5, s11
	v_lshlrev_b64 v[26:27], 3, v[20:21]
	v_mov_b32_e32 v19, s10
	v_add_co_u32_e32 v26, vcc, s9, v26
	v_addc_co_u32_e32 v27, vcc, v19, v27, vcc
	global_store_dwordx2 v[26:27], v[10:11], off
.LBB1101_238:
	s_or_b64 exec, exec, s[0:1]
	v_cmp_gt_u32_e32 vcc, s8, v18
	s_or_b64 s[8:9], s[34:35], vcc
	s_and_saveexec_b64 s[0:1], s[8:9]
	s_cbranch_execz .LBB1101_241
; %bb.239:
	v_and_b32_e32 v19, 1, v29
	v_cmp_eq_u32_e32 vcc, 1, v19
	s_and_b64 exec, exec, vcc
	s_cbranch_execz .LBB1101_241
; %bb.240:
	s_lshl_b64 s[8:9], s[22:23], 3
	s_waitcnt lgkmcnt(0)
	s_add_u32 s8, s4, s8
	v_mov_b32_e32 v19, 0
	s_addc_u32 s9, s5, s9
	v_lshlrev_b64 v[26:27], 3, v[18:19]
	v_mov_b32_e32 v19, s9
	v_add_co_u32_e32 v26, vcc, s8, v26
	v_addc_co_u32_e32 v27, vcc, v19, v27, vcc
	global_store_dwordx2 v[26:27], v[12:13], off
.LBB1101_241:
	s_or_b64 exec, exec, s[0:1]
	s_mov_b64 s[0:1], 0
.LBB1101_242:
	v_and_b32_e32 v26, 1, v28
	s_and_b64 vcc, exec, s[0:1]
	v_cmp_eq_u32_e64 s[0:1], 1, v26
	s_cbranch_vccz .LBB1101_255
; %bb.243:
	s_and_saveexec_b64 s[8:9], s[0:1]
	s_cbranch_execz .LBB1101_245
; %bb.244:
	v_subrev_u32_e32 v19, s16, v24
	v_lshlrev_b32_e32 v19, 3, v19
	ds_write_b64 v19, v[14:15]
.LBB1101_245:
	s_or_b64 exec, exec, s[8:9]
	v_and_b32_e32 v14, 1, v1
	v_cmp_eq_u32_e32 vcc, 1, v14
	s_and_saveexec_b64 s[0:1], vcc
	s_cbranch_execz .LBB1101_247
; %bb.246:
	v_subrev_u32_e32 v14, s16, v22
	v_lshlrev_b32_e32 v14, 3, v14
	ds_write_b64 v14, v[16:17]
.LBB1101_247:
	s_or_b64 exec, exec, s[0:1]
	v_mov_b32_e32 v14, 1
	v_and_b32_sdwa v14, v14, v28 dst_sel:DWORD dst_unused:UNUSED_PAD src0_sel:DWORD src1_sel:WORD_1
	v_cmp_eq_u32_e32 vcc, 1, v14
	s_and_saveexec_b64 s[0:1], vcc
	s_cbranch_execz .LBB1101_249
; %bb.248:
	v_subrev_u32_e32 v14, s16, v20
	v_lshlrev_b32_e32 v14, 3, v14
	ds_write_b64 v14, v[10:11]
.LBB1101_249:
	s_or_b64 exec, exec, s[0:1]
	v_and_b32_e32 v10, 1, v29
	v_cmp_eq_u32_e32 vcc, 1, v10
	s_and_saveexec_b64 s[0:1], vcc
	s_cbranch_execz .LBB1101_251
; %bb.250:
	v_subrev_u32_e32 v10, s16, v18
	v_lshlrev_b32_e32 v10, 3, v10
	ds_write_b64 v10, v[12:13]
.LBB1101_251:
	s_or_b64 exec, exec, s[0:1]
	v_cmp_gt_u32_e32 vcc, s26, v0
	s_waitcnt lgkmcnt(0)
	s_barrier
	s_and_saveexec_b64 s[0:1], vcc
	s_cbranch_execz .LBB1101_254
; %bb.252:
	s_mov_b32 s17, 0
	s_lshl_b64 s[8:9], s[16:17], 3
	s_add_u32 s8, s4, s8
	s_addc_u32 s9, s5, s9
	s_lshl_b64 s[4:5], s[22:23], 3
	s_add_u32 s8, s8, s4
	s_addc_u32 s9, s9, s5
	v_lshlrev_b32_e32 v12, 3, v0
	s_mov_b64 s[4:5], 0
	v_mov_b32_e32 v11, 0
	v_mov_b32_e32 v13, s9
	v_mov_b32_e32 v10, v0
.LBB1101_253:                           ; =>This Inner Loop Header: Depth=1
	ds_read_b64 v[14:15], v12
	v_lshlrev_b64 v[16:17], 3, v[10:11]
	v_add_co_u32_e32 v16, vcc, s8, v16
	v_add_u32_e32 v10, 0x80, v10
	v_addc_co_u32_e32 v17, vcc, v13, v17, vcc
	v_cmp_le_u32_e32 vcc, s26, v10
	v_add_u32_e32 v12, 0x400, v12
	s_or_b64 s[4:5], vcc, s[4:5]
	s_waitcnt lgkmcnt(0)
	global_store_dwordx2 v[16:17], v[14:15], off
	s_andn2_b64 exec, exec, s[4:5]
	s_cbranch_execnz .LBB1101_253
.LBB1101_254:
	s_or_b64 exec, exec, s[0:1]
.LBB1101_255:
	s_mov_b64 s[0:1], -1
	s_and_b64 vcc, exec, s[2:3]
	s_waitcnt lgkmcnt(0)
	s_barrier
	s_cbranch_vccnz .LBB1101_259
; %bb.256:
	s_and_b64 vcc, exec, s[0:1]
	s_cbranch_vccnz .LBB1101_272
.LBB1101_257:
	v_cmp_eq_u32_e32 vcc, 0, v0
	s_and_b64 s[0:1], vcc, s[24:25]
	s_and_saveexec_b64 s[2:3], s[0:1]
	s_cbranch_execnz .LBB1101_284
.LBB1101_258:
	s_endpgm
.LBB1101_259:
	s_add_i32 s2, s16, s26
	v_cmp_gt_u32_e32 vcc, s2, v24
	s_or_b64 s[4:5], s[34:35], vcc
	s_and_saveexec_b64 s[0:1], s[4:5]
	s_cbranch_execz .LBB1101_262
; %bb.260:
	v_cmp_eq_u32_e32 vcc, 1, v26
	s_and_b64 exec, exec, vcc
	s_cbranch_execz .LBB1101_262
; %bb.261:
	s_lshl_b64 s[4:5], s[22:23], 3
	s_add_u32 s3, s6, s4
	v_mov_b32_e32 v25, 0
	s_addc_u32 s4, s7, s5
	v_lshlrev_b64 v[10:11], 3, v[24:25]
	v_mov_b32_e32 v12, s4
	v_add_co_u32_e32 v10, vcc, s3, v10
	v_addc_co_u32_e32 v11, vcc, v12, v11, vcc
	global_store_dwordx2 v[10:11], v[6:7], off
.LBB1101_262:
	s_or_b64 exec, exec, s[0:1]
	v_cmp_gt_u32_e32 vcc, s2, v22
	s_or_b64 s[4:5], s[34:35], vcc
	s_and_saveexec_b64 s[0:1], s[4:5]
	s_cbranch_execz .LBB1101_265
; %bb.263:
	v_and_b32_e32 v10, 1, v1
	v_cmp_eq_u32_e32 vcc, 1, v10
	s_and_b64 exec, exec, vcc
	s_cbranch_execz .LBB1101_265
; %bb.264:
	s_lshl_b64 s[4:5], s[22:23], 3
	s_add_u32 s3, s6, s4
	v_mov_b32_e32 v23, 0
	s_addc_u32 s4, s7, s5
	v_lshlrev_b64 v[10:11], 3, v[22:23]
	v_mov_b32_e32 v12, s4
	v_add_co_u32_e32 v10, vcc, s3, v10
	v_addc_co_u32_e32 v11, vcc, v12, v11, vcc
	global_store_dwordx2 v[10:11], v[8:9], off
.LBB1101_265:
	s_or_b64 exec, exec, s[0:1]
	v_cmp_gt_u32_e32 vcc, s2, v20
	s_or_b64 s[4:5], s[34:35], vcc
	s_and_saveexec_b64 s[0:1], s[4:5]
	s_cbranch_execz .LBB1101_268
; %bb.266:
	v_mov_b32_e32 v10, 1
	v_and_b32_sdwa v10, v10, v28 dst_sel:DWORD dst_unused:UNUSED_PAD src0_sel:DWORD src1_sel:WORD_1
	v_cmp_eq_u32_e32 vcc, 1, v10
	s_and_b64 exec, exec, vcc
	s_cbranch_execz .LBB1101_268
; %bb.267:
	s_lshl_b64 s[4:5], s[22:23], 3
	s_add_u32 s3, s6, s4
	v_mov_b32_e32 v21, 0
	s_addc_u32 s4, s7, s5
	v_lshlrev_b64 v[10:11], 3, v[20:21]
	v_mov_b32_e32 v12, s4
	v_add_co_u32_e32 v10, vcc, s3, v10
	v_addc_co_u32_e32 v11, vcc, v12, v11, vcc
	global_store_dwordx2 v[10:11], v[2:3], off
.LBB1101_268:
	s_or_b64 exec, exec, s[0:1]
	v_cmp_gt_u32_e32 vcc, s2, v18
	s_or_b64 s[2:3], s[34:35], vcc
	s_and_saveexec_b64 s[0:1], s[2:3]
	s_cbranch_execz .LBB1101_271
; %bb.269:
	v_and_b32_e32 v10, 1, v29
	v_cmp_eq_u32_e32 vcc, 1, v10
	s_and_b64 exec, exec, vcc
	s_cbranch_execz .LBB1101_271
; %bb.270:
	s_lshl_b64 s[2:3], s[22:23], 3
	s_add_u32 s2, s6, s2
	v_mov_b32_e32 v19, 0
	s_addc_u32 s3, s7, s3
	v_lshlrev_b64 v[10:11], 3, v[18:19]
	v_mov_b32_e32 v12, s3
	v_add_co_u32_e32 v10, vcc, s2, v10
	v_addc_co_u32_e32 v11, vcc, v12, v11, vcc
	global_store_dwordx2 v[10:11], v[4:5], off
.LBB1101_271:
	s_or_b64 exec, exec, s[0:1]
	s_branch .LBB1101_257
.LBB1101_272:
	v_cmp_eq_u32_e32 vcc, 1, v26
	s_and_saveexec_b64 s[0:1], vcc
	s_cbranch_execz .LBB1101_274
; %bb.273:
	v_subrev_u32_e32 v10, s16, v24
	v_lshlrev_b32_e32 v10, 3, v10
	ds_write_b64 v10, v[6:7]
.LBB1101_274:
	s_or_b64 exec, exec, s[0:1]
	v_and_b32_e32 v1, 1, v1
	v_cmp_eq_u32_e32 vcc, 1, v1
	s_and_saveexec_b64 s[0:1], vcc
	s_cbranch_execz .LBB1101_276
; %bb.275:
	v_subrev_u32_e32 v1, s16, v22
	v_lshlrev_b32_e32 v1, 3, v1
	ds_write_b64 v1, v[8:9]
.LBB1101_276:
	s_or_b64 exec, exec, s[0:1]
	v_mov_b32_e32 v1, 1
	v_and_b32_sdwa v1, v1, v28 dst_sel:DWORD dst_unused:UNUSED_PAD src0_sel:DWORD src1_sel:WORD_1
	v_cmp_eq_u32_e32 vcc, 1, v1
	s_and_saveexec_b64 s[0:1], vcc
	s_cbranch_execz .LBB1101_278
; %bb.277:
	v_subrev_u32_e32 v1, s16, v20
	v_lshlrev_b32_e32 v1, 3, v1
	ds_write_b64 v1, v[2:3]
.LBB1101_278:
	s_or_b64 exec, exec, s[0:1]
	v_and_b32_e32 v1, 1, v29
	v_cmp_eq_u32_e32 vcc, 1, v1
	s_and_saveexec_b64 s[0:1], vcc
	s_cbranch_execz .LBB1101_280
; %bb.279:
	v_subrev_u32_e32 v1, s16, v18
	v_lshlrev_b32_e32 v1, 3, v1
	ds_write_b64 v1, v[4:5]
.LBB1101_280:
	s_or_b64 exec, exec, s[0:1]
	v_cmp_gt_u32_e32 vcc, s26, v0
	s_waitcnt lgkmcnt(0)
	s_barrier
	s_and_saveexec_b64 s[0:1], vcc
	s_cbranch_execz .LBB1101_283
; %bb.281:
	s_mov_b32 s17, 0
	s_lshl_b64 s[2:3], s[16:17], 3
	s_add_u32 s4, s6, s2
	s_addc_u32 s5, s7, s3
	s_lshl_b64 s[2:3], s[22:23], 3
	s_add_u32 s4, s4, s2
	s_addc_u32 s5, s5, s3
	v_lshlrev_b32_e32 v1, 3, v0
	s_mov_b64 s[2:3], 0
	v_mov_b32_e32 v3, 0
	v_mov_b32_e32 v4, s5
	;; [unrolled: 1-line block ×3, first 2 shown]
.LBB1101_282:                           ; =>This Inner Loop Header: Depth=1
	ds_read_b64 v[6:7], v1
	v_lshlrev_b64 v[8:9], 3, v[2:3]
	v_add_co_u32_e32 v8, vcc, s4, v8
	v_add_u32_e32 v2, 0x80, v2
	v_addc_co_u32_e32 v9, vcc, v4, v9, vcc
	v_cmp_le_u32_e32 vcc, s26, v2
	v_add_u32_e32 v1, 0x400, v1
	s_or_b64 s[2:3], vcc, s[2:3]
	s_waitcnt lgkmcnt(0)
	global_store_dwordx2 v[8:9], v[6:7], off
	s_andn2_b64 exec, exec, s[2:3]
	s_cbranch_execnz .LBB1101_282
.LBB1101_283:
	s_or_b64 exec, exec, s[0:1]
	v_cmp_eq_u32_e32 vcc, 0, v0
	s_and_b64 s[0:1], vcc, s[24:25]
	s_and_saveexec_b64 s[2:3], s[0:1]
	s_cbranch_execz .LBB1101_258
.LBB1101_284:
	s_add_u32 s0, s22, s26
	s_addc_u32 s1, s23, 0
	s_add_u32 s0, s0, s16
	s_addc_u32 s1, s1, 0
	v_mov_b32_e32 v2, 0
	v_pk_mov_b32 v[0:1], s[0:1], s[0:1] op_sel:[0,1]
	global_store_dwordx2 v2, v[0:1], s[20:21]
	s_endpgm
	.section	.rodata,"a",@progbits
	.p2align	6, 0x0
	.amdhsa_kernel _ZN7rocprim17ROCPRIM_400000_NS6detail17trampoline_kernelINS0_14default_configENS1_25partition_config_selectorILNS1_17partition_subalgoE9EllbEEZZNS1_14partition_implILS5_9ELb0ES3_jPlS8_PNS0_10empty_typeENS0_5tupleIJS8_S9_EEENSB_IJS8_SA_EEENS0_18inequality_wrapperIZN2at6native12_GLOBAL__N_124unique_dim_cuda_templateIbEESt5tupleIJNSF_6TensorESK_SK_EERKSK_lbbbEUlllE0_EEPmJS9_EEE10hipError_tPvRmT3_T4_T5_T6_T7_T9_mT8_P12ihipStream_tbDpT10_ENKUlT_T0_E_clISt17integral_constantIbLb1EES19_IbLb0EEEEDaS15_S16_EUlS15_E_NS1_11comp_targetILNS1_3genE4ELNS1_11target_archE910ELNS1_3gpuE8ELNS1_3repE0EEENS1_30default_config_static_selectorELNS0_4arch9wavefront6targetE1EEEvT1_
		.amdhsa_group_segment_fixed_size 4236
		.amdhsa_private_segment_fixed_size 0
		.amdhsa_kernarg_size 120
		.amdhsa_user_sgpr_count 6
		.amdhsa_user_sgpr_private_segment_buffer 1
		.amdhsa_user_sgpr_dispatch_ptr 0
		.amdhsa_user_sgpr_queue_ptr 0
		.amdhsa_user_sgpr_kernarg_segment_ptr 1
		.amdhsa_user_sgpr_dispatch_id 0
		.amdhsa_user_sgpr_flat_scratch_init 0
		.amdhsa_user_sgpr_kernarg_preload_length 0
		.amdhsa_user_sgpr_kernarg_preload_offset 0
		.amdhsa_user_sgpr_private_segment_size 0
		.amdhsa_uses_dynamic_stack 0
		.amdhsa_system_sgpr_private_segment_wavefront_offset 0
		.amdhsa_system_sgpr_workgroup_id_x 1
		.amdhsa_system_sgpr_workgroup_id_y 0
		.amdhsa_system_sgpr_workgroup_id_z 0
		.amdhsa_system_sgpr_workgroup_info 0
		.amdhsa_system_vgpr_workitem_id 0
		.amdhsa_next_free_vgpr 50
		.amdhsa_next_free_sgpr 46
		.amdhsa_accum_offset 52
		.amdhsa_reserve_vcc 1
		.amdhsa_reserve_flat_scratch 0
		.amdhsa_float_round_mode_32 0
		.amdhsa_float_round_mode_16_64 0
		.amdhsa_float_denorm_mode_32 3
		.amdhsa_float_denorm_mode_16_64 3
		.amdhsa_dx10_clamp 1
		.amdhsa_ieee_mode 1
		.amdhsa_fp16_overflow 0
		.amdhsa_tg_split 0
		.amdhsa_exception_fp_ieee_invalid_op 0
		.amdhsa_exception_fp_denorm_src 0
		.amdhsa_exception_fp_ieee_div_zero 0
		.amdhsa_exception_fp_ieee_overflow 0
		.amdhsa_exception_fp_ieee_underflow 0
		.amdhsa_exception_fp_ieee_inexact 0
		.amdhsa_exception_int_div_zero 0
	.end_amdhsa_kernel
	.section	.text._ZN7rocprim17ROCPRIM_400000_NS6detail17trampoline_kernelINS0_14default_configENS1_25partition_config_selectorILNS1_17partition_subalgoE9EllbEEZZNS1_14partition_implILS5_9ELb0ES3_jPlS8_PNS0_10empty_typeENS0_5tupleIJS8_S9_EEENSB_IJS8_SA_EEENS0_18inequality_wrapperIZN2at6native12_GLOBAL__N_124unique_dim_cuda_templateIbEESt5tupleIJNSF_6TensorESK_SK_EERKSK_lbbbEUlllE0_EEPmJS9_EEE10hipError_tPvRmT3_T4_T5_T6_T7_T9_mT8_P12ihipStream_tbDpT10_ENKUlT_T0_E_clISt17integral_constantIbLb1EES19_IbLb0EEEEDaS15_S16_EUlS15_E_NS1_11comp_targetILNS1_3genE4ELNS1_11target_archE910ELNS1_3gpuE8ELNS1_3repE0EEENS1_30default_config_static_selectorELNS0_4arch9wavefront6targetE1EEEvT1_,"axG",@progbits,_ZN7rocprim17ROCPRIM_400000_NS6detail17trampoline_kernelINS0_14default_configENS1_25partition_config_selectorILNS1_17partition_subalgoE9EllbEEZZNS1_14partition_implILS5_9ELb0ES3_jPlS8_PNS0_10empty_typeENS0_5tupleIJS8_S9_EEENSB_IJS8_SA_EEENS0_18inequality_wrapperIZN2at6native12_GLOBAL__N_124unique_dim_cuda_templateIbEESt5tupleIJNSF_6TensorESK_SK_EERKSK_lbbbEUlllE0_EEPmJS9_EEE10hipError_tPvRmT3_T4_T5_T6_T7_T9_mT8_P12ihipStream_tbDpT10_ENKUlT_T0_E_clISt17integral_constantIbLb1EES19_IbLb0EEEEDaS15_S16_EUlS15_E_NS1_11comp_targetILNS1_3genE4ELNS1_11target_archE910ELNS1_3gpuE8ELNS1_3repE0EEENS1_30default_config_static_selectorELNS0_4arch9wavefront6targetE1EEEvT1_,comdat
.Lfunc_end1101:
	.size	_ZN7rocprim17ROCPRIM_400000_NS6detail17trampoline_kernelINS0_14default_configENS1_25partition_config_selectorILNS1_17partition_subalgoE9EllbEEZZNS1_14partition_implILS5_9ELb0ES3_jPlS8_PNS0_10empty_typeENS0_5tupleIJS8_S9_EEENSB_IJS8_SA_EEENS0_18inequality_wrapperIZN2at6native12_GLOBAL__N_124unique_dim_cuda_templateIbEESt5tupleIJNSF_6TensorESK_SK_EERKSK_lbbbEUlllE0_EEPmJS9_EEE10hipError_tPvRmT3_T4_T5_T6_T7_T9_mT8_P12ihipStream_tbDpT10_ENKUlT_T0_E_clISt17integral_constantIbLb1EES19_IbLb0EEEEDaS15_S16_EUlS15_E_NS1_11comp_targetILNS1_3genE4ELNS1_11target_archE910ELNS1_3gpuE8ELNS1_3repE0EEENS1_30default_config_static_selectorELNS0_4arch9wavefront6targetE1EEEvT1_, .Lfunc_end1101-_ZN7rocprim17ROCPRIM_400000_NS6detail17trampoline_kernelINS0_14default_configENS1_25partition_config_selectorILNS1_17partition_subalgoE9EllbEEZZNS1_14partition_implILS5_9ELb0ES3_jPlS8_PNS0_10empty_typeENS0_5tupleIJS8_S9_EEENSB_IJS8_SA_EEENS0_18inequality_wrapperIZN2at6native12_GLOBAL__N_124unique_dim_cuda_templateIbEESt5tupleIJNSF_6TensorESK_SK_EERKSK_lbbbEUlllE0_EEPmJS9_EEE10hipError_tPvRmT3_T4_T5_T6_T7_T9_mT8_P12ihipStream_tbDpT10_ENKUlT_T0_E_clISt17integral_constantIbLb1EES19_IbLb0EEEEDaS15_S16_EUlS15_E_NS1_11comp_targetILNS1_3genE4ELNS1_11target_archE910ELNS1_3gpuE8ELNS1_3repE0EEENS1_30default_config_static_selectorELNS0_4arch9wavefront6targetE1EEEvT1_
                                        ; -- End function
	.section	.AMDGPU.csdata,"",@progbits
; Kernel info:
; codeLenInByte = 10108
; NumSgprs: 50
; NumVgprs: 50
; NumAgprs: 0
; TotalNumVgprs: 50
; ScratchSize: 0
; MemoryBound: 0
; FloatMode: 240
; IeeeMode: 1
; LDSByteSize: 4236 bytes/workgroup (compile time only)
; SGPRBlocks: 6
; VGPRBlocks: 6
; NumSGPRsForWavesPerEU: 50
; NumVGPRsForWavesPerEU: 50
; AccumOffset: 52
; Occupancy: 8
; WaveLimiterHint : 1
; COMPUTE_PGM_RSRC2:SCRATCH_EN: 0
; COMPUTE_PGM_RSRC2:USER_SGPR: 6
; COMPUTE_PGM_RSRC2:TRAP_HANDLER: 0
; COMPUTE_PGM_RSRC2:TGID_X_EN: 1
; COMPUTE_PGM_RSRC2:TGID_Y_EN: 0
; COMPUTE_PGM_RSRC2:TGID_Z_EN: 0
; COMPUTE_PGM_RSRC2:TIDIG_COMP_CNT: 0
; COMPUTE_PGM_RSRC3_GFX90A:ACCUM_OFFSET: 12
; COMPUTE_PGM_RSRC3_GFX90A:TG_SPLIT: 0
	.section	.text._ZN7rocprim17ROCPRIM_400000_NS6detail17trampoline_kernelINS0_14default_configENS1_25partition_config_selectorILNS1_17partition_subalgoE9EllbEEZZNS1_14partition_implILS5_9ELb0ES3_jPlS8_PNS0_10empty_typeENS0_5tupleIJS8_S9_EEENSB_IJS8_SA_EEENS0_18inequality_wrapperIZN2at6native12_GLOBAL__N_124unique_dim_cuda_templateIbEESt5tupleIJNSF_6TensorESK_SK_EERKSK_lbbbEUlllE0_EEPmJS9_EEE10hipError_tPvRmT3_T4_T5_T6_T7_T9_mT8_P12ihipStream_tbDpT10_ENKUlT_T0_E_clISt17integral_constantIbLb1EES19_IbLb0EEEEDaS15_S16_EUlS15_E_NS1_11comp_targetILNS1_3genE3ELNS1_11target_archE908ELNS1_3gpuE7ELNS1_3repE0EEENS1_30default_config_static_selectorELNS0_4arch9wavefront6targetE1EEEvT1_,"axG",@progbits,_ZN7rocprim17ROCPRIM_400000_NS6detail17trampoline_kernelINS0_14default_configENS1_25partition_config_selectorILNS1_17partition_subalgoE9EllbEEZZNS1_14partition_implILS5_9ELb0ES3_jPlS8_PNS0_10empty_typeENS0_5tupleIJS8_S9_EEENSB_IJS8_SA_EEENS0_18inequality_wrapperIZN2at6native12_GLOBAL__N_124unique_dim_cuda_templateIbEESt5tupleIJNSF_6TensorESK_SK_EERKSK_lbbbEUlllE0_EEPmJS9_EEE10hipError_tPvRmT3_T4_T5_T6_T7_T9_mT8_P12ihipStream_tbDpT10_ENKUlT_T0_E_clISt17integral_constantIbLb1EES19_IbLb0EEEEDaS15_S16_EUlS15_E_NS1_11comp_targetILNS1_3genE3ELNS1_11target_archE908ELNS1_3gpuE7ELNS1_3repE0EEENS1_30default_config_static_selectorELNS0_4arch9wavefront6targetE1EEEvT1_,comdat
	.globl	_ZN7rocprim17ROCPRIM_400000_NS6detail17trampoline_kernelINS0_14default_configENS1_25partition_config_selectorILNS1_17partition_subalgoE9EllbEEZZNS1_14partition_implILS5_9ELb0ES3_jPlS8_PNS0_10empty_typeENS0_5tupleIJS8_S9_EEENSB_IJS8_SA_EEENS0_18inequality_wrapperIZN2at6native12_GLOBAL__N_124unique_dim_cuda_templateIbEESt5tupleIJNSF_6TensorESK_SK_EERKSK_lbbbEUlllE0_EEPmJS9_EEE10hipError_tPvRmT3_T4_T5_T6_T7_T9_mT8_P12ihipStream_tbDpT10_ENKUlT_T0_E_clISt17integral_constantIbLb1EES19_IbLb0EEEEDaS15_S16_EUlS15_E_NS1_11comp_targetILNS1_3genE3ELNS1_11target_archE908ELNS1_3gpuE7ELNS1_3repE0EEENS1_30default_config_static_selectorELNS0_4arch9wavefront6targetE1EEEvT1_ ; -- Begin function _ZN7rocprim17ROCPRIM_400000_NS6detail17trampoline_kernelINS0_14default_configENS1_25partition_config_selectorILNS1_17partition_subalgoE9EllbEEZZNS1_14partition_implILS5_9ELb0ES3_jPlS8_PNS0_10empty_typeENS0_5tupleIJS8_S9_EEENSB_IJS8_SA_EEENS0_18inequality_wrapperIZN2at6native12_GLOBAL__N_124unique_dim_cuda_templateIbEESt5tupleIJNSF_6TensorESK_SK_EERKSK_lbbbEUlllE0_EEPmJS9_EEE10hipError_tPvRmT3_T4_T5_T6_T7_T9_mT8_P12ihipStream_tbDpT10_ENKUlT_T0_E_clISt17integral_constantIbLb1EES19_IbLb0EEEEDaS15_S16_EUlS15_E_NS1_11comp_targetILNS1_3genE3ELNS1_11target_archE908ELNS1_3gpuE7ELNS1_3repE0EEENS1_30default_config_static_selectorELNS0_4arch9wavefront6targetE1EEEvT1_
	.p2align	8
	.type	_ZN7rocprim17ROCPRIM_400000_NS6detail17trampoline_kernelINS0_14default_configENS1_25partition_config_selectorILNS1_17partition_subalgoE9EllbEEZZNS1_14partition_implILS5_9ELb0ES3_jPlS8_PNS0_10empty_typeENS0_5tupleIJS8_S9_EEENSB_IJS8_SA_EEENS0_18inequality_wrapperIZN2at6native12_GLOBAL__N_124unique_dim_cuda_templateIbEESt5tupleIJNSF_6TensorESK_SK_EERKSK_lbbbEUlllE0_EEPmJS9_EEE10hipError_tPvRmT3_T4_T5_T6_T7_T9_mT8_P12ihipStream_tbDpT10_ENKUlT_T0_E_clISt17integral_constantIbLb1EES19_IbLb0EEEEDaS15_S16_EUlS15_E_NS1_11comp_targetILNS1_3genE3ELNS1_11target_archE908ELNS1_3gpuE7ELNS1_3repE0EEENS1_30default_config_static_selectorELNS0_4arch9wavefront6targetE1EEEvT1_,@function
_ZN7rocprim17ROCPRIM_400000_NS6detail17trampoline_kernelINS0_14default_configENS1_25partition_config_selectorILNS1_17partition_subalgoE9EllbEEZZNS1_14partition_implILS5_9ELb0ES3_jPlS8_PNS0_10empty_typeENS0_5tupleIJS8_S9_EEENSB_IJS8_SA_EEENS0_18inequality_wrapperIZN2at6native12_GLOBAL__N_124unique_dim_cuda_templateIbEESt5tupleIJNSF_6TensorESK_SK_EERKSK_lbbbEUlllE0_EEPmJS9_EEE10hipError_tPvRmT3_T4_T5_T6_T7_T9_mT8_P12ihipStream_tbDpT10_ENKUlT_T0_E_clISt17integral_constantIbLb1EES19_IbLb0EEEEDaS15_S16_EUlS15_E_NS1_11comp_targetILNS1_3genE3ELNS1_11target_archE908ELNS1_3gpuE7ELNS1_3repE0EEENS1_30default_config_static_selectorELNS0_4arch9wavefront6targetE1EEEvT1_: ; @_ZN7rocprim17ROCPRIM_400000_NS6detail17trampoline_kernelINS0_14default_configENS1_25partition_config_selectorILNS1_17partition_subalgoE9EllbEEZZNS1_14partition_implILS5_9ELb0ES3_jPlS8_PNS0_10empty_typeENS0_5tupleIJS8_S9_EEENSB_IJS8_SA_EEENS0_18inequality_wrapperIZN2at6native12_GLOBAL__N_124unique_dim_cuda_templateIbEESt5tupleIJNSF_6TensorESK_SK_EERKSK_lbbbEUlllE0_EEPmJS9_EEE10hipError_tPvRmT3_T4_T5_T6_T7_T9_mT8_P12ihipStream_tbDpT10_ENKUlT_T0_E_clISt17integral_constantIbLb1EES19_IbLb0EEEEDaS15_S16_EUlS15_E_NS1_11comp_targetILNS1_3genE3ELNS1_11target_archE908ELNS1_3gpuE7ELNS1_3repE0EEENS1_30default_config_static_selectorELNS0_4arch9wavefront6targetE1EEEvT1_
; %bb.0:
	.section	.rodata,"a",@progbits
	.p2align	6, 0x0
	.amdhsa_kernel _ZN7rocprim17ROCPRIM_400000_NS6detail17trampoline_kernelINS0_14default_configENS1_25partition_config_selectorILNS1_17partition_subalgoE9EllbEEZZNS1_14partition_implILS5_9ELb0ES3_jPlS8_PNS0_10empty_typeENS0_5tupleIJS8_S9_EEENSB_IJS8_SA_EEENS0_18inequality_wrapperIZN2at6native12_GLOBAL__N_124unique_dim_cuda_templateIbEESt5tupleIJNSF_6TensorESK_SK_EERKSK_lbbbEUlllE0_EEPmJS9_EEE10hipError_tPvRmT3_T4_T5_T6_T7_T9_mT8_P12ihipStream_tbDpT10_ENKUlT_T0_E_clISt17integral_constantIbLb1EES19_IbLb0EEEEDaS15_S16_EUlS15_E_NS1_11comp_targetILNS1_3genE3ELNS1_11target_archE908ELNS1_3gpuE7ELNS1_3repE0EEENS1_30default_config_static_selectorELNS0_4arch9wavefront6targetE1EEEvT1_
		.amdhsa_group_segment_fixed_size 0
		.amdhsa_private_segment_fixed_size 0
		.amdhsa_kernarg_size 120
		.amdhsa_user_sgpr_count 6
		.amdhsa_user_sgpr_private_segment_buffer 1
		.amdhsa_user_sgpr_dispatch_ptr 0
		.amdhsa_user_sgpr_queue_ptr 0
		.amdhsa_user_sgpr_kernarg_segment_ptr 1
		.amdhsa_user_sgpr_dispatch_id 0
		.amdhsa_user_sgpr_flat_scratch_init 0
		.amdhsa_user_sgpr_kernarg_preload_length 0
		.amdhsa_user_sgpr_kernarg_preload_offset 0
		.amdhsa_user_sgpr_private_segment_size 0
		.amdhsa_uses_dynamic_stack 0
		.amdhsa_system_sgpr_private_segment_wavefront_offset 0
		.amdhsa_system_sgpr_workgroup_id_x 1
		.amdhsa_system_sgpr_workgroup_id_y 0
		.amdhsa_system_sgpr_workgroup_id_z 0
		.amdhsa_system_sgpr_workgroup_info 0
		.amdhsa_system_vgpr_workitem_id 0
		.amdhsa_next_free_vgpr 1
		.amdhsa_next_free_sgpr 0
		.amdhsa_accum_offset 4
		.amdhsa_reserve_vcc 0
		.amdhsa_reserve_flat_scratch 0
		.amdhsa_float_round_mode_32 0
		.amdhsa_float_round_mode_16_64 0
		.amdhsa_float_denorm_mode_32 3
		.amdhsa_float_denorm_mode_16_64 3
		.amdhsa_dx10_clamp 1
		.amdhsa_ieee_mode 1
		.amdhsa_fp16_overflow 0
		.amdhsa_tg_split 0
		.amdhsa_exception_fp_ieee_invalid_op 0
		.amdhsa_exception_fp_denorm_src 0
		.amdhsa_exception_fp_ieee_div_zero 0
		.amdhsa_exception_fp_ieee_overflow 0
		.amdhsa_exception_fp_ieee_underflow 0
		.amdhsa_exception_fp_ieee_inexact 0
		.amdhsa_exception_int_div_zero 0
	.end_amdhsa_kernel
	.section	.text._ZN7rocprim17ROCPRIM_400000_NS6detail17trampoline_kernelINS0_14default_configENS1_25partition_config_selectorILNS1_17partition_subalgoE9EllbEEZZNS1_14partition_implILS5_9ELb0ES3_jPlS8_PNS0_10empty_typeENS0_5tupleIJS8_S9_EEENSB_IJS8_SA_EEENS0_18inequality_wrapperIZN2at6native12_GLOBAL__N_124unique_dim_cuda_templateIbEESt5tupleIJNSF_6TensorESK_SK_EERKSK_lbbbEUlllE0_EEPmJS9_EEE10hipError_tPvRmT3_T4_T5_T6_T7_T9_mT8_P12ihipStream_tbDpT10_ENKUlT_T0_E_clISt17integral_constantIbLb1EES19_IbLb0EEEEDaS15_S16_EUlS15_E_NS1_11comp_targetILNS1_3genE3ELNS1_11target_archE908ELNS1_3gpuE7ELNS1_3repE0EEENS1_30default_config_static_selectorELNS0_4arch9wavefront6targetE1EEEvT1_,"axG",@progbits,_ZN7rocprim17ROCPRIM_400000_NS6detail17trampoline_kernelINS0_14default_configENS1_25partition_config_selectorILNS1_17partition_subalgoE9EllbEEZZNS1_14partition_implILS5_9ELb0ES3_jPlS8_PNS0_10empty_typeENS0_5tupleIJS8_S9_EEENSB_IJS8_SA_EEENS0_18inequality_wrapperIZN2at6native12_GLOBAL__N_124unique_dim_cuda_templateIbEESt5tupleIJNSF_6TensorESK_SK_EERKSK_lbbbEUlllE0_EEPmJS9_EEE10hipError_tPvRmT3_T4_T5_T6_T7_T9_mT8_P12ihipStream_tbDpT10_ENKUlT_T0_E_clISt17integral_constantIbLb1EES19_IbLb0EEEEDaS15_S16_EUlS15_E_NS1_11comp_targetILNS1_3genE3ELNS1_11target_archE908ELNS1_3gpuE7ELNS1_3repE0EEENS1_30default_config_static_selectorELNS0_4arch9wavefront6targetE1EEEvT1_,comdat
.Lfunc_end1102:
	.size	_ZN7rocprim17ROCPRIM_400000_NS6detail17trampoline_kernelINS0_14default_configENS1_25partition_config_selectorILNS1_17partition_subalgoE9EllbEEZZNS1_14partition_implILS5_9ELb0ES3_jPlS8_PNS0_10empty_typeENS0_5tupleIJS8_S9_EEENSB_IJS8_SA_EEENS0_18inequality_wrapperIZN2at6native12_GLOBAL__N_124unique_dim_cuda_templateIbEESt5tupleIJNSF_6TensorESK_SK_EERKSK_lbbbEUlllE0_EEPmJS9_EEE10hipError_tPvRmT3_T4_T5_T6_T7_T9_mT8_P12ihipStream_tbDpT10_ENKUlT_T0_E_clISt17integral_constantIbLb1EES19_IbLb0EEEEDaS15_S16_EUlS15_E_NS1_11comp_targetILNS1_3genE3ELNS1_11target_archE908ELNS1_3gpuE7ELNS1_3repE0EEENS1_30default_config_static_selectorELNS0_4arch9wavefront6targetE1EEEvT1_, .Lfunc_end1102-_ZN7rocprim17ROCPRIM_400000_NS6detail17trampoline_kernelINS0_14default_configENS1_25partition_config_selectorILNS1_17partition_subalgoE9EllbEEZZNS1_14partition_implILS5_9ELb0ES3_jPlS8_PNS0_10empty_typeENS0_5tupleIJS8_S9_EEENSB_IJS8_SA_EEENS0_18inequality_wrapperIZN2at6native12_GLOBAL__N_124unique_dim_cuda_templateIbEESt5tupleIJNSF_6TensorESK_SK_EERKSK_lbbbEUlllE0_EEPmJS9_EEE10hipError_tPvRmT3_T4_T5_T6_T7_T9_mT8_P12ihipStream_tbDpT10_ENKUlT_T0_E_clISt17integral_constantIbLb1EES19_IbLb0EEEEDaS15_S16_EUlS15_E_NS1_11comp_targetILNS1_3genE3ELNS1_11target_archE908ELNS1_3gpuE7ELNS1_3repE0EEENS1_30default_config_static_selectorELNS0_4arch9wavefront6targetE1EEEvT1_
                                        ; -- End function
	.section	.AMDGPU.csdata,"",@progbits
; Kernel info:
; codeLenInByte = 0
; NumSgprs: 4
; NumVgprs: 0
; NumAgprs: 0
; TotalNumVgprs: 0
; ScratchSize: 0
; MemoryBound: 0
; FloatMode: 240
; IeeeMode: 1
; LDSByteSize: 0 bytes/workgroup (compile time only)
; SGPRBlocks: 0
; VGPRBlocks: 0
; NumSGPRsForWavesPerEU: 4
; NumVGPRsForWavesPerEU: 1
; AccumOffset: 4
; Occupancy: 8
; WaveLimiterHint : 0
; COMPUTE_PGM_RSRC2:SCRATCH_EN: 0
; COMPUTE_PGM_RSRC2:USER_SGPR: 6
; COMPUTE_PGM_RSRC2:TRAP_HANDLER: 0
; COMPUTE_PGM_RSRC2:TGID_X_EN: 1
; COMPUTE_PGM_RSRC2:TGID_Y_EN: 0
; COMPUTE_PGM_RSRC2:TGID_Z_EN: 0
; COMPUTE_PGM_RSRC2:TIDIG_COMP_CNT: 0
; COMPUTE_PGM_RSRC3_GFX90A:ACCUM_OFFSET: 0
; COMPUTE_PGM_RSRC3_GFX90A:TG_SPLIT: 0
	.section	.text._ZN7rocprim17ROCPRIM_400000_NS6detail17trampoline_kernelINS0_14default_configENS1_25partition_config_selectorILNS1_17partition_subalgoE9EllbEEZZNS1_14partition_implILS5_9ELb0ES3_jPlS8_PNS0_10empty_typeENS0_5tupleIJS8_S9_EEENSB_IJS8_SA_EEENS0_18inequality_wrapperIZN2at6native12_GLOBAL__N_124unique_dim_cuda_templateIbEESt5tupleIJNSF_6TensorESK_SK_EERKSK_lbbbEUlllE0_EEPmJS9_EEE10hipError_tPvRmT3_T4_T5_T6_T7_T9_mT8_P12ihipStream_tbDpT10_ENKUlT_T0_E_clISt17integral_constantIbLb1EES19_IbLb0EEEEDaS15_S16_EUlS15_E_NS1_11comp_targetILNS1_3genE2ELNS1_11target_archE906ELNS1_3gpuE6ELNS1_3repE0EEENS1_30default_config_static_selectorELNS0_4arch9wavefront6targetE1EEEvT1_,"axG",@progbits,_ZN7rocprim17ROCPRIM_400000_NS6detail17trampoline_kernelINS0_14default_configENS1_25partition_config_selectorILNS1_17partition_subalgoE9EllbEEZZNS1_14partition_implILS5_9ELb0ES3_jPlS8_PNS0_10empty_typeENS0_5tupleIJS8_S9_EEENSB_IJS8_SA_EEENS0_18inequality_wrapperIZN2at6native12_GLOBAL__N_124unique_dim_cuda_templateIbEESt5tupleIJNSF_6TensorESK_SK_EERKSK_lbbbEUlllE0_EEPmJS9_EEE10hipError_tPvRmT3_T4_T5_T6_T7_T9_mT8_P12ihipStream_tbDpT10_ENKUlT_T0_E_clISt17integral_constantIbLb1EES19_IbLb0EEEEDaS15_S16_EUlS15_E_NS1_11comp_targetILNS1_3genE2ELNS1_11target_archE906ELNS1_3gpuE6ELNS1_3repE0EEENS1_30default_config_static_selectorELNS0_4arch9wavefront6targetE1EEEvT1_,comdat
	.globl	_ZN7rocprim17ROCPRIM_400000_NS6detail17trampoline_kernelINS0_14default_configENS1_25partition_config_selectorILNS1_17partition_subalgoE9EllbEEZZNS1_14partition_implILS5_9ELb0ES3_jPlS8_PNS0_10empty_typeENS0_5tupleIJS8_S9_EEENSB_IJS8_SA_EEENS0_18inequality_wrapperIZN2at6native12_GLOBAL__N_124unique_dim_cuda_templateIbEESt5tupleIJNSF_6TensorESK_SK_EERKSK_lbbbEUlllE0_EEPmJS9_EEE10hipError_tPvRmT3_T4_T5_T6_T7_T9_mT8_P12ihipStream_tbDpT10_ENKUlT_T0_E_clISt17integral_constantIbLb1EES19_IbLb0EEEEDaS15_S16_EUlS15_E_NS1_11comp_targetILNS1_3genE2ELNS1_11target_archE906ELNS1_3gpuE6ELNS1_3repE0EEENS1_30default_config_static_selectorELNS0_4arch9wavefront6targetE1EEEvT1_ ; -- Begin function _ZN7rocprim17ROCPRIM_400000_NS6detail17trampoline_kernelINS0_14default_configENS1_25partition_config_selectorILNS1_17partition_subalgoE9EllbEEZZNS1_14partition_implILS5_9ELb0ES3_jPlS8_PNS0_10empty_typeENS0_5tupleIJS8_S9_EEENSB_IJS8_SA_EEENS0_18inequality_wrapperIZN2at6native12_GLOBAL__N_124unique_dim_cuda_templateIbEESt5tupleIJNSF_6TensorESK_SK_EERKSK_lbbbEUlllE0_EEPmJS9_EEE10hipError_tPvRmT3_T4_T5_T6_T7_T9_mT8_P12ihipStream_tbDpT10_ENKUlT_T0_E_clISt17integral_constantIbLb1EES19_IbLb0EEEEDaS15_S16_EUlS15_E_NS1_11comp_targetILNS1_3genE2ELNS1_11target_archE906ELNS1_3gpuE6ELNS1_3repE0EEENS1_30default_config_static_selectorELNS0_4arch9wavefront6targetE1EEEvT1_
	.p2align	8
	.type	_ZN7rocprim17ROCPRIM_400000_NS6detail17trampoline_kernelINS0_14default_configENS1_25partition_config_selectorILNS1_17partition_subalgoE9EllbEEZZNS1_14partition_implILS5_9ELb0ES3_jPlS8_PNS0_10empty_typeENS0_5tupleIJS8_S9_EEENSB_IJS8_SA_EEENS0_18inequality_wrapperIZN2at6native12_GLOBAL__N_124unique_dim_cuda_templateIbEESt5tupleIJNSF_6TensorESK_SK_EERKSK_lbbbEUlllE0_EEPmJS9_EEE10hipError_tPvRmT3_T4_T5_T6_T7_T9_mT8_P12ihipStream_tbDpT10_ENKUlT_T0_E_clISt17integral_constantIbLb1EES19_IbLb0EEEEDaS15_S16_EUlS15_E_NS1_11comp_targetILNS1_3genE2ELNS1_11target_archE906ELNS1_3gpuE6ELNS1_3repE0EEENS1_30default_config_static_selectorELNS0_4arch9wavefront6targetE1EEEvT1_,@function
_ZN7rocprim17ROCPRIM_400000_NS6detail17trampoline_kernelINS0_14default_configENS1_25partition_config_selectorILNS1_17partition_subalgoE9EllbEEZZNS1_14partition_implILS5_9ELb0ES3_jPlS8_PNS0_10empty_typeENS0_5tupleIJS8_S9_EEENSB_IJS8_SA_EEENS0_18inequality_wrapperIZN2at6native12_GLOBAL__N_124unique_dim_cuda_templateIbEESt5tupleIJNSF_6TensorESK_SK_EERKSK_lbbbEUlllE0_EEPmJS9_EEE10hipError_tPvRmT3_T4_T5_T6_T7_T9_mT8_P12ihipStream_tbDpT10_ENKUlT_T0_E_clISt17integral_constantIbLb1EES19_IbLb0EEEEDaS15_S16_EUlS15_E_NS1_11comp_targetILNS1_3genE2ELNS1_11target_archE906ELNS1_3gpuE6ELNS1_3repE0EEENS1_30default_config_static_selectorELNS0_4arch9wavefront6targetE1EEEvT1_: ; @_ZN7rocprim17ROCPRIM_400000_NS6detail17trampoline_kernelINS0_14default_configENS1_25partition_config_selectorILNS1_17partition_subalgoE9EllbEEZZNS1_14partition_implILS5_9ELb0ES3_jPlS8_PNS0_10empty_typeENS0_5tupleIJS8_S9_EEENSB_IJS8_SA_EEENS0_18inequality_wrapperIZN2at6native12_GLOBAL__N_124unique_dim_cuda_templateIbEESt5tupleIJNSF_6TensorESK_SK_EERKSK_lbbbEUlllE0_EEPmJS9_EEE10hipError_tPvRmT3_T4_T5_T6_T7_T9_mT8_P12ihipStream_tbDpT10_ENKUlT_T0_E_clISt17integral_constantIbLb1EES19_IbLb0EEEEDaS15_S16_EUlS15_E_NS1_11comp_targetILNS1_3genE2ELNS1_11target_archE906ELNS1_3gpuE6ELNS1_3repE0EEENS1_30default_config_static_selectorELNS0_4arch9wavefront6targetE1EEEvT1_
; %bb.0:
	.section	.rodata,"a",@progbits
	.p2align	6, 0x0
	.amdhsa_kernel _ZN7rocprim17ROCPRIM_400000_NS6detail17trampoline_kernelINS0_14default_configENS1_25partition_config_selectorILNS1_17partition_subalgoE9EllbEEZZNS1_14partition_implILS5_9ELb0ES3_jPlS8_PNS0_10empty_typeENS0_5tupleIJS8_S9_EEENSB_IJS8_SA_EEENS0_18inequality_wrapperIZN2at6native12_GLOBAL__N_124unique_dim_cuda_templateIbEESt5tupleIJNSF_6TensorESK_SK_EERKSK_lbbbEUlllE0_EEPmJS9_EEE10hipError_tPvRmT3_T4_T5_T6_T7_T9_mT8_P12ihipStream_tbDpT10_ENKUlT_T0_E_clISt17integral_constantIbLb1EES19_IbLb0EEEEDaS15_S16_EUlS15_E_NS1_11comp_targetILNS1_3genE2ELNS1_11target_archE906ELNS1_3gpuE6ELNS1_3repE0EEENS1_30default_config_static_selectorELNS0_4arch9wavefront6targetE1EEEvT1_
		.amdhsa_group_segment_fixed_size 0
		.amdhsa_private_segment_fixed_size 0
		.amdhsa_kernarg_size 120
		.amdhsa_user_sgpr_count 6
		.amdhsa_user_sgpr_private_segment_buffer 1
		.amdhsa_user_sgpr_dispatch_ptr 0
		.amdhsa_user_sgpr_queue_ptr 0
		.amdhsa_user_sgpr_kernarg_segment_ptr 1
		.amdhsa_user_sgpr_dispatch_id 0
		.amdhsa_user_sgpr_flat_scratch_init 0
		.amdhsa_user_sgpr_kernarg_preload_length 0
		.amdhsa_user_sgpr_kernarg_preload_offset 0
		.amdhsa_user_sgpr_private_segment_size 0
		.amdhsa_uses_dynamic_stack 0
		.amdhsa_system_sgpr_private_segment_wavefront_offset 0
		.amdhsa_system_sgpr_workgroup_id_x 1
		.amdhsa_system_sgpr_workgroup_id_y 0
		.amdhsa_system_sgpr_workgroup_id_z 0
		.amdhsa_system_sgpr_workgroup_info 0
		.amdhsa_system_vgpr_workitem_id 0
		.amdhsa_next_free_vgpr 1
		.amdhsa_next_free_sgpr 0
		.amdhsa_accum_offset 4
		.amdhsa_reserve_vcc 0
		.amdhsa_reserve_flat_scratch 0
		.amdhsa_float_round_mode_32 0
		.amdhsa_float_round_mode_16_64 0
		.amdhsa_float_denorm_mode_32 3
		.amdhsa_float_denorm_mode_16_64 3
		.amdhsa_dx10_clamp 1
		.amdhsa_ieee_mode 1
		.amdhsa_fp16_overflow 0
		.amdhsa_tg_split 0
		.amdhsa_exception_fp_ieee_invalid_op 0
		.amdhsa_exception_fp_denorm_src 0
		.amdhsa_exception_fp_ieee_div_zero 0
		.amdhsa_exception_fp_ieee_overflow 0
		.amdhsa_exception_fp_ieee_underflow 0
		.amdhsa_exception_fp_ieee_inexact 0
		.amdhsa_exception_int_div_zero 0
	.end_amdhsa_kernel
	.section	.text._ZN7rocprim17ROCPRIM_400000_NS6detail17trampoline_kernelINS0_14default_configENS1_25partition_config_selectorILNS1_17partition_subalgoE9EllbEEZZNS1_14partition_implILS5_9ELb0ES3_jPlS8_PNS0_10empty_typeENS0_5tupleIJS8_S9_EEENSB_IJS8_SA_EEENS0_18inequality_wrapperIZN2at6native12_GLOBAL__N_124unique_dim_cuda_templateIbEESt5tupleIJNSF_6TensorESK_SK_EERKSK_lbbbEUlllE0_EEPmJS9_EEE10hipError_tPvRmT3_T4_T5_T6_T7_T9_mT8_P12ihipStream_tbDpT10_ENKUlT_T0_E_clISt17integral_constantIbLb1EES19_IbLb0EEEEDaS15_S16_EUlS15_E_NS1_11comp_targetILNS1_3genE2ELNS1_11target_archE906ELNS1_3gpuE6ELNS1_3repE0EEENS1_30default_config_static_selectorELNS0_4arch9wavefront6targetE1EEEvT1_,"axG",@progbits,_ZN7rocprim17ROCPRIM_400000_NS6detail17trampoline_kernelINS0_14default_configENS1_25partition_config_selectorILNS1_17partition_subalgoE9EllbEEZZNS1_14partition_implILS5_9ELb0ES3_jPlS8_PNS0_10empty_typeENS0_5tupleIJS8_S9_EEENSB_IJS8_SA_EEENS0_18inequality_wrapperIZN2at6native12_GLOBAL__N_124unique_dim_cuda_templateIbEESt5tupleIJNSF_6TensorESK_SK_EERKSK_lbbbEUlllE0_EEPmJS9_EEE10hipError_tPvRmT3_T4_T5_T6_T7_T9_mT8_P12ihipStream_tbDpT10_ENKUlT_T0_E_clISt17integral_constantIbLb1EES19_IbLb0EEEEDaS15_S16_EUlS15_E_NS1_11comp_targetILNS1_3genE2ELNS1_11target_archE906ELNS1_3gpuE6ELNS1_3repE0EEENS1_30default_config_static_selectorELNS0_4arch9wavefront6targetE1EEEvT1_,comdat
.Lfunc_end1103:
	.size	_ZN7rocprim17ROCPRIM_400000_NS6detail17trampoline_kernelINS0_14default_configENS1_25partition_config_selectorILNS1_17partition_subalgoE9EllbEEZZNS1_14partition_implILS5_9ELb0ES3_jPlS8_PNS0_10empty_typeENS0_5tupleIJS8_S9_EEENSB_IJS8_SA_EEENS0_18inequality_wrapperIZN2at6native12_GLOBAL__N_124unique_dim_cuda_templateIbEESt5tupleIJNSF_6TensorESK_SK_EERKSK_lbbbEUlllE0_EEPmJS9_EEE10hipError_tPvRmT3_T4_T5_T6_T7_T9_mT8_P12ihipStream_tbDpT10_ENKUlT_T0_E_clISt17integral_constantIbLb1EES19_IbLb0EEEEDaS15_S16_EUlS15_E_NS1_11comp_targetILNS1_3genE2ELNS1_11target_archE906ELNS1_3gpuE6ELNS1_3repE0EEENS1_30default_config_static_selectorELNS0_4arch9wavefront6targetE1EEEvT1_, .Lfunc_end1103-_ZN7rocprim17ROCPRIM_400000_NS6detail17trampoline_kernelINS0_14default_configENS1_25partition_config_selectorILNS1_17partition_subalgoE9EllbEEZZNS1_14partition_implILS5_9ELb0ES3_jPlS8_PNS0_10empty_typeENS0_5tupleIJS8_S9_EEENSB_IJS8_SA_EEENS0_18inequality_wrapperIZN2at6native12_GLOBAL__N_124unique_dim_cuda_templateIbEESt5tupleIJNSF_6TensorESK_SK_EERKSK_lbbbEUlllE0_EEPmJS9_EEE10hipError_tPvRmT3_T4_T5_T6_T7_T9_mT8_P12ihipStream_tbDpT10_ENKUlT_T0_E_clISt17integral_constantIbLb1EES19_IbLb0EEEEDaS15_S16_EUlS15_E_NS1_11comp_targetILNS1_3genE2ELNS1_11target_archE906ELNS1_3gpuE6ELNS1_3repE0EEENS1_30default_config_static_selectorELNS0_4arch9wavefront6targetE1EEEvT1_
                                        ; -- End function
	.section	.AMDGPU.csdata,"",@progbits
; Kernel info:
; codeLenInByte = 0
; NumSgprs: 4
; NumVgprs: 0
; NumAgprs: 0
; TotalNumVgprs: 0
; ScratchSize: 0
; MemoryBound: 0
; FloatMode: 240
; IeeeMode: 1
; LDSByteSize: 0 bytes/workgroup (compile time only)
; SGPRBlocks: 0
; VGPRBlocks: 0
; NumSGPRsForWavesPerEU: 4
; NumVGPRsForWavesPerEU: 1
; AccumOffset: 4
; Occupancy: 8
; WaveLimiterHint : 0
; COMPUTE_PGM_RSRC2:SCRATCH_EN: 0
; COMPUTE_PGM_RSRC2:USER_SGPR: 6
; COMPUTE_PGM_RSRC2:TRAP_HANDLER: 0
; COMPUTE_PGM_RSRC2:TGID_X_EN: 1
; COMPUTE_PGM_RSRC2:TGID_Y_EN: 0
; COMPUTE_PGM_RSRC2:TGID_Z_EN: 0
; COMPUTE_PGM_RSRC2:TIDIG_COMP_CNT: 0
; COMPUTE_PGM_RSRC3_GFX90A:ACCUM_OFFSET: 0
; COMPUTE_PGM_RSRC3_GFX90A:TG_SPLIT: 0
	.section	.text._ZN7rocprim17ROCPRIM_400000_NS6detail17trampoline_kernelINS0_14default_configENS1_25partition_config_selectorILNS1_17partition_subalgoE9EllbEEZZNS1_14partition_implILS5_9ELb0ES3_jPlS8_PNS0_10empty_typeENS0_5tupleIJS8_S9_EEENSB_IJS8_SA_EEENS0_18inequality_wrapperIZN2at6native12_GLOBAL__N_124unique_dim_cuda_templateIbEESt5tupleIJNSF_6TensorESK_SK_EERKSK_lbbbEUlllE0_EEPmJS9_EEE10hipError_tPvRmT3_T4_T5_T6_T7_T9_mT8_P12ihipStream_tbDpT10_ENKUlT_T0_E_clISt17integral_constantIbLb1EES19_IbLb0EEEEDaS15_S16_EUlS15_E_NS1_11comp_targetILNS1_3genE10ELNS1_11target_archE1200ELNS1_3gpuE4ELNS1_3repE0EEENS1_30default_config_static_selectorELNS0_4arch9wavefront6targetE1EEEvT1_,"axG",@progbits,_ZN7rocprim17ROCPRIM_400000_NS6detail17trampoline_kernelINS0_14default_configENS1_25partition_config_selectorILNS1_17partition_subalgoE9EllbEEZZNS1_14partition_implILS5_9ELb0ES3_jPlS8_PNS0_10empty_typeENS0_5tupleIJS8_S9_EEENSB_IJS8_SA_EEENS0_18inequality_wrapperIZN2at6native12_GLOBAL__N_124unique_dim_cuda_templateIbEESt5tupleIJNSF_6TensorESK_SK_EERKSK_lbbbEUlllE0_EEPmJS9_EEE10hipError_tPvRmT3_T4_T5_T6_T7_T9_mT8_P12ihipStream_tbDpT10_ENKUlT_T0_E_clISt17integral_constantIbLb1EES19_IbLb0EEEEDaS15_S16_EUlS15_E_NS1_11comp_targetILNS1_3genE10ELNS1_11target_archE1200ELNS1_3gpuE4ELNS1_3repE0EEENS1_30default_config_static_selectorELNS0_4arch9wavefront6targetE1EEEvT1_,comdat
	.globl	_ZN7rocprim17ROCPRIM_400000_NS6detail17trampoline_kernelINS0_14default_configENS1_25partition_config_selectorILNS1_17partition_subalgoE9EllbEEZZNS1_14partition_implILS5_9ELb0ES3_jPlS8_PNS0_10empty_typeENS0_5tupleIJS8_S9_EEENSB_IJS8_SA_EEENS0_18inequality_wrapperIZN2at6native12_GLOBAL__N_124unique_dim_cuda_templateIbEESt5tupleIJNSF_6TensorESK_SK_EERKSK_lbbbEUlllE0_EEPmJS9_EEE10hipError_tPvRmT3_T4_T5_T6_T7_T9_mT8_P12ihipStream_tbDpT10_ENKUlT_T0_E_clISt17integral_constantIbLb1EES19_IbLb0EEEEDaS15_S16_EUlS15_E_NS1_11comp_targetILNS1_3genE10ELNS1_11target_archE1200ELNS1_3gpuE4ELNS1_3repE0EEENS1_30default_config_static_selectorELNS0_4arch9wavefront6targetE1EEEvT1_ ; -- Begin function _ZN7rocprim17ROCPRIM_400000_NS6detail17trampoline_kernelINS0_14default_configENS1_25partition_config_selectorILNS1_17partition_subalgoE9EllbEEZZNS1_14partition_implILS5_9ELb0ES3_jPlS8_PNS0_10empty_typeENS0_5tupleIJS8_S9_EEENSB_IJS8_SA_EEENS0_18inequality_wrapperIZN2at6native12_GLOBAL__N_124unique_dim_cuda_templateIbEESt5tupleIJNSF_6TensorESK_SK_EERKSK_lbbbEUlllE0_EEPmJS9_EEE10hipError_tPvRmT3_T4_T5_T6_T7_T9_mT8_P12ihipStream_tbDpT10_ENKUlT_T0_E_clISt17integral_constantIbLb1EES19_IbLb0EEEEDaS15_S16_EUlS15_E_NS1_11comp_targetILNS1_3genE10ELNS1_11target_archE1200ELNS1_3gpuE4ELNS1_3repE0EEENS1_30default_config_static_selectorELNS0_4arch9wavefront6targetE1EEEvT1_
	.p2align	8
	.type	_ZN7rocprim17ROCPRIM_400000_NS6detail17trampoline_kernelINS0_14default_configENS1_25partition_config_selectorILNS1_17partition_subalgoE9EllbEEZZNS1_14partition_implILS5_9ELb0ES3_jPlS8_PNS0_10empty_typeENS0_5tupleIJS8_S9_EEENSB_IJS8_SA_EEENS0_18inequality_wrapperIZN2at6native12_GLOBAL__N_124unique_dim_cuda_templateIbEESt5tupleIJNSF_6TensorESK_SK_EERKSK_lbbbEUlllE0_EEPmJS9_EEE10hipError_tPvRmT3_T4_T5_T6_T7_T9_mT8_P12ihipStream_tbDpT10_ENKUlT_T0_E_clISt17integral_constantIbLb1EES19_IbLb0EEEEDaS15_S16_EUlS15_E_NS1_11comp_targetILNS1_3genE10ELNS1_11target_archE1200ELNS1_3gpuE4ELNS1_3repE0EEENS1_30default_config_static_selectorELNS0_4arch9wavefront6targetE1EEEvT1_,@function
_ZN7rocprim17ROCPRIM_400000_NS6detail17trampoline_kernelINS0_14default_configENS1_25partition_config_selectorILNS1_17partition_subalgoE9EllbEEZZNS1_14partition_implILS5_9ELb0ES3_jPlS8_PNS0_10empty_typeENS0_5tupleIJS8_S9_EEENSB_IJS8_SA_EEENS0_18inequality_wrapperIZN2at6native12_GLOBAL__N_124unique_dim_cuda_templateIbEESt5tupleIJNSF_6TensorESK_SK_EERKSK_lbbbEUlllE0_EEPmJS9_EEE10hipError_tPvRmT3_T4_T5_T6_T7_T9_mT8_P12ihipStream_tbDpT10_ENKUlT_T0_E_clISt17integral_constantIbLb1EES19_IbLb0EEEEDaS15_S16_EUlS15_E_NS1_11comp_targetILNS1_3genE10ELNS1_11target_archE1200ELNS1_3gpuE4ELNS1_3repE0EEENS1_30default_config_static_selectorELNS0_4arch9wavefront6targetE1EEEvT1_: ; @_ZN7rocprim17ROCPRIM_400000_NS6detail17trampoline_kernelINS0_14default_configENS1_25partition_config_selectorILNS1_17partition_subalgoE9EllbEEZZNS1_14partition_implILS5_9ELb0ES3_jPlS8_PNS0_10empty_typeENS0_5tupleIJS8_S9_EEENSB_IJS8_SA_EEENS0_18inequality_wrapperIZN2at6native12_GLOBAL__N_124unique_dim_cuda_templateIbEESt5tupleIJNSF_6TensorESK_SK_EERKSK_lbbbEUlllE0_EEPmJS9_EEE10hipError_tPvRmT3_T4_T5_T6_T7_T9_mT8_P12ihipStream_tbDpT10_ENKUlT_T0_E_clISt17integral_constantIbLb1EES19_IbLb0EEEEDaS15_S16_EUlS15_E_NS1_11comp_targetILNS1_3genE10ELNS1_11target_archE1200ELNS1_3gpuE4ELNS1_3repE0EEENS1_30default_config_static_selectorELNS0_4arch9wavefront6targetE1EEEvT1_
; %bb.0:
	.section	.rodata,"a",@progbits
	.p2align	6, 0x0
	.amdhsa_kernel _ZN7rocprim17ROCPRIM_400000_NS6detail17trampoline_kernelINS0_14default_configENS1_25partition_config_selectorILNS1_17partition_subalgoE9EllbEEZZNS1_14partition_implILS5_9ELb0ES3_jPlS8_PNS0_10empty_typeENS0_5tupleIJS8_S9_EEENSB_IJS8_SA_EEENS0_18inequality_wrapperIZN2at6native12_GLOBAL__N_124unique_dim_cuda_templateIbEESt5tupleIJNSF_6TensorESK_SK_EERKSK_lbbbEUlllE0_EEPmJS9_EEE10hipError_tPvRmT3_T4_T5_T6_T7_T9_mT8_P12ihipStream_tbDpT10_ENKUlT_T0_E_clISt17integral_constantIbLb1EES19_IbLb0EEEEDaS15_S16_EUlS15_E_NS1_11comp_targetILNS1_3genE10ELNS1_11target_archE1200ELNS1_3gpuE4ELNS1_3repE0EEENS1_30default_config_static_selectorELNS0_4arch9wavefront6targetE1EEEvT1_
		.amdhsa_group_segment_fixed_size 0
		.amdhsa_private_segment_fixed_size 0
		.amdhsa_kernarg_size 120
		.amdhsa_user_sgpr_count 6
		.amdhsa_user_sgpr_private_segment_buffer 1
		.amdhsa_user_sgpr_dispatch_ptr 0
		.amdhsa_user_sgpr_queue_ptr 0
		.amdhsa_user_sgpr_kernarg_segment_ptr 1
		.amdhsa_user_sgpr_dispatch_id 0
		.amdhsa_user_sgpr_flat_scratch_init 0
		.amdhsa_user_sgpr_kernarg_preload_length 0
		.amdhsa_user_sgpr_kernarg_preload_offset 0
		.amdhsa_user_sgpr_private_segment_size 0
		.amdhsa_uses_dynamic_stack 0
		.amdhsa_system_sgpr_private_segment_wavefront_offset 0
		.amdhsa_system_sgpr_workgroup_id_x 1
		.amdhsa_system_sgpr_workgroup_id_y 0
		.amdhsa_system_sgpr_workgroup_id_z 0
		.amdhsa_system_sgpr_workgroup_info 0
		.amdhsa_system_vgpr_workitem_id 0
		.amdhsa_next_free_vgpr 1
		.amdhsa_next_free_sgpr 0
		.amdhsa_accum_offset 4
		.amdhsa_reserve_vcc 0
		.amdhsa_reserve_flat_scratch 0
		.amdhsa_float_round_mode_32 0
		.amdhsa_float_round_mode_16_64 0
		.amdhsa_float_denorm_mode_32 3
		.amdhsa_float_denorm_mode_16_64 3
		.amdhsa_dx10_clamp 1
		.amdhsa_ieee_mode 1
		.amdhsa_fp16_overflow 0
		.amdhsa_tg_split 0
		.amdhsa_exception_fp_ieee_invalid_op 0
		.amdhsa_exception_fp_denorm_src 0
		.amdhsa_exception_fp_ieee_div_zero 0
		.amdhsa_exception_fp_ieee_overflow 0
		.amdhsa_exception_fp_ieee_underflow 0
		.amdhsa_exception_fp_ieee_inexact 0
		.amdhsa_exception_int_div_zero 0
	.end_amdhsa_kernel
	.section	.text._ZN7rocprim17ROCPRIM_400000_NS6detail17trampoline_kernelINS0_14default_configENS1_25partition_config_selectorILNS1_17partition_subalgoE9EllbEEZZNS1_14partition_implILS5_9ELb0ES3_jPlS8_PNS0_10empty_typeENS0_5tupleIJS8_S9_EEENSB_IJS8_SA_EEENS0_18inequality_wrapperIZN2at6native12_GLOBAL__N_124unique_dim_cuda_templateIbEESt5tupleIJNSF_6TensorESK_SK_EERKSK_lbbbEUlllE0_EEPmJS9_EEE10hipError_tPvRmT3_T4_T5_T6_T7_T9_mT8_P12ihipStream_tbDpT10_ENKUlT_T0_E_clISt17integral_constantIbLb1EES19_IbLb0EEEEDaS15_S16_EUlS15_E_NS1_11comp_targetILNS1_3genE10ELNS1_11target_archE1200ELNS1_3gpuE4ELNS1_3repE0EEENS1_30default_config_static_selectorELNS0_4arch9wavefront6targetE1EEEvT1_,"axG",@progbits,_ZN7rocprim17ROCPRIM_400000_NS6detail17trampoline_kernelINS0_14default_configENS1_25partition_config_selectorILNS1_17partition_subalgoE9EllbEEZZNS1_14partition_implILS5_9ELb0ES3_jPlS8_PNS0_10empty_typeENS0_5tupleIJS8_S9_EEENSB_IJS8_SA_EEENS0_18inequality_wrapperIZN2at6native12_GLOBAL__N_124unique_dim_cuda_templateIbEESt5tupleIJNSF_6TensorESK_SK_EERKSK_lbbbEUlllE0_EEPmJS9_EEE10hipError_tPvRmT3_T4_T5_T6_T7_T9_mT8_P12ihipStream_tbDpT10_ENKUlT_T0_E_clISt17integral_constantIbLb1EES19_IbLb0EEEEDaS15_S16_EUlS15_E_NS1_11comp_targetILNS1_3genE10ELNS1_11target_archE1200ELNS1_3gpuE4ELNS1_3repE0EEENS1_30default_config_static_selectorELNS0_4arch9wavefront6targetE1EEEvT1_,comdat
.Lfunc_end1104:
	.size	_ZN7rocprim17ROCPRIM_400000_NS6detail17trampoline_kernelINS0_14default_configENS1_25partition_config_selectorILNS1_17partition_subalgoE9EllbEEZZNS1_14partition_implILS5_9ELb0ES3_jPlS8_PNS0_10empty_typeENS0_5tupleIJS8_S9_EEENSB_IJS8_SA_EEENS0_18inequality_wrapperIZN2at6native12_GLOBAL__N_124unique_dim_cuda_templateIbEESt5tupleIJNSF_6TensorESK_SK_EERKSK_lbbbEUlllE0_EEPmJS9_EEE10hipError_tPvRmT3_T4_T5_T6_T7_T9_mT8_P12ihipStream_tbDpT10_ENKUlT_T0_E_clISt17integral_constantIbLb1EES19_IbLb0EEEEDaS15_S16_EUlS15_E_NS1_11comp_targetILNS1_3genE10ELNS1_11target_archE1200ELNS1_3gpuE4ELNS1_3repE0EEENS1_30default_config_static_selectorELNS0_4arch9wavefront6targetE1EEEvT1_, .Lfunc_end1104-_ZN7rocprim17ROCPRIM_400000_NS6detail17trampoline_kernelINS0_14default_configENS1_25partition_config_selectorILNS1_17partition_subalgoE9EllbEEZZNS1_14partition_implILS5_9ELb0ES3_jPlS8_PNS0_10empty_typeENS0_5tupleIJS8_S9_EEENSB_IJS8_SA_EEENS0_18inequality_wrapperIZN2at6native12_GLOBAL__N_124unique_dim_cuda_templateIbEESt5tupleIJNSF_6TensorESK_SK_EERKSK_lbbbEUlllE0_EEPmJS9_EEE10hipError_tPvRmT3_T4_T5_T6_T7_T9_mT8_P12ihipStream_tbDpT10_ENKUlT_T0_E_clISt17integral_constantIbLb1EES19_IbLb0EEEEDaS15_S16_EUlS15_E_NS1_11comp_targetILNS1_3genE10ELNS1_11target_archE1200ELNS1_3gpuE4ELNS1_3repE0EEENS1_30default_config_static_selectorELNS0_4arch9wavefront6targetE1EEEvT1_
                                        ; -- End function
	.section	.AMDGPU.csdata,"",@progbits
; Kernel info:
; codeLenInByte = 0
; NumSgprs: 4
; NumVgprs: 0
; NumAgprs: 0
; TotalNumVgprs: 0
; ScratchSize: 0
; MemoryBound: 0
; FloatMode: 240
; IeeeMode: 1
; LDSByteSize: 0 bytes/workgroup (compile time only)
; SGPRBlocks: 0
; VGPRBlocks: 0
; NumSGPRsForWavesPerEU: 4
; NumVGPRsForWavesPerEU: 1
; AccumOffset: 4
; Occupancy: 8
; WaveLimiterHint : 0
; COMPUTE_PGM_RSRC2:SCRATCH_EN: 0
; COMPUTE_PGM_RSRC2:USER_SGPR: 6
; COMPUTE_PGM_RSRC2:TRAP_HANDLER: 0
; COMPUTE_PGM_RSRC2:TGID_X_EN: 1
; COMPUTE_PGM_RSRC2:TGID_Y_EN: 0
; COMPUTE_PGM_RSRC2:TGID_Z_EN: 0
; COMPUTE_PGM_RSRC2:TIDIG_COMP_CNT: 0
; COMPUTE_PGM_RSRC3_GFX90A:ACCUM_OFFSET: 0
; COMPUTE_PGM_RSRC3_GFX90A:TG_SPLIT: 0
	.section	.text._ZN7rocprim17ROCPRIM_400000_NS6detail17trampoline_kernelINS0_14default_configENS1_25partition_config_selectorILNS1_17partition_subalgoE9EllbEEZZNS1_14partition_implILS5_9ELb0ES3_jPlS8_PNS0_10empty_typeENS0_5tupleIJS8_S9_EEENSB_IJS8_SA_EEENS0_18inequality_wrapperIZN2at6native12_GLOBAL__N_124unique_dim_cuda_templateIbEESt5tupleIJNSF_6TensorESK_SK_EERKSK_lbbbEUlllE0_EEPmJS9_EEE10hipError_tPvRmT3_T4_T5_T6_T7_T9_mT8_P12ihipStream_tbDpT10_ENKUlT_T0_E_clISt17integral_constantIbLb1EES19_IbLb0EEEEDaS15_S16_EUlS15_E_NS1_11comp_targetILNS1_3genE9ELNS1_11target_archE1100ELNS1_3gpuE3ELNS1_3repE0EEENS1_30default_config_static_selectorELNS0_4arch9wavefront6targetE1EEEvT1_,"axG",@progbits,_ZN7rocprim17ROCPRIM_400000_NS6detail17trampoline_kernelINS0_14default_configENS1_25partition_config_selectorILNS1_17partition_subalgoE9EllbEEZZNS1_14partition_implILS5_9ELb0ES3_jPlS8_PNS0_10empty_typeENS0_5tupleIJS8_S9_EEENSB_IJS8_SA_EEENS0_18inequality_wrapperIZN2at6native12_GLOBAL__N_124unique_dim_cuda_templateIbEESt5tupleIJNSF_6TensorESK_SK_EERKSK_lbbbEUlllE0_EEPmJS9_EEE10hipError_tPvRmT3_T4_T5_T6_T7_T9_mT8_P12ihipStream_tbDpT10_ENKUlT_T0_E_clISt17integral_constantIbLb1EES19_IbLb0EEEEDaS15_S16_EUlS15_E_NS1_11comp_targetILNS1_3genE9ELNS1_11target_archE1100ELNS1_3gpuE3ELNS1_3repE0EEENS1_30default_config_static_selectorELNS0_4arch9wavefront6targetE1EEEvT1_,comdat
	.globl	_ZN7rocprim17ROCPRIM_400000_NS6detail17trampoline_kernelINS0_14default_configENS1_25partition_config_selectorILNS1_17partition_subalgoE9EllbEEZZNS1_14partition_implILS5_9ELb0ES3_jPlS8_PNS0_10empty_typeENS0_5tupleIJS8_S9_EEENSB_IJS8_SA_EEENS0_18inequality_wrapperIZN2at6native12_GLOBAL__N_124unique_dim_cuda_templateIbEESt5tupleIJNSF_6TensorESK_SK_EERKSK_lbbbEUlllE0_EEPmJS9_EEE10hipError_tPvRmT3_T4_T5_T6_T7_T9_mT8_P12ihipStream_tbDpT10_ENKUlT_T0_E_clISt17integral_constantIbLb1EES19_IbLb0EEEEDaS15_S16_EUlS15_E_NS1_11comp_targetILNS1_3genE9ELNS1_11target_archE1100ELNS1_3gpuE3ELNS1_3repE0EEENS1_30default_config_static_selectorELNS0_4arch9wavefront6targetE1EEEvT1_ ; -- Begin function _ZN7rocprim17ROCPRIM_400000_NS6detail17trampoline_kernelINS0_14default_configENS1_25partition_config_selectorILNS1_17partition_subalgoE9EllbEEZZNS1_14partition_implILS5_9ELb0ES3_jPlS8_PNS0_10empty_typeENS0_5tupleIJS8_S9_EEENSB_IJS8_SA_EEENS0_18inequality_wrapperIZN2at6native12_GLOBAL__N_124unique_dim_cuda_templateIbEESt5tupleIJNSF_6TensorESK_SK_EERKSK_lbbbEUlllE0_EEPmJS9_EEE10hipError_tPvRmT3_T4_T5_T6_T7_T9_mT8_P12ihipStream_tbDpT10_ENKUlT_T0_E_clISt17integral_constantIbLb1EES19_IbLb0EEEEDaS15_S16_EUlS15_E_NS1_11comp_targetILNS1_3genE9ELNS1_11target_archE1100ELNS1_3gpuE3ELNS1_3repE0EEENS1_30default_config_static_selectorELNS0_4arch9wavefront6targetE1EEEvT1_
	.p2align	8
	.type	_ZN7rocprim17ROCPRIM_400000_NS6detail17trampoline_kernelINS0_14default_configENS1_25partition_config_selectorILNS1_17partition_subalgoE9EllbEEZZNS1_14partition_implILS5_9ELb0ES3_jPlS8_PNS0_10empty_typeENS0_5tupleIJS8_S9_EEENSB_IJS8_SA_EEENS0_18inequality_wrapperIZN2at6native12_GLOBAL__N_124unique_dim_cuda_templateIbEESt5tupleIJNSF_6TensorESK_SK_EERKSK_lbbbEUlllE0_EEPmJS9_EEE10hipError_tPvRmT3_T4_T5_T6_T7_T9_mT8_P12ihipStream_tbDpT10_ENKUlT_T0_E_clISt17integral_constantIbLb1EES19_IbLb0EEEEDaS15_S16_EUlS15_E_NS1_11comp_targetILNS1_3genE9ELNS1_11target_archE1100ELNS1_3gpuE3ELNS1_3repE0EEENS1_30default_config_static_selectorELNS0_4arch9wavefront6targetE1EEEvT1_,@function
_ZN7rocprim17ROCPRIM_400000_NS6detail17trampoline_kernelINS0_14default_configENS1_25partition_config_selectorILNS1_17partition_subalgoE9EllbEEZZNS1_14partition_implILS5_9ELb0ES3_jPlS8_PNS0_10empty_typeENS0_5tupleIJS8_S9_EEENSB_IJS8_SA_EEENS0_18inequality_wrapperIZN2at6native12_GLOBAL__N_124unique_dim_cuda_templateIbEESt5tupleIJNSF_6TensorESK_SK_EERKSK_lbbbEUlllE0_EEPmJS9_EEE10hipError_tPvRmT3_T4_T5_T6_T7_T9_mT8_P12ihipStream_tbDpT10_ENKUlT_T0_E_clISt17integral_constantIbLb1EES19_IbLb0EEEEDaS15_S16_EUlS15_E_NS1_11comp_targetILNS1_3genE9ELNS1_11target_archE1100ELNS1_3gpuE3ELNS1_3repE0EEENS1_30default_config_static_selectorELNS0_4arch9wavefront6targetE1EEEvT1_: ; @_ZN7rocprim17ROCPRIM_400000_NS6detail17trampoline_kernelINS0_14default_configENS1_25partition_config_selectorILNS1_17partition_subalgoE9EllbEEZZNS1_14partition_implILS5_9ELb0ES3_jPlS8_PNS0_10empty_typeENS0_5tupleIJS8_S9_EEENSB_IJS8_SA_EEENS0_18inequality_wrapperIZN2at6native12_GLOBAL__N_124unique_dim_cuda_templateIbEESt5tupleIJNSF_6TensorESK_SK_EERKSK_lbbbEUlllE0_EEPmJS9_EEE10hipError_tPvRmT3_T4_T5_T6_T7_T9_mT8_P12ihipStream_tbDpT10_ENKUlT_T0_E_clISt17integral_constantIbLb1EES19_IbLb0EEEEDaS15_S16_EUlS15_E_NS1_11comp_targetILNS1_3genE9ELNS1_11target_archE1100ELNS1_3gpuE3ELNS1_3repE0EEENS1_30default_config_static_selectorELNS0_4arch9wavefront6targetE1EEEvT1_
; %bb.0:
	.section	.rodata,"a",@progbits
	.p2align	6, 0x0
	.amdhsa_kernel _ZN7rocprim17ROCPRIM_400000_NS6detail17trampoline_kernelINS0_14default_configENS1_25partition_config_selectorILNS1_17partition_subalgoE9EllbEEZZNS1_14partition_implILS5_9ELb0ES3_jPlS8_PNS0_10empty_typeENS0_5tupleIJS8_S9_EEENSB_IJS8_SA_EEENS0_18inequality_wrapperIZN2at6native12_GLOBAL__N_124unique_dim_cuda_templateIbEESt5tupleIJNSF_6TensorESK_SK_EERKSK_lbbbEUlllE0_EEPmJS9_EEE10hipError_tPvRmT3_T4_T5_T6_T7_T9_mT8_P12ihipStream_tbDpT10_ENKUlT_T0_E_clISt17integral_constantIbLb1EES19_IbLb0EEEEDaS15_S16_EUlS15_E_NS1_11comp_targetILNS1_3genE9ELNS1_11target_archE1100ELNS1_3gpuE3ELNS1_3repE0EEENS1_30default_config_static_selectorELNS0_4arch9wavefront6targetE1EEEvT1_
		.amdhsa_group_segment_fixed_size 0
		.amdhsa_private_segment_fixed_size 0
		.amdhsa_kernarg_size 120
		.amdhsa_user_sgpr_count 6
		.amdhsa_user_sgpr_private_segment_buffer 1
		.amdhsa_user_sgpr_dispatch_ptr 0
		.amdhsa_user_sgpr_queue_ptr 0
		.amdhsa_user_sgpr_kernarg_segment_ptr 1
		.amdhsa_user_sgpr_dispatch_id 0
		.amdhsa_user_sgpr_flat_scratch_init 0
		.amdhsa_user_sgpr_kernarg_preload_length 0
		.amdhsa_user_sgpr_kernarg_preload_offset 0
		.amdhsa_user_sgpr_private_segment_size 0
		.amdhsa_uses_dynamic_stack 0
		.amdhsa_system_sgpr_private_segment_wavefront_offset 0
		.amdhsa_system_sgpr_workgroup_id_x 1
		.amdhsa_system_sgpr_workgroup_id_y 0
		.amdhsa_system_sgpr_workgroup_id_z 0
		.amdhsa_system_sgpr_workgroup_info 0
		.amdhsa_system_vgpr_workitem_id 0
		.amdhsa_next_free_vgpr 1
		.amdhsa_next_free_sgpr 0
		.amdhsa_accum_offset 4
		.amdhsa_reserve_vcc 0
		.amdhsa_reserve_flat_scratch 0
		.amdhsa_float_round_mode_32 0
		.amdhsa_float_round_mode_16_64 0
		.amdhsa_float_denorm_mode_32 3
		.amdhsa_float_denorm_mode_16_64 3
		.amdhsa_dx10_clamp 1
		.amdhsa_ieee_mode 1
		.amdhsa_fp16_overflow 0
		.amdhsa_tg_split 0
		.amdhsa_exception_fp_ieee_invalid_op 0
		.amdhsa_exception_fp_denorm_src 0
		.amdhsa_exception_fp_ieee_div_zero 0
		.amdhsa_exception_fp_ieee_overflow 0
		.amdhsa_exception_fp_ieee_underflow 0
		.amdhsa_exception_fp_ieee_inexact 0
		.amdhsa_exception_int_div_zero 0
	.end_amdhsa_kernel
	.section	.text._ZN7rocprim17ROCPRIM_400000_NS6detail17trampoline_kernelINS0_14default_configENS1_25partition_config_selectorILNS1_17partition_subalgoE9EllbEEZZNS1_14partition_implILS5_9ELb0ES3_jPlS8_PNS0_10empty_typeENS0_5tupleIJS8_S9_EEENSB_IJS8_SA_EEENS0_18inequality_wrapperIZN2at6native12_GLOBAL__N_124unique_dim_cuda_templateIbEESt5tupleIJNSF_6TensorESK_SK_EERKSK_lbbbEUlllE0_EEPmJS9_EEE10hipError_tPvRmT3_T4_T5_T6_T7_T9_mT8_P12ihipStream_tbDpT10_ENKUlT_T0_E_clISt17integral_constantIbLb1EES19_IbLb0EEEEDaS15_S16_EUlS15_E_NS1_11comp_targetILNS1_3genE9ELNS1_11target_archE1100ELNS1_3gpuE3ELNS1_3repE0EEENS1_30default_config_static_selectorELNS0_4arch9wavefront6targetE1EEEvT1_,"axG",@progbits,_ZN7rocprim17ROCPRIM_400000_NS6detail17trampoline_kernelINS0_14default_configENS1_25partition_config_selectorILNS1_17partition_subalgoE9EllbEEZZNS1_14partition_implILS5_9ELb0ES3_jPlS8_PNS0_10empty_typeENS0_5tupleIJS8_S9_EEENSB_IJS8_SA_EEENS0_18inequality_wrapperIZN2at6native12_GLOBAL__N_124unique_dim_cuda_templateIbEESt5tupleIJNSF_6TensorESK_SK_EERKSK_lbbbEUlllE0_EEPmJS9_EEE10hipError_tPvRmT3_T4_T5_T6_T7_T9_mT8_P12ihipStream_tbDpT10_ENKUlT_T0_E_clISt17integral_constantIbLb1EES19_IbLb0EEEEDaS15_S16_EUlS15_E_NS1_11comp_targetILNS1_3genE9ELNS1_11target_archE1100ELNS1_3gpuE3ELNS1_3repE0EEENS1_30default_config_static_selectorELNS0_4arch9wavefront6targetE1EEEvT1_,comdat
.Lfunc_end1105:
	.size	_ZN7rocprim17ROCPRIM_400000_NS6detail17trampoline_kernelINS0_14default_configENS1_25partition_config_selectorILNS1_17partition_subalgoE9EllbEEZZNS1_14partition_implILS5_9ELb0ES3_jPlS8_PNS0_10empty_typeENS0_5tupleIJS8_S9_EEENSB_IJS8_SA_EEENS0_18inequality_wrapperIZN2at6native12_GLOBAL__N_124unique_dim_cuda_templateIbEESt5tupleIJNSF_6TensorESK_SK_EERKSK_lbbbEUlllE0_EEPmJS9_EEE10hipError_tPvRmT3_T4_T5_T6_T7_T9_mT8_P12ihipStream_tbDpT10_ENKUlT_T0_E_clISt17integral_constantIbLb1EES19_IbLb0EEEEDaS15_S16_EUlS15_E_NS1_11comp_targetILNS1_3genE9ELNS1_11target_archE1100ELNS1_3gpuE3ELNS1_3repE0EEENS1_30default_config_static_selectorELNS0_4arch9wavefront6targetE1EEEvT1_, .Lfunc_end1105-_ZN7rocprim17ROCPRIM_400000_NS6detail17trampoline_kernelINS0_14default_configENS1_25partition_config_selectorILNS1_17partition_subalgoE9EllbEEZZNS1_14partition_implILS5_9ELb0ES3_jPlS8_PNS0_10empty_typeENS0_5tupleIJS8_S9_EEENSB_IJS8_SA_EEENS0_18inequality_wrapperIZN2at6native12_GLOBAL__N_124unique_dim_cuda_templateIbEESt5tupleIJNSF_6TensorESK_SK_EERKSK_lbbbEUlllE0_EEPmJS9_EEE10hipError_tPvRmT3_T4_T5_T6_T7_T9_mT8_P12ihipStream_tbDpT10_ENKUlT_T0_E_clISt17integral_constantIbLb1EES19_IbLb0EEEEDaS15_S16_EUlS15_E_NS1_11comp_targetILNS1_3genE9ELNS1_11target_archE1100ELNS1_3gpuE3ELNS1_3repE0EEENS1_30default_config_static_selectorELNS0_4arch9wavefront6targetE1EEEvT1_
                                        ; -- End function
	.section	.AMDGPU.csdata,"",@progbits
; Kernel info:
; codeLenInByte = 0
; NumSgprs: 4
; NumVgprs: 0
; NumAgprs: 0
; TotalNumVgprs: 0
; ScratchSize: 0
; MemoryBound: 0
; FloatMode: 240
; IeeeMode: 1
; LDSByteSize: 0 bytes/workgroup (compile time only)
; SGPRBlocks: 0
; VGPRBlocks: 0
; NumSGPRsForWavesPerEU: 4
; NumVGPRsForWavesPerEU: 1
; AccumOffset: 4
; Occupancy: 8
; WaveLimiterHint : 0
; COMPUTE_PGM_RSRC2:SCRATCH_EN: 0
; COMPUTE_PGM_RSRC2:USER_SGPR: 6
; COMPUTE_PGM_RSRC2:TRAP_HANDLER: 0
; COMPUTE_PGM_RSRC2:TGID_X_EN: 1
; COMPUTE_PGM_RSRC2:TGID_Y_EN: 0
; COMPUTE_PGM_RSRC2:TGID_Z_EN: 0
; COMPUTE_PGM_RSRC2:TIDIG_COMP_CNT: 0
; COMPUTE_PGM_RSRC3_GFX90A:ACCUM_OFFSET: 0
; COMPUTE_PGM_RSRC3_GFX90A:TG_SPLIT: 0
	.section	.text._ZN7rocprim17ROCPRIM_400000_NS6detail17trampoline_kernelINS0_14default_configENS1_25partition_config_selectorILNS1_17partition_subalgoE9EllbEEZZNS1_14partition_implILS5_9ELb0ES3_jPlS8_PNS0_10empty_typeENS0_5tupleIJS8_S9_EEENSB_IJS8_SA_EEENS0_18inequality_wrapperIZN2at6native12_GLOBAL__N_124unique_dim_cuda_templateIbEESt5tupleIJNSF_6TensorESK_SK_EERKSK_lbbbEUlllE0_EEPmJS9_EEE10hipError_tPvRmT3_T4_T5_T6_T7_T9_mT8_P12ihipStream_tbDpT10_ENKUlT_T0_E_clISt17integral_constantIbLb1EES19_IbLb0EEEEDaS15_S16_EUlS15_E_NS1_11comp_targetILNS1_3genE8ELNS1_11target_archE1030ELNS1_3gpuE2ELNS1_3repE0EEENS1_30default_config_static_selectorELNS0_4arch9wavefront6targetE1EEEvT1_,"axG",@progbits,_ZN7rocprim17ROCPRIM_400000_NS6detail17trampoline_kernelINS0_14default_configENS1_25partition_config_selectorILNS1_17partition_subalgoE9EllbEEZZNS1_14partition_implILS5_9ELb0ES3_jPlS8_PNS0_10empty_typeENS0_5tupleIJS8_S9_EEENSB_IJS8_SA_EEENS0_18inequality_wrapperIZN2at6native12_GLOBAL__N_124unique_dim_cuda_templateIbEESt5tupleIJNSF_6TensorESK_SK_EERKSK_lbbbEUlllE0_EEPmJS9_EEE10hipError_tPvRmT3_T4_T5_T6_T7_T9_mT8_P12ihipStream_tbDpT10_ENKUlT_T0_E_clISt17integral_constantIbLb1EES19_IbLb0EEEEDaS15_S16_EUlS15_E_NS1_11comp_targetILNS1_3genE8ELNS1_11target_archE1030ELNS1_3gpuE2ELNS1_3repE0EEENS1_30default_config_static_selectorELNS0_4arch9wavefront6targetE1EEEvT1_,comdat
	.globl	_ZN7rocprim17ROCPRIM_400000_NS6detail17trampoline_kernelINS0_14default_configENS1_25partition_config_selectorILNS1_17partition_subalgoE9EllbEEZZNS1_14partition_implILS5_9ELb0ES3_jPlS8_PNS0_10empty_typeENS0_5tupleIJS8_S9_EEENSB_IJS8_SA_EEENS0_18inequality_wrapperIZN2at6native12_GLOBAL__N_124unique_dim_cuda_templateIbEESt5tupleIJNSF_6TensorESK_SK_EERKSK_lbbbEUlllE0_EEPmJS9_EEE10hipError_tPvRmT3_T4_T5_T6_T7_T9_mT8_P12ihipStream_tbDpT10_ENKUlT_T0_E_clISt17integral_constantIbLb1EES19_IbLb0EEEEDaS15_S16_EUlS15_E_NS1_11comp_targetILNS1_3genE8ELNS1_11target_archE1030ELNS1_3gpuE2ELNS1_3repE0EEENS1_30default_config_static_selectorELNS0_4arch9wavefront6targetE1EEEvT1_ ; -- Begin function _ZN7rocprim17ROCPRIM_400000_NS6detail17trampoline_kernelINS0_14default_configENS1_25partition_config_selectorILNS1_17partition_subalgoE9EllbEEZZNS1_14partition_implILS5_9ELb0ES3_jPlS8_PNS0_10empty_typeENS0_5tupleIJS8_S9_EEENSB_IJS8_SA_EEENS0_18inequality_wrapperIZN2at6native12_GLOBAL__N_124unique_dim_cuda_templateIbEESt5tupleIJNSF_6TensorESK_SK_EERKSK_lbbbEUlllE0_EEPmJS9_EEE10hipError_tPvRmT3_T4_T5_T6_T7_T9_mT8_P12ihipStream_tbDpT10_ENKUlT_T0_E_clISt17integral_constantIbLb1EES19_IbLb0EEEEDaS15_S16_EUlS15_E_NS1_11comp_targetILNS1_3genE8ELNS1_11target_archE1030ELNS1_3gpuE2ELNS1_3repE0EEENS1_30default_config_static_selectorELNS0_4arch9wavefront6targetE1EEEvT1_
	.p2align	8
	.type	_ZN7rocprim17ROCPRIM_400000_NS6detail17trampoline_kernelINS0_14default_configENS1_25partition_config_selectorILNS1_17partition_subalgoE9EllbEEZZNS1_14partition_implILS5_9ELb0ES3_jPlS8_PNS0_10empty_typeENS0_5tupleIJS8_S9_EEENSB_IJS8_SA_EEENS0_18inequality_wrapperIZN2at6native12_GLOBAL__N_124unique_dim_cuda_templateIbEESt5tupleIJNSF_6TensorESK_SK_EERKSK_lbbbEUlllE0_EEPmJS9_EEE10hipError_tPvRmT3_T4_T5_T6_T7_T9_mT8_P12ihipStream_tbDpT10_ENKUlT_T0_E_clISt17integral_constantIbLb1EES19_IbLb0EEEEDaS15_S16_EUlS15_E_NS1_11comp_targetILNS1_3genE8ELNS1_11target_archE1030ELNS1_3gpuE2ELNS1_3repE0EEENS1_30default_config_static_selectorELNS0_4arch9wavefront6targetE1EEEvT1_,@function
_ZN7rocprim17ROCPRIM_400000_NS6detail17trampoline_kernelINS0_14default_configENS1_25partition_config_selectorILNS1_17partition_subalgoE9EllbEEZZNS1_14partition_implILS5_9ELb0ES3_jPlS8_PNS0_10empty_typeENS0_5tupleIJS8_S9_EEENSB_IJS8_SA_EEENS0_18inequality_wrapperIZN2at6native12_GLOBAL__N_124unique_dim_cuda_templateIbEESt5tupleIJNSF_6TensorESK_SK_EERKSK_lbbbEUlllE0_EEPmJS9_EEE10hipError_tPvRmT3_T4_T5_T6_T7_T9_mT8_P12ihipStream_tbDpT10_ENKUlT_T0_E_clISt17integral_constantIbLb1EES19_IbLb0EEEEDaS15_S16_EUlS15_E_NS1_11comp_targetILNS1_3genE8ELNS1_11target_archE1030ELNS1_3gpuE2ELNS1_3repE0EEENS1_30default_config_static_selectorELNS0_4arch9wavefront6targetE1EEEvT1_: ; @_ZN7rocprim17ROCPRIM_400000_NS6detail17trampoline_kernelINS0_14default_configENS1_25partition_config_selectorILNS1_17partition_subalgoE9EllbEEZZNS1_14partition_implILS5_9ELb0ES3_jPlS8_PNS0_10empty_typeENS0_5tupleIJS8_S9_EEENSB_IJS8_SA_EEENS0_18inequality_wrapperIZN2at6native12_GLOBAL__N_124unique_dim_cuda_templateIbEESt5tupleIJNSF_6TensorESK_SK_EERKSK_lbbbEUlllE0_EEPmJS9_EEE10hipError_tPvRmT3_T4_T5_T6_T7_T9_mT8_P12ihipStream_tbDpT10_ENKUlT_T0_E_clISt17integral_constantIbLb1EES19_IbLb0EEEEDaS15_S16_EUlS15_E_NS1_11comp_targetILNS1_3genE8ELNS1_11target_archE1030ELNS1_3gpuE2ELNS1_3repE0EEENS1_30default_config_static_selectorELNS0_4arch9wavefront6targetE1EEEvT1_
; %bb.0:
	.section	.rodata,"a",@progbits
	.p2align	6, 0x0
	.amdhsa_kernel _ZN7rocprim17ROCPRIM_400000_NS6detail17trampoline_kernelINS0_14default_configENS1_25partition_config_selectorILNS1_17partition_subalgoE9EllbEEZZNS1_14partition_implILS5_9ELb0ES3_jPlS8_PNS0_10empty_typeENS0_5tupleIJS8_S9_EEENSB_IJS8_SA_EEENS0_18inequality_wrapperIZN2at6native12_GLOBAL__N_124unique_dim_cuda_templateIbEESt5tupleIJNSF_6TensorESK_SK_EERKSK_lbbbEUlllE0_EEPmJS9_EEE10hipError_tPvRmT3_T4_T5_T6_T7_T9_mT8_P12ihipStream_tbDpT10_ENKUlT_T0_E_clISt17integral_constantIbLb1EES19_IbLb0EEEEDaS15_S16_EUlS15_E_NS1_11comp_targetILNS1_3genE8ELNS1_11target_archE1030ELNS1_3gpuE2ELNS1_3repE0EEENS1_30default_config_static_selectorELNS0_4arch9wavefront6targetE1EEEvT1_
		.amdhsa_group_segment_fixed_size 0
		.amdhsa_private_segment_fixed_size 0
		.amdhsa_kernarg_size 120
		.amdhsa_user_sgpr_count 6
		.amdhsa_user_sgpr_private_segment_buffer 1
		.amdhsa_user_sgpr_dispatch_ptr 0
		.amdhsa_user_sgpr_queue_ptr 0
		.amdhsa_user_sgpr_kernarg_segment_ptr 1
		.amdhsa_user_sgpr_dispatch_id 0
		.amdhsa_user_sgpr_flat_scratch_init 0
		.amdhsa_user_sgpr_kernarg_preload_length 0
		.amdhsa_user_sgpr_kernarg_preload_offset 0
		.amdhsa_user_sgpr_private_segment_size 0
		.amdhsa_uses_dynamic_stack 0
		.amdhsa_system_sgpr_private_segment_wavefront_offset 0
		.amdhsa_system_sgpr_workgroup_id_x 1
		.amdhsa_system_sgpr_workgroup_id_y 0
		.amdhsa_system_sgpr_workgroup_id_z 0
		.amdhsa_system_sgpr_workgroup_info 0
		.amdhsa_system_vgpr_workitem_id 0
		.amdhsa_next_free_vgpr 1
		.amdhsa_next_free_sgpr 0
		.amdhsa_accum_offset 4
		.amdhsa_reserve_vcc 0
		.amdhsa_reserve_flat_scratch 0
		.amdhsa_float_round_mode_32 0
		.amdhsa_float_round_mode_16_64 0
		.amdhsa_float_denorm_mode_32 3
		.amdhsa_float_denorm_mode_16_64 3
		.amdhsa_dx10_clamp 1
		.amdhsa_ieee_mode 1
		.amdhsa_fp16_overflow 0
		.amdhsa_tg_split 0
		.amdhsa_exception_fp_ieee_invalid_op 0
		.amdhsa_exception_fp_denorm_src 0
		.amdhsa_exception_fp_ieee_div_zero 0
		.amdhsa_exception_fp_ieee_overflow 0
		.amdhsa_exception_fp_ieee_underflow 0
		.amdhsa_exception_fp_ieee_inexact 0
		.amdhsa_exception_int_div_zero 0
	.end_amdhsa_kernel
	.section	.text._ZN7rocprim17ROCPRIM_400000_NS6detail17trampoline_kernelINS0_14default_configENS1_25partition_config_selectorILNS1_17partition_subalgoE9EllbEEZZNS1_14partition_implILS5_9ELb0ES3_jPlS8_PNS0_10empty_typeENS0_5tupleIJS8_S9_EEENSB_IJS8_SA_EEENS0_18inequality_wrapperIZN2at6native12_GLOBAL__N_124unique_dim_cuda_templateIbEESt5tupleIJNSF_6TensorESK_SK_EERKSK_lbbbEUlllE0_EEPmJS9_EEE10hipError_tPvRmT3_T4_T5_T6_T7_T9_mT8_P12ihipStream_tbDpT10_ENKUlT_T0_E_clISt17integral_constantIbLb1EES19_IbLb0EEEEDaS15_S16_EUlS15_E_NS1_11comp_targetILNS1_3genE8ELNS1_11target_archE1030ELNS1_3gpuE2ELNS1_3repE0EEENS1_30default_config_static_selectorELNS0_4arch9wavefront6targetE1EEEvT1_,"axG",@progbits,_ZN7rocprim17ROCPRIM_400000_NS6detail17trampoline_kernelINS0_14default_configENS1_25partition_config_selectorILNS1_17partition_subalgoE9EllbEEZZNS1_14partition_implILS5_9ELb0ES3_jPlS8_PNS0_10empty_typeENS0_5tupleIJS8_S9_EEENSB_IJS8_SA_EEENS0_18inequality_wrapperIZN2at6native12_GLOBAL__N_124unique_dim_cuda_templateIbEESt5tupleIJNSF_6TensorESK_SK_EERKSK_lbbbEUlllE0_EEPmJS9_EEE10hipError_tPvRmT3_T4_T5_T6_T7_T9_mT8_P12ihipStream_tbDpT10_ENKUlT_T0_E_clISt17integral_constantIbLb1EES19_IbLb0EEEEDaS15_S16_EUlS15_E_NS1_11comp_targetILNS1_3genE8ELNS1_11target_archE1030ELNS1_3gpuE2ELNS1_3repE0EEENS1_30default_config_static_selectorELNS0_4arch9wavefront6targetE1EEEvT1_,comdat
.Lfunc_end1106:
	.size	_ZN7rocprim17ROCPRIM_400000_NS6detail17trampoline_kernelINS0_14default_configENS1_25partition_config_selectorILNS1_17partition_subalgoE9EllbEEZZNS1_14partition_implILS5_9ELb0ES3_jPlS8_PNS0_10empty_typeENS0_5tupleIJS8_S9_EEENSB_IJS8_SA_EEENS0_18inequality_wrapperIZN2at6native12_GLOBAL__N_124unique_dim_cuda_templateIbEESt5tupleIJNSF_6TensorESK_SK_EERKSK_lbbbEUlllE0_EEPmJS9_EEE10hipError_tPvRmT3_T4_T5_T6_T7_T9_mT8_P12ihipStream_tbDpT10_ENKUlT_T0_E_clISt17integral_constantIbLb1EES19_IbLb0EEEEDaS15_S16_EUlS15_E_NS1_11comp_targetILNS1_3genE8ELNS1_11target_archE1030ELNS1_3gpuE2ELNS1_3repE0EEENS1_30default_config_static_selectorELNS0_4arch9wavefront6targetE1EEEvT1_, .Lfunc_end1106-_ZN7rocprim17ROCPRIM_400000_NS6detail17trampoline_kernelINS0_14default_configENS1_25partition_config_selectorILNS1_17partition_subalgoE9EllbEEZZNS1_14partition_implILS5_9ELb0ES3_jPlS8_PNS0_10empty_typeENS0_5tupleIJS8_S9_EEENSB_IJS8_SA_EEENS0_18inequality_wrapperIZN2at6native12_GLOBAL__N_124unique_dim_cuda_templateIbEESt5tupleIJNSF_6TensorESK_SK_EERKSK_lbbbEUlllE0_EEPmJS9_EEE10hipError_tPvRmT3_T4_T5_T6_T7_T9_mT8_P12ihipStream_tbDpT10_ENKUlT_T0_E_clISt17integral_constantIbLb1EES19_IbLb0EEEEDaS15_S16_EUlS15_E_NS1_11comp_targetILNS1_3genE8ELNS1_11target_archE1030ELNS1_3gpuE2ELNS1_3repE0EEENS1_30default_config_static_selectorELNS0_4arch9wavefront6targetE1EEEvT1_
                                        ; -- End function
	.section	.AMDGPU.csdata,"",@progbits
; Kernel info:
; codeLenInByte = 0
; NumSgprs: 4
; NumVgprs: 0
; NumAgprs: 0
; TotalNumVgprs: 0
; ScratchSize: 0
; MemoryBound: 0
; FloatMode: 240
; IeeeMode: 1
; LDSByteSize: 0 bytes/workgroup (compile time only)
; SGPRBlocks: 0
; VGPRBlocks: 0
; NumSGPRsForWavesPerEU: 4
; NumVGPRsForWavesPerEU: 1
; AccumOffset: 4
; Occupancy: 8
; WaveLimiterHint : 0
; COMPUTE_PGM_RSRC2:SCRATCH_EN: 0
; COMPUTE_PGM_RSRC2:USER_SGPR: 6
; COMPUTE_PGM_RSRC2:TRAP_HANDLER: 0
; COMPUTE_PGM_RSRC2:TGID_X_EN: 1
; COMPUTE_PGM_RSRC2:TGID_Y_EN: 0
; COMPUTE_PGM_RSRC2:TGID_Z_EN: 0
; COMPUTE_PGM_RSRC2:TIDIG_COMP_CNT: 0
; COMPUTE_PGM_RSRC3_GFX90A:ACCUM_OFFSET: 0
; COMPUTE_PGM_RSRC3_GFX90A:TG_SPLIT: 0
	.section	.text._ZN7rocprim17ROCPRIM_400000_NS6detail17trampoline_kernelINS0_14default_configENS1_25partition_config_selectorILNS1_17partition_subalgoE9EllbEEZZNS1_14partition_implILS5_9ELb0ES3_jPlS8_PNS0_10empty_typeENS0_5tupleIJS8_S9_EEENSB_IJS8_SA_EEENS0_18inequality_wrapperIZN2at6native12_GLOBAL__N_124unique_dim_cuda_templateIbEESt5tupleIJNSF_6TensorESK_SK_EERKSK_lbbbEUlllE0_EEPmJS9_EEE10hipError_tPvRmT3_T4_T5_T6_T7_T9_mT8_P12ihipStream_tbDpT10_ENKUlT_T0_E_clISt17integral_constantIbLb0EES19_IbLb1EEEEDaS15_S16_EUlS15_E_NS1_11comp_targetILNS1_3genE0ELNS1_11target_archE4294967295ELNS1_3gpuE0ELNS1_3repE0EEENS1_30default_config_static_selectorELNS0_4arch9wavefront6targetE1EEEvT1_,"axG",@progbits,_ZN7rocprim17ROCPRIM_400000_NS6detail17trampoline_kernelINS0_14default_configENS1_25partition_config_selectorILNS1_17partition_subalgoE9EllbEEZZNS1_14partition_implILS5_9ELb0ES3_jPlS8_PNS0_10empty_typeENS0_5tupleIJS8_S9_EEENSB_IJS8_SA_EEENS0_18inequality_wrapperIZN2at6native12_GLOBAL__N_124unique_dim_cuda_templateIbEESt5tupleIJNSF_6TensorESK_SK_EERKSK_lbbbEUlllE0_EEPmJS9_EEE10hipError_tPvRmT3_T4_T5_T6_T7_T9_mT8_P12ihipStream_tbDpT10_ENKUlT_T0_E_clISt17integral_constantIbLb0EES19_IbLb1EEEEDaS15_S16_EUlS15_E_NS1_11comp_targetILNS1_3genE0ELNS1_11target_archE4294967295ELNS1_3gpuE0ELNS1_3repE0EEENS1_30default_config_static_selectorELNS0_4arch9wavefront6targetE1EEEvT1_,comdat
	.globl	_ZN7rocprim17ROCPRIM_400000_NS6detail17trampoline_kernelINS0_14default_configENS1_25partition_config_selectorILNS1_17partition_subalgoE9EllbEEZZNS1_14partition_implILS5_9ELb0ES3_jPlS8_PNS0_10empty_typeENS0_5tupleIJS8_S9_EEENSB_IJS8_SA_EEENS0_18inequality_wrapperIZN2at6native12_GLOBAL__N_124unique_dim_cuda_templateIbEESt5tupleIJNSF_6TensorESK_SK_EERKSK_lbbbEUlllE0_EEPmJS9_EEE10hipError_tPvRmT3_T4_T5_T6_T7_T9_mT8_P12ihipStream_tbDpT10_ENKUlT_T0_E_clISt17integral_constantIbLb0EES19_IbLb1EEEEDaS15_S16_EUlS15_E_NS1_11comp_targetILNS1_3genE0ELNS1_11target_archE4294967295ELNS1_3gpuE0ELNS1_3repE0EEENS1_30default_config_static_selectorELNS0_4arch9wavefront6targetE1EEEvT1_ ; -- Begin function _ZN7rocprim17ROCPRIM_400000_NS6detail17trampoline_kernelINS0_14default_configENS1_25partition_config_selectorILNS1_17partition_subalgoE9EllbEEZZNS1_14partition_implILS5_9ELb0ES3_jPlS8_PNS0_10empty_typeENS0_5tupleIJS8_S9_EEENSB_IJS8_SA_EEENS0_18inequality_wrapperIZN2at6native12_GLOBAL__N_124unique_dim_cuda_templateIbEESt5tupleIJNSF_6TensorESK_SK_EERKSK_lbbbEUlllE0_EEPmJS9_EEE10hipError_tPvRmT3_T4_T5_T6_T7_T9_mT8_P12ihipStream_tbDpT10_ENKUlT_T0_E_clISt17integral_constantIbLb0EES19_IbLb1EEEEDaS15_S16_EUlS15_E_NS1_11comp_targetILNS1_3genE0ELNS1_11target_archE4294967295ELNS1_3gpuE0ELNS1_3repE0EEENS1_30default_config_static_selectorELNS0_4arch9wavefront6targetE1EEEvT1_
	.p2align	8
	.type	_ZN7rocprim17ROCPRIM_400000_NS6detail17trampoline_kernelINS0_14default_configENS1_25partition_config_selectorILNS1_17partition_subalgoE9EllbEEZZNS1_14partition_implILS5_9ELb0ES3_jPlS8_PNS0_10empty_typeENS0_5tupleIJS8_S9_EEENSB_IJS8_SA_EEENS0_18inequality_wrapperIZN2at6native12_GLOBAL__N_124unique_dim_cuda_templateIbEESt5tupleIJNSF_6TensorESK_SK_EERKSK_lbbbEUlllE0_EEPmJS9_EEE10hipError_tPvRmT3_T4_T5_T6_T7_T9_mT8_P12ihipStream_tbDpT10_ENKUlT_T0_E_clISt17integral_constantIbLb0EES19_IbLb1EEEEDaS15_S16_EUlS15_E_NS1_11comp_targetILNS1_3genE0ELNS1_11target_archE4294967295ELNS1_3gpuE0ELNS1_3repE0EEENS1_30default_config_static_selectorELNS0_4arch9wavefront6targetE1EEEvT1_,@function
_ZN7rocprim17ROCPRIM_400000_NS6detail17trampoline_kernelINS0_14default_configENS1_25partition_config_selectorILNS1_17partition_subalgoE9EllbEEZZNS1_14partition_implILS5_9ELb0ES3_jPlS8_PNS0_10empty_typeENS0_5tupleIJS8_S9_EEENSB_IJS8_SA_EEENS0_18inequality_wrapperIZN2at6native12_GLOBAL__N_124unique_dim_cuda_templateIbEESt5tupleIJNSF_6TensorESK_SK_EERKSK_lbbbEUlllE0_EEPmJS9_EEE10hipError_tPvRmT3_T4_T5_T6_T7_T9_mT8_P12ihipStream_tbDpT10_ENKUlT_T0_E_clISt17integral_constantIbLb0EES19_IbLb1EEEEDaS15_S16_EUlS15_E_NS1_11comp_targetILNS1_3genE0ELNS1_11target_archE4294967295ELNS1_3gpuE0ELNS1_3repE0EEENS1_30default_config_static_selectorELNS0_4arch9wavefront6targetE1EEEvT1_: ; @_ZN7rocprim17ROCPRIM_400000_NS6detail17trampoline_kernelINS0_14default_configENS1_25partition_config_selectorILNS1_17partition_subalgoE9EllbEEZZNS1_14partition_implILS5_9ELb0ES3_jPlS8_PNS0_10empty_typeENS0_5tupleIJS8_S9_EEENSB_IJS8_SA_EEENS0_18inequality_wrapperIZN2at6native12_GLOBAL__N_124unique_dim_cuda_templateIbEESt5tupleIJNSF_6TensorESK_SK_EERKSK_lbbbEUlllE0_EEPmJS9_EEE10hipError_tPvRmT3_T4_T5_T6_T7_T9_mT8_P12ihipStream_tbDpT10_ENKUlT_T0_E_clISt17integral_constantIbLb0EES19_IbLb1EEEEDaS15_S16_EUlS15_E_NS1_11comp_targetILNS1_3genE0ELNS1_11target_archE4294967295ELNS1_3gpuE0ELNS1_3repE0EEENS1_30default_config_static_selectorELNS0_4arch9wavefront6targetE1EEEvT1_
; %bb.0:
	.section	.rodata,"a",@progbits
	.p2align	6, 0x0
	.amdhsa_kernel _ZN7rocprim17ROCPRIM_400000_NS6detail17trampoline_kernelINS0_14default_configENS1_25partition_config_selectorILNS1_17partition_subalgoE9EllbEEZZNS1_14partition_implILS5_9ELb0ES3_jPlS8_PNS0_10empty_typeENS0_5tupleIJS8_S9_EEENSB_IJS8_SA_EEENS0_18inequality_wrapperIZN2at6native12_GLOBAL__N_124unique_dim_cuda_templateIbEESt5tupleIJNSF_6TensorESK_SK_EERKSK_lbbbEUlllE0_EEPmJS9_EEE10hipError_tPvRmT3_T4_T5_T6_T7_T9_mT8_P12ihipStream_tbDpT10_ENKUlT_T0_E_clISt17integral_constantIbLb0EES19_IbLb1EEEEDaS15_S16_EUlS15_E_NS1_11comp_targetILNS1_3genE0ELNS1_11target_archE4294967295ELNS1_3gpuE0ELNS1_3repE0EEENS1_30default_config_static_selectorELNS0_4arch9wavefront6targetE1EEEvT1_
		.amdhsa_group_segment_fixed_size 0
		.amdhsa_private_segment_fixed_size 0
		.amdhsa_kernarg_size 136
		.amdhsa_user_sgpr_count 6
		.amdhsa_user_sgpr_private_segment_buffer 1
		.amdhsa_user_sgpr_dispatch_ptr 0
		.amdhsa_user_sgpr_queue_ptr 0
		.amdhsa_user_sgpr_kernarg_segment_ptr 1
		.amdhsa_user_sgpr_dispatch_id 0
		.amdhsa_user_sgpr_flat_scratch_init 0
		.amdhsa_user_sgpr_kernarg_preload_length 0
		.amdhsa_user_sgpr_kernarg_preload_offset 0
		.amdhsa_user_sgpr_private_segment_size 0
		.amdhsa_uses_dynamic_stack 0
		.amdhsa_system_sgpr_private_segment_wavefront_offset 0
		.amdhsa_system_sgpr_workgroup_id_x 1
		.amdhsa_system_sgpr_workgroup_id_y 0
		.amdhsa_system_sgpr_workgroup_id_z 0
		.amdhsa_system_sgpr_workgroup_info 0
		.amdhsa_system_vgpr_workitem_id 0
		.amdhsa_next_free_vgpr 1
		.amdhsa_next_free_sgpr 0
		.amdhsa_accum_offset 4
		.amdhsa_reserve_vcc 0
		.amdhsa_reserve_flat_scratch 0
		.amdhsa_float_round_mode_32 0
		.amdhsa_float_round_mode_16_64 0
		.amdhsa_float_denorm_mode_32 3
		.amdhsa_float_denorm_mode_16_64 3
		.amdhsa_dx10_clamp 1
		.amdhsa_ieee_mode 1
		.amdhsa_fp16_overflow 0
		.amdhsa_tg_split 0
		.amdhsa_exception_fp_ieee_invalid_op 0
		.amdhsa_exception_fp_denorm_src 0
		.amdhsa_exception_fp_ieee_div_zero 0
		.amdhsa_exception_fp_ieee_overflow 0
		.amdhsa_exception_fp_ieee_underflow 0
		.amdhsa_exception_fp_ieee_inexact 0
		.amdhsa_exception_int_div_zero 0
	.end_amdhsa_kernel
	.section	.text._ZN7rocprim17ROCPRIM_400000_NS6detail17trampoline_kernelINS0_14default_configENS1_25partition_config_selectorILNS1_17partition_subalgoE9EllbEEZZNS1_14partition_implILS5_9ELb0ES3_jPlS8_PNS0_10empty_typeENS0_5tupleIJS8_S9_EEENSB_IJS8_SA_EEENS0_18inequality_wrapperIZN2at6native12_GLOBAL__N_124unique_dim_cuda_templateIbEESt5tupleIJNSF_6TensorESK_SK_EERKSK_lbbbEUlllE0_EEPmJS9_EEE10hipError_tPvRmT3_T4_T5_T6_T7_T9_mT8_P12ihipStream_tbDpT10_ENKUlT_T0_E_clISt17integral_constantIbLb0EES19_IbLb1EEEEDaS15_S16_EUlS15_E_NS1_11comp_targetILNS1_3genE0ELNS1_11target_archE4294967295ELNS1_3gpuE0ELNS1_3repE0EEENS1_30default_config_static_selectorELNS0_4arch9wavefront6targetE1EEEvT1_,"axG",@progbits,_ZN7rocprim17ROCPRIM_400000_NS6detail17trampoline_kernelINS0_14default_configENS1_25partition_config_selectorILNS1_17partition_subalgoE9EllbEEZZNS1_14partition_implILS5_9ELb0ES3_jPlS8_PNS0_10empty_typeENS0_5tupleIJS8_S9_EEENSB_IJS8_SA_EEENS0_18inequality_wrapperIZN2at6native12_GLOBAL__N_124unique_dim_cuda_templateIbEESt5tupleIJNSF_6TensorESK_SK_EERKSK_lbbbEUlllE0_EEPmJS9_EEE10hipError_tPvRmT3_T4_T5_T6_T7_T9_mT8_P12ihipStream_tbDpT10_ENKUlT_T0_E_clISt17integral_constantIbLb0EES19_IbLb1EEEEDaS15_S16_EUlS15_E_NS1_11comp_targetILNS1_3genE0ELNS1_11target_archE4294967295ELNS1_3gpuE0ELNS1_3repE0EEENS1_30default_config_static_selectorELNS0_4arch9wavefront6targetE1EEEvT1_,comdat
.Lfunc_end1107:
	.size	_ZN7rocprim17ROCPRIM_400000_NS6detail17trampoline_kernelINS0_14default_configENS1_25partition_config_selectorILNS1_17partition_subalgoE9EllbEEZZNS1_14partition_implILS5_9ELb0ES3_jPlS8_PNS0_10empty_typeENS0_5tupleIJS8_S9_EEENSB_IJS8_SA_EEENS0_18inequality_wrapperIZN2at6native12_GLOBAL__N_124unique_dim_cuda_templateIbEESt5tupleIJNSF_6TensorESK_SK_EERKSK_lbbbEUlllE0_EEPmJS9_EEE10hipError_tPvRmT3_T4_T5_T6_T7_T9_mT8_P12ihipStream_tbDpT10_ENKUlT_T0_E_clISt17integral_constantIbLb0EES19_IbLb1EEEEDaS15_S16_EUlS15_E_NS1_11comp_targetILNS1_3genE0ELNS1_11target_archE4294967295ELNS1_3gpuE0ELNS1_3repE0EEENS1_30default_config_static_selectorELNS0_4arch9wavefront6targetE1EEEvT1_, .Lfunc_end1107-_ZN7rocprim17ROCPRIM_400000_NS6detail17trampoline_kernelINS0_14default_configENS1_25partition_config_selectorILNS1_17partition_subalgoE9EllbEEZZNS1_14partition_implILS5_9ELb0ES3_jPlS8_PNS0_10empty_typeENS0_5tupleIJS8_S9_EEENSB_IJS8_SA_EEENS0_18inequality_wrapperIZN2at6native12_GLOBAL__N_124unique_dim_cuda_templateIbEESt5tupleIJNSF_6TensorESK_SK_EERKSK_lbbbEUlllE0_EEPmJS9_EEE10hipError_tPvRmT3_T4_T5_T6_T7_T9_mT8_P12ihipStream_tbDpT10_ENKUlT_T0_E_clISt17integral_constantIbLb0EES19_IbLb1EEEEDaS15_S16_EUlS15_E_NS1_11comp_targetILNS1_3genE0ELNS1_11target_archE4294967295ELNS1_3gpuE0ELNS1_3repE0EEENS1_30default_config_static_selectorELNS0_4arch9wavefront6targetE1EEEvT1_
                                        ; -- End function
	.section	.AMDGPU.csdata,"",@progbits
; Kernel info:
; codeLenInByte = 0
; NumSgprs: 4
; NumVgprs: 0
; NumAgprs: 0
; TotalNumVgprs: 0
; ScratchSize: 0
; MemoryBound: 0
; FloatMode: 240
; IeeeMode: 1
; LDSByteSize: 0 bytes/workgroup (compile time only)
; SGPRBlocks: 0
; VGPRBlocks: 0
; NumSGPRsForWavesPerEU: 4
; NumVGPRsForWavesPerEU: 1
; AccumOffset: 4
; Occupancy: 8
; WaveLimiterHint : 0
; COMPUTE_PGM_RSRC2:SCRATCH_EN: 0
; COMPUTE_PGM_RSRC2:USER_SGPR: 6
; COMPUTE_PGM_RSRC2:TRAP_HANDLER: 0
; COMPUTE_PGM_RSRC2:TGID_X_EN: 1
; COMPUTE_PGM_RSRC2:TGID_Y_EN: 0
; COMPUTE_PGM_RSRC2:TGID_Z_EN: 0
; COMPUTE_PGM_RSRC2:TIDIG_COMP_CNT: 0
; COMPUTE_PGM_RSRC3_GFX90A:ACCUM_OFFSET: 0
; COMPUTE_PGM_RSRC3_GFX90A:TG_SPLIT: 0
	.section	.text._ZN7rocprim17ROCPRIM_400000_NS6detail17trampoline_kernelINS0_14default_configENS1_25partition_config_selectorILNS1_17partition_subalgoE9EllbEEZZNS1_14partition_implILS5_9ELb0ES3_jPlS8_PNS0_10empty_typeENS0_5tupleIJS8_S9_EEENSB_IJS8_SA_EEENS0_18inequality_wrapperIZN2at6native12_GLOBAL__N_124unique_dim_cuda_templateIbEESt5tupleIJNSF_6TensorESK_SK_EERKSK_lbbbEUlllE0_EEPmJS9_EEE10hipError_tPvRmT3_T4_T5_T6_T7_T9_mT8_P12ihipStream_tbDpT10_ENKUlT_T0_E_clISt17integral_constantIbLb0EES19_IbLb1EEEEDaS15_S16_EUlS15_E_NS1_11comp_targetILNS1_3genE5ELNS1_11target_archE942ELNS1_3gpuE9ELNS1_3repE0EEENS1_30default_config_static_selectorELNS0_4arch9wavefront6targetE1EEEvT1_,"axG",@progbits,_ZN7rocprim17ROCPRIM_400000_NS6detail17trampoline_kernelINS0_14default_configENS1_25partition_config_selectorILNS1_17partition_subalgoE9EllbEEZZNS1_14partition_implILS5_9ELb0ES3_jPlS8_PNS0_10empty_typeENS0_5tupleIJS8_S9_EEENSB_IJS8_SA_EEENS0_18inequality_wrapperIZN2at6native12_GLOBAL__N_124unique_dim_cuda_templateIbEESt5tupleIJNSF_6TensorESK_SK_EERKSK_lbbbEUlllE0_EEPmJS9_EEE10hipError_tPvRmT3_T4_T5_T6_T7_T9_mT8_P12ihipStream_tbDpT10_ENKUlT_T0_E_clISt17integral_constantIbLb0EES19_IbLb1EEEEDaS15_S16_EUlS15_E_NS1_11comp_targetILNS1_3genE5ELNS1_11target_archE942ELNS1_3gpuE9ELNS1_3repE0EEENS1_30default_config_static_selectorELNS0_4arch9wavefront6targetE1EEEvT1_,comdat
	.globl	_ZN7rocprim17ROCPRIM_400000_NS6detail17trampoline_kernelINS0_14default_configENS1_25partition_config_selectorILNS1_17partition_subalgoE9EllbEEZZNS1_14partition_implILS5_9ELb0ES3_jPlS8_PNS0_10empty_typeENS0_5tupleIJS8_S9_EEENSB_IJS8_SA_EEENS0_18inequality_wrapperIZN2at6native12_GLOBAL__N_124unique_dim_cuda_templateIbEESt5tupleIJNSF_6TensorESK_SK_EERKSK_lbbbEUlllE0_EEPmJS9_EEE10hipError_tPvRmT3_T4_T5_T6_T7_T9_mT8_P12ihipStream_tbDpT10_ENKUlT_T0_E_clISt17integral_constantIbLb0EES19_IbLb1EEEEDaS15_S16_EUlS15_E_NS1_11comp_targetILNS1_3genE5ELNS1_11target_archE942ELNS1_3gpuE9ELNS1_3repE0EEENS1_30default_config_static_selectorELNS0_4arch9wavefront6targetE1EEEvT1_ ; -- Begin function _ZN7rocprim17ROCPRIM_400000_NS6detail17trampoline_kernelINS0_14default_configENS1_25partition_config_selectorILNS1_17partition_subalgoE9EllbEEZZNS1_14partition_implILS5_9ELb0ES3_jPlS8_PNS0_10empty_typeENS0_5tupleIJS8_S9_EEENSB_IJS8_SA_EEENS0_18inequality_wrapperIZN2at6native12_GLOBAL__N_124unique_dim_cuda_templateIbEESt5tupleIJNSF_6TensorESK_SK_EERKSK_lbbbEUlllE0_EEPmJS9_EEE10hipError_tPvRmT3_T4_T5_T6_T7_T9_mT8_P12ihipStream_tbDpT10_ENKUlT_T0_E_clISt17integral_constantIbLb0EES19_IbLb1EEEEDaS15_S16_EUlS15_E_NS1_11comp_targetILNS1_3genE5ELNS1_11target_archE942ELNS1_3gpuE9ELNS1_3repE0EEENS1_30default_config_static_selectorELNS0_4arch9wavefront6targetE1EEEvT1_
	.p2align	8
	.type	_ZN7rocprim17ROCPRIM_400000_NS6detail17trampoline_kernelINS0_14default_configENS1_25partition_config_selectorILNS1_17partition_subalgoE9EllbEEZZNS1_14partition_implILS5_9ELb0ES3_jPlS8_PNS0_10empty_typeENS0_5tupleIJS8_S9_EEENSB_IJS8_SA_EEENS0_18inequality_wrapperIZN2at6native12_GLOBAL__N_124unique_dim_cuda_templateIbEESt5tupleIJNSF_6TensorESK_SK_EERKSK_lbbbEUlllE0_EEPmJS9_EEE10hipError_tPvRmT3_T4_T5_T6_T7_T9_mT8_P12ihipStream_tbDpT10_ENKUlT_T0_E_clISt17integral_constantIbLb0EES19_IbLb1EEEEDaS15_S16_EUlS15_E_NS1_11comp_targetILNS1_3genE5ELNS1_11target_archE942ELNS1_3gpuE9ELNS1_3repE0EEENS1_30default_config_static_selectorELNS0_4arch9wavefront6targetE1EEEvT1_,@function
_ZN7rocprim17ROCPRIM_400000_NS6detail17trampoline_kernelINS0_14default_configENS1_25partition_config_selectorILNS1_17partition_subalgoE9EllbEEZZNS1_14partition_implILS5_9ELb0ES3_jPlS8_PNS0_10empty_typeENS0_5tupleIJS8_S9_EEENSB_IJS8_SA_EEENS0_18inequality_wrapperIZN2at6native12_GLOBAL__N_124unique_dim_cuda_templateIbEESt5tupleIJNSF_6TensorESK_SK_EERKSK_lbbbEUlllE0_EEPmJS9_EEE10hipError_tPvRmT3_T4_T5_T6_T7_T9_mT8_P12ihipStream_tbDpT10_ENKUlT_T0_E_clISt17integral_constantIbLb0EES19_IbLb1EEEEDaS15_S16_EUlS15_E_NS1_11comp_targetILNS1_3genE5ELNS1_11target_archE942ELNS1_3gpuE9ELNS1_3repE0EEENS1_30default_config_static_selectorELNS0_4arch9wavefront6targetE1EEEvT1_: ; @_ZN7rocprim17ROCPRIM_400000_NS6detail17trampoline_kernelINS0_14default_configENS1_25partition_config_selectorILNS1_17partition_subalgoE9EllbEEZZNS1_14partition_implILS5_9ELb0ES3_jPlS8_PNS0_10empty_typeENS0_5tupleIJS8_S9_EEENSB_IJS8_SA_EEENS0_18inequality_wrapperIZN2at6native12_GLOBAL__N_124unique_dim_cuda_templateIbEESt5tupleIJNSF_6TensorESK_SK_EERKSK_lbbbEUlllE0_EEPmJS9_EEE10hipError_tPvRmT3_T4_T5_T6_T7_T9_mT8_P12ihipStream_tbDpT10_ENKUlT_T0_E_clISt17integral_constantIbLb0EES19_IbLb1EEEEDaS15_S16_EUlS15_E_NS1_11comp_targetILNS1_3genE5ELNS1_11target_archE942ELNS1_3gpuE9ELNS1_3repE0EEENS1_30default_config_static_selectorELNS0_4arch9wavefront6targetE1EEEvT1_
; %bb.0:
	.section	.rodata,"a",@progbits
	.p2align	6, 0x0
	.amdhsa_kernel _ZN7rocprim17ROCPRIM_400000_NS6detail17trampoline_kernelINS0_14default_configENS1_25partition_config_selectorILNS1_17partition_subalgoE9EllbEEZZNS1_14partition_implILS5_9ELb0ES3_jPlS8_PNS0_10empty_typeENS0_5tupleIJS8_S9_EEENSB_IJS8_SA_EEENS0_18inequality_wrapperIZN2at6native12_GLOBAL__N_124unique_dim_cuda_templateIbEESt5tupleIJNSF_6TensorESK_SK_EERKSK_lbbbEUlllE0_EEPmJS9_EEE10hipError_tPvRmT3_T4_T5_T6_T7_T9_mT8_P12ihipStream_tbDpT10_ENKUlT_T0_E_clISt17integral_constantIbLb0EES19_IbLb1EEEEDaS15_S16_EUlS15_E_NS1_11comp_targetILNS1_3genE5ELNS1_11target_archE942ELNS1_3gpuE9ELNS1_3repE0EEENS1_30default_config_static_selectorELNS0_4arch9wavefront6targetE1EEEvT1_
		.amdhsa_group_segment_fixed_size 0
		.amdhsa_private_segment_fixed_size 0
		.amdhsa_kernarg_size 136
		.amdhsa_user_sgpr_count 6
		.amdhsa_user_sgpr_private_segment_buffer 1
		.amdhsa_user_sgpr_dispatch_ptr 0
		.amdhsa_user_sgpr_queue_ptr 0
		.amdhsa_user_sgpr_kernarg_segment_ptr 1
		.amdhsa_user_sgpr_dispatch_id 0
		.amdhsa_user_sgpr_flat_scratch_init 0
		.amdhsa_user_sgpr_kernarg_preload_length 0
		.amdhsa_user_sgpr_kernarg_preload_offset 0
		.amdhsa_user_sgpr_private_segment_size 0
		.amdhsa_uses_dynamic_stack 0
		.amdhsa_system_sgpr_private_segment_wavefront_offset 0
		.amdhsa_system_sgpr_workgroup_id_x 1
		.amdhsa_system_sgpr_workgroup_id_y 0
		.amdhsa_system_sgpr_workgroup_id_z 0
		.amdhsa_system_sgpr_workgroup_info 0
		.amdhsa_system_vgpr_workitem_id 0
		.amdhsa_next_free_vgpr 1
		.amdhsa_next_free_sgpr 0
		.amdhsa_accum_offset 4
		.amdhsa_reserve_vcc 0
		.amdhsa_reserve_flat_scratch 0
		.amdhsa_float_round_mode_32 0
		.amdhsa_float_round_mode_16_64 0
		.amdhsa_float_denorm_mode_32 3
		.amdhsa_float_denorm_mode_16_64 3
		.amdhsa_dx10_clamp 1
		.amdhsa_ieee_mode 1
		.amdhsa_fp16_overflow 0
		.amdhsa_tg_split 0
		.amdhsa_exception_fp_ieee_invalid_op 0
		.amdhsa_exception_fp_denorm_src 0
		.amdhsa_exception_fp_ieee_div_zero 0
		.amdhsa_exception_fp_ieee_overflow 0
		.amdhsa_exception_fp_ieee_underflow 0
		.amdhsa_exception_fp_ieee_inexact 0
		.amdhsa_exception_int_div_zero 0
	.end_amdhsa_kernel
	.section	.text._ZN7rocprim17ROCPRIM_400000_NS6detail17trampoline_kernelINS0_14default_configENS1_25partition_config_selectorILNS1_17partition_subalgoE9EllbEEZZNS1_14partition_implILS5_9ELb0ES3_jPlS8_PNS0_10empty_typeENS0_5tupleIJS8_S9_EEENSB_IJS8_SA_EEENS0_18inequality_wrapperIZN2at6native12_GLOBAL__N_124unique_dim_cuda_templateIbEESt5tupleIJNSF_6TensorESK_SK_EERKSK_lbbbEUlllE0_EEPmJS9_EEE10hipError_tPvRmT3_T4_T5_T6_T7_T9_mT8_P12ihipStream_tbDpT10_ENKUlT_T0_E_clISt17integral_constantIbLb0EES19_IbLb1EEEEDaS15_S16_EUlS15_E_NS1_11comp_targetILNS1_3genE5ELNS1_11target_archE942ELNS1_3gpuE9ELNS1_3repE0EEENS1_30default_config_static_selectorELNS0_4arch9wavefront6targetE1EEEvT1_,"axG",@progbits,_ZN7rocprim17ROCPRIM_400000_NS6detail17trampoline_kernelINS0_14default_configENS1_25partition_config_selectorILNS1_17partition_subalgoE9EllbEEZZNS1_14partition_implILS5_9ELb0ES3_jPlS8_PNS0_10empty_typeENS0_5tupleIJS8_S9_EEENSB_IJS8_SA_EEENS0_18inequality_wrapperIZN2at6native12_GLOBAL__N_124unique_dim_cuda_templateIbEESt5tupleIJNSF_6TensorESK_SK_EERKSK_lbbbEUlllE0_EEPmJS9_EEE10hipError_tPvRmT3_T4_T5_T6_T7_T9_mT8_P12ihipStream_tbDpT10_ENKUlT_T0_E_clISt17integral_constantIbLb0EES19_IbLb1EEEEDaS15_S16_EUlS15_E_NS1_11comp_targetILNS1_3genE5ELNS1_11target_archE942ELNS1_3gpuE9ELNS1_3repE0EEENS1_30default_config_static_selectorELNS0_4arch9wavefront6targetE1EEEvT1_,comdat
.Lfunc_end1108:
	.size	_ZN7rocprim17ROCPRIM_400000_NS6detail17trampoline_kernelINS0_14default_configENS1_25partition_config_selectorILNS1_17partition_subalgoE9EllbEEZZNS1_14partition_implILS5_9ELb0ES3_jPlS8_PNS0_10empty_typeENS0_5tupleIJS8_S9_EEENSB_IJS8_SA_EEENS0_18inequality_wrapperIZN2at6native12_GLOBAL__N_124unique_dim_cuda_templateIbEESt5tupleIJNSF_6TensorESK_SK_EERKSK_lbbbEUlllE0_EEPmJS9_EEE10hipError_tPvRmT3_T4_T5_T6_T7_T9_mT8_P12ihipStream_tbDpT10_ENKUlT_T0_E_clISt17integral_constantIbLb0EES19_IbLb1EEEEDaS15_S16_EUlS15_E_NS1_11comp_targetILNS1_3genE5ELNS1_11target_archE942ELNS1_3gpuE9ELNS1_3repE0EEENS1_30default_config_static_selectorELNS0_4arch9wavefront6targetE1EEEvT1_, .Lfunc_end1108-_ZN7rocprim17ROCPRIM_400000_NS6detail17trampoline_kernelINS0_14default_configENS1_25partition_config_selectorILNS1_17partition_subalgoE9EllbEEZZNS1_14partition_implILS5_9ELb0ES3_jPlS8_PNS0_10empty_typeENS0_5tupleIJS8_S9_EEENSB_IJS8_SA_EEENS0_18inequality_wrapperIZN2at6native12_GLOBAL__N_124unique_dim_cuda_templateIbEESt5tupleIJNSF_6TensorESK_SK_EERKSK_lbbbEUlllE0_EEPmJS9_EEE10hipError_tPvRmT3_T4_T5_T6_T7_T9_mT8_P12ihipStream_tbDpT10_ENKUlT_T0_E_clISt17integral_constantIbLb0EES19_IbLb1EEEEDaS15_S16_EUlS15_E_NS1_11comp_targetILNS1_3genE5ELNS1_11target_archE942ELNS1_3gpuE9ELNS1_3repE0EEENS1_30default_config_static_selectorELNS0_4arch9wavefront6targetE1EEEvT1_
                                        ; -- End function
	.section	.AMDGPU.csdata,"",@progbits
; Kernel info:
; codeLenInByte = 0
; NumSgprs: 4
; NumVgprs: 0
; NumAgprs: 0
; TotalNumVgprs: 0
; ScratchSize: 0
; MemoryBound: 0
; FloatMode: 240
; IeeeMode: 1
; LDSByteSize: 0 bytes/workgroup (compile time only)
; SGPRBlocks: 0
; VGPRBlocks: 0
; NumSGPRsForWavesPerEU: 4
; NumVGPRsForWavesPerEU: 1
; AccumOffset: 4
; Occupancy: 8
; WaveLimiterHint : 0
; COMPUTE_PGM_RSRC2:SCRATCH_EN: 0
; COMPUTE_PGM_RSRC2:USER_SGPR: 6
; COMPUTE_PGM_RSRC2:TRAP_HANDLER: 0
; COMPUTE_PGM_RSRC2:TGID_X_EN: 1
; COMPUTE_PGM_RSRC2:TGID_Y_EN: 0
; COMPUTE_PGM_RSRC2:TGID_Z_EN: 0
; COMPUTE_PGM_RSRC2:TIDIG_COMP_CNT: 0
; COMPUTE_PGM_RSRC3_GFX90A:ACCUM_OFFSET: 0
; COMPUTE_PGM_RSRC3_GFX90A:TG_SPLIT: 0
	.section	.text._ZN7rocprim17ROCPRIM_400000_NS6detail17trampoline_kernelINS0_14default_configENS1_25partition_config_selectorILNS1_17partition_subalgoE9EllbEEZZNS1_14partition_implILS5_9ELb0ES3_jPlS8_PNS0_10empty_typeENS0_5tupleIJS8_S9_EEENSB_IJS8_SA_EEENS0_18inequality_wrapperIZN2at6native12_GLOBAL__N_124unique_dim_cuda_templateIbEESt5tupleIJNSF_6TensorESK_SK_EERKSK_lbbbEUlllE0_EEPmJS9_EEE10hipError_tPvRmT3_T4_T5_T6_T7_T9_mT8_P12ihipStream_tbDpT10_ENKUlT_T0_E_clISt17integral_constantIbLb0EES19_IbLb1EEEEDaS15_S16_EUlS15_E_NS1_11comp_targetILNS1_3genE4ELNS1_11target_archE910ELNS1_3gpuE8ELNS1_3repE0EEENS1_30default_config_static_selectorELNS0_4arch9wavefront6targetE1EEEvT1_,"axG",@progbits,_ZN7rocprim17ROCPRIM_400000_NS6detail17trampoline_kernelINS0_14default_configENS1_25partition_config_selectorILNS1_17partition_subalgoE9EllbEEZZNS1_14partition_implILS5_9ELb0ES3_jPlS8_PNS0_10empty_typeENS0_5tupleIJS8_S9_EEENSB_IJS8_SA_EEENS0_18inequality_wrapperIZN2at6native12_GLOBAL__N_124unique_dim_cuda_templateIbEESt5tupleIJNSF_6TensorESK_SK_EERKSK_lbbbEUlllE0_EEPmJS9_EEE10hipError_tPvRmT3_T4_T5_T6_T7_T9_mT8_P12ihipStream_tbDpT10_ENKUlT_T0_E_clISt17integral_constantIbLb0EES19_IbLb1EEEEDaS15_S16_EUlS15_E_NS1_11comp_targetILNS1_3genE4ELNS1_11target_archE910ELNS1_3gpuE8ELNS1_3repE0EEENS1_30default_config_static_selectorELNS0_4arch9wavefront6targetE1EEEvT1_,comdat
	.globl	_ZN7rocprim17ROCPRIM_400000_NS6detail17trampoline_kernelINS0_14default_configENS1_25partition_config_selectorILNS1_17partition_subalgoE9EllbEEZZNS1_14partition_implILS5_9ELb0ES3_jPlS8_PNS0_10empty_typeENS0_5tupleIJS8_S9_EEENSB_IJS8_SA_EEENS0_18inequality_wrapperIZN2at6native12_GLOBAL__N_124unique_dim_cuda_templateIbEESt5tupleIJNSF_6TensorESK_SK_EERKSK_lbbbEUlllE0_EEPmJS9_EEE10hipError_tPvRmT3_T4_T5_T6_T7_T9_mT8_P12ihipStream_tbDpT10_ENKUlT_T0_E_clISt17integral_constantIbLb0EES19_IbLb1EEEEDaS15_S16_EUlS15_E_NS1_11comp_targetILNS1_3genE4ELNS1_11target_archE910ELNS1_3gpuE8ELNS1_3repE0EEENS1_30default_config_static_selectorELNS0_4arch9wavefront6targetE1EEEvT1_ ; -- Begin function _ZN7rocprim17ROCPRIM_400000_NS6detail17trampoline_kernelINS0_14default_configENS1_25partition_config_selectorILNS1_17partition_subalgoE9EllbEEZZNS1_14partition_implILS5_9ELb0ES3_jPlS8_PNS0_10empty_typeENS0_5tupleIJS8_S9_EEENSB_IJS8_SA_EEENS0_18inequality_wrapperIZN2at6native12_GLOBAL__N_124unique_dim_cuda_templateIbEESt5tupleIJNSF_6TensorESK_SK_EERKSK_lbbbEUlllE0_EEPmJS9_EEE10hipError_tPvRmT3_T4_T5_T6_T7_T9_mT8_P12ihipStream_tbDpT10_ENKUlT_T0_E_clISt17integral_constantIbLb0EES19_IbLb1EEEEDaS15_S16_EUlS15_E_NS1_11comp_targetILNS1_3genE4ELNS1_11target_archE910ELNS1_3gpuE8ELNS1_3repE0EEENS1_30default_config_static_selectorELNS0_4arch9wavefront6targetE1EEEvT1_
	.p2align	8
	.type	_ZN7rocprim17ROCPRIM_400000_NS6detail17trampoline_kernelINS0_14default_configENS1_25partition_config_selectorILNS1_17partition_subalgoE9EllbEEZZNS1_14partition_implILS5_9ELb0ES3_jPlS8_PNS0_10empty_typeENS0_5tupleIJS8_S9_EEENSB_IJS8_SA_EEENS0_18inequality_wrapperIZN2at6native12_GLOBAL__N_124unique_dim_cuda_templateIbEESt5tupleIJNSF_6TensorESK_SK_EERKSK_lbbbEUlllE0_EEPmJS9_EEE10hipError_tPvRmT3_T4_T5_T6_T7_T9_mT8_P12ihipStream_tbDpT10_ENKUlT_T0_E_clISt17integral_constantIbLb0EES19_IbLb1EEEEDaS15_S16_EUlS15_E_NS1_11comp_targetILNS1_3genE4ELNS1_11target_archE910ELNS1_3gpuE8ELNS1_3repE0EEENS1_30default_config_static_selectorELNS0_4arch9wavefront6targetE1EEEvT1_,@function
_ZN7rocprim17ROCPRIM_400000_NS6detail17trampoline_kernelINS0_14default_configENS1_25partition_config_selectorILNS1_17partition_subalgoE9EllbEEZZNS1_14partition_implILS5_9ELb0ES3_jPlS8_PNS0_10empty_typeENS0_5tupleIJS8_S9_EEENSB_IJS8_SA_EEENS0_18inequality_wrapperIZN2at6native12_GLOBAL__N_124unique_dim_cuda_templateIbEESt5tupleIJNSF_6TensorESK_SK_EERKSK_lbbbEUlllE0_EEPmJS9_EEE10hipError_tPvRmT3_T4_T5_T6_T7_T9_mT8_P12ihipStream_tbDpT10_ENKUlT_T0_E_clISt17integral_constantIbLb0EES19_IbLb1EEEEDaS15_S16_EUlS15_E_NS1_11comp_targetILNS1_3genE4ELNS1_11target_archE910ELNS1_3gpuE8ELNS1_3repE0EEENS1_30default_config_static_selectorELNS0_4arch9wavefront6targetE1EEEvT1_: ; @_ZN7rocprim17ROCPRIM_400000_NS6detail17trampoline_kernelINS0_14default_configENS1_25partition_config_selectorILNS1_17partition_subalgoE9EllbEEZZNS1_14partition_implILS5_9ELb0ES3_jPlS8_PNS0_10empty_typeENS0_5tupleIJS8_S9_EEENSB_IJS8_SA_EEENS0_18inequality_wrapperIZN2at6native12_GLOBAL__N_124unique_dim_cuda_templateIbEESt5tupleIJNSF_6TensorESK_SK_EERKSK_lbbbEUlllE0_EEPmJS9_EEE10hipError_tPvRmT3_T4_T5_T6_T7_T9_mT8_P12ihipStream_tbDpT10_ENKUlT_T0_E_clISt17integral_constantIbLb0EES19_IbLb1EEEEDaS15_S16_EUlS15_E_NS1_11comp_targetILNS1_3genE4ELNS1_11target_archE910ELNS1_3gpuE8ELNS1_3repE0EEENS1_30default_config_static_selectorELNS0_4arch9wavefront6targetE1EEEvT1_
; %bb.0:
	s_load_dwordx4 s[8:11], s[4:5], 0x8
	s_load_dwordx2 s[14:15], s[4:5], 0x18
	s_load_dwordx8 s[20:27], s[4:5], 0x40
	s_load_dwordx4 s[16:19], s[4:5], 0x60
	v_cmp_ne_u32_e64 s[2:3], 0, v0
	v_cmp_eq_u32_e64 s[0:1], 0, v0
	s_and_saveexec_b64 s[6:7], s[0:1]
	s_cbranch_execz .LBB1109_4
; %bb.1:
	s_mov_b64 s[28:29], exec
	v_mbcnt_lo_u32_b32 v1, s28, 0
	v_mbcnt_hi_u32_b32 v1, s29, v1
	v_cmp_eq_u32_e32 vcc, 0, v1
                                        ; implicit-def: $vgpr2
	s_and_saveexec_b64 s[12:13], vcc
	s_cbranch_execz .LBB1109_3
; %bb.2:
	s_load_dwordx2 s[30:31], s[4:5], 0x78
	s_bcnt1_i32_b64 s28, s[28:29]
	v_mov_b32_e32 v2, 0
	v_mov_b32_e32 v3, s28
	s_waitcnt lgkmcnt(0)
	global_atomic_add v2, v2, v3, s[30:31] glc
.LBB1109_3:
	s_or_b64 exec, exec, s[12:13]
	s_waitcnt vmcnt(0)
	v_readfirstlane_b32 s12, v2
	v_add_u32_e32 v1, s12, v1
	v_mov_b32_e32 v2, 0
	ds_write_b32 v2, v1
.LBB1109_4:
	s_or_b64 exec, exec, s[6:7]
	v_mov_b32_e32 v1, 0
	s_load_dwordx4 s[28:31], s[4:5], 0x28
	s_load_dword s6, s[4:5], 0x70
	s_waitcnt lgkmcnt(0)
	s_barrier
	ds_read_b32 v6, v1
	s_waitcnt lgkmcnt(0)
	s_barrier
	global_load_dwordx2 v[2:3], v1, s[22:23]
	s_lshl_b64 s[36:37], s[10:11], 3
	s_add_u32 s22, s8, s36
	s_addc_u32 s23, s9, s37
	s_add_i32 s12, s6, -1
	s_lshl_b32 s8, s6, 9
	s_lshl_b32 s6, s12, 9
	s_add_i32 s6, s10, s6
	v_readfirstlane_b32 s33, v6
	s_sub_i32 s48, s24, s6
	s_lshl_b32 s6, s33, 9
	s_add_u32 s8, s10, s8
	s_addc_u32 s9, s11, 0
	v_mov_b32_e32 v4, s24
	v_mov_b32_e32 v5, s25
	s_cmp_eq_u32 s33, s12
	v_cmp_ge_u64_e32 vcc, s[8:9], v[4:5]
	s_cselect_b64 s[24:25], -1, 0
	s_mov_b32 s7, 0
	s_and_b64 s[12:13], vcc, s[24:25]
	s_lshl_b64 s[8:9], s[6:7], 3
	s_xor_b64 s[34:35], s[12:13], -1
	s_add_u32 s6, s22, s8
	s_mov_b64 s[4:5], -1
	v_lshrrev_b32_e32 v18, 2, v0
	s_addc_u32 s7, s23, s9
	s_and_b64 vcc, exec, s[34:35]
	s_waitcnt vmcnt(0)
	v_readfirstlane_b32 s22, v2
	v_readfirstlane_b32 s23, v3
	s_cbranch_vccz .LBB1109_6
; %bb.5:
	v_lshlrev_b32_e32 v1, 3, v0
	global_load_dwordx2 v[2:3], v1, s[6:7]
	global_load_dwordx2 v[4:5], v1, s[6:7] offset:1024
	global_load_dwordx2 v[6:7], v1, s[6:7] offset:2048
	;; [unrolled: 1-line block ×3, first 2 shown]
	v_or_b32_e32 v11, 0x80, v0
	v_or_b32_e32 v12, 0x100, v0
	;; [unrolled: 1-line block ×3, first 2 shown]
	v_and_b32_e32 v10, 24, v18
	v_lshrrev_b32_e32 v11, 2, v11
	v_lshrrev_b32_e32 v12, 2, v12
	;; [unrolled: 1-line block ×3, first 2 shown]
	v_add_u32_e32 v10, v10, v1
	v_and_b32_e32 v11, 56, v11
	v_and_b32_e32 v12, 0x58, v12
	;; [unrolled: 1-line block ×3, first 2 shown]
	v_add_u32_e32 v11, v11, v1
	v_add_u32_e32 v12, v12, v1
	v_add_u32_e32 v1, v13, v1
	s_mov_b64 s[4:5], 0
	s_waitcnt vmcnt(3)
	ds_write_b64 v10, v[2:3]
	s_waitcnt vmcnt(2)
	ds_write_b64 v11, v[4:5] offset:1024
	s_waitcnt vmcnt(1)
	ds_write_b64 v12, v[6:7] offset:2048
	;; [unrolled: 2-line block ×3, first 2 shown]
	s_waitcnt lgkmcnt(0)
	s_barrier
.LBB1109_6:
	s_andn2_b64 vcc, exec, s[4:5]
	v_cmp_gt_u32_e64 s[4:5], s48, v0
	s_cbranch_vccnz .LBB1109_16
; %bb.7:
                                        ; implicit-def: $vgpr2_vgpr3_vgpr4_vgpr5_vgpr6_vgpr7_vgpr8_vgpr9
	s_and_saveexec_b64 s[38:39], s[4:5]
	s_cbranch_execz .LBB1109_9
; %bb.8:
	v_lshlrev_b32_e32 v1, 3, v0
	global_load_dwordx2 v[2:3], v1, s[6:7]
.LBB1109_9:
	s_or_b64 exec, exec, s[38:39]
	v_or_b32_e32 v1, 0x80, v0
	v_cmp_gt_u32_e32 vcc, s48, v1
	s_and_saveexec_b64 s[4:5], vcc
	s_cbranch_execz .LBB1109_11
; %bb.10:
	v_lshlrev_b32_e32 v4, 3, v0
	global_load_dwordx2 v[4:5], v4, s[6:7] offset:1024
.LBB1109_11:
	s_or_b64 exec, exec, s[4:5]
	v_or_b32_e32 v10, 0x100, v0
	v_cmp_gt_u32_e32 vcc, s48, v10
	s_and_saveexec_b64 s[4:5], vcc
	s_cbranch_execz .LBB1109_13
; %bb.12:
	v_lshlrev_b32_e32 v6, 3, v0
	global_load_dwordx2 v[6:7], v6, s[6:7] offset:2048
.LBB1109_13:
	;; [unrolled: 9-line block ×3, first 2 shown]
	s_or_b64 exec, exec, s[4:5]
	v_lshrrev_b32_e32 v1, 2, v1
	v_lshlrev_b32_e32 v13, 3, v0
	v_and_b32_e32 v1, 56, v1
	v_add_u32_e32 v1, v1, v13
	s_waitcnt vmcnt(0)
	ds_write_b64 v1, v[4:5] offset:1024
	v_lshrrev_b32_e32 v1, 2, v10
	v_and_b32_e32 v1, 0x78, v1
	v_add_u32_e32 v1, v1, v13
	ds_write_b64 v1, v[6:7] offset:2048
	v_lshrrev_b32_e32 v1, 2, v11
	v_and_b32_e32 v12, 24, v18
	v_and_b32_e32 v1, 0x78, v1
	v_add_u32_e32 v12, v12, v13
	v_add_u32_e32 v1, v1, v13
	ds_write_b64 v12, v[2:3]
	ds_write_b64 v1, v[8:9] offset:3072
	s_waitcnt lgkmcnt(0)
	s_barrier
.LBB1109_16:
	v_lshlrev_b32_e32 v1, 2, v0
	v_lshrrev_b32_e32 v2, 3, v0
	v_add_lshl_u32 v19, v2, v1, 3
	ds_read2_b64 v[14:17], v19 offset1:1
	ds_read2_b64 v[10:13], v19 offset0:2 offset1:3
	s_add_u32 s4, s14, s36
	s_addc_u32 s5, s15, s37
	s_add_u32 s4, s4, s8
	s_addc_u32 s5, s5, s9
	s_mov_b64 s[8:9], -1
	s_and_b64 vcc, exec, s[34:35]
	s_waitcnt lgkmcnt(0)
	s_barrier
	s_cbranch_vccz .LBB1109_18
; %bb.17:
	v_lshlrev_b32_e32 v20, 3, v0
	global_load_dwordx2 v[2:3], v20, s[4:5]
	global_load_dwordx2 v[4:5], v20, s[4:5] offset:1024
	global_load_dwordx2 v[6:7], v20, s[4:5] offset:2048
	;; [unrolled: 1-line block ×3, first 2 shown]
	v_or_b32_e32 v22, 0x80, v0
	v_or_b32_e32 v23, 0x100, v0
	;; [unrolled: 1-line block ×3, first 2 shown]
	v_and_b32_e32 v21, 24, v18
	v_lshrrev_b32_e32 v22, 2, v22
	v_lshrrev_b32_e32 v23, 2, v23
	;; [unrolled: 1-line block ×3, first 2 shown]
	v_add_u32_e32 v21, v21, v20
	v_and_b32_e32 v22, 56, v22
	v_and_b32_e32 v23, 0x58, v23
	;; [unrolled: 1-line block ×3, first 2 shown]
	v_add_u32_e32 v22, v22, v20
	v_add_u32_e32 v23, v23, v20
	;; [unrolled: 1-line block ×3, first 2 shown]
	s_mov_b64 s[8:9], 0
	s_waitcnt vmcnt(3)
	ds_write_b64 v21, v[2:3]
	s_waitcnt vmcnt(2)
	ds_write_b64 v22, v[4:5] offset:1024
	s_waitcnt vmcnt(1)
	ds_write_b64 v23, v[6:7] offset:2048
	;; [unrolled: 2-line block ×3, first 2 shown]
	s_waitcnt lgkmcnt(0)
	s_barrier
.LBB1109_18:
	s_andn2_b64 vcc, exec, s[8:9]
	s_cbranch_vccnz .LBB1109_28
; %bb.19:
	v_cmp_gt_u32_e32 vcc, s48, v0
                                        ; implicit-def: $vgpr2_vgpr3
	s_and_saveexec_b64 s[8:9], vcc
	s_cbranch_execz .LBB1109_21
; %bb.20:
	v_lshlrev_b32_e32 v2, 3, v0
	global_load_dwordx2 v[2:3], v2, s[4:5]
.LBB1109_21:
	s_or_b64 exec, exec, s[8:9]
	v_or_b32_e32 v20, 0x80, v0
	v_cmp_gt_u32_e32 vcc, s48, v20
                                        ; implicit-def: $vgpr4_vgpr5
	s_and_saveexec_b64 s[8:9], vcc
	s_cbranch_execz .LBB1109_23
; %bb.22:
	v_lshlrev_b32_e32 v4, 3, v0
	global_load_dwordx2 v[4:5], v4, s[4:5] offset:1024
.LBB1109_23:
	s_or_b64 exec, exec, s[8:9]
	v_or_b32_e32 v21, 0x100, v0
	v_cmp_gt_u32_e32 vcc, s48, v21
                                        ; implicit-def: $vgpr6_vgpr7
	s_and_saveexec_b64 s[8:9], vcc
	s_cbranch_execz .LBB1109_25
; %bb.24:
	v_lshlrev_b32_e32 v6, 3, v0
	global_load_dwordx2 v[6:7], v6, s[4:5] offset:2048
.LBB1109_25:
	s_or_b64 exec, exec, s[8:9]
	v_or_b32_e32 v22, 0x180, v0
	v_cmp_gt_u32_e32 vcc, s48, v22
                                        ; implicit-def: $vgpr8_vgpr9
	s_and_saveexec_b64 s[8:9], vcc
	s_cbranch_execz .LBB1109_27
; %bb.26:
	v_lshlrev_b32_e32 v8, 3, v0
	global_load_dwordx2 v[8:9], v8, s[4:5] offset:3072
.LBB1109_27:
	s_or_b64 exec, exec, s[8:9]
	v_and_b32_e32 v18, 24, v18
	v_lshlrev_b32_e32 v23, 3, v0
	v_add_u32_e32 v18, v18, v23
	s_waitcnt vmcnt(0)
	ds_write_b64 v18, v[2:3]
	v_lshrrev_b32_e32 v2, 2, v20
	v_and_b32_e32 v2, 56, v2
	v_add_u32_e32 v2, v2, v23
	ds_write_b64 v2, v[4:5] offset:1024
	v_lshrrev_b32_e32 v2, 2, v21
	v_and_b32_e32 v2, 0x78, v2
	v_add_u32_e32 v2, v2, v23
	ds_write_b64 v2, v[6:7] offset:2048
	;; [unrolled: 4-line block ×3, first 2 shown]
	s_waitcnt lgkmcnt(0)
	s_barrier
.LBB1109_28:
	ds_read2_b64 v[6:9], v19 offset1:1
	ds_read2_b64 v[2:5], v19 offset0:2 offset1:3
	s_cmp_lg_u32 s33, 0
	s_cselect_b64 s[36:37], -1, 0
	s_cmp_lg_u64 s[10:11], 0
	s_cselect_b64 s[4:5], -1, 0
	s_or_b64 s[4:5], s[4:5], s[36:37]
	s_mov_b64 s[14:15], 0
	s_and_b64 vcc, exec, s[4:5]
	v_cmp_lt_i64_e64 s[10:11], s[26:27], 1
	v_cmp_gt_i64_e64 s[38:39], s[26:27], 0
	s_waitcnt lgkmcnt(0)
	s_barrier
	s_cbranch_vccz .LBB1109_37
; %bb.29:
	v_mov_b32_e32 v27, 0
	global_load_dwordx2 v[18:19], v27, s[6:7] offset:-8
	v_lshlrev_b32_e32 v26, 3, v0
	s_mov_b64 s[8:9], 0
	s_and_b64 vcc, exec, s[34:35]
	ds_write_b64 v26, v[12:13]
	s_cbranch_vccz .LBB1109_38
; %bb.30:
	v_cndmask_b32_e64 v20, 0, 1, s[38:39]
	v_cmp_ne_u32_e64 s[4:5], 1, v20
	s_andn2_b64 vcc, exec, s[38:39]
	s_cbranch_vccnz .LBB1109_48
; %bb.31:
	v_pk_mov_b32 v[22:23], s[16:17], s[16:17] op_sel:[0,1]
	v_mad_u64_u32 v[20:21], s[6:7], v10, s26, v[22:23]
	v_mul_lo_u32 v24, v10, s27
	v_mul_lo_u32 v25, v11, s26
	v_add3_u32 v21, v25, v21, v24
	v_mad_u64_u32 v[22:23], s[6:7], v12, s26, v[22:23]
	v_mul_lo_u32 v24, v12, s27
	v_mul_lo_u32 v25, v13, s26
	v_add3_u32 v23, v25, v23, v24
	global_load_ubyte v24, v[20:21], off
	global_load_ubyte v25, v[22:23], off
	s_mov_b64 s[14:15], -1
	s_waitcnt vmcnt(1)
	v_cmp_ne_u16_e32 vcc, 0, v24
	s_waitcnt vmcnt(0)
	v_cmp_ne_u16_e64 s[6:7], 0, v25
	s_xor_b64 s[6:7], vcc, s[6:7]
	s_xor_b64 s[6:7], s[6:7], -1
	s_and_saveexec_b64 s[38:39], s[6:7]
	s_cbranch_execz .LBB1109_40
; %bb.32:
	s_mov_b64 s[42:43], 1
	s_mov_b64 s[14:15], 0
                                        ; implicit-def: $sgpr40_sgpr41
	s_branch .LBB1109_35
.LBB1109_33:                            ;   in Loop: Header=BB1109_35 Depth=1
	v_mov_b32_e32 v27, s43
	v_add_co_u32_e64 v24, s[6:7], s42, v20
	v_addc_co_u32_e64 v25, s[6:7], v21, v27, s[6:7]
	v_add_co_u32_e64 v28, s[6:7], s42, v22
	v_addc_co_u32_e64 v29, s[6:7], v23, v27, s[6:7]
	global_load_ubyte v27, v[24:25], off
	global_load_ubyte v30, v[28:29], off
	s_waitcnt vmcnt(1)
	v_cmp_ne_u16_e64 s[6:7], 0, v27
	s_waitcnt vmcnt(0)
	v_cmp_ne_u16_e64 s[8:9], 0, v30
	s_xor_b64 s[8:9], s[6:7], s[8:9]
	s_add_u32 s6, s42, 1
	s_addc_u32 s7, s43, 0
	s_andn2_b64 s[40:41], s[40:41], exec
	s_and_b64 s[8:9], s[8:9], exec
	s_or_b64 s[40:41], s[40:41], s[8:9]
.LBB1109_34:                            ;   in Loop: Header=BB1109_35 Depth=1
	s_and_b64 s[8:9], exec, s[40:41]
	s_or_b64 s[14:15], s[8:9], s[14:15]
	v_pk_mov_b32 v[24:25], s[42:43], s[42:43] op_sel:[0,1]
	s_mov_b64 s[42:43], s[6:7]
	s_andn2_b64 exec, exec, s[14:15]
	s_cbranch_execz .LBB1109_39
.LBB1109_35:                            ; =>This Inner Loop Header: Depth=1
	s_or_b64 s[40:41], s[40:41], exec
	s_cmp_eq_u64 s[26:27], s[42:43]
	s_cbranch_scc0 .LBB1109_33
; %bb.36:                               ;   in Loop: Header=BB1109_35 Depth=1
                                        ; implicit-def: $sgpr6_sgpr7
	s_mov_b64 s[42:43], s[26:27]
	s_branch .LBB1109_34
.LBB1109_37:
                                        ; implicit-def: $sgpr8_sgpr9
                                        ; implicit-def: $vgpr28
	s_branch .LBB1109_109
.LBB1109_38:
                                        ; implicit-def: $sgpr8_sgpr9
                                        ; implicit-def: $vgpr28
	s_cbranch_execnz .LBB1109_69
	s_branch .LBB1109_108
.LBB1109_39:
	s_or_b64 exec, exec, s[14:15]
	v_cmp_gt_i64_e64 s[6:7], s[26:27], v[24:25]
	s_orn2_b64 s[14:15], s[6:7], exec
.LBB1109_40:
	s_or_b64 exec, exec, s[38:39]
	v_pk_mov_b32 v[22:23], s[16:17], s[16:17] op_sel:[0,1]
	v_mad_u64_u32 v[22:23], s[6:7], v16, s26, v[22:23]
	v_mul_lo_u32 v24, v16, s27
	v_mul_lo_u32 v25, v17, s26
	v_add3_u32 v23, v25, v23, v24
	global_load_ubyte v24, v[22:23], off
	s_mov_b64 s[8:9], -1
	s_waitcnt vmcnt(0)
	v_cmp_ne_u16_e64 s[6:7], 0, v24
	s_xor_b64 s[6:7], vcc, s[6:7]
	s_xor_b64 s[6:7], s[6:7], -1
	s_and_saveexec_b64 s[38:39], s[6:7]
	s_cbranch_execz .LBB1109_47
; %bb.41:
	s_mov_b64 s[42:43], 1
	s_mov_b64 s[8:9], 0
                                        ; implicit-def: $sgpr40_sgpr41
	s_branch .LBB1109_44
.LBB1109_42:                            ;   in Loop: Header=BB1109_44 Depth=1
	v_mov_b32_e32 v27, s43
	v_add_co_u32_e32 v24, vcc, s42, v22
	v_addc_co_u32_e32 v25, vcc, v23, v27, vcc
	v_add_co_u32_e32 v28, vcc, s42, v20
	v_addc_co_u32_e32 v29, vcc, v21, v27, vcc
	global_load_ubyte v27, v[24:25], off
	global_load_ubyte v30, v[28:29], off
	s_waitcnt vmcnt(1)
	v_cmp_ne_u16_e32 vcc, 0, v27
	s_waitcnt vmcnt(0)
	v_cmp_ne_u16_e64 s[6:7], 0, v30
	s_xor_b64 s[44:45], vcc, s[6:7]
	s_add_u32 s6, s42, 1
	s_addc_u32 s7, s43, 0
	s_andn2_b64 s[40:41], s[40:41], exec
	s_and_b64 s[44:45], s[44:45], exec
	s_or_b64 s[40:41], s[40:41], s[44:45]
.LBB1109_43:                            ;   in Loop: Header=BB1109_44 Depth=1
	s_and_b64 s[44:45], exec, s[40:41]
	s_or_b64 s[8:9], s[44:45], s[8:9]
	v_pk_mov_b32 v[24:25], s[42:43], s[42:43] op_sel:[0,1]
	s_mov_b64 s[42:43], s[6:7]
	s_andn2_b64 exec, exec, s[8:9]
	s_cbranch_execz .LBB1109_46
.LBB1109_44:                            ; =>This Inner Loop Header: Depth=1
	s_or_b64 s[40:41], s[40:41], exec
	s_cmp_eq_u64 s[26:27], s[42:43]
	s_cbranch_scc0 .LBB1109_42
; %bb.45:                               ;   in Loop: Header=BB1109_44 Depth=1
                                        ; implicit-def: $sgpr6_sgpr7
	s_mov_b64 s[42:43], s[26:27]
	s_branch .LBB1109_43
.LBB1109_46:
	s_or_b64 exec, exec, s[8:9]
	v_cmp_gt_i64_e32 vcc, s[26:27], v[24:25]
	s_orn2_b64 s[8:9], vcc, exec
.LBB1109_47:
	s_or_b64 exec, exec, s[38:39]
	v_cndmask_b32_e64 v27, 0, 1, s[14:15]
.LBB1109_48:
	s_and_b64 vcc, exec, s[4:5]
	s_mov_b64 s[6:7], 0
	s_cbranch_vccnz .LBB1109_57
; %bb.49:
	v_pk_mov_b32 v[22:23], s[16:17], s[16:17] op_sel:[0,1]
	v_mad_u64_u32 v[20:21], s[6:7], v14, s26, v[22:23]
	v_mul_lo_u32 v24, v14, s27
	v_mul_lo_u32 v25, v15, s26
	v_add3_u32 v21, v25, v21, v24
	v_mad_u64_u32 v[22:23], s[6:7], v16, s26, v[22:23]
	v_mul_lo_u32 v24, v16, s27
	v_mul_lo_u32 v25, v17, s26
	v_add3_u32 v23, v25, v23, v24
	global_load_ubyte v24, v[20:21], off
	global_load_ubyte v25, v[22:23], off
	s_waitcnt vmcnt(1)
	v_cmp_ne_u16_e32 vcc, 0, v24
	s_waitcnt vmcnt(0)
	v_cmp_ne_u16_e64 s[6:7], 0, v25
	s_xor_b64 s[14:15], vcc, s[6:7]
	s_mov_b64 s[6:7], -1
	s_xor_b64 s[38:39], s[14:15], -1
	s_and_saveexec_b64 s[14:15], s[38:39]
	s_cbranch_execz .LBB1109_56
; %bb.50:
	s_mov_b64 s[42:43], 1
	s_mov_b64 s[38:39], 0
                                        ; implicit-def: $sgpr40_sgpr41
	s_branch .LBB1109_53
.LBB1109_51:                            ;   in Loop: Header=BB1109_53 Depth=1
	v_mov_b32_e32 v29, s43
	v_add_co_u32_e32 v24, vcc, s42, v20
	v_addc_co_u32_e32 v25, vcc, v21, v29, vcc
	v_add_co_u32_e32 v28, vcc, s42, v22
	v_addc_co_u32_e32 v29, vcc, v23, v29, vcc
	global_load_ubyte v30, v[24:25], off
	global_load_ubyte v31, v[28:29], off
	s_waitcnt vmcnt(1)
	v_cmp_ne_u16_e32 vcc, 0, v30
	s_waitcnt vmcnt(0)
	v_cmp_ne_u16_e64 s[6:7], 0, v31
	s_xor_b64 s[44:45], vcc, s[6:7]
	s_add_u32 s6, s42, 1
	s_addc_u32 s7, s43, 0
	s_andn2_b64 s[40:41], s[40:41], exec
	s_and_b64 s[44:45], s[44:45], exec
	s_or_b64 s[40:41], s[40:41], s[44:45]
.LBB1109_52:                            ;   in Loop: Header=BB1109_53 Depth=1
	s_and_b64 s[44:45], exec, s[40:41]
	s_or_b64 s[38:39], s[44:45], s[38:39]
	v_pk_mov_b32 v[24:25], s[42:43], s[42:43] op_sel:[0,1]
	s_mov_b64 s[42:43], s[6:7]
	s_andn2_b64 exec, exec, s[38:39]
	s_cbranch_execz .LBB1109_55
.LBB1109_53:                            ; =>This Inner Loop Header: Depth=1
	s_or_b64 s[40:41], s[40:41], exec
	s_cmp_eq_u64 s[26:27], s[42:43]
	s_cbranch_scc0 .LBB1109_51
; %bb.54:                               ;   in Loop: Header=BB1109_53 Depth=1
                                        ; implicit-def: $sgpr6_sgpr7
	s_mov_b64 s[42:43], s[26:27]
	s_branch .LBB1109_52
.LBB1109_55:
	s_or_b64 exec, exec, s[38:39]
	v_cmp_gt_i64_e32 vcc, s[26:27], v[24:25]
	s_orn2_b64 s[6:7], vcc, exec
.LBB1109_56:
	s_or_b64 exec, exec, s[14:15]
.LBB1109_57:
	s_waitcnt vmcnt(0)
	v_pk_mov_b32 v[22:23], v[18:19], v[18:19] op_sel:[0,1]
	s_waitcnt lgkmcnt(0)
	s_barrier
	s_and_saveexec_b64 s[14:15], s[2:3]
	s_cbranch_execz .LBB1109_59
; %bb.58:
	v_add_u32_e32 v20, -8, v26
	ds_read_b64 v[22:23], v20
.LBB1109_59:
	s_or_b64 exec, exec, s[14:15]
	v_cndmask_b32_e64 v21, 0, 1, s[6:7]
	v_lshlrev_b16_e32 v21, 8, v21
	v_cndmask_b32_e64 v20, 0, 1, s[8:9]
	v_or_b32_sdwa v28, v0, v21 dst_sel:DWORD dst_unused:UNUSED_PAD src0_sel:BYTE_0 src1_sel:DWORD
	v_lshlrev_b16_e32 v21, 8, v27
	v_or_b32_sdwa v27, v20, v21 dst_sel:WORD_1 dst_unused:UNUSED_PAD src0_sel:DWORD src1_sel:DWORD
	s_mov_b64 s[6:7], 0
	s_and_b64 vcc, exec, s[4:5]
	s_mov_b64 s[8:9], 0
	s_cbranch_vccnz .LBB1109_68
; %bb.60:
	v_pk_mov_b32 v[24:25], s[16:17], s[16:17] op_sel:[0,1]
	s_waitcnt lgkmcnt(0)
	v_mad_u64_u32 v[20:21], s[4:5], v22, s26, v[24:25]
	v_mul_lo_u32 v22, v22, s27
	v_mul_lo_u32 v23, v23, s26
	v_add3_u32 v21, v23, v21, v22
	v_mad_u64_u32 v[22:23], s[4:5], v14, s26, v[24:25]
	v_mul_lo_u32 v24, v14, s27
	v_mul_lo_u32 v25, v15, s26
	v_add3_u32 v23, v25, v23, v24
	global_load_ubyte v24, v[20:21], off
	global_load_ubyte v25, v[22:23], off
	s_mov_b64 s[8:9], -1
	s_waitcnt vmcnt(1)
	v_cmp_ne_u16_e32 vcc, 0, v24
	s_waitcnt vmcnt(0)
	v_cmp_ne_u16_e64 s[4:5], 0, v25
	s_xor_b64 s[4:5], vcc, s[4:5]
	s_xor_b64 s[4:5], s[4:5], -1
	s_and_saveexec_b64 s[14:15], s[4:5]
	s_cbranch_execz .LBB1109_67
; %bb.61:
	s_mov_b64 s[40:41], 1
	s_mov_b64 s[8:9], 0
                                        ; implicit-def: $sgpr38_sgpr39
	s_branch .LBB1109_64
.LBB1109_62:                            ;   in Loop: Header=BB1109_64 Depth=1
	v_mov_b32_e32 v29, s41
	v_add_co_u32_e32 v24, vcc, s40, v20
	v_addc_co_u32_e32 v25, vcc, v21, v29, vcc
	v_add_co_u32_e32 v30, vcc, s40, v22
	v_addc_co_u32_e32 v31, vcc, v23, v29, vcc
	global_load_ubyte v29, v[24:25], off
	global_load_ubyte v32, v[30:31], off
	s_waitcnt vmcnt(1)
	v_cmp_ne_u16_e32 vcc, 0, v29
	s_waitcnt vmcnt(0)
	v_cmp_ne_u16_e64 s[4:5], 0, v32
	s_xor_b64 s[42:43], vcc, s[4:5]
	s_add_u32 s4, s40, 1
	s_addc_u32 s5, s41, 0
	s_andn2_b64 s[38:39], s[38:39], exec
	s_and_b64 s[42:43], s[42:43], exec
	s_or_b64 s[38:39], s[38:39], s[42:43]
.LBB1109_63:                            ;   in Loop: Header=BB1109_64 Depth=1
	s_and_b64 s[42:43], exec, s[38:39]
	s_or_b64 s[8:9], s[42:43], s[8:9]
	v_pk_mov_b32 v[24:25], s[40:41], s[40:41] op_sel:[0,1]
	s_mov_b64 s[40:41], s[4:5]
	s_andn2_b64 exec, exec, s[8:9]
	s_cbranch_execz .LBB1109_66
.LBB1109_64:                            ; =>This Inner Loop Header: Depth=1
	s_or_b64 s[38:39], s[38:39], exec
	s_cmp_eq_u64 s[26:27], s[40:41]
	s_cbranch_scc0 .LBB1109_62
; %bb.65:                               ;   in Loop: Header=BB1109_64 Depth=1
                                        ; implicit-def: $sgpr4_sgpr5
	s_mov_b64 s[40:41], s[26:27]
	s_branch .LBB1109_63
.LBB1109_66:
	s_or_b64 exec, exec, s[8:9]
	v_cmp_gt_i64_e32 vcc, s[26:27], v[24:25]
	s_orn2_b64 s[8:9], vcc, exec
.LBB1109_67:
	s_or_b64 exec, exec, s[14:15]
.LBB1109_68:
	v_or_b32_sdwa v28, v28, v27 dst_sel:DWORD dst_unused:UNUSED_PAD src0_sel:WORD_0 src1_sel:DWORD
	s_and_b64 vcc, exec, s[6:7]
	s_cbranch_vccz .LBB1109_108
.LBB1109_69:
	v_or_b32_e32 v20, 3, v1
	v_cmp_gt_u32_e32 vcc, s48, v20
	s_xor_b64 s[6:7], s[10:11], -1
	s_mov_b64 s[38:39], -1
	s_and_b64 s[4:5], vcc, s[6:7]
	s_mov_b64 s[10:11], 0
	s_mov_b64 s[8:9], 0
	s_and_saveexec_b64 s[14:15], s[4:5]
	s_cbranch_execz .LBB1109_78
; %bb.70:
	s_waitcnt lgkmcnt(0)
	v_pk_mov_b32 v[22:23], s[16:17], s[16:17] op_sel:[0,1]
	v_mad_u64_u32 v[20:21], s[4:5], v10, s26, v[22:23]
	v_mul_lo_u32 v24, v10, s27
	v_mul_lo_u32 v25, v11, s26
	v_add3_u32 v21, v25, v21, v24
	v_mad_u64_u32 v[22:23], s[4:5], v12, s26, v[22:23]
	v_mul_lo_u32 v24, v12, s27
	v_mul_lo_u32 v25, v13, s26
	v_add3_u32 v23, v25, v23, v24
	global_load_ubyte v24, v[20:21], off
	global_load_ubyte v25, v[22:23], off
	s_waitcnt vmcnt(1)
	v_cmp_ne_u16_e32 vcc, 0, v24
	s_waitcnt vmcnt(0)
	v_cmp_ne_u16_e64 s[4:5], 0, v25
	s_xor_b64 s[4:5], vcc, s[4:5]
	s_xor_b64 s[4:5], s[4:5], -1
	s_and_saveexec_b64 s[8:9], s[4:5]
	s_cbranch_execz .LBB1109_77
; %bb.71:
	s_mov_b64 s[42:43], 1
	s_mov_b64 s[38:39], 0
                                        ; implicit-def: $sgpr40_sgpr41
	s_branch .LBB1109_74
.LBB1109_72:                            ;   in Loop: Header=BB1109_74 Depth=1
	v_mov_b32_e32 v27, s43
	v_add_co_u32_e32 v24, vcc, s42, v20
	v_addc_co_u32_e32 v25, vcc, v21, v27, vcc
	v_add_co_u32_e32 v28, vcc, s42, v22
	v_addc_co_u32_e32 v29, vcc, v23, v27, vcc
	global_load_ubyte v27, v[24:25], off
	global_load_ubyte v30, v[28:29], off
	s_waitcnt vmcnt(1)
	v_cmp_ne_u16_e32 vcc, 0, v27
	s_waitcnt vmcnt(0)
	v_cmp_ne_u16_e64 s[4:5], 0, v30
	s_xor_b64 s[44:45], vcc, s[4:5]
	s_add_u32 s4, s42, 1
	s_addc_u32 s5, s43, 0
	s_andn2_b64 s[40:41], s[40:41], exec
	s_and_b64 s[44:45], s[44:45], exec
	s_or_b64 s[40:41], s[40:41], s[44:45]
.LBB1109_73:                            ;   in Loop: Header=BB1109_74 Depth=1
	s_and_b64 s[44:45], exec, s[40:41]
	s_or_b64 s[38:39], s[44:45], s[38:39]
	v_pk_mov_b32 v[24:25], s[42:43], s[42:43] op_sel:[0,1]
	s_mov_b64 s[42:43], s[4:5]
	s_andn2_b64 exec, exec, s[38:39]
	s_cbranch_execz .LBB1109_76
.LBB1109_74:                            ; =>This Inner Loop Header: Depth=1
	s_or_b64 s[40:41], s[40:41], exec
	s_cmp_eq_u64 s[26:27], s[42:43]
	s_cbranch_scc0 .LBB1109_72
; %bb.75:                               ;   in Loop: Header=BB1109_74 Depth=1
                                        ; implicit-def: $sgpr4_sgpr5
	s_mov_b64 s[42:43], s[26:27]
	s_branch .LBB1109_73
.LBB1109_76:
	s_or_b64 exec, exec, s[38:39]
	v_cmp_gt_i64_e32 vcc, s[26:27], v[24:25]
	s_orn2_b64 s[38:39], vcc, exec
.LBB1109_77:
	s_or_b64 exec, exec, s[8:9]
	s_and_b64 s[8:9], s[38:39], exec
.LBB1109_78:
	s_or_b64 exec, exec, s[14:15]
	v_or_b32_e32 v20, 2, v1
	v_cmp_gt_u32_e32 vcc, s48, v20
	s_and_b64 s[4:5], vcc, s[6:7]
	s_and_saveexec_b64 s[14:15], s[4:5]
	s_cbranch_execz .LBB1109_87
; %bb.79:
	s_waitcnt lgkmcnt(0)
	v_pk_mov_b32 v[22:23], s[16:17], s[16:17] op_sel:[0,1]
	v_mad_u64_u32 v[20:21], s[4:5], v16, s26, v[22:23]
	v_mul_lo_u32 v24, v16, s27
	v_mul_lo_u32 v25, v17, s26
	v_add3_u32 v21, v25, v21, v24
	v_mad_u64_u32 v[22:23], s[4:5], v10, s26, v[22:23]
	v_mul_lo_u32 v24, v10, s27
	v_mul_lo_u32 v25, v11, s26
	v_add3_u32 v23, v25, v23, v24
	global_load_ubyte v24, v[20:21], off
	global_load_ubyte v25, v[22:23], off
	s_waitcnt vmcnt(1)
	v_cmp_ne_u16_e32 vcc, 0, v24
	s_waitcnt vmcnt(0)
	v_cmp_ne_u16_e64 s[4:5], 0, v25
	s_xor_b64 s[10:11], vcc, s[4:5]
	s_mov_b64 s[4:5], -1
	s_xor_b64 s[38:39], s[10:11], -1
	s_and_saveexec_b64 s[10:11], s[38:39]
	s_cbranch_execz .LBB1109_86
; %bb.80:
	s_mov_b64 s[42:43], 1
	s_mov_b64 s[38:39], 0
                                        ; implicit-def: $sgpr40_sgpr41
	s_branch .LBB1109_83
.LBB1109_81:                            ;   in Loop: Header=BB1109_83 Depth=1
	v_mov_b32_e32 v27, s43
	v_add_co_u32_e32 v24, vcc, s42, v20
	v_addc_co_u32_e32 v25, vcc, v21, v27, vcc
	v_add_co_u32_e32 v28, vcc, s42, v22
	v_addc_co_u32_e32 v29, vcc, v23, v27, vcc
	global_load_ubyte v27, v[24:25], off
	global_load_ubyte v30, v[28:29], off
	s_waitcnt vmcnt(1)
	v_cmp_ne_u16_e32 vcc, 0, v27
	s_waitcnt vmcnt(0)
	v_cmp_ne_u16_e64 s[4:5], 0, v30
	s_xor_b64 s[44:45], vcc, s[4:5]
	s_add_u32 s4, s42, 1
	s_addc_u32 s5, s43, 0
	s_andn2_b64 s[40:41], s[40:41], exec
	s_and_b64 s[44:45], s[44:45], exec
	s_or_b64 s[40:41], s[40:41], s[44:45]
.LBB1109_82:                            ;   in Loop: Header=BB1109_83 Depth=1
	s_and_b64 s[44:45], exec, s[40:41]
	s_or_b64 s[38:39], s[44:45], s[38:39]
	v_pk_mov_b32 v[24:25], s[42:43], s[42:43] op_sel:[0,1]
	s_mov_b64 s[42:43], s[4:5]
	s_andn2_b64 exec, exec, s[38:39]
	s_cbranch_execz .LBB1109_85
.LBB1109_83:                            ; =>This Inner Loop Header: Depth=1
	s_or_b64 s[40:41], s[40:41], exec
	s_cmp_eq_u64 s[26:27], s[42:43]
	s_cbranch_scc0 .LBB1109_81
; %bb.84:                               ;   in Loop: Header=BB1109_83 Depth=1
                                        ; implicit-def: $sgpr4_sgpr5
	s_mov_b64 s[42:43], s[26:27]
	s_branch .LBB1109_82
.LBB1109_85:
	s_or_b64 exec, exec, s[38:39]
	v_cmp_gt_i64_e32 vcc, s[26:27], v[24:25]
	s_orn2_b64 s[4:5], vcc, exec
.LBB1109_86:
	s_or_b64 exec, exec, s[10:11]
	s_and_b64 s[10:11], s[4:5], exec
.LBB1109_87:
	s_or_b64 exec, exec, s[14:15]
	v_or_b32_e32 v20, 1, v1
	v_cmp_gt_u32_e32 vcc, s48, v20
	s_mov_b64 s[40:41], -1
	s_and_b64 s[38:39], vcc, s[6:7]
	s_mov_b64 s[4:5], 0
	s_and_saveexec_b64 s[14:15], s[38:39]
	s_cbranch_execz .LBB1109_96
; %bb.88:
	s_waitcnt lgkmcnt(0)
	v_pk_mov_b32 v[22:23], s[16:17], s[16:17] op_sel:[0,1]
	v_mad_u64_u32 v[20:21], s[4:5], v14, s26, v[22:23]
	v_mul_lo_u32 v24, v14, s27
	v_mul_lo_u32 v25, v15, s26
	v_add3_u32 v21, v25, v21, v24
	v_mad_u64_u32 v[22:23], s[4:5], v16, s26, v[22:23]
	v_mul_lo_u32 v24, v16, s27
	v_mul_lo_u32 v25, v17, s26
	v_add3_u32 v23, v25, v23, v24
	global_load_ubyte v24, v[20:21], off
	global_load_ubyte v25, v[22:23], off
	s_waitcnt vmcnt(1)
	v_cmp_ne_u16_e32 vcc, 0, v24
	s_waitcnt vmcnt(0)
	v_cmp_ne_u16_e64 s[4:5], 0, v25
	s_xor_b64 s[4:5], vcc, s[4:5]
	s_xor_b64 s[4:5], s[4:5], -1
	s_and_saveexec_b64 s[38:39], s[4:5]
	s_cbranch_execz .LBB1109_95
; %bb.89:
	s_mov_b64 s[44:45], 1
	s_mov_b64 s[40:41], 0
                                        ; implicit-def: $sgpr42_sgpr43
	s_branch .LBB1109_92
.LBB1109_90:                            ;   in Loop: Header=BB1109_92 Depth=1
	v_mov_b32_e32 v27, s45
	v_add_co_u32_e32 v24, vcc, s44, v20
	v_addc_co_u32_e32 v25, vcc, v21, v27, vcc
	v_add_co_u32_e32 v28, vcc, s44, v22
	v_addc_co_u32_e32 v29, vcc, v23, v27, vcc
	global_load_ubyte v27, v[24:25], off
	global_load_ubyte v30, v[28:29], off
	s_waitcnt vmcnt(1)
	v_cmp_ne_u16_e32 vcc, 0, v27
	s_waitcnt vmcnt(0)
	v_cmp_ne_u16_e64 s[4:5], 0, v30
	s_xor_b64 s[46:47], vcc, s[4:5]
	s_add_u32 s4, s44, 1
	s_addc_u32 s5, s45, 0
	s_andn2_b64 s[42:43], s[42:43], exec
	s_and_b64 s[46:47], s[46:47], exec
	s_or_b64 s[42:43], s[42:43], s[46:47]
.LBB1109_91:                            ;   in Loop: Header=BB1109_92 Depth=1
	s_and_b64 s[46:47], exec, s[42:43]
	s_or_b64 s[40:41], s[46:47], s[40:41]
	v_pk_mov_b32 v[24:25], s[44:45], s[44:45] op_sel:[0,1]
	s_mov_b64 s[44:45], s[4:5]
	s_andn2_b64 exec, exec, s[40:41]
	s_cbranch_execz .LBB1109_94
.LBB1109_92:                            ; =>This Inner Loop Header: Depth=1
	s_or_b64 s[42:43], s[42:43], exec
	s_cmp_eq_u64 s[26:27], s[44:45]
	s_cbranch_scc0 .LBB1109_90
; %bb.93:                               ;   in Loop: Header=BB1109_92 Depth=1
                                        ; implicit-def: $sgpr4_sgpr5
	s_mov_b64 s[44:45], s[26:27]
	s_branch .LBB1109_91
.LBB1109_94:
	s_or_b64 exec, exec, s[40:41]
	v_cmp_gt_i64_e32 vcc, s[26:27], v[24:25]
	s_orn2_b64 s[40:41], vcc, exec
.LBB1109_95:
	s_or_b64 exec, exec, s[38:39]
	s_and_b64 s[4:5], s[40:41], exec
.LBB1109_96:
	s_or_b64 exec, exec, s[14:15]
	s_waitcnt lgkmcnt(0)
	s_barrier
	s_and_saveexec_b64 s[14:15], s[2:3]
	s_cbranch_execz .LBB1109_98
; %bb.97:
	s_waitcnt vmcnt(0)
	v_add_u32_e32 v18, -8, v26
	ds_read_b64 v[18:19], v18
.LBB1109_98:
	s_or_b64 exec, exec, s[14:15]
	v_cndmask_b32_e64 v21, 0, 1, s[8:9]
	v_cndmask_b32_e64 v20, 0, 1, s[10:11]
	;; [unrolled: 1-line block ×3, first 2 shown]
	v_lshlrev_b16_e32 v21, 8, v21
	v_cmp_gt_u32_e32 vcc, s48, v1
	v_lshlrev_b16_e32 v24, 8, v22
	v_or_b32_sdwa v25, v20, v21 dst_sel:WORD_1 dst_unused:UNUSED_PAD src0_sel:DWORD src1_sel:DWORD
	s_mov_b64 s[10:11], -1
	s_and_b64 s[4:5], vcc, s[6:7]
	s_mov_b64 s[8:9], 0
	s_and_saveexec_b64 s[6:7], s[4:5]
	s_cbranch_execz .LBB1109_107
; %bb.99:
	v_pk_mov_b32 v[22:23], s[16:17], s[16:17] op_sel:[0,1]
	s_waitcnt vmcnt(0) lgkmcnt(0)
	v_mad_u64_u32 v[20:21], s[4:5], v18, s26, v[22:23]
	v_mul_lo_u32 v18, v18, s27
	v_mul_lo_u32 v19, v19, s26
	v_add3_u32 v21, v19, v21, v18
	v_mad_u64_u32 v[18:19], s[4:5], v14, s26, v[22:23]
	v_mul_lo_u32 v22, v14, s27
	v_mul_lo_u32 v23, v15, s26
	v_add3_u32 v19, v23, v19, v22
	global_load_ubyte v22, v[20:21], off
	global_load_ubyte v23, v[18:19], off
	s_waitcnt vmcnt(1)
	v_cmp_ne_u16_e32 vcc, 0, v22
	s_waitcnt vmcnt(0)
	v_cmp_ne_u16_e64 s[4:5], 0, v23
	s_xor_b64 s[4:5], vcc, s[4:5]
	s_xor_b64 s[4:5], s[4:5], -1
	s_and_saveexec_b64 s[8:9], s[4:5]
	s_cbranch_execz .LBB1109_106
; %bb.100:
	s_mov_b64 s[38:39], 1
	s_mov_b64 s[10:11], 0
                                        ; implicit-def: $sgpr14_sgpr15
	s_branch .LBB1109_103
.LBB1109_101:                           ;   in Loop: Header=BB1109_103 Depth=1
	v_mov_b32_e32 v27, s39
	v_add_co_u32_e32 v22, vcc, s38, v20
	v_addc_co_u32_e32 v23, vcc, v21, v27, vcc
	v_add_co_u32_e32 v26, vcc, s38, v18
	v_addc_co_u32_e32 v27, vcc, v19, v27, vcc
	global_load_ubyte v28, v[22:23], off
	global_load_ubyte v29, v[26:27], off
	s_waitcnt vmcnt(1)
	v_cmp_ne_u16_e32 vcc, 0, v28
	s_waitcnt vmcnt(0)
	v_cmp_ne_u16_e64 s[4:5], 0, v29
	s_xor_b64 s[40:41], vcc, s[4:5]
	s_add_u32 s4, s38, 1
	s_addc_u32 s5, s39, 0
	s_andn2_b64 s[14:15], s[14:15], exec
	s_and_b64 s[40:41], s[40:41], exec
	s_or_b64 s[14:15], s[14:15], s[40:41]
.LBB1109_102:                           ;   in Loop: Header=BB1109_103 Depth=1
	s_and_b64 s[40:41], exec, s[14:15]
	s_or_b64 s[10:11], s[40:41], s[10:11]
	v_pk_mov_b32 v[22:23], s[38:39], s[38:39] op_sel:[0,1]
	s_mov_b64 s[38:39], s[4:5]
	s_andn2_b64 exec, exec, s[10:11]
	s_cbranch_execz .LBB1109_105
.LBB1109_103:                           ; =>This Inner Loop Header: Depth=1
	s_or_b64 s[14:15], s[14:15], exec
	s_cmp_eq_u64 s[26:27], s[38:39]
	s_cbranch_scc0 .LBB1109_101
; %bb.104:                              ;   in Loop: Header=BB1109_103 Depth=1
                                        ; implicit-def: $sgpr4_sgpr5
	s_mov_b64 s[38:39], s[26:27]
	s_branch .LBB1109_102
.LBB1109_105:
	s_or_b64 exec, exec, s[10:11]
	v_cmp_gt_i64_e32 vcc, s[26:27], v[22:23]
	s_orn2_b64 s[10:11], vcc, exec
.LBB1109_106:
	s_or_b64 exec, exec, s[8:9]
	s_and_b64 s[8:9], s[10:11], exec
.LBB1109_107:
	s_or_b64 exec, exec, s[6:7]
	v_or_b32_e32 v28, v24, v25
.LBB1109_108:
	s_mov_b64 s[14:15], -1
	s_cbranch_execnz .LBB1109_187
.LBB1109_109:
	v_lshlrev_b32_e32 v24, 3, v0
	v_cmp_lt_i64_e64 s[10:11], s[26:27], 1
	s_mov_b64 s[8:9], 0
	v_cmp_gt_i64_e64 s[6:7], s[26:27], 0
	s_and_b64 vcc, exec, s[34:35]
	ds_write_b64 v24, v[12:13]
	s_cbranch_vccz .LBB1109_117
; %bb.110:
	s_waitcnt vmcnt(0) lgkmcnt(1)
	v_cndmask_b32_e64 v18, 0, 1, s[6:7]
	v_cmp_ne_u32_e64 s[4:5], 1, v18
	s_andn2_b64 vcc, exec, s[6:7]
	v_mov_b32_e32 v25, 0
	s_cbranch_vccnz .LBB1109_127
; %bb.111:
	v_pk_mov_b32 v[20:21], s[16:17], s[16:17] op_sel:[0,1]
	v_mad_u64_u32 v[18:19], s[6:7], v10, s26, v[20:21]
	v_mul_lo_u32 v22, v10, s27
	v_mul_lo_u32 v23, v11, s26
	v_add3_u32 v19, v23, v19, v22
	v_mad_u64_u32 v[20:21], s[6:7], v12, s26, v[20:21]
	v_mul_lo_u32 v22, v12, s27
	v_mul_lo_u32 v23, v13, s26
	v_add3_u32 v21, v23, v21, v22
	global_load_ubyte v22, v[18:19], off
	global_load_ubyte v23, v[20:21], off
	s_mov_b64 s[38:39], -1
	s_waitcnt vmcnt(1)
	v_cmp_ne_u16_e32 vcc, 0, v22
	s_waitcnt vmcnt(0)
	v_cmp_ne_u16_e64 s[6:7], 0, v23
	s_xor_b64 s[6:7], vcc, s[6:7]
	s_xor_b64 s[6:7], s[6:7], -1
	s_and_saveexec_b64 s[40:41], s[6:7]
	s_cbranch_execz .LBB1109_119
; %bb.112:
	s_mov_b64 s[44:45], 1
	s_mov_b64 s[38:39], 0
                                        ; implicit-def: $sgpr42_sgpr43
	s_branch .LBB1109_115
.LBB1109_113:                           ;   in Loop: Header=BB1109_115 Depth=1
	v_mov_b32_e32 v25, s45
	v_add_co_u32_e64 v22, s[6:7], s44, v18
	v_addc_co_u32_e64 v23, s[6:7], v19, v25, s[6:7]
	v_add_co_u32_e64 v26, s[6:7], s44, v20
	v_addc_co_u32_e64 v27, s[6:7], v21, v25, s[6:7]
	global_load_ubyte v25, v[22:23], off
	global_load_ubyte v28, v[26:27], off
	s_waitcnt vmcnt(1)
	v_cmp_ne_u16_e64 s[6:7], 0, v25
	s_waitcnt vmcnt(0)
	v_cmp_ne_u16_e64 s[8:9], 0, v28
	s_xor_b64 s[8:9], s[6:7], s[8:9]
	s_add_u32 s6, s44, 1
	s_addc_u32 s7, s45, 0
	s_andn2_b64 s[42:43], s[42:43], exec
	s_and_b64 s[8:9], s[8:9], exec
	s_or_b64 s[42:43], s[42:43], s[8:9]
.LBB1109_114:                           ;   in Loop: Header=BB1109_115 Depth=1
	s_and_b64 s[8:9], exec, s[42:43]
	s_or_b64 s[38:39], s[8:9], s[38:39]
	v_pk_mov_b32 v[22:23], s[44:45], s[44:45] op_sel:[0,1]
	s_mov_b64 s[44:45], s[6:7]
	s_andn2_b64 exec, exec, s[38:39]
	s_cbranch_execz .LBB1109_118
.LBB1109_115:                           ; =>This Inner Loop Header: Depth=1
	s_or_b64 s[42:43], s[42:43], exec
	s_cmp_eq_u64 s[26:27], s[44:45]
	s_cbranch_scc0 .LBB1109_113
; %bb.116:                              ;   in Loop: Header=BB1109_115 Depth=1
                                        ; implicit-def: $sgpr6_sgpr7
	s_mov_b64 s[44:45], s[26:27]
	s_branch .LBB1109_114
.LBB1109_117:
                                        ; implicit-def: $sgpr8_sgpr9
                                        ; implicit-def: $vgpr28
	s_cbranch_execnz .LBB1109_148
	s_branch .LBB1109_187
.LBB1109_118:
	s_or_b64 exec, exec, s[38:39]
	v_cmp_gt_i64_e64 s[6:7], s[26:27], v[22:23]
	s_orn2_b64 s[38:39], s[6:7], exec
.LBB1109_119:
	s_or_b64 exec, exec, s[40:41]
	v_pk_mov_b32 v[20:21], s[16:17], s[16:17] op_sel:[0,1]
	v_mad_u64_u32 v[20:21], s[6:7], v16, s26, v[20:21]
	v_mul_lo_u32 v22, v16, s27
	v_mul_lo_u32 v23, v17, s26
	v_add3_u32 v21, v23, v21, v22
	global_load_ubyte v22, v[20:21], off
	s_mov_b64 s[8:9], -1
	s_waitcnt vmcnt(0)
	v_cmp_ne_u16_e64 s[6:7], 0, v22
	s_xor_b64 s[6:7], vcc, s[6:7]
	s_xor_b64 s[6:7], s[6:7], -1
	s_and_saveexec_b64 s[40:41], s[6:7]
	s_cbranch_execz .LBB1109_126
; %bb.120:
	s_mov_b64 s[44:45], 1
	s_mov_b64 s[8:9], 0
                                        ; implicit-def: $sgpr42_sgpr43
	s_branch .LBB1109_123
.LBB1109_121:                           ;   in Loop: Header=BB1109_123 Depth=1
	v_mov_b32_e32 v25, s45
	v_add_co_u32_e32 v22, vcc, s44, v20
	v_addc_co_u32_e32 v23, vcc, v21, v25, vcc
	v_add_co_u32_e32 v26, vcc, s44, v18
	v_addc_co_u32_e32 v27, vcc, v19, v25, vcc
	global_load_ubyte v25, v[22:23], off
	global_load_ubyte v28, v[26:27], off
	s_waitcnt vmcnt(1)
	v_cmp_ne_u16_e32 vcc, 0, v25
	s_waitcnt vmcnt(0)
	v_cmp_ne_u16_e64 s[6:7], 0, v28
	s_xor_b64 s[46:47], vcc, s[6:7]
	s_add_u32 s6, s44, 1
	s_addc_u32 s7, s45, 0
	s_andn2_b64 s[42:43], s[42:43], exec
	s_and_b64 s[46:47], s[46:47], exec
	s_or_b64 s[42:43], s[42:43], s[46:47]
.LBB1109_122:                           ;   in Loop: Header=BB1109_123 Depth=1
	s_and_b64 s[46:47], exec, s[42:43]
	s_or_b64 s[8:9], s[46:47], s[8:9]
	v_pk_mov_b32 v[22:23], s[44:45], s[44:45] op_sel:[0,1]
	s_mov_b64 s[44:45], s[6:7]
	s_andn2_b64 exec, exec, s[8:9]
	s_cbranch_execz .LBB1109_125
.LBB1109_123:                           ; =>This Inner Loop Header: Depth=1
	s_or_b64 s[42:43], s[42:43], exec
	s_cmp_eq_u64 s[26:27], s[44:45]
	s_cbranch_scc0 .LBB1109_121
; %bb.124:                              ;   in Loop: Header=BB1109_123 Depth=1
                                        ; implicit-def: $sgpr6_sgpr7
	s_mov_b64 s[44:45], s[26:27]
	s_branch .LBB1109_122
.LBB1109_125:
	s_or_b64 exec, exec, s[8:9]
	v_cmp_gt_i64_e32 vcc, s[26:27], v[22:23]
	s_orn2_b64 s[8:9], vcc, exec
.LBB1109_126:
	s_or_b64 exec, exec, s[40:41]
	v_cndmask_b32_e64 v25, 0, 1, s[38:39]
.LBB1109_127:
	s_and_b64 vcc, exec, s[4:5]
	s_mov_b64 s[6:7], 0
	s_cbranch_vccnz .LBB1109_136
; %bb.128:
	v_pk_mov_b32 v[20:21], s[16:17], s[16:17] op_sel:[0,1]
	v_mad_u64_u32 v[18:19], s[6:7], v14, s26, v[20:21]
	v_mul_lo_u32 v22, v14, s27
	v_mul_lo_u32 v23, v15, s26
	v_add3_u32 v19, v23, v19, v22
	v_mad_u64_u32 v[20:21], s[6:7], v16, s26, v[20:21]
	v_mul_lo_u32 v22, v16, s27
	v_mul_lo_u32 v23, v17, s26
	v_add3_u32 v21, v23, v21, v22
	global_load_ubyte v22, v[18:19], off
	global_load_ubyte v23, v[20:21], off
	s_waitcnt vmcnt(1)
	v_cmp_ne_u16_e32 vcc, 0, v22
	s_waitcnt vmcnt(0)
	v_cmp_ne_u16_e64 s[6:7], 0, v23
	s_xor_b64 s[38:39], vcc, s[6:7]
	s_mov_b64 s[6:7], -1
	s_xor_b64 s[40:41], s[38:39], -1
	s_and_saveexec_b64 s[38:39], s[40:41]
	s_cbranch_execz .LBB1109_135
; %bb.129:
	s_mov_b64 s[44:45], 1
	s_mov_b64 s[40:41], 0
                                        ; implicit-def: $sgpr42_sgpr43
	s_branch .LBB1109_132
.LBB1109_130:                           ;   in Loop: Header=BB1109_132 Depth=1
	v_mov_b32_e32 v27, s45
	v_add_co_u32_e32 v22, vcc, s44, v18
	v_addc_co_u32_e32 v23, vcc, v19, v27, vcc
	v_add_co_u32_e32 v26, vcc, s44, v20
	v_addc_co_u32_e32 v27, vcc, v21, v27, vcc
	global_load_ubyte v28, v[22:23], off
	global_load_ubyte v29, v[26:27], off
	s_waitcnt vmcnt(1)
	v_cmp_ne_u16_e32 vcc, 0, v28
	s_waitcnt vmcnt(0)
	v_cmp_ne_u16_e64 s[6:7], 0, v29
	s_xor_b64 s[46:47], vcc, s[6:7]
	s_add_u32 s6, s44, 1
	s_addc_u32 s7, s45, 0
	s_andn2_b64 s[42:43], s[42:43], exec
	s_and_b64 s[46:47], s[46:47], exec
	s_or_b64 s[42:43], s[42:43], s[46:47]
.LBB1109_131:                           ;   in Loop: Header=BB1109_132 Depth=1
	s_and_b64 s[46:47], exec, s[42:43]
	s_or_b64 s[40:41], s[46:47], s[40:41]
	v_pk_mov_b32 v[22:23], s[44:45], s[44:45] op_sel:[0,1]
	s_mov_b64 s[44:45], s[6:7]
	s_andn2_b64 exec, exec, s[40:41]
	s_cbranch_execz .LBB1109_134
.LBB1109_132:                           ; =>This Inner Loop Header: Depth=1
	s_or_b64 s[42:43], s[42:43], exec
	s_cmp_eq_u64 s[26:27], s[44:45]
	s_cbranch_scc0 .LBB1109_130
; %bb.133:                              ;   in Loop: Header=BB1109_132 Depth=1
                                        ; implicit-def: $sgpr6_sgpr7
	s_mov_b64 s[44:45], s[26:27]
	s_branch .LBB1109_131
.LBB1109_134:
	s_or_b64 exec, exec, s[40:41]
	v_cmp_gt_i64_e32 vcc, s[26:27], v[22:23]
	s_orn2_b64 s[6:7], vcc, exec
.LBB1109_135:
	s_or_b64 exec, exec, s[38:39]
.LBB1109_136:
	v_cndmask_b32_e64 v19, 0, 1, s[6:7]
	v_cndmask_b32_e64 v18, 0, 1, s[8:9]
	v_lshlrev_b16_e32 v19, 8, v19
	v_lshlrev_b16_e32 v20, 8, v25
	v_or_b32_e32 v19, 1, v19
	v_or_b32_sdwa v18, v18, v20 dst_sel:WORD_1 dst_unused:UNUSED_PAD src0_sel:DWORD src1_sel:DWORD
	v_or_b32_sdwa v28, v19, v18 dst_sel:DWORD dst_unused:UNUSED_PAD src0_sel:WORD_0 src1_sel:DWORD
	s_waitcnt lgkmcnt(0)
	s_barrier
	s_waitcnt lgkmcnt(0)
                                        ; implicit-def: $sgpr8_sgpr9
	s_and_saveexec_b64 s[6:7], s[2:3]
	s_xor_b64 s[6:7], exec, s[6:7]
	s_cbranch_execz .LBB1109_147
; %bb.137:
	s_and_b64 vcc, exec, s[4:5]
	s_mov_b64 s[4:5], 0
	s_cbranch_vccnz .LBB1109_146
; %bb.138:
	v_add_u32_e32 v18, -8, v24
	ds_read_b64 v[18:19], v18
	v_pk_mov_b32 v[20:21], s[16:17], s[16:17] op_sel:[0,1]
	s_waitcnt lgkmcnt(0)
	v_mul_lo_u32 v22, v18, s27
	v_mul_lo_u32 v23, v19, s26
	v_mad_u64_u32 v[18:19], s[4:5], v18, s26, v[20:21]
	v_add3_u32 v19, v23, v19, v22
	v_mad_u64_u32 v[20:21], s[4:5], v14, s26, v[20:21]
	v_mul_lo_u32 v22, v14, s27
	v_mul_lo_u32 v23, v15, s26
	v_add3_u32 v21, v23, v21, v22
	global_load_ubyte v22, v[18:19], off
	global_load_ubyte v23, v[20:21], off
	s_waitcnt vmcnt(1)
	v_cmp_ne_u16_e32 vcc, 0, v22
	s_waitcnt vmcnt(0)
	v_cmp_ne_u16_e64 s[4:5], 0, v23
	s_xor_b64 s[8:9], vcc, s[4:5]
	s_mov_b64 s[4:5], -1
	s_xor_b64 s[38:39], s[8:9], -1
	s_and_saveexec_b64 s[8:9], s[38:39]
	s_cbranch_execz .LBB1109_145
; %bb.139:
	s_mov_b64 s[42:43], 1
	s_mov_b64 s[38:39], 0
                                        ; implicit-def: $sgpr40_sgpr41
	s_branch .LBB1109_142
.LBB1109_140:                           ;   in Loop: Header=BB1109_142 Depth=1
	v_mov_b32_e32 v25, s43
	v_add_co_u32_e32 v22, vcc, s42, v18
	v_addc_co_u32_e32 v23, vcc, v19, v25, vcc
	v_add_co_u32_e32 v26, vcc, s42, v20
	v_addc_co_u32_e32 v27, vcc, v21, v25, vcc
	global_load_ubyte v25, v[22:23], off
	global_load_ubyte v29, v[26:27], off
	s_waitcnt vmcnt(1)
	v_cmp_ne_u16_e32 vcc, 0, v25
	s_waitcnt vmcnt(0)
	v_cmp_ne_u16_e64 s[4:5], 0, v29
	s_xor_b64 s[44:45], vcc, s[4:5]
	s_add_u32 s4, s42, 1
	s_addc_u32 s5, s43, 0
	s_andn2_b64 s[40:41], s[40:41], exec
	s_and_b64 s[44:45], s[44:45], exec
	s_or_b64 s[40:41], s[40:41], s[44:45]
.LBB1109_141:                           ;   in Loop: Header=BB1109_142 Depth=1
	s_and_b64 s[44:45], exec, s[40:41]
	s_or_b64 s[38:39], s[44:45], s[38:39]
	v_pk_mov_b32 v[22:23], s[42:43], s[42:43] op_sel:[0,1]
	s_mov_b64 s[42:43], s[4:5]
	s_andn2_b64 exec, exec, s[38:39]
	s_cbranch_execz .LBB1109_144
.LBB1109_142:                           ; =>This Inner Loop Header: Depth=1
	s_or_b64 s[40:41], s[40:41], exec
	s_cmp_eq_u64 s[26:27], s[42:43]
	s_cbranch_scc0 .LBB1109_140
; %bb.143:                              ;   in Loop: Header=BB1109_142 Depth=1
                                        ; implicit-def: $sgpr4_sgpr5
	s_mov_b64 s[42:43], s[26:27]
	s_branch .LBB1109_141
.LBB1109_144:
	s_or_b64 exec, exec, s[38:39]
	v_cmp_gt_i64_e32 vcc, s[26:27], v[22:23]
	s_orn2_b64 s[4:5], vcc, exec
.LBB1109_145:
	s_or_b64 exec, exec, s[8:9]
.LBB1109_146:
	s_and_b64 s[8:9], s[4:5], exec
	s_or_b64 s[14:15], s[14:15], exec
.LBB1109_147:
	s_or_b64 exec, exec, s[6:7]
	s_branch .LBB1109_187
.LBB1109_148:
	s_waitcnt vmcnt(0) lgkmcnt(1)
	v_or_b32_e32 v18, 3, v1
	v_cmp_gt_u32_e32 vcc, s48, v18
	s_xor_b64 s[6:7], s[10:11], -1
	s_mov_b64 s[40:41], -1
	s_and_b64 s[4:5], vcc, s[6:7]
	s_mov_b64 s[8:9], 0
	v_mul_lo_u32 v27, v10, s27
	v_mul_lo_u32 v28, v11, s26
	s_mov_b64 s[10:11], 0
	s_and_saveexec_b64 s[38:39], s[4:5]
	s_cbranch_execz .LBB1109_157
; %bb.149:
	v_pk_mov_b32 v[20:21], s[16:17], s[16:17] op_sel:[0,1]
	v_mad_u64_u32 v[18:19], s[4:5], v10, s26, v[20:21]
	v_add3_u32 v19, v28, v19, v27
	v_mad_u64_u32 v[20:21], s[4:5], v12, s26, v[20:21]
	v_mul_lo_u32 v22, v12, s27
	v_mul_lo_u32 v23, v13, s26
	v_add3_u32 v21, v23, v21, v22
	global_load_ubyte v22, v[18:19], off
	global_load_ubyte v23, v[20:21], off
	s_waitcnt vmcnt(1)
	v_cmp_ne_u16_e32 vcc, 0, v22
	s_waitcnt vmcnt(0)
	v_cmp_ne_u16_e64 s[4:5], 0, v23
	s_xor_b64 s[4:5], vcc, s[4:5]
	s_xor_b64 s[4:5], s[4:5], -1
	s_and_saveexec_b64 s[10:11], s[4:5]
	s_cbranch_execz .LBB1109_156
; %bb.150:
	s_mov_b64 s[44:45], 1
	s_mov_b64 s[40:41], 0
                                        ; implicit-def: $sgpr42_sgpr43
	s_branch .LBB1109_153
.LBB1109_151:                           ;   in Loop: Header=BB1109_153 Depth=1
	v_mov_b32_e32 v25, s45
	v_add_co_u32_e32 v22, vcc, s44, v18
	v_addc_co_u32_e32 v23, vcc, v19, v25, vcc
	v_add_co_u32_e32 v30, vcc, s44, v20
	v_addc_co_u32_e32 v31, vcc, v21, v25, vcc
	global_load_ubyte v25, v[22:23], off
	global_load_ubyte v26, v[30:31], off
	s_waitcnt vmcnt(1)
	v_cmp_ne_u16_e32 vcc, 0, v25
	s_waitcnt vmcnt(0)
	v_cmp_ne_u16_e64 s[4:5], 0, v26
	s_xor_b64 s[46:47], vcc, s[4:5]
	s_add_u32 s4, s44, 1
	s_addc_u32 s5, s45, 0
	s_andn2_b64 s[42:43], s[42:43], exec
	s_and_b64 s[46:47], s[46:47], exec
	s_or_b64 s[42:43], s[42:43], s[46:47]
.LBB1109_152:                           ;   in Loop: Header=BB1109_153 Depth=1
	s_and_b64 s[46:47], exec, s[42:43]
	s_or_b64 s[40:41], s[46:47], s[40:41]
	v_pk_mov_b32 v[22:23], s[44:45], s[44:45] op_sel:[0,1]
	s_mov_b64 s[44:45], s[4:5]
	s_andn2_b64 exec, exec, s[40:41]
	s_cbranch_execz .LBB1109_155
.LBB1109_153:                           ; =>This Inner Loop Header: Depth=1
	s_or_b64 s[42:43], s[42:43], exec
	s_cmp_eq_u64 s[26:27], s[44:45]
	s_cbranch_scc0 .LBB1109_151
; %bb.154:                              ;   in Loop: Header=BB1109_153 Depth=1
                                        ; implicit-def: $sgpr4_sgpr5
	s_mov_b64 s[44:45], s[26:27]
	s_branch .LBB1109_152
.LBB1109_155:
	s_or_b64 exec, exec, s[40:41]
	v_cmp_gt_i64_e32 vcc, s[26:27], v[22:23]
	s_orn2_b64 s[40:41], vcc, exec
.LBB1109_156:
	s_or_b64 exec, exec, s[10:11]
	s_and_b64 s[10:11], s[40:41], exec
.LBB1109_157:
	s_or_b64 exec, exec, s[38:39]
	v_or_b32_e32 v18, 2, v1
	v_cmp_gt_u32_e32 vcc, s48, v18
	s_and_b64 s[4:5], vcc, s[6:7]
	v_mul_lo_u32 v25, v16, s27
	v_mul_lo_u32 v26, v17, s26
	s_and_saveexec_b64 s[38:39], s[4:5]
	s_cbranch_execz .LBB1109_166
; %bb.158:
	v_pk_mov_b32 v[20:21], s[16:17], s[16:17] op_sel:[0,1]
	v_mad_u64_u32 v[18:19], s[4:5], v16, s26, v[20:21]
	v_add3_u32 v19, v26, v19, v25
	v_mad_u64_u32 v[20:21], s[4:5], v10, s26, v[20:21]
	v_add3_u32 v21, v28, v21, v27
	global_load_ubyte v22, v[18:19], off
	global_load_ubyte v23, v[20:21], off
	s_waitcnt vmcnt(1)
	v_cmp_ne_u16_e32 vcc, 0, v22
	s_waitcnt vmcnt(0)
	v_cmp_ne_u16_e64 s[4:5], 0, v23
	s_xor_b64 s[8:9], vcc, s[4:5]
	s_mov_b64 s[4:5], -1
	s_xor_b64 s[40:41], s[8:9], -1
	s_and_saveexec_b64 s[8:9], s[40:41]
	s_cbranch_execz .LBB1109_165
; %bb.159:
	s_mov_b64 s[44:45], 1
	s_mov_b64 s[40:41], 0
                                        ; implicit-def: $sgpr42_sgpr43
	s_branch .LBB1109_162
.LBB1109_160:                           ;   in Loop: Header=BB1109_162 Depth=1
	v_mov_b32_e32 v27, s45
	v_add_co_u32_e32 v22, vcc, s44, v18
	v_addc_co_u32_e32 v23, vcc, v19, v27, vcc
	v_add_co_u32_e32 v28, vcc, s44, v20
	v_addc_co_u32_e32 v29, vcc, v21, v27, vcc
	global_load_ubyte v27, v[22:23], off
	global_load_ubyte v30, v[28:29], off
	s_waitcnt vmcnt(1)
	v_cmp_ne_u16_e32 vcc, 0, v27
	s_waitcnt vmcnt(0)
	v_cmp_ne_u16_e64 s[4:5], 0, v30
	s_xor_b64 s[46:47], vcc, s[4:5]
	s_add_u32 s4, s44, 1
	s_addc_u32 s5, s45, 0
	s_andn2_b64 s[42:43], s[42:43], exec
	s_and_b64 s[46:47], s[46:47], exec
	s_or_b64 s[42:43], s[42:43], s[46:47]
.LBB1109_161:                           ;   in Loop: Header=BB1109_162 Depth=1
	s_and_b64 s[46:47], exec, s[42:43]
	s_or_b64 s[40:41], s[46:47], s[40:41]
	v_pk_mov_b32 v[22:23], s[44:45], s[44:45] op_sel:[0,1]
	s_mov_b64 s[44:45], s[4:5]
	s_andn2_b64 exec, exec, s[40:41]
	s_cbranch_execz .LBB1109_164
.LBB1109_162:                           ; =>This Inner Loop Header: Depth=1
	s_or_b64 s[42:43], s[42:43], exec
	s_cmp_eq_u64 s[26:27], s[44:45]
	s_cbranch_scc0 .LBB1109_160
; %bb.163:                              ;   in Loop: Header=BB1109_162 Depth=1
                                        ; implicit-def: $sgpr4_sgpr5
	s_mov_b64 s[44:45], s[26:27]
	s_branch .LBB1109_161
.LBB1109_164:
	s_or_b64 exec, exec, s[40:41]
	v_cmp_gt_i64_e32 vcc, s[26:27], v[22:23]
	s_orn2_b64 s[4:5], vcc, exec
.LBB1109_165:
	s_or_b64 exec, exec, s[8:9]
	s_and_b64 s[8:9], s[4:5], exec
.LBB1109_166:
	s_or_b64 exec, exec, s[38:39]
	v_or_b32_e32 v18, 1, v1
	v_cmp_gt_u32_e32 vcc, s48, v18
	s_mov_b64 s[42:43], -1
	s_and_b64 s[40:41], vcc, s[6:7]
	s_mov_b64 s[4:5], 0
	s_and_saveexec_b64 s[38:39], s[40:41]
	s_cbranch_execz .LBB1109_175
; %bb.167:
	v_pk_mov_b32 v[20:21], s[16:17], s[16:17] op_sel:[0,1]
	v_mad_u64_u32 v[18:19], s[4:5], v14, s26, v[20:21]
	v_mul_lo_u32 v22, v14, s27
	v_mul_lo_u32 v23, v15, s26
	v_add3_u32 v19, v23, v19, v22
	v_mad_u64_u32 v[20:21], s[4:5], v16, s26, v[20:21]
	v_add3_u32 v21, v26, v21, v25
	global_load_ubyte v22, v[18:19], off
	global_load_ubyte v23, v[20:21], off
	s_waitcnt vmcnt(1)
	v_cmp_ne_u16_e32 vcc, 0, v22
	s_waitcnt vmcnt(0)
	v_cmp_ne_u16_e64 s[4:5], 0, v23
	s_xor_b64 s[4:5], vcc, s[4:5]
	s_xor_b64 s[4:5], s[4:5], -1
	s_and_saveexec_b64 s[40:41], s[4:5]
	s_cbranch_execz .LBB1109_174
; %bb.168:
	s_mov_b64 s[46:47], 1
	s_mov_b64 s[42:43], 0
                                        ; implicit-def: $sgpr44_sgpr45
	s_branch .LBB1109_171
.LBB1109_169:                           ;   in Loop: Header=BB1109_171 Depth=1
	v_mov_b32_e32 v25, s47
	v_add_co_u32_e32 v22, vcc, s46, v18
	v_addc_co_u32_e32 v23, vcc, v19, v25, vcc
	v_add_co_u32_e32 v26, vcc, s46, v20
	v_addc_co_u32_e32 v27, vcc, v21, v25, vcc
	global_load_ubyte v25, v[22:23], off
	global_load_ubyte v28, v[26:27], off
	s_waitcnt vmcnt(1)
	v_cmp_ne_u16_e32 vcc, 0, v25
	s_waitcnt vmcnt(0)
	v_cmp_ne_u16_e64 s[4:5], 0, v28
	s_xor_b64 s[50:51], vcc, s[4:5]
	s_add_u32 s4, s46, 1
	s_addc_u32 s5, s47, 0
	s_andn2_b64 s[44:45], s[44:45], exec
	s_and_b64 s[50:51], s[50:51], exec
	s_or_b64 s[44:45], s[44:45], s[50:51]
.LBB1109_170:                           ;   in Loop: Header=BB1109_171 Depth=1
	s_and_b64 s[50:51], exec, s[44:45]
	s_or_b64 s[42:43], s[50:51], s[42:43]
	v_pk_mov_b32 v[22:23], s[46:47], s[46:47] op_sel:[0,1]
	s_mov_b64 s[46:47], s[4:5]
	s_andn2_b64 exec, exec, s[42:43]
	s_cbranch_execz .LBB1109_173
.LBB1109_171:                           ; =>This Inner Loop Header: Depth=1
	s_or_b64 s[44:45], s[44:45], exec
	s_cmp_eq_u64 s[26:27], s[46:47]
	s_cbranch_scc0 .LBB1109_169
; %bb.172:                              ;   in Loop: Header=BB1109_171 Depth=1
                                        ; implicit-def: $sgpr4_sgpr5
	s_mov_b64 s[46:47], s[26:27]
	s_branch .LBB1109_170
.LBB1109_173:
	s_or_b64 exec, exec, s[42:43]
	v_cmp_gt_i64_e32 vcc, s[26:27], v[22:23]
	s_orn2_b64 s[42:43], vcc, exec
.LBB1109_174:
	s_or_b64 exec, exec, s[40:41]
	s_and_b64 s[4:5], s[42:43], exec
.LBB1109_175:
	s_or_b64 exec, exec, s[38:39]
	v_cndmask_b32_e64 v19, 0, 1, s[10:11]
	v_cndmask_b32_e64 v20, 0, 1, s[4:5]
	;; [unrolled: 1-line block ×3, first 2 shown]
	v_lshlrev_b16_e32 v20, 8, v20
	v_lshlrev_b16_e32 v19, 8, v19
	v_or_b32_e32 v20, 1, v20
	v_or_b32_sdwa v18, v18, v19 dst_sel:WORD_1 dst_unused:UNUSED_PAD src0_sel:DWORD src1_sel:DWORD
	v_or_b32_sdwa v28, v20, v18 dst_sel:DWORD dst_unused:UNUSED_PAD src0_sel:WORD_0 src1_sel:DWORD
	s_waitcnt lgkmcnt(0)
	s_barrier
	s_waitcnt lgkmcnt(0)
                                        ; implicit-def: $sgpr8_sgpr9
	s_and_saveexec_b64 s[4:5], s[2:3]
	s_cbranch_execz .LBB1109_186
; %bb.176:
	v_cmp_gt_u32_e32 vcc, s48, v1
	s_mov_b64 s[10:11], -1
	s_and_b64 s[8:9], vcc, s[6:7]
	s_mov_b64 s[2:3], 0
	s_and_saveexec_b64 s[6:7], s[8:9]
	s_cbranch_execz .LBB1109_185
; %bb.177:
	v_add_u32_e32 v18, -8, v24
	ds_read_b64 v[18:19], v18
	v_pk_mov_b32 v[20:21], s[16:17], s[16:17] op_sel:[0,1]
	s_waitcnt lgkmcnt(0)
	v_mul_lo_u32 v22, v18, s27
	v_mul_lo_u32 v23, v19, s26
	v_mad_u64_u32 v[18:19], s[2:3], v18, s26, v[20:21]
	v_add3_u32 v19, v23, v19, v22
	v_mad_u64_u32 v[20:21], s[2:3], v14, s26, v[20:21]
	v_mul_lo_u32 v22, v14, s27
	v_mul_lo_u32 v23, v15, s26
	v_add3_u32 v21, v23, v21, v22
	global_load_ubyte v22, v[18:19], off
	global_load_ubyte v23, v[20:21], off
	s_waitcnt vmcnt(1)
	v_cmp_ne_u16_e32 vcc, 0, v22
	s_waitcnt vmcnt(0)
	v_cmp_ne_u16_e64 s[2:3], 0, v23
	s_xor_b64 s[2:3], vcc, s[2:3]
	s_xor_b64 s[2:3], s[2:3], -1
	s_and_saveexec_b64 s[8:9], s[2:3]
	s_cbranch_execz .LBB1109_184
; %bb.178:
	s_mov_b64 s[38:39], 1
	s_mov_b64 s[10:11], 0
                                        ; implicit-def: $sgpr16_sgpr17
	s_branch .LBB1109_181
.LBB1109_179:                           ;   in Loop: Header=BB1109_181 Depth=1
	v_mov_b32_e32 v25, s39
	v_add_co_u32_e32 v22, vcc, s38, v18
	v_addc_co_u32_e32 v23, vcc, v19, v25, vcc
	v_add_co_u32_e32 v24, vcc, s38, v20
	v_addc_co_u32_e32 v25, vcc, v21, v25, vcc
	global_load_ubyte v26, v[22:23], off
	global_load_ubyte v27, v[24:25], off
	s_waitcnt vmcnt(1)
	v_cmp_ne_u16_e32 vcc, 0, v26
	s_waitcnt vmcnt(0)
	v_cmp_ne_u16_e64 s[2:3], 0, v27
	s_xor_b64 s[40:41], vcc, s[2:3]
	s_add_u32 s2, s38, 1
	s_addc_u32 s3, s39, 0
	s_andn2_b64 s[16:17], s[16:17], exec
	s_and_b64 s[40:41], s[40:41], exec
	s_or_b64 s[16:17], s[16:17], s[40:41]
.LBB1109_180:                           ;   in Loop: Header=BB1109_181 Depth=1
	s_and_b64 s[40:41], exec, s[16:17]
	s_or_b64 s[10:11], s[40:41], s[10:11]
	v_pk_mov_b32 v[22:23], s[38:39], s[38:39] op_sel:[0,1]
	s_mov_b64 s[38:39], s[2:3]
	s_andn2_b64 exec, exec, s[10:11]
	s_cbranch_execz .LBB1109_183
.LBB1109_181:                           ; =>This Inner Loop Header: Depth=1
	s_or_b64 s[16:17], s[16:17], exec
	s_cmp_eq_u64 s[26:27], s[38:39]
	s_cbranch_scc0 .LBB1109_179
; %bb.182:                              ;   in Loop: Header=BB1109_181 Depth=1
                                        ; implicit-def: $sgpr2_sgpr3
	s_mov_b64 s[38:39], s[26:27]
	s_branch .LBB1109_180
.LBB1109_183:
	s_or_b64 exec, exec, s[10:11]
	v_cmp_gt_i64_e32 vcc, s[26:27], v[22:23]
	s_orn2_b64 s[10:11], vcc, exec
.LBB1109_184:
	s_or_b64 exec, exec, s[8:9]
	s_and_b64 s[2:3], s[10:11], exec
.LBB1109_185:
	s_or_b64 exec, exec, s[6:7]
	s_and_b64 s[8:9], s[2:3], exec
	s_or_b64 s[14:15], s[14:15], exec
.LBB1109_186:
	s_or_b64 exec, exec, s[4:5]
.LBB1109_187:
	s_and_saveexec_b64 s[2:3], s[14:15]
	s_cbranch_execz .LBB1109_189
; %bb.188:
	s_waitcnt vmcnt(0) lgkmcnt(0)
	v_and_b32_e32 v18, 0xffffff00, v28
	v_cndmask_b32_e64 v19, 0, 1, s[8:9]
	v_or_b32_e32 v18, v19, v18
	v_and_b32_e32 v18, 0xffff, v18
	s_mov_b32 s4, 0xffff0000
	v_and_or_b32 v28, v28, s4, v18
.LBB1109_189:
	s_or_b64 exec, exec, s[2:3]
	s_andn2_b64 vcc, exec, s[12:13]
	s_cbranch_vccnz .LBB1109_191
; %bb.190:
	v_cmp_gt_u32_e32 vcc, s48, v1
	s_waitcnt vmcnt(0) lgkmcnt(0)
	v_cndmask_b32_e32 v18, 0, v28, vcc
	v_or_b32_e32 v19, 1, v1
	v_and_b32_e32 v18, 0xff, v18
	v_cmp_gt_u32_e32 vcc, s48, v19
	v_cndmask_b32_e32 v18, v18, v28, vcc
	v_or_b32_e32 v19, 2, v1
	v_and_b32_e32 v18, 0xffff, v18
	v_cmp_gt_u32_e32 vcc, s48, v19
	;; [unrolled: 4-line block ×3, first 2 shown]
	v_cndmask_b32_e32 v28, v18, v28, vcc
.LBB1109_191:
	v_bfe_u32 v30, v28, 16, 8
	v_lshrrev_b32_e32 v29, 24, v28
	s_waitcnt vmcnt(0) lgkmcnt(0)
	v_add_u32_sdwa v18, v28, v28 dst_sel:DWORD dst_unused:UNUSED_PAD src0_sel:BYTE_1 src1_sel:BYTE_0
	v_add3_u32 v33, v18, v30, v29
	v_mbcnt_lo_u32_b32 v18, -1, 0
	v_mbcnt_hi_u32_b32 v31, -1, v18
	v_and_b32_e32 v18, 15, v31
	v_cmp_eq_u32_e64 s[14:15], 0, v18
	v_cmp_lt_u32_e64 s[12:13], 1, v18
	v_cmp_lt_u32_e64 s[10:11], 3, v18
	;; [unrolled: 1-line block ×3, first 2 shown]
	v_and_b32_e32 v18, 16, v31
	v_cmp_eq_u32_e64 s[6:7], 0, v18
	v_or_b32_e32 v18, 63, v0
	v_cmp_lt_u32_e64 s[2:3], 31, v31
	v_lshrrev_b32_e32 v32, 6, v0
	v_cmp_eq_u32_e64 s[4:5], v18, v0
	s_and_b64 vcc, exec, s[36:37]
	s_barrier
	s_cbranch_vccz .LBB1109_218
; %bb.192:
	v_mov_b32_dpp v18, v33 row_shr:1 row_mask:0xf bank_mask:0xf
	v_cndmask_b32_e64 v18, v18, 0, s[14:15]
	v_add_u32_e32 v18, v18, v33
	s_nop 1
	v_mov_b32_dpp v19, v18 row_shr:2 row_mask:0xf bank_mask:0xf
	v_cndmask_b32_e64 v19, 0, v19, s[12:13]
	v_add_u32_e32 v18, v18, v19
	s_nop 1
	;; [unrolled: 4-line block ×4, first 2 shown]
	v_mov_b32_dpp v19, v18 row_bcast:15 row_mask:0xf bank_mask:0xf
	v_cndmask_b32_e64 v19, v19, 0, s[6:7]
	v_add_u32_e32 v18, v18, v19
	s_nop 1
	v_mov_b32_dpp v19, v18 row_bcast:31 row_mask:0xf bank_mask:0xf
	v_cndmask_b32_e64 v19, 0, v19, s[2:3]
	v_add_u32_e32 v18, v18, v19
	s_and_saveexec_b64 s[16:17], s[4:5]
	s_cbranch_execz .LBB1109_194
; %bb.193:
	v_lshlrev_b32_e32 v19, 2, v32
	ds_write_b32 v19, v18
.LBB1109_194:
	s_or_b64 exec, exec, s[16:17]
	v_cmp_gt_u32_e32 vcc, 2, v0
	s_waitcnt lgkmcnt(0)
	s_barrier
	s_and_saveexec_b64 s[16:17], vcc
	s_cbranch_execz .LBB1109_196
; %bb.195:
	ds_read_b32 v19, v1
	v_bfe_i32 v20, v31, 0, 1
	s_waitcnt lgkmcnt(0)
	v_mov_b32_dpp v21, v19 row_shr:1 row_mask:0xf bank_mask:0xf
	v_and_b32_e32 v20, v20, v21
	v_add_u32_e32 v19, v20, v19
	ds_write_b32 v1, v19
.LBB1109_196:
	s_or_b64 exec, exec, s[16:17]
	v_cmp_gt_u32_e32 vcc, 64, v0
	v_cmp_lt_u32_e64 s[16:17], 63, v0
	s_waitcnt lgkmcnt(0)
	s_barrier
	s_waitcnt lgkmcnt(0)
                                        ; implicit-def: $vgpr34
	s_and_saveexec_b64 s[26:27], s[16:17]
	s_cbranch_execz .LBB1109_198
; %bb.197:
	v_lshl_add_u32 v19, v32, 2, -4
	ds_read_b32 v34, v19
	s_waitcnt lgkmcnt(0)
	v_add_u32_e32 v18, v34, v18
.LBB1109_198:
	s_or_b64 exec, exec, s[26:27]
	v_add_u32_e32 v19, -1, v31
	v_and_b32_e32 v20, 64, v31
	v_cmp_lt_i32_e64 s[16:17], v19, v20
	v_cndmask_b32_e64 v19, v19, v31, s[16:17]
	v_lshlrev_b32_e32 v19, 2, v19
	ds_bpermute_b32 v35, v19, v18
	v_cmp_eq_u32_e64 s[16:17], 0, v31
	s_and_saveexec_b64 s[26:27], vcc
	s_cbranch_execz .LBB1109_217
; %bb.199:
	v_mov_b32_e32 v25, 0
	ds_read_b32 v18, v25 offset:4
	s_and_saveexec_b64 s[36:37], s[16:17]
	s_cbranch_execz .LBB1109_201
; %bb.200:
	s_add_i32 s38, s33, 64
	s_mov_b32 s39, 0
	s_lshl_b64 s[38:39], s[38:39], 3
	s_add_u32 s38, s18, s38
	v_mov_b32_e32 v19, 1
	s_addc_u32 s39, s19, s39
	s_waitcnt lgkmcnt(0)
	global_store_dwordx2 v25, v[18:19], s[38:39]
.LBB1109_201:
	s_or_b64 exec, exec, s[36:37]
	v_xad_u32 v20, v31, -1, s33
	v_add_u32_e32 v24, 64, v20
	v_lshlrev_b64 v[22:23], 3, v[24:25]
	v_mov_b32_e32 v19, s19
	v_add_co_u32_e32 v26, vcc, s18, v22
	v_addc_co_u32_e32 v27, vcc, v19, v23, vcc
	global_load_dwordx2 v[22:23], v[26:27], off glc
	s_waitcnt vmcnt(0)
	v_cmp_eq_u16_sdwa s[38:39], v23, v25 src0_sel:BYTE_0 src1_sel:DWORD
	s_and_saveexec_b64 s[36:37], s[38:39]
	s_cbranch_execz .LBB1109_205
; %bb.202:
	s_mov_b64 s[38:39], 0
	v_mov_b32_e32 v19, 0
.LBB1109_203:                           ; =>This Inner Loop Header: Depth=1
	global_load_dwordx2 v[22:23], v[26:27], off glc
	s_waitcnt vmcnt(0)
	v_cmp_ne_u16_sdwa s[40:41], v23, v19 src0_sel:BYTE_0 src1_sel:DWORD
	s_or_b64 s[38:39], s[40:41], s[38:39]
	s_andn2_b64 exec, exec, s[38:39]
	s_cbranch_execnz .LBB1109_203
; %bb.204:
	s_or_b64 exec, exec, s[38:39]
.LBB1109_205:
	s_or_b64 exec, exec, s[36:37]
	v_and_b32_e32 v36, 63, v31
	v_mov_b32_e32 v19, 2
	v_cmp_ne_u32_e32 vcc, 63, v36
	v_cmp_eq_u16_sdwa s[36:37], v23, v19 src0_sel:BYTE_0 src1_sel:DWORD
	v_lshlrev_b64 v[24:25], v31, -1
	v_addc_co_u32_e32 v27, vcc, 0, v31, vcc
	v_and_b32_e32 v21, s37, v25
	v_lshlrev_b32_e32 v37, 2, v27
	v_or_b32_e32 v21, 0x80000000, v21
	ds_bpermute_b32 v27, v37, v22
	v_and_b32_e32 v26, s36, v24
	v_ffbl_b32_e32 v21, v21
	v_add_u32_e32 v21, 32, v21
	v_ffbl_b32_e32 v26, v26
	v_min_u32_e32 v21, v26, v21
	v_cmp_lt_u32_e32 vcc, v36, v21
	s_waitcnt lgkmcnt(0)
	v_cndmask_b32_e32 v26, 0, v27, vcc
	v_cmp_gt_u32_e32 vcc, 62, v36
	v_add_u32_e32 v22, v26, v22
	v_cndmask_b32_e64 v26, 0, 1, vcc
	v_lshlrev_b32_e32 v26, 1, v26
	v_add_lshl_u32 v38, v26, v31, 2
	ds_bpermute_b32 v26, v38, v22
	v_add_u32_e32 v39, 2, v36
	v_cmp_le_u32_e32 vcc, v39, v21
	v_add_u32_e32 v41, 4, v36
	v_add_u32_e32 v43, 8, v36
	s_waitcnt lgkmcnt(0)
	v_cndmask_b32_e32 v26, 0, v26, vcc
	v_cmp_gt_u32_e32 vcc, 60, v36
	v_add_u32_e32 v22, v22, v26
	v_cndmask_b32_e64 v26, 0, 1, vcc
	v_lshlrev_b32_e32 v26, 2, v26
	v_add_lshl_u32 v40, v26, v31, 2
	ds_bpermute_b32 v26, v40, v22
	v_cmp_le_u32_e32 vcc, v41, v21
	v_add_u32_e32 v46, 16, v36
	v_add_u32_e32 v48, 32, v36
	s_waitcnt lgkmcnt(0)
	v_cndmask_b32_e32 v26, 0, v26, vcc
	v_cmp_gt_u32_e32 vcc, 56, v36
	v_add_u32_e32 v22, v22, v26
	v_cndmask_b32_e64 v26, 0, 1, vcc
	v_lshlrev_b32_e32 v26, 3, v26
	v_add_lshl_u32 v42, v26, v31, 2
	ds_bpermute_b32 v26, v42, v22
	v_cmp_le_u32_e32 vcc, v43, v21
	s_waitcnt lgkmcnt(0)
	v_cndmask_b32_e32 v26, 0, v26, vcc
	v_cmp_gt_u32_e32 vcc, 48, v36
	v_add_u32_e32 v22, v22, v26
	v_cndmask_b32_e64 v26, 0, 1, vcc
	v_lshlrev_b32_e32 v26, 4, v26
	v_add_lshl_u32 v45, v26, v31, 2
	ds_bpermute_b32 v26, v45, v22
	v_cmp_le_u32_e32 vcc, v46, v21
	;; [unrolled: 9-line block ×3, first 2 shown]
	s_waitcnt lgkmcnt(0)
	v_cndmask_b32_e32 v21, 0, v26, vcc
	v_add_u32_e32 v22, v22, v21
	v_mov_b32_e32 v21, 0
	s_branch .LBB1109_207
.LBB1109_206:                           ;   in Loop: Header=BB1109_207 Depth=1
	s_or_b64 exec, exec, s[36:37]
	v_cmp_eq_u16_sdwa s[36:37], v23, v19 src0_sel:BYTE_0 src1_sel:DWORD
	v_and_b32_e32 v26, s37, v25
	v_or_b32_e32 v26, 0x80000000, v26
	ds_bpermute_b32 v49, v37, v22
	v_and_b32_e32 v27, s36, v24
	v_ffbl_b32_e32 v26, v26
	v_add_u32_e32 v26, 32, v26
	v_ffbl_b32_e32 v27, v27
	v_min_u32_e32 v26, v27, v26
	v_cmp_lt_u32_e32 vcc, v36, v26
	s_waitcnt lgkmcnt(0)
	v_cndmask_b32_e32 v27, 0, v49, vcc
	v_add_u32_e32 v22, v27, v22
	ds_bpermute_b32 v27, v38, v22
	v_cmp_le_u32_e32 vcc, v39, v26
	v_subrev_u32_e32 v20, 64, v20
	s_waitcnt lgkmcnt(0)
	v_cndmask_b32_e32 v27, 0, v27, vcc
	v_add_u32_e32 v22, v22, v27
	ds_bpermute_b32 v27, v40, v22
	v_cmp_le_u32_e32 vcc, v41, v26
	s_waitcnt lgkmcnt(0)
	v_cndmask_b32_e32 v27, 0, v27, vcc
	v_add_u32_e32 v22, v22, v27
	ds_bpermute_b32 v27, v42, v22
	v_cmp_le_u32_e32 vcc, v43, v26
	;; [unrolled: 5-line block ×4, first 2 shown]
	s_waitcnt lgkmcnt(0)
	v_cndmask_b32_e32 v26, 0, v27, vcc
	v_add3_u32 v22, v26, v44, v22
.LBB1109_207:                           ; =>This Loop Header: Depth=1
                                        ;     Child Loop BB1109_210 Depth 2
	v_cmp_ne_u16_sdwa s[36:37], v23, v19 src0_sel:BYTE_0 src1_sel:DWORD
	v_cndmask_b32_e64 v23, 0, 1, s[36:37]
	;;#ASMSTART
	;;#ASMEND
	v_cmp_ne_u32_e32 vcc, 0, v23
	s_cmp_lg_u64 vcc, exec
	v_mov_b32_e32 v44, v22
	s_cbranch_scc1 .LBB1109_212
; %bb.208:                              ;   in Loop: Header=BB1109_207 Depth=1
	v_lshlrev_b64 v[22:23], 3, v[20:21]
	v_mov_b32_e32 v27, s19
	v_add_co_u32_e32 v26, vcc, s18, v22
	v_addc_co_u32_e32 v27, vcc, v27, v23, vcc
	global_load_dwordx2 v[22:23], v[26:27], off glc
	s_waitcnt vmcnt(0)
	v_cmp_eq_u16_sdwa s[38:39], v23, v21 src0_sel:BYTE_0 src1_sel:DWORD
	s_and_saveexec_b64 s[36:37], s[38:39]
	s_cbranch_execz .LBB1109_206
; %bb.209:                              ;   in Loop: Header=BB1109_207 Depth=1
	s_mov_b64 s[38:39], 0
.LBB1109_210:                           ;   Parent Loop BB1109_207 Depth=1
                                        ; =>  This Inner Loop Header: Depth=2
	global_load_dwordx2 v[22:23], v[26:27], off glc
	s_waitcnt vmcnt(0)
	v_cmp_ne_u16_sdwa s[40:41], v23, v21 src0_sel:BYTE_0 src1_sel:DWORD
	s_or_b64 s[38:39], s[40:41], s[38:39]
	s_andn2_b64 exec, exec, s[38:39]
	s_cbranch_execnz .LBB1109_210
; %bb.211:                              ;   in Loop: Header=BB1109_207 Depth=1
	s_or_b64 exec, exec, s[38:39]
	s_branch .LBB1109_206
.LBB1109_212:                           ;   in Loop: Header=BB1109_207 Depth=1
                                        ; implicit-def: $vgpr22
                                        ; implicit-def: $vgpr23
	s_cbranch_execz .LBB1109_207
; %bb.213:
	s_and_saveexec_b64 s[36:37], s[16:17]
	s_cbranch_execz .LBB1109_215
; %bb.214:
	s_add_i32 s38, s33, 64
	s_mov_b32 s39, 0
	s_lshl_b64 s[38:39], s[38:39], 3
	s_add_u32 s38, s18, s38
	v_add_u32_e32 v20, v44, v18
	v_mov_b32_e32 v21, 2
	s_addc_u32 s39, s19, s39
	v_mov_b32_e32 v19, 0
	s_movk_i32 s33, 0x1000
	global_store_dwordx2 v19, v[20:21], s[38:39]
	v_add_u32_e64 v19, s33, 0
	ds_write2_b32 v19, v18, v44 offset0:32 offset1:34
.LBB1109_215:
	s_or_b64 exec, exec, s[36:37]
	s_and_b64 exec, exec, s[0:1]
	s_cbranch_execz .LBB1109_217
; %bb.216:
	v_mov_b32_e32 v18, 0
	ds_write_b32 v18, v44 offset:4
.LBB1109_217:
	s_or_b64 exec, exec, s[26:27]
	v_mov_b32_e32 v19, 0
	s_waitcnt lgkmcnt(0)
	s_barrier
	ds_read_b32 v19, v19 offset:4
	v_cndmask_b32_e64 v18, v35, v34, s[16:17]
	s_movk_i32 s16, 0x1000
	v_add_u32_e64 v20, s16, 0
	s_waitcnt lgkmcnt(0)
	s_barrier
	ds_read2_b32 v[26:27], v20 offset0:32 offset1:34
	v_cndmask_b32_e64 v18, v18, 0, s[0:1]
	v_add_u32_e32 v24, v19, v18
	v_add_u32_sdwa v22, v24, v28 dst_sel:DWORD dst_unused:UNUSED_PAD src0_sel:DWORD src1_sel:BYTE_0
	v_add_u32_sdwa v20, v22, v28 dst_sel:DWORD dst_unused:UNUSED_PAD src0_sel:DWORD src1_sel:BYTE_1
	v_add_u32_e32 v18, v20, v30
	s_waitcnt lgkmcnt(0)
	v_readfirstlane_b32 s33, v26
	v_readfirstlane_b32 s16, v27
	s_branch .LBB1109_228
.LBB1109_218:
                                        ; implicit-def: $vgpr18
                                        ; implicit-def: $vgpr20
                                        ; implicit-def: $vgpr22
                                        ; implicit-def: $vgpr24
                                        ; implicit-def: $sgpr16
                                        ; implicit-def: $sgpr33
	s_cbranch_execz .LBB1109_228
; %bb.219:
	s_nop 0
	v_mov_b32_dpp v18, v33 row_shr:1 row_mask:0xf bank_mask:0xf
	v_cndmask_b32_e64 v18, v18, 0, s[14:15]
	v_add_u32_e32 v18, v18, v33
	s_nop 1
	v_mov_b32_dpp v19, v18 row_shr:2 row_mask:0xf bank_mask:0xf
	v_cndmask_b32_e64 v19, 0, v19, s[12:13]
	v_add_u32_e32 v18, v18, v19
	;; [unrolled: 4-line block ×4, first 2 shown]
	s_nop 1
	v_mov_b32_dpp v19, v18 row_bcast:15 row_mask:0xf bank_mask:0xf
	v_cndmask_b32_e64 v19, v19, 0, s[6:7]
	v_add_u32_e32 v18, v18, v19
	s_nop 1
	v_mov_b32_dpp v19, v18 row_bcast:31 row_mask:0xf bank_mask:0xf
	v_cndmask_b32_e64 v19, 0, v19, s[2:3]
	v_add_u32_e32 v18, v18, v19
	s_and_saveexec_b64 s[2:3], s[4:5]
	s_cbranch_execz .LBB1109_221
; %bb.220:
	v_lshlrev_b32_e32 v19, 2, v32
	ds_write_b32 v19, v18
.LBB1109_221:
	s_or_b64 exec, exec, s[2:3]
	v_cmp_gt_u32_e32 vcc, 2, v0
	s_waitcnt lgkmcnt(0)
	s_barrier
	s_and_saveexec_b64 s[2:3], vcc
	s_cbranch_execz .LBB1109_223
; %bb.222:
	ds_read_b32 v19, v1
	v_bfe_i32 v20, v31, 0, 1
	s_waitcnt lgkmcnt(0)
	v_mov_b32_dpp v21, v19 row_shr:1 row_mask:0xf bank_mask:0xf
	v_and_b32_e32 v20, v20, v21
	v_add_u32_e32 v19, v20, v19
	ds_write_b32 v1, v19
.LBB1109_223:
	s_or_b64 exec, exec, s[2:3]
	v_cmp_lt_u32_e32 vcc, 63, v0
	v_mov_b32_e32 v19, 0
	v_mov_b32_e32 v1, 0
	s_waitcnt lgkmcnt(0)
	s_barrier
	s_and_saveexec_b64 s[2:3], vcc
	s_cbranch_execz .LBB1109_225
; %bb.224:
	v_lshl_add_u32 v1, v32, 2, -4
	ds_read_b32 v1, v1
.LBB1109_225:
	s_or_b64 exec, exec, s[2:3]
	v_add_u32_e32 v20, -1, v31
	v_and_b32_e32 v21, 64, v31
	v_cmp_lt_i32_e32 vcc, v20, v21
	v_cndmask_b32_e32 v20, v20, v31, vcc
	s_waitcnt lgkmcnt(0)
	v_add_u32_e32 v18, v1, v18
	v_lshlrev_b32_e32 v20, 2, v20
	ds_read_b32 v19, v19 offset:4
	ds_bpermute_b32 v18, v20, v18
	s_waitcnt lgkmcnt(1)
	v_readfirstlane_b32 s33, v19
	s_and_saveexec_b64 s[2:3], s[0:1]
	s_cbranch_execz .LBB1109_227
; %bb.226:
	v_mov_b32_e32 v19, 0
	v_mov_b32_e32 v20, s33
	;; [unrolled: 1-line block ×3, first 2 shown]
	global_store_dwordx2 v19, v[20:21], s[18:19] offset:512
.LBB1109_227:
	s_or_b64 exec, exec, s[2:3]
	v_cmp_eq_u32_e32 vcc, 0, v31
	s_waitcnt lgkmcnt(0)
	v_cndmask_b32_e32 v1, v18, v1, vcc
	v_cndmask_b32_e64 v24, v1, 0, s[0:1]
	v_add_u32_sdwa v22, v24, v28 dst_sel:DWORD dst_unused:UNUSED_PAD src0_sel:DWORD src1_sel:BYTE_0
	v_add_u32_sdwa v20, v22, v28 dst_sel:DWORD dst_unused:UNUSED_PAD src0_sel:DWORD src1_sel:BYTE_1
	s_mov_b32 s16, 0
	v_add_u32_e32 v18, v20, v30
	s_barrier
.LBB1109_228:
	s_cmpk_lt_u32 s33, 0x81
	s_cselect_b64 s[4:5], -1, 0
	v_lshrrev_b32_e32 v1, 8, v28
	s_mov_b64 s[2:3], -1
	s_and_b64 vcc, exec, s[4:5]
	s_cbranch_vccz .LBB1109_242
; %bb.229:
	s_add_i32 s6, s16, s33
	v_cmp_gt_u32_e32 vcc, s6, v24
	s_or_b64 s[8:9], s[34:35], vcc
	s_and_saveexec_b64 s[2:3], s[8:9]
	s_cbranch_execz .LBB1109_232
; %bb.230:
	v_and_b32_e32 v19, 1, v28
	v_cmp_eq_u32_e32 vcc, 1, v19
	s_and_b64 exec, exec, vcc
	s_cbranch_execz .LBB1109_232
; %bb.231:
	s_lshl_b64 s[8:9], s[22:23], 3
	s_add_u32 s7, s28, s8
	v_mov_b32_e32 v25, 0
	s_addc_u32 s8, s29, s9
	v_lshlrev_b64 v[26:27], 3, v[24:25]
	v_mov_b32_e32 v19, s8
	v_add_co_u32_e32 v26, vcc, s7, v26
	v_addc_co_u32_e32 v27, vcc, v19, v27, vcc
	global_store_dwordx2 v[26:27], v[14:15], off
.LBB1109_232:
	s_or_b64 exec, exec, s[2:3]
	v_cmp_gt_u32_e32 vcc, s6, v22
	s_or_b64 s[8:9], s[34:35], vcc
	s_and_saveexec_b64 s[2:3], s[8:9]
	s_cbranch_execz .LBB1109_235
; %bb.233:
	v_and_b32_e32 v19, 1, v1
	v_cmp_eq_u32_e32 vcc, 1, v19
	s_and_b64 exec, exec, vcc
	s_cbranch_execz .LBB1109_235
; %bb.234:
	s_lshl_b64 s[8:9], s[22:23], 3
	s_add_u32 s7, s28, s8
	v_mov_b32_e32 v23, 0
	s_addc_u32 s8, s29, s9
	v_lshlrev_b64 v[26:27], 3, v[22:23]
	v_mov_b32_e32 v19, s8
	v_add_co_u32_e32 v26, vcc, s7, v26
	v_addc_co_u32_e32 v27, vcc, v19, v27, vcc
	global_store_dwordx2 v[26:27], v[16:17], off
.LBB1109_235:
	s_or_b64 exec, exec, s[2:3]
	v_cmp_gt_u32_e32 vcc, s6, v20
	s_or_b64 s[8:9], s[34:35], vcc
	s_and_saveexec_b64 s[2:3], s[8:9]
	s_cbranch_execz .LBB1109_238
; %bb.236:
	v_mov_b32_e32 v19, 1
	v_and_b32_sdwa v19, v19, v28 dst_sel:DWORD dst_unused:UNUSED_PAD src0_sel:DWORD src1_sel:WORD_1
	v_cmp_eq_u32_e32 vcc, 1, v19
	s_and_b64 exec, exec, vcc
	s_cbranch_execz .LBB1109_238
; %bb.237:
	s_lshl_b64 s[8:9], s[22:23], 3
	s_add_u32 s7, s28, s8
	v_mov_b32_e32 v21, 0
	s_addc_u32 s8, s29, s9
	v_lshlrev_b64 v[26:27], 3, v[20:21]
	v_mov_b32_e32 v19, s8
	v_add_co_u32_e32 v26, vcc, s7, v26
	v_addc_co_u32_e32 v27, vcc, v19, v27, vcc
	global_store_dwordx2 v[26:27], v[10:11], off
.LBB1109_238:
	s_or_b64 exec, exec, s[2:3]
	v_cmp_gt_u32_e32 vcc, s6, v18
	s_or_b64 s[6:7], s[34:35], vcc
	s_and_saveexec_b64 s[2:3], s[6:7]
	s_cbranch_execz .LBB1109_241
; %bb.239:
	v_and_b32_e32 v19, 1, v29
	v_cmp_eq_u32_e32 vcc, 1, v19
	s_and_b64 exec, exec, vcc
	s_cbranch_execz .LBB1109_241
; %bb.240:
	s_lshl_b64 s[6:7], s[22:23], 3
	s_add_u32 s6, s28, s6
	v_mov_b32_e32 v19, 0
	s_addc_u32 s7, s29, s7
	v_lshlrev_b64 v[26:27], 3, v[18:19]
	v_mov_b32_e32 v19, s7
	v_add_co_u32_e32 v26, vcc, s6, v26
	v_addc_co_u32_e32 v27, vcc, v19, v27, vcc
	global_store_dwordx2 v[26:27], v[12:13], off
.LBB1109_241:
	s_or_b64 exec, exec, s[2:3]
	s_mov_b64 s[2:3], 0
.LBB1109_242:
	v_and_b32_e32 v26, 1, v28
	s_and_b64 vcc, exec, s[2:3]
	v_cmp_eq_u32_e64 s[2:3], 1, v26
	s_cbranch_vccz .LBB1109_255
; %bb.243:
	s_and_saveexec_b64 s[6:7], s[2:3]
	s_cbranch_execz .LBB1109_245
; %bb.244:
	v_subrev_u32_e32 v19, s16, v24
	v_lshlrev_b32_e32 v19, 3, v19
	ds_write_b64 v19, v[14:15]
.LBB1109_245:
	s_or_b64 exec, exec, s[6:7]
	v_and_b32_e32 v14, 1, v1
	v_cmp_eq_u32_e32 vcc, 1, v14
	s_and_saveexec_b64 s[2:3], vcc
	s_cbranch_execz .LBB1109_247
; %bb.246:
	v_subrev_u32_e32 v14, s16, v22
	v_lshlrev_b32_e32 v14, 3, v14
	ds_write_b64 v14, v[16:17]
.LBB1109_247:
	s_or_b64 exec, exec, s[2:3]
	v_mov_b32_e32 v14, 1
	v_and_b32_sdwa v14, v14, v28 dst_sel:DWORD dst_unused:UNUSED_PAD src0_sel:DWORD src1_sel:WORD_1
	v_cmp_eq_u32_e32 vcc, 1, v14
	s_and_saveexec_b64 s[2:3], vcc
	s_cbranch_execz .LBB1109_249
; %bb.248:
	v_subrev_u32_e32 v14, s16, v20
	v_lshlrev_b32_e32 v14, 3, v14
	ds_write_b64 v14, v[10:11]
.LBB1109_249:
	s_or_b64 exec, exec, s[2:3]
	v_and_b32_e32 v10, 1, v29
	v_cmp_eq_u32_e32 vcc, 1, v10
	s_and_saveexec_b64 s[2:3], vcc
	s_cbranch_execz .LBB1109_251
; %bb.250:
	v_subrev_u32_e32 v10, s16, v18
	v_lshlrev_b32_e32 v10, 3, v10
	ds_write_b64 v10, v[12:13]
.LBB1109_251:
	s_or_b64 exec, exec, s[2:3]
	v_cmp_gt_u32_e32 vcc, s33, v0
	s_waitcnt lgkmcnt(0)
	s_barrier
	s_and_saveexec_b64 s[2:3], vcc
	s_cbranch_execz .LBB1109_254
; %bb.252:
	s_mov_b32 s17, 0
	s_lshl_b64 s[6:7], s[16:17], 3
	s_add_u32 s8, s28, s6
	s_addc_u32 s9, s29, s7
	s_lshl_b64 s[6:7], s[22:23], 3
	s_add_u32 s8, s8, s6
	s_addc_u32 s9, s9, s7
	v_lshlrev_b32_e32 v12, 3, v0
	s_mov_b64 s[6:7], 0
	v_mov_b32_e32 v11, 0
	v_mov_b32_e32 v13, s9
	v_mov_b32_e32 v10, v0
.LBB1109_253:                           ; =>This Inner Loop Header: Depth=1
	ds_read_b64 v[14:15], v12
	v_lshlrev_b64 v[16:17], 3, v[10:11]
	v_add_co_u32_e32 v16, vcc, s8, v16
	v_add_u32_e32 v10, 0x80, v10
	v_addc_co_u32_e32 v17, vcc, v13, v17, vcc
	v_cmp_le_u32_e32 vcc, s33, v10
	v_add_u32_e32 v12, 0x400, v12
	s_or_b64 s[6:7], vcc, s[6:7]
	s_waitcnt lgkmcnt(0)
	global_store_dwordx2 v[16:17], v[14:15], off
	s_andn2_b64 exec, exec, s[6:7]
	s_cbranch_execnz .LBB1109_253
.LBB1109_254:
	s_or_b64 exec, exec, s[2:3]
.LBB1109_255:
	s_mov_b64 s[2:3], -1
	s_and_b64 vcc, exec, s[4:5]
	s_barrier
	s_cbranch_vccnz .LBB1109_259
; %bb.256:
	s_and_b64 vcc, exec, s[2:3]
	s_cbranch_vccnz .LBB1109_272
.LBB1109_257:
	s_and_b64 s[0:1], s[0:1], s[24:25]
	s_and_saveexec_b64 s[2:3], s[0:1]
	s_cbranch_execnz .LBB1109_284
.LBB1109_258:
	s_endpgm
.LBB1109_259:
	s_add_i32 s4, s16, s33
	v_cmp_gt_u32_e32 vcc, s4, v24
	s_or_b64 s[6:7], s[34:35], vcc
	s_and_saveexec_b64 s[2:3], s[6:7]
	s_cbranch_execz .LBB1109_262
; %bb.260:
	v_cmp_eq_u32_e32 vcc, 1, v26
	s_and_b64 exec, exec, vcc
	s_cbranch_execz .LBB1109_262
; %bb.261:
	s_lshl_b64 s[6:7], s[22:23], 3
	s_add_u32 s5, s30, s6
	v_mov_b32_e32 v25, 0
	s_addc_u32 s6, s31, s7
	v_lshlrev_b64 v[10:11], 3, v[24:25]
	v_mov_b32_e32 v12, s6
	v_add_co_u32_e32 v10, vcc, s5, v10
	v_addc_co_u32_e32 v11, vcc, v12, v11, vcc
	global_store_dwordx2 v[10:11], v[6:7], off
.LBB1109_262:
	s_or_b64 exec, exec, s[2:3]
	v_cmp_gt_u32_e32 vcc, s4, v22
	s_or_b64 s[6:7], s[34:35], vcc
	s_and_saveexec_b64 s[2:3], s[6:7]
	s_cbranch_execz .LBB1109_265
; %bb.263:
	v_and_b32_e32 v10, 1, v1
	v_cmp_eq_u32_e32 vcc, 1, v10
	s_and_b64 exec, exec, vcc
	s_cbranch_execz .LBB1109_265
; %bb.264:
	s_lshl_b64 s[6:7], s[22:23], 3
	s_add_u32 s5, s30, s6
	v_mov_b32_e32 v23, 0
	s_addc_u32 s6, s31, s7
	v_lshlrev_b64 v[10:11], 3, v[22:23]
	v_mov_b32_e32 v12, s6
	v_add_co_u32_e32 v10, vcc, s5, v10
	v_addc_co_u32_e32 v11, vcc, v12, v11, vcc
	global_store_dwordx2 v[10:11], v[8:9], off
.LBB1109_265:
	s_or_b64 exec, exec, s[2:3]
	v_cmp_gt_u32_e32 vcc, s4, v20
	s_or_b64 s[6:7], s[34:35], vcc
	s_and_saveexec_b64 s[2:3], s[6:7]
	s_cbranch_execz .LBB1109_268
; %bb.266:
	v_mov_b32_e32 v10, 1
	v_and_b32_sdwa v10, v10, v28 dst_sel:DWORD dst_unused:UNUSED_PAD src0_sel:DWORD src1_sel:WORD_1
	v_cmp_eq_u32_e32 vcc, 1, v10
	s_and_b64 exec, exec, vcc
	s_cbranch_execz .LBB1109_268
; %bb.267:
	s_lshl_b64 s[6:7], s[22:23], 3
	s_add_u32 s5, s30, s6
	v_mov_b32_e32 v21, 0
	s_addc_u32 s6, s31, s7
	v_lshlrev_b64 v[10:11], 3, v[20:21]
	v_mov_b32_e32 v12, s6
	v_add_co_u32_e32 v10, vcc, s5, v10
	v_addc_co_u32_e32 v11, vcc, v12, v11, vcc
	global_store_dwordx2 v[10:11], v[2:3], off
.LBB1109_268:
	s_or_b64 exec, exec, s[2:3]
	v_cmp_gt_u32_e32 vcc, s4, v18
	s_or_b64 s[4:5], s[34:35], vcc
	s_and_saveexec_b64 s[2:3], s[4:5]
	s_cbranch_execz .LBB1109_271
; %bb.269:
	v_and_b32_e32 v10, 1, v29
	v_cmp_eq_u32_e32 vcc, 1, v10
	s_and_b64 exec, exec, vcc
	s_cbranch_execz .LBB1109_271
; %bb.270:
	s_lshl_b64 s[4:5], s[22:23], 3
	s_add_u32 s4, s30, s4
	v_mov_b32_e32 v19, 0
	s_addc_u32 s5, s31, s5
	v_lshlrev_b64 v[10:11], 3, v[18:19]
	v_mov_b32_e32 v12, s5
	v_add_co_u32_e32 v10, vcc, s4, v10
	v_addc_co_u32_e32 v11, vcc, v12, v11, vcc
	global_store_dwordx2 v[10:11], v[4:5], off
.LBB1109_271:
	s_or_b64 exec, exec, s[2:3]
	s_branch .LBB1109_257
.LBB1109_272:
	v_cmp_eq_u32_e32 vcc, 1, v26
	s_and_saveexec_b64 s[2:3], vcc
	s_cbranch_execz .LBB1109_274
; %bb.273:
	v_subrev_u32_e32 v10, s16, v24
	v_lshlrev_b32_e32 v10, 3, v10
	ds_write_b64 v10, v[6:7]
.LBB1109_274:
	s_or_b64 exec, exec, s[2:3]
	v_and_b32_e32 v1, 1, v1
	v_cmp_eq_u32_e32 vcc, 1, v1
	s_and_saveexec_b64 s[2:3], vcc
	s_cbranch_execz .LBB1109_276
; %bb.275:
	v_subrev_u32_e32 v1, s16, v22
	v_lshlrev_b32_e32 v1, 3, v1
	ds_write_b64 v1, v[8:9]
.LBB1109_276:
	s_or_b64 exec, exec, s[2:3]
	v_mov_b32_e32 v1, 1
	v_and_b32_sdwa v1, v1, v28 dst_sel:DWORD dst_unused:UNUSED_PAD src0_sel:DWORD src1_sel:WORD_1
	v_cmp_eq_u32_e32 vcc, 1, v1
	s_and_saveexec_b64 s[2:3], vcc
	s_cbranch_execz .LBB1109_278
; %bb.277:
	v_subrev_u32_e32 v1, s16, v20
	v_lshlrev_b32_e32 v1, 3, v1
	ds_write_b64 v1, v[2:3]
.LBB1109_278:
	s_or_b64 exec, exec, s[2:3]
	v_and_b32_e32 v1, 1, v29
	v_cmp_eq_u32_e32 vcc, 1, v1
	s_and_saveexec_b64 s[2:3], vcc
	s_cbranch_execz .LBB1109_280
; %bb.279:
	v_subrev_u32_e32 v1, s16, v18
	v_lshlrev_b32_e32 v1, 3, v1
	ds_write_b64 v1, v[4:5]
.LBB1109_280:
	s_or_b64 exec, exec, s[2:3]
	v_cmp_gt_u32_e32 vcc, s33, v0
	s_waitcnt lgkmcnt(0)
	s_barrier
	s_and_saveexec_b64 s[2:3], vcc
	s_cbranch_execz .LBB1109_283
; %bb.281:
	s_mov_b32 s17, 0
	s_lshl_b64 s[4:5], s[16:17], 3
	s_add_u32 s6, s30, s4
	s_addc_u32 s7, s31, s5
	s_lshl_b64 s[4:5], s[22:23], 3
	s_add_u32 s6, s6, s4
	s_addc_u32 s7, s7, s5
	v_lshlrev_b32_e32 v2, 3, v0
	s_mov_b64 s[4:5], 0
	v_mov_b32_e32 v1, 0
	v_mov_b32_e32 v3, s7
.LBB1109_282:                           ; =>This Inner Loop Header: Depth=1
	ds_read_b64 v[4:5], v2
	v_lshlrev_b64 v[6:7], 3, v[0:1]
	v_add_co_u32_e32 v6, vcc, s6, v6
	v_add_u32_e32 v0, 0x80, v0
	v_addc_co_u32_e32 v7, vcc, v3, v7, vcc
	v_cmp_le_u32_e32 vcc, s33, v0
	v_add_u32_e32 v2, 0x400, v2
	s_or_b64 s[4:5], vcc, s[4:5]
	s_waitcnt lgkmcnt(0)
	global_store_dwordx2 v[6:7], v[4:5], off
	s_andn2_b64 exec, exec, s[4:5]
	s_cbranch_execnz .LBB1109_282
.LBB1109_283:
	s_or_b64 exec, exec, s[2:3]
	s_and_b64 s[0:1], s[0:1], s[24:25]
	s_and_saveexec_b64 s[2:3], s[0:1]
	s_cbranch_execz .LBB1109_258
.LBB1109_284:
	s_add_u32 s0, s22, s33
	s_addc_u32 s1, s23, 0
	s_add_u32 s0, s0, s16
	s_addc_u32 s1, s1, 0
	v_mov_b32_e32 v2, 0
	v_pk_mov_b32 v[0:1], s[0:1], s[0:1] op_sel:[0,1]
	global_store_dwordx2 v2, v[0:1], s[20:21]
	s_endpgm
	.section	.rodata,"a",@progbits
	.p2align	6, 0x0
	.amdhsa_kernel _ZN7rocprim17ROCPRIM_400000_NS6detail17trampoline_kernelINS0_14default_configENS1_25partition_config_selectorILNS1_17partition_subalgoE9EllbEEZZNS1_14partition_implILS5_9ELb0ES3_jPlS8_PNS0_10empty_typeENS0_5tupleIJS8_S9_EEENSB_IJS8_SA_EEENS0_18inequality_wrapperIZN2at6native12_GLOBAL__N_124unique_dim_cuda_templateIbEESt5tupleIJNSF_6TensorESK_SK_EERKSK_lbbbEUlllE0_EEPmJS9_EEE10hipError_tPvRmT3_T4_T5_T6_T7_T9_mT8_P12ihipStream_tbDpT10_ENKUlT_T0_E_clISt17integral_constantIbLb0EES19_IbLb1EEEEDaS15_S16_EUlS15_E_NS1_11comp_targetILNS1_3genE4ELNS1_11target_archE910ELNS1_3gpuE8ELNS1_3repE0EEENS1_30default_config_static_selectorELNS0_4arch9wavefront6targetE1EEEvT1_
		.amdhsa_group_segment_fixed_size 4236
		.amdhsa_private_segment_fixed_size 0
		.amdhsa_kernarg_size 136
		.amdhsa_user_sgpr_count 6
		.amdhsa_user_sgpr_private_segment_buffer 1
		.amdhsa_user_sgpr_dispatch_ptr 0
		.amdhsa_user_sgpr_queue_ptr 0
		.amdhsa_user_sgpr_kernarg_segment_ptr 1
		.amdhsa_user_sgpr_dispatch_id 0
		.amdhsa_user_sgpr_flat_scratch_init 0
		.amdhsa_user_sgpr_kernarg_preload_length 0
		.amdhsa_user_sgpr_kernarg_preload_offset 0
		.amdhsa_user_sgpr_private_segment_size 0
		.amdhsa_uses_dynamic_stack 0
		.amdhsa_system_sgpr_private_segment_wavefront_offset 0
		.amdhsa_system_sgpr_workgroup_id_x 1
		.amdhsa_system_sgpr_workgroup_id_y 0
		.amdhsa_system_sgpr_workgroup_id_z 0
		.amdhsa_system_sgpr_workgroup_info 0
		.amdhsa_system_vgpr_workitem_id 0
		.amdhsa_next_free_vgpr 50
		.amdhsa_next_free_sgpr 52
		.amdhsa_accum_offset 52
		.amdhsa_reserve_vcc 1
		.amdhsa_reserve_flat_scratch 0
		.amdhsa_float_round_mode_32 0
		.amdhsa_float_round_mode_16_64 0
		.amdhsa_float_denorm_mode_32 3
		.amdhsa_float_denorm_mode_16_64 3
		.amdhsa_dx10_clamp 1
		.amdhsa_ieee_mode 1
		.amdhsa_fp16_overflow 0
		.amdhsa_tg_split 0
		.amdhsa_exception_fp_ieee_invalid_op 0
		.amdhsa_exception_fp_denorm_src 0
		.amdhsa_exception_fp_ieee_div_zero 0
		.amdhsa_exception_fp_ieee_overflow 0
		.amdhsa_exception_fp_ieee_underflow 0
		.amdhsa_exception_fp_ieee_inexact 0
		.amdhsa_exception_int_div_zero 0
	.end_amdhsa_kernel
	.section	.text._ZN7rocprim17ROCPRIM_400000_NS6detail17trampoline_kernelINS0_14default_configENS1_25partition_config_selectorILNS1_17partition_subalgoE9EllbEEZZNS1_14partition_implILS5_9ELb0ES3_jPlS8_PNS0_10empty_typeENS0_5tupleIJS8_S9_EEENSB_IJS8_SA_EEENS0_18inequality_wrapperIZN2at6native12_GLOBAL__N_124unique_dim_cuda_templateIbEESt5tupleIJNSF_6TensorESK_SK_EERKSK_lbbbEUlllE0_EEPmJS9_EEE10hipError_tPvRmT3_T4_T5_T6_T7_T9_mT8_P12ihipStream_tbDpT10_ENKUlT_T0_E_clISt17integral_constantIbLb0EES19_IbLb1EEEEDaS15_S16_EUlS15_E_NS1_11comp_targetILNS1_3genE4ELNS1_11target_archE910ELNS1_3gpuE8ELNS1_3repE0EEENS1_30default_config_static_selectorELNS0_4arch9wavefront6targetE1EEEvT1_,"axG",@progbits,_ZN7rocprim17ROCPRIM_400000_NS6detail17trampoline_kernelINS0_14default_configENS1_25partition_config_selectorILNS1_17partition_subalgoE9EllbEEZZNS1_14partition_implILS5_9ELb0ES3_jPlS8_PNS0_10empty_typeENS0_5tupleIJS8_S9_EEENSB_IJS8_SA_EEENS0_18inequality_wrapperIZN2at6native12_GLOBAL__N_124unique_dim_cuda_templateIbEESt5tupleIJNSF_6TensorESK_SK_EERKSK_lbbbEUlllE0_EEPmJS9_EEE10hipError_tPvRmT3_T4_T5_T6_T7_T9_mT8_P12ihipStream_tbDpT10_ENKUlT_T0_E_clISt17integral_constantIbLb0EES19_IbLb1EEEEDaS15_S16_EUlS15_E_NS1_11comp_targetILNS1_3genE4ELNS1_11target_archE910ELNS1_3gpuE8ELNS1_3repE0EEENS1_30default_config_static_selectorELNS0_4arch9wavefront6targetE1EEEvT1_,comdat
.Lfunc_end1109:
	.size	_ZN7rocprim17ROCPRIM_400000_NS6detail17trampoline_kernelINS0_14default_configENS1_25partition_config_selectorILNS1_17partition_subalgoE9EllbEEZZNS1_14partition_implILS5_9ELb0ES3_jPlS8_PNS0_10empty_typeENS0_5tupleIJS8_S9_EEENSB_IJS8_SA_EEENS0_18inequality_wrapperIZN2at6native12_GLOBAL__N_124unique_dim_cuda_templateIbEESt5tupleIJNSF_6TensorESK_SK_EERKSK_lbbbEUlllE0_EEPmJS9_EEE10hipError_tPvRmT3_T4_T5_T6_T7_T9_mT8_P12ihipStream_tbDpT10_ENKUlT_T0_E_clISt17integral_constantIbLb0EES19_IbLb1EEEEDaS15_S16_EUlS15_E_NS1_11comp_targetILNS1_3genE4ELNS1_11target_archE910ELNS1_3gpuE8ELNS1_3repE0EEENS1_30default_config_static_selectorELNS0_4arch9wavefront6targetE1EEEvT1_, .Lfunc_end1109-_ZN7rocprim17ROCPRIM_400000_NS6detail17trampoline_kernelINS0_14default_configENS1_25partition_config_selectorILNS1_17partition_subalgoE9EllbEEZZNS1_14partition_implILS5_9ELb0ES3_jPlS8_PNS0_10empty_typeENS0_5tupleIJS8_S9_EEENSB_IJS8_SA_EEENS0_18inequality_wrapperIZN2at6native12_GLOBAL__N_124unique_dim_cuda_templateIbEESt5tupleIJNSF_6TensorESK_SK_EERKSK_lbbbEUlllE0_EEPmJS9_EEE10hipError_tPvRmT3_T4_T5_T6_T7_T9_mT8_P12ihipStream_tbDpT10_ENKUlT_T0_E_clISt17integral_constantIbLb0EES19_IbLb1EEEEDaS15_S16_EUlS15_E_NS1_11comp_targetILNS1_3genE4ELNS1_11target_archE910ELNS1_3gpuE8ELNS1_3repE0EEENS1_30default_config_static_selectorELNS0_4arch9wavefront6targetE1EEEvT1_
                                        ; -- End function
	.section	.AMDGPU.csdata,"",@progbits
; Kernel info:
; codeLenInByte = 10112
; NumSgprs: 56
; NumVgprs: 50
; NumAgprs: 0
; TotalNumVgprs: 50
; ScratchSize: 0
; MemoryBound: 0
; FloatMode: 240
; IeeeMode: 1
; LDSByteSize: 4236 bytes/workgroup (compile time only)
; SGPRBlocks: 6
; VGPRBlocks: 6
; NumSGPRsForWavesPerEU: 56
; NumVGPRsForWavesPerEU: 50
; AccumOffset: 52
; Occupancy: 8
; WaveLimiterHint : 1
; COMPUTE_PGM_RSRC2:SCRATCH_EN: 0
; COMPUTE_PGM_RSRC2:USER_SGPR: 6
; COMPUTE_PGM_RSRC2:TRAP_HANDLER: 0
; COMPUTE_PGM_RSRC2:TGID_X_EN: 1
; COMPUTE_PGM_RSRC2:TGID_Y_EN: 0
; COMPUTE_PGM_RSRC2:TGID_Z_EN: 0
; COMPUTE_PGM_RSRC2:TIDIG_COMP_CNT: 0
; COMPUTE_PGM_RSRC3_GFX90A:ACCUM_OFFSET: 12
; COMPUTE_PGM_RSRC3_GFX90A:TG_SPLIT: 0
	.section	.text._ZN7rocprim17ROCPRIM_400000_NS6detail17trampoline_kernelINS0_14default_configENS1_25partition_config_selectorILNS1_17partition_subalgoE9EllbEEZZNS1_14partition_implILS5_9ELb0ES3_jPlS8_PNS0_10empty_typeENS0_5tupleIJS8_S9_EEENSB_IJS8_SA_EEENS0_18inequality_wrapperIZN2at6native12_GLOBAL__N_124unique_dim_cuda_templateIbEESt5tupleIJNSF_6TensorESK_SK_EERKSK_lbbbEUlllE0_EEPmJS9_EEE10hipError_tPvRmT3_T4_T5_T6_T7_T9_mT8_P12ihipStream_tbDpT10_ENKUlT_T0_E_clISt17integral_constantIbLb0EES19_IbLb1EEEEDaS15_S16_EUlS15_E_NS1_11comp_targetILNS1_3genE3ELNS1_11target_archE908ELNS1_3gpuE7ELNS1_3repE0EEENS1_30default_config_static_selectorELNS0_4arch9wavefront6targetE1EEEvT1_,"axG",@progbits,_ZN7rocprim17ROCPRIM_400000_NS6detail17trampoline_kernelINS0_14default_configENS1_25partition_config_selectorILNS1_17partition_subalgoE9EllbEEZZNS1_14partition_implILS5_9ELb0ES3_jPlS8_PNS0_10empty_typeENS0_5tupleIJS8_S9_EEENSB_IJS8_SA_EEENS0_18inequality_wrapperIZN2at6native12_GLOBAL__N_124unique_dim_cuda_templateIbEESt5tupleIJNSF_6TensorESK_SK_EERKSK_lbbbEUlllE0_EEPmJS9_EEE10hipError_tPvRmT3_T4_T5_T6_T7_T9_mT8_P12ihipStream_tbDpT10_ENKUlT_T0_E_clISt17integral_constantIbLb0EES19_IbLb1EEEEDaS15_S16_EUlS15_E_NS1_11comp_targetILNS1_3genE3ELNS1_11target_archE908ELNS1_3gpuE7ELNS1_3repE0EEENS1_30default_config_static_selectorELNS0_4arch9wavefront6targetE1EEEvT1_,comdat
	.globl	_ZN7rocprim17ROCPRIM_400000_NS6detail17trampoline_kernelINS0_14default_configENS1_25partition_config_selectorILNS1_17partition_subalgoE9EllbEEZZNS1_14partition_implILS5_9ELb0ES3_jPlS8_PNS0_10empty_typeENS0_5tupleIJS8_S9_EEENSB_IJS8_SA_EEENS0_18inequality_wrapperIZN2at6native12_GLOBAL__N_124unique_dim_cuda_templateIbEESt5tupleIJNSF_6TensorESK_SK_EERKSK_lbbbEUlllE0_EEPmJS9_EEE10hipError_tPvRmT3_T4_T5_T6_T7_T9_mT8_P12ihipStream_tbDpT10_ENKUlT_T0_E_clISt17integral_constantIbLb0EES19_IbLb1EEEEDaS15_S16_EUlS15_E_NS1_11comp_targetILNS1_3genE3ELNS1_11target_archE908ELNS1_3gpuE7ELNS1_3repE0EEENS1_30default_config_static_selectorELNS0_4arch9wavefront6targetE1EEEvT1_ ; -- Begin function _ZN7rocprim17ROCPRIM_400000_NS6detail17trampoline_kernelINS0_14default_configENS1_25partition_config_selectorILNS1_17partition_subalgoE9EllbEEZZNS1_14partition_implILS5_9ELb0ES3_jPlS8_PNS0_10empty_typeENS0_5tupleIJS8_S9_EEENSB_IJS8_SA_EEENS0_18inequality_wrapperIZN2at6native12_GLOBAL__N_124unique_dim_cuda_templateIbEESt5tupleIJNSF_6TensorESK_SK_EERKSK_lbbbEUlllE0_EEPmJS9_EEE10hipError_tPvRmT3_T4_T5_T6_T7_T9_mT8_P12ihipStream_tbDpT10_ENKUlT_T0_E_clISt17integral_constantIbLb0EES19_IbLb1EEEEDaS15_S16_EUlS15_E_NS1_11comp_targetILNS1_3genE3ELNS1_11target_archE908ELNS1_3gpuE7ELNS1_3repE0EEENS1_30default_config_static_selectorELNS0_4arch9wavefront6targetE1EEEvT1_
	.p2align	8
	.type	_ZN7rocprim17ROCPRIM_400000_NS6detail17trampoline_kernelINS0_14default_configENS1_25partition_config_selectorILNS1_17partition_subalgoE9EllbEEZZNS1_14partition_implILS5_9ELb0ES3_jPlS8_PNS0_10empty_typeENS0_5tupleIJS8_S9_EEENSB_IJS8_SA_EEENS0_18inequality_wrapperIZN2at6native12_GLOBAL__N_124unique_dim_cuda_templateIbEESt5tupleIJNSF_6TensorESK_SK_EERKSK_lbbbEUlllE0_EEPmJS9_EEE10hipError_tPvRmT3_T4_T5_T6_T7_T9_mT8_P12ihipStream_tbDpT10_ENKUlT_T0_E_clISt17integral_constantIbLb0EES19_IbLb1EEEEDaS15_S16_EUlS15_E_NS1_11comp_targetILNS1_3genE3ELNS1_11target_archE908ELNS1_3gpuE7ELNS1_3repE0EEENS1_30default_config_static_selectorELNS0_4arch9wavefront6targetE1EEEvT1_,@function
_ZN7rocprim17ROCPRIM_400000_NS6detail17trampoline_kernelINS0_14default_configENS1_25partition_config_selectorILNS1_17partition_subalgoE9EllbEEZZNS1_14partition_implILS5_9ELb0ES3_jPlS8_PNS0_10empty_typeENS0_5tupleIJS8_S9_EEENSB_IJS8_SA_EEENS0_18inequality_wrapperIZN2at6native12_GLOBAL__N_124unique_dim_cuda_templateIbEESt5tupleIJNSF_6TensorESK_SK_EERKSK_lbbbEUlllE0_EEPmJS9_EEE10hipError_tPvRmT3_T4_T5_T6_T7_T9_mT8_P12ihipStream_tbDpT10_ENKUlT_T0_E_clISt17integral_constantIbLb0EES19_IbLb1EEEEDaS15_S16_EUlS15_E_NS1_11comp_targetILNS1_3genE3ELNS1_11target_archE908ELNS1_3gpuE7ELNS1_3repE0EEENS1_30default_config_static_selectorELNS0_4arch9wavefront6targetE1EEEvT1_: ; @_ZN7rocprim17ROCPRIM_400000_NS6detail17trampoline_kernelINS0_14default_configENS1_25partition_config_selectorILNS1_17partition_subalgoE9EllbEEZZNS1_14partition_implILS5_9ELb0ES3_jPlS8_PNS0_10empty_typeENS0_5tupleIJS8_S9_EEENSB_IJS8_SA_EEENS0_18inequality_wrapperIZN2at6native12_GLOBAL__N_124unique_dim_cuda_templateIbEESt5tupleIJNSF_6TensorESK_SK_EERKSK_lbbbEUlllE0_EEPmJS9_EEE10hipError_tPvRmT3_T4_T5_T6_T7_T9_mT8_P12ihipStream_tbDpT10_ENKUlT_T0_E_clISt17integral_constantIbLb0EES19_IbLb1EEEEDaS15_S16_EUlS15_E_NS1_11comp_targetILNS1_3genE3ELNS1_11target_archE908ELNS1_3gpuE7ELNS1_3repE0EEENS1_30default_config_static_selectorELNS0_4arch9wavefront6targetE1EEEvT1_
; %bb.0:
	.section	.rodata,"a",@progbits
	.p2align	6, 0x0
	.amdhsa_kernel _ZN7rocprim17ROCPRIM_400000_NS6detail17trampoline_kernelINS0_14default_configENS1_25partition_config_selectorILNS1_17partition_subalgoE9EllbEEZZNS1_14partition_implILS5_9ELb0ES3_jPlS8_PNS0_10empty_typeENS0_5tupleIJS8_S9_EEENSB_IJS8_SA_EEENS0_18inequality_wrapperIZN2at6native12_GLOBAL__N_124unique_dim_cuda_templateIbEESt5tupleIJNSF_6TensorESK_SK_EERKSK_lbbbEUlllE0_EEPmJS9_EEE10hipError_tPvRmT3_T4_T5_T6_T7_T9_mT8_P12ihipStream_tbDpT10_ENKUlT_T0_E_clISt17integral_constantIbLb0EES19_IbLb1EEEEDaS15_S16_EUlS15_E_NS1_11comp_targetILNS1_3genE3ELNS1_11target_archE908ELNS1_3gpuE7ELNS1_3repE0EEENS1_30default_config_static_selectorELNS0_4arch9wavefront6targetE1EEEvT1_
		.amdhsa_group_segment_fixed_size 0
		.amdhsa_private_segment_fixed_size 0
		.amdhsa_kernarg_size 136
		.amdhsa_user_sgpr_count 6
		.amdhsa_user_sgpr_private_segment_buffer 1
		.amdhsa_user_sgpr_dispatch_ptr 0
		.amdhsa_user_sgpr_queue_ptr 0
		.amdhsa_user_sgpr_kernarg_segment_ptr 1
		.amdhsa_user_sgpr_dispatch_id 0
		.amdhsa_user_sgpr_flat_scratch_init 0
		.amdhsa_user_sgpr_kernarg_preload_length 0
		.amdhsa_user_sgpr_kernarg_preload_offset 0
		.amdhsa_user_sgpr_private_segment_size 0
		.amdhsa_uses_dynamic_stack 0
		.amdhsa_system_sgpr_private_segment_wavefront_offset 0
		.amdhsa_system_sgpr_workgroup_id_x 1
		.amdhsa_system_sgpr_workgroup_id_y 0
		.amdhsa_system_sgpr_workgroup_id_z 0
		.amdhsa_system_sgpr_workgroup_info 0
		.amdhsa_system_vgpr_workitem_id 0
		.amdhsa_next_free_vgpr 1
		.amdhsa_next_free_sgpr 0
		.amdhsa_accum_offset 4
		.amdhsa_reserve_vcc 0
		.amdhsa_reserve_flat_scratch 0
		.amdhsa_float_round_mode_32 0
		.amdhsa_float_round_mode_16_64 0
		.amdhsa_float_denorm_mode_32 3
		.amdhsa_float_denorm_mode_16_64 3
		.amdhsa_dx10_clamp 1
		.amdhsa_ieee_mode 1
		.amdhsa_fp16_overflow 0
		.amdhsa_tg_split 0
		.amdhsa_exception_fp_ieee_invalid_op 0
		.amdhsa_exception_fp_denorm_src 0
		.amdhsa_exception_fp_ieee_div_zero 0
		.amdhsa_exception_fp_ieee_overflow 0
		.amdhsa_exception_fp_ieee_underflow 0
		.amdhsa_exception_fp_ieee_inexact 0
		.amdhsa_exception_int_div_zero 0
	.end_amdhsa_kernel
	.section	.text._ZN7rocprim17ROCPRIM_400000_NS6detail17trampoline_kernelINS0_14default_configENS1_25partition_config_selectorILNS1_17partition_subalgoE9EllbEEZZNS1_14partition_implILS5_9ELb0ES3_jPlS8_PNS0_10empty_typeENS0_5tupleIJS8_S9_EEENSB_IJS8_SA_EEENS0_18inequality_wrapperIZN2at6native12_GLOBAL__N_124unique_dim_cuda_templateIbEESt5tupleIJNSF_6TensorESK_SK_EERKSK_lbbbEUlllE0_EEPmJS9_EEE10hipError_tPvRmT3_T4_T5_T6_T7_T9_mT8_P12ihipStream_tbDpT10_ENKUlT_T0_E_clISt17integral_constantIbLb0EES19_IbLb1EEEEDaS15_S16_EUlS15_E_NS1_11comp_targetILNS1_3genE3ELNS1_11target_archE908ELNS1_3gpuE7ELNS1_3repE0EEENS1_30default_config_static_selectorELNS0_4arch9wavefront6targetE1EEEvT1_,"axG",@progbits,_ZN7rocprim17ROCPRIM_400000_NS6detail17trampoline_kernelINS0_14default_configENS1_25partition_config_selectorILNS1_17partition_subalgoE9EllbEEZZNS1_14partition_implILS5_9ELb0ES3_jPlS8_PNS0_10empty_typeENS0_5tupleIJS8_S9_EEENSB_IJS8_SA_EEENS0_18inequality_wrapperIZN2at6native12_GLOBAL__N_124unique_dim_cuda_templateIbEESt5tupleIJNSF_6TensorESK_SK_EERKSK_lbbbEUlllE0_EEPmJS9_EEE10hipError_tPvRmT3_T4_T5_T6_T7_T9_mT8_P12ihipStream_tbDpT10_ENKUlT_T0_E_clISt17integral_constantIbLb0EES19_IbLb1EEEEDaS15_S16_EUlS15_E_NS1_11comp_targetILNS1_3genE3ELNS1_11target_archE908ELNS1_3gpuE7ELNS1_3repE0EEENS1_30default_config_static_selectorELNS0_4arch9wavefront6targetE1EEEvT1_,comdat
.Lfunc_end1110:
	.size	_ZN7rocprim17ROCPRIM_400000_NS6detail17trampoline_kernelINS0_14default_configENS1_25partition_config_selectorILNS1_17partition_subalgoE9EllbEEZZNS1_14partition_implILS5_9ELb0ES3_jPlS8_PNS0_10empty_typeENS0_5tupleIJS8_S9_EEENSB_IJS8_SA_EEENS0_18inequality_wrapperIZN2at6native12_GLOBAL__N_124unique_dim_cuda_templateIbEESt5tupleIJNSF_6TensorESK_SK_EERKSK_lbbbEUlllE0_EEPmJS9_EEE10hipError_tPvRmT3_T4_T5_T6_T7_T9_mT8_P12ihipStream_tbDpT10_ENKUlT_T0_E_clISt17integral_constantIbLb0EES19_IbLb1EEEEDaS15_S16_EUlS15_E_NS1_11comp_targetILNS1_3genE3ELNS1_11target_archE908ELNS1_3gpuE7ELNS1_3repE0EEENS1_30default_config_static_selectorELNS0_4arch9wavefront6targetE1EEEvT1_, .Lfunc_end1110-_ZN7rocprim17ROCPRIM_400000_NS6detail17trampoline_kernelINS0_14default_configENS1_25partition_config_selectorILNS1_17partition_subalgoE9EllbEEZZNS1_14partition_implILS5_9ELb0ES3_jPlS8_PNS0_10empty_typeENS0_5tupleIJS8_S9_EEENSB_IJS8_SA_EEENS0_18inequality_wrapperIZN2at6native12_GLOBAL__N_124unique_dim_cuda_templateIbEESt5tupleIJNSF_6TensorESK_SK_EERKSK_lbbbEUlllE0_EEPmJS9_EEE10hipError_tPvRmT3_T4_T5_T6_T7_T9_mT8_P12ihipStream_tbDpT10_ENKUlT_T0_E_clISt17integral_constantIbLb0EES19_IbLb1EEEEDaS15_S16_EUlS15_E_NS1_11comp_targetILNS1_3genE3ELNS1_11target_archE908ELNS1_3gpuE7ELNS1_3repE0EEENS1_30default_config_static_selectorELNS0_4arch9wavefront6targetE1EEEvT1_
                                        ; -- End function
	.section	.AMDGPU.csdata,"",@progbits
; Kernel info:
; codeLenInByte = 0
; NumSgprs: 4
; NumVgprs: 0
; NumAgprs: 0
; TotalNumVgprs: 0
; ScratchSize: 0
; MemoryBound: 0
; FloatMode: 240
; IeeeMode: 1
; LDSByteSize: 0 bytes/workgroup (compile time only)
; SGPRBlocks: 0
; VGPRBlocks: 0
; NumSGPRsForWavesPerEU: 4
; NumVGPRsForWavesPerEU: 1
; AccumOffset: 4
; Occupancy: 8
; WaveLimiterHint : 0
; COMPUTE_PGM_RSRC2:SCRATCH_EN: 0
; COMPUTE_PGM_RSRC2:USER_SGPR: 6
; COMPUTE_PGM_RSRC2:TRAP_HANDLER: 0
; COMPUTE_PGM_RSRC2:TGID_X_EN: 1
; COMPUTE_PGM_RSRC2:TGID_Y_EN: 0
; COMPUTE_PGM_RSRC2:TGID_Z_EN: 0
; COMPUTE_PGM_RSRC2:TIDIG_COMP_CNT: 0
; COMPUTE_PGM_RSRC3_GFX90A:ACCUM_OFFSET: 0
; COMPUTE_PGM_RSRC3_GFX90A:TG_SPLIT: 0
	.section	.text._ZN7rocprim17ROCPRIM_400000_NS6detail17trampoline_kernelINS0_14default_configENS1_25partition_config_selectorILNS1_17partition_subalgoE9EllbEEZZNS1_14partition_implILS5_9ELb0ES3_jPlS8_PNS0_10empty_typeENS0_5tupleIJS8_S9_EEENSB_IJS8_SA_EEENS0_18inequality_wrapperIZN2at6native12_GLOBAL__N_124unique_dim_cuda_templateIbEESt5tupleIJNSF_6TensorESK_SK_EERKSK_lbbbEUlllE0_EEPmJS9_EEE10hipError_tPvRmT3_T4_T5_T6_T7_T9_mT8_P12ihipStream_tbDpT10_ENKUlT_T0_E_clISt17integral_constantIbLb0EES19_IbLb1EEEEDaS15_S16_EUlS15_E_NS1_11comp_targetILNS1_3genE2ELNS1_11target_archE906ELNS1_3gpuE6ELNS1_3repE0EEENS1_30default_config_static_selectorELNS0_4arch9wavefront6targetE1EEEvT1_,"axG",@progbits,_ZN7rocprim17ROCPRIM_400000_NS6detail17trampoline_kernelINS0_14default_configENS1_25partition_config_selectorILNS1_17partition_subalgoE9EllbEEZZNS1_14partition_implILS5_9ELb0ES3_jPlS8_PNS0_10empty_typeENS0_5tupleIJS8_S9_EEENSB_IJS8_SA_EEENS0_18inequality_wrapperIZN2at6native12_GLOBAL__N_124unique_dim_cuda_templateIbEESt5tupleIJNSF_6TensorESK_SK_EERKSK_lbbbEUlllE0_EEPmJS9_EEE10hipError_tPvRmT3_T4_T5_T6_T7_T9_mT8_P12ihipStream_tbDpT10_ENKUlT_T0_E_clISt17integral_constantIbLb0EES19_IbLb1EEEEDaS15_S16_EUlS15_E_NS1_11comp_targetILNS1_3genE2ELNS1_11target_archE906ELNS1_3gpuE6ELNS1_3repE0EEENS1_30default_config_static_selectorELNS0_4arch9wavefront6targetE1EEEvT1_,comdat
	.globl	_ZN7rocprim17ROCPRIM_400000_NS6detail17trampoline_kernelINS0_14default_configENS1_25partition_config_selectorILNS1_17partition_subalgoE9EllbEEZZNS1_14partition_implILS5_9ELb0ES3_jPlS8_PNS0_10empty_typeENS0_5tupleIJS8_S9_EEENSB_IJS8_SA_EEENS0_18inequality_wrapperIZN2at6native12_GLOBAL__N_124unique_dim_cuda_templateIbEESt5tupleIJNSF_6TensorESK_SK_EERKSK_lbbbEUlllE0_EEPmJS9_EEE10hipError_tPvRmT3_T4_T5_T6_T7_T9_mT8_P12ihipStream_tbDpT10_ENKUlT_T0_E_clISt17integral_constantIbLb0EES19_IbLb1EEEEDaS15_S16_EUlS15_E_NS1_11comp_targetILNS1_3genE2ELNS1_11target_archE906ELNS1_3gpuE6ELNS1_3repE0EEENS1_30default_config_static_selectorELNS0_4arch9wavefront6targetE1EEEvT1_ ; -- Begin function _ZN7rocprim17ROCPRIM_400000_NS6detail17trampoline_kernelINS0_14default_configENS1_25partition_config_selectorILNS1_17partition_subalgoE9EllbEEZZNS1_14partition_implILS5_9ELb0ES3_jPlS8_PNS0_10empty_typeENS0_5tupleIJS8_S9_EEENSB_IJS8_SA_EEENS0_18inequality_wrapperIZN2at6native12_GLOBAL__N_124unique_dim_cuda_templateIbEESt5tupleIJNSF_6TensorESK_SK_EERKSK_lbbbEUlllE0_EEPmJS9_EEE10hipError_tPvRmT3_T4_T5_T6_T7_T9_mT8_P12ihipStream_tbDpT10_ENKUlT_T0_E_clISt17integral_constantIbLb0EES19_IbLb1EEEEDaS15_S16_EUlS15_E_NS1_11comp_targetILNS1_3genE2ELNS1_11target_archE906ELNS1_3gpuE6ELNS1_3repE0EEENS1_30default_config_static_selectorELNS0_4arch9wavefront6targetE1EEEvT1_
	.p2align	8
	.type	_ZN7rocprim17ROCPRIM_400000_NS6detail17trampoline_kernelINS0_14default_configENS1_25partition_config_selectorILNS1_17partition_subalgoE9EllbEEZZNS1_14partition_implILS5_9ELb0ES3_jPlS8_PNS0_10empty_typeENS0_5tupleIJS8_S9_EEENSB_IJS8_SA_EEENS0_18inequality_wrapperIZN2at6native12_GLOBAL__N_124unique_dim_cuda_templateIbEESt5tupleIJNSF_6TensorESK_SK_EERKSK_lbbbEUlllE0_EEPmJS9_EEE10hipError_tPvRmT3_T4_T5_T6_T7_T9_mT8_P12ihipStream_tbDpT10_ENKUlT_T0_E_clISt17integral_constantIbLb0EES19_IbLb1EEEEDaS15_S16_EUlS15_E_NS1_11comp_targetILNS1_3genE2ELNS1_11target_archE906ELNS1_3gpuE6ELNS1_3repE0EEENS1_30default_config_static_selectorELNS0_4arch9wavefront6targetE1EEEvT1_,@function
_ZN7rocprim17ROCPRIM_400000_NS6detail17trampoline_kernelINS0_14default_configENS1_25partition_config_selectorILNS1_17partition_subalgoE9EllbEEZZNS1_14partition_implILS5_9ELb0ES3_jPlS8_PNS0_10empty_typeENS0_5tupleIJS8_S9_EEENSB_IJS8_SA_EEENS0_18inequality_wrapperIZN2at6native12_GLOBAL__N_124unique_dim_cuda_templateIbEESt5tupleIJNSF_6TensorESK_SK_EERKSK_lbbbEUlllE0_EEPmJS9_EEE10hipError_tPvRmT3_T4_T5_T6_T7_T9_mT8_P12ihipStream_tbDpT10_ENKUlT_T0_E_clISt17integral_constantIbLb0EES19_IbLb1EEEEDaS15_S16_EUlS15_E_NS1_11comp_targetILNS1_3genE2ELNS1_11target_archE906ELNS1_3gpuE6ELNS1_3repE0EEENS1_30default_config_static_selectorELNS0_4arch9wavefront6targetE1EEEvT1_: ; @_ZN7rocprim17ROCPRIM_400000_NS6detail17trampoline_kernelINS0_14default_configENS1_25partition_config_selectorILNS1_17partition_subalgoE9EllbEEZZNS1_14partition_implILS5_9ELb0ES3_jPlS8_PNS0_10empty_typeENS0_5tupleIJS8_S9_EEENSB_IJS8_SA_EEENS0_18inequality_wrapperIZN2at6native12_GLOBAL__N_124unique_dim_cuda_templateIbEESt5tupleIJNSF_6TensorESK_SK_EERKSK_lbbbEUlllE0_EEPmJS9_EEE10hipError_tPvRmT3_T4_T5_T6_T7_T9_mT8_P12ihipStream_tbDpT10_ENKUlT_T0_E_clISt17integral_constantIbLb0EES19_IbLb1EEEEDaS15_S16_EUlS15_E_NS1_11comp_targetILNS1_3genE2ELNS1_11target_archE906ELNS1_3gpuE6ELNS1_3repE0EEENS1_30default_config_static_selectorELNS0_4arch9wavefront6targetE1EEEvT1_
; %bb.0:
	.section	.rodata,"a",@progbits
	.p2align	6, 0x0
	.amdhsa_kernel _ZN7rocprim17ROCPRIM_400000_NS6detail17trampoline_kernelINS0_14default_configENS1_25partition_config_selectorILNS1_17partition_subalgoE9EllbEEZZNS1_14partition_implILS5_9ELb0ES3_jPlS8_PNS0_10empty_typeENS0_5tupleIJS8_S9_EEENSB_IJS8_SA_EEENS0_18inequality_wrapperIZN2at6native12_GLOBAL__N_124unique_dim_cuda_templateIbEESt5tupleIJNSF_6TensorESK_SK_EERKSK_lbbbEUlllE0_EEPmJS9_EEE10hipError_tPvRmT3_T4_T5_T6_T7_T9_mT8_P12ihipStream_tbDpT10_ENKUlT_T0_E_clISt17integral_constantIbLb0EES19_IbLb1EEEEDaS15_S16_EUlS15_E_NS1_11comp_targetILNS1_3genE2ELNS1_11target_archE906ELNS1_3gpuE6ELNS1_3repE0EEENS1_30default_config_static_selectorELNS0_4arch9wavefront6targetE1EEEvT1_
		.amdhsa_group_segment_fixed_size 0
		.amdhsa_private_segment_fixed_size 0
		.amdhsa_kernarg_size 136
		.amdhsa_user_sgpr_count 6
		.amdhsa_user_sgpr_private_segment_buffer 1
		.amdhsa_user_sgpr_dispatch_ptr 0
		.amdhsa_user_sgpr_queue_ptr 0
		.amdhsa_user_sgpr_kernarg_segment_ptr 1
		.amdhsa_user_sgpr_dispatch_id 0
		.amdhsa_user_sgpr_flat_scratch_init 0
		.amdhsa_user_sgpr_kernarg_preload_length 0
		.amdhsa_user_sgpr_kernarg_preload_offset 0
		.amdhsa_user_sgpr_private_segment_size 0
		.amdhsa_uses_dynamic_stack 0
		.amdhsa_system_sgpr_private_segment_wavefront_offset 0
		.amdhsa_system_sgpr_workgroup_id_x 1
		.amdhsa_system_sgpr_workgroup_id_y 0
		.amdhsa_system_sgpr_workgroup_id_z 0
		.amdhsa_system_sgpr_workgroup_info 0
		.amdhsa_system_vgpr_workitem_id 0
		.amdhsa_next_free_vgpr 1
		.amdhsa_next_free_sgpr 0
		.amdhsa_accum_offset 4
		.amdhsa_reserve_vcc 0
		.amdhsa_reserve_flat_scratch 0
		.amdhsa_float_round_mode_32 0
		.amdhsa_float_round_mode_16_64 0
		.amdhsa_float_denorm_mode_32 3
		.amdhsa_float_denorm_mode_16_64 3
		.amdhsa_dx10_clamp 1
		.amdhsa_ieee_mode 1
		.amdhsa_fp16_overflow 0
		.amdhsa_tg_split 0
		.amdhsa_exception_fp_ieee_invalid_op 0
		.amdhsa_exception_fp_denorm_src 0
		.amdhsa_exception_fp_ieee_div_zero 0
		.amdhsa_exception_fp_ieee_overflow 0
		.amdhsa_exception_fp_ieee_underflow 0
		.amdhsa_exception_fp_ieee_inexact 0
		.amdhsa_exception_int_div_zero 0
	.end_amdhsa_kernel
	.section	.text._ZN7rocprim17ROCPRIM_400000_NS6detail17trampoline_kernelINS0_14default_configENS1_25partition_config_selectorILNS1_17partition_subalgoE9EllbEEZZNS1_14partition_implILS5_9ELb0ES3_jPlS8_PNS0_10empty_typeENS0_5tupleIJS8_S9_EEENSB_IJS8_SA_EEENS0_18inequality_wrapperIZN2at6native12_GLOBAL__N_124unique_dim_cuda_templateIbEESt5tupleIJNSF_6TensorESK_SK_EERKSK_lbbbEUlllE0_EEPmJS9_EEE10hipError_tPvRmT3_T4_T5_T6_T7_T9_mT8_P12ihipStream_tbDpT10_ENKUlT_T0_E_clISt17integral_constantIbLb0EES19_IbLb1EEEEDaS15_S16_EUlS15_E_NS1_11comp_targetILNS1_3genE2ELNS1_11target_archE906ELNS1_3gpuE6ELNS1_3repE0EEENS1_30default_config_static_selectorELNS0_4arch9wavefront6targetE1EEEvT1_,"axG",@progbits,_ZN7rocprim17ROCPRIM_400000_NS6detail17trampoline_kernelINS0_14default_configENS1_25partition_config_selectorILNS1_17partition_subalgoE9EllbEEZZNS1_14partition_implILS5_9ELb0ES3_jPlS8_PNS0_10empty_typeENS0_5tupleIJS8_S9_EEENSB_IJS8_SA_EEENS0_18inequality_wrapperIZN2at6native12_GLOBAL__N_124unique_dim_cuda_templateIbEESt5tupleIJNSF_6TensorESK_SK_EERKSK_lbbbEUlllE0_EEPmJS9_EEE10hipError_tPvRmT3_T4_T5_T6_T7_T9_mT8_P12ihipStream_tbDpT10_ENKUlT_T0_E_clISt17integral_constantIbLb0EES19_IbLb1EEEEDaS15_S16_EUlS15_E_NS1_11comp_targetILNS1_3genE2ELNS1_11target_archE906ELNS1_3gpuE6ELNS1_3repE0EEENS1_30default_config_static_selectorELNS0_4arch9wavefront6targetE1EEEvT1_,comdat
.Lfunc_end1111:
	.size	_ZN7rocprim17ROCPRIM_400000_NS6detail17trampoline_kernelINS0_14default_configENS1_25partition_config_selectorILNS1_17partition_subalgoE9EllbEEZZNS1_14partition_implILS5_9ELb0ES3_jPlS8_PNS0_10empty_typeENS0_5tupleIJS8_S9_EEENSB_IJS8_SA_EEENS0_18inequality_wrapperIZN2at6native12_GLOBAL__N_124unique_dim_cuda_templateIbEESt5tupleIJNSF_6TensorESK_SK_EERKSK_lbbbEUlllE0_EEPmJS9_EEE10hipError_tPvRmT3_T4_T5_T6_T7_T9_mT8_P12ihipStream_tbDpT10_ENKUlT_T0_E_clISt17integral_constantIbLb0EES19_IbLb1EEEEDaS15_S16_EUlS15_E_NS1_11comp_targetILNS1_3genE2ELNS1_11target_archE906ELNS1_3gpuE6ELNS1_3repE0EEENS1_30default_config_static_selectorELNS0_4arch9wavefront6targetE1EEEvT1_, .Lfunc_end1111-_ZN7rocprim17ROCPRIM_400000_NS6detail17trampoline_kernelINS0_14default_configENS1_25partition_config_selectorILNS1_17partition_subalgoE9EllbEEZZNS1_14partition_implILS5_9ELb0ES3_jPlS8_PNS0_10empty_typeENS0_5tupleIJS8_S9_EEENSB_IJS8_SA_EEENS0_18inequality_wrapperIZN2at6native12_GLOBAL__N_124unique_dim_cuda_templateIbEESt5tupleIJNSF_6TensorESK_SK_EERKSK_lbbbEUlllE0_EEPmJS9_EEE10hipError_tPvRmT3_T4_T5_T6_T7_T9_mT8_P12ihipStream_tbDpT10_ENKUlT_T0_E_clISt17integral_constantIbLb0EES19_IbLb1EEEEDaS15_S16_EUlS15_E_NS1_11comp_targetILNS1_3genE2ELNS1_11target_archE906ELNS1_3gpuE6ELNS1_3repE0EEENS1_30default_config_static_selectorELNS0_4arch9wavefront6targetE1EEEvT1_
                                        ; -- End function
	.section	.AMDGPU.csdata,"",@progbits
; Kernel info:
; codeLenInByte = 0
; NumSgprs: 4
; NumVgprs: 0
; NumAgprs: 0
; TotalNumVgprs: 0
; ScratchSize: 0
; MemoryBound: 0
; FloatMode: 240
; IeeeMode: 1
; LDSByteSize: 0 bytes/workgroup (compile time only)
; SGPRBlocks: 0
; VGPRBlocks: 0
; NumSGPRsForWavesPerEU: 4
; NumVGPRsForWavesPerEU: 1
; AccumOffset: 4
; Occupancy: 8
; WaveLimiterHint : 0
; COMPUTE_PGM_RSRC2:SCRATCH_EN: 0
; COMPUTE_PGM_RSRC2:USER_SGPR: 6
; COMPUTE_PGM_RSRC2:TRAP_HANDLER: 0
; COMPUTE_PGM_RSRC2:TGID_X_EN: 1
; COMPUTE_PGM_RSRC2:TGID_Y_EN: 0
; COMPUTE_PGM_RSRC2:TGID_Z_EN: 0
; COMPUTE_PGM_RSRC2:TIDIG_COMP_CNT: 0
; COMPUTE_PGM_RSRC3_GFX90A:ACCUM_OFFSET: 0
; COMPUTE_PGM_RSRC3_GFX90A:TG_SPLIT: 0
	.section	.text._ZN7rocprim17ROCPRIM_400000_NS6detail17trampoline_kernelINS0_14default_configENS1_25partition_config_selectorILNS1_17partition_subalgoE9EllbEEZZNS1_14partition_implILS5_9ELb0ES3_jPlS8_PNS0_10empty_typeENS0_5tupleIJS8_S9_EEENSB_IJS8_SA_EEENS0_18inequality_wrapperIZN2at6native12_GLOBAL__N_124unique_dim_cuda_templateIbEESt5tupleIJNSF_6TensorESK_SK_EERKSK_lbbbEUlllE0_EEPmJS9_EEE10hipError_tPvRmT3_T4_T5_T6_T7_T9_mT8_P12ihipStream_tbDpT10_ENKUlT_T0_E_clISt17integral_constantIbLb0EES19_IbLb1EEEEDaS15_S16_EUlS15_E_NS1_11comp_targetILNS1_3genE10ELNS1_11target_archE1200ELNS1_3gpuE4ELNS1_3repE0EEENS1_30default_config_static_selectorELNS0_4arch9wavefront6targetE1EEEvT1_,"axG",@progbits,_ZN7rocprim17ROCPRIM_400000_NS6detail17trampoline_kernelINS0_14default_configENS1_25partition_config_selectorILNS1_17partition_subalgoE9EllbEEZZNS1_14partition_implILS5_9ELb0ES3_jPlS8_PNS0_10empty_typeENS0_5tupleIJS8_S9_EEENSB_IJS8_SA_EEENS0_18inequality_wrapperIZN2at6native12_GLOBAL__N_124unique_dim_cuda_templateIbEESt5tupleIJNSF_6TensorESK_SK_EERKSK_lbbbEUlllE0_EEPmJS9_EEE10hipError_tPvRmT3_T4_T5_T6_T7_T9_mT8_P12ihipStream_tbDpT10_ENKUlT_T0_E_clISt17integral_constantIbLb0EES19_IbLb1EEEEDaS15_S16_EUlS15_E_NS1_11comp_targetILNS1_3genE10ELNS1_11target_archE1200ELNS1_3gpuE4ELNS1_3repE0EEENS1_30default_config_static_selectorELNS0_4arch9wavefront6targetE1EEEvT1_,comdat
	.globl	_ZN7rocprim17ROCPRIM_400000_NS6detail17trampoline_kernelINS0_14default_configENS1_25partition_config_selectorILNS1_17partition_subalgoE9EllbEEZZNS1_14partition_implILS5_9ELb0ES3_jPlS8_PNS0_10empty_typeENS0_5tupleIJS8_S9_EEENSB_IJS8_SA_EEENS0_18inequality_wrapperIZN2at6native12_GLOBAL__N_124unique_dim_cuda_templateIbEESt5tupleIJNSF_6TensorESK_SK_EERKSK_lbbbEUlllE0_EEPmJS9_EEE10hipError_tPvRmT3_T4_T5_T6_T7_T9_mT8_P12ihipStream_tbDpT10_ENKUlT_T0_E_clISt17integral_constantIbLb0EES19_IbLb1EEEEDaS15_S16_EUlS15_E_NS1_11comp_targetILNS1_3genE10ELNS1_11target_archE1200ELNS1_3gpuE4ELNS1_3repE0EEENS1_30default_config_static_selectorELNS0_4arch9wavefront6targetE1EEEvT1_ ; -- Begin function _ZN7rocprim17ROCPRIM_400000_NS6detail17trampoline_kernelINS0_14default_configENS1_25partition_config_selectorILNS1_17partition_subalgoE9EllbEEZZNS1_14partition_implILS5_9ELb0ES3_jPlS8_PNS0_10empty_typeENS0_5tupleIJS8_S9_EEENSB_IJS8_SA_EEENS0_18inequality_wrapperIZN2at6native12_GLOBAL__N_124unique_dim_cuda_templateIbEESt5tupleIJNSF_6TensorESK_SK_EERKSK_lbbbEUlllE0_EEPmJS9_EEE10hipError_tPvRmT3_T4_T5_T6_T7_T9_mT8_P12ihipStream_tbDpT10_ENKUlT_T0_E_clISt17integral_constantIbLb0EES19_IbLb1EEEEDaS15_S16_EUlS15_E_NS1_11comp_targetILNS1_3genE10ELNS1_11target_archE1200ELNS1_3gpuE4ELNS1_3repE0EEENS1_30default_config_static_selectorELNS0_4arch9wavefront6targetE1EEEvT1_
	.p2align	8
	.type	_ZN7rocprim17ROCPRIM_400000_NS6detail17trampoline_kernelINS0_14default_configENS1_25partition_config_selectorILNS1_17partition_subalgoE9EllbEEZZNS1_14partition_implILS5_9ELb0ES3_jPlS8_PNS0_10empty_typeENS0_5tupleIJS8_S9_EEENSB_IJS8_SA_EEENS0_18inequality_wrapperIZN2at6native12_GLOBAL__N_124unique_dim_cuda_templateIbEESt5tupleIJNSF_6TensorESK_SK_EERKSK_lbbbEUlllE0_EEPmJS9_EEE10hipError_tPvRmT3_T4_T5_T6_T7_T9_mT8_P12ihipStream_tbDpT10_ENKUlT_T0_E_clISt17integral_constantIbLb0EES19_IbLb1EEEEDaS15_S16_EUlS15_E_NS1_11comp_targetILNS1_3genE10ELNS1_11target_archE1200ELNS1_3gpuE4ELNS1_3repE0EEENS1_30default_config_static_selectorELNS0_4arch9wavefront6targetE1EEEvT1_,@function
_ZN7rocprim17ROCPRIM_400000_NS6detail17trampoline_kernelINS0_14default_configENS1_25partition_config_selectorILNS1_17partition_subalgoE9EllbEEZZNS1_14partition_implILS5_9ELb0ES3_jPlS8_PNS0_10empty_typeENS0_5tupleIJS8_S9_EEENSB_IJS8_SA_EEENS0_18inequality_wrapperIZN2at6native12_GLOBAL__N_124unique_dim_cuda_templateIbEESt5tupleIJNSF_6TensorESK_SK_EERKSK_lbbbEUlllE0_EEPmJS9_EEE10hipError_tPvRmT3_T4_T5_T6_T7_T9_mT8_P12ihipStream_tbDpT10_ENKUlT_T0_E_clISt17integral_constantIbLb0EES19_IbLb1EEEEDaS15_S16_EUlS15_E_NS1_11comp_targetILNS1_3genE10ELNS1_11target_archE1200ELNS1_3gpuE4ELNS1_3repE0EEENS1_30default_config_static_selectorELNS0_4arch9wavefront6targetE1EEEvT1_: ; @_ZN7rocprim17ROCPRIM_400000_NS6detail17trampoline_kernelINS0_14default_configENS1_25partition_config_selectorILNS1_17partition_subalgoE9EllbEEZZNS1_14partition_implILS5_9ELb0ES3_jPlS8_PNS0_10empty_typeENS0_5tupleIJS8_S9_EEENSB_IJS8_SA_EEENS0_18inequality_wrapperIZN2at6native12_GLOBAL__N_124unique_dim_cuda_templateIbEESt5tupleIJNSF_6TensorESK_SK_EERKSK_lbbbEUlllE0_EEPmJS9_EEE10hipError_tPvRmT3_T4_T5_T6_T7_T9_mT8_P12ihipStream_tbDpT10_ENKUlT_T0_E_clISt17integral_constantIbLb0EES19_IbLb1EEEEDaS15_S16_EUlS15_E_NS1_11comp_targetILNS1_3genE10ELNS1_11target_archE1200ELNS1_3gpuE4ELNS1_3repE0EEENS1_30default_config_static_selectorELNS0_4arch9wavefront6targetE1EEEvT1_
; %bb.0:
	.section	.rodata,"a",@progbits
	.p2align	6, 0x0
	.amdhsa_kernel _ZN7rocprim17ROCPRIM_400000_NS6detail17trampoline_kernelINS0_14default_configENS1_25partition_config_selectorILNS1_17partition_subalgoE9EllbEEZZNS1_14partition_implILS5_9ELb0ES3_jPlS8_PNS0_10empty_typeENS0_5tupleIJS8_S9_EEENSB_IJS8_SA_EEENS0_18inequality_wrapperIZN2at6native12_GLOBAL__N_124unique_dim_cuda_templateIbEESt5tupleIJNSF_6TensorESK_SK_EERKSK_lbbbEUlllE0_EEPmJS9_EEE10hipError_tPvRmT3_T4_T5_T6_T7_T9_mT8_P12ihipStream_tbDpT10_ENKUlT_T0_E_clISt17integral_constantIbLb0EES19_IbLb1EEEEDaS15_S16_EUlS15_E_NS1_11comp_targetILNS1_3genE10ELNS1_11target_archE1200ELNS1_3gpuE4ELNS1_3repE0EEENS1_30default_config_static_selectorELNS0_4arch9wavefront6targetE1EEEvT1_
		.amdhsa_group_segment_fixed_size 0
		.amdhsa_private_segment_fixed_size 0
		.amdhsa_kernarg_size 136
		.amdhsa_user_sgpr_count 6
		.amdhsa_user_sgpr_private_segment_buffer 1
		.amdhsa_user_sgpr_dispatch_ptr 0
		.amdhsa_user_sgpr_queue_ptr 0
		.amdhsa_user_sgpr_kernarg_segment_ptr 1
		.amdhsa_user_sgpr_dispatch_id 0
		.amdhsa_user_sgpr_flat_scratch_init 0
		.amdhsa_user_sgpr_kernarg_preload_length 0
		.amdhsa_user_sgpr_kernarg_preload_offset 0
		.amdhsa_user_sgpr_private_segment_size 0
		.amdhsa_uses_dynamic_stack 0
		.amdhsa_system_sgpr_private_segment_wavefront_offset 0
		.amdhsa_system_sgpr_workgroup_id_x 1
		.amdhsa_system_sgpr_workgroup_id_y 0
		.amdhsa_system_sgpr_workgroup_id_z 0
		.amdhsa_system_sgpr_workgroup_info 0
		.amdhsa_system_vgpr_workitem_id 0
		.amdhsa_next_free_vgpr 1
		.amdhsa_next_free_sgpr 0
		.amdhsa_accum_offset 4
		.amdhsa_reserve_vcc 0
		.amdhsa_reserve_flat_scratch 0
		.amdhsa_float_round_mode_32 0
		.amdhsa_float_round_mode_16_64 0
		.amdhsa_float_denorm_mode_32 3
		.amdhsa_float_denorm_mode_16_64 3
		.amdhsa_dx10_clamp 1
		.amdhsa_ieee_mode 1
		.amdhsa_fp16_overflow 0
		.amdhsa_tg_split 0
		.amdhsa_exception_fp_ieee_invalid_op 0
		.amdhsa_exception_fp_denorm_src 0
		.amdhsa_exception_fp_ieee_div_zero 0
		.amdhsa_exception_fp_ieee_overflow 0
		.amdhsa_exception_fp_ieee_underflow 0
		.amdhsa_exception_fp_ieee_inexact 0
		.amdhsa_exception_int_div_zero 0
	.end_amdhsa_kernel
	.section	.text._ZN7rocprim17ROCPRIM_400000_NS6detail17trampoline_kernelINS0_14default_configENS1_25partition_config_selectorILNS1_17partition_subalgoE9EllbEEZZNS1_14partition_implILS5_9ELb0ES3_jPlS8_PNS0_10empty_typeENS0_5tupleIJS8_S9_EEENSB_IJS8_SA_EEENS0_18inequality_wrapperIZN2at6native12_GLOBAL__N_124unique_dim_cuda_templateIbEESt5tupleIJNSF_6TensorESK_SK_EERKSK_lbbbEUlllE0_EEPmJS9_EEE10hipError_tPvRmT3_T4_T5_T6_T7_T9_mT8_P12ihipStream_tbDpT10_ENKUlT_T0_E_clISt17integral_constantIbLb0EES19_IbLb1EEEEDaS15_S16_EUlS15_E_NS1_11comp_targetILNS1_3genE10ELNS1_11target_archE1200ELNS1_3gpuE4ELNS1_3repE0EEENS1_30default_config_static_selectorELNS0_4arch9wavefront6targetE1EEEvT1_,"axG",@progbits,_ZN7rocprim17ROCPRIM_400000_NS6detail17trampoline_kernelINS0_14default_configENS1_25partition_config_selectorILNS1_17partition_subalgoE9EllbEEZZNS1_14partition_implILS5_9ELb0ES3_jPlS8_PNS0_10empty_typeENS0_5tupleIJS8_S9_EEENSB_IJS8_SA_EEENS0_18inequality_wrapperIZN2at6native12_GLOBAL__N_124unique_dim_cuda_templateIbEESt5tupleIJNSF_6TensorESK_SK_EERKSK_lbbbEUlllE0_EEPmJS9_EEE10hipError_tPvRmT3_T4_T5_T6_T7_T9_mT8_P12ihipStream_tbDpT10_ENKUlT_T0_E_clISt17integral_constantIbLb0EES19_IbLb1EEEEDaS15_S16_EUlS15_E_NS1_11comp_targetILNS1_3genE10ELNS1_11target_archE1200ELNS1_3gpuE4ELNS1_3repE0EEENS1_30default_config_static_selectorELNS0_4arch9wavefront6targetE1EEEvT1_,comdat
.Lfunc_end1112:
	.size	_ZN7rocprim17ROCPRIM_400000_NS6detail17trampoline_kernelINS0_14default_configENS1_25partition_config_selectorILNS1_17partition_subalgoE9EllbEEZZNS1_14partition_implILS5_9ELb0ES3_jPlS8_PNS0_10empty_typeENS0_5tupleIJS8_S9_EEENSB_IJS8_SA_EEENS0_18inequality_wrapperIZN2at6native12_GLOBAL__N_124unique_dim_cuda_templateIbEESt5tupleIJNSF_6TensorESK_SK_EERKSK_lbbbEUlllE0_EEPmJS9_EEE10hipError_tPvRmT3_T4_T5_T6_T7_T9_mT8_P12ihipStream_tbDpT10_ENKUlT_T0_E_clISt17integral_constantIbLb0EES19_IbLb1EEEEDaS15_S16_EUlS15_E_NS1_11comp_targetILNS1_3genE10ELNS1_11target_archE1200ELNS1_3gpuE4ELNS1_3repE0EEENS1_30default_config_static_selectorELNS0_4arch9wavefront6targetE1EEEvT1_, .Lfunc_end1112-_ZN7rocprim17ROCPRIM_400000_NS6detail17trampoline_kernelINS0_14default_configENS1_25partition_config_selectorILNS1_17partition_subalgoE9EllbEEZZNS1_14partition_implILS5_9ELb0ES3_jPlS8_PNS0_10empty_typeENS0_5tupleIJS8_S9_EEENSB_IJS8_SA_EEENS0_18inequality_wrapperIZN2at6native12_GLOBAL__N_124unique_dim_cuda_templateIbEESt5tupleIJNSF_6TensorESK_SK_EERKSK_lbbbEUlllE0_EEPmJS9_EEE10hipError_tPvRmT3_T4_T5_T6_T7_T9_mT8_P12ihipStream_tbDpT10_ENKUlT_T0_E_clISt17integral_constantIbLb0EES19_IbLb1EEEEDaS15_S16_EUlS15_E_NS1_11comp_targetILNS1_3genE10ELNS1_11target_archE1200ELNS1_3gpuE4ELNS1_3repE0EEENS1_30default_config_static_selectorELNS0_4arch9wavefront6targetE1EEEvT1_
                                        ; -- End function
	.section	.AMDGPU.csdata,"",@progbits
; Kernel info:
; codeLenInByte = 0
; NumSgprs: 4
; NumVgprs: 0
; NumAgprs: 0
; TotalNumVgprs: 0
; ScratchSize: 0
; MemoryBound: 0
; FloatMode: 240
; IeeeMode: 1
; LDSByteSize: 0 bytes/workgroup (compile time only)
; SGPRBlocks: 0
; VGPRBlocks: 0
; NumSGPRsForWavesPerEU: 4
; NumVGPRsForWavesPerEU: 1
; AccumOffset: 4
; Occupancy: 8
; WaveLimiterHint : 0
; COMPUTE_PGM_RSRC2:SCRATCH_EN: 0
; COMPUTE_PGM_RSRC2:USER_SGPR: 6
; COMPUTE_PGM_RSRC2:TRAP_HANDLER: 0
; COMPUTE_PGM_RSRC2:TGID_X_EN: 1
; COMPUTE_PGM_RSRC2:TGID_Y_EN: 0
; COMPUTE_PGM_RSRC2:TGID_Z_EN: 0
; COMPUTE_PGM_RSRC2:TIDIG_COMP_CNT: 0
; COMPUTE_PGM_RSRC3_GFX90A:ACCUM_OFFSET: 0
; COMPUTE_PGM_RSRC3_GFX90A:TG_SPLIT: 0
	.section	.text._ZN7rocprim17ROCPRIM_400000_NS6detail17trampoline_kernelINS0_14default_configENS1_25partition_config_selectorILNS1_17partition_subalgoE9EllbEEZZNS1_14partition_implILS5_9ELb0ES3_jPlS8_PNS0_10empty_typeENS0_5tupleIJS8_S9_EEENSB_IJS8_SA_EEENS0_18inequality_wrapperIZN2at6native12_GLOBAL__N_124unique_dim_cuda_templateIbEESt5tupleIJNSF_6TensorESK_SK_EERKSK_lbbbEUlllE0_EEPmJS9_EEE10hipError_tPvRmT3_T4_T5_T6_T7_T9_mT8_P12ihipStream_tbDpT10_ENKUlT_T0_E_clISt17integral_constantIbLb0EES19_IbLb1EEEEDaS15_S16_EUlS15_E_NS1_11comp_targetILNS1_3genE9ELNS1_11target_archE1100ELNS1_3gpuE3ELNS1_3repE0EEENS1_30default_config_static_selectorELNS0_4arch9wavefront6targetE1EEEvT1_,"axG",@progbits,_ZN7rocprim17ROCPRIM_400000_NS6detail17trampoline_kernelINS0_14default_configENS1_25partition_config_selectorILNS1_17partition_subalgoE9EllbEEZZNS1_14partition_implILS5_9ELb0ES3_jPlS8_PNS0_10empty_typeENS0_5tupleIJS8_S9_EEENSB_IJS8_SA_EEENS0_18inequality_wrapperIZN2at6native12_GLOBAL__N_124unique_dim_cuda_templateIbEESt5tupleIJNSF_6TensorESK_SK_EERKSK_lbbbEUlllE0_EEPmJS9_EEE10hipError_tPvRmT3_T4_T5_T6_T7_T9_mT8_P12ihipStream_tbDpT10_ENKUlT_T0_E_clISt17integral_constantIbLb0EES19_IbLb1EEEEDaS15_S16_EUlS15_E_NS1_11comp_targetILNS1_3genE9ELNS1_11target_archE1100ELNS1_3gpuE3ELNS1_3repE0EEENS1_30default_config_static_selectorELNS0_4arch9wavefront6targetE1EEEvT1_,comdat
	.globl	_ZN7rocprim17ROCPRIM_400000_NS6detail17trampoline_kernelINS0_14default_configENS1_25partition_config_selectorILNS1_17partition_subalgoE9EllbEEZZNS1_14partition_implILS5_9ELb0ES3_jPlS8_PNS0_10empty_typeENS0_5tupleIJS8_S9_EEENSB_IJS8_SA_EEENS0_18inequality_wrapperIZN2at6native12_GLOBAL__N_124unique_dim_cuda_templateIbEESt5tupleIJNSF_6TensorESK_SK_EERKSK_lbbbEUlllE0_EEPmJS9_EEE10hipError_tPvRmT3_T4_T5_T6_T7_T9_mT8_P12ihipStream_tbDpT10_ENKUlT_T0_E_clISt17integral_constantIbLb0EES19_IbLb1EEEEDaS15_S16_EUlS15_E_NS1_11comp_targetILNS1_3genE9ELNS1_11target_archE1100ELNS1_3gpuE3ELNS1_3repE0EEENS1_30default_config_static_selectorELNS0_4arch9wavefront6targetE1EEEvT1_ ; -- Begin function _ZN7rocprim17ROCPRIM_400000_NS6detail17trampoline_kernelINS0_14default_configENS1_25partition_config_selectorILNS1_17partition_subalgoE9EllbEEZZNS1_14partition_implILS5_9ELb0ES3_jPlS8_PNS0_10empty_typeENS0_5tupleIJS8_S9_EEENSB_IJS8_SA_EEENS0_18inequality_wrapperIZN2at6native12_GLOBAL__N_124unique_dim_cuda_templateIbEESt5tupleIJNSF_6TensorESK_SK_EERKSK_lbbbEUlllE0_EEPmJS9_EEE10hipError_tPvRmT3_T4_T5_T6_T7_T9_mT8_P12ihipStream_tbDpT10_ENKUlT_T0_E_clISt17integral_constantIbLb0EES19_IbLb1EEEEDaS15_S16_EUlS15_E_NS1_11comp_targetILNS1_3genE9ELNS1_11target_archE1100ELNS1_3gpuE3ELNS1_3repE0EEENS1_30default_config_static_selectorELNS0_4arch9wavefront6targetE1EEEvT1_
	.p2align	8
	.type	_ZN7rocprim17ROCPRIM_400000_NS6detail17trampoline_kernelINS0_14default_configENS1_25partition_config_selectorILNS1_17partition_subalgoE9EllbEEZZNS1_14partition_implILS5_9ELb0ES3_jPlS8_PNS0_10empty_typeENS0_5tupleIJS8_S9_EEENSB_IJS8_SA_EEENS0_18inequality_wrapperIZN2at6native12_GLOBAL__N_124unique_dim_cuda_templateIbEESt5tupleIJNSF_6TensorESK_SK_EERKSK_lbbbEUlllE0_EEPmJS9_EEE10hipError_tPvRmT3_T4_T5_T6_T7_T9_mT8_P12ihipStream_tbDpT10_ENKUlT_T0_E_clISt17integral_constantIbLb0EES19_IbLb1EEEEDaS15_S16_EUlS15_E_NS1_11comp_targetILNS1_3genE9ELNS1_11target_archE1100ELNS1_3gpuE3ELNS1_3repE0EEENS1_30default_config_static_selectorELNS0_4arch9wavefront6targetE1EEEvT1_,@function
_ZN7rocprim17ROCPRIM_400000_NS6detail17trampoline_kernelINS0_14default_configENS1_25partition_config_selectorILNS1_17partition_subalgoE9EllbEEZZNS1_14partition_implILS5_9ELb0ES3_jPlS8_PNS0_10empty_typeENS0_5tupleIJS8_S9_EEENSB_IJS8_SA_EEENS0_18inequality_wrapperIZN2at6native12_GLOBAL__N_124unique_dim_cuda_templateIbEESt5tupleIJNSF_6TensorESK_SK_EERKSK_lbbbEUlllE0_EEPmJS9_EEE10hipError_tPvRmT3_T4_T5_T6_T7_T9_mT8_P12ihipStream_tbDpT10_ENKUlT_T0_E_clISt17integral_constantIbLb0EES19_IbLb1EEEEDaS15_S16_EUlS15_E_NS1_11comp_targetILNS1_3genE9ELNS1_11target_archE1100ELNS1_3gpuE3ELNS1_3repE0EEENS1_30default_config_static_selectorELNS0_4arch9wavefront6targetE1EEEvT1_: ; @_ZN7rocprim17ROCPRIM_400000_NS6detail17trampoline_kernelINS0_14default_configENS1_25partition_config_selectorILNS1_17partition_subalgoE9EllbEEZZNS1_14partition_implILS5_9ELb0ES3_jPlS8_PNS0_10empty_typeENS0_5tupleIJS8_S9_EEENSB_IJS8_SA_EEENS0_18inequality_wrapperIZN2at6native12_GLOBAL__N_124unique_dim_cuda_templateIbEESt5tupleIJNSF_6TensorESK_SK_EERKSK_lbbbEUlllE0_EEPmJS9_EEE10hipError_tPvRmT3_T4_T5_T6_T7_T9_mT8_P12ihipStream_tbDpT10_ENKUlT_T0_E_clISt17integral_constantIbLb0EES19_IbLb1EEEEDaS15_S16_EUlS15_E_NS1_11comp_targetILNS1_3genE9ELNS1_11target_archE1100ELNS1_3gpuE3ELNS1_3repE0EEENS1_30default_config_static_selectorELNS0_4arch9wavefront6targetE1EEEvT1_
; %bb.0:
	.section	.rodata,"a",@progbits
	.p2align	6, 0x0
	.amdhsa_kernel _ZN7rocprim17ROCPRIM_400000_NS6detail17trampoline_kernelINS0_14default_configENS1_25partition_config_selectorILNS1_17partition_subalgoE9EllbEEZZNS1_14partition_implILS5_9ELb0ES3_jPlS8_PNS0_10empty_typeENS0_5tupleIJS8_S9_EEENSB_IJS8_SA_EEENS0_18inequality_wrapperIZN2at6native12_GLOBAL__N_124unique_dim_cuda_templateIbEESt5tupleIJNSF_6TensorESK_SK_EERKSK_lbbbEUlllE0_EEPmJS9_EEE10hipError_tPvRmT3_T4_T5_T6_T7_T9_mT8_P12ihipStream_tbDpT10_ENKUlT_T0_E_clISt17integral_constantIbLb0EES19_IbLb1EEEEDaS15_S16_EUlS15_E_NS1_11comp_targetILNS1_3genE9ELNS1_11target_archE1100ELNS1_3gpuE3ELNS1_3repE0EEENS1_30default_config_static_selectorELNS0_4arch9wavefront6targetE1EEEvT1_
		.amdhsa_group_segment_fixed_size 0
		.amdhsa_private_segment_fixed_size 0
		.amdhsa_kernarg_size 136
		.amdhsa_user_sgpr_count 6
		.amdhsa_user_sgpr_private_segment_buffer 1
		.amdhsa_user_sgpr_dispatch_ptr 0
		.amdhsa_user_sgpr_queue_ptr 0
		.amdhsa_user_sgpr_kernarg_segment_ptr 1
		.amdhsa_user_sgpr_dispatch_id 0
		.amdhsa_user_sgpr_flat_scratch_init 0
		.amdhsa_user_sgpr_kernarg_preload_length 0
		.amdhsa_user_sgpr_kernarg_preload_offset 0
		.amdhsa_user_sgpr_private_segment_size 0
		.amdhsa_uses_dynamic_stack 0
		.amdhsa_system_sgpr_private_segment_wavefront_offset 0
		.amdhsa_system_sgpr_workgroup_id_x 1
		.amdhsa_system_sgpr_workgroup_id_y 0
		.amdhsa_system_sgpr_workgroup_id_z 0
		.amdhsa_system_sgpr_workgroup_info 0
		.amdhsa_system_vgpr_workitem_id 0
		.amdhsa_next_free_vgpr 1
		.amdhsa_next_free_sgpr 0
		.amdhsa_accum_offset 4
		.amdhsa_reserve_vcc 0
		.amdhsa_reserve_flat_scratch 0
		.amdhsa_float_round_mode_32 0
		.amdhsa_float_round_mode_16_64 0
		.amdhsa_float_denorm_mode_32 3
		.amdhsa_float_denorm_mode_16_64 3
		.amdhsa_dx10_clamp 1
		.amdhsa_ieee_mode 1
		.amdhsa_fp16_overflow 0
		.amdhsa_tg_split 0
		.amdhsa_exception_fp_ieee_invalid_op 0
		.amdhsa_exception_fp_denorm_src 0
		.amdhsa_exception_fp_ieee_div_zero 0
		.amdhsa_exception_fp_ieee_overflow 0
		.amdhsa_exception_fp_ieee_underflow 0
		.amdhsa_exception_fp_ieee_inexact 0
		.amdhsa_exception_int_div_zero 0
	.end_amdhsa_kernel
	.section	.text._ZN7rocprim17ROCPRIM_400000_NS6detail17trampoline_kernelINS0_14default_configENS1_25partition_config_selectorILNS1_17partition_subalgoE9EllbEEZZNS1_14partition_implILS5_9ELb0ES3_jPlS8_PNS0_10empty_typeENS0_5tupleIJS8_S9_EEENSB_IJS8_SA_EEENS0_18inequality_wrapperIZN2at6native12_GLOBAL__N_124unique_dim_cuda_templateIbEESt5tupleIJNSF_6TensorESK_SK_EERKSK_lbbbEUlllE0_EEPmJS9_EEE10hipError_tPvRmT3_T4_T5_T6_T7_T9_mT8_P12ihipStream_tbDpT10_ENKUlT_T0_E_clISt17integral_constantIbLb0EES19_IbLb1EEEEDaS15_S16_EUlS15_E_NS1_11comp_targetILNS1_3genE9ELNS1_11target_archE1100ELNS1_3gpuE3ELNS1_3repE0EEENS1_30default_config_static_selectorELNS0_4arch9wavefront6targetE1EEEvT1_,"axG",@progbits,_ZN7rocprim17ROCPRIM_400000_NS6detail17trampoline_kernelINS0_14default_configENS1_25partition_config_selectorILNS1_17partition_subalgoE9EllbEEZZNS1_14partition_implILS5_9ELb0ES3_jPlS8_PNS0_10empty_typeENS0_5tupleIJS8_S9_EEENSB_IJS8_SA_EEENS0_18inequality_wrapperIZN2at6native12_GLOBAL__N_124unique_dim_cuda_templateIbEESt5tupleIJNSF_6TensorESK_SK_EERKSK_lbbbEUlllE0_EEPmJS9_EEE10hipError_tPvRmT3_T4_T5_T6_T7_T9_mT8_P12ihipStream_tbDpT10_ENKUlT_T0_E_clISt17integral_constantIbLb0EES19_IbLb1EEEEDaS15_S16_EUlS15_E_NS1_11comp_targetILNS1_3genE9ELNS1_11target_archE1100ELNS1_3gpuE3ELNS1_3repE0EEENS1_30default_config_static_selectorELNS0_4arch9wavefront6targetE1EEEvT1_,comdat
.Lfunc_end1113:
	.size	_ZN7rocprim17ROCPRIM_400000_NS6detail17trampoline_kernelINS0_14default_configENS1_25partition_config_selectorILNS1_17partition_subalgoE9EllbEEZZNS1_14partition_implILS5_9ELb0ES3_jPlS8_PNS0_10empty_typeENS0_5tupleIJS8_S9_EEENSB_IJS8_SA_EEENS0_18inequality_wrapperIZN2at6native12_GLOBAL__N_124unique_dim_cuda_templateIbEESt5tupleIJNSF_6TensorESK_SK_EERKSK_lbbbEUlllE0_EEPmJS9_EEE10hipError_tPvRmT3_T4_T5_T6_T7_T9_mT8_P12ihipStream_tbDpT10_ENKUlT_T0_E_clISt17integral_constantIbLb0EES19_IbLb1EEEEDaS15_S16_EUlS15_E_NS1_11comp_targetILNS1_3genE9ELNS1_11target_archE1100ELNS1_3gpuE3ELNS1_3repE0EEENS1_30default_config_static_selectorELNS0_4arch9wavefront6targetE1EEEvT1_, .Lfunc_end1113-_ZN7rocprim17ROCPRIM_400000_NS6detail17trampoline_kernelINS0_14default_configENS1_25partition_config_selectorILNS1_17partition_subalgoE9EllbEEZZNS1_14partition_implILS5_9ELb0ES3_jPlS8_PNS0_10empty_typeENS0_5tupleIJS8_S9_EEENSB_IJS8_SA_EEENS0_18inequality_wrapperIZN2at6native12_GLOBAL__N_124unique_dim_cuda_templateIbEESt5tupleIJNSF_6TensorESK_SK_EERKSK_lbbbEUlllE0_EEPmJS9_EEE10hipError_tPvRmT3_T4_T5_T6_T7_T9_mT8_P12ihipStream_tbDpT10_ENKUlT_T0_E_clISt17integral_constantIbLb0EES19_IbLb1EEEEDaS15_S16_EUlS15_E_NS1_11comp_targetILNS1_3genE9ELNS1_11target_archE1100ELNS1_3gpuE3ELNS1_3repE0EEENS1_30default_config_static_selectorELNS0_4arch9wavefront6targetE1EEEvT1_
                                        ; -- End function
	.section	.AMDGPU.csdata,"",@progbits
; Kernel info:
; codeLenInByte = 0
; NumSgprs: 4
; NumVgprs: 0
; NumAgprs: 0
; TotalNumVgprs: 0
; ScratchSize: 0
; MemoryBound: 0
; FloatMode: 240
; IeeeMode: 1
; LDSByteSize: 0 bytes/workgroup (compile time only)
; SGPRBlocks: 0
; VGPRBlocks: 0
; NumSGPRsForWavesPerEU: 4
; NumVGPRsForWavesPerEU: 1
; AccumOffset: 4
; Occupancy: 8
; WaveLimiterHint : 0
; COMPUTE_PGM_RSRC2:SCRATCH_EN: 0
; COMPUTE_PGM_RSRC2:USER_SGPR: 6
; COMPUTE_PGM_RSRC2:TRAP_HANDLER: 0
; COMPUTE_PGM_RSRC2:TGID_X_EN: 1
; COMPUTE_PGM_RSRC2:TGID_Y_EN: 0
; COMPUTE_PGM_RSRC2:TGID_Z_EN: 0
; COMPUTE_PGM_RSRC2:TIDIG_COMP_CNT: 0
; COMPUTE_PGM_RSRC3_GFX90A:ACCUM_OFFSET: 0
; COMPUTE_PGM_RSRC3_GFX90A:TG_SPLIT: 0
	.section	.text._ZN7rocprim17ROCPRIM_400000_NS6detail17trampoline_kernelINS0_14default_configENS1_25partition_config_selectorILNS1_17partition_subalgoE9EllbEEZZNS1_14partition_implILS5_9ELb0ES3_jPlS8_PNS0_10empty_typeENS0_5tupleIJS8_S9_EEENSB_IJS8_SA_EEENS0_18inequality_wrapperIZN2at6native12_GLOBAL__N_124unique_dim_cuda_templateIbEESt5tupleIJNSF_6TensorESK_SK_EERKSK_lbbbEUlllE0_EEPmJS9_EEE10hipError_tPvRmT3_T4_T5_T6_T7_T9_mT8_P12ihipStream_tbDpT10_ENKUlT_T0_E_clISt17integral_constantIbLb0EES19_IbLb1EEEEDaS15_S16_EUlS15_E_NS1_11comp_targetILNS1_3genE8ELNS1_11target_archE1030ELNS1_3gpuE2ELNS1_3repE0EEENS1_30default_config_static_selectorELNS0_4arch9wavefront6targetE1EEEvT1_,"axG",@progbits,_ZN7rocprim17ROCPRIM_400000_NS6detail17trampoline_kernelINS0_14default_configENS1_25partition_config_selectorILNS1_17partition_subalgoE9EllbEEZZNS1_14partition_implILS5_9ELb0ES3_jPlS8_PNS0_10empty_typeENS0_5tupleIJS8_S9_EEENSB_IJS8_SA_EEENS0_18inequality_wrapperIZN2at6native12_GLOBAL__N_124unique_dim_cuda_templateIbEESt5tupleIJNSF_6TensorESK_SK_EERKSK_lbbbEUlllE0_EEPmJS9_EEE10hipError_tPvRmT3_T4_T5_T6_T7_T9_mT8_P12ihipStream_tbDpT10_ENKUlT_T0_E_clISt17integral_constantIbLb0EES19_IbLb1EEEEDaS15_S16_EUlS15_E_NS1_11comp_targetILNS1_3genE8ELNS1_11target_archE1030ELNS1_3gpuE2ELNS1_3repE0EEENS1_30default_config_static_selectorELNS0_4arch9wavefront6targetE1EEEvT1_,comdat
	.globl	_ZN7rocprim17ROCPRIM_400000_NS6detail17trampoline_kernelINS0_14default_configENS1_25partition_config_selectorILNS1_17partition_subalgoE9EllbEEZZNS1_14partition_implILS5_9ELb0ES3_jPlS8_PNS0_10empty_typeENS0_5tupleIJS8_S9_EEENSB_IJS8_SA_EEENS0_18inequality_wrapperIZN2at6native12_GLOBAL__N_124unique_dim_cuda_templateIbEESt5tupleIJNSF_6TensorESK_SK_EERKSK_lbbbEUlllE0_EEPmJS9_EEE10hipError_tPvRmT3_T4_T5_T6_T7_T9_mT8_P12ihipStream_tbDpT10_ENKUlT_T0_E_clISt17integral_constantIbLb0EES19_IbLb1EEEEDaS15_S16_EUlS15_E_NS1_11comp_targetILNS1_3genE8ELNS1_11target_archE1030ELNS1_3gpuE2ELNS1_3repE0EEENS1_30default_config_static_selectorELNS0_4arch9wavefront6targetE1EEEvT1_ ; -- Begin function _ZN7rocprim17ROCPRIM_400000_NS6detail17trampoline_kernelINS0_14default_configENS1_25partition_config_selectorILNS1_17partition_subalgoE9EllbEEZZNS1_14partition_implILS5_9ELb0ES3_jPlS8_PNS0_10empty_typeENS0_5tupleIJS8_S9_EEENSB_IJS8_SA_EEENS0_18inequality_wrapperIZN2at6native12_GLOBAL__N_124unique_dim_cuda_templateIbEESt5tupleIJNSF_6TensorESK_SK_EERKSK_lbbbEUlllE0_EEPmJS9_EEE10hipError_tPvRmT3_T4_T5_T6_T7_T9_mT8_P12ihipStream_tbDpT10_ENKUlT_T0_E_clISt17integral_constantIbLb0EES19_IbLb1EEEEDaS15_S16_EUlS15_E_NS1_11comp_targetILNS1_3genE8ELNS1_11target_archE1030ELNS1_3gpuE2ELNS1_3repE0EEENS1_30default_config_static_selectorELNS0_4arch9wavefront6targetE1EEEvT1_
	.p2align	8
	.type	_ZN7rocprim17ROCPRIM_400000_NS6detail17trampoline_kernelINS0_14default_configENS1_25partition_config_selectorILNS1_17partition_subalgoE9EllbEEZZNS1_14partition_implILS5_9ELb0ES3_jPlS8_PNS0_10empty_typeENS0_5tupleIJS8_S9_EEENSB_IJS8_SA_EEENS0_18inequality_wrapperIZN2at6native12_GLOBAL__N_124unique_dim_cuda_templateIbEESt5tupleIJNSF_6TensorESK_SK_EERKSK_lbbbEUlllE0_EEPmJS9_EEE10hipError_tPvRmT3_T4_T5_T6_T7_T9_mT8_P12ihipStream_tbDpT10_ENKUlT_T0_E_clISt17integral_constantIbLb0EES19_IbLb1EEEEDaS15_S16_EUlS15_E_NS1_11comp_targetILNS1_3genE8ELNS1_11target_archE1030ELNS1_3gpuE2ELNS1_3repE0EEENS1_30default_config_static_selectorELNS0_4arch9wavefront6targetE1EEEvT1_,@function
_ZN7rocprim17ROCPRIM_400000_NS6detail17trampoline_kernelINS0_14default_configENS1_25partition_config_selectorILNS1_17partition_subalgoE9EllbEEZZNS1_14partition_implILS5_9ELb0ES3_jPlS8_PNS0_10empty_typeENS0_5tupleIJS8_S9_EEENSB_IJS8_SA_EEENS0_18inequality_wrapperIZN2at6native12_GLOBAL__N_124unique_dim_cuda_templateIbEESt5tupleIJNSF_6TensorESK_SK_EERKSK_lbbbEUlllE0_EEPmJS9_EEE10hipError_tPvRmT3_T4_T5_T6_T7_T9_mT8_P12ihipStream_tbDpT10_ENKUlT_T0_E_clISt17integral_constantIbLb0EES19_IbLb1EEEEDaS15_S16_EUlS15_E_NS1_11comp_targetILNS1_3genE8ELNS1_11target_archE1030ELNS1_3gpuE2ELNS1_3repE0EEENS1_30default_config_static_selectorELNS0_4arch9wavefront6targetE1EEEvT1_: ; @_ZN7rocprim17ROCPRIM_400000_NS6detail17trampoline_kernelINS0_14default_configENS1_25partition_config_selectorILNS1_17partition_subalgoE9EllbEEZZNS1_14partition_implILS5_9ELb0ES3_jPlS8_PNS0_10empty_typeENS0_5tupleIJS8_S9_EEENSB_IJS8_SA_EEENS0_18inequality_wrapperIZN2at6native12_GLOBAL__N_124unique_dim_cuda_templateIbEESt5tupleIJNSF_6TensorESK_SK_EERKSK_lbbbEUlllE0_EEPmJS9_EEE10hipError_tPvRmT3_T4_T5_T6_T7_T9_mT8_P12ihipStream_tbDpT10_ENKUlT_T0_E_clISt17integral_constantIbLb0EES19_IbLb1EEEEDaS15_S16_EUlS15_E_NS1_11comp_targetILNS1_3genE8ELNS1_11target_archE1030ELNS1_3gpuE2ELNS1_3repE0EEENS1_30default_config_static_selectorELNS0_4arch9wavefront6targetE1EEEvT1_
; %bb.0:
	.section	.rodata,"a",@progbits
	.p2align	6, 0x0
	.amdhsa_kernel _ZN7rocprim17ROCPRIM_400000_NS6detail17trampoline_kernelINS0_14default_configENS1_25partition_config_selectorILNS1_17partition_subalgoE9EllbEEZZNS1_14partition_implILS5_9ELb0ES3_jPlS8_PNS0_10empty_typeENS0_5tupleIJS8_S9_EEENSB_IJS8_SA_EEENS0_18inequality_wrapperIZN2at6native12_GLOBAL__N_124unique_dim_cuda_templateIbEESt5tupleIJNSF_6TensorESK_SK_EERKSK_lbbbEUlllE0_EEPmJS9_EEE10hipError_tPvRmT3_T4_T5_T6_T7_T9_mT8_P12ihipStream_tbDpT10_ENKUlT_T0_E_clISt17integral_constantIbLb0EES19_IbLb1EEEEDaS15_S16_EUlS15_E_NS1_11comp_targetILNS1_3genE8ELNS1_11target_archE1030ELNS1_3gpuE2ELNS1_3repE0EEENS1_30default_config_static_selectorELNS0_4arch9wavefront6targetE1EEEvT1_
		.amdhsa_group_segment_fixed_size 0
		.amdhsa_private_segment_fixed_size 0
		.amdhsa_kernarg_size 136
		.amdhsa_user_sgpr_count 6
		.amdhsa_user_sgpr_private_segment_buffer 1
		.amdhsa_user_sgpr_dispatch_ptr 0
		.amdhsa_user_sgpr_queue_ptr 0
		.amdhsa_user_sgpr_kernarg_segment_ptr 1
		.amdhsa_user_sgpr_dispatch_id 0
		.amdhsa_user_sgpr_flat_scratch_init 0
		.amdhsa_user_sgpr_kernarg_preload_length 0
		.amdhsa_user_sgpr_kernarg_preload_offset 0
		.amdhsa_user_sgpr_private_segment_size 0
		.amdhsa_uses_dynamic_stack 0
		.amdhsa_system_sgpr_private_segment_wavefront_offset 0
		.amdhsa_system_sgpr_workgroup_id_x 1
		.amdhsa_system_sgpr_workgroup_id_y 0
		.amdhsa_system_sgpr_workgroup_id_z 0
		.amdhsa_system_sgpr_workgroup_info 0
		.amdhsa_system_vgpr_workitem_id 0
		.amdhsa_next_free_vgpr 1
		.amdhsa_next_free_sgpr 0
		.amdhsa_accum_offset 4
		.amdhsa_reserve_vcc 0
		.amdhsa_reserve_flat_scratch 0
		.amdhsa_float_round_mode_32 0
		.amdhsa_float_round_mode_16_64 0
		.amdhsa_float_denorm_mode_32 3
		.amdhsa_float_denorm_mode_16_64 3
		.amdhsa_dx10_clamp 1
		.amdhsa_ieee_mode 1
		.amdhsa_fp16_overflow 0
		.amdhsa_tg_split 0
		.amdhsa_exception_fp_ieee_invalid_op 0
		.amdhsa_exception_fp_denorm_src 0
		.amdhsa_exception_fp_ieee_div_zero 0
		.amdhsa_exception_fp_ieee_overflow 0
		.amdhsa_exception_fp_ieee_underflow 0
		.amdhsa_exception_fp_ieee_inexact 0
		.amdhsa_exception_int_div_zero 0
	.end_amdhsa_kernel
	.section	.text._ZN7rocprim17ROCPRIM_400000_NS6detail17trampoline_kernelINS0_14default_configENS1_25partition_config_selectorILNS1_17partition_subalgoE9EllbEEZZNS1_14partition_implILS5_9ELb0ES3_jPlS8_PNS0_10empty_typeENS0_5tupleIJS8_S9_EEENSB_IJS8_SA_EEENS0_18inequality_wrapperIZN2at6native12_GLOBAL__N_124unique_dim_cuda_templateIbEESt5tupleIJNSF_6TensorESK_SK_EERKSK_lbbbEUlllE0_EEPmJS9_EEE10hipError_tPvRmT3_T4_T5_T6_T7_T9_mT8_P12ihipStream_tbDpT10_ENKUlT_T0_E_clISt17integral_constantIbLb0EES19_IbLb1EEEEDaS15_S16_EUlS15_E_NS1_11comp_targetILNS1_3genE8ELNS1_11target_archE1030ELNS1_3gpuE2ELNS1_3repE0EEENS1_30default_config_static_selectorELNS0_4arch9wavefront6targetE1EEEvT1_,"axG",@progbits,_ZN7rocprim17ROCPRIM_400000_NS6detail17trampoline_kernelINS0_14default_configENS1_25partition_config_selectorILNS1_17partition_subalgoE9EllbEEZZNS1_14partition_implILS5_9ELb0ES3_jPlS8_PNS0_10empty_typeENS0_5tupleIJS8_S9_EEENSB_IJS8_SA_EEENS0_18inequality_wrapperIZN2at6native12_GLOBAL__N_124unique_dim_cuda_templateIbEESt5tupleIJNSF_6TensorESK_SK_EERKSK_lbbbEUlllE0_EEPmJS9_EEE10hipError_tPvRmT3_T4_T5_T6_T7_T9_mT8_P12ihipStream_tbDpT10_ENKUlT_T0_E_clISt17integral_constantIbLb0EES19_IbLb1EEEEDaS15_S16_EUlS15_E_NS1_11comp_targetILNS1_3genE8ELNS1_11target_archE1030ELNS1_3gpuE2ELNS1_3repE0EEENS1_30default_config_static_selectorELNS0_4arch9wavefront6targetE1EEEvT1_,comdat
.Lfunc_end1114:
	.size	_ZN7rocprim17ROCPRIM_400000_NS6detail17trampoline_kernelINS0_14default_configENS1_25partition_config_selectorILNS1_17partition_subalgoE9EllbEEZZNS1_14partition_implILS5_9ELb0ES3_jPlS8_PNS0_10empty_typeENS0_5tupleIJS8_S9_EEENSB_IJS8_SA_EEENS0_18inequality_wrapperIZN2at6native12_GLOBAL__N_124unique_dim_cuda_templateIbEESt5tupleIJNSF_6TensorESK_SK_EERKSK_lbbbEUlllE0_EEPmJS9_EEE10hipError_tPvRmT3_T4_T5_T6_T7_T9_mT8_P12ihipStream_tbDpT10_ENKUlT_T0_E_clISt17integral_constantIbLb0EES19_IbLb1EEEEDaS15_S16_EUlS15_E_NS1_11comp_targetILNS1_3genE8ELNS1_11target_archE1030ELNS1_3gpuE2ELNS1_3repE0EEENS1_30default_config_static_selectorELNS0_4arch9wavefront6targetE1EEEvT1_, .Lfunc_end1114-_ZN7rocprim17ROCPRIM_400000_NS6detail17trampoline_kernelINS0_14default_configENS1_25partition_config_selectorILNS1_17partition_subalgoE9EllbEEZZNS1_14partition_implILS5_9ELb0ES3_jPlS8_PNS0_10empty_typeENS0_5tupleIJS8_S9_EEENSB_IJS8_SA_EEENS0_18inequality_wrapperIZN2at6native12_GLOBAL__N_124unique_dim_cuda_templateIbEESt5tupleIJNSF_6TensorESK_SK_EERKSK_lbbbEUlllE0_EEPmJS9_EEE10hipError_tPvRmT3_T4_T5_T6_T7_T9_mT8_P12ihipStream_tbDpT10_ENKUlT_T0_E_clISt17integral_constantIbLb0EES19_IbLb1EEEEDaS15_S16_EUlS15_E_NS1_11comp_targetILNS1_3genE8ELNS1_11target_archE1030ELNS1_3gpuE2ELNS1_3repE0EEENS1_30default_config_static_selectorELNS0_4arch9wavefront6targetE1EEEvT1_
                                        ; -- End function
	.section	.AMDGPU.csdata,"",@progbits
; Kernel info:
; codeLenInByte = 0
; NumSgprs: 4
; NumVgprs: 0
; NumAgprs: 0
; TotalNumVgprs: 0
; ScratchSize: 0
; MemoryBound: 0
; FloatMode: 240
; IeeeMode: 1
; LDSByteSize: 0 bytes/workgroup (compile time only)
; SGPRBlocks: 0
; VGPRBlocks: 0
; NumSGPRsForWavesPerEU: 4
; NumVGPRsForWavesPerEU: 1
; AccumOffset: 4
; Occupancy: 8
; WaveLimiterHint : 0
; COMPUTE_PGM_RSRC2:SCRATCH_EN: 0
; COMPUTE_PGM_RSRC2:USER_SGPR: 6
; COMPUTE_PGM_RSRC2:TRAP_HANDLER: 0
; COMPUTE_PGM_RSRC2:TGID_X_EN: 1
; COMPUTE_PGM_RSRC2:TGID_Y_EN: 0
; COMPUTE_PGM_RSRC2:TGID_Z_EN: 0
; COMPUTE_PGM_RSRC2:TIDIG_COMP_CNT: 0
; COMPUTE_PGM_RSRC3_GFX90A:ACCUM_OFFSET: 0
; COMPUTE_PGM_RSRC3_GFX90A:TG_SPLIT: 0
	.section	.text._ZN7rocprim17ROCPRIM_400000_NS6detail17trampoline_kernelINS0_14default_configENS1_37merge_sort_block_sort_config_selectorIlNS0_10empty_typeEEEZNS1_21merge_sort_block_sortIS3_PlS8_PS5_S9_ZN2at6native12_GLOBAL__N_124unique_dim_cuda_templateIN3c108BFloat16EEESt5tupleIJNSA_6TensorESH_SH_EERKSH_lbbbEUlllE_EE10hipError_tT0_T1_T2_T3_mRjT4_P12ihipStream_tbNS1_7vsmem_tEEUlT_E_NS1_11comp_targetILNS1_3genE0ELNS1_11target_archE4294967295ELNS1_3gpuE0ELNS1_3repE0EEENS1_30default_config_static_selectorELNS0_4arch9wavefront6targetE1EEEvSO_,"axG",@progbits,_ZN7rocprim17ROCPRIM_400000_NS6detail17trampoline_kernelINS0_14default_configENS1_37merge_sort_block_sort_config_selectorIlNS0_10empty_typeEEEZNS1_21merge_sort_block_sortIS3_PlS8_PS5_S9_ZN2at6native12_GLOBAL__N_124unique_dim_cuda_templateIN3c108BFloat16EEESt5tupleIJNSA_6TensorESH_SH_EERKSH_lbbbEUlllE_EE10hipError_tT0_T1_T2_T3_mRjT4_P12ihipStream_tbNS1_7vsmem_tEEUlT_E_NS1_11comp_targetILNS1_3genE0ELNS1_11target_archE4294967295ELNS1_3gpuE0ELNS1_3repE0EEENS1_30default_config_static_selectorELNS0_4arch9wavefront6targetE1EEEvSO_,comdat
	.globl	_ZN7rocprim17ROCPRIM_400000_NS6detail17trampoline_kernelINS0_14default_configENS1_37merge_sort_block_sort_config_selectorIlNS0_10empty_typeEEEZNS1_21merge_sort_block_sortIS3_PlS8_PS5_S9_ZN2at6native12_GLOBAL__N_124unique_dim_cuda_templateIN3c108BFloat16EEESt5tupleIJNSA_6TensorESH_SH_EERKSH_lbbbEUlllE_EE10hipError_tT0_T1_T2_T3_mRjT4_P12ihipStream_tbNS1_7vsmem_tEEUlT_E_NS1_11comp_targetILNS1_3genE0ELNS1_11target_archE4294967295ELNS1_3gpuE0ELNS1_3repE0EEENS1_30default_config_static_selectorELNS0_4arch9wavefront6targetE1EEEvSO_ ; -- Begin function _ZN7rocprim17ROCPRIM_400000_NS6detail17trampoline_kernelINS0_14default_configENS1_37merge_sort_block_sort_config_selectorIlNS0_10empty_typeEEEZNS1_21merge_sort_block_sortIS3_PlS8_PS5_S9_ZN2at6native12_GLOBAL__N_124unique_dim_cuda_templateIN3c108BFloat16EEESt5tupleIJNSA_6TensorESH_SH_EERKSH_lbbbEUlllE_EE10hipError_tT0_T1_T2_T3_mRjT4_P12ihipStream_tbNS1_7vsmem_tEEUlT_E_NS1_11comp_targetILNS1_3genE0ELNS1_11target_archE4294967295ELNS1_3gpuE0ELNS1_3repE0EEENS1_30default_config_static_selectorELNS0_4arch9wavefront6targetE1EEEvSO_
	.p2align	8
	.type	_ZN7rocprim17ROCPRIM_400000_NS6detail17trampoline_kernelINS0_14default_configENS1_37merge_sort_block_sort_config_selectorIlNS0_10empty_typeEEEZNS1_21merge_sort_block_sortIS3_PlS8_PS5_S9_ZN2at6native12_GLOBAL__N_124unique_dim_cuda_templateIN3c108BFloat16EEESt5tupleIJNSA_6TensorESH_SH_EERKSH_lbbbEUlllE_EE10hipError_tT0_T1_T2_T3_mRjT4_P12ihipStream_tbNS1_7vsmem_tEEUlT_E_NS1_11comp_targetILNS1_3genE0ELNS1_11target_archE4294967295ELNS1_3gpuE0ELNS1_3repE0EEENS1_30default_config_static_selectorELNS0_4arch9wavefront6targetE1EEEvSO_,@function
_ZN7rocprim17ROCPRIM_400000_NS6detail17trampoline_kernelINS0_14default_configENS1_37merge_sort_block_sort_config_selectorIlNS0_10empty_typeEEEZNS1_21merge_sort_block_sortIS3_PlS8_PS5_S9_ZN2at6native12_GLOBAL__N_124unique_dim_cuda_templateIN3c108BFloat16EEESt5tupleIJNSA_6TensorESH_SH_EERKSH_lbbbEUlllE_EE10hipError_tT0_T1_T2_T3_mRjT4_P12ihipStream_tbNS1_7vsmem_tEEUlT_E_NS1_11comp_targetILNS1_3genE0ELNS1_11target_archE4294967295ELNS1_3gpuE0ELNS1_3repE0EEENS1_30default_config_static_selectorELNS0_4arch9wavefront6targetE1EEEvSO_: ; @_ZN7rocprim17ROCPRIM_400000_NS6detail17trampoline_kernelINS0_14default_configENS1_37merge_sort_block_sort_config_selectorIlNS0_10empty_typeEEEZNS1_21merge_sort_block_sortIS3_PlS8_PS5_S9_ZN2at6native12_GLOBAL__N_124unique_dim_cuda_templateIN3c108BFloat16EEESt5tupleIJNSA_6TensorESH_SH_EERKSH_lbbbEUlllE_EE10hipError_tT0_T1_T2_T3_mRjT4_P12ihipStream_tbNS1_7vsmem_tEEUlT_E_NS1_11comp_targetILNS1_3genE0ELNS1_11target_archE4294967295ELNS1_3gpuE0ELNS1_3repE0EEENS1_30default_config_static_selectorELNS0_4arch9wavefront6targetE1EEEvSO_
; %bb.0:
	.section	.rodata,"a",@progbits
	.p2align	6, 0x0
	.amdhsa_kernel _ZN7rocprim17ROCPRIM_400000_NS6detail17trampoline_kernelINS0_14default_configENS1_37merge_sort_block_sort_config_selectorIlNS0_10empty_typeEEEZNS1_21merge_sort_block_sortIS3_PlS8_PS5_S9_ZN2at6native12_GLOBAL__N_124unique_dim_cuda_templateIN3c108BFloat16EEESt5tupleIJNSA_6TensorESH_SH_EERKSH_lbbbEUlllE_EE10hipError_tT0_T1_T2_T3_mRjT4_P12ihipStream_tbNS1_7vsmem_tEEUlT_E_NS1_11comp_targetILNS1_3genE0ELNS1_11target_archE4294967295ELNS1_3gpuE0ELNS1_3repE0EEENS1_30default_config_static_selectorELNS0_4arch9wavefront6targetE1EEEvSO_
		.amdhsa_group_segment_fixed_size 0
		.amdhsa_private_segment_fixed_size 0
		.amdhsa_kernarg_size 72
		.amdhsa_user_sgpr_count 6
		.amdhsa_user_sgpr_private_segment_buffer 1
		.amdhsa_user_sgpr_dispatch_ptr 0
		.amdhsa_user_sgpr_queue_ptr 0
		.amdhsa_user_sgpr_kernarg_segment_ptr 1
		.amdhsa_user_sgpr_dispatch_id 0
		.amdhsa_user_sgpr_flat_scratch_init 0
		.amdhsa_user_sgpr_kernarg_preload_length 0
		.amdhsa_user_sgpr_kernarg_preload_offset 0
		.amdhsa_user_sgpr_private_segment_size 0
		.amdhsa_uses_dynamic_stack 0
		.amdhsa_system_sgpr_private_segment_wavefront_offset 0
		.amdhsa_system_sgpr_workgroup_id_x 1
		.amdhsa_system_sgpr_workgroup_id_y 0
		.amdhsa_system_sgpr_workgroup_id_z 0
		.amdhsa_system_sgpr_workgroup_info 0
		.amdhsa_system_vgpr_workitem_id 0
		.amdhsa_next_free_vgpr 1
		.amdhsa_next_free_sgpr 0
		.amdhsa_accum_offset 4
		.amdhsa_reserve_vcc 0
		.amdhsa_reserve_flat_scratch 0
		.amdhsa_float_round_mode_32 0
		.amdhsa_float_round_mode_16_64 0
		.amdhsa_float_denorm_mode_32 3
		.amdhsa_float_denorm_mode_16_64 3
		.amdhsa_dx10_clamp 1
		.amdhsa_ieee_mode 1
		.amdhsa_fp16_overflow 0
		.amdhsa_tg_split 0
		.amdhsa_exception_fp_ieee_invalid_op 0
		.amdhsa_exception_fp_denorm_src 0
		.amdhsa_exception_fp_ieee_div_zero 0
		.amdhsa_exception_fp_ieee_overflow 0
		.amdhsa_exception_fp_ieee_underflow 0
		.amdhsa_exception_fp_ieee_inexact 0
		.amdhsa_exception_int_div_zero 0
	.end_amdhsa_kernel
	.section	.text._ZN7rocprim17ROCPRIM_400000_NS6detail17trampoline_kernelINS0_14default_configENS1_37merge_sort_block_sort_config_selectorIlNS0_10empty_typeEEEZNS1_21merge_sort_block_sortIS3_PlS8_PS5_S9_ZN2at6native12_GLOBAL__N_124unique_dim_cuda_templateIN3c108BFloat16EEESt5tupleIJNSA_6TensorESH_SH_EERKSH_lbbbEUlllE_EE10hipError_tT0_T1_T2_T3_mRjT4_P12ihipStream_tbNS1_7vsmem_tEEUlT_E_NS1_11comp_targetILNS1_3genE0ELNS1_11target_archE4294967295ELNS1_3gpuE0ELNS1_3repE0EEENS1_30default_config_static_selectorELNS0_4arch9wavefront6targetE1EEEvSO_,"axG",@progbits,_ZN7rocprim17ROCPRIM_400000_NS6detail17trampoline_kernelINS0_14default_configENS1_37merge_sort_block_sort_config_selectorIlNS0_10empty_typeEEEZNS1_21merge_sort_block_sortIS3_PlS8_PS5_S9_ZN2at6native12_GLOBAL__N_124unique_dim_cuda_templateIN3c108BFloat16EEESt5tupleIJNSA_6TensorESH_SH_EERKSH_lbbbEUlllE_EE10hipError_tT0_T1_T2_T3_mRjT4_P12ihipStream_tbNS1_7vsmem_tEEUlT_E_NS1_11comp_targetILNS1_3genE0ELNS1_11target_archE4294967295ELNS1_3gpuE0ELNS1_3repE0EEENS1_30default_config_static_selectorELNS0_4arch9wavefront6targetE1EEEvSO_,comdat
.Lfunc_end1115:
	.size	_ZN7rocprim17ROCPRIM_400000_NS6detail17trampoline_kernelINS0_14default_configENS1_37merge_sort_block_sort_config_selectorIlNS0_10empty_typeEEEZNS1_21merge_sort_block_sortIS3_PlS8_PS5_S9_ZN2at6native12_GLOBAL__N_124unique_dim_cuda_templateIN3c108BFloat16EEESt5tupleIJNSA_6TensorESH_SH_EERKSH_lbbbEUlllE_EE10hipError_tT0_T1_T2_T3_mRjT4_P12ihipStream_tbNS1_7vsmem_tEEUlT_E_NS1_11comp_targetILNS1_3genE0ELNS1_11target_archE4294967295ELNS1_3gpuE0ELNS1_3repE0EEENS1_30default_config_static_selectorELNS0_4arch9wavefront6targetE1EEEvSO_, .Lfunc_end1115-_ZN7rocprim17ROCPRIM_400000_NS6detail17trampoline_kernelINS0_14default_configENS1_37merge_sort_block_sort_config_selectorIlNS0_10empty_typeEEEZNS1_21merge_sort_block_sortIS3_PlS8_PS5_S9_ZN2at6native12_GLOBAL__N_124unique_dim_cuda_templateIN3c108BFloat16EEESt5tupleIJNSA_6TensorESH_SH_EERKSH_lbbbEUlllE_EE10hipError_tT0_T1_T2_T3_mRjT4_P12ihipStream_tbNS1_7vsmem_tEEUlT_E_NS1_11comp_targetILNS1_3genE0ELNS1_11target_archE4294967295ELNS1_3gpuE0ELNS1_3repE0EEENS1_30default_config_static_selectorELNS0_4arch9wavefront6targetE1EEEvSO_
                                        ; -- End function
	.section	.AMDGPU.csdata,"",@progbits
; Kernel info:
; codeLenInByte = 0
; NumSgprs: 4
; NumVgprs: 0
; NumAgprs: 0
; TotalNumVgprs: 0
; ScratchSize: 0
; MemoryBound: 0
; FloatMode: 240
; IeeeMode: 1
; LDSByteSize: 0 bytes/workgroup (compile time only)
; SGPRBlocks: 0
; VGPRBlocks: 0
; NumSGPRsForWavesPerEU: 4
; NumVGPRsForWavesPerEU: 1
; AccumOffset: 4
; Occupancy: 8
; WaveLimiterHint : 0
; COMPUTE_PGM_RSRC2:SCRATCH_EN: 0
; COMPUTE_PGM_RSRC2:USER_SGPR: 6
; COMPUTE_PGM_RSRC2:TRAP_HANDLER: 0
; COMPUTE_PGM_RSRC2:TGID_X_EN: 1
; COMPUTE_PGM_RSRC2:TGID_Y_EN: 0
; COMPUTE_PGM_RSRC2:TGID_Z_EN: 0
; COMPUTE_PGM_RSRC2:TIDIG_COMP_CNT: 0
; COMPUTE_PGM_RSRC3_GFX90A:ACCUM_OFFSET: 0
; COMPUTE_PGM_RSRC3_GFX90A:TG_SPLIT: 0
	.section	.text._ZN7rocprim17ROCPRIM_400000_NS6detail17trampoline_kernelINS0_14default_configENS1_37merge_sort_block_sort_config_selectorIlNS0_10empty_typeEEEZNS1_21merge_sort_block_sortIS3_PlS8_PS5_S9_ZN2at6native12_GLOBAL__N_124unique_dim_cuda_templateIN3c108BFloat16EEESt5tupleIJNSA_6TensorESH_SH_EERKSH_lbbbEUlllE_EE10hipError_tT0_T1_T2_T3_mRjT4_P12ihipStream_tbNS1_7vsmem_tEEUlT_E_NS1_11comp_targetILNS1_3genE5ELNS1_11target_archE942ELNS1_3gpuE9ELNS1_3repE0EEENS1_30default_config_static_selectorELNS0_4arch9wavefront6targetE1EEEvSO_,"axG",@progbits,_ZN7rocprim17ROCPRIM_400000_NS6detail17trampoline_kernelINS0_14default_configENS1_37merge_sort_block_sort_config_selectorIlNS0_10empty_typeEEEZNS1_21merge_sort_block_sortIS3_PlS8_PS5_S9_ZN2at6native12_GLOBAL__N_124unique_dim_cuda_templateIN3c108BFloat16EEESt5tupleIJNSA_6TensorESH_SH_EERKSH_lbbbEUlllE_EE10hipError_tT0_T1_T2_T3_mRjT4_P12ihipStream_tbNS1_7vsmem_tEEUlT_E_NS1_11comp_targetILNS1_3genE5ELNS1_11target_archE942ELNS1_3gpuE9ELNS1_3repE0EEENS1_30default_config_static_selectorELNS0_4arch9wavefront6targetE1EEEvSO_,comdat
	.globl	_ZN7rocprim17ROCPRIM_400000_NS6detail17trampoline_kernelINS0_14default_configENS1_37merge_sort_block_sort_config_selectorIlNS0_10empty_typeEEEZNS1_21merge_sort_block_sortIS3_PlS8_PS5_S9_ZN2at6native12_GLOBAL__N_124unique_dim_cuda_templateIN3c108BFloat16EEESt5tupleIJNSA_6TensorESH_SH_EERKSH_lbbbEUlllE_EE10hipError_tT0_T1_T2_T3_mRjT4_P12ihipStream_tbNS1_7vsmem_tEEUlT_E_NS1_11comp_targetILNS1_3genE5ELNS1_11target_archE942ELNS1_3gpuE9ELNS1_3repE0EEENS1_30default_config_static_selectorELNS0_4arch9wavefront6targetE1EEEvSO_ ; -- Begin function _ZN7rocprim17ROCPRIM_400000_NS6detail17trampoline_kernelINS0_14default_configENS1_37merge_sort_block_sort_config_selectorIlNS0_10empty_typeEEEZNS1_21merge_sort_block_sortIS3_PlS8_PS5_S9_ZN2at6native12_GLOBAL__N_124unique_dim_cuda_templateIN3c108BFloat16EEESt5tupleIJNSA_6TensorESH_SH_EERKSH_lbbbEUlllE_EE10hipError_tT0_T1_T2_T3_mRjT4_P12ihipStream_tbNS1_7vsmem_tEEUlT_E_NS1_11comp_targetILNS1_3genE5ELNS1_11target_archE942ELNS1_3gpuE9ELNS1_3repE0EEENS1_30default_config_static_selectorELNS0_4arch9wavefront6targetE1EEEvSO_
	.p2align	8
	.type	_ZN7rocprim17ROCPRIM_400000_NS6detail17trampoline_kernelINS0_14default_configENS1_37merge_sort_block_sort_config_selectorIlNS0_10empty_typeEEEZNS1_21merge_sort_block_sortIS3_PlS8_PS5_S9_ZN2at6native12_GLOBAL__N_124unique_dim_cuda_templateIN3c108BFloat16EEESt5tupleIJNSA_6TensorESH_SH_EERKSH_lbbbEUlllE_EE10hipError_tT0_T1_T2_T3_mRjT4_P12ihipStream_tbNS1_7vsmem_tEEUlT_E_NS1_11comp_targetILNS1_3genE5ELNS1_11target_archE942ELNS1_3gpuE9ELNS1_3repE0EEENS1_30default_config_static_selectorELNS0_4arch9wavefront6targetE1EEEvSO_,@function
_ZN7rocprim17ROCPRIM_400000_NS6detail17trampoline_kernelINS0_14default_configENS1_37merge_sort_block_sort_config_selectorIlNS0_10empty_typeEEEZNS1_21merge_sort_block_sortIS3_PlS8_PS5_S9_ZN2at6native12_GLOBAL__N_124unique_dim_cuda_templateIN3c108BFloat16EEESt5tupleIJNSA_6TensorESH_SH_EERKSH_lbbbEUlllE_EE10hipError_tT0_T1_T2_T3_mRjT4_P12ihipStream_tbNS1_7vsmem_tEEUlT_E_NS1_11comp_targetILNS1_3genE5ELNS1_11target_archE942ELNS1_3gpuE9ELNS1_3repE0EEENS1_30default_config_static_selectorELNS0_4arch9wavefront6targetE1EEEvSO_: ; @_ZN7rocprim17ROCPRIM_400000_NS6detail17trampoline_kernelINS0_14default_configENS1_37merge_sort_block_sort_config_selectorIlNS0_10empty_typeEEEZNS1_21merge_sort_block_sortIS3_PlS8_PS5_S9_ZN2at6native12_GLOBAL__N_124unique_dim_cuda_templateIN3c108BFloat16EEESt5tupleIJNSA_6TensorESH_SH_EERKSH_lbbbEUlllE_EE10hipError_tT0_T1_T2_T3_mRjT4_P12ihipStream_tbNS1_7vsmem_tEEUlT_E_NS1_11comp_targetILNS1_3genE5ELNS1_11target_archE942ELNS1_3gpuE9ELNS1_3repE0EEENS1_30default_config_static_selectorELNS0_4arch9wavefront6targetE1EEEvSO_
; %bb.0:
	.section	.rodata,"a",@progbits
	.p2align	6, 0x0
	.amdhsa_kernel _ZN7rocprim17ROCPRIM_400000_NS6detail17trampoline_kernelINS0_14default_configENS1_37merge_sort_block_sort_config_selectorIlNS0_10empty_typeEEEZNS1_21merge_sort_block_sortIS3_PlS8_PS5_S9_ZN2at6native12_GLOBAL__N_124unique_dim_cuda_templateIN3c108BFloat16EEESt5tupleIJNSA_6TensorESH_SH_EERKSH_lbbbEUlllE_EE10hipError_tT0_T1_T2_T3_mRjT4_P12ihipStream_tbNS1_7vsmem_tEEUlT_E_NS1_11comp_targetILNS1_3genE5ELNS1_11target_archE942ELNS1_3gpuE9ELNS1_3repE0EEENS1_30default_config_static_selectorELNS0_4arch9wavefront6targetE1EEEvSO_
		.amdhsa_group_segment_fixed_size 0
		.amdhsa_private_segment_fixed_size 0
		.amdhsa_kernarg_size 72
		.amdhsa_user_sgpr_count 6
		.amdhsa_user_sgpr_private_segment_buffer 1
		.amdhsa_user_sgpr_dispatch_ptr 0
		.amdhsa_user_sgpr_queue_ptr 0
		.amdhsa_user_sgpr_kernarg_segment_ptr 1
		.amdhsa_user_sgpr_dispatch_id 0
		.amdhsa_user_sgpr_flat_scratch_init 0
		.amdhsa_user_sgpr_kernarg_preload_length 0
		.amdhsa_user_sgpr_kernarg_preload_offset 0
		.amdhsa_user_sgpr_private_segment_size 0
		.amdhsa_uses_dynamic_stack 0
		.amdhsa_system_sgpr_private_segment_wavefront_offset 0
		.amdhsa_system_sgpr_workgroup_id_x 1
		.amdhsa_system_sgpr_workgroup_id_y 0
		.amdhsa_system_sgpr_workgroup_id_z 0
		.amdhsa_system_sgpr_workgroup_info 0
		.amdhsa_system_vgpr_workitem_id 0
		.amdhsa_next_free_vgpr 1
		.amdhsa_next_free_sgpr 0
		.amdhsa_accum_offset 4
		.amdhsa_reserve_vcc 0
		.amdhsa_reserve_flat_scratch 0
		.amdhsa_float_round_mode_32 0
		.amdhsa_float_round_mode_16_64 0
		.amdhsa_float_denorm_mode_32 3
		.amdhsa_float_denorm_mode_16_64 3
		.amdhsa_dx10_clamp 1
		.amdhsa_ieee_mode 1
		.amdhsa_fp16_overflow 0
		.amdhsa_tg_split 0
		.amdhsa_exception_fp_ieee_invalid_op 0
		.amdhsa_exception_fp_denorm_src 0
		.amdhsa_exception_fp_ieee_div_zero 0
		.amdhsa_exception_fp_ieee_overflow 0
		.amdhsa_exception_fp_ieee_underflow 0
		.amdhsa_exception_fp_ieee_inexact 0
		.amdhsa_exception_int_div_zero 0
	.end_amdhsa_kernel
	.section	.text._ZN7rocprim17ROCPRIM_400000_NS6detail17trampoline_kernelINS0_14default_configENS1_37merge_sort_block_sort_config_selectorIlNS0_10empty_typeEEEZNS1_21merge_sort_block_sortIS3_PlS8_PS5_S9_ZN2at6native12_GLOBAL__N_124unique_dim_cuda_templateIN3c108BFloat16EEESt5tupleIJNSA_6TensorESH_SH_EERKSH_lbbbEUlllE_EE10hipError_tT0_T1_T2_T3_mRjT4_P12ihipStream_tbNS1_7vsmem_tEEUlT_E_NS1_11comp_targetILNS1_3genE5ELNS1_11target_archE942ELNS1_3gpuE9ELNS1_3repE0EEENS1_30default_config_static_selectorELNS0_4arch9wavefront6targetE1EEEvSO_,"axG",@progbits,_ZN7rocprim17ROCPRIM_400000_NS6detail17trampoline_kernelINS0_14default_configENS1_37merge_sort_block_sort_config_selectorIlNS0_10empty_typeEEEZNS1_21merge_sort_block_sortIS3_PlS8_PS5_S9_ZN2at6native12_GLOBAL__N_124unique_dim_cuda_templateIN3c108BFloat16EEESt5tupleIJNSA_6TensorESH_SH_EERKSH_lbbbEUlllE_EE10hipError_tT0_T1_T2_T3_mRjT4_P12ihipStream_tbNS1_7vsmem_tEEUlT_E_NS1_11comp_targetILNS1_3genE5ELNS1_11target_archE942ELNS1_3gpuE9ELNS1_3repE0EEENS1_30default_config_static_selectorELNS0_4arch9wavefront6targetE1EEEvSO_,comdat
.Lfunc_end1116:
	.size	_ZN7rocprim17ROCPRIM_400000_NS6detail17trampoline_kernelINS0_14default_configENS1_37merge_sort_block_sort_config_selectorIlNS0_10empty_typeEEEZNS1_21merge_sort_block_sortIS3_PlS8_PS5_S9_ZN2at6native12_GLOBAL__N_124unique_dim_cuda_templateIN3c108BFloat16EEESt5tupleIJNSA_6TensorESH_SH_EERKSH_lbbbEUlllE_EE10hipError_tT0_T1_T2_T3_mRjT4_P12ihipStream_tbNS1_7vsmem_tEEUlT_E_NS1_11comp_targetILNS1_3genE5ELNS1_11target_archE942ELNS1_3gpuE9ELNS1_3repE0EEENS1_30default_config_static_selectorELNS0_4arch9wavefront6targetE1EEEvSO_, .Lfunc_end1116-_ZN7rocprim17ROCPRIM_400000_NS6detail17trampoline_kernelINS0_14default_configENS1_37merge_sort_block_sort_config_selectorIlNS0_10empty_typeEEEZNS1_21merge_sort_block_sortIS3_PlS8_PS5_S9_ZN2at6native12_GLOBAL__N_124unique_dim_cuda_templateIN3c108BFloat16EEESt5tupleIJNSA_6TensorESH_SH_EERKSH_lbbbEUlllE_EE10hipError_tT0_T1_T2_T3_mRjT4_P12ihipStream_tbNS1_7vsmem_tEEUlT_E_NS1_11comp_targetILNS1_3genE5ELNS1_11target_archE942ELNS1_3gpuE9ELNS1_3repE0EEENS1_30default_config_static_selectorELNS0_4arch9wavefront6targetE1EEEvSO_
                                        ; -- End function
	.section	.AMDGPU.csdata,"",@progbits
; Kernel info:
; codeLenInByte = 0
; NumSgprs: 4
; NumVgprs: 0
; NumAgprs: 0
; TotalNumVgprs: 0
; ScratchSize: 0
; MemoryBound: 0
; FloatMode: 240
; IeeeMode: 1
; LDSByteSize: 0 bytes/workgroup (compile time only)
; SGPRBlocks: 0
; VGPRBlocks: 0
; NumSGPRsForWavesPerEU: 4
; NumVGPRsForWavesPerEU: 1
; AccumOffset: 4
; Occupancy: 8
; WaveLimiterHint : 0
; COMPUTE_PGM_RSRC2:SCRATCH_EN: 0
; COMPUTE_PGM_RSRC2:USER_SGPR: 6
; COMPUTE_PGM_RSRC2:TRAP_HANDLER: 0
; COMPUTE_PGM_RSRC2:TGID_X_EN: 1
; COMPUTE_PGM_RSRC2:TGID_Y_EN: 0
; COMPUTE_PGM_RSRC2:TGID_Z_EN: 0
; COMPUTE_PGM_RSRC2:TIDIG_COMP_CNT: 0
; COMPUTE_PGM_RSRC3_GFX90A:ACCUM_OFFSET: 0
; COMPUTE_PGM_RSRC3_GFX90A:TG_SPLIT: 0
	.section	.text._ZN7rocprim17ROCPRIM_400000_NS6detail17trampoline_kernelINS0_14default_configENS1_37merge_sort_block_sort_config_selectorIlNS0_10empty_typeEEEZNS1_21merge_sort_block_sortIS3_PlS8_PS5_S9_ZN2at6native12_GLOBAL__N_124unique_dim_cuda_templateIN3c108BFloat16EEESt5tupleIJNSA_6TensorESH_SH_EERKSH_lbbbEUlllE_EE10hipError_tT0_T1_T2_T3_mRjT4_P12ihipStream_tbNS1_7vsmem_tEEUlT_E_NS1_11comp_targetILNS1_3genE4ELNS1_11target_archE910ELNS1_3gpuE8ELNS1_3repE0EEENS1_30default_config_static_selectorELNS0_4arch9wavefront6targetE1EEEvSO_,"axG",@progbits,_ZN7rocprim17ROCPRIM_400000_NS6detail17trampoline_kernelINS0_14default_configENS1_37merge_sort_block_sort_config_selectorIlNS0_10empty_typeEEEZNS1_21merge_sort_block_sortIS3_PlS8_PS5_S9_ZN2at6native12_GLOBAL__N_124unique_dim_cuda_templateIN3c108BFloat16EEESt5tupleIJNSA_6TensorESH_SH_EERKSH_lbbbEUlllE_EE10hipError_tT0_T1_T2_T3_mRjT4_P12ihipStream_tbNS1_7vsmem_tEEUlT_E_NS1_11comp_targetILNS1_3genE4ELNS1_11target_archE910ELNS1_3gpuE8ELNS1_3repE0EEENS1_30default_config_static_selectorELNS0_4arch9wavefront6targetE1EEEvSO_,comdat
	.globl	_ZN7rocprim17ROCPRIM_400000_NS6detail17trampoline_kernelINS0_14default_configENS1_37merge_sort_block_sort_config_selectorIlNS0_10empty_typeEEEZNS1_21merge_sort_block_sortIS3_PlS8_PS5_S9_ZN2at6native12_GLOBAL__N_124unique_dim_cuda_templateIN3c108BFloat16EEESt5tupleIJNSA_6TensorESH_SH_EERKSH_lbbbEUlllE_EE10hipError_tT0_T1_T2_T3_mRjT4_P12ihipStream_tbNS1_7vsmem_tEEUlT_E_NS1_11comp_targetILNS1_3genE4ELNS1_11target_archE910ELNS1_3gpuE8ELNS1_3repE0EEENS1_30default_config_static_selectorELNS0_4arch9wavefront6targetE1EEEvSO_ ; -- Begin function _ZN7rocprim17ROCPRIM_400000_NS6detail17trampoline_kernelINS0_14default_configENS1_37merge_sort_block_sort_config_selectorIlNS0_10empty_typeEEEZNS1_21merge_sort_block_sortIS3_PlS8_PS5_S9_ZN2at6native12_GLOBAL__N_124unique_dim_cuda_templateIN3c108BFloat16EEESt5tupleIJNSA_6TensorESH_SH_EERKSH_lbbbEUlllE_EE10hipError_tT0_T1_T2_T3_mRjT4_P12ihipStream_tbNS1_7vsmem_tEEUlT_E_NS1_11comp_targetILNS1_3genE4ELNS1_11target_archE910ELNS1_3gpuE8ELNS1_3repE0EEENS1_30default_config_static_selectorELNS0_4arch9wavefront6targetE1EEEvSO_
	.p2align	8
	.type	_ZN7rocprim17ROCPRIM_400000_NS6detail17trampoline_kernelINS0_14default_configENS1_37merge_sort_block_sort_config_selectorIlNS0_10empty_typeEEEZNS1_21merge_sort_block_sortIS3_PlS8_PS5_S9_ZN2at6native12_GLOBAL__N_124unique_dim_cuda_templateIN3c108BFloat16EEESt5tupleIJNSA_6TensorESH_SH_EERKSH_lbbbEUlllE_EE10hipError_tT0_T1_T2_T3_mRjT4_P12ihipStream_tbNS1_7vsmem_tEEUlT_E_NS1_11comp_targetILNS1_3genE4ELNS1_11target_archE910ELNS1_3gpuE8ELNS1_3repE0EEENS1_30default_config_static_selectorELNS0_4arch9wavefront6targetE1EEEvSO_,@function
_ZN7rocprim17ROCPRIM_400000_NS6detail17trampoline_kernelINS0_14default_configENS1_37merge_sort_block_sort_config_selectorIlNS0_10empty_typeEEEZNS1_21merge_sort_block_sortIS3_PlS8_PS5_S9_ZN2at6native12_GLOBAL__N_124unique_dim_cuda_templateIN3c108BFloat16EEESt5tupleIJNSA_6TensorESH_SH_EERKSH_lbbbEUlllE_EE10hipError_tT0_T1_T2_T3_mRjT4_P12ihipStream_tbNS1_7vsmem_tEEUlT_E_NS1_11comp_targetILNS1_3genE4ELNS1_11target_archE910ELNS1_3gpuE8ELNS1_3repE0EEENS1_30default_config_static_selectorELNS0_4arch9wavefront6targetE1EEEvSO_: ; @_ZN7rocprim17ROCPRIM_400000_NS6detail17trampoline_kernelINS0_14default_configENS1_37merge_sort_block_sort_config_selectorIlNS0_10empty_typeEEEZNS1_21merge_sort_block_sortIS3_PlS8_PS5_S9_ZN2at6native12_GLOBAL__N_124unique_dim_cuda_templateIN3c108BFloat16EEESt5tupleIJNSA_6TensorESH_SH_EERKSH_lbbbEUlllE_EE10hipError_tT0_T1_T2_T3_mRjT4_P12ihipStream_tbNS1_7vsmem_tEEUlT_E_NS1_11comp_targetILNS1_3genE4ELNS1_11target_archE910ELNS1_3gpuE8ELNS1_3repE0EEENS1_30default_config_static_selectorELNS0_4arch9wavefront6targetE1EEEvSO_
; %bb.0:
	s_load_dwordx2 s[18:19], s[4:5], 0x48
	s_load_dword s0, s[4:5], 0x0
	s_add_u32 s10, s4, 0x48
	s_addc_u32 s11, s5, 0
	s_waitcnt lgkmcnt(0)
	s_mul_i32 s1, s19, s8
	s_add_i32 s1, s1, s7
	s_mul_i32 s1, s1, s18
	s_add_i32 s20, s1, s6
	s_cmp_ge_u32 s20, s0
	s_cbranch_scc1 .LBB1117_879
; %bb.1:
	s_load_dwordx2 s[22:23], s[4:5], 0x8
	s_load_dwordx4 s[0:3], s[4:5], 0x18
	s_load_dwordx4 s[12:15], s[4:5], 0x38
	s_mov_b32 s21, 0
	s_lshl_b64 s[4:5], s[20:21], 13
	s_waitcnt lgkmcnt(0)
	s_lshr_b64 s[24:25], s[22:23], 10
	s_add_u32 s8, s0, s4
	s_addc_u32 s9, s1, s5
	s_add_u32 s16, s2, s4
	s_addc_u32 s17, s3, s5
	v_and_b32_e32 v12, 0x3ff, v0
	s_cmp_lg_u64 s[24:25], s[20:21]
	v_bfe_u32 v24, v0, 10, 10
	v_bfe_u32 v25, v0, 20, 10
	v_lshlrev_b32_e32 v22, 3, v12
	v_lshrrev_b32_e32 v27, 2, v12
	v_lshlrev_b32_e32 v23, 2, v12
	v_lshrrev_b32_e32 v26, 3, v12
	v_cmp_gt_i64_e64 s[4:5], s[12:13], 0
	s_cbranch_scc0 .LBB1117_10
; %bb.2:
	v_mov_b32_e32 v0, s9
	v_add_co_u32_e32 v4, vcc, s8, v22
	v_addc_co_u32_e32 v5, vcc, 0, v0, vcc
	v_add_co_u32_e32 v4, vcc, 0x1000, v4
	v_addc_co_u32_e32 v5, vcc, 0, v5, vcc
	global_load_dwordx2 v[0:1], v22, s[8:9]
	global_load_dwordx2 v[2:3], v22, s[8:9] offset:2048
	global_load_dwordx2 v[6:7], v[4:5], off
	global_load_dwordx2 v[8:9], v[4:5], off offset:2048
	v_and_b32_e32 v4, 0xf8, v27
	v_add_u32_e32 v5, 0x100, v12
	v_add_u32_e32 v10, 0x200, v12
	v_add_u32_e32 v11, 0x300, v12
	v_add_u32_e32 v28, v4, v22
	v_lshrrev_b32_e32 v4, 2, v5
	v_lshrrev_b32_e32 v5, 2, v10
	;; [unrolled: 1-line block ×3, first 2 shown]
	v_add_lshl_u32 v29, v26, v23, 3
	v_and_b32_e32 v4, 0x1f8, v4
	v_and_b32_e32 v5, 0x1f8, v5
	;; [unrolled: 1-line block ×3, first 2 shown]
	v_add_u32_e32 v30, v4, v22
	v_add_u32_e32 v31, v5, v22
	;; [unrolled: 1-line block ×3, first 2 shown]
	v_mov_b32_e32 v13, 0
	v_cndmask_b32_e64 v15, 0, 1, s[4:5]
	s_waitcnt vmcnt(3)
	ds_write_b64 v28, v[0:1]
	s_waitcnt vmcnt(2)
	ds_write_b64 v30, v[2:3] offset:2048
	s_waitcnt vmcnt(1)
	ds_write_b64 v31, v[6:7] offset:4096
	s_waitcnt vmcnt(0)
	ds_write_b64 v32, v[8:9] offset:6144
	s_waitcnt lgkmcnt(0)
	s_barrier
	ds_read2_b64 v[8:11], v29 offset1:1
	ds_read2_b64 v[4:7], v29 offset0:2 offset1:3
	s_waitcnt lgkmcnt(0)
	s_barrier
	s_load_dword s0, s[10:11], 0xc
	v_mov_b32_e32 v0, v8
	v_mov_b32_e32 v1, v9
	;; [unrolled: 1-line block ×4, first 2 shown]
	s_waitcnt lgkmcnt(0)
	s_lshr_b32 s2, s0, 16
	s_cmp_lt_u32 s6, s18
	s_cselect_b32 s0, 12, 18
	s_add_u32 s0, s10, s0
	s_addc_u32 s1, s11, 0
	global_load_ushort v14, v13, s[0:1]
	v_mad_u32_u24 v16, v25, s2, v24
	s_movk_i32 s0, 0x400
	s_waitcnt vmcnt(0)
	v_mul_lo_u32 v14, v16, v14
	v_add_lshl_u32 v33, v14, v12, 2
	v_cmp_gt_u32_e32 vcc, s0, v33
	v_cmp_ne_u32_e64 s[0:1], 1, v15
	s_and_saveexec_b64 s[2:3], vcc
	s_cbranch_execz .LBB1117_72
; %bb.3:
	s_and_b64 vcc, exec, s[0:1]
	s_cbranch_vccnz .LBB1117_16
; %bb.4:
	v_mul_lo_u32 v16, v11, s12
	v_mul_lo_u32 v17, v10, s13
	v_mad_u64_u32 v[14:15], s[24:25], v10, s12, 0
	v_add3_u32 v15, v15, v17, v16
	v_lshlrev_b64 v[14:15], 1, v[14:15]
	v_mov_b32_e32 v16, s15
	v_add_co_u32_e32 v14, vcc, s14, v14
	v_addc_co_u32_e32 v15, vcc, v16, v15, vcc
	v_mul_lo_u32 v18, v9, s12
	v_mul_lo_u32 v19, v8, s13
	v_mad_u64_u32 v[16:17], s[24:25], v8, s12, 0
	v_add3_u32 v17, v17, v19, v18
	v_lshlrev_b64 v[16:17], 1, v[16:17]
	v_mov_b32_e32 v18, s15
	v_add_co_u32_e32 v16, vcc, s14, v16
	v_addc_co_u32_e32 v17, vcc, v18, v17, vcc
	s_mov_b64 s[28:29], 0
	s_mov_b64 s[36:37], s[12:13]
                                        ; implicit-def: $sgpr24_sgpr25
                                        ; implicit-def: $sgpr26_sgpr27
                                        ; implicit-def: $sgpr30_sgpr31
                                        ; implicit-def: $sgpr34_sgpr35
                                        ; implicit-def: $sgpr38_sgpr39
	s_branch .LBB1117_6
.LBB1117_5:                             ;   in Loop: Header=BB1117_6 Depth=1
	s_or_b64 exec, exec, s[42:43]
	s_and_b64 s[40:41], exec, s[40:41]
	s_or_b64 s[28:29], s[40:41], s[28:29]
	s_andn2_b64 s[26:27], s[26:27], exec
	s_and_b64 s[40:41], s[30:31], exec
	s_or_b64 s[26:27], s[26:27], s[40:41]
	s_andn2_b64 s[24:25], s[24:25], exec
	s_and_b64 s[40:41], s[34:35], exec
	s_or_b64 s[24:25], s[24:25], s[40:41]
	s_andn2_b64 exec, exec, s[28:29]
	s_cbranch_execz .LBB1117_11
.LBB1117_6:                             ; =>This Inner Loop Header: Depth=1
	global_load_ushort v18, v[14:15], off
	global_load_ushort v19, v[16:17], off
	s_or_b64 s[34:35], s[34:35], exec
	s_mov_b64 s[44:45], 0
	s_waitcnt vmcnt(1)
	v_lshlrev_b32_e32 v18, 16, v18
	s_waitcnt vmcnt(0)
	v_lshlrev_b32_e32 v19, 16, v19
	v_cmp_nlt_f32_e32 vcc, v18, v19
	s_and_saveexec_b64 s[40:41], vcc
; %bb.7:                                ;   in Loop: Header=BB1117_6 Depth=1
	v_cmp_ngt_f32_e32 vcc, v18, v19
	s_and_b64 s[38:39], vcc, s[38:39]
	s_andn2_b64 s[34:35], s[34:35], exec
	s_and_b64 s[38:39], s[38:39], exec
	s_or_b64 s[34:35], s[34:35], s[38:39]
	s_and_b64 s[44:45], vcc, exec
; %bb.8:                                ;   in Loop: Header=BB1117_6 Depth=1
	s_or_b64 exec, exec, s[40:41]
	s_mov_b64 s[40:41], -1
	s_or_b64 s[30:31], s[30:31], exec
                                        ; implicit-def: $sgpr38_sgpr39
	s_and_saveexec_b64 s[42:43], s[44:45]
	s_cbranch_execz .LBB1117_5
; %bb.9:                                ;   in Loop: Header=BB1117_6 Depth=1
	s_add_u32 s36, s36, -1
	v_add_co_u32_e32 v14, vcc, 2, v14
	s_addc_u32 s37, s37, -1
	v_addc_co_u32_e32 v15, vcc, 0, v15, vcc
	s_cmp_eq_u64 s[36:37], 0
	v_add_co_u32_e32 v16, vcc, 2, v16
	s_cselect_b64 s[40:41], -1, 0
	v_addc_co_u32_e32 v17, vcc, 0, v17, vcc
	s_and_b64 s[38:39], s[34:35], exec
	s_andn2_b64 s[30:31], s[30:31], exec
	s_orn2_b64 s[40:41], s[40:41], exec
	s_branch .LBB1117_5
.LBB1117_10:
	s_mov_b64 s[24:25], 0
                                        ; implicit-def: $vgpr0_vgpr1
	s_cbranch_execnz .LBB1117_521
	s_branch .LBB1117_877
.LBB1117_11:
	s_or_b64 exec, exec, s[28:29]
	s_and_saveexec_b64 s[28:29], s[26:27]
	s_xor_b64 s[26:27], exec, s[28:29]
	s_cbranch_execz .LBB1117_15
; %bb.12:
	v_pk_mov_b32 v[14:15], v[10:11], v[10:11] op_sel:[0,1]
	s_and_saveexec_b64 s[28:29], s[24:25]
; %bb.13:
	v_mov_b32_e32 v0, v10
	v_mov_b32_e32 v1, v11
	;; [unrolled: 1-line block ×4, first 2 shown]
	v_pk_mov_b32 v[14:15], v[8:9], v[8:9] op_sel:[0,1]
	v_pk_mov_b32 v[8:9], v[10:11], v[10:11] op_sel:[0,1]
; %bb.14:
	s_or_b64 exec, exec, s[28:29]
	v_pk_mov_b32 v[10:11], v[14:15], v[14:15] op_sel:[0,1]
.LBB1117_15:
	s_or_b64 exec, exec, s[26:27]
.LBB1117_16:
	v_mov_b32_e32 v16, v6
	v_mov_b32_e32 v17, v7
	;; [unrolled: 1-line block ×3, first 2 shown]
	s_and_b64 vcc, exec, s[0:1]
	v_mov_b32_e32 v15, v5
	s_cbranch_vccnz .LBB1117_28
; %bb.17:
	v_mul_lo_u32 v20, v7, s12
	v_mul_lo_u32 v21, v6, s13
	v_mad_u64_u32 v[18:19], s[24:25], v6, s12, 0
	v_add3_u32 v19, v19, v21, v20
	v_lshlrev_b64 v[18:19], 1, v[18:19]
	v_mov_b32_e32 v20, s15
	v_add_co_u32_e32 v18, vcc, s14, v18
	v_addc_co_u32_e32 v19, vcc, v20, v19, vcc
	v_mul_lo_u32 v34, v5, s12
	v_mul_lo_u32 v35, v4, s13
	v_mad_u64_u32 v[20:21], s[24:25], v4, s12, 0
	v_add3_u32 v21, v21, v35, v34
	v_lshlrev_b64 v[20:21], 1, v[20:21]
	v_mov_b32_e32 v34, s15
	v_add_co_u32_e32 v20, vcc, s14, v20
	v_addc_co_u32_e32 v21, vcc, v34, v21, vcc
	s_mov_b64 s[28:29], 0
	s_mov_b64 s[36:37], s[12:13]
                                        ; implicit-def: $sgpr24_sgpr25
                                        ; implicit-def: $sgpr26_sgpr27
                                        ; implicit-def: $sgpr30_sgpr31
                                        ; implicit-def: $sgpr34_sgpr35
                                        ; implicit-def: $sgpr38_sgpr39
	s_branch .LBB1117_19
.LBB1117_18:                            ;   in Loop: Header=BB1117_19 Depth=1
	s_or_b64 exec, exec, s[42:43]
	s_and_b64 s[40:41], exec, s[40:41]
	s_or_b64 s[28:29], s[40:41], s[28:29]
	s_andn2_b64 s[26:27], s[26:27], exec
	s_and_b64 s[40:41], s[30:31], exec
	s_or_b64 s[26:27], s[26:27], s[40:41]
	s_andn2_b64 s[24:25], s[24:25], exec
	s_and_b64 s[40:41], s[34:35], exec
	s_or_b64 s[24:25], s[24:25], s[40:41]
	s_andn2_b64 exec, exec, s[28:29]
	s_cbranch_execz .LBB1117_23
.LBB1117_19:                            ; =>This Inner Loop Header: Depth=1
	global_load_ushort v34, v[18:19], off
	global_load_ushort v35, v[20:21], off
	s_or_b64 s[34:35], s[34:35], exec
	s_mov_b64 s[44:45], 0
	s_waitcnt vmcnt(1)
	v_lshlrev_b32_e32 v34, 16, v34
	s_waitcnt vmcnt(0)
	v_lshlrev_b32_e32 v35, 16, v35
	v_cmp_nlt_f32_e32 vcc, v34, v35
	s_and_saveexec_b64 s[40:41], vcc
; %bb.20:                               ;   in Loop: Header=BB1117_19 Depth=1
	v_cmp_ngt_f32_e32 vcc, v34, v35
	s_and_b64 s[38:39], vcc, s[38:39]
	s_andn2_b64 s[34:35], s[34:35], exec
	s_and_b64 s[38:39], s[38:39], exec
	s_or_b64 s[34:35], s[34:35], s[38:39]
	s_and_b64 s[44:45], vcc, exec
; %bb.21:                               ;   in Loop: Header=BB1117_19 Depth=1
	s_or_b64 exec, exec, s[40:41]
	s_mov_b64 s[40:41], -1
	s_or_b64 s[30:31], s[30:31], exec
                                        ; implicit-def: $sgpr38_sgpr39
	s_and_saveexec_b64 s[42:43], s[44:45]
	s_cbranch_execz .LBB1117_18
; %bb.22:                               ;   in Loop: Header=BB1117_19 Depth=1
	s_add_u32 s36, s36, -1
	v_add_co_u32_e32 v18, vcc, 2, v18
	s_addc_u32 s37, s37, -1
	v_addc_co_u32_e32 v19, vcc, 0, v19, vcc
	s_cmp_eq_u64 s[36:37], 0
	v_add_co_u32_e32 v20, vcc, 2, v20
	s_cselect_b64 s[40:41], -1, 0
	v_addc_co_u32_e32 v21, vcc, 0, v21, vcc
	s_and_b64 s[38:39], s[34:35], exec
	s_andn2_b64 s[30:31], s[30:31], exec
	s_orn2_b64 s[40:41], s[40:41], exec
	s_branch .LBB1117_18
.LBB1117_23:
	s_or_b64 exec, exec, s[28:29]
	s_and_saveexec_b64 s[28:29], s[26:27]
	s_xor_b64 s[26:27], exec, s[28:29]
	s_cbranch_execz .LBB1117_27
; %bb.24:
	s_and_saveexec_b64 s[28:29], s[24:25]
	s_cbranch_execz .LBB1117_26
; %bb.25:
	v_mov_b32_e32 v34, v0
	v_mov_b32_e32 v35, v1
	;; [unrolled: 1-line block ×8, first 2 shown]
	v_pk_mov_b32 v[18:19], v[16:17], v[16:17] op_sel:[0,1]
	v_pk_mov_b32 v[0:1], v[34:35], v[34:35] op_sel:[0,1]
	;; [unrolled: 1-line block ×7, first 2 shown]
.LBB1117_26:
	s_or_b64 exec, exec, s[28:29]
.LBB1117_27:
	s_or_b64 exec, exec, s[26:27]
.LBB1117_28:
	s_and_b64 vcc, exec, s[4:5]
	s_cbranch_vccz .LBB1117_40
; %bb.29:
	v_mul_lo_u32 v20, v15, s12
	v_mul_lo_u32 v21, v14, s13
	v_mad_u64_u32 v[18:19], s[4:5], v14, s12, 0
	v_add3_u32 v19, v19, v21, v20
	v_lshlrev_b64 v[18:19], 1, v[18:19]
	v_mov_b32_e32 v20, s15
	v_add_co_u32_e32 v18, vcc, s14, v18
	v_addc_co_u32_e32 v19, vcc, v20, v19, vcc
	v_mul_lo_u32 v34, v11, s12
	v_mul_lo_u32 v35, v10, s13
	v_mad_u64_u32 v[20:21], s[4:5], v10, s12, 0
	v_add3_u32 v21, v21, v35, v34
	v_lshlrev_b64 v[20:21], 1, v[20:21]
	v_mov_b32_e32 v34, s15
	v_add_co_u32_e32 v20, vcc, s14, v20
	v_addc_co_u32_e32 v21, vcc, v34, v21, vcc
	s_mov_b64 s[26:27], 0
	s_mov_b64 s[34:35], s[12:13]
                                        ; implicit-def: $sgpr4_sgpr5
                                        ; implicit-def: $sgpr24_sgpr25
                                        ; implicit-def: $sgpr28_sgpr29
                                        ; implicit-def: $sgpr30_sgpr31
                                        ; implicit-def: $sgpr36_sgpr37
	s_branch .LBB1117_31
.LBB1117_30:                            ;   in Loop: Header=BB1117_31 Depth=1
	s_or_b64 exec, exec, s[40:41]
	s_and_b64 s[38:39], exec, s[38:39]
	s_or_b64 s[26:27], s[38:39], s[26:27]
	s_andn2_b64 s[24:25], s[24:25], exec
	s_and_b64 s[38:39], s[28:29], exec
	s_or_b64 s[24:25], s[24:25], s[38:39]
	s_andn2_b64 s[4:5], s[4:5], exec
	s_and_b64 s[38:39], s[30:31], exec
	s_or_b64 s[4:5], s[4:5], s[38:39]
	s_andn2_b64 exec, exec, s[26:27]
	s_cbranch_execz .LBB1117_35
.LBB1117_31:                            ; =>This Inner Loop Header: Depth=1
	global_load_ushort v34, v[18:19], off
	global_load_ushort v35, v[20:21], off
	s_or_b64 s[30:31], s[30:31], exec
	s_mov_b64 s[42:43], 0
	s_waitcnt vmcnt(1)
	v_lshlrev_b32_e32 v34, 16, v34
	s_waitcnt vmcnt(0)
	v_lshlrev_b32_e32 v35, 16, v35
	v_cmp_nlt_f32_e32 vcc, v34, v35
	s_and_saveexec_b64 s[38:39], vcc
; %bb.32:                               ;   in Loop: Header=BB1117_31 Depth=1
	v_cmp_ngt_f32_e32 vcc, v34, v35
	s_and_b64 s[36:37], vcc, s[36:37]
	s_andn2_b64 s[30:31], s[30:31], exec
	s_and_b64 s[36:37], s[36:37], exec
	s_or_b64 s[30:31], s[30:31], s[36:37]
	s_and_b64 s[42:43], vcc, exec
; %bb.33:                               ;   in Loop: Header=BB1117_31 Depth=1
	s_or_b64 exec, exec, s[38:39]
	s_mov_b64 s[38:39], -1
	s_or_b64 s[28:29], s[28:29], exec
                                        ; implicit-def: $sgpr36_sgpr37
	s_and_saveexec_b64 s[40:41], s[42:43]
	s_cbranch_execz .LBB1117_30
; %bb.34:                               ;   in Loop: Header=BB1117_31 Depth=1
	s_add_u32 s34, s34, -1
	v_add_co_u32_e32 v18, vcc, 2, v18
	s_addc_u32 s35, s35, -1
	v_addc_co_u32_e32 v19, vcc, 0, v19, vcc
	s_cmp_eq_u64 s[34:35], 0
	v_add_co_u32_e32 v20, vcc, 2, v20
	s_cselect_b64 s[38:39], -1, 0
	v_addc_co_u32_e32 v21, vcc, 0, v21, vcc
	s_and_b64 s[36:37], s[30:31], exec
	s_andn2_b64 s[28:29], s[28:29], exec
	s_orn2_b64 s[38:39], s[38:39], exec
	s_branch .LBB1117_30
.LBB1117_35:
	s_or_b64 exec, exec, s[26:27]
	s_and_saveexec_b64 s[26:27], s[24:25]
	s_xor_b64 s[24:25], exec, s[26:27]
	s_cbranch_execz .LBB1117_39
; %bb.36:
	v_pk_mov_b32 v[18:19], v[10:11], v[10:11] op_sel:[0,1]
	s_and_saveexec_b64 s[26:27], s[4:5]
; %bb.37:
	v_mov_b32_e32 v2, v14
	v_mov_b32_e32 v3, v15
	;; [unrolled: 1-line block ×4, first 2 shown]
	v_pk_mov_b32 v[18:19], v[14:15], v[14:15] op_sel:[0,1]
	v_pk_mov_b32 v[14:15], v[10:11], v[10:11] op_sel:[0,1]
; %bb.38:
	s_or_b64 exec, exec, s[26:27]
	v_pk_mov_b32 v[10:11], v[18:19], v[18:19] op_sel:[0,1]
.LBB1117_39:
	s_or_b64 exec, exec, s[24:25]
.LBB1117_40:
	s_and_b64 vcc, exec, s[0:1]
	s_cbranch_vccnz .LBB1117_52
; %bb.41:
	v_mul_lo_u32 v20, v11, s12
	v_mul_lo_u32 v21, v10, s13
	v_mad_u64_u32 v[18:19], s[4:5], v10, s12, 0
	v_add3_u32 v19, v19, v21, v20
	v_lshlrev_b64 v[18:19], 1, v[18:19]
	v_mov_b32_e32 v20, s15
	v_add_co_u32_e32 v18, vcc, s14, v18
	v_addc_co_u32_e32 v19, vcc, v20, v19, vcc
	v_mul_lo_u32 v34, v9, s12
	v_mul_lo_u32 v35, v8, s13
	v_mad_u64_u32 v[20:21], s[4:5], v8, s12, 0
	v_add3_u32 v21, v21, v35, v34
	v_lshlrev_b64 v[20:21], 1, v[20:21]
	v_mov_b32_e32 v34, s15
	v_add_co_u32_e32 v20, vcc, s14, v20
	v_addc_co_u32_e32 v21, vcc, v34, v21, vcc
	s_mov_b64 s[26:27], 0
	s_mov_b64 s[34:35], s[12:13]
                                        ; implicit-def: $sgpr4_sgpr5
                                        ; implicit-def: $sgpr24_sgpr25
                                        ; implicit-def: $sgpr28_sgpr29
                                        ; implicit-def: $sgpr30_sgpr31
                                        ; implicit-def: $sgpr36_sgpr37
	s_branch .LBB1117_43
.LBB1117_42:                            ;   in Loop: Header=BB1117_43 Depth=1
	s_or_b64 exec, exec, s[40:41]
	s_and_b64 s[38:39], exec, s[38:39]
	s_or_b64 s[26:27], s[38:39], s[26:27]
	s_andn2_b64 s[24:25], s[24:25], exec
	s_and_b64 s[38:39], s[28:29], exec
	s_or_b64 s[24:25], s[24:25], s[38:39]
	s_andn2_b64 s[4:5], s[4:5], exec
	s_and_b64 s[38:39], s[30:31], exec
	s_or_b64 s[4:5], s[4:5], s[38:39]
	s_andn2_b64 exec, exec, s[26:27]
	s_cbranch_execz .LBB1117_47
.LBB1117_43:                            ; =>This Inner Loop Header: Depth=1
	global_load_ushort v34, v[18:19], off
	global_load_ushort v35, v[20:21], off
	s_or_b64 s[30:31], s[30:31], exec
	s_mov_b64 s[42:43], 0
	s_waitcnt vmcnt(1)
	v_lshlrev_b32_e32 v34, 16, v34
	s_waitcnt vmcnt(0)
	v_lshlrev_b32_e32 v35, 16, v35
	v_cmp_nlt_f32_e32 vcc, v34, v35
	s_and_saveexec_b64 s[38:39], vcc
; %bb.44:                               ;   in Loop: Header=BB1117_43 Depth=1
	v_cmp_ngt_f32_e32 vcc, v34, v35
	s_and_b64 s[36:37], vcc, s[36:37]
	s_andn2_b64 s[30:31], s[30:31], exec
	s_and_b64 s[36:37], s[36:37], exec
	s_or_b64 s[30:31], s[30:31], s[36:37]
	s_and_b64 s[42:43], vcc, exec
; %bb.45:                               ;   in Loop: Header=BB1117_43 Depth=1
	s_or_b64 exec, exec, s[38:39]
	s_mov_b64 s[38:39], -1
	s_or_b64 s[28:29], s[28:29], exec
                                        ; implicit-def: $sgpr36_sgpr37
	s_and_saveexec_b64 s[40:41], s[42:43]
	s_cbranch_execz .LBB1117_42
; %bb.46:                               ;   in Loop: Header=BB1117_43 Depth=1
	s_add_u32 s34, s34, -1
	v_add_co_u32_e32 v18, vcc, 2, v18
	s_addc_u32 s35, s35, -1
	v_addc_co_u32_e32 v19, vcc, 0, v19, vcc
	s_cmp_eq_u64 s[34:35], 0
	v_add_co_u32_e32 v20, vcc, 2, v20
	s_cselect_b64 s[38:39], -1, 0
	v_addc_co_u32_e32 v21, vcc, 0, v21, vcc
	s_and_b64 s[36:37], s[30:31], exec
	s_andn2_b64 s[28:29], s[28:29], exec
	s_orn2_b64 s[38:39], s[38:39], exec
	s_branch .LBB1117_42
.LBB1117_47:
	s_or_b64 exec, exec, s[26:27]
	s_and_saveexec_b64 s[26:27], s[24:25]
	s_xor_b64 s[24:25], exec, s[26:27]
	s_cbranch_execz .LBB1117_51
; %bb.48:
	v_pk_mov_b32 v[18:19], v[10:11], v[10:11] op_sel:[0,1]
	s_and_saveexec_b64 s[26:27], s[4:5]
; %bb.49:
	v_mov_b32_e32 v0, v10
	v_mov_b32_e32 v1, v11
	;; [unrolled: 1-line block ×4, first 2 shown]
	v_pk_mov_b32 v[18:19], v[8:9], v[8:9] op_sel:[0,1]
	v_pk_mov_b32 v[8:9], v[10:11], v[10:11] op_sel:[0,1]
; %bb.50:
	s_or_b64 exec, exec, s[26:27]
	v_pk_mov_b32 v[10:11], v[18:19], v[18:19] op_sel:[0,1]
.LBB1117_51:
	s_or_b64 exec, exec, s[24:25]
.LBB1117_52:
	s_and_b64 vcc, exec, s[0:1]
	s_cbranch_vccnz .LBB1117_62
; %bb.53:
	v_mul_lo_u32 v20, v17, s12
	v_mul_lo_u32 v21, v16, s13
	v_mad_u64_u32 v[18:19], s[4:5], v16, s12, 0
	v_add3_u32 v19, v19, v21, v20
	v_lshlrev_b64 v[18:19], 1, v[18:19]
	v_mov_b32_e32 v20, s15
	v_add_co_u32_e32 v18, vcc, s14, v18
	v_addc_co_u32_e32 v19, vcc, v20, v19, vcc
	v_mul_lo_u32 v34, v15, s12
	v_mul_lo_u32 v35, v14, s13
	v_mad_u64_u32 v[20:21], s[4:5], v14, s12, 0
	v_add3_u32 v21, v21, v35, v34
	v_lshlrev_b64 v[20:21], 1, v[20:21]
	v_mov_b32_e32 v34, s15
	v_add_co_u32_e32 v20, vcc, s14, v20
	v_addc_co_u32_e32 v21, vcc, v34, v21, vcc
	s_mov_b64 s[24:25], 0
	s_mov_b64 s[34:35], s[12:13]
                                        ; implicit-def: $sgpr4_sgpr5
                                        ; implicit-def: $sgpr26_sgpr27
                                        ; implicit-def: $sgpr28_sgpr29
                                        ; implicit-def: $sgpr30_sgpr31
                                        ; implicit-def: $sgpr36_sgpr37
	s_branch .LBB1117_55
.LBB1117_54:                            ;   in Loop: Header=BB1117_55 Depth=1
	s_or_b64 exec, exec, s[38:39]
	s_and_b64 s[38:39], exec, s[40:41]
	s_or_b64 s[24:25], s[38:39], s[24:25]
	s_andn2_b64 s[26:27], s[26:27], exec
	s_and_b64 s[38:39], s[28:29], exec
	s_or_b64 s[26:27], s[26:27], s[38:39]
	s_andn2_b64 s[4:5], s[4:5], exec
	s_and_b64 s[38:39], s[30:31], exec
	s_or_b64 s[4:5], s[4:5], s[38:39]
	s_andn2_b64 exec, exec, s[24:25]
	s_cbranch_execz .LBB1117_59
.LBB1117_55:                            ; =>This Inner Loop Header: Depth=1
	global_load_ushort v34, v[18:19], off
	global_load_ushort v35, v[20:21], off
	s_or_b64 s[30:31], s[30:31], exec
	s_mov_b64 s[42:43], 0
	s_waitcnt vmcnt(1)
	v_lshlrev_b32_e32 v34, 16, v34
	s_waitcnt vmcnt(0)
	v_lshlrev_b32_e32 v35, 16, v35
	v_cmp_nlt_f32_e32 vcc, v34, v35
	s_and_saveexec_b64 s[38:39], vcc
; %bb.56:                               ;   in Loop: Header=BB1117_55 Depth=1
	v_cmp_ngt_f32_e32 vcc, v34, v35
	s_and_b64 s[36:37], vcc, s[36:37]
	s_andn2_b64 s[30:31], s[30:31], exec
	s_and_b64 s[36:37], s[36:37], exec
	s_or_b64 s[30:31], s[30:31], s[36:37]
	s_and_b64 s[42:43], vcc, exec
; %bb.57:                               ;   in Loop: Header=BB1117_55 Depth=1
	s_or_b64 exec, exec, s[38:39]
	s_mov_b64 s[40:41], -1
	s_or_b64 s[28:29], s[28:29], exec
                                        ; implicit-def: $sgpr36_sgpr37
	s_and_saveexec_b64 s[38:39], s[42:43]
	s_cbranch_execz .LBB1117_54
; %bb.58:                               ;   in Loop: Header=BB1117_55 Depth=1
	s_add_u32 s34, s34, -1
	v_add_co_u32_e32 v18, vcc, 2, v18
	s_addc_u32 s35, s35, -1
	v_addc_co_u32_e32 v19, vcc, 0, v19, vcc
	s_cmp_eq_u64 s[34:35], 0
	v_add_co_u32_e32 v20, vcc, 2, v20
	s_cselect_b64 s[40:41], -1, 0
	v_addc_co_u32_e32 v21, vcc, 0, v21, vcc
	s_and_b64 s[36:37], s[30:31], exec
	s_andn2_b64 s[28:29], s[28:29], exec
	s_orn2_b64 s[40:41], s[40:41], exec
	s_branch .LBB1117_54
.LBB1117_59:
	s_or_b64 exec, exec, s[24:25]
	s_and_saveexec_b64 s[24:25], s[26:27]
	s_xor_b64 s[24:25], exec, s[24:25]
; %bb.60:
	v_cndmask_b32_e64 v7, v7, v15, s[4:5]
	v_cndmask_b32_e64 v6, v6, v14, s[4:5]
	;; [unrolled: 1-line block ×6, first 2 shown]
; %bb.61:
	s_or_b64 exec, exec, s[24:25]
.LBB1117_62:
	s_and_b64 vcc, exec, s[0:1]
	s_cbranch_vccnz .LBB1117_72
; %bb.63:
	v_mul_lo_u32 v18, v15, s12
	v_mul_lo_u32 v19, v14, s13
	v_mad_u64_u32 v[16:17], s[4:5], v14, s12, 0
	v_add3_u32 v17, v17, v19, v18
	v_lshlrev_b64 v[16:17], 1, v[16:17]
	v_mov_b32_e32 v18, s15
	v_add_co_u32_e32 v16, vcc, s14, v16
	v_addc_co_u32_e32 v17, vcc, v18, v17, vcc
	v_mul_lo_u32 v20, v11, s12
	v_mul_lo_u32 v21, v10, s13
	v_mad_u64_u32 v[18:19], s[4:5], v10, s12, 0
	v_add3_u32 v19, v19, v21, v20
	v_lshlrev_b64 v[18:19], 1, v[18:19]
	v_mov_b32_e32 v20, s15
	v_add_co_u32_e32 v18, vcc, s14, v18
	v_addc_co_u32_e32 v19, vcc, v20, v19, vcc
	s_mov_b64 s[24:25], 0
	s_mov_b64 s[34:35], s[12:13]
                                        ; implicit-def: $sgpr4_sgpr5
                                        ; implicit-def: $sgpr26_sgpr27
                                        ; implicit-def: $sgpr28_sgpr29
                                        ; implicit-def: $sgpr30_sgpr31
                                        ; implicit-def: $sgpr36_sgpr37
	s_branch .LBB1117_65
.LBB1117_64:                            ;   in Loop: Header=BB1117_65 Depth=1
	s_or_b64 exec, exec, s[38:39]
	s_and_b64 s[38:39], exec, s[40:41]
	s_or_b64 s[24:25], s[38:39], s[24:25]
	s_andn2_b64 s[26:27], s[26:27], exec
	s_and_b64 s[38:39], s[28:29], exec
	s_or_b64 s[26:27], s[26:27], s[38:39]
	s_andn2_b64 s[4:5], s[4:5], exec
	s_and_b64 s[38:39], s[30:31], exec
	s_or_b64 s[4:5], s[4:5], s[38:39]
	s_andn2_b64 exec, exec, s[24:25]
	s_cbranch_execz .LBB1117_69
.LBB1117_65:                            ; =>This Inner Loop Header: Depth=1
	global_load_ushort v20, v[16:17], off
	global_load_ushort v21, v[18:19], off
	s_or_b64 s[30:31], s[30:31], exec
	s_mov_b64 s[42:43], 0
	s_waitcnt vmcnt(1)
	v_lshlrev_b32_e32 v20, 16, v20
	s_waitcnt vmcnt(0)
	v_lshlrev_b32_e32 v21, 16, v21
	v_cmp_nlt_f32_e32 vcc, v20, v21
	s_and_saveexec_b64 s[38:39], vcc
; %bb.66:                               ;   in Loop: Header=BB1117_65 Depth=1
	v_cmp_ngt_f32_e32 vcc, v20, v21
	s_and_b64 s[36:37], vcc, s[36:37]
	s_andn2_b64 s[30:31], s[30:31], exec
	s_and_b64 s[36:37], s[36:37], exec
	s_or_b64 s[30:31], s[30:31], s[36:37]
	s_and_b64 s[42:43], vcc, exec
; %bb.67:                               ;   in Loop: Header=BB1117_65 Depth=1
	s_or_b64 exec, exec, s[38:39]
	s_mov_b64 s[40:41], -1
	s_or_b64 s[28:29], s[28:29], exec
                                        ; implicit-def: $sgpr36_sgpr37
	s_and_saveexec_b64 s[38:39], s[42:43]
	s_cbranch_execz .LBB1117_64
; %bb.68:                               ;   in Loop: Header=BB1117_65 Depth=1
	s_add_u32 s34, s34, -1
	v_add_co_u32_e32 v16, vcc, 2, v16
	s_addc_u32 s35, s35, -1
	v_addc_co_u32_e32 v17, vcc, 0, v17, vcc
	s_cmp_eq_u64 s[34:35], 0
	v_add_co_u32_e32 v18, vcc, 2, v18
	s_cselect_b64 s[40:41], -1, 0
	v_addc_co_u32_e32 v19, vcc, 0, v19, vcc
	s_and_b64 s[36:37], s[30:31], exec
	s_andn2_b64 s[28:29], s[28:29], exec
	s_orn2_b64 s[40:41], s[40:41], exec
	s_branch .LBB1117_64
.LBB1117_69:
	s_or_b64 exec, exec, s[24:25]
	s_and_saveexec_b64 s[24:25], s[26:27]
	s_xor_b64 s[24:25], exec, s[24:25]
; %bb.70:
	v_cndmask_b32_e64 v5, v5, v11, s[4:5]
	v_cndmask_b32_e64 v4, v4, v10, s[4:5]
	;; [unrolled: 1-line block ×4, first 2 shown]
; %bb.71:
	s_or_b64 exec, exec, s[24:25]
.LBB1117_72:
	s_or_b64 exec, exec, s[2:3]
	v_mbcnt_lo_u32_b32 v10, -1, 0
	v_and_b32_e32 v11, 0xffffff00, v33
	v_mbcnt_hi_u32_b32 v10, -1, v10
	s_movk_i32 s2, 0x400
	v_lshlrev_b32_e32 v14, 3, v11
	v_sub_u32_e64 v15, s2, v11 clamp
	v_lshlrev_b32_e32 v16, 2, v10
	v_lshl_add_u32 v17, v10, 5, v14
	v_mov_b32_e32 v10, v2
	v_mov_b32_e32 v11, v3
	ds_write_b128 v17, v[8:11]
	ds_write_b128 v17, v[4:7] offset:16
	v_or_b32_e32 v8, 4, v16
	v_min_u32_e32 v18, v15, v8
	v_add_u32_e32 v8, 4, v18
	v_and_b32_e32 v33, 0x1f8, v16
	v_min_u32_e32 v19, v15, v8
	v_and_b32_e32 v8, 4, v16
	v_min_u32_e32 v34, v15, v8
	v_sub_u32_e32 v8, v18, v33
	v_sub_u32_e32 v9, v19, v18
	v_sub_u32_e64 v21, v34, v9 clamp
	v_min_u32_e32 v35, v34, v8
	v_lshl_add_u32 v20, v33, 3, v14
	v_cmp_lt_u32_e32 vcc, v21, v35
	; wave barrier
	s_and_saveexec_b64 s[2:3], vcc
	s_cbranch_execz .LBB1117_84
; %bb.73:
	v_lshlrev_b32_e32 v8, 3, v18
	v_lshlrev_b32_e32 v9, 3, v34
	v_add3_u32 v36, v14, v8, v9
	s_lshl_b64 s[24:25], s[12:13], 1
	s_mov_b64 s[4:5], 0
	s_branch .LBB1117_76
.LBB1117_74:                            ;   in Loop: Header=BB1117_76 Depth=1
	s_or_b64 exec, exec, s[28:29]
.LBB1117_75:                            ;   in Loop: Header=BB1117_76 Depth=1
	v_add_u32_e32 v8, 1, v37
	v_cndmask_b32_e64 v35, v35, v37, s[26:27]
	v_cndmask_b32_e64 v21, v8, v21, s[26:27]
	v_cmp_ge_u32_e32 vcc, v21, v35
	s_or_b64 s[4:5], vcc, s[4:5]
	s_andn2_b64 exec, exec, s[4:5]
	s_cbranch_execz .LBB1117_83
.LBB1117_76:                            ; =>This Loop Header: Depth=1
                                        ;     Child Loop BB1117_79 Depth 2
	v_add_u32_e32 v8, v35, v21
	v_lshrrev_b32_e32 v37, 1, v8
	s_and_b64 vcc, exec, s[0:1]
	s_mov_b64 s[26:27], 0
	s_cbranch_vccnz .LBB1117_75
; %bb.77:                               ;   in Loop: Header=BB1117_76 Depth=1
	v_not_b32_e32 v8, v37
	v_lshl_add_u32 v8, v8, 3, v36
	ds_read_b64 v[8:9], v8
	v_lshl_add_u32 v38, v37, 3, v20
	ds_read_b64 v[38:39], v38
	v_pk_mov_b32 v[10:11], s[14:15], s[14:15] op_sel:[0,1]
	s_mov_b64 s[28:29], 0
	s_waitcnt lgkmcnt(1)
	v_mul_lo_u32 v40, s24, v9
	v_mul_lo_u32 v41, s25, v8
	v_mad_u64_u32 v[8:9], s[26:27], s24, v8, v[10:11]
	v_add3_u32 v9, v41, v9, v40
	s_waitcnt lgkmcnt(0)
	v_mul_lo_u32 v39, s24, v39
	v_mul_lo_u32 v40, s25, v38
	v_mad_u64_u32 v[10:11], s[26:27], s24, v38, v[10:11]
	v_add3_u32 v11, v40, v11, v39
	s_mov_b64 s[34:35], s[12:13]
                                        ; implicit-def: $sgpr26_sgpr27
                                        ; implicit-def: $sgpr30_sgpr31
                                        ; implicit-def: $sgpr36_sgpr37
	s_branch .LBB1117_79
.LBB1117_78:                            ;   in Loop: Header=BB1117_79 Depth=2
	s_or_b64 exec, exec, s[42:43]
	s_and_b64 s[38:39], exec, s[38:39]
	s_or_b64 s[28:29], s[38:39], s[28:29]
	s_andn2_b64 s[26:27], s[26:27], exec
	s_and_b64 s[38:39], s[30:31], exec
	s_or_b64 s[26:27], s[26:27], s[38:39]
	s_andn2_b64 exec, exec, s[28:29]
	s_cbranch_execz .LBB1117_74
.LBB1117_79:                            ;   Parent Loop BB1117_76 Depth=1
                                        ; =>  This Inner Loop Header: Depth=2
	global_load_ushort v38, v[8:9], off
	global_load_ushort v39, v[10:11], off
	s_mov_b64 s[38:39], -1
	s_mov_b64 s[44:45], 0
	s_mov_b64 s[40:41], -1
	s_waitcnt vmcnt(1)
	v_lshlrev_b32_e32 v38, 16, v38
	s_waitcnt vmcnt(0)
	v_lshlrev_b32_e32 v39, 16, v39
	v_cmp_nlt_f32_e32 vcc, v38, v39
	s_and_saveexec_b64 s[42:43], vcc
; %bb.80:                               ;   in Loop: Header=BB1117_79 Depth=2
	v_cmp_ngt_f32_e32 vcc, v38, v39
	s_and_b64 s[36:37], vcc, s[36:37]
	s_orn2_b64 s[40:41], s[36:37], exec
	s_and_b64 s[44:45], vcc, exec
; %bb.81:                               ;   in Loop: Header=BB1117_79 Depth=2
	s_or_b64 exec, exec, s[42:43]
	s_andn2_b64 s[30:31], s[30:31], exec
	s_and_b64 s[36:37], s[40:41], exec
	s_or_b64 s[30:31], s[30:31], s[36:37]
                                        ; implicit-def: $sgpr36_sgpr37
	s_and_saveexec_b64 s[42:43], s[44:45]
	s_cbranch_execz .LBB1117_78
; %bb.82:                               ;   in Loop: Header=BB1117_79 Depth=2
	s_add_u32 s34, s34, -1
	v_add_co_u32_e32 v8, vcc, 2, v8
	s_addc_u32 s35, s35, -1
	v_addc_co_u32_e32 v9, vcc, 0, v9, vcc
	s_cmp_eq_u64 s[34:35], 0
	v_add_co_u32_e32 v10, vcc, 2, v10
	s_cselect_b64 s[38:39], -1, 0
	v_addc_co_u32_e32 v11, vcc, 0, v11, vcc
	s_andn2_b64 s[30:31], s[30:31], exec
	s_and_b64 s[36:37], s[40:41], exec
	s_orn2_b64 s[38:39], s[38:39], exec
	s_branch .LBB1117_78
.LBB1117_83:
	s_or_b64 exec, exec, s[4:5]
.LBB1117_84:
	s_or_b64 exec, exec, s[2:3]
	v_add_u32_e32 v9, v18, v34
	v_add_u32_e32 v8, v21, v33
	v_sub_u32_e32 v9, v9, v21
	v_cmp_le_u32_e32 vcc, v8, v18
	v_cmp_le_u32_e64 s[2:3], v9, v19
	v_cmp_lt_i64_e64 s[24:25], s[12:13], 1
	s_or_b64 s[2:3], vcc, s[2:3]
	s_and_saveexec_b64 s[26:27], s[2:3]
	s_cbranch_execz .LBB1117_128
; %bb.85:
	v_cmp_ge_u32_e32 vcc, v8, v18
	v_cmp_lt_u32_e64 s[2:3], v8, v18
                                        ; implicit-def: $vgpr0_vgpr1
	s_and_saveexec_b64 s[4:5], s[2:3]
	s_cbranch_execz .LBB1117_87
; %bb.86:
	v_lshl_add_u32 v0, v21, 3, v20
	ds_read_b64 v[0:1], v0
.LBB1117_87:
	s_or_b64 exec, exec, s[4:5]
	v_cmp_ge_u32_e64 s[2:3], v9, v19
	v_cmp_lt_u32_e64 s[4:5], v9, v19
                                        ; implicit-def: $vgpr2_vgpr3
	s_and_saveexec_b64 s[28:29], s[4:5]
	s_cbranch_execz .LBB1117_89
; %bb.88:
	v_lshl_add_u32 v2, v9, 3, v14
	ds_read_b64 v[2:3], v2
.LBB1117_89:
	s_or_b64 exec, exec, s[28:29]
	s_or_b64 s[4:5], vcc, s[2:3]
	s_or_b64 s[4:5], s[4:5], s[24:25]
	s_xor_b64 s[28:29], s[4:5], -1
	s_xor_b64 s[4:5], vcc, -1
	s_or_b64 s[2:3], s[2:3], s[4:5]
	s_and_saveexec_b64 s[4:5], s[28:29]
	s_cbranch_execz .LBB1117_97
; %bb.90:
	s_waitcnt lgkmcnt(0)
	v_mul_lo_u32 v6, v3, s12
	v_mul_lo_u32 v7, v2, s13
	v_mad_u64_u32 v[4:5], s[28:29], v2, s12, 0
	v_add3_u32 v5, v5, v7, v6
	v_lshlrev_b64 v[4:5], 1, v[4:5]
	v_mov_b32_e32 v6, s15
	v_add_co_u32_e32 v4, vcc, s14, v4
	v_addc_co_u32_e32 v5, vcc, v6, v5, vcc
	v_mul_lo_u32 v10, v1, s12
	v_mul_lo_u32 v11, v0, s13
	v_mad_u64_u32 v[6:7], s[28:29], v0, s12, 0
	v_add3_u32 v7, v7, v11, v10
	v_lshlrev_b64 v[6:7], 1, v[6:7]
	v_mov_b32_e32 v10, s15
	v_add_co_u32_e32 v6, vcc, s14, v6
	v_addc_co_u32_e32 v7, vcc, v10, v7, vcc
	s_mov_b64 s[28:29], 0
	s_mov_b64 s[36:37], s[12:13]
                                        ; implicit-def: $sgpr30_sgpr31
                                        ; implicit-def: $sgpr34_sgpr35
                                        ; implicit-def: $sgpr38_sgpr39
	s_branch .LBB1117_92
.LBB1117_91:                            ;   in Loop: Header=BB1117_92 Depth=1
	s_or_b64 exec, exec, s[42:43]
	s_and_b64 s[40:41], exec, s[44:45]
	s_or_b64 s[28:29], s[40:41], s[28:29]
	s_andn2_b64 s[30:31], s[30:31], exec
	s_and_b64 s[40:41], s[34:35], exec
	s_or_b64 s[30:31], s[30:31], s[40:41]
	s_andn2_b64 exec, exec, s[28:29]
	s_cbranch_execz .LBB1117_96
.LBB1117_92:                            ; =>This Inner Loop Header: Depth=1
	global_load_ushort v10, v[4:5], off
	global_load_ushort v11, v[6:7], off
	s_mov_b64 s[46:47], 0
	s_mov_b64 s[40:41], -1
	s_waitcnt vmcnt(1)
	v_lshlrev_b32_e32 v10, 16, v10
	s_waitcnt vmcnt(0)
	v_lshlrev_b32_e32 v11, 16, v11
	v_cmp_nlt_f32_e32 vcc, v10, v11
	s_and_saveexec_b64 s[42:43], vcc
; %bb.93:                               ;   in Loop: Header=BB1117_92 Depth=1
	v_cmp_ngt_f32_e32 vcc, v10, v11
	s_and_b64 s[38:39], vcc, s[38:39]
	s_orn2_b64 s[40:41], s[38:39], exec
	s_and_b64 s[46:47], vcc, exec
; %bb.94:                               ;   in Loop: Header=BB1117_92 Depth=1
	s_or_b64 exec, exec, s[42:43]
	s_andn2_b64 s[34:35], s[34:35], exec
	s_and_b64 s[38:39], s[40:41], exec
	s_mov_b64 s[44:45], -1
	s_or_b64 s[34:35], s[34:35], s[38:39]
                                        ; implicit-def: $sgpr38_sgpr39
	s_and_saveexec_b64 s[42:43], s[46:47]
	s_cbranch_execz .LBB1117_91
; %bb.95:                               ;   in Loop: Header=BB1117_92 Depth=1
	s_add_u32 s36, s36, -1
	v_add_co_u32_e32 v4, vcc, 2, v4
	s_addc_u32 s37, s37, -1
	v_addc_co_u32_e32 v5, vcc, 0, v5, vcc
	s_cmp_eq_u64 s[36:37], 0
	v_add_co_u32_e32 v6, vcc, 2, v6
	s_cselect_b64 s[44:45], -1, 0
	v_addc_co_u32_e32 v7, vcc, 0, v7, vcc
	s_and_b64 s[38:39], s[40:41], exec
	s_andn2_b64 s[34:35], s[34:35], exec
	s_orn2_b64 s[44:45], s[44:45], exec
	s_branch .LBB1117_91
.LBB1117_96:
	s_or_b64 exec, exec, s[28:29]
	s_xor_b64 s[28:29], s[30:31], -1
	s_andn2_b64 s[2:3], s[2:3], exec
	s_and_b64 s[28:29], s[28:29], exec
	s_or_b64 s[2:3], s[2:3], s[28:29]
.LBB1117_97:
	s_or_b64 exec, exec, s[4:5]
	v_cndmask_b32_e64 v4, v9, v8, s[2:3]
	v_cndmask_b32_e64 v5, v19, v18, s[2:3]
	v_add_u32_e32 v6, 1, v4
	v_add_u32_e32 v4, -1, v5
	v_min_u32_e32 v4, v6, v4
	v_lshl_add_u32 v4, v4, 3, v14
	ds_read_b64 v[4:5], v4
	v_cndmask_b32_e64 v9, v6, v9, s[2:3]
	v_cndmask_b32_e64 v8, v8, v6, s[2:3]
	v_cmp_lt_u32_e32 vcc, v9, v19
	s_mov_b64 s[4:5], -1
	s_waitcnt lgkmcnt(0)
	v_cndmask_b32_e64 v10, v5, v3, s[2:3]
	v_cndmask_b32_e64 v11, v4, v2, s[2:3]
	;; [unrolled: 1-line block ×4, first 2 shown]
	s_mov_b64 s[28:29], -1
	s_and_saveexec_b64 s[30:31], vcc
	s_cbranch_execz .LBB1117_107
; %bb.98:
	v_cmp_lt_u32_e64 s[28:29], v8, v18
	s_xor_b64 s[34:35], s[24:25], -1
	s_and_b64 s[36:37], s[28:29], s[34:35]
	s_and_saveexec_b64 s[34:35], s[36:37]
	s_cbranch_execz .LBB1117_106
; %bb.99:
	v_mul_lo_u32 v6, v10, s12
	v_mul_lo_u32 v7, v11, s13
	v_mad_u64_u32 v[4:5], s[36:37], v11, s12, 0
	v_add3_u32 v5, v5, v7, v6
	v_lshlrev_b64 v[4:5], 1, v[4:5]
	v_mov_b32_e32 v6, s15
	v_add_co_u32_e32 v4, vcc, s14, v4
	v_addc_co_u32_e32 v5, vcc, v6, v5, vcc
	v_mul_lo_u32 v33, v20, s12
	v_mul_lo_u32 v34, v21, s13
	v_mad_u64_u32 v[6:7], s[36:37], v21, s12, 0
	v_add3_u32 v7, v7, v34, v33
	v_lshlrev_b64 v[6:7], 1, v[6:7]
	v_mov_b32_e32 v33, s15
	v_add_co_u32_e32 v6, vcc, s14, v6
	v_addc_co_u32_e32 v7, vcc, v33, v7, vcc
	s_mov_b64 s[36:37], 0
	s_mov_b64 s[42:43], s[12:13]
                                        ; implicit-def: $sgpr38_sgpr39
                                        ; implicit-def: $sgpr40_sgpr41
                                        ; implicit-def: $sgpr44_sgpr45
	s_branch .LBB1117_101
.LBB1117_100:                           ;   in Loop: Header=BB1117_101 Depth=1
	s_or_b64 exec, exec, s[48:49]
	s_and_b64 s[46:47], exec, s[50:51]
	s_or_b64 s[36:37], s[46:47], s[36:37]
	s_andn2_b64 s[38:39], s[38:39], exec
	s_and_b64 s[46:47], s[40:41], exec
	s_or_b64 s[38:39], s[38:39], s[46:47]
	s_andn2_b64 exec, exec, s[36:37]
	s_cbranch_execz .LBB1117_105
.LBB1117_101:                           ; =>This Inner Loop Header: Depth=1
	global_load_ushort v33, v[4:5], off
	global_load_ushort v34, v[6:7], off
	s_mov_b64 s[52:53], 0
	s_mov_b64 s[46:47], -1
	s_waitcnt vmcnt(1)
	v_lshlrev_b32_e32 v33, 16, v33
	s_waitcnt vmcnt(0)
	v_lshlrev_b32_e32 v34, 16, v34
	v_cmp_nlt_f32_e32 vcc, v33, v34
	s_and_saveexec_b64 s[48:49], vcc
; %bb.102:                              ;   in Loop: Header=BB1117_101 Depth=1
	v_cmp_ngt_f32_e32 vcc, v33, v34
	s_and_b64 s[44:45], vcc, s[44:45]
	s_orn2_b64 s[46:47], s[44:45], exec
	s_and_b64 s[52:53], vcc, exec
; %bb.103:                              ;   in Loop: Header=BB1117_101 Depth=1
	s_or_b64 exec, exec, s[48:49]
	s_andn2_b64 s[40:41], s[40:41], exec
	s_and_b64 s[44:45], s[46:47], exec
	s_mov_b64 s[50:51], -1
	s_or_b64 s[40:41], s[40:41], s[44:45]
                                        ; implicit-def: $sgpr44_sgpr45
	s_and_saveexec_b64 s[48:49], s[52:53]
	s_cbranch_execz .LBB1117_100
; %bb.104:                              ;   in Loop: Header=BB1117_101 Depth=1
	s_add_u32 s42, s42, -1
	v_add_co_u32_e32 v4, vcc, 2, v4
	s_addc_u32 s43, s43, -1
	v_addc_co_u32_e32 v5, vcc, 0, v5, vcc
	s_cmp_eq_u64 s[42:43], 0
	v_add_co_u32_e32 v6, vcc, 2, v6
	s_cselect_b64 s[50:51], -1, 0
	v_addc_co_u32_e32 v7, vcc, 0, v7, vcc
	s_and_b64 s[44:45], s[46:47], exec
	s_andn2_b64 s[40:41], s[40:41], exec
	s_orn2_b64 s[50:51], s[50:51], exec
	s_branch .LBB1117_100
.LBB1117_105:
	s_or_b64 exec, exec, s[36:37]
	s_xor_b64 s[36:37], s[38:39], -1
	s_andn2_b64 s[28:29], s[28:29], exec
	s_and_b64 s[36:37], s[36:37], exec
	s_or_b64 s[28:29], s[28:29], s[36:37]
.LBB1117_106:
	s_or_b64 exec, exec, s[34:35]
	s_orn2_b64 s[28:29], s[28:29], exec
.LBB1117_107:
	s_or_b64 exec, exec, s[30:31]
	v_cndmask_b32_e64 v4, v9, v8, s[28:29]
	v_cndmask_b32_e64 v5, v19, v18, s[28:29]
	v_add_u32_e32 v6, 1, v4
	v_add_u32_e32 v4, -1, v5
	v_min_u32_e32 v4, v6, v4
	v_lshl_add_u32 v4, v4, 3, v14
	ds_read_b64 v[4:5], v4
	v_cndmask_b32_e64 v9, v6, v9, s[28:29]
	v_cndmask_b32_e64 v8, v8, v6, s[28:29]
	v_cmp_lt_u32_e32 vcc, v9, v19
	s_waitcnt lgkmcnt(0)
	v_cndmask_b32_e64 v33, v5, v10, s[28:29]
	v_cndmask_b32_e64 v34, v4, v11, s[28:29]
	;; [unrolled: 1-line block ×4, first 2 shown]
	s_and_saveexec_b64 s[30:31], vcc
	s_cbranch_execz .LBB1117_117
; %bb.108:
	v_cmp_lt_u32_e64 s[4:5], v8, v18
	s_xor_b64 s[34:35], s[24:25], -1
	s_and_b64 s[36:37], s[4:5], s[34:35]
	s_and_saveexec_b64 s[34:35], s[36:37]
	s_cbranch_execz .LBB1117_116
; %bb.109:
	v_mul_lo_u32 v6, v33, s12
	v_mul_lo_u32 v7, v34, s13
	v_mad_u64_u32 v[4:5], s[36:37], v34, s12, 0
	v_add3_u32 v5, v5, v7, v6
	v_lshlrev_b64 v[4:5], 1, v[4:5]
	v_mov_b32_e32 v6, s15
	v_add_co_u32_e32 v4, vcc, s14, v4
	v_addc_co_u32_e32 v5, vcc, v6, v5, vcc
	v_mul_lo_u32 v37, v35, s12
	v_mul_lo_u32 v38, v36, s13
	v_mad_u64_u32 v[6:7], s[36:37], v36, s12, 0
	v_add3_u32 v7, v7, v38, v37
	v_lshlrev_b64 v[6:7], 1, v[6:7]
	v_mov_b32_e32 v37, s15
	v_add_co_u32_e32 v6, vcc, s14, v6
	v_addc_co_u32_e32 v7, vcc, v37, v7, vcc
	s_mov_b64 s[36:37], 0
	s_mov_b64 s[42:43], s[12:13]
                                        ; implicit-def: $sgpr38_sgpr39
                                        ; implicit-def: $sgpr40_sgpr41
                                        ; implicit-def: $sgpr44_sgpr45
	s_branch .LBB1117_111
.LBB1117_110:                           ;   in Loop: Header=BB1117_111 Depth=1
	s_or_b64 exec, exec, s[48:49]
	s_and_b64 s[46:47], exec, s[50:51]
	s_or_b64 s[36:37], s[46:47], s[36:37]
	s_andn2_b64 s[38:39], s[38:39], exec
	s_and_b64 s[46:47], s[40:41], exec
	s_or_b64 s[38:39], s[38:39], s[46:47]
	s_andn2_b64 exec, exec, s[36:37]
	s_cbranch_execz .LBB1117_115
.LBB1117_111:                           ; =>This Inner Loop Header: Depth=1
	global_load_ushort v37, v[4:5], off
	global_load_ushort v38, v[6:7], off
	s_mov_b64 s[52:53], 0
	s_mov_b64 s[46:47], -1
	s_waitcnt vmcnt(1)
	v_lshlrev_b32_e32 v37, 16, v37
	s_waitcnt vmcnt(0)
	v_lshlrev_b32_e32 v38, 16, v38
	v_cmp_nlt_f32_e32 vcc, v37, v38
	s_and_saveexec_b64 s[48:49], vcc
; %bb.112:                              ;   in Loop: Header=BB1117_111 Depth=1
	v_cmp_ngt_f32_e32 vcc, v37, v38
	s_and_b64 s[44:45], vcc, s[44:45]
	s_orn2_b64 s[46:47], s[44:45], exec
	s_and_b64 s[52:53], vcc, exec
; %bb.113:                              ;   in Loop: Header=BB1117_111 Depth=1
	s_or_b64 exec, exec, s[48:49]
	s_andn2_b64 s[40:41], s[40:41], exec
	s_and_b64 s[44:45], s[46:47], exec
	s_mov_b64 s[50:51], -1
	s_or_b64 s[40:41], s[40:41], s[44:45]
                                        ; implicit-def: $sgpr44_sgpr45
	s_and_saveexec_b64 s[48:49], s[52:53]
	s_cbranch_execz .LBB1117_110
; %bb.114:                              ;   in Loop: Header=BB1117_111 Depth=1
	s_add_u32 s42, s42, -1
	v_add_co_u32_e32 v4, vcc, 2, v4
	s_addc_u32 s43, s43, -1
	v_addc_co_u32_e32 v5, vcc, 0, v5, vcc
	s_cmp_eq_u64 s[42:43], 0
	v_add_co_u32_e32 v6, vcc, 2, v6
	s_cselect_b64 s[50:51], -1, 0
	v_addc_co_u32_e32 v7, vcc, 0, v7, vcc
	s_and_b64 s[44:45], s[46:47], exec
	s_andn2_b64 s[40:41], s[40:41], exec
	s_orn2_b64 s[50:51], s[50:51], exec
	s_branch .LBB1117_110
.LBB1117_115:
	s_or_b64 exec, exec, s[36:37]
	s_xor_b64 s[36:37], s[38:39], -1
	s_andn2_b64 s[4:5], s[4:5], exec
	s_and_b64 s[36:37], s[36:37], exec
	s_or_b64 s[4:5], s[4:5], s[36:37]
.LBB1117_116:
	s_or_b64 exec, exec, s[34:35]
	s_orn2_b64 s[4:5], s[4:5], exec
.LBB1117_117:
	s_or_b64 exec, exec, s[30:31]
	v_cndmask_b32_e64 v4, v9, v8, s[4:5]
	v_cndmask_b32_e64 v5, v19, v18, s[4:5]
	v_add_u32_e32 v38, 1, v4
	v_add_u32_e32 v4, -1, v5
	v_min_u32_e32 v4, v38, v4
	v_lshl_add_u32 v4, v4, 3, v14
	ds_read_b64 v[4:5], v4
	v_cndmask_b32_e64 v9, v38, v9, s[4:5]
	v_cmp_lt_u32_e32 vcc, v9, v19
	s_waitcnt lgkmcnt(0)
	v_cndmask_b32_e64 v7, v35, v5, s[4:5]
	v_cndmask_b32_e64 v6, v36, v4, s[4:5]
	s_and_saveexec_b64 s[30:31], vcc
	s_cbranch_execz .LBB1117_127
; %bb.118:
	v_cndmask_b32_e64 v37, v4, v34, s[4:5]
	v_cndmask_b32_e64 v4, v8, v38, s[4:5]
	v_cmp_ge_u32_e32 vcc, v4, v18
	v_cndmask_b32_e64 v19, v5, v33, s[4:5]
	s_or_b64 s[34:35], vcc, s[24:25]
	v_cndmask_b32_e32 v5, v7, v19, vcc
	s_xor_b64 s[36:37], s[34:35], -1
	v_cndmask_b32_e32 v4, v6, v37, vcc
	s_and_saveexec_b64 s[34:35], s[36:37]
	s_cbranch_execz .LBB1117_126
; %bb.119:
	v_mul_lo_u32 v8, v19, s12
	v_mul_lo_u32 v9, v37, s13
	v_mad_u64_u32 v[4:5], s[36:37], v37, s12, 0
	v_add3_u32 v5, v5, v9, v8
	v_lshlrev_b64 v[4:5], 1, v[4:5]
	v_mov_b32_e32 v8, s15
	v_add_co_u32_e32 v4, vcc, s14, v4
	v_addc_co_u32_e32 v5, vcc, v8, v5, vcc
	v_mul_lo_u32 v18, v7, s12
	v_mul_lo_u32 v38, v6, s13
	v_mad_u64_u32 v[8:9], s[36:37], v6, s12, 0
	v_add3_u32 v9, v9, v38, v18
	v_lshlrev_b64 v[8:9], 1, v[8:9]
	v_mov_b32_e32 v18, s15
	v_add_co_u32_e32 v8, vcc, s14, v8
	v_addc_co_u32_e32 v9, vcc, v18, v9, vcc
	s_mov_b64 s[36:37], 0
	s_mov_b64 s[42:43], s[12:13]
                                        ; implicit-def: $sgpr38_sgpr39
                                        ; implicit-def: $sgpr40_sgpr41
                                        ; implicit-def: $sgpr44_sgpr45
	s_branch .LBB1117_121
.LBB1117_120:                           ;   in Loop: Header=BB1117_121 Depth=1
	s_or_b64 exec, exec, s[48:49]
	s_and_b64 s[46:47], exec, s[50:51]
	s_or_b64 s[36:37], s[46:47], s[36:37]
	s_andn2_b64 s[38:39], s[38:39], exec
	s_and_b64 s[46:47], s[40:41], exec
	s_or_b64 s[38:39], s[38:39], s[46:47]
	s_andn2_b64 exec, exec, s[36:37]
	s_cbranch_execz .LBB1117_125
.LBB1117_121:                           ; =>This Inner Loop Header: Depth=1
	global_load_ushort v18, v[4:5], off
	global_load_ushort v38, v[8:9], off
	s_mov_b64 s[52:53], 0
	s_mov_b64 s[46:47], -1
	s_waitcnt vmcnt(1)
	v_lshlrev_b32_e32 v18, 16, v18
	s_waitcnt vmcnt(0)
	v_lshlrev_b32_e32 v38, 16, v38
	v_cmp_nlt_f32_e32 vcc, v18, v38
	s_and_saveexec_b64 s[48:49], vcc
; %bb.122:                              ;   in Loop: Header=BB1117_121 Depth=1
	v_cmp_ngt_f32_e32 vcc, v18, v38
	s_and_b64 s[44:45], vcc, s[44:45]
	s_orn2_b64 s[46:47], s[44:45], exec
	s_and_b64 s[52:53], vcc, exec
; %bb.123:                              ;   in Loop: Header=BB1117_121 Depth=1
	s_or_b64 exec, exec, s[48:49]
	s_andn2_b64 s[40:41], s[40:41], exec
	s_and_b64 s[44:45], s[46:47], exec
	s_mov_b64 s[50:51], -1
	s_or_b64 s[40:41], s[40:41], s[44:45]
                                        ; implicit-def: $sgpr44_sgpr45
	s_and_saveexec_b64 s[48:49], s[52:53]
	s_cbranch_execz .LBB1117_120
; %bb.124:                              ;   in Loop: Header=BB1117_121 Depth=1
	s_add_u32 s42, s42, -1
	v_add_co_u32_e32 v4, vcc, 2, v4
	s_addc_u32 s43, s43, -1
	v_addc_co_u32_e32 v5, vcc, 0, v5, vcc
	s_cmp_eq_u64 s[42:43], 0
	v_add_co_u32_e32 v8, vcc, 2, v8
	s_cselect_b64 s[50:51], -1, 0
	v_addc_co_u32_e32 v9, vcc, 0, v9, vcc
	s_and_b64 s[44:45], s[46:47], exec
	s_andn2_b64 s[40:41], s[40:41], exec
	s_orn2_b64 s[50:51], s[50:51], exec
	s_branch .LBB1117_120
.LBB1117_125:
	s_or_b64 exec, exec, s[36:37]
	v_cndmask_b32_e64 v5, v7, v19, s[38:39]
	v_cndmask_b32_e64 v4, v6, v37, s[38:39]
.LBB1117_126:
	s_or_b64 exec, exec, s[34:35]
	v_pk_mov_b32 v[6:7], v[4:5], v[4:5] op_sel:[0,1]
.LBB1117_127:
	s_or_b64 exec, exec, s[30:31]
	v_cndmask_b32_e64 v1, v3, v1, s[2:3]
	v_cndmask_b32_e64 v0, v2, v0, s[2:3]
	v_cndmask_b32_e64 v3, v10, v20, s[28:29]
	v_cndmask_b32_e64 v2, v11, v21, s[28:29]
	v_cndmask_b32_e64 v5, v33, v35, s[4:5]
	v_cndmask_b32_e64 v4, v34, v36, s[4:5]
.LBB1117_128:
	s_or_b64 exec, exec, s[26:27]
	v_and_b32_e32 v21, 0x1f0, v16
	v_or_b32_e32 v8, 8, v21
	v_min_u32_e32 v18, v15, v8
	v_add_u32_e32 v8, 8, v18
	v_min_u32_e32 v19, v15, v8
	v_and_b32_e32 v8, 12, v16
	v_min_u32_e32 v33, v15, v8
	v_sub_u32_e32 v8, v18, v21
	v_sub_u32_e32 v9, v19, v18
	v_sub_u32_e64 v34, v33, v9 clamp
	v_min_u32_e32 v35, v33, v8
	v_lshl_add_u32 v20, v21, 3, v14
	v_cmp_lt_u32_e32 vcc, v34, v35
	; wave barrier
	ds_write_b128 v17, v[0:3]
	ds_write_b128 v17, v[4:7] offset:16
	; wave barrier
	s_and_saveexec_b64 s[2:3], vcc
	s_cbranch_execz .LBB1117_140
; %bb.129:
	v_lshlrev_b32_e32 v8, 3, v18
	v_lshlrev_b32_e32 v9, 3, v33
	v_add3_u32 v36, v14, v8, v9
	s_lshl_b64 s[26:27], s[12:13], 1
	s_mov_b64 s[4:5], 0
	s_branch .LBB1117_132
.LBB1117_130:                           ;   in Loop: Header=BB1117_132 Depth=1
	s_or_b64 exec, exec, s[30:31]
.LBB1117_131:                           ;   in Loop: Header=BB1117_132 Depth=1
	v_add_u32_e32 v8, 1, v37
	v_cndmask_b32_e64 v35, v35, v37, s[28:29]
	v_cndmask_b32_e64 v34, v8, v34, s[28:29]
	v_cmp_ge_u32_e32 vcc, v34, v35
	s_or_b64 s[4:5], vcc, s[4:5]
	s_andn2_b64 exec, exec, s[4:5]
	s_cbranch_execz .LBB1117_139
.LBB1117_132:                           ; =>This Loop Header: Depth=1
                                        ;     Child Loop BB1117_135 Depth 2
	v_add_u32_e32 v8, v35, v34
	v_lshrrev_b32_e32 v37, 1, v8
	s_and_b64 vcc, exec, s[0:1]
	s_mov_b64 s[28:29], 0
	s_cbranch_vccnz .LBB1117_131
; %bb.133:                              ;   in Loop: Header=BB1117_132 Depth=1
	v_not_b32_e32 v8, v37
	v_lshl_add_u32 v8, v8, 3, v36
	ds_read_b64 v[8:9], v8
	v_lshl_add_u32 v38, v37, 3, v20
	ds_read_b64 v[38:39], v38
	v_pk_mov_b32 v[10:11], s[14:15], s[14:15] op_sel:[0,1]
	s_mov_b64 s[30:31], 0
	s_waitcnt lgkmcnt(1)
	v_mul_lo_u32 v40, s26, v9
	v_mul_lo_u32 v41, s27, v8
	v_mad_u64_u32 v[8:9], s[28:29], s26, v8, v[10:11]
	v_add3_u32 v9, v41, v9, v40
	s_waitcnt lgkmcnt(0)
	v_mul_lo_u32 v39, s26, v39
	v_mul_lo_u32 v40, s27, v38
	v_mad_u64_u32 v[10:11], s[28:29], s26, v38, v[10:11]
	v_add3_u32 v11, v40, v11, v39
	s_mov_b64 s[36:37], s[12:13]
                                        ; implicit-def: $sgpr28_sgpr29
                                        ; implicit-def: $sgpr34_sgpr35
                                        ; implicit-def: $sgpr38_sgpr39
	s_branch .LBB1117_135
.LBB1117_134:                           ;   in Loop: Header=BB1117_135 Depth=2
	s_or_b64 exec, exec, s[44:45]
	s_and_b64 s[40:41], exec, s[40:41]
	s_or_b64 s[30:31], s[40:41], s[30:31]
	s_andn2_b64 s[28:29], s[28:29], exec
	s_and_b64 s[40:41], s[34:35], exec
	s_or_b64 s[28:29], s[28:29], s[40:41]
	s_andn2_b64 exec, exec, s[30:31]
	s_cbranch_execz .LBB1117_130
.LBB1117_135:                           ;   Parent Loop BB1117_132 Depth=1
                                        ; =>  This Inner Loop Header: Depth=2
	global_load_ushort v38, v[8:9], off
	global_load_ushort v39, v[10:11], off
	s_mov_b64 s[40:41], -1
	s_mov_b64 s[46:47], 0
	s_mov_b64 s[42:43], -1
	s_waitcnt vmcnt(1)
	v_lshlrev_b32_e32 v38, 16, v38
	s_waitcnt vmcnt(0)
	v_lshlrev_b32_e32 v39, 16, v39
	v_cmp_nlt_f32_e32 vcc, v38, v39
	s_and_saveexec_b64 s[44:45], vcc
; %bb.136:                              ;   in Loop: Header=BB1117_135 Depth=2
	v_cmp_ngt_f32_e32 vcc, v38, v39
	s_and_b64 s[38:39], vcc, s[38:39]
	s_orn2_b64 s[42:43], s[38:39], exec
	s_and_b64 s[46:47], vcc, exec
; %bb.137:                              ;   in Loop: Header=BB1117_135 Depth=2
	s_or_b64 exec, exec, s[44:45]
	s_andn2_b64 s[34:35], s[34:35], exec
	s_and_b64 s[38:39], s[42:43], exec
	s_or_b64 s[34:35], s[34:35], s[38:39]
                                        ; implicit-def: $sgpr38_sgpr39
	s_and_saveexec_b64 s[44:45], s[46:47]
	s_cbranch_execz .LBB1117_134
; %bb.138:                              ;   in Loop: Header=BB1117_135 Depth=2
	s_add_u32 s36, s36, -1
	v_add_co_u32_e32 v8, vcc, 2, v8
	s_addc_u32 s37, s37, -1
	v_addc_co_u32_e32 v9, vcc, 0, v9, vcc
	s_cmp_eq_u64 s[36:37], 0
	v_add_co_u32_e32 v10, vcc, 2, v10
	s_cselect_b64 s[40:41], -1, 0
	v_addc_co_u32_e32 v11, vcc, 0, v11, vcc
	s_andn2_b64 s[34:35], s[34:35], exec
	s_and_b64 s[38:39], s[42:43], exec
	s_orn2_b64 s[40:41], s[40:41], exec
	s_branch .LBB1117_134
.LBB1117_139:
	s_or_b64 exec, exec, s[4:5]
.LBB1117_140:
	s_or_b64 exec, exec, s[2:3]
	v_add_u32_e32 v8, v18, v33
	v_add_u32_e32 v21, v34, v21
	v_sub_u32_e32 v33, v8, v34
	v_cmp_le_u32_e32 vcc, v21, v18
	v_cmp_le_u32_e64 s[2:3], v33, v19
	s_or_b64 s[2:3], vcc, s[2:3]
	s_and_saveexec_b64 s[26:27], s[2:3]
	s_cbranch_execz .LBB1117_184
; %bb.141:
	v_cmp_ge_u32_e32 vcc, v21, v18
	v_cmp_lt_u32_e64 s[2:3], v21, v18
                                        ; implicit-def: $vgpr0_vgpr1
	s_and_saveexec_b64 s[4:5], s[2:3]
	s_cbranch_execz .LBB1117_143
; %bb.142:
	v_lshl_add_u32 v0, v34, 3, v20
	ds_read_b64 v[0:1], v0
.LBB1117_143:
	s_or_b64 exec, exec, s[4:5]
	v_cmp_ge_u32_e64 s[2:3], v33, v19
	v_cmp_lt_u32_e64 s[4:5], v33, v19
                                        ; implicit-def: $vgpr4_vgpr5
	s_and_saveexec_b64 s[28:29], s[4:5]
	s_cbranch_execz .LBB1117_145
; %bb.144:
	v_lshl_add_u32 v2, v33, 3, v14
	ds_read_b64 v[4:5], v2
.LBB1117_145:
	s_or_b64 exec, exec, s[28:29]
	s_or_b64 s[4:5], vcc, s[2:3]
	s_or_b64 s[4:5], s[4:5], s[24:25]
	s_xor_b64 s[28:29], s[4:5], -1
	s_xor_b64 s[4:5], vcc, -1
	s_or_b64 s[2:3], s[2:3], s[4:5]
	s_and_saveexec_b64 s[4:5], s[28:29]
	s_cbranch_execz .LBB1117_153
; %bb.146:
	s_waitcnt lgkmcnt(0)
	v_mul_lo_u32 v6, v5, s12
	v_mul_lo_u32 v7, v4, s13
	v_mad_u64_u32 v[2:3], s[28:29], v4, s12, 0
	v_add3_u32 v3, v3, v7, v6
	v_lshlrev_b64 v[2:3], 1, v[2:3]
	v_mov_b32_e32 v6, s15
	v_add_co_u32_e32 v2, vcc, s14, v2
	v_addc_co_u32_e32 v3, vcc, v6, v3, vcc
	v_mul_lo_u32 v8, v1, s12
	v_mul_lo_u32 v9, v0, s13
	v_mad_u64_u32 v[6:7], s[28:29], v0, s12, 0
	v_add3_u32 v7, v7, v9, v8
	v_lshlrev_b64 v[6:7], 1, v[6:7]
	v_mov_b32_e32 v8, s15
	v_add_co_u32_e32 v6, vcc, s14, v6
	v_addc_co_u32_e32 v7, vcc, v8, v7, vcc
	s_mov_b64 s[28:29], 0
	s_mov_b64 s[36:37], s[12:13]
                                        ; implicit-def: $sgpr30_sgpr31
                                        ; implicit-def: $sgpr34_sgpr35
                                        ; implicit-def: $sgpr38_sgpr39
	s_branch .LBB1117_148
.LBB1117_147:                           ;   in Loop: Header=BB1117_148 Depth=1
	s_or_b64 exec, exec, s[42:43]
	s_and_b64 s[40:41], exec, s[44:45]
	s_or_b64 s[28:29], s[40:41], s[28:29]
	s_andn2_b64 s[30:31], s[30:31], exec
	s_and_b64 s[40:41], s[34:35], exec
	s_or_b64 s[30:31], s[30:31], s[40:41]
	s_andn2_b64 exec, exec, s[28:29]
	s_cbranch_execz .LBB1117_152
.LBB1117_148:                           ; =>This Inner Loop Header: Depth=1
	global_load_ushort v8, v[2:3], off
	global_load_ushort v9, v[6:7], off
	s_mov_b64 s[46:47], 0
	s_mov_b64 s[40:41], -1
	s_waitcnt vmcnt(1)
	v_lshlrev_b32_e32 v8, 16, v8
	s_waitcnt vmcnt(0)
	v_lshlrev_b32_e32 v9, 16, v9
	v_cmp_nlt_f32_e32 vcc, v8, v9
	s_and_saveexec_b64 s[42:43], vcc
; %bb.149:                              ;   in Loop: Header=BB1117_148 Depth=1
	v_cmp_ngt_f32_e32 vcc, v8, v9
	s_and_b64 s[38:39], vcc, s[38:39]
	s_orn2_b64 s[40:41], s[38:39], exec
	s_and_b64 s[46:47], vcc, exec
; %bb.150:                              ;   in Loop: Header=BB1117_148 Depth=1
	s_or_b64 exec, exec, s[42:43]
	s_andn2_b64 s[34:35], s[34:35], exec
	s_and_b64 s[38:39], s[40:41], exec
	s_mov_b64 s[44:45], -1
	s_or_b64 s[34:35], s[34:35], s[38:39]
                                        ; implicit-def: $sgpr38_sgpr39
	s_and_saveexec_b64 s[42:43], s[46:47]
	s_cbranch_execz .LBB1117_147
; %bb.151:                              ;   in Loop: Header=BB1117_148 Depth=1
	s_add_u32 s36, s36, -1
	v_add_co_u32_e32 v2, vcc, 2, v2
	s_addc_u32 s37, s37, -1
	v_addc_co_u32_e32 v3, vcc, 0, v3, vcc
	s_cmp_eq_u64 s[36:37], 0
	v_add_co_u32_e32 v6, vcc, 2, v6
	s_cselect_b64 s[44:45], -1, 0
	v_addc_co_u32_e32 v7, vcc, 0, v7, vcc
	s_and_b64 s[38:39], s[40:41], exec
	s_andn2_b64 s[34:35], s[34:35], exec
	s_orn2_b64 s[44:45], s[44:45], exec
	s_branch .LBB1117_147
.LBB1117_152:
	s_or_b64 exec, exec, s[28:29]
	s_xor_b64 s[28:29], s[30:31], -1
	s_andn2_b64 s[2:3], s[2:3], exec
	s_and_b64 s[28:29], s[28:29], exec
	s_or_b64 s[2:3], s[2:3], s[28:29]
.LBB1117_153:
	s_or_b64 exec, exec, s[4:5]
	v_cndmask_b32_e64 v2, v33, v21, s[2:3]
	v_cndmask_b32_e64 v3, v19, v18, s[2:3]
	v_add_u32_e32 v6, 1, v2
	v_add_u32_e32 v2, -1, v3
	v_min_u32_e32 v2, v6, v2
	v_lshl_add_u32 v2, v2, 3, v14
	ds_read_b64 v[2:3], v2
	v_cndmask_b32_e64 v33, v6, v33, s[2:3]
	v_cndmask_b32_e64 v37, v21, v6, s[2:3]
	v_cmp_lt_u32_e32 vcc, v33, v19
	s_mov_b64 s[4:5], -1
	s_waitcnt lgkmcnt(0)
	v_cndmask_b32_e64 v8, v3, v5, s[2:3]
	v_cndmask_b32_e64 v9, v2, v4, s[2:3]
	v_cndmask_b32_e64 v10, v1, v3, s[2:3]
	v_cndmask_b32_e64 v11, v0, v2, s[2:3]
	s_mov_b64 s[28:29], -1
	s_and_saveexec_b64 s[30:31], vcc
	s_cbranch_execz .LBB1117_163
; %bb.154:
	v_cmp_lt_u32_e64 s[28:29], v37, v18
	s_xor_b64 s[34:35], s[24:25], -1
	s_and_b64 s[36:37], s[28:29], s[34:35]
	s_and_saveexec_b64 s[34:35], s[36:37]
	s_cbranch_execz .LBB1117_162
; %bb.155:
	v_mul_lo_u32 v6, v8, s12
	v_mul_lo_u32 v7, v9, s13
	v_mad_u64_u32 v[2:3], s[36:37], v9, s12, 0
	v_add3_u32 v3, v3, v7, v6
	v_lshlrev_b64 v[2:3], 1, v[2:3]
	v_mov_b32_e32 v6, s15
	v_add_co_u32_e32 v2, vcc, s14, v2
	v_addc_co_u32_e32 v3, vcc, v6, v3, vcc
	v_mul_lo_u32 v20, v10, s12
	v_mul_lo_u32 v21, v11, s13
	v_mad_u64_u32 v[6:7], s[36:37], v11, s12, 0
	v_add3_u32 v7, v7, v21, v20
	v_lshlrev_b64 v[6:7], 1, v[6:7]
	v_mov_b32_e32 v20, s15
	v_add_co_u32_e32 v6, vcc, s14, v6
	v_addc_co_u32_e32 v7, vcc, v20, v7, vcc
	s_mov_b64 s[36:37], 0
	s_mov_b64 s[42:43], s[12:13]
                                        ; implicit-def: $sgpr38_sgpr39
                                        ; implicit-def: $sgpr40_sgpr41
                                        ; implicit-def: $sgpr44_sgpr45
	s_branch .LBB1117_157
.LBB1117_156:                           ;   in Loop: Header=BB1117_157 Depth=1
	s_or_b64 exec, exec, s[48:49]
	s_and_b64 s[46:47], exec, s[50:51]
	s_or_b64 s[36:37], s[46:47], s[36:37]
	s_andn2_b64 s[38:39], s[38:39], exec
	s_and_b64 s[46:47], s[40:41], exec
	s_or_b64 s[38:39], s[38:39], s[46:47]
	s_andn2_b64 exec, exec, s[36:37]
	s_cbranch_execz .LBB1117_161
.LBB1117_157:                           ; =>This Inner Loop Header: Depth=1
	global_load_ushort v20, v[2:3], off
	global_load_ushort v21, v[6:7], off
	s_mov_b64 s[52:53], 0
	s_mov_b64 s[46:47], -1
	s_waitcnt vmcnt(1)
	v_lshlrev_b32_e32 v20, 16, v20
	s_waitcnt vmcnt(0)
	v_lshlrev_b32_e32 v21, 16, v21
	v_cmp_nlt_f32_e32 vcc, v20, v21
	s_and_saveexec_b64 s[48:49], vcc
; %bb.158:                              ;   in Loop: Header=BB1117_157 Depth=1
	v_cmp_ngt_f32_e32 vcc, v20, v21
	s_and_b64 s[44:45], vcc, s[44:45]
	s_orn2_b64 s[46:47], s[44:45], exec
	s_and_b64 s[52:53], vcc, exec
; %bb.159:                              ;   in Loop: Header=BB1117_157 Depth=1
	s_or_b64 exec, exec, s[48:49]
	s_andn2_b64 s[40:41], s[40:41], exec
	s_and_b64 s[44:45], s[46:47], exec
	s_mov_b64 s[50:51], -1
	s_or_b64 s[40:41], s[40:41], s[44:45]
                                        ; implicit-def: $sgpr44_sgpr45
	s_and_saveexec_b64 s[48:49], s[52:53]
	s_cbranch_execz .LBB1117_156
; %bb.160:                              ;   in Loop: Header=BB1117_157 Depth=1
	s_add_u32 s42, s42, -1
	v_add_co_u32_e32 v2, vcc, 2, v2
	s_addc_u32 s43, s43, -1
	v_addc_co_u32_e32 v3, vcc, 0, v3, vcc
	s_cmp_eq_u64 s[42:43], 0
	v_add_co_u32_e32 v6, vcc, 2, v6
	s_cselect_b64 s[50:51], -1, 0
	v_addc_co_u32_e32 v7, vcc, 0, v7, vcc
	s_and_b64 s[44:45], s[46:47], exec
	s_andn2_b64 s[40:41], s[40:41], exec
	s_orn2_b64 s[50:51], s[50:51], exec
	s_branch .LBB1117_156
.LBB1117_161:
	s_or_b64 exec, exec, s[36:37]
	s_xor_b64 s[36:37], s[38:39], -1
	s_andn2_b64 s[28:29], s[28:29], exec
	s_and_b64 s[36:37], s[36:37], exec
	s_or_b64 s[28:29], s[28:29], s[36:37]
.LBB1117_162:
	s_or_b64 exec, exec, s[34:35]
	s_orn2_b64 s[28:29], s[28:29], exec
.LBB1117_163:
	s_or_b64 exec, exec, s[30:31]
	v_cndmask_b32_e64 v2, v33, v37, s[28:29]
	v_cndmask_b32_e64 v3, v19, v18, s[28:29]
	v_add_u32_e32 v6, 1, v2
	v_add_u32_e32 v2, -1, v3
	v_min_u32_e32 v2, v6, v2
	v_lshl_add_u32 v2, v2, 3, v14
	ds_read_b64 v[2:3], v2
	v_cndmask_b32_e64 v34, v6, v33, s[28:29]
	v_cndmask_b32_e64 v33, v37, v6, s[28:29]
	v_cmp_lt_u32_e32 vcc, v34, v19
	s_waitcnt lgkmcnt(0)
	v_cndmask_b32_e64 v20, v3, v8, s[28:29]
	v_cndmask_b32_e64 v21, v2, v9, s[28:29]
	;; [unrolled: 1-line block ×4, first 2 shown]
	s_and_saveexec_b64 s[30:31], vcc
	s_cbranch_execz .LBB1117_173
; %bb.164:
	v_cmp_lt_u32_e64 s[4:5], v33, v18
	s_xor_b64 s[34:35], s[24:25], -1
	s_and_b64 s[36:37], s[4:5], s[34:35]
	s_and_saveexec_b64 s[34:35], s[36:37]
	s_cbranch_execz .LBB1117_172
; %bb.165:
	v_mul_lo_u32 v6, v20, s12
	v_mul_lo_u32 v7, v21, s13
	v_mad_u64_u32 v[2:3], s[36:37], v21, s12, 0
	v_add3_u32 v3, v3, v7, v6
	v_lshlrev_b64 v[2:3], 1, v[2:3]
	v_mov_b32_e32 v6, s15
	v_add_co_u32_e32 v2, vcc, s14, v2
	v_addc_co_u32_e32 v3, vcc, v6, v3, vcc
	v_mul_lo_u32 v37, v35, s12
	v_mul_lo_u32 v38, v36, s13
	v_mad_u64_u32 v[6:7], s[36:37], v36, s12, 0
	v_add3_u32 v7, v7, v38, v37
	v_lshlrev_b64 v[6:7], 1, v[6:7]
	v_mov_b32_e32 v37, s15
	v_add_co_u32_e32 v6, vcc, s14, v6
	v_addc_co_u32_e32 v7, vcc, v37, v7, vcc
	s_mov_b64 s[36:37], 0
	s_mov_b64 s[42:43], s[12:13]
                                        ; implicit-def: $sgpr38_sgpr39
                                        ; implicit-def: $sgpr40_sgpr41
                                        ; implicit-def: $sgpr44_sgpr45
	s_branch .LBB1117_167
.LBB1117_166:                           ;   in Loop: Header=BB1117_167 Depth=1
	s_or_b64 exec, exec, s[48:49]
	s_and_b64 s[46:47], exec, s[50:51]
	s_or_b64 s[36:37], s[46:47], s[36:37]
	s_andn2_b64 s[38:39], s[38:39], exec
	s_and_b64 s[46:47], s[40:41], exec
	s_or_b64 s[38:39], s[38:39], s[46:47]
	s_andn2_b64 exec, exec, s[36:37]
	s_cbranch_execz .LBB1117_171
.LBB1117_167:                           ; =>This Inner Loop Header: Depth=1
	global_load_ushort v37, v[2:3], off
	global_load_ushort v38, v[6:7], off
	s_mov_b64 s[52:53], 0
	s_mov_b64 s[46:47], -1
	s_waitcnt vmcnt(1)
	v_lshlrev_b32_e32 v37, 16, v37
	s_waitcnt vmcnt(0)
	v_lshlrev_b32_e32 v38, 16, v38
	v_cmp_nlt_f32_e32 vcc, v37, v38
	s_and_saveexec_b64 s[48:49], vcc
; %bb.168:                              ;   in Loop: Header=BB1117_167 Depth=1
	v_cmp_ngt_f32_e32 vcc, v37, v38
	s_and_b64 s[44:45], vcc, s[44:45]
	s_orn2_b64 s[46:47], s[44:45], exec
	s_and_b64 s[52:53], vcc, exec
; %bb.169:                              ;   in Loop: Header=BB1117_167 Depth=1
	s_or_b64 exec, exec, s[48:49]
	s_andn2_b64 s[40:41], s[40:41], exec
	s_and_b64 s[44:45], s[46:47], exec
	s_mov_b64 s[50:51], -1
	s_or_b64 s[40:41], s[40:41], s[44:45]
                                        ; implicit-def: $sgpr44_sgpr45
	s_and_saveexec_b64 s[48:49], s[52:53]
	s_cbranch_execz .LBB1117_166
; %bb.170:                              ;   in Loop: Header=BB1117_167 Depth=1
	s_add_u32 s42, s42, -1
	v_add_co_u32_e32 v2, vcc, 2, v2
	s_addc_u32 s43, s43, -1
	v_addc_co_u32_e32 v3, vcc, 0, v3, vcc
	s_cmp_eq_u64 s[42:43], 0
	v_add_co_u32_e32 v6, vcc, 2, v6
	s_cselect_b64 s[50:51], -1, 0
	v_addc_co_u32_e32 v7, vcc, 0, v7, vcc
	s_and_b64 s[44:45], s[46:47], exec
	s_andn2_b64 s[40:41], s[40:41], exec
	s_orn2_b64 s[50:51], s[50:51], exec
	s_branch .LBB1117_166
.LBB1117_171:
	s_or_b64 exec, exec, s[36:37]
	s_xor_b64 s[36:37], s[38:39], -1
	s_andn2_b64 s[4:5], s[4:5], exec
	s_and_b64 s[36:37], s[36:37], exec
	s_or_b64 s[4:5], s[4:5], s[36:37]
.LBB1117_172:
	s_or_b64 exec, exec, s[34:35]
	s_orn2_b64 s[4:5], s[4:5], exec
.LBB1117_173:
	s_or_b64 exec, exec, s[30:31]
	v_cndmask_b32_e64 v6, v34, v33, s[4:5]
	v_cndmask_b32_e64 v7, v19, v18, s[4:5]
	;; [unrolled: 1-line block ×3, first 2 shown]
	v_add_u32_e32 v10, 1, v6
	v_add_u32_e32 v6, -1, v7
	v_min_u32_e32 v6, v10, v6
	v_lshl_add_u32 v6, v6, 3, v14
	v_cndmask_b32_e64 v2, v9, v11, s[28:29]
	ds_read_b64 v[8:9], v6
	v_cndmask_b32_e64 v11, v10, v34, s[4:5]
	v_cndmask_b32_e64 v1, v5, v1, s[2:3]
	;; [unrolled: 1-line block ×5, first 2 shown]
	s_waitcnt lgkmcnt(0)
	v_cndmask_b32_e64 v7, v35, v9, s[4:5]
	v_cndmask_b32_e64 v6, v36, v8, s[4:5]
	v_cmp_lt_u32_e32 vcc, v11, v19
	s_and_saveexec_b64 s[2:3], vcc
	s_cbranch_execz .LBB1117_183
; %bb.174:
	v_cndmask_b32_e64 v19, v9, v20, s[4:5]
	v_cndmask_b32_e64 v20, v8, v21, s[4:5]
	;; [unrolled: 1-line block ×3, first 2 shown]
	v_cmp_ge_u32_e32 vcc, v8, v18
	s_or_b64 s[4:5], vcc, s[24:25]
	v_cndmask_b32_e32 v9, v7, v19, vcc
	s_xor_b64 s[28:29], s[4:5], -1
	v_cndmask_b32_e32 v8, v6, v20, vcc
	s_and_saveexec_b64 s[4:5], s[28:29]
	s_cbranch_execz .LBB1117_182
; %bb.175:
	v_mul_lo_u32 v10, v19, s12
	v_mul_lo_u32 v11, v20, s13
	v_mad_u64_u32 v[8:9], s[28:29], v20, s12, 0
	v_add3_u32 v9, v9, v11, v10
	v_lshlrev_b64 v[8:9], 1, v[8:9]
	v_mov_b32_e32 v10, s15
	v_add_co_u32_e32 v8, vcc, s14, v8
	v_addc_co_u32_e32 v9, vcc, v10, v9, vcc
	v_mul_lo_u32 v18, v7, s12
	v_mul_lo_u32 v21, v6, s13
	v_mad_u64_u32 v[10:11], s[28:29], v6, s12, 0
	v_add3_u32 v11, v11, v21, v18
	v_lshlrev_b64 v[10:11], 1, v[10:11]
	v_mov_b32_e32 v18, s15
	v_add_co_u32_e32 v10, vcc, s14, v10
	v_addc_co_u32_e32 v11, vcc, v18, v11, vcc
	s_mov_b64 s[28:29], 0
	s_mov_b64 s[36:37], s[12:13]
                                        ; implicit-def: $sgpr30_sgpr31
                                        ; implicit-def: $sgpr34_sgpr35
                                        ; implicit-def: $sgpr38_sgpr39
	s_branch .LBB1117_177
.LBB1117_176:                           ;   in Loop: Header=BB1117_177 Depth=1
	s_or_b64 exec, exec, s[42:43]
	s_and_b64 s[40:41], exec, s[44:45]
	s_or_b64 s[28:29], s[40:41], s[28:29]
	s_andn2_b64 s[30:31], s[30:31], exec
	s_and_b64 s[40:41], s[34:35], exec
	s_or_b64 s[30:31], s[30:31], s[40:41]
	s_andn2_b64 exec, exec, s[28:29]
	s_cbranch_execz .LBB1117_181
.LBB1117_177:                           ; =>This Inner Loop Header: Depth=1
	global_load_ushort v18, v[8:9], off
	global_load_ushort v21, v[10:11], off
	s_mov_b64 s[46:47], 0
	s_mov_b64 s[40:41], -1
	s_waitcnt vmcnt(1)
	v_lshlrev_b32_e32 v18, 16, v18
	s_waitcnt vmcnt(0)
	v_lshlrev_b32_e32 v21, 16, v21
	v_cmp_nlt_f32_e32 vcc, v18, v21
	s_and_saveexec_b64 s[42:43], vcc
; %bb.178:                              ;   in Loop: Header=BB1117_177 Depth=1
	v_cmp_ngt_f32_e32 vcc, v18, v21
	s_and_b64 s[38:39], vcc, s[38:39]
	s_orn2_b64 s[40:41], s[38:39], exec
	s_and_b64 s[46:47], vcc, exec
; %bb.179:                              ;   in Loop: Header=BB1117_177 Depth=1
	s_or_b64 exec, exec, s[42:43]
	s_andn2_b64 s[34:35], s[34:35], exec
	s_and_b64 s[38:39], s[40:41], exec
	s_mov_b64 s[44:45], -1
	s_or_b64 s[34:35], s[34:35], s[38:39]
                                        ; implicit-def: $sgpr38_sgpr39
	s_and_saveexec_b64 s[42:43], s[46:47]
	s_cbranch_execz .LBB1117_176
; %bb.180:                              ;   in Loop: Header=BB1117_177 Depth=1
	s_add_u32 s36, s36, -1
	v_add_co_u32_e32 v8, vcc, 2, v8
	s_addc_u32 s37, s37, -1
	v_addc_co_u32_e32 v9, vcc, 0, v9, vcc
	s_cmp_eq_u64 s[36:37], 0
	v_add_co_u32_e32 v10, vcc, 2, v10
	s_cselect_b64 s[44:45], -1, 0
	v_addc_co_u32_e32 v11, vcc, 0, v11, vcc
	s_and_b64 s[38:39], s[40:41], exec
	s_andn2_b64 s[34:35], s[34:35], exec
	s_orn2_b64 s[44:45], s[44:45], exec
	s_branch .LBB1117_176
.LBB1117_181:
	s_or_b64 exec, exec, s[28:29]
	v_cndmask_b32_e64 v9, v7, v19, s[30:31]
	v_cndmask_b32_e64 v8, v6, v20, s[30:31]
.LBB1117_182:
	s_or_b64 exec, exec, s[4:5]
	v_pk_mov_b32 v[6:7], v[8:9], v[8:9] op_sel:[0,1]
.LBB1117_183:
	s_or_b64 exec, exec, s[2:3]
.LBB1117_184:
	s_or_b64 exec, exec, s[26:27]
	v_and_b32_e32 v20, 0x1e0, v16
	v_or_b32_e32 v8, 16, v20
	v_min_u32_e32 v18, v15, v8
	v_add_u32_e32 v8, 16, v18
	v_min_u32_e32 v19, v15, v8
	v_and_b32_e32 v8, 28, v16
	v_min_u32_e32 v33, v15, v8
	v_sub_u32_e32 v8, v18, v20
	v_sub_u32_e32 v9, v19, v18
	v_sub_u32_e64 v34, v33, v9 clamp
	v_min_u32_e32 v35, v33, v8
	v_lshl_add_u32 v21, v20, 3, v14
	v_cmp_lt_u32_e32 vcc, v34, v35
	; wave barrier
	ds_write_b128 v17, v[0:3]
	ds_write_b128 v17, v[4:7] offset:16
	; wave barrier
	s_and_saveexec_b64 s[2:3], vcc
	s_cbranch_execz .LBB1117_196
; %bb.185:
	v_lshlrev_b32_e32 v8, 3, v18
	v_lshlrev_b32_e32 v9, 3, v33
	v_add3_u32 v36, v14, v8, v9
	s_lshl_b64 s[26:27], s[12:13], 1
	s_mov_b64 s[4:5], 0
	s_branch .LBB1117_188
.LBB1117_186:                           ;   in Loop: Header=BB1117_188 Depth=1
	s_or_b64 exec, exec, s[30:31]
.LBB1117_187:                           ;   in Loop: Header=BB1117_188 Depth=1
	v_add_u32_e32 v8, 1, v37
	v_cndmask_b32_e64 v35, v35, v37, s[28:29]
	v_cndmask_b32_e64 v34, v8, v34, s[28:29]
	v_cmp_ge_u32_e32 vcc, v34, v35
	s_or_b64 s[4:5], vcc, s[4:5]
	s_andn2_b64 exec, exec, s[4:5]
	s_cbranch_execz .LBB1117_195
.LBB1117_188:                           ; =>This Loop Header: Depth=1
                                        ;     Child Loop BB1117_191 Depth 2
	v_add_u32_e32 v8, v35, v34
	v_lshrrev_b32_e32 v37, 1, v8
	s_and_b64 vcc, exec, s[0:1]
	s_mov_b64 s[28:29], 0
	s_cbranch_vccnz .LBB1117_187
; %bb.189:                              ;   in Loop: Header=BB1117_188 Depth=1
	v_not_b32_e32 v8, v37
	v_lshl_add_u32 v8, v8, 3, v36
	ds_read_b64 v[8:9], v8
	v_lshl_add_u32 v38, v37, 3, v21
	ds_read_b64 v[38:39], v38
	v_pk_mov_b32 v[10:11], s[14:15], s[14:15] op_sel:[0,1]
	s_mov_b64 s[30:31], 0
	s_waitcnt lgkmcnt(1)
	v_mul_lo_u32 v40, s26, v9
	v_mul_lo_u32 v41, s27, v8
	v_mad_u64_u32 v[8:9], s[28:29], s26, v8, v[10:11]
	v_add3_u32 v9, v41, v9, v40
	s_waitcnt lgkmcnt(0)
	v_mul_lo_u32 v39, s26, v39
	v_mul_lo_u32 v40, s27, v38
	v_mad_u64_u32 v[10:11], s[28:29], s26, v38, v[10:11]
	v_add3_u32 v11, v40, v11, v39
	s_mov_b64 s[36:37], s[12:13]
                                        ; implicit-def: $sgpr28_sgpr29
                                        ; implicit-def: $sgpr34_sgpr35
                                        ; implicit-def: $sgpr38_sgpr39
	s_branch .LBB1117_191
.LBB1117_190:                           ;   in Loop: Header=BB1117_191 Depth=2
	s_or_b64 exec, exec, s[44:45]
	s_and_b64 s[40:41], exec, s[40:41]
	s_or_b64 s[30:31], s[40:41], s[30:31]
	s_andn2_b64 s[28:29], s[28:29], exec
	s_and_b64 s[40:41], s[34:35], exec
	s_or_b64 s[28:29], s[28:29], s[40:41]
	s_andn2_b64 exec, exec, s[30:31]
	s_cbranch_execz .LBB1117_186
.LBB1117_191:                           ;   Parent Loop BB1117_188 Depth=1
                                        ; =>  This Inner Loop Header: Depth=2
	global_load_ushort v38, v[8:9], off
	global_load_ushort v39, v[10:11], off
	s_mov_b64 s[40:41], -1
	s_mov_b64 s[46:47], 0
	s_mov_b64 s[42:43], -1
	s_waitcnt vmcnt(1)
	v_lshlrev_b32_e32 v38, 16, v38
	s_waitcnt vmcnt(0)
	v_lshlrev_b32_e32 v39, 16, v39
	v_cmp_nlt_f32_e32 vcc, v38, v39
	s_and_saveexec_b64 s[44:45], vcc
; %bb.192:                              ;   in Loop: Header=BB1117_191 Depth=2
	v_cmp_ngt_f32_e32 vcc, v38, v39
	s_and_b64 s[38:39], vcc, s[38:39]
	s_orn2_b64 s[42:43], s[38:39], exec
	s_and_b64 s[46:47], vcc, exec
; %bb.193:                              ;   in Loop: Header=BB1117_191 Depth=2
	s_or_b64 exec, exec, s[44:45]
	s_andn2_b64 s[34:35], s[34:35], exec
	s_and_b64 s[38:39], s[42:43], exec
	s_or_b64 s[34:35], s[34:35], s[38:39]
                                        ; implicit-def: $sgpr38_sgpr39
	s_and_saveexec_b64 s[44:45], s[46:47]
	s_cbranch_execz .LBB1117_190
; %bb.194:                              ;   in Loop: Header=BB1117_191 Depth=2
	s_add_u32 s36, s36, -1
	v_add_co_u32_e32 v8, vcc, 2, v8
	s_addc_u32 s37, s37, -1
	v_addc_co_u32_e32 v9, vcc, 0, v9, vcc
	s_cmp_eq_u64 s[36:37], 0
	v_add_co_u32_e32 v10, vcc, 2, v10
	s_cselect_b64 s[40:41], -1, 0
	v_addc_co_u32_e32 v11, vcc, 0, v11, vcc
	s_andn2_b64 s[34:35], s[34:35], exec
	s_and_b64 s[38:39], s[42:43], exec
	s_orn2_b64 s[40:41], s[40:41], exec
	s_branch .LBB1117_190
.LBB1117_195:
	s_or_b64 exec, exec, s[4:5]
.LBB1117_196:
	s_or_b64 exec, exec, s[2:3]
	v_add_u32_e32 v8, v18, v33
	v_add_u32_e32 v20, v34, v20
	v_sub_u32_e32 v33, v8, v34
	v_cmp_le_u32_e32 vcc, v20, v18
	v_cmp_le_u32_e64 s[2:3], v33, v19
	s_or_b64 s[2:3], vcc, s[2:3]
	s_and_saveexec_b64 s[26:27], s[2:3]
	s_cbranch_execz .LBB1117_240
; %bb.197:
	v_cmp_ge_u32_e32 vcc, v20, v18
	v_cmp_lt_u32_e64 s[2:3], v20, v18
                                        ; implicit-def: $vgpr0_vgpr1
	s_and_saveexec_b64 s[4:5], s[2:3]
	s_cbranch_execz .LBB1117_199
; %bb.198:
	v_lshl_add_u32 v0, v34, 3, v21
	ds_read_b64 v[0:1], v0
.LBB1117_199:
	s_or_b64 exec, exec, s[4:5]
	v_cmp_ge_u32_e64 s[2:3], v33, v19
	v_cmp_lt_u32_e64 s[4:5], v33, v19
                                        ; implicit-def: $vgpr4_vgpr5
	s_and_saveexec_b64 s[28:29], s[4:5]
	s_cbranch_execz .LBB1117_201
; %bb.200:
	v_lshl_add_u32 v2, v33, 3, v14
	ds_read_b64 v[4:5], v2
.LBB1117_201:
	s_or_b64 exec, exec, s[28:29]
	s_or_b64 s[4:5], vcc, s[2:3]
	s_or_b64 s[4:5], s[4:5], s[24:25]
	s_xor_b64 s[28:29], s[4:5], -1
	s_xor_b64 s[4:5], vcc, -1
	s_or_b64 s[2:3], s[2:3], s[4:5]
	s_and_saveexec_b64 s[4:5], s[28:29]
	s_cbranch_execz .LBB1117_209
; %bb.202:
	s_waitcnt lgkmcnt(0)
	v_mul_lo_u32 v6, v5, s12
	v_mul_lo_u32 v7, v4, s13
	v_mad_u64_u32 v[2:3], s[28:29], v4, s12, 0
	v_add3_u32 v3, v3, v7, v6
	v_lshlrev_b64 v[2:3], 1, v[2:3]
	v_mov_b32_e32 v6, s15
	v_add_co_u32_e32 v2, vcc, s14, v2
	v_addc_co_u32_e32 v3, vcc, v6, v3, vcc
	v_mul_lo_u32 v8, v1, s12
	v_mul_lo_u32 v9, v0, s13
	v_mad_u64_u32 v[6:7], s[28:29], v0, s12, 0
	v_add3_u32 v7, v7, v9, v8
	v_lshlrev_b64 v[6:7], 1, v[6:7]
	v_mov_b32_e32 v8, s15
	v_add_co_u32_e32 v6, vcc, s14, v6
	v_addc_co_u32_e32 v7, vcc, v8, v7, vcc
	s_mov_b64 s[28:29], 0
	s_mov_b64 s[36:37], s[12:13]
                                        ; implicit-def: $sgpr30_sgpr31
                                        ; implicit-def: $sgpr34_sgpr35
                                        ; implicit-def: $sgpr38_sgpr39
	s_branch .LBB1117_204
.LBB1117_203:                           ;   in Loop: Header=BB1117_204 Depth=1
	s_or_b64 exec, exec, s[42:43]
	s_and_b64 s[40:41], exec, s[44:45]
	s_or_b64 s[28:29], s[40:41], s[28:29]
	s_andn2_b64 s[30:31], s[30:31], exec
	s_and_b64 s[40:41], s[34:35], exec
	s_or_b64 s[30:31], s[30:31], s[40:41]
	s_andn2_b64 exec, exec, s[28:29]
	s_cbranch_execz .LBB1117_208
.LBB1117_204:                           ; =>This Inner Loop Header: Depth=1
	global_load_ushort v8, v[2:3], off
	global_load_ushort v9, v[6:7], off
	s_mov_b64 s[46:47], 0
	s_mov_b64 s[40:41], -1
	s_waitcnt vmcnt(1)
	v_lshlrev_b32_e32 v8, 16, v8
	s_waitcnt vmcnt(0)
	v_lshlrev_b32_e32 v9, 16, v9
	v_cmp_nlt_f32_e32 vcc, v8, v9
	s_and_saveexec_b64 s[42:43], vcc
; %bb.205:                              ;   in Loop: Header=BB1117_204 Depth=1
	v_cmp_ngt_f32_e32 vcc, v8, v9
	s_and_b64 s[38:39], vcc, s[38:39]
	s_orn2_b64 s[40:41], s[38:39], exec
	s_and_b64 s[46:47], vcc, exec
; %bb.206:                              ;   in Loop: Header=BB1117_204 Depth=1
	s_or_b64 exec, exec, s[42:43]
	s_andn2_b64 s[34:35], s[34:35], exec
	s_and_b64 s[38:39], s[40:41], exec
	s_mov_b64 s[44:45], -1
	s_or_b64 s[34:35], s[34:35], s[38:39]
                                        ; implicit-def: $sgpr38_sgpr39
	s_and_saveexec_b64 s[42:43], s[46:47]
	s_cbranch_execz .LBB1117_203
; %bb.207:                              ;   in Loop: Header=BB1117_204 Depth=1
	s_add_u32 s36, s36, -1
	v_add_co_u32_e32 v2, vcc, 2, v2
	s_addc_u32 s37, s37, -1
	v_addc_co_u32_e32 v3, vcc, 0, v3, vcc
	s_cmp_eq_u64 s[36:37], 0
	v_add_co_u32_e32 v6, vcc, 2, v6
	s_cselect_b64 s[44:45], -1, 0
	v_addc_co_u32_e32 v7, vcc, 0, v7, vcc
	s_and_b64 s[38:39], s[40:41], exec
	s_andn2_b64 s[34:35], s[34:35], exec
	s_orn2_b64 s[44:45], s[44:45], exec
	s_branch .LBB1117_203
.LBB1117_208:
	s_or_b64 exec, exec, s[28:29]
	s_xor_b64 s[28:29], s[30:31], -1
	s_andn2_b64 s[2:3], s[2:3], exec
	s_and_b64 s[28:29], s[28:29], exec
	s_or_b64 s[2:3], s[2:3], s[28:29]
.LBB1117_209:
	s_or_b64 exec, exec, s[4:5]
	v_cndmask_b32_e64 v2, v33, v20, s[2:3]
	v_cndmask_b32_e64 v3, v19, v18, s[2:3]
	v_add_u32_e32 v6, 1, v2
	v_add_u32_e32 v2, -1, v3
	v_min_u32_e32 v2, v6, v2
	v_lshl_add_u32 v2, v2, 3, v14
	ds_read_b64 v[2:3], v2
	v_cndmask_b32_e64 v33, v6, v33, s[2:3]
	v_cndmask_b32_e64 v37, v20, v6, s[2:3]
	v_cmp_lt_u32_e32 vcc, v33, v19
	s_mov_b64 s[4:5], -1
	s_waitcnt lgkmcnt(0)
	v_cndmask_b32_e64 v8, v3, v5, s[2:3]
	v_cndmask_b32_e64 v9, v2, v4, s[2:3]
	;; [unrolled: 1-line block ×4, first 2 shown]
	s_mov_b64 s[28:29], -1
	s_and_saveexec_b64 s[30:31], vcc
	s_cbranch_execz .LBB1117_219
; %bb.210:
	v_cmp_lt_u32_e64 s[28:29], v37, v18
	s_xor_b64 s[34:35], s[24:25], -1
	s_and_b64 s[36:37], s[28:29], s[34:35]
	s_and_saveexec_b64 s[34:35], s[36:37]
	s_cbranch_execz .LBB1117_218
; %bb.211:
	v_mul_lo_u32 v6, v8, s12
	v_mul_lo_u32 v7, v9, s13
	v_mad_u64_u32 v[2:3], s[36:37], v9, s12, 0
	v_add3_u32 v3, v3, v7, v6
	v_lshlrev_b64 v[2:3], 1, v[2:3]
	v_mov_b32_e32 v6, s15
	v_add_co_u32_e32 v2, vcc, s14, v2
	v_addc_co_u32_e32 v3, vcc, v6, v3, vcc
	v_mul_lo_u32 v20, v10, s12
	v_mul_lo_u32 v21, v11, s13
	v_mad_u64_u32 v[6:7], s[36:37], v11, s12, 0
	v_add3_u32 v7, v7, v21, v20
	v_lshlrev_b64 v[6:7], 1, v[6:7]
	v_mov_b32_e32 v20, s15
	v_add_co_u32_e32 v6, vcc, s14, v6
	v_addc_co_u32_e32 v7, vcc, v20, v7, vcc
	s_mov_b64 s[36:37], 0
	s_mov_b64 s[42:43], s[12:13]
                                        ; implicit-def: $sgpr38_sgpr39
                                        ; implicit-def: $sgpr40_sgpr41
                                        ; implicit-def: $sgpr44_sgpr45
	s_branch .LBB1117_213
.LBB1117_212:                           ;   in Loop: Header=BB1117_213 Depth=1
	s_or_b64 exec, exec, s[48:49]
	s_and_b64 s[46:47], exec, s[50:51]
	s_or_b64 s[36:37], s[46:47], s[36:37]
	s_andn2_b64 s[38:39], s[38:39], exec
	s_and_b64 s[46:47], s[40:41], exec
	s_or_b64 s[38:39], s[38:39], s[46:47]
	s_andn2_b64 exec, exec, s[36:37]
	s_cbranch_execz .LBB1117_217
.LBB1117_213:                           ; =>This Inner Loop Header: Depth=1
	global_load_ushort v20, v[2:3], off
	global_load_ushort v21, v[6:7], off
	s_mov_b64 s[52:53], 0
	s_mov_b64 s[46:47], -1
	s_waitcnt vmcnt(1)
	v_lshlrev_b32_e32 v20, 16, v20
	s_waitcnt vmcnt(0)
	v_lshlrev_b32_e32 v21, 16, v21
	v_cmp_nlt_f32_e32 vcc, v20, v21
	s_and_saveexec_b64 s[48:49], vcc
; %bb.214:                              ;   in Loop: Header=BB1117_213 Depth=1
	v_cmp_ngt_f32_e32 vcc, v20, v21
	s_and_b64 s[44:45], vcc, s[44:45]
	s_orn2_b64 s[46:47], s[44:45], exec
	s_and_b64 s[52:53], vcc, exec
; %bb.215:                              ;   in Loop: Header=BB1117_213 Depth=1
	s_or_b64 exec, exec, s[48:49]
	s_andn2_b64 s[40:41], s[40:41], exec
	s_and_b64 s[44:45], s[46:47], exec
	s_mov_b64 s[50:51], -1
	s_or_b64 s[40:41], s[40:41], s[44:45]
                                        ; implicit-def: $sgpr44_sgpr45
	s_and_saveexec_b64 s[48:49], s[52:53]
	s_cbranch_execz .LBB1117_212
; %bb.216:                              ;   in Loop: Header=BB1117_213 Depth=1
	s_add_u32 s42, s42, -1
	v_add_co_u32_e32 v2, vcc, 2, v2
	s_addc_u32 s43, s43, -1
	v_addc_co_u32_e32 v3, vcc, 0, v3, vcc
	s_cmp_eq_u64 s[42:43], 0
	v_add_co_u32_e32 v6, vcc, 2, v6
	s_cselect_b64 s[50:51], -1, 0
	v_addc_co_u32_e32 v7, vcc, 0, v7, vcc
	s_and_b64 s[44:45], s[46:47], exec
	s_andn2_b64 s[40:41], s[40:41], exec
	s_orn2_b64 s[50:51], s[50:51], exec
	s_branch .LBB1117_212
.LBB1117_217:
	s_or_b64 exec, exec, s[36:37]
	s_xor_b64 s[36:37], s[38:39], -1
	s_andn2_b64 s[28:29], s[28:29], exec
	s_and_b64 s[36:37], s[36:37], exec
	s_or_b64 s[28:29], s[28:29], s[36:37]
.LBB1117_218:
	s_or_b64 exec, exec, s[34:35]
	s_orn2_b64 s[28:29], s[28:29], exec
.LBB1117_219:
	s_or_b64 exec, exec, s[30:31]
	v_cndmask_b32_e64 v2, v33, v37, s[28:29]
	v_cndmask_b32_e64 v3, v19, v18, s[28:29]
	v_add_u32_e32 v6, 1, v2
	v_add_u32_e32 v2, -1, v3
	v_min_u32_e32 v2, v6, v2
	v_lshl_add_u32 v2, v2, 3, v14
	ds_read_b64 v[2:3], v2
	v_cndmask_b32_e64 v34, v6, v33, s[28:29]
	v_cndmask_b32_e64 v33, v37, v6, s[28:29]
	v_cmp_lt_u32_e32 vcc, v34, v19
	s_waitcnt lgkmcnt(0)
	v_cndmask_b32_e64 v20, v3, v8, s[28:29]
	v_cndmask_b32_e64 v21, v2, v9, s[28:29]
	v_cndmask_b32_e64 v35, v10, v3, s[28:29]
	v_cndmask_b32_e64 v36, v11, v2, s[28:29]
	s_and_saveexec_b64 s[30:31], vcc
	s_cbranch_execz .LBB1117_229
; %bb.220:
	v_cmp_lt_u32_e64 s[4:5], v33, v18
	s_xor_b64 s[34:35], s[24:25], -1
	s_and_b64 s[36:37], s[4:5], s[34:35]
	s_and_saveexec_b64 s[34:35], s[36:37]
	s_cbranch_execz .LBB1117_228
; %bb.221:
	v_mul_lo_u32 v6, v20, s12
	v_mul_lo_u32 v7, v21, s13
	v_mad_u64_u32 v[2:3], s[36:37], v21, s12, 0
	v_add3_u32 v3, v3, v7, v6
	v_lshlrev_b64 v[2:3], 1, v[2:3]
	v_mov_b32_e32 v6, s15
	v_add_co_u32_e32 v2, vcc, s14, v2
	v_addc_co_u32_e32 v3, vcc, v6, v3, vcc
	v_mul_lo_u32 v37, v35, s12
	v_mul_lo_u32 v38, v36, s13
	v_mad_u64_u32 v[6:7], s[36:37], v36, s12, 0
	v_add3_u32 v7, v7, v38, v37
	v_lshlrev_b64 v[6:7], 1, v[6:7]
	v_mov_b32_e32 v37, s15
	v_add_co_u32_e32 v6, vcc, s14, v6
	v_addc_co_u32_e32 v7, vcc, v37, v7, vcc
	s_mov_b64 s[36:37], 0
	s_mov_b64 s[42:43], s[12:13]
                                        ; implicit-def: $sgpr38_sgpr39
                                        ; implicit-def: $sgpr40_sgpr41
                                        ; implicit-def: $sgpr44_sgpr45
	s_branch .LBB1117_223
.LBB1117_222:                           ;   in Loop: Header=BB1117_223 Depth=1
	s_or_b64 exec, exec, s[48:49]
	s_and_b64 s[46:47], exec, s[50:51]
	s_or_b64 s[36:37], s[46:47], s[36:37]
	s_andn2_b64 s[38:39], s[38:39], exec
	s_and_b64 s[46:47], s[40:41], exec
	s_or_b64 s[38:39], s[38:39], s[46:47]
	s_andn2_b64 exec, exec, s[36:37]
	s_cbranch_execz .LBB1117_227
.LBB1117_223:                           ; =>This Inner Loop Header: Depth=1
	global_load_ushort v37, v[2:3], off
	global_load_ushort v38, v[6:7], off
	s_mov_b64 s[52:53], 0
	s_mov_b64 s[46:47], -1
	s_waitcnt vmcnt(1)
	v_lshlrev_b32_e32 v37, 16, v37
	s_waitcnt vmcnt(0)
	v_lshlrev_b32_e32 v38, 16, v38
	v_cmp_nlt_f32_e32 vcc, v37, v38
	s_and_saveexec_b64 s[48:49], vcc
; %bb.224:                              ;   in Loop: Header=BB1117_223 Depth=1
	v_cmp_ngt_f32_e32 vcc, v37, v38
	s_and_b64 s[44:45], vcc, s[44:45]
	s_orn2_b64 s[46:47], s[44:45], exec
	s_and_b64 s[52:53], vcc, exec
; %bb.225:                              ;   in Loop: Header=BB1117_223 Depth=1
	s_or_b64 exec, exec, s[48:49]
	s_andn2_b64 s[40:41], s[40:41], exec
	s_and_b64 s[44:45], s[46:47], exec
	s_mov_b64 s[50:51], -1
	s_or_b64 s[40:41], s[40:41], s[44:45]
                                        ; implicit-def: $sgpr44_sgpr45
	s_and_saveexec_b64 s[48:49], s[52:53]
	s_cbranch_execz .LBB1117_222
; %bb.226:                              ;   in Loop: Header=BB1117_223 Depth=1
	s_add_u32 s42, s42, -1
	v_add_co_u32_e32 v2, vcc, 2, v2
	s_addc_u32 s43, s43, -1
	v_addc_co_u32_e32 v3, vcc, 0, v3, vcc
	s_cmp_eq_u64 s[42:43], 0
	v_add_co_u32_e32 v6, vcc, 2, v6
	s_cselect_b64 s[50:51], -1, 0
	v_addc_co_u32_e32 v7, vcc, 0, v7, vcc
	s_and_b64 s[44:45], s[46:47], exec
	s_andn2_b64 s[40:41], s[40:41], exec
	s_orn2_b64 s[50:51], s[50:51], exec
	s_branch .LBB1117_222
.LBB1117_227:
	s_or_b64 exec, exec, s[36:37]
	s_xor_b64 s[36:37], s[38:39], -1
	s_andn2_b64 s[4:5], s[4:5], exec
	s_and_b64 s[36:37], s[36:37], exec
	s_or_b64 s[4:5], s[4:5], s[36:37]
.LBB1117_228:
	s_or_b64 exec, exec, s[34:35]
	s_orn2_b64 s[4:5], s[4:5], exec
.LBB1117_229:
	s_or_b64 exec, exec, s[30:31]
	v_cndmask_b32_e64 v6, v34, v33, s[4:5]
	v_cndmask_b32_e64 v7, v19, v18, s[4:5]
	;; [unrolled: 1-line block ×3, first 2 shown]
	v_add_u32_e32 v10, 1, v6
	v_add_u32_e32 v6, -1, v7
	v_min_u32_e32 v6, v10, v6
	v_lshl_add_u32 v6, v6, 3, v14
	v_cndmask_b32_e64 v2, v9, v11, s[28:29]
	ds_read_b64 v[8:9], v6
	v_cndmask_b32_e64 v11, v10, v34, s[4:5]
	v_cndmask_b32_e64 v1, v5, v1, s[2:3]
	;; [unrolled: 1-line block ×5, first 2 shown]
	s_waitcnt lgkmcnt(0)
	v_cndmask_b32_e64 v7, v35, v9, s[4:5]
	v_cndmask_b32_e64 v6, v36, v8, s[4:5]
	v_cmp_lt_u32_e32 vcc, v11, v19
	s_and_saveexec_b64 s[2:3], vcc
	s_cbranch_execz .LBB1117_239
; %bb.230:
	v_cndmask_b32_e64 v19, v9, v20, s[4:5]
	v_cndmask_b32_e64 v20, v8, v21, s[4:5]
	;; [unrolled: 1-line block ×3, first 2 shown]
	v_cmp_ge_u32_e32 vcc, v8, v18
	s_or_b64 s[4:5], vcc, s[24:25]
	v_cndmask_b32_e32 v9, v7, v19, vcc
	s_xor_b64 s[28:29], s[4:5], -1
	v_cndmask_b32_e32 v8, v6, v20, vcc
	s_and_saveexec_b64 s[4:5], s[28:29]
	s_cbranch_execz .LBB1117_238
; %bb.231:
	v_mul_lo_u32 v10, v19, s12
	v_mul_lo_u32 v11, v20, s13
	v_mad_u64_u32 v[8:9], s[28:29], v20, s12, 0
	v_add3_u32 v9, v9, v11, v10
	v_lshlrev_b64 v[8:9], 1, v[8:9]
	v_mov_b32_e32 v10, s15
	v_add_co_u32_e32 v8, vcc, s14, v8
	v_addc_co_u32_e32 v9, vcc, v10, v9, vcc
	v_mul_lo_u32 v18, v7, s12
	v_mul_lo_u32 v21, v6, s13
	v_mad_u64_u32 v[10:11], s[28:29], v6, s12, 0
	v_add3_u32 v11, v11, v21, v18
	v_lshlrev_b64 v[10:11], 1, v[10:11]
	v_mov_b32_e32 v18, s15
	v_add_co_u32_e32 v10, vcc, s14, v10
	v_addc_co_u32_e32 v11, vcc, v18, v11, vcc
	s_mov_b64 s[28:29], 0
	s_mov_b64 s[36:37], s[12:13]
                                        ; implicit-def: $sgpr30_sgpr31
                                        ; implicit-def: $sgpr34_sgpr35
                                        ; implicit-def: $sgpr38_sgpr39
	s_branch .LBB1117_233
.LBB1117_232:                           ;   in Loop: Header=BB1117_233 Depth=1
	s_or_b64 exec, exec, s[42:43]
	s_and_b64 s[40:41], exec, s[44:45]
	s_or_b64 s[28:29], s[40:41], s[28:29]
	s_andn2_b64 s[30:31], s[30:31], exec
	s_and_b64 s[40:41], s[34:35], exec
	s_or_b64 s[30:31], s[30:31], s[40:41]
	s_andn2_b64 exec, exec, s[28:29]
	s_cbranch_execz .LBB1117_237
.LBB1117_233:                           ; =>This Inner Loop Header: Depth=1
	global_load_ushort v18, v[8:9], off
	global_load_ushort v21, v[10:11], off
	s_mov_b64 s[46:47], 0
	s_mov_b64 s[40:41], -1
	s_waitcnt vmcnt(1)
	v_lshlrev_b32_e32 v18, 16, v18
	s_waitcnt vmcnt(0)
	v_lshlrev_b32_e32 v21, 16, v21
	v_cmp_nlt_f32_e32 vcc, v18, v21
	s_and_saveexec_b64 s[42:43], vcc
; %bb.234:                              ;   in Loop: Header=BB1117_233 Depth=1
	v_cmp_ngt_f32_e32 vcc, v18, v21
	s_and_b64 s[38:39], vcc, s[38:39]
	s_orn2_b64 s[40:41], s[38:39], exec
	s_and_b64 s[46:47], vcc, exec
; %bb.235:                              ;   in Loop: Header=BB1117_233 Depth=1
	s_or_b64 exec, exec, s[42:43]
	s_andn2_b64 s[34:35], s[34:35], exec
	s_and_b64 s[38:39], s[40:41], exec
	s_mov_b64 s[44:45], -1
	s_or_b64 s[34:35], s[34:35], s[38:39]
                                        ; implicit-def: $sgpr38_sgpr39
	s_and_saveexec_b64 s[42:43], s[46:47]
	s_cbranch_execz .LBB1117_232
; %bb.236:                              ;   in Loop: Header=BB1117_233 Depth=1
	s_add_u32 s36, s36, -1
	v_add_co_u32_e32 v8, vcc, 2, v8
	s_addc_u32 s37, s37, -1
	v_addc_co_u32_e32 v9, vcc, 0, v9, vcc
	s_cmp_eq_u64 s[36:37], 0
	v_add_co_u32_e32 v10, vcc, 2, v10
	s_cselect_b64 s[44:45], -1, 0
	v_addc_co_u32_e32 v11, vcc, 0, v11, vcc
	s_and_b64 s[38:39], s[40:41], exec
	s_andn2_b64 s[34:35], s[34:35], exec
	s_orn2_b64 s[44:45], s[44:45], exec
	s_branch .LBB1117_232
.LBB1117_237:
	s_or_b64 exec, exec, s[28:29]
	v_cndmask_b32_e64 v9, v7, v19, s[30:31]
	v_cndmask_b32_e64 v8, v6, v20, s[30:31]
.LBB1117_238:
	s_or_b64 exec, exec, s[4:5]
	v_pk_mov_b32 v[6:7], v[8:9], v[8:9] op_sel:[0,1]
.LBB1117_239:
	s_or_b64 exec, exec, s[2:3]
.LBB1117_240:
	s_or_b64 exec, exec, s[26:27]
	v_and_b32_e32 v19, 0x1c0, v16
	v_or_b32_e32 v8, 32, v19
	; wave barrier
	ds_write_b128 v17, v[0:3]
	ds_write_b128 v17, v[4:7] offset:16
	v_min_u32_e32 v17, v15, v8
	v_add_u32_e32 v8, 32, v17
	v_min_u32_e32 v18, v15, v8
	v_and_b32_e32 v8, 60, v16
	v_min_u32_e32 v21, v15, v8
	v_sub_u32_e32 v8, v17, v19
	v_sub_u32_e32 v9, v18, v17
	v_sub_u32_e64 v20, v21, v9 clamp
	v_min_u32_e32 v15, v21, v8
	v_lshl_add_u32 v16, v19, 3, v14
	v_cmp_lt_u32_e32 vcc, v20, v15
	; wave barrier
	s_and_saveexec_b64 s[2:3], vcc
	s_cbranch_execz .LBB1117_252
; %bb.241:
	v_lshlrev_b32_e32 v8, 3, v17
	v_lshlrev_b32_e32 v9, 3, v21
	v_add3_u32 v33, v14, v8, v9
	s_lshl_b64 s[26:27], s[12:13], 1
	s_mov_b64 s[4:5], 0
	s_branch .LBB1117_244
.LBB1117_242:                           ;   in Loop: Header=BB1117_244 Depth=1
	s_or_b64 exec, exec, s[30:31]
.LBB1117_243:                           ;   in Loop: Header=BB1117_244 Depth=1
	v_add_u32_e32 v8, 1, v34
	v_cndmask_b32_e64 v15, v15, v34, s[28:29]
	v_cndmask_b32_e64 v20, v8, v20, s[28:29]
	v_cmp_ge_u32_e32 vcc, v20, v15
	s_or_b64 s[4:5], vcc, s[4:5]
	s_andn2_b64 exec, exec, s[4:5]
	s_cbranch_execz .LBB1117_251
.LBB1117_244:                           ; =>This Loop Header: Depth=1
                                        ;     Child Loop BB1117_247 Depth 2
	v_add_u32_e32 v8, v15, v20
	v_lshrrev_b32_e32 v34, 1, v8
	s_and_b64 vcc, exec, s[0:1]
	s_mov_b64 s[28:29], 0
	s_cbranch_vccnz .LBB1117_243
; %bb.245:                              ;   in Loop: Header=BB1117_244 Depth=1
	v_not_b32_e32 v8, v34
	v_lshl_add_u32 v8, v8, 3, v33
	ds_read_b64 v[8:9], v8
	v_lshl_add_u32 v35, v34, 3, v16
	ds_read_b64 v[36:37], v35
	v_pk_mov_b32 v[10:11], s[14:15], s[14:15] op_sel:[0,1]
	s_mov_b64 s[30:31], 0
	s_waitcnt lgkmcnt(1)
	v_mul_lo_u32 v35, s26, v9
	v_mul_lo_u32 v38, s27, v8
	v_mad_u64_u32 v[8:9], s[28:29], s26, v8, v[10:11]
	v_add3_u32 v9, v38, v9, v35
	s_waitcnt lgkmcnt(0)
	v_mul_lo_u32 v35, s26, v37
	v_mul_lo_u32 v37, s27, v36
	v_mad_u64_u32 v[10:11], s[28:29], s26, v36, v[10:11]
	v_add3_u32 v11, v37, v11, v35
	s_mov_b64 s[36:37], s[12:13]
                                        ; implicit-def: $sgpr28_sgpr29
                                        ; implicit-def: $sgpr34_sgpr35
                                        ; implicit-def: $sgpr38_sgpr39
	s_branch .LBB1117_247
.LBB1117_246:                           ;   in Loop: Header=BB1117_247 Depth=2
	s_or_b64 exec, exec, s[44:45]
	s_and_b64 s[40:41], exec, s[40:41]
	s_or_b64 s[30:31], s[40:41], s[30:31]
	s_andn2_b64 s[28:29], s[28:29], exec
	s_and_b64 s[40:41], s[34:35], exec
	s_or_b64 s[28:29], s[28:29], s[40:41]
	s_andn2_b64 exec, exec, s[30:31]
	s_cbranch_execz .LBB1117_242
.LBB1117_247:                           ;   Parent Loop BB1117_244 Depth=1
                                        ; =>  This Inner Loop Header: Depth=2
	global_load_ushort v35, v[8:9], off
	global_load_ushort v36, v[10:11], off
	s_mov_b64 s[40:41], -1
	s_mov_b64 s[46:47], 0
	s_mov_b64 s[42:43], -1
	s_waitcnt vmcnt(1)
	v_lshlrev_b32_e32 v35, 16, v35
	s_waitcnt vmcnt(0)
	v_lshlrev_b32_e32 v36, 16, v36
	v_cmp_nlt_f32_e32 vcc, v35, v36
	s_and_saveexec_b64 s[44:45], vcc
; %bb.248:                              ;   in Loop: Header=BB1117_247 Depth=2
	v_cmp_ngt_f32_e32 vcc, v35, v36
	s_and_b64 s[38:39], vcc, s[38:39]
	s_orn2_b64 s[42:43], s[38:39], exec
	s_and_b64 s[46:47], vcc, exec
; %bb.249:                              ;   in Loop: Header=BB1117_247 Depth=2
	s_or_b64 exec, exec, s[44:45]
	s_andn2_b64 s[34:35], s[34:35], exec
	s_and_b64 s[38:39], s[42:43], exec
	s_or_b64 s[34:35], s[34:35], s[38:39]
                                        ; implicit-def: $sgpr38_sgpr39
	s_and_saveexec_b64 s[44:45], s[46:47]
	s_cbranch_execz .LBB1117_246
; %bb.250:                              ;   in Loop: Header=BB1117_247 Depth=2
	s_add_u32 s36, s36, -1
	v_add_co_u32_e32 v8, vcc, 2, v8
	s_addc_u32 s37, s37, -1
	v_addc_co_u32_e32 v9, vcc, 0, v9, vcc
	s_cmp_eq_u64 s[36:37], 0
	v_add_co_u32_e32 v10, vcc, 2, v10
	s_cselect_b64 s[40:41], -1, 0
	v_addc_co_u32_e32 v11, vcc, 0, v11, vcc
	s_andn2_b64 s[34:35], s[34:35], exec
	s_and_b64 s[38:39], s[42:43], exec
	s_orn2_b64 s[40:41], s[40:41], exec
	s_branch .LBB1117_246
.LBB1117_251:
	s_or_b64 exec, exec, s[4:5]
.LBB1117_252:
	s_or_b64 exec, exec, s[2:3]
	v_add_u32_e32 v8, v17, v21
	v_add_u32_e32 v15, v20, v19
	v_sub_u32_e32 v19, v8, v20
	v_cmp_le_u32_e32 vcc, v15, v17
	v_cmp_le_u32_e64 s[2:3], v19, v18
	s_or_b64 s[2:3], vcc, s[2:3]
	s_and_saveexec_b64 s[26:27], s[2:3]
	s_cbranch_execz .LBB1117_296
; %bb.253:
	v_cmp_ge_u32_e32 vcc, v15, v17
	v_cmp_lt_u32_e64 s[2:3], v15, v17
                                        ; implicit-def: $vgpr0_vgpr1
	s_and_saveexec_b64 s[4:5], s[2:3]
	s_cbranch_execz .LBB1117_255
; %bb.254:
	v_lshl_add_u32 v0, v20, 3, v16
	ds_read_b64 v[0:1], v0
.LBB1117_255:
	s_or_b64 exec, exec, s[4:5]
	v_cmp_ge_u32_e64 s[2:3], v19, v18
	v_cmp_lt_u32_e64 s[4:5], v19, v18
                                        ; implicit-def: $vgpr4_vgpr5
	s_and_saveexec_b64 s[28:29], s[4:5]
	s_cbranch_execz .LBB1117_257
; %bb.256:
	v_lshl_add_u32 v2, v19, 3, v14
	ds_read_b64 v[4:5], v2
.LBB1117_257:
	s_or_b64 exec, exec, s[28:29]
	s_or_b64 s[4:5], vcc, s[2:3]
	s_or_b64 s[4:5], s[4:5], s[24:25]
	s_xor_b64 s[28:29], s[4:5], -1
	s_xor_b64 s[4:5], vcc, -1
	s_or_b64 s[2:3], s[2:3], s[4:5]
	s_and_saveexec_b64 s[4:5], s[28:29]
	s_cbranch_execz .LBB1117_265
; %bb.258:
	s_waitcnt lgkmcnt(0)
	v_mul_lo_u32 v6, v5, s12
	v_mul_lo_u32 v7, v4, s13
	v_mad_u64_u32 v[2:3], s[28:29], v4, s12, 0
	v_add3_u32 v3, v3, v7, v6
	v_lshlrev_b64 v[2:3], 1, v[2:3]
	v_mov_b32_e32 v6, s15
	v_add_co_u32_e32 v2, vcc, s14, v2
	v_addc_co_u32_e32 v3, vcc, v6, v3, vcc
	v_mul_lo_u32 v8, v1, s12
	v_mul_lo_u32 v9, v0, s13
	v_mad_u64_u32 v[6:7], s[28:29], v0, s12, 0
	v_add3_u32 v7, v7, v9, v8
	v_lshlrev_b64 v[6:7], 1, v[6:7]
	v_mov_b32_e32 v8, s15
	v_add_co_u32_e32 v6, vcc, s14, v6
	v_addc_co_u32_e32 v7, vcc, v8, v7, vcc
	s_mov_b64 s[28:29], 0
	s_mov_b64 s[36:37], s[12:13]
                                        ; implicit-def: $sgpr30_sgpr31
                                        ; implicit-def: $sgpr34_sgpr35
                                        ; implicit-def: $sgpr38_sgpr39
	s_branch .LBB1117_260
.LBB1117_259:                           ;   in Loop: Header=BB1117_260 Depth=1
	s_or_b64 exec, exec, s[42:43]
	s_and_b64 s[40:41], exec, s[44:45]
	s_or_b64 s[28:29], s[40:41], s[28:29]
	s_andn2_b64 s[30:31], s[30:31], exec
	s_and_b64 s[40:41], s[34:35], exec
	s_or_b64 s[30:31], s[30:31], s[40:41]
	s_andn2_b64 exec, exec, s[28:29]
	s_cbranch_execz .LBB1117_264
.LBB1117_260:                           ; =>This Inner Loop Header: Depth=1
	global_load_ushort v8, v[2:3], off
	global_load_ushort v9, v[6:7], off
	s_mov_b64 s[46:47], 0
	s_mov_b64 s[40:41], -1
	s_waitcnt vmcnt(1)
	v_lshlrev_b32_e32 v8, 16, v8
	s_waitcnt vmcnt(0)
	v_lshlrev_b32_e32 v9, 16, v9
	v_cmp_nlt_f32_e32 vcc, v8, v9
	s_and_saveexec_b64 s[42:43], vcc
; %bb.261:                              ;   in Loop: Header=BB1117_260 Depth=1
	v_cmp_ngt_f32_e32 vcc, v8, v9
	s_and_b64 s[38:39], vcc, s[38:39]
	s_orn2_b64 s[40:41], s[38:39], exec
	s_and_b64 s[46:47], vcc, exec
; %bb.262:                              ;   in Loop: Header=BB1117_260 Depth=1
	s_or_b64 exec, exec, s[42:43]
	s_andn2_b64 s[34:35], s[34:35], exec
	s_and_b64 s[38:39], s[40:41], exec
	s_mov_b64 s[44:45], -1
	s_or_b64 s[34:35], s[34:35], s[38:39]
                                        ; implicit-def: $sgpr38_sgpr39
	s_and_saveexec_b64 s[42:43], s[46:47]
	s_cbranch_execz .LBB1117_259
; %bb.263:                              ;   in Loop: Header=BB1117_260 Depth=1
	s_add_u32 s36, s36, -1
	v_add_co_u32_e32 v2, vcc, 2, v2
	s_addc_u32 s37, s37, -1
	v_addc_co_u32_e32 v3, vcc, 0, v3, vcc
	s_cmp_eq_u64 s[36:37], 0
	v_add_co_u32_e32 v6, vcc, 2, v6
	s_cselect_b64 s[44:45], -1, 0
	v_addc_co_u32_e32 v7, vcc, 0, v7, vcc
	s_and_b64 s[38:39], s[40:41], exec
	s_andn2_b64 s[34:35], s[34:35], exec
	s_orn2_b64 s[44:45], s[44:45], exec
	s_branch .LBB1117_259
.LBB1117_264:
	s_or_b64 exec, exec, s[28:29]
	s_xor_b64 s[28:29], s[30:31], -1
	s_andn2_b64 s[2:3], s[2:3], exec
	s_and_b64 s[28:29], s[28:29], exec
	s_or_b64 s[2:3], s[2:3], s[28:29]
.LBB1117_265:
	s_or_b64 exec, exec, s[4:5]
	v_cndmask_b32_e64 v2, v19, v15, s[2:3]
	v_cndmask_b32_e64 v3, v18, v17, s[2:3]
	v_add_u32_e32 v6, 1, v2
	v_add_u32_e32 v2, -1, v3
	v_min_u32_e32 v2, v6, v2
	v_lshl_add_u32 v2, v2, 3, v14
	ds_read_b64 v[2:3], v2
	v_cndmask_b32_e64 v19, v6, v19, s[2:3]
	v_cndmask_b32_e64 v34, v15, v6, s[2:3]
	v_cmp_lt_u32_e32 vcc, v19, v18
	s_mov_b64 s[4:5], -1
	s_waitcnt lgkmcnt(0)
	v_cndmask_b32_e64 v8, v3, v5, s[2:3]
	v_cndmask_b32_e64 v9, v2, v4, s[2:3]
	;; [unrolled: 1-line block ×4, first 2 shown]
	s_mov_b64 s[28:29], -1
	s_and_saveexec_b64 s[30:31], vcc
	s_cbranch_execz .LBB1117_275
; %bb.266:
	v_cmp_lt_u32_e64 s[28:29], v34, v17
	s_xor_b64 s[34:35], s[24:25], -1
	s_and_b64 s[36:37], s[28:29], s[34:35]
	s_and_saveexec_b64 s[34:35], s[36:37]
	s_cbranch_execz .LBB1117_274
; %bb.267:
	v_mul_lo_u32 v6, v8, s12
	v_mul_lo_u32 v7, v9, s13
	v_mad_u64_u32 v[2:3], s[36:37], v9, s12, 0
	v_add3_u32 v3, v3, v7, v6
	v_lshlrev_b64 v[2:3], 1, v[2:3]
	v_mov_b32_e32 v6, s15
	v_add_co_u32_e32 v2, vcc, s14, v2
	v_addc_co_u32_e32 v3, vcc, v6, v3, vcc
	v_mul_lo_u32 v15, v10, s12
	v_mul_lo_u32 v16, v11, s13
	v_mad_u64_u32 v[6:7], s[36:37], v11, s12, 0
	v_add3_u32 v7, v7, v16, v15
	v_lshlrev_b64 v[6:7], 1, v[6:7]
	v_mov_b32_e32 v15, s15
	v_add_co_u32_e32 v6, vcc, s14, v6
	v_addc_co_u32_e32 v7, vcc, v15, v7, vcc
	s_mov_b64 s[36:37], 0
	s_mov_b64 s[42:43], s[12:13]
                                        ; implicit-def: $sgpr38_sgpr39
                                        ; implicit-def: $sgpr40_sgpr41
                                        ; implicit-def: $sgpr44_sgpr45
	s_branch .LBB1117_269
.LBB1117_268:                           ;   in Loop: Header=BB1117_269 Depth=1
	s_or_b64 exec, exec, s[48:49]
	s_and_b64 s[46:47], exec, s[50:51]
	s_or_b64 s[36:37], s[46:47], s[36:37]
	s_andn2_b64 s[38:39], s[38:39], exec
	s_and_b64 s[46:47], s[40:41], exec
	s_or_b64 s[38:39], s[38:39], s[46:47]
	s_andn2_b64 exec, exec, s[36:37]
	s_cbranch_execz .LBB1117_273
.LBB1117_269:                           ; =>This Inner Loop Header: Depth=1
	global_load_ushort v15, v[2:3], off
	global_load_ushort v16, v[6:7], off
	s_mov_b64 s[52:53], 0
	s_mov_b64 s[46:47], -1
	s_waitcnt vmcnt(1)
	v_lshlrev_b32_e32 v15, 16, v15
	s_waitcnt vmcnt(0)
	v_lshlrev_b32_e32 v16, 16, v16
	v_cmp_nlt_f32_e32 vcc, v15, v16
	s_and_saveexec_b64 s[48:49], vcc
; %bb.270:                              ;   in Loop: Header=BB1117_269 Depth=1
	v_cmp_ngt_f32_e32 vcc, v15, v16
	s_and_b64 s[44:45], vcc, s[44:45]
	s_orn2_b64 s[46:47], s[44:45], exec
	s_and_b64 s[52:53], vcc, exec
; %bb.271:                              ;   in Loop: Header=BB1117_269 Depth=1
	s_or_b64 exec, exec, s[48:49]
	s_andn2_b64 s[40:41], s[40:41], exec
	s_and_b64 s[44:45], s[46:47], exec
	s_mov_b64 s[50:51], -1
	s_or_b64 s[40:41], s[40:41], s[44:45]
                                        ; implicit-def: $sgpr44_sgpr45
	s_and_saveexec_b64 s[48:49], s[52:53]
	s_cbranch_execz .LBB1117_268
; %bb.272:                              ;   in Loop: Header=BB1117_269 Depth=1
	s_add_u32 s42, s42, -1
	v_add_co_u32_e32 v2, vcc, 2, v2
	s_addc_u32 s43, s43, -1
	v_addc_co_u32_e32 v3, vcc, 0, v3, vcc
	s_cmp_eq_u64 s[42:43], 0
	v_add_co_u32_e32 v6, vcc, 2, v6
	s_cselect_b64 s[50:51], -1, 0
	v_addc_co_u32_e32 v7, vcc, 0, v7, vcc
	s_and_b64 s[44:45], s[46:47], exec
	s_andn2_b64 s[40:41], s[40:41], exec
	s_orn2_b64 s[50:51], s[50:51], exec
	s_branch .LBB1117_268
.LBB1117_273:
	s_or_b64 exec, exec, s[36:37]
	s_xor_b64 s[36:37], s[38:39], -1
	s_andn2_b64 s[28:29], s[28:29], exec
	s_and_b64 s[36:37], s[36:37], exec
	s_or_b64 s[28:29], s[28:29], s[36:37]
.LBB1117_274:
	s_or_b64 exec, exec, s[34:35]
	s_orn2_b64 s[28:29], s[28:29], exec
.LBB1117_275:
	s_or_b64 exec, exec, s[30:31]
	v_cndmask_b32_e64 v2, v19, v34, s[28:29]
	v_cndmask_b32_e64 v3, v18, v17, s[28:29]
	v_add_u32_e32 v6, 1, v2
	v_add_u32_e32 v2, -1, v3
	v_min_u32_e32 v2, v6, v2
	v_lshl_add_u32 v2, v2, 3, v14
	ds_read_b64 v[2:3], v2
	v_cndmask_b32_e64 v20, v6, v19, s[28:29]
	v_cndmask_b32_e64 v19, v34, v6, s[28:29]
	v_cmp_lt_u32_e32 vcc, v20, v18
	s_waitcnt lgkmcnt(0)
	v_cndmask_b32_e64 v15, v3, v8, s[28:29]
	v_cndmask_b32_e64 v16, v2, v9, s[28:29]
	v_cndmask_b32_e64 v21, v10, v3, s[28:29]
	v_cndmask_b32_e64 v33, v11, v2, s[28:29]
	s_and_saveexec_b64 s[30:31], vcc
	s_cbranch_execz .LBB1117_285
; %bb.276:
	v_cmp_lt_u32_e64 s[4:5], v19, v17
	s_xor_b64 s[34:35], s[24:25], -1
	s_and_b64 s[36:37], s[4:5], s[34:35]
	s_and_saveexec_b64 s[34:35], s[36:37]
	s_cbranch_execz .LBB1117_284
; %bb.277:
	v_mul_lo_u32 v6, v15, s12
	v_mul_lo_u32 v7, v16, s13
	v_mad_u64_u32 v[2:3], s[36:37], v16, s12, 0
	v_add3_u32 v3, v3, v7, v6
	v_lshlrev_b64 v[2:3], 1, v[2:3]
	v_mov_b32_e32 v6, s15
	v_add_co_u32_e32 v2, vcc, s14, v2
	v_addc_co_u32_e32 v3, vcc, v6, v3, vcc
	v_mul_lo_u32 v34, v21, s12
	v_mul_lo_u32 v35, v33, s13
	v_mad_u64_u32 v[6:7], s[36:37], v33, s12, 0
	v_add3_u32 v7, v7, v35, v34
	v_lshlrev_b64 v[6:7], 1, v[6:7]
	v_mov_b32_e32 v34, s15
	v_add_co_u32_e32 v6, vcc, s14, v6
	v_addc_co_u32_e32 v7, vcc, v34, v7, vcc
	s_mov_b64 s[36:37], 0
	s_mov_b64 s[42:43], s[12:13]
                                        ; implicit-def: $sgpr38_sgpr39
                                        ; implicit-def: $sgpr40_sgpr41
                                        ; implicit-def: $sgpr44_sgpr45
	s_branch .LBB1117_279
.LBB1117_278:                           ;   in Loop: Header=BB1117_279 Depth=1
	s_or_b64 exec, exec, s[48:49]
	s_and_b64 s[46:47], exec, s[50:51]
	s_or_b64 s[36:37], s[46:47], s[36:37]
	s_andn2_b64 s[38:39], s[38:39], exec
	s_and_b64 s[46:47], s[40:41], exec
	s_or_b64 s[38:39], s[38:39], s[46:47]
	s_andn2_b64 exec, exec, s[36:37]
	s_cbranch_execz .LBB1117_283
.LBB1117_279:                           ; =>This Inner Loop Header: Depth=1
	global_load_ushort v34, v[2:3], off
	global_load_ushort v35, v[6:7], off
	s_mov_b64 s[52:53], 0
	s_mov_b64 s[46:47], -1
	s_waitcnt vmcnt(1)
	v_lshlrev_b32_e32 v34, 16, v34
	s_waitcnt vmcnt(0)
	v_lshlrev_b32_e32 v35, 16, v35
	v_cmp_nlt_f32_e32 vcc, v34, v35
	s_and_saveexec_b64 s[48:49], vcc
; %bb.280:                              ;   in Loop: Header=BB1117_279 Depth=1
	v_cmp_ngt_f32_e32 vcc, v34, v35
	s_and_b64 s[44:45], vcc, s[44:45]
	s_orn2_b64 s[46:47], s[44:45], exec
	s_and_b64 s[52:53], vcc, exec
; %bb.281:                              ;   in Loop: Header=BB1117_279 Depth=1
	s_or_b64 exec, exec, s[48:49]
	s_andn2_b64 s[40:41], s[40:41], exec
	s_and_b64 s[44:45], s[46:47], exec
	s_mov_b64 s[50:51], -1
	s_or_b64 s[40:41], s[40:41], s[44:45]
                                        ; implicit-def: $sgpr44_sgpr45
	s_and_saveexec_b64 s[48:49], s[52:53]
	s_cbranch_execz .LBB1117_278
; %bb.282:                              ;   in Loop: Header=BB1117_279 Depth=1
	s_add_u32 s42, s42, -1
	v_add_co_u32_e32 v2, vcc, 2, v2
	s_addc_u32 s43, s43, -1
	v_addc_co_u32_e32 v3, vcc, 0, v3, vcc
	s_cmp_eq_u64 s[42:43], 0
	v_add_co_u32_e32 v6, vcc, 2, v6
	s_cselect_b64 s[50:51], -1, 0
	v_addc_co_u32_e32 v7, vcc, 0, v7, vcc
	s_and_b64 s[44:45], s[46:47], exec
	s_andn2_b64 s[40:41], s[40:41], exec
	s_orn2_b64 s[50:51], s[50:51], exec
	s_branch .LBB1117_278
.LBB1117_283:
	s_or_b64 exec, exec, s[36:37]
	s_xor_b64 s[36:37], s[38:39], -1
	s_andn2_b64 s[4:5], s[4:5], exec
	s_and_b64 s[36:37], s[36:37], exec
	s_or_b64 s[4:5], s[4:5], s[36:37]
.LBB1117_284:
	s_or_b64 exec, exec, s[34:35]
	s_orn2_b64 s[4:5], s[4:5], exec
.LBB1117_285:
	s_or_b64 exec, exec, s[30:31]
	v_cndmask_b32_e64 v6, v20, v19, s[4:5]
	v_cndmask_b32_e64 v7, v18, v17, s[4:5]
	;; [unrolled: 1-line block ×3, first 2 shown]
	v_add_u32_e32 v10, 1, v6
	v_add_u32_e32 v6, -1, v7
	v_min_u32_e32 v6, v10, v6
	v_lshl_add_u32 v6, v6, 3, v14
	v_cndmask_b32_e64 v2, v9, v11, s[28:29]
	ds_read_b64 v[8:9], v6
	v_cndmask_b32_e64 v11, v10, v20, s[4:5]
	v_cndmask_b32_e64 v1, v5, v1, s[2:3]
	;; [unrolled: 1-line block ×5, first 2 shown]
	s_waitcnt lgkmcnt(0)
	v_cndmask_b32_e64 v7, v21, v9, s[4:5]
	v_cndmask_b32_e64 v6, v33, v8, s[4:5]
	v_cmp_lt_u32_e32 vcc, v11, v18
	s_and_saveexec_b64 s[2:3], vcc
	s_cbranch_execz .LBB1117_295
; %bb.286:
	v_cndmask_b32_e64 v14, v9, v15, s[4:5]
	v_cndmask_b32_e64 v15, v8, v16, s[4:5]
	;; [unrolled: 1-line block ×3, first 2 shown]
	v_cmp_ge_u32_e32 vcc, v8, v17
	s_or_b64 s[4:5], vcc, s[24:25]
	v_cndmask_b32_e32 v9, v7, v14, vcc
	s_xor_b64 s[28:29], s[4:5], -1
	v_cndmask_b32_e32 v8, v6, v15, vcc
	s_and_saveexec_b64 s[4:5], s[28:29]
	s_cbranch_execz .LBB1117_294
; %bb.287:
	v_mul_lo_u32 v10, v14, s12
	v_mul_lo_u32 v11, v15, s13
	v_mad_u64_u32 v[8:9], s[28:29], v15, s12, 0
	v_add3_u32 v9, v9, v11, v10
	v_lshlrev_b64 v[8:9], 1, v[8:9]
	v_mov_b32_e32 v10, s15
	v_add_co_u32_e32 v8, vcc, s14, v8
	v_addc_co_u32_e32 v9, vcc, v10, v9, vcc
	v_mul_lo_u32 v16, v7, s12
	v_mul_lo_u32 v17, v6, s13
	v_mad_u64_u32 v[10:11], s[28:29], v6, s12, 0
	v_add3_u32 v11, v11, v17, v16
	v_lshlrev_b64 v[10:11], 1, v[10:11]
	v_mov_b32_e32 v16, s15
	v_add_co_u32_e32 v10, vcc, s14, v10
	v_addc_co_u32_e32 v11, vcc, v16, v11, vcc
	s_mov_b64 s[28:29], 0
	s_mov_b64 s[36:37], s[12:13]
                                        ; implicit-def: $sgpr30_sgpr31
                                        ; implicit-def: $sgpr34_sgpr35
                                        ; implicit-def: $sgpr38_sgpr39
	s_branch .LBB1117_289
.LBB1117_288:                           ;   in Loop: Header=BB1117_289 Depth=1
	s_or_b64 exec, exec, s[42:43]
	s_and_b64 s[40:41], exec, s[44:45]
	s_or_b64 s[28:29], s[40:41], s[28:29]
	s_andn2_b64 s[30:31], s[30:31], exec
	s_and_b64 s[40:41], s[34:35], exec
	s_or_b64 s[30:31], s[30:31], s[40:41]
	s_andn2_b64 exec, exec, s[28:29]
	s_cbranch_execz .LBB1117_293
.LBB1117_289:                           ; =>This Inner Loop Header: Depth=1
	global_load_ushort v16, v[8:9], off
	global_load_ushort v17, v[10:11], off
	s_mov_b64 s[46:47], 0
	s_mov_b64 s[40:41], -1
	s_waitcnt vmcnt(1)
	v_lshlrev_b32_e32 v16, 16, v16
	s_waitcnt vmcnt(0)
	v_lshlrev_b32_e32 v17, 16, v17
	v_cmp_nlt_f32_e32 vcc, v16, v17
	s_and_saveexec_b64 s[42:43], vcc
; %bb.290:                              ;   in Loop: Header=BB1117_289 Depth=1
	v_cmp_ngt_f32_e32 vcc, v16, v17
	s_and_b64 s[38:39], vcc, s[38:39]
	s_orn2_b64 s[40:41], s[38:39], exec
	s_and_b64 s[46:47], vcc, exec
; %bb.291:                              ;   in Loop: Header=BB1117_289 Depth=1
	s_or_b64 exec, exec, s[42:43]
	s_andn2_b64 s[34:35], s[34:35], exec
	s_and_b64 s[38:39], s[40:41], exec
	s_mov_b64 s[44:45], -1
	s_or_b64 s[34:35], s[34:35], s[38:39]
                                        ; implicit-def: $sgpr38_sgpr39
	s_and_saveexec_b64 s[42:43], s[46:47]
	s_cbranch_execz .LBB1117_288
; %bb.292:                              ;   in Loop: Header=BB1117_289 Depth=1
	s_add_u32 s36, s36, -1
	v_add_co_u32_e32 v8, vcc, 2, v8
	s_addc_u32 s37, s37, -1
	v_addc_co_u32_e32 v9, vcc, 0, v9, vcc
	s_cmp_eq_u64 s[36:37], 0
	v_add_co_u32_e32 v10, vcc, 2, v10
	s_cselect_b64 s[44:45], -1, 0
	v_addc_co_u32_e32 v11, vcc, 0, v11, vcc
	s_and_b64 s[38:39], s[40:41], exec
	s_andn2_b64 s[34:35], s[34:35], exec
	s_orn2_b64 s[44:45], s[44:45], exec
	s_branch .LBB1117_288
.LBB1117_293:
	s_or_b64 exec, exec, s[28:29]
	v_cndmask_b32_e64 v9, v7, v14, s[30:31]
	v_cndmask_b32_e64 v8, v6, v15, s[30:31]
.LBB1117_294:
	s_or_b64 exec, exec, s[4:5]
	v_pk_mov_b32 v[6:7], v[8:9], v[8:9] op_sel:[0,1]
.LBB1117_295:
	s_or_b64 exec, exec, s[2:3]
.LBB1117_296:
	s_or_b64 exec, exec, s[26:27]
	v_and_b32_e32 v17, 0xf80, v23
	v_or_b32_e32 v8, 64, v17
	v_min_u32_e32 v15, 0x400, v8
	v_min_u32_e32 v8, 0x3c0, v8
	v_add_u32_e32 v16, 64, v8
	v_and_b32_e32 v18, 0x7c, v23
	v_sub_u32_e32 v8, v15, v17
	v_sub_u32_e32 v9, v16, v15
	v_sub_u32_e64 v20, v18, v9 clamp
	v_min_u32_e32 v21, v18, v8
	v_lshlrev_b32_e32 v14, 3, v23
	v_lshlrev_b32_e32 v19, 3, v17
	v_cmp_lt_u32_e32 vcc, v20, v21
	; wave barrier
	s_waitcnt lgkmcnt(0)
	s_barrier
	ds_write_b128 v14, v[0:3]
	ds_write_b128 v14, v[4:7] offset:16
	s_waitcnt lgkmcnt(0)
	s_barrier
	s_and_saveexec_b64 s[2:3], vcc
	s_cbranch_execz .LBB1117_308
; %bb.297:
	v_lshlrev_b32_e32 v8, 3, v18
	v_lshl_add_u32 v33, v15, 3, v8
	s_lshl_b64 s[26:27], s[12:13], 1
	s_mov_b64 s[4:5], 0
	s_branch .LBB1117_300
.LBB1117_298:                           ;   in Loop: Header=BB1117_300 Depth=1
	s_or_b64 exec, exec, s[30:31]
.LBB1117_299:                           ;   in Loop: Header=BB1117_300 Depth=1
	v_add_u32_e32 v8, 1, v34
	v_cndmask_b32_e64 v21, v21, v34, s[28:29]
	v_cndmask_b32_e64 v20, v8, v20, s[28:29]
	v_cmp_ge_u32_e32 vcc, v20, v21
	s_or_b64 s[4:5], vcc, s[4:5]
	s_andn2_b64 exec, exec, s[4:5]
	s_cbranch_execz .LBB1117_307
.LBB1117_300:                           ; =>This Loop Header: Depth=1
                                        ;     Child Loop BB1117_303 Depth 2
	v_add_u32_e32 v8, v21, v20
	v_lshrrev_b32_e32 v34, 1, v8
	s_and_b64 vcc, exec, s[0:1]
	s_mov_b64 s[28:29], 0
	s_cbranch_vccnz .LBB1117_299
; %bb.301:                              ;   in Loop: Header=BB1117_300 Depth=1
	v_not_b32_e32 v8, v34
	v_lshl_add_u32 v8, v8, 3, v33
	ds_read_b64 v[8:9], v8
	v_lshl_add_u32 v35, v34, 3, v19
	ds_read_b64 v[36:37], v35
	v_pk_mov_b32 v[10:11], s[14:15], s[14:15] op_sel:[0,1]
	s_mov_b64 s[30:31], 0
	s_waitcnt lgkmcnt(1)
	v_mul_lo_u32 v35, s26, v9
	v_mul_lo_u32 v38, s27, v8
	v_mad_u64_u32 v[8:9], s[28:29], s26, v8, v[10:11]
	v_add3_u32 v9, v38, v9, v35
	s_waitcnt lgkmcnt(0)
	v_mul_lo_u32 v35, s26, v37
	v_mul_lo_u32 v37, s27, v36
	v_mad_u64_u32 v[10:11], s[28:29], s26, v36, v[10:11]
	v_add3_u32 v11, v37, v11, v35
	s_mov_b64 s[36:37], s[12:13]
                                        ; implicit-def: $sgpr28_sgpr29
                                        ; implicit-def: $sgpr34_sgpr35
                                        ; implicit-def: $sgpr38_sgpr39
	s_branch .LBB1117_303
.LBB1117_302:                           ;   in Loop: Header=BB1117_303 Depth=2
	s_or_b64 exec, exec, s[44:45]
	s_and_b64 s[40:41], exec, s[40:41]
	s_or_b64 s[30:31], s[40:41], s[30:31]
	s_andn2_b64 s[28:29], s[28:29], exec
	s_and_b64 s[40:41], s[34:35], exec
	s_or_b64 s[28:29], s[28:29], s[40:41]
	s_andn2_b64 exec, exec, s[30:31]
	s_cbranch_execz .LBB1117_298
.LBB1117_303:                           ;   Parent Loop BB1117_300 Depth=1
                                        ; =>  This Inner Loop Header: Depth=2
	global_load_ushort v35, v[8:9], off
	global_load_ushort v36, v[10:11], off
	s_mov_b64 s[40:41], -1
	s_mov_b64 s[46:47], 0
	s_mov_b64 s[42:43], -1
	s_waitcnt vmcnt(1)
	v_lshlrev_b32_e32 v35, 16, v35
	s_waitcnt vmcnt(0)
	v_lshlrev_b32_e32 v36, 16, v36
	v_cmp_nlt_f32_e32 vcc, v35, v36
	s_and_saveexec_b64 s[44:45], vcc
; %bb.304:                              ;   in Loop: Header=BB1117_303 Depth=2
	v_cmp_ngt_f32_e32 vcc, v35, v36
	s_and_b64 s[38:39], vcc, s[38:39]
	s_orn2_b64 s[42:43], s[38:39], exec
	s_and_b64 s[46:47], vcc, exec
; %bb.305:                              ;   in Loop: Header=BB1117_303 Depth=2
	s_or_b64 exec, exec, s[44:45]
	s_andn2_b64 s[34:35], s[34:35], exec
	s_and_b64 s[38:39], s[42:43], exec
	s_or_b64 s[34:35], s[34:35], s[38:39]
                                        ; implicit-def: $sgpr38_sgpr39
	s_and_saveexec_b64 s[44:45], s[46:47]
	s_cbranch_execz .LBB1117_302
; %bb.306:                              ;   in Loop: Header=BB1117_303 Depth=2
	s_add_u32 s36, s36, -1
	v_add_co_u32_e32 v8, vcc, 2, v8
	s_addc_u32 s37, s37, -1
	v_addc_co_u32_e32 v9, vcc, 0, v9, vcc
	s_cmp_eq_u64 s[36:37], 0
	v_add_co_u32_e32 v10, vcc, 2, v10
	s_cselect_b64 s[40:41], -1, 0
	v_addc_co_u32_e32 v11, vcc, 0, v11, vcc
	s_andn2_b64 s[34:35], s[34:35], exec
	s_and_b64 s[38:39], s[42:43], exec
	s_orn2_b64 s[40:41], s[40:41], exec
	s_branch .LBB1117_302
.LBB1117_307:
	s_or_b64 exec, exec, s[4:5]
.LBB1117_308:
	s_or_b64 exec, exec, s[2:3]
	v_sub_u32_e32 v8, v18, v20
	v_add_u32_e32 v17, v20, v17
	v_add_u32_e32 v18, v8, v15
	v_cmp_le_u32_e32 vcc, v17, v15
	v_cmp_le_u32_e64 s[2:3], v18, v16
	s_or_b64 s[2:3], vcc, s[2:3]
	s_and_saveexec_b64 s[26:27], s[2:3]
	s_cbranch_execz .LBB1117_352
; %bb.309:
	v_cmp_ge_u32_e32 vcc, v17, v15
	v_cmp_lt_u32_e64 s[2:3], v17, v15
                                        ; implicit-def: $vgpr0_vgpr1
	s_and_saveexec_b64 s[4:5], s[2:3]
	s_cbranch_execz .LBB1117_311
; %bb.310:
	v_lshl_add_u32 v0, v20, 3, v19
	ds_read_b64 v[0:1], v0
.LBB1117_311:
	s_or_b64 exec, exec, s[4:5]
	v_cmp_ge_u32_e64 s[2:3], v18, v16
	v_cmp_lt_u32_e64 s[4:5], v18, v16
                                        ; implicit-def: $vgpr4_vgpr5
	s_and_saveexec_b64 s[28:29], s[4:5]
	s_cbranch_execz .LBB1117_313
; %bb.312:
	v_lshlrev_b32_e32 v2, 3, v18
	ds_read_b64 v[4:5], v2
.LBB1117_313:
	s_or_b64 exec, exec, s[28:29]
	s_or_b64 s[4:5], vcc, s[2:3]
	s_or_b64 s[4:5], s[4:5], s[24:25]
	s_xor_b64 s[28:29], s[4:5], -1
	s_xor_b64 s[4:5], vcc, -1
	s_or_b64 s[2:3], s[2:3], s[4:5]
	s_and_saveexec_b64 s[4:5], s[28:29]
	s_cbranch_execz .LBB1117_321
; %bb.314:
	s_waitcnt lgkmcnt(0)
	v_mul_lo_u32 v6, v5, s12
	v_mul_lo_u32 v7, v4, s13
	v_mad_u64_u32 v[2:3], s[28:29], v4, s12, 0
	v_add3_u32 v3, v3, v7, v6
	v_lshlrev_b64 v[2:3], 1, v[2:3]
	v_mov_b32_e32 v6, s15
	v_add_co_u32_e32 v2, vcc, s14, v2
	v_addc_co_u32_e32 v3, vcc, v6, v3, vcc
	v_mul_lo_u32 v8, v1, s12
	v_mul_lo_u32 v9, v0, s13
	v_mad_u64_u32 v[6:7], s[28:29], v0, s12, 0
	v_add3_u32 v7, v7, v9, v8
	v_lshlrev_b64 v[6:7], 1, v[6:7]
	v_mov_b32_e32 v8, s15
	v_add_co_u32_e32 v6, vcc, s14, v6
	v_addc_co_u32_e32 v7, vcc, v8, v7, vcc
	s_mov_b64 s[28:29], 0
	s_mov_b64 s[36:37], s[12:13]
                                        ; implicit-def: $sgpr30_sgpr31
                                        ; implicit-def: $sgpr34_sgpr35
                                        ; implicit-def: $sgpr38_sgpr39
	s_branch .LBB1117_316
.LBB1117_315:                           ;   in Loop: Header=BB1117_316 Depth=1
	s_or_b64 exec, exec, s[42:43]
	s_and_b64 s[40:41], exec, s[44:45]
	s_or_b64 s[28:29], s[40:41], s[28:29]
	s_andn2_b64 s[30:31], s[30:31], exec
	s_and_b64 s[40:41], s[34:35], exec
	s_or_b64 s[30:31], s[30:31], s[40:41]
	s_andn2_b64 exec, exec, s[28:29]
	s_cbranch_execz .LBB1117_320
.LBB1117_316:                           ; =>This Inner Loop Header: Depth=1
	global_load_ushort v8, v[2:3], off
	global_load_ushort v9, v[6:7], off
	s_mov_b64 s[46:47], 0
	s_mov_b64 s[40:41], -1
	s_waitcnt vmcnt(1)
	v_lshlrev_b32_e32 v8, 16, v8
	s_waitcnt vmcnt(0)
	v_lshlrev_b32_e32 v9, 16, v9
	v_cmp_nlt_f32_e32 vcc, v8, v9
	s_and_saveexec_b64 s[42:43], vcc
; %bb.317:                              ;   in Loop: Header=BB1117_316 Depth=1
	v_cmp_ngt_f32_e32 vcc, v8, v9
	s_and_b64 s[38:39], vcc, s[38:39]
	s_orn2_b64 s[40:41], s[38:39], exec
	s_and_b64 s[46:47], vcc, exec
; %bb.318:                              ;   in Loop: Header=BB1117_316 Depth=1
	s_or_b64 exec, exec, s[42:43]
	s_andn2_b64 s[34:35], s[34:35], exec
	s_and_b64 s[38:39], s[40:41], exec
	s_mov_b64 s[44:45], -1
	s_or_b64 s[34:35], s[34:35], s[38:39]
                                        ; implicit-def: $sgpr38_sgpr39
	s_and_saveexec_b64 s[42:43], s[46:47]
	s_cbranch_execz .LBB1117_315
; %bb.319:                              ;   in Loop: Header=BB1117_316 Depth=1
	s_add_u32 s36, s36, -1
	v_add_co_u32_e32 v2, vcc, 2, v2
	s_addc_u32 s37, s37, -1
	v_addc_co_u32_e32 v3, vcc, 0, v3, vcc
	s_cmp_eq_u64 s[36:37], 0
	v_add_co_u32_e32 v6, vcc, 2, v6
	s_cselect_b64 s[44:45], -1, 0
	v_addc_co_u32_e32 v7, vcc, 0, v7, vcc
	s_and_b64 s[38:39], s[40:41], exec
	s_andn2_b64 s[34:35], s[34:35], exec
	s_orn2_b64 s[44:45], s[44:45], exec
	s_branch .LBB1117_315
.LBB1117_320:
	s_or_b64 exec, exec, s[28:29]
	s_xor_b64 s[28:29], s[30:31], -1
	s_andn2_b64 s[2:3], s[2:3], exec
	s_and_b64 s[28:29], s[28:29], exec
	s_or_b64 s[2:3], s[2:3], s[28:29]
.LBB1117_321:
	s_or_b64 exec, exec, s[4:5]
	v_cndmask_b32_e64 v2, v18, v17, s[2:3]
	v_cndmask_b32_e64 v3, v16, v15, s[2:3]
	v_add_u32_e32 v6, 1, v2
	v_add_u32_e32 v2, -1, v3
	v_min_u32_e32 v2, v6, v2
	v_lshlrev_b32_e32 v2, 3, v2
	ds_read_b64 v[2:3], v2
	v_cndmask_b32_e64 v19, v6, v18, s[2:3]
	v_cndmask_b32_e64 v34, v17, v6, s[2:3]
	v_cmp_lt_u32_e32 vcc, v19, v16
	s_mov_b64 s[4:5], -1
	s_waitcnt lgkmcnt(0)
	v_cndmask_b32_e64 v8, v3, v5, s[2:3]
	v_cndmask_b32_e64 v9, v2, v4, s[2:3]
	;; [unrolled: 1-line block ×4, first 2 shown]
	s_mov_b64 s[28:29], -1
	s_and_saveexec_b64 s[30:31], vcc
	s_cbranch_execz .LBB1117_331
; %bb.322:
	v_cmp_lt_u32_e64 s[28:29], v34, v15
	s_xor_b64 s[34:35], s[24:25], -1
	s_and_b64 s[36:37], s[28:29], s[34:35]
	s_and_saveexec_b64 s[34:35], s[36:37]
	s_cbranch_execz .LBB1117_330
; %bb.323:
	v_mul_lo_u32 v6, v8, s12
	v_mul_lo_u32 v7, v9, s13
	v_mad_u64_u32 v[2:3], s[36:37], v9, s12, 0
	v_add3_u32 v3, v3, v7, v6
	v_lshlrev_b64 v[2:3], 1, v[2:3]
	v_mov_b32_e32 v6, s15
	v_add_co_u32_e32 v2, vcc, s14, v2
	v_addc_co_u32_e32 v3, vcc, v6, v3, vcc
	v_mul_lo_u32 v17, v10, s12
	v_mul_lo_u32 v18, v11, s13
	v_mad_u64_u32 v[6:7], s[36:37], v11, s12, 0
	v_add3_u32 v7, v7, v18, v17
	v_lshlrev_b64 v[6:7], 1, v[6:7]
	v_mov_b32_e32 v17, s15
	v_add_co_u32_e32 v6, vcc, s14, v6
	v_addc_co_u32_e32 v7, vcc, v17, v7, vcc
	s_mov_b64 s[36:37], 0
	s_mov_b64 s[42:43], s[12:13]
                                        ; implicit-def: $sgpr38_sgpr39
                                        ; implicit-def: $sgpr40_sgpr41
                                        ; implicit-def: $sgpr44_sgpr45
	s_branch .LBB1117_325
.LBB1117_324:                           ;   in Loop: Header=BB1117_325 Depth=1
	s_or_b64 exec, exec, s[48:49]
	s_and_b64 s[46:47], exec, s[50:51]
	s_or_b64 s[36:37], s[46:47], s[36:37]
	s_andn2_b64 s[38:39], s[38:39], exec
	s_and_b64 s[46:47], s[40:41], exec
	s_or_b64 s[38:39], s[38:39], s[46:47]
	s_andn2_b64 exec, exec, s[36:37]
	s_cbranch_execz .LBB1117_329
.LBB1117_325:                           ; =>This Inner Loop Header: Depth=1
	global_load_ushort v17, v[2:3], off
	global_load_ushort v18, v[6:7], off
	s_mov_b64 s[52:53], 0
	s_mov_b64 s[46:47], -1
	s_waitcnt vmcnt(1)
	v_lshlrev_b32_e32 v17, 16, v17
	s_waitcnt vmcnt(0)
	v_lshlrev_b32_e32 v18, 16, v18
	v_cmp_nlt_f32_e32 vcc, v17, v18
	s_and_saveexec_b64 s[48:49], vcc
; %bb.326:                              ;   in Loop: Header=BB1117_325 Depth=1
	v_cmp_ngt_f32_e32 vcc, v17, v18
	s_and_b64 s[44:45], vcc, s[44:45]
	s_orn2_b64 s[46:47], s[44:45], exec
	s_and_b64 s[52:53], vcc, exec
; %bb.327:                              ;   in Loop: Header=BB1117_325 Depth=1
	s_or_b64 exec, exec, s[48:49]
	s_andn2_b64 s[40:41], s[40:41], exec
	s_and_b64 s[44:45], s[46:47], exec
	s_mov_b64 s[50:51], -1
	s_or_b64 s[40:41], s[40:41], s[44:45]
                                        ; implicit-def: $sgpr44_sgpr45
	s_and_saveexec_b64 s[48:49], s[52:53]
	s_cbranch_execz .LBB1117_324
; %bb.328:                              ;   in Loop: Header=BB1117_325 Depth=1
	s_add_u32 s42, s42, -1
	v_add_co_u32_e32 v2, vcc, 2, v2
	s_addc_u32 s43, s43, -1
	v_addc_co_u32_e32 v3, vcc, 0, v3, vcc
	s_cmp_eq_u64 s[42:43], 0
	v_add_co_u32_e32 v6, vcc, 2, v6
	s_cselect_b64 s[50:51], -1, 0
	v_addc_co_u32_e32 v7, vcc, 0, v7, vcc
	s_and_b64 s[44:45], s[46:47], exec
	s_andn2_b64 s[40:41], s[40:41], exec
	s_orn2_b64 s[50:51], s[50:51], exec
	s_branch .LBB1117_324
.LBB1117_329:
	s_or_b64 exec, exec, s[36:37]
	s_xor_b64 s[36:37], s[38:39], -1
	s_andn2_b64 s[28:29], s[28:29], exec
	s_and_b64 s[36:37], s[36:37], exec
	s_or_b64 s[28:29], s[28:29], s[36:37]
.LBB1117_330:
	s_or_b64 exec, exec, s[34:35]
	s_orn2_b64 s[28:29], s[28:29], exec
.LBB1117_331:
	s_or_b64 exec, exec, s[30:31]
	v_cndmask_b32_e64 v2, v19, v34, s[28:29]
	v_cndmask_b32_e64 v3, v16, v15, s[28:29]
	v_add_u32_e32 v6, 1, v2
	v_add_u32_e32 v2, -1, v3
	v_min_u32_e32 v2, v6, v2
	v_lshlrev_b32_e32 v2, 3, v2
	ds_read_b64 v[2:3], v2
	v_cndmask_b32_e64 v20, v6, v19, s[28:29]
	v_cndmask_b32_e64 v19, v34, v6, s[28:29]
	v_cmp_lt_u32_e32 vcc, v20, v16
	s_waitcnt lgkmcnt(0)
	v_cndmask_b32_e64 v17, v3, v8, s[28:29]
	v_cndmask_b32_e64 v18, v2, v9, s[28:29]
	;; [unrolled: 1-line block ×4, first 2 shown]
	s_and_saveexec_b64 s[30:31], vcc
	s_cbranch_execz .LBB1117_341
; %bb.332:
	v_cmp_lt_u32_e64 s[4:5], v19, v15
	s_xor_b64 s[34:35], s[24:25], -1
	s_and_b64 s[36:37], s[4:5], s[34:35]
	s_and_saveexec_b64 s[34:35], s[36:37]
	s_cbranch_execz .LBB1117_340
; %bb.333:
	v_mul_lo_u32 v6, v17, s12
	v_mul_lo_u32 v7, v18, s13
	v_mad_u64_u32 v[2:3], s[36:37], v18, s12, 0
	v_add3_u32 v3, v3, v7, v6
	v_lshlrev_b64 v[2:3], 1, v[2:3]
	v_mov_b32_e32 v6, s15
	v_add_co_u32_e32 v2, vcc, s14, v2
	v_addc_co_u32_e32 v3, vcc, v6, v3, vcc
	v_mul_lo_u32 v34, v21, s12
	v_mul_lo_u32 v35, v33, s13
	v_mad_u64_u32 v[6:7], s[36:37], v33, s12, 0
	v_add3_u32 v7, v7, v35, v34
	v_lshlrev_b64 v[6:7], 1, v[6:7]
	v_mov_b32_e32 v34, s15
	v_add_co_u32_e32 v6, vcc, s14, v6
	v_addc_co_u32_e32 v7, vcc, v34, v7, vcc
	s_mov_b64 s[36:37], 0
	s_mov_b64 s[42:43], s[12:13]
                                        ; implicit-def: $sgpr38_sgpr39
                                        ; implicit-def: $sgpr40_sgpr41
                                        ; implicit-def: $sgpr44_sgpr45
	s_branch .LBB1117_335
.LBB1117_334:                           ;   in Loop: Header=BB1117_335 Depth=1
	s_or_b64 exec, exec, s[48:49]
	s_and_b64 s[46:47], exec, s[50:51]
	s_or_b64 s[36:37], s[46:47], s[36:37]
	s_andn2_b64 s[38:39], s[38:39], exec
	s_and_b64 s[46:47], s[40:41], exec
	s_or_b64 s[38:39], s[38:39], s[46:47]
	s_andn2_b64 exec, exec, s[36:37]
	s_cbranch_execz .LBB1117_339
.LBB1117_335:                           ; =>This Inner Loop Header: Depth=1
	global_load_ushort v34, v[2:3], off
	global_load_ushort v35, v[6:7], off
	s_mov_b64 s[52:53], 0
	s_mov_b64 s[46:47], -1
	s_waitcnt vmcnt(1)
	v_lshlrev_b32_e32 v34, 16, v34
	s_waitcnt vmcnt(0)
	v_lshlrev_b32_e32 v35, 16, v35
	v_cmp_nlt_f32_e32 vcc, v34, v35
	s_and_saveexec_b64 s[48:49], vcc
; %bb.336:                              ;   in Loop: Header=BB1117_335 Depth=1
	v_cmp_ngt_f32_e32 vcc, v34, v35
	s_and_b64 s[44:45], vcc, s[44:45]
	s_orn2_b64 s[46:47], s[44:45], exec
	s_and_b64 s[52:53], vcc, exec
; %bb.337:                              ;   in Loop: Header=BB1117_335 Depth=1
	s_or_b64 exec, exec, s[48:49]
	s_andn2_b64 s[40:41], s[40:41], exec
	s_and_b64 s[44:45], s[46:47], exec
	s_mov_b64 s[50:51], -1
	s_or_b64 s[40:41], s[40:41], s[44:45]
                                        ; implicit-def: $sgpr44_sgpr45
	s_and_saveexec_b64 s[48:49], s[52:53]
	s_cbranch_execz .LBB1117_334
; %bb.338:                              ;   in Loop: Header=BB1117_335 Depth=1
	s_add_u32 s42, s42, -1
	v_add_co_u32_e32 v2, vcc, 2, v2
	s_addc_u32 s43, s43, -1
	v_addc_co_u32_e32 v3, vcc, 0, v3, vcc
	s_cmp_eq_u64 s[42:43], 0
	v_add_co_u32_e32 v6, vcc, 2, v6
	s_cselect_b64 s[50:51], -1, 0
	v_addc_co_u32_e32 v7, vcc, 0, v7, vcc
	s_and_b64 s[44:45], s[46:47], exec
	s_andn2_b64 s[40:41], s[40:41], exec
	s_orn2_b64 s[50:51], s[50:51], exec
	s_branch .LBB1117_334
.LBB1117_339:
	s_or_b64 exec, exec, s[36:37]
	s_xor_b64 s[36:37], s[38:39], -1
	s_andn2_b64 s[4:5], s[4:5], exec
	s_and_b64 s[36:37], s[36:37], exec
	s_or_b64 s[4:5], s[4:5], s[36:37]
.LBB1117_340:
	s_or_b64 exec, exec, s[34:35]
	s_orn2_b64 s[4:5], s[4:5], exec
.LBB1117_341:
	s_or_b64 exec, exec, s[30:31]
	v_cndmask_b32_e64 v6, v20, v19, s[4:5]
	v_cndmask_b32_e64 v7, v16, v15, s[4:5]
	;; [unrolled: 1-line block ×3, first 2 shown]
	v_add_u32_e32 v10, 1, v6
	v_add_u32_e32 v6, -1, v7
	v_min_u32_e32 v6, v10, v6
	v_lshlrev_b32_e32 v6, 3, v6
	v_cndmask_b32_e64 v2, v9, v11, s[28:29]
	ds_read_b64 v[8:9], v6
	v_cndmask_b32_e64 v11, v10, v20, s[4:5]
	v_cndmask_b32_e64 v1, v5, v1, s[2:3]
	;; [unrolled: 1-line block ×5, first 2 shown]
	s_waitcnt lgkmcnt(0)
	v_cndmask_b32_e64 v7, v21, v9, s[4:5]
	v_cndmask_b32_e64 v6, v33, v8, s[4:5]
	v_cmp_lt_u32_e32 vcc, v11, v16
	s_and_saveexec_b64 s[2:3], vcc
	s_cbranch_execz .LBB1117_351
; %bb.342:
	v_cndmask_b32_e64 v16, v9, v17, s[4:5]
	v_cndmask_b32_e64 v17, v8, v18, s[4:5]
	;; [unrolled: 1-line block ×3, first 2 shown]
	v_cmp_ge_u32_e32 vcc, v8, v15
	s_or_b64 s[4:5], vcc, s[24:25]
	v_cndmask_b32_e32 v9, v7, v16, vcc
	s_xor_b64 s[28:29], s[4:5], -1
	v_cndmask_b32_e32 v8, v6, v17, vcc
	s_and_saveexec_b64 s[4:5], s[28:29]
	s_cbranch_execz .LBB1117_350
; %bb.343:
	v_mul_lo_u32 v10, v16, s12
	v_mul_lo_u32 v11, v17, s13
	v_mad_u64_u32 v[8:9], s[28:29], v17, s12, 0
	v_add3_u32 v9, v9, v11, v10
	v_lshlrev_b64 v[8:9], 1, v[8:9]
	v_mov_b32_e32 v10, s15
	v_add_co_u32_e32 v8, vcc, s14, v8
	v_addc_co_u32_e32 v9, vcc, v10, v9, vcc
	v_mul_lo_u32 v15, v7, s12
	v_mul_lo_u32 v18, v6, s13
	v_mad_u64_u32 v[10:11], s[28:29], v6, s12, 0
	v_add3_u32 v11, v11, v18, v15
	v_lshlrev_b64 v[10:11], 1, v[10:11]
	v_mov_b32_e32 v15, s15
	v_add_co_u32_e32 v10, vcc, s14, v10
	v_addc_co_u32_e32 v11, vcc, v15, v11, vcc
	s_mov_b64 s[28:29], 0
	s_mov_b64 s[36:37], s[12:13]
                                        ; implicit-def: $sgpr30_sgpr31
                                        ; implicit-def: $sgpr34_sgpr35
                                        ; implicit-def: $sgpr38_sgpr39
	s_branch .LBB1117_345
.LBB1117_344:                           ;   in Loop: Header=BB1117_345 Depth=1
	s_or_b64 exec, exec, s[42:43]
	s_and_b64 s[40:41], exec, s[44:45]
	s_or_b64 s[28:29], s[40:41], s[28:29]
	s_andn2_b64 s[30:31], s[30:31], exec
	s_and_b64 s[40:41], s[34:35], exec
	s_or_b64 s[30:31], s[30:31], s[40:41]
	s_andn2_b64 exec, exec, s[28:29]
	s_cbranch_execz .LBB1117_349
.LBB1117_345:                           ; =>This Inner Loop Header: Depth=1
	global_load_ushort v15, v[8:9], off
	global_load_ushort v18, v[10:11], off
	s_mov_b64 s[46:47], 0
	s_mov_b64 s[40:41], -1
	s_waitcnt vmcnt(1)
	v_lshlrev_b32_e32 v15, 16, v15
	s_waitcnt vmcnt(0)
	v_lshlrev_b32_e32 v18, 16, v18
	v_cmp_nlt_f32_e32 vcc, v15, v18
	s_and_saveexec_b64 s[42:43], vcc
; %bb.346:                              ;   in Loop: Header=BB1117_345 Depth=1
	v_cmp_ngt_f32_e32 vcc, v15, v18
	s_and_b64 s[38:39], vcc, s[38:39]
	s_orn2_b64 s[40:41], s[38:39], exec
	s_and_b64 s[46:47], vcc, exec
; %bb.347:                              ;   in Loop: Header=BB1117_345 Depth=1
	s_or_b64 exec, exec, s[42:43]
	s_andn2_b64 s[34:35], s[34:35], exec
	s_and_b64 s[38:39], s[40:41], exec
	s_mov_b64 s[44:45], -1
	s_or_b64 s[34:35], s[34:35], s[38:39]
                                        ; implicit-def: $sgpr38_sgpr39
	s_and_saveexec_b64 s[42:43], s[46:47]
	s_cbranch_execz .LBB1117_344
; %bb.348:                              ;   in Loop: Header=BB1117_345 Depth=1
	s_add_u32 s36, s36, -1
	v_add_co_u32_e32 v8, vcc, 2, v8
	s_addc_u32 s37, s37, -1
	v_addc_co_u32_e32 v9, vcc, 0, v9, vcc
	s_cmp_eq_u64 s[36:37], 0
	v_add_co_u32_e32 v10, vcc, 2, v10
	s_cselect_b64 s[44:45], -1, 0
	v_addc_co_u32_e32 v11, vcc, 0, v11, vcc
	s_and_b64 s[38:39], s[40:41], exec
	s_andn2_b64 s[34:35], s[34:35], exec
	s_orn2_b64 s[44:45], s[44:45], exec
	s_branch .LBB1117_344
.LBB1117_349:
	s_or_b64 exec, exec, s[28:29]
	v_cndmask_b32_e64 v9, v7, v16, s[30:31]
	v_cndmask_b32_e64 v8, v6, v17, s[30:31]
.LBB1117_350:
	s_or_b64 exec, exec, s[4:5]
	v_pk_mov_b32 v[6:7], v[8:9], v[8:9] op_sel:[0,1]
.LBB1117_351:
	s_or_b64 exec, exec, s[2:3]
.LBB1117_352:
	s_or_b64 exec, exec, s[26:27]
	v_and_b32_e32 v17, 0xf00, v23
	v_or_b32_e32 v8, 0x80, v17
	v_min_u32_e32 v15, 0x400, v8
	v_min_u32_e32 v8, 0x380, v8
	v_add_u32_e32 v16, 0x80, v8
	v_and_b32_e32 v18, 0xfc, v23
	v_sub_u32_e32 v8, v15, v17
	v_sub_u32_e32 v9, v16, v15
	v_sub_u32_e64 v20, v18, v9 clamp
	v_min_u32_e32 v21, v18, v8
	v_lshlrev_b32_e32 v19, 3, v17
	v_cmp_lt_u32_e32 vcc, v20, v21
	s_barrier
	ds_write_b128 v14, v[0:3]
	ds_write_b128 v14, v[4:7] offset:16
	s_waitcnt lgkmcnt(0)
	s_barrier
	s_and_saveexec_b64 s[2:3], vcc
	s_cbranch_execz .LBB1117_364
; %bb.353:
	v_lshlrev_b32_e32 v8, 3, v18
	v_lshl_add_u32 v33, v15, 3, v8
	s_lshl_b64 s[26:27], s[12:13], 1
	s_mov_b64 s[4:5], 0
	s_branch .LBB1117_356
.LBB1117_354:                           ;   in Loop: Header=BB1117_356 Depth=1
	s_or_b64 exec, exec, s[30:31]
.LBB1117_355:                           ;   in Loop: Header=BB1117_356 Depth=1
	v_add_u32_e32 v8, 1, v34
	v_cndmask_b32_e64 v21, v21, v34, s[28:29]
	v_cndmask_b32_e64 v20, v8, v20, s[28:29]
	v_cmp_ge_u32_e32 vcc, v20, v21
	s_or_b64 s[4:5], vcc, s[4:5]
	s_andn2_b64 exec, exec, s[4:5]
	s_cbranch_execz .LBB1117_363
.LBB1117_356:                           ; =>This Loop Header: Depth=1
                                        ;     Child Loop BB1117_359 Depth 2
	v_add_u32_e32 v8, v21, v20
	v_lshrrev_b32_e32 v34, 1, v8
	s_and_b64 vcc, exec, s[0:1]
	s_mov_b64 s[28:29], 0
	s_cbranch_vccnz .LBB1117_355
; %bb.357:                              ;   in Loop: Header=BB1117_356 Depth=1
	v_not_b32_e32 v8, v34
	v_lshl_add_u32 v8, v8, 3, v33
	ds_read_b64 v[8:9], v8
	v_lshl_add_u32 v35, v34, 3, v19
	ds_read_b64 v[36:37], v35
	v_pk_mov_b32 v[10:11], s[14:15], s[14:15] op_sel:[0,1]
	s_mov_b64 s[30:31], 0
	s_waitcnt lgkmcnt(1)
	v_mul_lo_u32 v35, s26, v9
	v_mul_lo_u32 v38, s27, v8
	v_mad_u64_u32 v[8:9], s[28:29], s26, v8, v[10:11]
	v_add3_u32 v9, v38, v9, v35
	s_waitcnt lgkmcnt(0)
	v_mul_lo_u32 v35, s26, v37
	v_mul_lo_u32 v37, s27, v36
	v_mad_u64_u32 v[10:11], s[28:29], s26, v36, v[10:11]
	v_add3_u32 v11, v37, v11, v35
	s_mov_b64 s[36:37], s[12:13]
                                        ; implicit-def: $sgpr28_sgpr29
                                        ; implicit-def: $sgpr34_sgpr35
                                        ; implicit-def: $sgpr38_sgpr39
	s_branch .LBB1117_359
.LBB1117_358:                           ;   in Loop: Header=BB1117_359 Depth=2
	s_or_b64 exec, exec, s[44:45]
	s_and_b64 s[40:41], exec, s[40:41]
	s_or_b64 s[30:31], s[40:41], s[30:31]
	s_andn2_b64 s[28:29], s[28:29], exec
	s_and_b64 s[40:41], s[34:35], exec
	s_or_b64 s[28:29], s[28:29], s[40:41]
	s_andn2_b64 exec, exec, s[30:31]
	s_cbranch_execz .LBB1117_354
.LBB1117_359:                           ;   Parent Loop BB1117_356 Depth=1
                                        ; =>  This Inner Loop Header: Depth=2
	global_load_ushort v35, v[8:9], off
	global_load_ushort v36, v[10:11], off
	s_mov_b64 s[40:41], -1
	s_mov_b64 s[46:47], 0
	s_mov_b64 s[42:43], -1
	s_waitcnt vmcnt(1)
	v_lshlrev_b32_e32 v35, 16, v35
	s_waitcnt vmcnt(0)
	v_lshlrev_b32_e32 v36, 16, v36
	v_cmp_nlt_f32_e32 vcc, v35, v36
	s_and_saveexec_b64 s[44:45], vcc
; %bb.360:                              ;   in Loop: Header=BB1117_359 Depth=2
	v_cmp_ngt_f32_e32 vcc, v35, v36
	s_and_b64 s[38:39], vcc, s[38:39]
	s_orn2_b64 s[42:43], s[38:39], exec
	s_and_b64 s[46:47], vcc, exec
; %bb.361:                              ;   in Loop: Header=BB1117_359 Depth=2
	s_or_b64 exec, exec, s[44:45]
	s_andn2_b64 s[34:35], s[34:35], exec
	s_and_b64 s[38:39], s[42:43], exec
	s_or_b64 s[34:35], s[34:35], s[38:39]
                                        ; implicit-def: $sgpr38_sgpr39
	s_and_saveexec_b64 s[44:45], s[46:47]
	s_cbranch_execz .LBB1117_358
; %bb.362:                              ;   in Loop: Header=BB1117_359 Depth=2
	s_add_u32 s36, s36, -1
	v_add_co_u32_e32 v8, vcc, 2, v8
	s_addc_u32 s37, s37, -1
	v_addc_co_u32_e32 v9, vcc, 0, v9, vcc
	s_cmp_eq_u64 s[36:37], 0
	v_add_co_u32_e32 v10, vcc, 2, v10
	s_cselect_b64 s[40:41], -1, 0
	v_addc_co_u32_e32 v11, vcc, 0, v11, vcc
	s_andn2_b64 s[34:35], s[34:35], exec
	s_and_b64 s[38:39], s[42:43], exec
	s_orn2_b64 s[40:41], s[40:41], exec
	s_branch .LBB1117_358
.LBB1117_363:
	s_or_b64 exec, exec, s[4:5]
.LBB1117_364:
	s_or_b64 exec, exec, s[2:3]
	v_sub_u32_e32 v8, v18, v20
	v_add_u32_e32 v17, v20, v17
	v_add_u32_e32 v18, v8, v15
	v_cmp_le_u32_e32 vcc, v17, v15
	v_cmp_le_u32_e64 s[2:3], v18, v16
	s_or_b64 s[2:3], vcc, s[2:3]
	s_and_saveexec_b64 s[26:27], s[2:3]
	s_cbranch_execz .LBB1117_408
; %bb.365:
	v_cmp_ge_u32_e32 vcc, v17, v15
	v_cmp_lt_u32_e64 s[2:3], v17, v15
                                        ; implicit-def: $vgpr0_vgpr1
	s_and_saveexec_b64 s[4:5], s[2:3]
	s_cbranch_execz .LBB1117_367
; %bb.366:
	v_lshl_add_u32 v0, v20, 3, v19
	ds_read_b64 v[0:1], v0
.LBB1117_367:
	s_or_b64 exec, exec, s[4:5]
	v_cmp_ge_u32_e64 s[2:3], v18, v16
	v_cmp_lt_u32_e64 s[4:5], v18, v16
                                        ; implicit-def: $vgpr4_vgpr5
	s_and_saveexec_b64 s[28:29], s[4:5]
	s_cbranch_execz .LBB1117_369
; %bb.368:
	v_lshlrev_b32_e32 v2, 3, v18
	ds_read_b64 v[4:5], v2
.LBB1117_369:
	s_or_b64 exec, exec, s[28:29]
	s_or_b64 s[4:5], vcc, s[2:3]
	s_or_b64 s[4:5], s[4:5], s[24:25]
	s_xor_b64 s[28:29], s[4:5], -1
	s_xor_b64 s[4:5], vcc, -1
	s_or_b64 s[2:3], s[2:3], s[4:5]
	s_and_saveexec_b64 s[4:5], s[28:29]
	s_cbranch_execz .LBB1117_377
; %bb.370:
	s_waitcnt lgkmcnt(0)
	v_mul_lo_u32 v6, v5, s12
	v_mul_lo_u32 v7, v4, s13
	v_mad_u64_u32 v[2:3], s[28:29], v4, s12, 0
	v_add3_u32 v3, v3, v7, v6
	v_lshlrev_b64 v[2:3], 1, v[2:3]
	v_mov_b32_e32 v6, s15
	v_add_co_u32_e32 v2, vcc, s14, v2
	v_addc_co_u32_e32 v3, vcc, v6, v3, vcc
	v_mul_lo_u32 v8, v1, s12
	v_mul_lo_u32 v9, v0, s13
	v_mad_u64_u32 v[6:7], s[28:29], v0, s12, 0
	v_add3_u32 v7, v7, v9, v8
	v_lshlrev_b64 v[6:7], 1, v[6:7]
	v_mov_b32_e32 v8, s15
	v_add_co_u32_e32 v6, vcc, s14, v6
	v_addc_co_u32_e32 v7, vcc, v8, v7, vcc
	s_mov_b64 s[28:29], 0
	s_mov_b64 s[36:37], s[12:13]
                                        ; implicit-def: $sgpr30_sgpr31
                                        ; implicit-def: $sgpr34_sgpr35
                                        ; implicit-def: $sgpr38_sgpr39
	s_branch .LBB1117_372
.LBB1117_371:                           ;   in Loop: Header=BB1117_372 Depth=1
	s_or_b64 exec, exec, s[42:43]
	s_and_b64 s[40:41], exec, s[44:45]
	s_or_b64 s[28:29], s[40:41], s[28:29]
	s_andn2_b64 s[30:31], s[30:31], exec
	s_and_b64 s[40:41], s[34:35], exec
	s_or_b64 s[30:31], s[30:31], s[40:41]
	s_andn2_b64 exec, exec, s[28:29]
	s_cbranch_execz .LBB1117_376
.LBB1117_372:                           ; =>This Inner Loop Header: Depth=1
	global_load_ushort v8, v[2:3], off
	global_load_ushort v9, v[6:7], off
	s_mov_b64 s[46:47], 0
	s_mov_b64 s[40:41], -1
	s_waitcnt vmcnt(1)
	v_lshlrev_b32_e32 v8, 16, v8
	s_waitcnt vmcnt(0)
	v_lshlrev_b32_e32 v9, 16, v9
	v_cmp_nlt_f32_e32 vcc, v8, v9
	s_and_saveexec_b64 s[42:43], vcc
; %bb.373:                              ;   in Loop: Header=BB1117_372 Depth=1
	v_cmp_ngt_f32_e32 vcc, v8, v9
	s_and_b64 s[38:39], vcc, s[38:39]
	s_orn2_b64 s[40:41], s[38:39], exec
	s_and_b64 s[46:47], vcc, exec
; %bb.374:                              ;   in Loop: Header=BB1117_372 Depth=1
	s_or_b64 exec, exec, s[42:43]
	s_andn2_b64 s[34:35], s[34:35], exec
	s_and_b64 s[38:39], s[40:41], exec
	s_mov_b64 s[44:45], -1
	s_or_b64 s[34:35], s[34:35], s[38:39]
                                        ; implicit-def: $sgpr38_sgpr39
	s_and_saveexec_b64 s[42:43], s[46:47]
	s_cbranch_execz .LBB1117_371
; %bb.375:                              ;   in Loop: Header=BB1117_372 Depth=1
	s_add_u32 s36, s36, -1
	v_add_co_u32_e32 v2, vcc, 2, v2
	s_addc_u32 s37, s37, -1
	v_addc_co_u32_e32 v3, vcc, 0, v3, vcc
	s_cmp_eq_u64 s[36:37], 0
	v_add_co_u32_e32 v6, vcc, 2, v6
	s_cselect_b64 s[44:45], -1, 0
	v_addc_co_u32_e32 v7, vcc, 0, v7, vcc
	s_and_b64 s[38:39], s[40:41], exec
	s_andn2_b64 s[34:35], s[34:35], exec
	s_orn2_b64 s[44:45], s[44:45], exec
	s_branch .LBB1117_371
.LBB1117_376:
	s_or_b64 exec, exec, s[28:29]
	s_xor_b64 s[28:29], s[30:31], -1
	s_andn2_b64 s[2:3], s[2:3], exec
	s_and_b64 s[28:29], s[28:29], exec
	s_or_b64 s[2:3], s[2:3], s[28:29]
.LBB1117_377:
	s_or_b64 exec, exec, s[4:5]
	v_cndmask_b32_e64 v2, v18, v17, s[2:3]
	v_cndmask_b32_e64 v3, v16, v15, s[2:3]
	v_add_u32_e32 v6, 1, v2
	v_add_u32_e32 v2, -1, v3
	v_min_u32_e32 v2, v6, v2
	v_lshlrev_b32_e32 v2, 3, v2
	ds_read_b64 v[2:3], v2
	v_cndmask_b32_e64 v19, v6, v18, s[2:3]
	v_cndmask_b32_e64 v34, v17, v6, s[2:3]
	v_cmp_lt_u32_e32 vcc, v19, v16
	s_mov_b64 s[4:5], -1
	s_waitcnt lgkmcnt(0)
	v_cndmask_b32_e64 v8, v3, v5, s[2:3]
	v_cndmask_b32_e64 v9, v2, v4, s[2:3]
	;; [unrolled: 1-line block ×4, first 2 shown]
	s_mov_b64 s[28:29], -1
	s_and_saveexec_b64 s[30:31], vcc
	s_cbranch_execz .LBB1117_387
; %bb.378:
	v_cmp_lt_u32_e64 s[28:29], v34, v15
	s_xor_b64 s[34:35], s[24:25], -1
	s_and_b64 s[36:37], s[28:29], s[34:35]
	s_and_saveexec_b64 s[34:35], s[36:37]
	s_cbranch_execz .LBB1117_386
; %bb.379:
	v_mul_lo_u32 v6, v8, s12
	v_mul_lo_u32 v7, v9, s13
	v_mad_u64_u32 v[2:3], s[36:37], v9, s12, 0
	v_add3_u32 v3, v3, v7, v6
	v_lshlrev_b64 v[2:3], 1, v[2:3]
	v_mov_b32_e32 v6, s15
	v_add_co_u32_e32 v2, vcc, s14, v2
	v_addc_co_u32_e32 v3, vcc, v6, v3, vcc
	v_mul_lo_u32 v17, v10, s12
	v_mul_lo_u32 v18, v11, s13
	v_mad_u64_u32 v[6:7], s[36:37], v11, s12, 0
	v_add3_u32 v7, v7, v18, v17
	v_lshlrev_b64 v[6:7], 1, v[6:7]
	v_mov_b32_e32 v17, s15
	v_add_co_u32_e32 v6, vcc, s14, v6
	v_addc_co_u32_e32 v7, vcc, v17, v7, vcc
	s_mov_b64 s[36:37], 0
	s_mov_b64 s[42:43], s[12:13]
                                        ; implicit-def: $sgpr38_sgpr39
                                        ; implicit-def: $sgpr40_sgpr41
                                        ; implicit-def: $sgpr44_sgpr45
	s_branch .LBB1117_381
.LBB1117_380:                           ;   in Loop: Header=BB1117_381 Depth=1
	s_or_b64 exec, exec, s[48:49]
	s_and_b64 s[46:47], exec, s[50:51]
	s_or_b64 s[36:37], s[46:47], s[36:37]
	s_andn2_b64 s[38:39], s[38:39], exec
	s_and_b64 s[46:47], s[40:41], exec
	s_or_b64 s[38:39], s[38:39], s[46:47]
	s_andn2_b64 exec, exec, s[36:37]
	s_cbranch_execz .LBB1117_385
.LBB1117_381:                           ; =>This Inner Loop Header: Depth=1
	global_load_ushort v17, v[2:3], off
	global_load_ushort v18, v[6:7], off
	s_mov_b64 s[52:53], 0
	s_mov_b64 s[46:47], -1
	s_waitcnt vmcnt(1)
	v_lshlrev_b32_e32 v17, 16, v17
	s_waitcnt vmcnt(0)
	v_lshlrev_b32_e32 v18, 16, v18
	v_cmp_nlt_f32_e32 vcc, v17, v18
	s_and_saveexec_b64 s[48:49], vcc
; %bb.382:                              ;   in Loop: Header=BB1117_381 Depth=1
	v_cmp_ngt_f32_e32 vcc, v17, v18
	s_and_b64 s[44:45], vcc, s[44:45]
	s_orn2_b64 s[46:47], s[44:45], exec
	s_and_b64 s[52:53], vcc, exec
; %bb.383:                              ;   in Loop: Header=BB1117_381 Depth=1
	s_or_b64 exec, exec, s[48:49]
	s_andn2_b64 s[40:41], s[40:41], exec
	s_and_b64 s[44:45], s[46:47], exec
	s_mov_b64 s[50:51], -1
	s_or_b64 s[40:41], s[40:41], s[44:45]
                                        ; implicit-def: $sgpr44_sgpr45
	s_and_saveexec_b64 s[48:49], s[52:53]
	s_cbranch_execz .LBB1117_380
; %bb.384:                              ;   in Loop: Header=BB1117_381 Depth=1
	s_add_u32 s42, s42, -1
	v_add_co_u32_e32 v2, vcc, 2, v2
	s_addc_u32 s43, s43, -1
	v_addc_co_u32_e32 v3, vcc, 0, v3, vcc
	s_cmp_eq_u64 s[42:43], 0
	v_add_co_u32_e32 v6, vcc, 2, v6
	s_cselect_b64 s[50:51], -1, 0
	v_addc_co_u32_e32 v7, vcc, 0, v7, vcc
	s_and_b64 s[44:45], s[46:47], exec
	s_andn2_b64 s[40:41], s[40:41], exec
	s_orn2_b64 s[50:51], s[50:51], exec
	s_branch .LBB1117_380
.LBB1117_385:
	s_or_b64 exec, exec, s[36:37]
	s_xor_b64 s[36:37], s[38:39], -1
	s_andn2_b64 s[28:29], s[28:29], exec
	s_and_b64 s[36:37], s[36:37], exec
	s_or_b64 s[28:29], s[28:29], s[36:37]
.LBB1117_386:
	s_or_b64 exec, exec, s[34:35]
	s_orn2_b64 s[28:29], s[28:29], exec
.LBB1117_387:
	s_or_b64 exec, exec, s[30:31]
	v_cndmask_b32_e64 v2, v19, v34, s[28:29]
	v_cndmask_b32_e64 v3, v16, v15, s[28:29]
	v_add_u32_e32 v6, 1, v2
	v_add_u32_e32 v2, -1, v3
	v_min_u32_e32 v2, v6, v2
	v_lshlrev_b32_e32 v2, 3, v2
	ds_read_b64 v[2:3], v2
	v_cndmask_b32_e64 v20, v6, v19, s[28:29]
	v_cndmask_b32_e64 v19, v34, v6, s[28:29]
	v_cmp_lt_u32_e32 vcc, v20, v16
	s_waitcnt lgkmcnt(0)
	v_cndmask_b32_e64 v17, v3, v8, s[28:29]
	v_cndmask_b32_e64 v18, v2, v9, s[28:29]
	v_cndmask_b32_e64 v21, v10, v3, s[28:29]
	v_cndmask_b32_e64 v33, v11, v2, s[28:29]
	s_and_saveexec_b64 s[30:31], vcc
	s_cbranch_execz .LBB1117_397
; %bb.388:
	v_cmp_lt_u32_e64 s[4:5], v19, v15
	s_xor_b64 s[34:35], s[24:25], -1
	s_and_b64 s[36:37], s[4:5], s[34:35]
	s_and_saveexec_b64 s[34:35], s[36:37]
	s_cbranch_execz .LBB1117_396
; %bb.389:
	v_mul_lo_u32 v6, v17, s12
	v_mul_lo_u32 v7, v18, s13
	v_mad_u64_u32 v[2:3], s[36:37], v18, s12, 0
	v_add3_u32 v3, v3, v7, v6
	v_lshlrev_b64 v[2:3], 1, v[2:3]
	v_mov_b32_e32 v6, s15
	v_add_co_u32_e32 v2, vcc, s14, v2
	v_addc_co_u32_e32 v3, vcc, v6, v3, vcc
	v_mul_lo_u32 v34, v21, s12
	v_mul_lo_u32 v35, v33, s13
	v_mad_u64_u32 v[6:7], s[36:37], v33, s12, 0
	v_add3_u32 v7, v7, v35, v34
	v_lshlrev_b64 v[6:7], 1, v[6:7]
	v_mov_b32_e32 v34, s15
	v_add_co_u32_e32 v6, vcc, s14, v6
	v_addc_co_u32_e32 v7, vcc, v34, v7, vcc
	s_mov_b64 s[36:37], 0
	s_mov_b64 s[42:43], s[12:13]
                                        ; implicit-def: $sgpr38_sgpr39
                                        ; implicit-def: $sgpr40_sgpr41
                                        ; implicit-def: $sgpr44_sgpr45
	s_branch .LBB1117_391
.LBB1117_390:                           ;   in Loop: Header=BB1117_391 Depth=1
	s_or_b64 exec, exec, s[48:49]
	s_and_b64 s[46:47], exec, s[50:51]
	s_or_b64 s[36:37], s[46:47], s[36:37]
	s_andn2_b64 s[38:39], s[38:39], exec
	s_and_b64 s[46:47], s[40:41], exec
	s_or_b64 s[38:39], s[38:39], s[46:47]
	s_andn2_b64 exec, exec, s[36:37]
	s_cbranch_execz .LBB1117_395
.LBB1117_391:                           ; =>This Inner Loop Header: Depth=1
	global_load_ushort v34, v[2:3], off
	global_load_ushort v35, v[6:7], off
	s_mov_b64 s[52:53], 0
	s_mov_b64 s[46:47], -1
	s_waitcnt vmcnt(1)
	v_lshlrev_b32_e32 v34, 16, v34
	s_waitcnt vmcnt(0)
	v_lshlrev_b32_e32 v35, 16, v35
	v_cmp_nlt_f32_e32 vcc, v34, v35
	s_and_saveexec_b64 s[48:49], vcc
; %bb.392:                              ;   in Loop: Header=BB1117_391 Depth=1
	v_cmp_ngt_f32_e32 vcc, v34, v35
	s_and_b64 s[44:45], vcc, s[44:45]
	s_orn2_b64 s[46:47], s[44:45], exec
	s_and_b64 s[52:53], vcc, exec
; %bb.393:                              ;   in Loop: Header=BB1117_391 Depth=1
	s_or_b64 exec, exec, s[48:49]
	s_andn2_b64 s[40:41], s[40:41], exec
	s_and_b64 s[44:45], s[46:47], exec
	s_mov_b64 s[50:51], -1
	s_or_b64 s[40:41], s[40:41], s[44:45]
                                        ; implicit-def: $sgpr44_sgpr45
	s_and_saveexec_b64 s[48:49], s[52:53]
	s_cbranch_execz .LBB1117_390
; %bb.394:                              ;   in Loop: Header=BB1117_391 Depth=1
	s_add_u32 s42, s42, -1
	v_add_co_u32_e32 v2, vcc, 2, v2
	s_addc_u32 s43, s43, -1
	v_addc_co_u32_e32 v3, vcc, 0, v3, vcc
	s_cmp_eq_u64 s[42:43], 0
	v_add_co_u32_e32 v6, vcc, 2, v6
	s_cselect_b64 s[50:51], -1, 0
	v_addc_co_u32_e32 v7, vcc, 0, v7, vcc
	s_and_b64 s[44:45], s[46:47], exec
	s_andn2_b64 s[40:41], s[40:41], exec
	s_orn2_b64 s[50:51], s[50:51], exec
	s_branch .LBB1117_390
.LBB1117_395:
	s_or_b64 exec, exec, s[36:37]
	s_xor_b64 s[36:37], s[38:39], -1
	s_andn2_b64 s[4:5], s[4:5], exec
	s_and_b64 s[36:37], s[36:37], exec
	s_or_b64 s[4:5], s[4:5], s[36:37]
.LBB1117_396:
	s_or_b64 exec, exec, s[34:35]
	s_orn2_b64 s[4:5], s[4:5], exec
.LBB1117_397:
	s_or_b64 exec, exec, s[30:31]
	v_cndmask_b32_e64 v6, v20, v19, s[4:5]
	v_cndmask_b32_e64 v7, v16, v15, s[4:5]
	;; [unrolled: 1-line block ×3, first 2 shown]
	v_add_u32_e32 v10, 1, v6
	v_add_u32_e32 v6, -1, v7
	v_min_u32_e32 v6, v10, v6
	v_lshlrev_b32_e32 v6, 3, v6
	v_cndmask_b32_e64 v2, v9, v11, s[28:29]
	ds_read_b64 v[8:9], v6
	v_cndmask_b32_e64 v11, v10, v20, s[4:5]
	v_cndmask_b32_e64 v1, v5, v1, s[2:3]
	;; [unrolled: 1-line block ×5, first 2 shown]
	s_waitcnt lgkmcnt(0)
	v_cndmask_b32_e64 v7, v21, v9, s[4:5]
	v_cndmask_b32_e64 v6, v33, v8, s[4:5]
	v_cmp_lt_u32_e32 vcc, v11, v16
	s_and_saveexec_b64 s[2:3], vcc
	s_cbranch_execz .LBB1117_407
; %bb.398:
	v_cndmask_b32_e64 v16, v9, v17, s[4:5]
	v_cndmask_b32_e64 v17, v8, v18, s[4:5]
	;; [unrolled: 1-line block ×3, first 2 shown]
	v_cmp_ge_u32_e32 vcc, v8, v15
	s_or_b64 s[4:5], vcc, s[24:25]
	v_cndmask_b32_e32 v9, v7, v16, vcc
	s_xor_b64 s[28:29], s[4:5], -1
	v_cndmask_b32_e32 v8, v6, v17, vcc
	s_and_saveexec_b64 s[4:5], s[28:29]
	s_cbranch_execz .LBB1117_406
; %bb.399:
	v_mul_lo_u32 v10, v16, s12
	v_mul_lo_u32 v11, v17, s13
	v_mad_u64_u32 v[8:9], s[28:29], v17, s12, 0
	v_add3_u32 v9, v9, v11, v10
	v_lshlrev_b64 v[8:9], 1, v[8:9]
	v_mov_b32_e32 v10, s15
	v_add_co_u32_e32 v8, vcc, s14, v8
	v_addc_co_u32_e32 v9, vcc, v10, v9, vcc
	v_mul_lo_u32 v15, v7, s12
	v_mul_lo_u32 v18, v6, s13
	v_mad_u64_u32 v[10:11], s[28:29], v6, s12, 0
	v_add3_u32 v11, v11, v18, v15
	v_lshlrev_b64 v[10:11], 1, v[10:11]
	v_mov_b32_e32 v15, s15
	v_add_co_u32_e32 v10, vcc, s14, v10
	v_addc_co_u32_e32 v11, vcc, v15, v11, vcc
	s_mov_b64 s[28:29], 0
	s_mov_b64 s[36:37], s[12:13]
                                        ; implicit-def: $sgpr30_sgpr31
                                        ; implicit-def: $sgpr34_sgpr35
                                        ; implicit-def: $sgpr38_sgpr39
	s_branch .LBB1117_401
.LBB1117_400:                           ;   in Loop: Header=BB1117_401 Depth=1
	s_or_b64 exec, exec, s[42:43]
	s_and_b64 s[40:41], exec, s[44:45]
	s_or_b64 s[28:29], s[40:41], s[28:29]
	s_andn2_b64 s[30:31], s[30:31], exec
	s_and_b64 s[40:41], s[34:35], exec
	s_or_b64 s[30:31], s[30:31], s[40:41]
	s_andn2_b64 exec, exec, s[28:29]
	s_cbranch_execz .LBB1117_405
.LBB1117_401:                           ; =>This Inner Loop Header: Depth=1
	global_load_ushort v15, v[8:9], off
	global_load_ushort v18, v[10:11], off
	s_mov_b64 s[46:47], 0
	s_mov_b64 s[40:41], -1
	s_waitcnt vmcnt(1)
	v_lshlrev_b32_e32 v15, 16, v15
	s_waitcnt vmcnt(0)
	v_lshlrev_b32_e32 v18, 16, v18
	v_cmp_nlt_f32_e32 vcc, v15, v18
	s_and_saveexec_b64 s[42:43], vcc
; %bb.402:                              ;   in Loop: Header=BB1117_401 Depth=1
	v_cmp_ngt_f32_e32 vcc, v15, v18
	s_and_b64 s[38:39], vcc, s[38:39]
	s_orn2_b64 s[40:41], s[38:39], exec
	s_and_b64 s[46:47], vcc, exec
; %bb.403:                              ;   in Loop: Header=BB1117_401 Depth=1
	s_or_b64 exec, exec, s[42:43]
	s_andn2_b64 s[34:35], s[34:35], exec
	s_and_b64 s[38:39], s[40:41], exec
	s_mov_b64 s[44:45], -1
	s_or_b64 s[34:35], s[34:35], s[38:39]
                                        ; implicit-def: $sgpr38_sgpr39
	s_and_saveexec_b64 s[42:43], s[46:47]
	s_cbranch_execz .LBB1117_400
; %bb.404:                              ;   in Loop: Header=BB1117_401 Depth=1
	s_add_u32 s36, s36, -1
	v_add_co_u32_e32 v8, vcc, 2, v8
	s_addc_u32 s37, s37, -1
	v_addc_co_u32_e32 v9, vcc, 0, v9, vcc
	s_cmp_eq_u64 s[36:37], 0
	v_add_co_u32_e32 v10, vcc, 2, v10
	s_cselect_b64 s[44:45], -1, 0
	v_addc_co_u32_e32 v11, vcc, 0, v11, vcc
	s_and_b64 s[38:39], s[40:41], exec
	s_andn2_b64 s[34:35], s[34:35], exec
	s_orn2_b64 s[44:45], s[44:45], exec
	s_branch .LBB1117_400
.LBB1117_405:
	s_or_b64 exec, exec, s[28:29]
	v_cndmask_b32_e64 v9, v7, v16, s[30:31]
	v_cndmask_b32_e64 v8, v6, v17, s[30:31]
.LBB1117_406:
	s_or_b64 exec, exec, s[4:5]
	v_pk_mov_b32 v[6:7], v[8:9], v[8:9] op_sel:[0,1]
.LBB1117_407:
	s_or_b64 exec, exec, s[2:3]
.LBB1117_408:
	s_or_b64 exec, exec, s[26:27]
	v_and_b32_e32 v17, 0xe00, v23
	v_or_b32_e32 v8, 0x100, v17
	v_min_u32_e32 v15, 0x400, v8
	v_min_u32_e32 v8, 0x300, v8
	v_add_u32_e32 v16, 0x100, v8
	v_and_b32_e32 v18, 0x1fc, v23
	v_sub_u32_e32 v8, v15, v17
	v_sub_u32_e32 v9, v16, v15
	v_sub_u32_e64 v20, v18, v9 clamp
	v_min_u32_e32 v21, v18, v8
	v_lshlrev_b32_e32 v19, 3, v17
	v_cmp_lt_u32_e32 vcc, v20, v21
	s_barrier
	ds_write_b128 v14, v[0:3]
	ds_write_b128 v14, v[4:7] offset:16
	s_waitcnt lgkmcnt(0)
	s_barrier
	s_and_saveexec_b64 s[2:3], vcc
	s_cbranch_execz .LBB1117_420
; %bb.409:
	v_lshlrev_b32_e32 v8, 3, v18
	v_lshl_add_u32 v33, v15, 3, v8
	s_lshl_b64 s[26:27], s[12:13], 1
	s_mov_b64 s[4:5], 0
	s_branch .LBB1117_412
.LBB1117_410:                           ;   in Loop: Header=BB1117_412 Depth=1
	s_or_b64 exec, exec, s[30:31]
.LBB1117_411:                           ;   in Loop: Header=BB1117_412 Depth=1
	v_add_u32_e32 v8, 1, v34
	v_cndmask_b32_e64 v21, v21, v34, s[28:29]
	v_cndmask_b32_e64 v20, v8, v20, s[28:29]
	v_cmp_ge_u32_e32 vcc, v20, v21
	s_or_b64 s[4:5], vcc, s[4:5]
	s_andn2_b64 exec, exec, s[4:5]
	s_cbranch_execz .LBB1117_419
.LBB1117_412:                           ; =>This Loop Header: Depth=1
                                        ;     Child Loop BB1117_415 Depth 2
	v_add_u32_e32 v8, v21, v20
	v_lshrrev_b32_e32 v34, 1, v8
	s_and_b64 vcc, exec, s[0:1]
	s_mov_b64 s[28:29], 0
	s_cbranch_vccnz .LBB1117_411
; %bb.413:                              ;   in Loop: Header=BB1117_412 Depth=1
	v_not_b32_e32 v8, v34
	v_lshl_add_u32 v8, v8, 3, v33
	ds_read_b64 v[8:9], v8
	v_lshl_add_u32 v35, v34, 3, v19
	ds_read_b64 v[36:37], v35
	v_pk_mov_b32 v[10:11], s[14:15], s[14:15] op_sel:[0,1]
	s_mov_b64 s[30:31], 0
	s_waitcnt lgkmcnt(1)
	v_mul_lo_u32 v35, s26, v9
	v_mul_lo_u32 v38, s27, v8
	v_mad_u64_u32 v[8:9], s[28:29], s26, v8, v[10:11]
	v_add3_u32 v9, v38, v9, v35
	s_waitcnt lgkmcnt(0)
	v_mul_lo_u32 v35, s26, v37
	v_mul_lo_u32 v37, s27, v36
	v_mad_u64_u32 v[10:11], s[28:29], s26, v36, v[10:11]
	v_add3_u32 v11, v37, v11, v35
	s_mov_b64 s[36:37], s[12:13]
                                        ; implicit-def: $sgpr28_sgpr29
                                        ; implicit-def: $sgpr34_sgpr35
                                        ; implicit-def: $sgpr38_sgpr39
	s_branch .LBB1117_415
.LBB1117_414:                           ;   in Loop: Header=BB1117_415 Depth=2
	s_or_b64 exec, exec, s[44:45]
	s_and_b64 s[40:41], exec, s[40:41]
	s_or_b64 s[30:31], s[40:41], s[30:31]
	s_andn2_b64 s[28:29], s[28:29], exec
	s_and_b64 s[40:41], s[34:35], exec
	s_or_b64 s[28:29], s[28:29], s[40:41]
	s_andn2_b64 exec, exec, s[30:31]
	s_cbranch_execz .LBB1117_410
.LBB1117_415:                           ;   Parent Loop BB1117_412 Depth=1
                                        ; =>  This Inner Loop Header: Depth=2
	global_load_ushort v35, v[8:9], off
	global_load_ushort v36, v[10:11], off
	s_mov_b64 s[40:41], -1
	s_mov_b64 s[46:47], 0
	s_mov_b64 s[42:43], -1
	s_waitcnt vmcnt(1)
	v_lshlrev_b32_e32 v35, 16, v35
	s_waitcnt vmcnt(0)
	v_lshlrev_b32_e32 v36, 16, v36
	v_cmp_nlt_f32_e32 vcc, v35, v36
	s_and_saveexec_b64 s[44:45], vcc
; %bb.416:                              ;   in Loop: Header=BB1117_415 Depth=2
	v_cmp_ngt_f32_e32 vcc, v35, v36
	s_and_b64 s[38:39], vcc, s[38:39]
	s_orn2_b64 s[42:43], s[38:39], exec
	s_and_b64 s[46:47], vcc, exec
; %bb.417:                              ;   in Loop: Header=BB1117_415 Depth=2
	s_or_b64 exec, exec, s[44:45]
	s_andn2_b64 s[34:35], s[34:35], exec
	s_and_b64 s[38:39], s[42:43], exec
	s_or_b64 s[34:35], s[34:35], s[38:39]
                                        ; implicit-def: $sgpr38_sgpr39
	s_and_saveexec_b64 s[44:45], s[46:47]
	s_cbranch_execz .LBB1117_414
; %bb.418:                              ;   in Loop: Header=BB1117_415 Depth=2
	s_add_u32 s36, s36, -1
	v_add_co_u32_e32 v8, vcc, 2, v8
	s_addc_u32 s37, s37, -1
	v_addc_co_u32_e32 v9, vcc, 0, v9, vcc
	s_cmp_eq_u64 s[36:37], 0
	v_add_co_u32_e32 v10, vcc, 2, v10
	s_cselect_b64 s[40:41], -1, 0
	v_addc_co_u32_e32 v11, vcc, 0, v11, vcc
	s_andn2_b64 s[34:35], s[34:35], exec
	s_and_b64 s[38:39], s[42:43], exec
	s_orn2_b64 s[40:41], s[40:41], exec
	s_branch .LBB1117_414
.LBB1117_419:
	s_or_b64 exec, exec, s[4:5]
.LBB1117_420:
	s_or_b64 exec, exec, s[2:3]
	v_sub_u32_e32 v8, v18, v20
	v_add_u32_e32 v17, v20, v17
	v_add_u32_e32 v18, v8, v15
	v_cmp_le_u32_e32 vcc, v17, v15
	v_cmp_le_u32_e64 s[2:3], v18, v16
	s_or_b64 s[2:3], vcc, s[2:3]
	s_and_saveexec_b64 s[26:27], s[2:3]
	s_cbranch_execz .LBB1117_464
; %bb.421:
	v_cmp_ge_u32_e32 vcc, v17, v15
	v_cmp_lt_u32_e64 s[2:3], v17, v15
                                        ; implicit-def: $vgpr0_vgpr1
	s_and_saveexec_b64 s[4:5], s[2:3]
	s_cbranch_execz .LBB1117_423
; %bb.422:
	v_lshl_add_u32 v0, v20, 3, v19
	ds_read_b64 v[0:1], v0
.LBB1117_423:
	s_or_b64 exec, exec, s[4:5]
	v_cmp_ge_u32_e64 s[2:3], v18, v16
	v_cmp_lt_u32_e64 s[4:5], v18, v16
                                        ; implicit-def: $vgpr4_vgpr5
	s_and_saveexec_b64 s[28:29], s[4:5]
	s_cbranch_execz .LBB1117_425
; %bb.424:
	v_lshlrev_b32_e32 v2, 3, v18
	ds_read_b64 v[4:5], v2
.LBB1117_425:
	s_or_b64 exec, exec, s[28:29]
	s_or_b64 s[4:5], vcc, s[2:3]
	s_or_b64 s[4:5], s[4:5], s[24:25]
	s_xor_b64 s[28:29], s[4:5], -1
	s_xor_b64 s[4:5], vcc, -1
	s_or_b64 s[2:3], s[2:3], s[4:5]
	s_and_saveexec_b64 s[4:5], s[28:29]
	s_cbranch_execz .LBB1117_433
; %bb.426:
	s_waitcnt lgkmcnt(0)
	v_mul_lo_u32 v6, v5, s12
	v_mul_lo_u32 v7, v4, s13
	v_mad_u64_u32 v[2:3], s[28:29], v4, s12, 0
	v_add3_u32 v3, v3, v7, v6
	v_lshlrev_b64 v[2:3], 1, v[2:3]
	v_mov_b32_e32 v6, s15
	v_add_co_u32_e32 v2, vcc, s14, v2
	v_addc_co_u32_e32 v3, vcc, v6, v3, vcc
	v_mul_lo_u32 v8, v1, s12
	v_mul_lo_u32 v9, v0, s13
	v_mad_u64_u32 v[6:7], s[28:29], v0, s12, 0
	v_add3_u32 v7, v7, v9, v8
	v_lshlrev_b64 v[6:7], 1, v[6:7]
	v_mov_b32_e32 v8, s15
	v_add_co_u32_e32 v6, vcc, s14, v6
	v_addc_co_u32_e32 v7, vcc, v8, v7, vcc
	s_mov_b64 s[28:29], 0
	s_mov_b64 s[36:37], s[12:13]
                                        ; implicit-def: $sgpr30_sgpr31
                                        ; implicit-def: $sgpr34_sgpr35
                                        ; implicit-def: $sgpr38_sgpr39
	s_branch .LBB1117_428
.LBB1117_427:                           ;   in Loop: Header=BB1117_428 Depth=1
	s_or_b64 exec, exec, s[42:43]
	s_and_b64 s[40:41], exec, s[44:45]
	s_or_b64 s[28:29], s[40:41], s[28:29]
	s_andn2_b64 s[30:31], s[30:31], exec
	s_and_b64 s[40:41], s[34:35], exec
	s_or_b64 s[30:31], s[30:31], s[40:41]
	s_andn2_b64 exec, exec, s[28:29]
	s_cbranch_execz .LBB1117_432
.LBB1117_428:                           ; =>This Inner Loop Header: Depth=1
	global_load_ushort v8, v[2:3], off
	global_load_ushort v9, v[6:7], off
	s_mov_b64 s[46:47], 0
	s_mov_b64 s[40:41], -1
	s_waitcnt vmcnt(1)
	v_lshlrev_b32_e32 v8, 16, v8
	s_waitcnt vmcnt(0)
	v_lshlrev_b32_e32 v9, 16, v9
	v_cmp_nlt_f32_e32 vcc, v8, v9
	s_and_saveexec_b64 s[42:43], vcc
; %bb.429:                              ;   in Loop: Header=BB1117_428 Depth=1
	v_cmp_ngt_f32_e32 vcc, v8, v9
	s_and_b64 s[38:39], vcc, s[38:39]
	s_orn2_b64 s[40:41], s[38:39], exec
	s_and_b64 s[46:47], vcc, exec
; %bb.430:                              ;   in Loop: Header=BB1117_428 Depth=1
	s_or_b64 exec, exec, s[42:43]
	s_andn2_b64 s[34:35], s[34:35], exec
	s_and_b64 s[38:39], s[40:41], exec
	s_mov_b64 s[44:45], -1
	s_or_b64 s[34:35], s[34:35], s[38:39]
                                        ; implicit-def: $sgpr38_sgpr39
	s_and_saveexec_b64 s[42:43], s[46:47]
	s_cbranch_execz .LBB1117_427
; %bb.431:                              ;   in Loop: Header=BB1117_428 Depth=1
	s_add_u32 s36, s36, -1
	v_add_co_u32_e32 v2, vcc, 2, v2
	s_addc_u32 s37, s37, -1
	v_addc_co_u32_e32 v3, vcc, 0, v3, vcc
	s_cmp_eq_u64 s[36:37], 0
	v_add_co_u32_e32 v6, vcc, 2, v6
	s_cselect_b64 s[44:45], -1, 0
	v_addc_co_u32_e32 v7, vcc, 0, v7, vcc
	s_and_b64 s[38:39], s[40:41], exec
	s_andn2_b64 s[34:35], s[34:35], exec
	s_orn2_b64 s[44:45], s[44:45], exec
	s_branch .LBB1117_427
.LBB1117_432:
	s_or_b64 exec, exec, s[28:29]
	s_xor_b64 s[28:29], s[30:31], -1
	s_andn2_b64 s[2:3], s[2:3], exec
	s_and_b64 s[28:29], s[28:29], exec
	s_or_b64 s[2:3], s[2:3], s[28:29]
.LBB1117_433:
	s_or_b64 exec, exec, s[4:5]
	v_cndmask_b32_e64 v2, v18, v17, s[2:3]
	v_cndmask_b32_e64 v3, v16, v15, s[2:3]
	v_add_u32_e32 v6, 1, v2
	v_add_u32_e32 v2, -1, v3
	v_min_u32_e32 v2, v6, v2
	v_lshlrev_b32_e32 v2, 3, v2
	ds_read_b64 v[2:3], v2
	v_cndmask_b32_e64 v19, v6, v18, s[2:3]
	v_cndmask_b32_e64 v34, v17, v6, s[2:3]
	v_cmp_lt_u32_e32 vcc, v19, v16
	s_mov_b64 s[4:5], -1
	s_waitcnt lgkmcnt(0)
	v_cndmask_b32_e64 v8, v3, v5, s[2:3]
	v_cndmask_b32_e64 v9, v2, v4, s[2:3]
	;; [unrolled: 1-line block ×4, first 2 shown]
	s_mov_b64 s[28:29], -1
	s_and_saveexec_b64 s[30:31], vcc
	s_cbranch_execz .LBB1117_443
; %bb.434:
	v_cmp_lt_u32_e64 s[28:29], v34, v15
	s_xor_b64 s[34:35], s[24:25], -1
	s_and_b64 s[36:37], s[28:29], s[34:35]
	s_and_saveexec_b64 s[34:35], s[36:37]
	s_cbranch_execz .LBB1117_442
; %bb.435:
	v_mul_lo_u32 v6, v8, s12
	v_mul_lo_u32 v7, v9, s13
	v_mad_u64_u32 v[2:3], s[36:37], v9, s12, 0
	v_add3_u32 v3, v3, v7, v6
	v_lshlrev_b64 v[2:3], 1, v[2:3]
	v_mov_b32_e32 v6, s15
	v_add_co_u32_e32 v2, vcc, s14, v2
	v_addc_co_u32_e32 v3, vcc, v6, v3, vcc
	v_mul_lo_u32 v17, v10, s12
	v_mul_lo_u32 v18, v11, s13
	v_mad_u64_u32 v[6:7], s[36:37], v11, s12, 0
	v_add3_u32 v7, v7, v18, v17
	v_lshlrev_b64 v[6:7], 1, v[6:7]
	v_mov_b32_e32 v17, s15
	v_add_co_u32_e32 v6, vcc, s14, v6
	v_addc_co_u32_e32 v7, vcc, v17, v7, vcc
	s_mov_b64 s[36:37], 0
	s_mov_b64 s[42:43], s[12:13]
                                        ; implicit-def: $sgpr38_sgpr39
                                        ; implicit-def: $sgpr40_sgpr41
                                        ; implicit-def: $sgpr44_sgpr45
	s_branch .LBB1117_437
.LBB1117_436:                           ;   in Loop: Header=BB1117_437 Depth=1
	s_or_b64 exec, exec, s[48:49]
	s_and_b64 s[46:47], exec, s[50:51]
	s_or_b64 s[36:37], s[46:47], s[36:37]
	s_andn2_b64 s[38:39], s[38:39], exec
	s_and_b64 s[46:47], s[40:41], exec
	s_or_b64 s[38:39], s[38:39], s[46:47]
	s_andn2_b64 exec, exec, s[36:37]
	s_cbranch_execz .LBB1117_441
.LBB1117_437:                           ; =>This Inner Loop Header: Depth=1
	global_load_ushort v17, v[2:3], off
	global_load_ushort v18, v[6:7], off
	s_mov_b64 s[52:53], 0
	s_mov_b64 s[46:47], -1
	s_waitcnt vmcnt(1)
	v_lshlrev_b32_e32 v17, 16, v17
	s_waitcnt vmcnt(0)
	v_lshlrev_b32_e32 v18, 16, v18
	v_cmp_nlt_f32_e32 vcc, v17, v18
	s_and_saveexec_b64 s[48:49], vcc
; %bb.438:                              ;   in Loop: Header=BB1117_437 Depth=1
	v_cmp_ngt_f32_e32 vcc, v17, v18
	s_and_b64 s[44:45], vcc, s[44:45]
	s_orn2_b64 s[46:47], s[44:45], exec
	s_and_b64 s[52:53], vcc, exec
; %bb.439:                              ;   in Loop: Header=BB1117_437 Depth=1
	s_or_b64 exec, exec, s[48:49]
	s_andn2_b64 s[40:41], s[40:41], exec
	s_and_b64 s[44:45], s[46:47], exec
	s_mov_b64 s[50:51], -1
	s_or_b64 s[40:41], s[40:41], s[44:45]
                                        ; implicit-def: $sgpr44_sgpr45
	s_and_saveexec_b64 s[48:49], s[52:53]
	s_cbranch_execz .LBB1117_436
; %bb.440:                              ;   in Loop: Header=BB1117_437 Depth=1
	s_add_u32 s42, s42, -1
	v_add_co_u32_e32 v2, vcc, 2, v2
	s_addc_u32 s43, s43, -1
	v_addc_co_u32_e32 v3, vcc, 0, v3, vcc
	s_cmp_eq_u64 s[42:43], 0
	v_add_co_u32_e32 v6, vcc, 2, v6
	s_cselect_b64 s[50:51], -1, 0
	v_addc_co_u32_e32 v7, vcc, 0, v7, vcc
	s_and_b64 s[44:45], s[46:47], exec
	s_andn2_b64 s[40:41], s[40:41], exec
	s_orn2_b64 s[50:51], s[50:51], exec
	s_branch .LBB1117_436
.LBB1117_441:
	s_or_b64 exec, exec, s[36:37]
	s_xor_b64 s[36:37], s[38:39], -1
	s_andn2_b64 s[28:29], s[28:29], exec
	s_and_b64 s[36:37], s[36:37], exec
	s_or_b64 s[28:29], s[28:29], s[36:37]
.LBB1117_442:
	s_or_b64 exec, exec, s[34:35]
	s_orn2_b64 s[28:29], s[28:29], exec
.LBB1117_443:
	s_or_b64 exec, exec, s[30:31]
	v_cndmask_b32_e64 v2, v19, v34, s[28:29]
	v_cndmask_b32_e64 v3, v16, v15, s[28:29]
	v_add_u32_e32 v6, 1, v2
	v_add_u32_e32 v2, -1, v3
	v_min_u32_e32 v2, v6, v2
	v_lshlrev_b32_e32 v2, 3, v2
	ds_read_b64 v[2:3], v2
	v_cndmask_b32_e64 v20, v6, v19, s[28:29]
	v_cndmask_b32_e64 v19, v34, v6, s[28:29]
	v_cmp_lt_u32_e32 vcc, v20, v16
	s_waitcnt lgkmcnt(0)
	v_cndmask_b32_e64 v17, v3, v8, s[28:29]
	v_cndmask_b32_e64 v18, v2, v9, s[28:29]
	;; [unrolled: 1-line block ×4, first 2 shown]
	s_and_saveexec_b64 s[30:31], vcc
	s_cbranch_execz .LBB1117_453
; %bb.444:
	v_cmp_lt_u32_e64 s[4:5], v19, v15
	s_xor_b64 s[34:35], s[24:25], -1
	s_and_b64 s[36:37], s[4:5], s[34:35]
	s_and_saveexec_b64 s[34:35], s[36:37]
	s_cbranch_execz .LBB1117_452
; %bb.445:
	v_mul_lo_u32 v6, v17, s12
	v_mul_lo_u32 v7, v18, s13
	v_mad_u64_u32 v[2:3], s[36:37], v18, s12, 0
	v_add3_u32 v3, v3, v7, v6
	v_lshlrev_b64 v[2:3], 1, v[2:3]
	v_mov_b32_e32 v6, s15
	v_add_co_u32_e32 v2, vcc, s14, v2
	v_addc_co_u32_e32 v3, vcc, v6, v3, vcc
	v_mul_lo_u32 v34, v21, s12
	v_mul_lo_u32 v35, v33, s13
	v_mad_u64_u32 v[6:7], s[36:37], v33, s12, 0
	v_add3_u32 v7, v7, v35, v34
	v_lshlrev_b64 v[6:7], 1, v[6:7]
	v_mov_b32_e32 v34, s15
	v_add_co_u32_e32 v6, vcc, s14, v6
	v_addc_co_u32_e32 v7, vcc, v34, v7, vcc
	s_mov_b64 s[36:37], 0
	s_mov_b64 s[42:43], s[12:13]
                                        ; implicit-def: $sgpr38_sgpr39
                                        ; implicit-def: $sgpr40_sgpr41
                                        ; implicit-def: $sgpr44_sgpr45
	s_branch .LBB1117_447
.LBB1117_446:                           ;   in Loop: Header=BB1117_447 Depth=1
	s_or_b64 exec, exec, s[48:49]
	s_and_b64 s[46:47], exec, s[50:51]
	s_or_b64 s[36:37], s[46:47], s[36:37]
	s_andn2_b64 s[38:39], s[38:39], exec
	s_and_b64 s[46:47], s[40:41], exec
	s_or_b64 s[38:39], s[38:39], s[46:47]
	s_andn2_b64 exec, exec, s[36:37]
	s_cbranch_execz .LBB1117_451
.LBB1117_447:                           ; =>This Inner Loop Header: Depth=1
	global_load_ushort v34, v[2:3], off
	global_load_ushort v35, v[6:7], off
	s_mov_b64 s[52:53], 0
	s_mov_b64 s[46:47], -1
	s_waitcnt vmcnt(1)
	v_lshlrev_b32_e32 v34, 16, v34
	s_waitcnt vmcnt(0)
	v_lshlrev_b32_e32 v35, 16, v35
	v_cmp_nlt_f32_e32 vcc, v34, v35
	s_and_saveexec_b64 s[48:49], vcc
; %bb.448:                              ;   in Loop: Header=BB1117_447 Depth=1
	v_cmp_ngt_f32_e32 vcc, v34, v35
	s_and_b64 s[44:45], vcc, s[44:45]
	s_orn2_b64 s[46:47], s[44:45], exec
	s_and_b64 s[52:53], vcc, exec
; %bb.449:                              ;   in Loop: Header=BB1117_447 Depth=1
	s_or_b64 exec, exec, s[48:49]
	s_andn2_b64 s[40:41], s[40:41], exec
	s_and_b64 s[44:45], s[46:47], exec
	s_mov_b64 s[50:51], -1
	s_or_b64 s[40:41], s[40:41], s[44:45]
                                        ; implicit-def: $sgpr44_sgpr45
	s_and_saveexec_b64 s[48:49], s[52:53]
	s_cbranch_execz .LBB1117_446
; %bb.450:                              ;   in Loop: Header=BB1117_447 Depth=1
	s_add_u32 s42, s42, -1
	v_add_co_u32_e32 v2, vcc, 2, v2
	s_addc_u32 s43, s43, -1
	v_addc_co_u32_e32 v3, vcc, 0, v3, vcc
	s_cmp_eq_u64 s[42:43], 0
	v_add_co_u32_e32 v6, vcc, 2, v6
	s_cselect_b64 s[50:51], -1, 0
	v_addc_co_u32_e32 v7, vcc, 0, v7, vcc
	s_and_b64 s[44:45], s[46:47], exec
	s_andn2_b64 s[40:41], s[40:41], exec
	s_orn2_b64 s[50:51], s[50:51], exec
	s_branch .LBB1117_446
.LBB1117_451:
	s_or_b64 exec, exec, s[36:37]
	s_xor_b64 s[36:37], s[38:39], -1
	s_andn2_b64 s[4:5], s[4:5], exec
	s_and_b64 s[36:37], s[36:37], exec
	s_or_b64 s[4:5], s[4:5], s[36:37]
.LBB1117_452:
	s_or_b64 exec, exec, s[34:35]
	s_orn2_b64 s[4:5], s[4:5], exec
.LBB1117_453:
	s_or_b64 exec, exec, s[30:31]
	v_cndmask_b32_e64 v6, v20, v19, s[4:5]
	v_cndmask_b32_e64 v7, v16, v15, s[4:5]
	;; [unrolled: 1-line block ×3, first 2 shown]
	v_add_u32_e32 v10, 1, v6
	v_add_u32_e32 v6, -1, v7
	v_min_u32_e32 v6, v10, v6
	v_lshlrev_b32_e32 v6, 3, v6
	v_cndmask_b32_e64 v2, v9, v11, s[28:29]
	ds_read_b64 v[8:9], v6
	v_cndmask_b32_e64 v11, v10, v20, s[4:5]
	v_cndmask_b32_e64 v1, v5, v1, s[2:3]
	;; [unrolled: 1-line block ×5, first 2 shown]
	s_waitcnt lgkmcnt(0)
	v_cndmask_b32_e64 v7, v21, v9, s[4:5]
	v_cndmask_b32_e64 v6, v33, v8, s[4:5]
	v_cmp_lt_u32_e32 vcc, v11, v16
	s_and_saveexec_b64 s[2:3], vcc
	s_cbranch_execz .LBB1117_463
; %bb.454:
	v_cndmask_b32_e64 v16, v9, v17, s[4:5]
	v_cndmask_b32_e64 v17, v8, v18, s[4:5]
	v_cndmask_b32_e64 v8, v19, v10, s[4:5]
	v_cmp_ge_u32_e32 vcc, v8, v15
	s_or_b64 s[4:5], vcc, s[24:25]
	v_cndmask_b32_e32 v9, v7, v16, vcc
	s_xor_b64 s[28:29], s[4:5], -1
	v_cndmask_b32_e32 v8, v6, v17, vcc
	s_and_saveexec_b64 s[4:5], s[28:29]
	s_cbranch_execz .LBB1117_462
; %bb.455:
	v_mul_lo_u32 v10, v16, s12
	v_mul_lo_u32 v11, v17, s13
	v_mad_u64_u32 v[8:9], s[28:29], v17, s12, 0
	v_add3_u32 v9, v9, v11, v10
	v_lshlrev_b64 v[8:9], 1, v[8:9]
	v_mov_b32_e32 v10, s15
	v_add_co_u32_e32 v8, vcc, s14, v8
	v_addc_co_u32_e32 v9, vcc, v10, v9, vcc
	v_mul_lo_u32 v15, v7, s12
	v_mul_lo_u32 v18, v6, s13
	v_mad_u64_u32 v[10:11], s[28:29], v6, s12, 0
	v_add3_u32 v11, v11, v18, v15
	v_lshlrev_b64 v[10:11], 1, v[10:11]
	v_mov_b32_e32 v15, s15
	v_add_co_u32_e32 v10, vcc, s14, v10
	v_addc_co_u32_e32 v11, vcc, v15, v11, vcc
	s_mov_b64 s[28:29], 0
	s_mov_b64 s[36:37], s[12:13]
                                        ; implicit-def: $sgpr30_sgpr31
                                        ; implicit-def: $sgpr34_sgpr35
                                        ; implicit-def: $sgpr38_sgpr39
	s_branch .LBB1117_457
.LBB1117_456:                           ;   in Loop: Header=BB1117_457 Depth=1
	s_or_b64 exec, exec, s[42:43]
	s_and_b64 s[40:41], exec, s[44:45]
	s_or_b64 s[28:29], s[40:41], s[28:29]
	s_andn2_b64 s[30:31], s[30:31], exec
	s_and_b64 s[40:41], s[34:35], exec
	s_or_b64 s[30:31], s[30:31], s[40:41]
	s_andn2_b64 exec, exec, s[28:29]
	s_cbranch_execz .LBB1117_461
.LBB1117_457:                           ; =>This Inner Loop Header: Depth=1
	global_load_ushort v15, v[8:9], off
	global_load_ushort v18, v[10:11], off
	s_mov_b64 s[46:47], 0
	s_mov_b64 s[40:41], -1
	s_waitcnt vmcnt(1)
	v_lshlrev_b32_e32 v15, 16, v15
	s_waitcnt vmcnt(0)
	v_lshlrev_b32_e32 v18, 16, v18
	v_cmp_nlt_f32_e32 vcc, v15, v18
	s_and_saveexec_b64 s[42:43], vcc
; %bb.458:                              ;   in Loop: Header=BB1117_457 Depth=1
	v_cmp_ngt_f32_e32 vcc, v15, v18
	s_and_b64 s[38:39], vcc, s[38:39]
	s_orn2_b64 s[40:41], s[38:39], exec
	s_and_b64 s[46:47], vcc, exec
; %bb.459:                              ;   in Loop: Header=BB1117_457 Depth=1
	s_or_b64 exec, exec, s[42:43]
	s_andn2_b64 s[34:35], s[34:35], exec
	s_and_b64 s[38:39], s[40:41], exec
	s_mov_b64 s[44:45], -1
	s_or_b64 s[34:35], s[34:35], s[38:39]
                                        ; implicit-def: $sgpr38_sgpr39
	s_and_saveexec_b64 s[42:43], s[46:47]
	s_cbranch_execz .LBB1117_456
; %bb.460:                              ;   in Loop: Header=BB1117_457 Depth=1
	s_add_u32 s36, s36, -1
	v_add_co_u32_e32 v8, vcc, 2, v8
	s_addc_u32 s37, s37, -1
	v_addc_co_u32_e32 v9, vcc, 0, v9, vcc
	s_cmp_eq_u64 s[36:37], 0
	v_add_co_u32_e32 v10, vcc, 2, v10
	s_cselect_b64 s[44:45], -1, 0
	v_addc_co_u32_e32 v11, vcc, 0, v11, vcc
	s_and_b64 s[38:39], s[40:41], exec
	s_andn2_b64 s[34:35], s[34:35], exec
	s_orn2_b64 s[44:45], s[44:45], exec
	s_branch .LBB1117_456
.LBB1117_461:
	s_or_b64 exec, exec, s[28:29]
	v_cndmask_b32_e64 v9, v7, v16, s[30:31]
	v_cndmask_b32_e64 v8, v6, v17, s[30:31]
.LBB1117_462:
	s_or_b64 exec, exec, s[4:5]
	v_pk_mov_b32 v[6:7], v[8:9], v[8:9] op_sel:[0,1]
.LBB1117_463:
	s_or_b64 exec, exec, s[2:3]
.LBB1117_464:
	s_or_b64 exec, exec, s[26:27]
	v_and_b32_e32 v16, 0xc00, v23
	v_or_b32_e32 v8, 0x200, v16
	s_barrier
	ds_write_b128 v14, v[0:3]
	ds_write_b128 v14, v[4:7] offset:16
	v_min_u32_e32 v14, 0x400, v8
	v_and_b32_e32 v17, 0x3fc, v23
	v_sub_u32_e32 v8, v14, v16
	v_sub_u32_e32 v9, 0x400, v14
	v_sub_u32_e64 v18, v17, v9 clamp
	v_min_u32_e32 v19, v17, v8
	v_lshlrev_b32_e32 v15, 3, v16
	v_cmp_lt_u32_e32 vcc, v18, v19
	s_waitcnt lgkmcnt(0)
	s_barrier
	s_and_saveexec_b64 s[2:3], vcc
	s_cbranch_execz .LBB1117_476
; %bb.465:
	v_lshlrev_b32_e32 v8, 3, v17
	v_lshl_add_u32 v20, v14, 3, v8
	s_lshl_b64 s[26:27], s[12:13], 1
	s_mov_b64 s[4:5], 0
	s_branch .LBB1117_468
.LBB1117_466:                           ;   in Loop: Header=BB1117_468 Depth=1
	s_or_b64 exec, exec, s[30:31]
.LBB1117_467:                           ;   in Loop: Header=BB1117_468 Depth=1
	v_add_u32_e32 v8, 1, v21
	v_cndmask_b32_e64 v19, v19, v21, s[28:29]
	v_cndmask_b32_e64 v18, v8, v18, s[28:29]
	v_cmp_ge_u32_e32 vcc, v18, v19
	s_or_b64 s[4:5], vcc, s[4:5]
	s_andn2_b64 exec, exec, s[4:5]
	s_cbranch_execz .LBB1117_475
.LBB1117_468:                           ; =>This Loop Header: Depth=1
                                        ;     Child Loop BB1117_471 Depth 2
	v_add_u32_e32 v8, v19, v18
	v_lshrrev_b32_e32 v21, 1, v8
	s_and_b64 vcc, exec, s[0:1]
	s_mov_b64 s[28:29], 0
	s_cbranch_vccnz .LBB1117_467
; %bb.469:                              ;   in Loop: Header=BB1117_468 Depth=1
	v_not_b32_e32 v8, v21
	v_lshl_add_u32 v8, v8, 3, v20
	ds_read_b64 v[8:9], v8
	v_lshl_add_u32 v33, v21, 3, v15
	ds_read_b64 v[34:35], v33
	v_pk_mov_b32 v[10:11], s[14:15], s[14:15] op_sel:[0,1]
	s_mov_b64 s[30:31], 0
	s_waitcnt lgkmcnt(1)
	v_mul_lo_u32 v33, s26, v9
	v_mul_lo_u32 v36, s27, v8
	v_mad_u64_u32 v[8:9], s[28:29], s26, v8, v[10:11]
	v_add3_u32 v9, v36, v9, v33
	s_waitcnt lgkmcnt(0)
	v_mul_lo_u32 v33, s26, v35
	v_mul_lo_u32 v35, s27, v34
	v_mad_u64_u32 v[10:11], s[28:29], s26, v34, v[10:11]
	v_add3_u32 v11, v35, v11, v33
	s_mov_b64 s[36:37], s[12:13]
                                        ; implicit-def: $sgpr28_sgpr29
                                        ; implicit-def: $sgpr34_sgpr35
                                        ; implicit-def: $sgpr38_sgpr39
	s_branch .LBB1117_471
.LBB1117_470:                           ;   in Loop: Header=BB1117_471 Depth=2
	s_or_b64 exec, exec, s[44:45]
	s_and_b64 s[40:41], exec, s[40:41]
	s_or_b64 s[30:31], s[40:41], s[30:31]
	s_andn2_b64 s[28:29], s[28:29], exec
	s_and_b64 s[40:41], s[34:35], exec
	s_or_b64 s[28:29], s[28:29], s[40:41]
	s_andn2_b64 exec, exec, s[30:31]
	s_cbranch_execz .LBB1117_466
.LBB1117_471:                           ;   Parent Loop BB1117_468 Depth=1
                                        ; =>  This Inner Loop Header: Depth=2
	global_load_ushort v33, v[8:9], off
	global_load_ushort v34, v[10:11], off
	s_mov_b64 s[40:41], -1
	s_mov_b64 s[46:47], 0
	s_mov_b64 s[42:43], -1
	s_waitcnt vmcnt(1)
	v_lshlrev_b32_e32 v33, 16, v33
	s_waitcnt vmcnt(0)
	v_lshlrev_b32_e32 v34, 16, v34
	v_cmp_nlt_f32_e32 vcc, v33, v34
	s_and_saveexec_b64 s[44:45], vcc
; %bb.472:                              ;   in Loop: Header=BB1117_471 Depth=2
	v_cmp_ngt_f32_e32 vcc, v33, v34
	s_and_b64 s[38:39], vcc, s[38:39]
	s_orn2_b64 s[42:43], s[38:39], exec
	s_and_b64 s[46:47], vcc, exec
; %bb.473:                              ;   in Loop: Header=BB1117_471 Depth=2
	s_or_b64 exec, exec, s[44:45]
	s_andn2_b64 s[34:35], s[34:35], exec
	s_and_b64 s[38:39], s[42:43], exec
	s_or_b64 s[34:35], s[34:35], s[38:39]
                                        ; implicit-def: $sgpr38_sgpr39
	s_and_saveexec_b64 s[44:45], s[46:47]
	s_cbranch_execz .LBB1117_470
; %bb.474:                              ;   in Loop: Header=BB1117_471 Depth=2
	s_add_u32 s36, s36, -1
	v_add_co_u32_e32 v8, vcc, 2, v8
	s_addc_u32 s37, s37, -1
	v_addc_co_u32_e32 v9, vcc, 0, v9, vcc
	s_cmp_eq_u64 s[36:37], 0
	v_add_co_u32_e32 v10, vcc, 2, v10
	s_cselect_b64 s[40:41], -1, 0
	v_addc_co_u32_e32 v11, vcc, 0, v11, vcc
	s_andn2_b64 s[34:35], s[34:35], exec
	s_and_b64 s[38:39], s[42:43], exec
	s_orn2_b64 s[40:41], s[40:41], exec
	s_branch .LBB1117_470
.LBB1117_475:
	s_or_b64 exec, exec, s[4:5]
.LBB1117_476:
	s_or_b64 exec, exec, s[2:3]
	v_sub_u32_e32 v8, v17, v18
	v_add_u32_e32 v16, v18, v16
	v_add_u32_e32 v17, v8, v14
	s_movk_i32 s0, 0x401
	v_cmp_le_u32_e32 vcc, v16, v14
	v_cmp_gt_u32_e64 s[0:1], s0, v17
	s_or_b64 s[0:1], vcc, s[0:1]
	s_and_saveexec_b64 s[4:5], s[0:1]
	s_cbranch_execz .LBB1117_520
; %bb.477:
	v_cmp_ge_u32_e32 vcc, v16, v14
	v_cmp_lt_u32_e64 s[0:1], v16, v14
                                        ; implicit-def: $vgpr0_vgpr1
	s_and_saveexec_b64 s[2:3], s[0:1]
	s_cbranch_execz .LBB1117_479
; %bb.478:
	v_lshl_add_u32 v0, v18, 3, v15
	ds_read_b64 v[0:1], v0
.LBB1117_479:
	s_or_b64 exec, exec, s[2:3]
	s_movk_i32 s0, 0x3ff
	s_movk_i32 s2, 0x400
	v_cmp_lt_u32_e64 s[0:1], s0, v17
	v_cmp_gt_u32_e64 s[2:3], s2, v17
                                        ; implicit-def: $vgpr4_vgpr5
	s_and_saveexec_b64 s[26:27], s[2:3]
	s_cbranch_execz .LBB1117_481
; %bb.480:
	v_lshlrev_b32_e32 v2, 3, v17
	ds_read_b64 v[4:5], v2
.LBB1117_481:
	s_or_b64 exec, exec, s[26:27]
	s_or_b64 s[2:3], vcc, s[0:1]
	s_or_b64 s[2:3], s[2:3], s[24:25]
	s_xor_b64 s[26:27], s[2:3], -1
	s_xor_b64 s[2:3], vcc, -1
	s_or_b64 s[0:1], s[0:1], s[2:3]
	s_and_saveexec_b64 s[2:3], s[26:27]
	s_cbranch_execz .LBB1117_489
; %bb.482:
	s_waitcnt lgkmcnt(0)
	v_mul_lo_u32 v6, v5, s12
	v_mul_lo_u32 v7, v4, s13
	v_mad_u64_u32 v[2:3], s[26:27], v4, s12, 0
	v_add3_u32 v3, v3, v7, v6
	v_lshlrev_b64 v[2:3], 1, v[2:3]
	v_mov_b32_e32 v6, s15
	v_add_co_u32_e32 v2, vcc, s14, v2
	v_addc_co_u32_e32 v3, vcc, v6, v3, vcc
	v_mul_lo_u32 v8, v1, s12
	v_mul_lo_u32 v9, v0, s13
	v_mad_u64_u32 v[6:7], s[26:27], v0, s12, 0
	v_add3_u32 v7, v7, v9, v8
	v_lshlrev_b64 v[6:7], 1, v[6:7]
	v_mov_b32_e32 v8, s15
	v_add_co_u32_e32 v6, vcc, s14, v6
	v_addc_co_u32_e32 v7, vcc, v8, v7, vcc
	s_mov_b64 s[26:27], 0
	s_mov_b64 s[34:35], s[12:13]
                                        ; implicit-def: $sgpr28_sgpr29
                                        ; implicit-def: $sgpr30_sgpr31
                                        ; implicit-def: $sgpr36_sgpr37
	s_branch .LBB1117_484
.LBB1117_483:                           ;   in Loop: Header=BB1117_484 Depth=1
	s_or_b64 exec, exec, s[40:41]
	s_and_b64 s[38:39], exec, s[42:43]
	s_or_b64 s[26:27], s[38:39], s[26:27]
	s_andn2_b64 s[28:29], s[28:29], exec
	s_and_b64 s[38:39], s[30:31], exec
	s_or_b64 s[28:29], s[28:29], s[38:39]
	s_andn2_b64 exec, exec, s[26:27]
	s_cbranch_execz .LBB1117_488
.LBB1117_484:                           ; =>This Inner Loop Header: Depth=1
	global_load_ushort v8, v[2:3], off
	global_load_ushort v9, v[6:7], off
	s_mov_b64 s[44:45], 0
	s_mov_b64 s[38:39], -1
	s_waitcnt vmcnt(1)
	v_lshlrev_b32_e32 v8, 16, v8
	s_waitcnt vmcnt(0)
	v_lshlrev_b32_e32 v9, 16, v9
	v_cmp_nlt_f32_e32 vcc, v8, v9
	s_and_saveexec_b64 s[40:41], vcc
; %bb.485:                              ;   in Loop: Header=BB1117_484 Depth=1
	v_cmp_ngt_f32_e32 vcc, v8, v9
	s_and_b64 s[36:37], vcc, s[36:37]
	s_orn2_b64 s[38:39], s[36:37], exec
	s_and_b64 s[44:45], vcc, exec
; %bb.486:                              ;   in Loop: Header=BB1117_484 Depth=1
	s_or_b64 exec, exec, s[40:41]
	s_andn2_b64 s[30:31], s[30:31], exec
	s_and_b64 s[36:37], s[38:39], exec
	s_mov_b64 s[42:43], -1
	s_or_b64 s[30:31], s[30:31], s[36:37]
                                        ; implicit-def: $sgpr36_sgpr37
	s_and_saveexec_b64 s[40:41], s[44:45]
	s_cbranch_execz .LBB1117_483
; %bb.487:                              ;   in Loop: Header=BB1117_484 Depth=1
	s_add_u32 s34, s34, -1
	v_add_co_u32_e32 v2, vcc, 2, v2
	s_addc_u32 s35, s35, -1
	v_addc_co_u32_e32 v3, vcc, 0, v3, vcc
	s_cmp_eq_u64 s[34:35], 0
	v_add_co_u32_e32 v6, vcc, 2, v6
	s_cselect_b64 s[42:43], -1, 0
	v_addc_co_u32_e32 v7, vcc, 0, v7, vcc
	s_and_b64 s[36:37], s[38:39], exec
	s_andn2_b64 s[30:31], s[30:31], exec
	s_orn2_b64 s[42:43], s[42:43], exec
	s_branch .LBB1117_483
.LBB1117_488:
	s_or_b64 exec, exec, s[26:27]
	s_xor_b64 s[26:27], s[28:29], -1
	s_andn2_b64 s[0:1], s[0:1], exec
	s_and_b64 s[26:27], s[26:27], exec
	s_or_b64 s[0:1], s[0:1], s[26:27]
.LBB1117_489:
	s_or_b64 exec, exec, s[2:3]
	v_cndmask_b32_e64 v2, v17, v16, s[0:1]
	v_add_u32_e32 v8, -1, v14
	v_mov_b32_e32 v18, 0x3ff
	v_add_u32_e32 v6, 1, v2
	v_cndmask_b32_e64 v2, v18, v8, s[0:1]
	v_min_u32_e32 v2, v6, v2
	v_lshlrev_b32_e32 v2, 3, v2
	ds_read_b64 v[2:3], v2
	v_cndmask_b32_e64 v19, v6, v17, s[0:1]
	s_movk_i32 s7, 0x400
	v_cndmask_b32_e64 v33, v16, v6, s[0:1]
	v_cmp_gt_u32_e32 vcc, s7, v19
	s_waitcnt lgkmcnt(0)
	v_cndmask_b32_e64 v9, v3, v5, s[0:1]
	v_cndmask_b32_e64 v10, v2, v4, s[0:1]
	;; [unrolled: 1-line block ×4, first 2 shown]
	s_mov_b64 s[2:3], -1
	s_mov_b64 s[26:27], -1
	s_and_saveexec_b64 s[28:29], vcc
	s_cbranch_execz .LBB1117_499
; %bb.490:
	v_cmp_lt_u32_e64 s[26:27], v33, v14
	s_xor_b64 s[30:31], s[24:25], -1
	s_and_b64 s[34:35], s[26:27], s[30:31]
	s_and_saveexec_b64 s[30:31], s[34:35]
	s_cbranch_execz .LBB1117_498
; %bb.491:
	v_mul_lo_u32 v6, v9, s12
	v_mul_lo_u32 v7, v10, s13
	v_mad_u64_u32 v[2:3], s[34:35], v10, s12, 0
	v_add3_u32 v3, v3, v7, v6
	v_lshlrev_b64 v[2:3], 1, v[2:3]
	v_mov_b32_e32 v6, s15
	v_add_co_u32_e32 v2, vcc, s14, v2
	v_addc_co_u32_e32 v3, vcc, v6, v3, vcc
	v_mul_lo_u32 v16, v11, s12
	v_mul_lo_u32 v17, v15, s13
	v_mad_u64_u32 v[6:7], s[34:35], v15, s12, 0
	v_add3_u32 v7, v7, v17, v16
	v_lshlrev_b64 v[6:7], 1, v[6:7]
	v_mov_b32_e32 v16, s15
	v_add_co_u32_e32 v6, vcc, s14, v6
	v_addc_co_u32_e32 v7, vcc, v16, v7, vcc
	s_mov_b64 s[34:35], 0
	s_mov_b64 s[40:41], s[12:13]
                                        ; implicit-def: $sgpr36_sgpr37
                                        ; implicit-def: $sgpr38_sgpr39
                                        ; implicit-def: $sgpr42_sgpr43
	s_branch .LBB1117_493
.LBB1117_492:                           ;   in Loop: Header=BB1117_493 Depth=1
	s_or_b64 exec, exec, s[46:47]
	s_and_b64 s[44:45], exec, s[48:49]
	s_or_b64 s[34:35], s[44:45], s[34:35]
	s_andn2_b64 s[36:37], s[36:37], exec
	s_and_b64 s[44:45], s[38:39], exec
	s_or_b64 s[36:37], s[36:37], s[44:45]
	s_andn2_b64 exec, exec, s[34:35]
	s_cbranch_execz .LBB1117_497
.LBB1117_493:                           ; =>This Inner Loop Header: Depth=1
	global_load_ushort v16, v[2:3], off
	global_load_ushort v17, v[6:7], off
	s_mov_b64 s[50:51], 0
	s_mov_b64 s[44:45], -1
	s_waitcnt vmcnt(1)
	v_lshlrev_b32_e32 v16, 16, v16
	s_waitcnt vmcnt(0)
	v_lshlrev_b32_e32 v17, 16, v17
	v_cmp_nlt_f32_e32 vcc, v16, v17
	s_and_saveexec_b64 s[46:47], vcc
; %bb.494:                              ;   in Loop: Header=BB1117_493 Depth=1
	v_cmp_ngt_f32_e32 vcc, v16, v17
	s_and_b64 s[42:43], vcc, s[42:43]
	s_orn2_b64 s[44:45], s[42:43], exec
	s_and_b64 s[50:51], vcc, exec
; %bb.495:                              ;   in Loop: Header=BB1117_493 Depth=1
	s_or_b64 exec, exec, s[46:47]
	s_andn2_b64 s[38:39], s[38:39], exec
	s_and_b64 s[42:43], s[44:45], exec
	s_mov_b64 s[48:49], -1
	s_or_b64 s[38:39], s[38:39], s[42:43]
                                        ; implicit-def: $sgpr42_sgpr43
	s_and_saveexec_b64 s[46:47], s[50:51]
	s_cbranch_execz .LBB1117_492
; %bb.496:                              ;   in Loop: Header=BB1117_493 Depth=1
	s_add_u32 s40, s40, -1
	v_add_co_u32_e32 v2, vcc, 2, v2
	s_addc_u32 s41, s41, -1
	v_addc_co_u32_e32 v3, vcc, 0, v3, vcc
	s_cmp_eq_u64 s[40:41], 0
	v_add_co_u32_e32 v6, vcc, 2, v6
	s_cselect_b64 s[48:49], -1, 0
	v_addc_co_u32_e32 v7, vcc, 0, v7, vcc
	s_and_b64 s[42:43], s[44:45], exec
	s_andn2_b64 s[38:39], s[38:39], exec
	s_orn2_b64 s[48:49], s[48:49], exec
	s_branch .LBB1117_492
.LBB1117_497:
	s_or_b64 exec, exec, s[34:35]
	s_xor_b64 s[34:35], s[36:37], -1
	s_andn2_b64 s[26:27], s[26:27], exec
	s_and_b64 s[34:35], s[34:35], exec
	s_or_b64 s[26:27], s[26:27], s[34:35]
.LBB1117_498:
	s_or_b64 exec, exec, s[30:31]
	s_orn2_b64 s[26:27], s[26:27], exec
.LBB1117_499:
	s_or_b64 exec, exec, s[28:29]
	v_cndmask_b32_e64 v2, v19, v33, s[26:27]
	v_add_u32_e32 v6, 1, v2
	v_cndmask_b32_e64 v2, v18, v8, s[26:27]
	v_min_u32_e32 v2, v6, v2
	v_lshlrev_b32_e32 v2, 3, v2
	ds_read_b64 v[2:3], v2
	v_cndmask_b32_e64 v19, v6, v19, s[26:27]
	v_cndmask_b32_e64 v18, v33, v6, s[26:27]
	v_cmp_gt_u32_e32 vcc, s7, v19
	s_waitcnt lgkmcnt(0)
	v_cndmask_b32_e64 v16, v3, v9, s[26:27]
	v_cndmask_b32_e64 v17, v2, v10, s[26:27]
	;; [unrolled: 1-line block ×4, first 2 shown]
	s_and_saveexec_b64 s[28:29], vcc
	s_cbranch_execz .LBB1117_509
; %bb.500:
	v_cmp_lt_u32_e64 s[2:3], v18, v14
	s_xor_b64 s[30:31], s[24:25], -1
	s_and_b64 s[34:35], s[2:3], s[30:31]
	s_and_saveexec_b64 s[30:31], s[34:35]
	s_cbranch_execz .LBB1117_508
; %bb.501:
	v_mul_lo_u32 v6, v16, s12
	v_mul_lo_u32 v7, v17, s13
	v_mad_u64_u32 v[2:3], s[34:35], v17, s12, 0
	v_add3_u32 v3, v3, v7, v6
	v_lshlrev_b64 v[2:3], 1, v[2:3]
	v_mov_b32_e32 v6, s15
	v_add_co_u32_e32 v2, vcc, s14, v2
	v_addc_co_u32_e32 v3, vcc, v6, v3, vcc
	v_mul_lo_u32 v33, v20, s12
	v_mul_lo_u32 v34, v21, s13
	v_mad_u64_u32 v[6:7], s[34:35], v21, s12, 0
	v_add3_u32 v7, v7, v34, v33
	v_lshlrev_b64 v[6:7], 1, v[6:7]
	v_mov_b32_e32 v33, s15
	v_add_co_u32_e32 v6, vcc, s14, v6
	v_addc_co_u32_e32 v7, vcc, v33, v7, vcc
	s_mov_b64 s[34:35], 0
	s_mov_b64 s[40:41], s[12:13]
                                        ; implicit-def: $sgpr36_sgpr37
                                        ; implicit-def: $sgpr38_sgpr39
                                        ; implicit-def: $sgpr42_sgpr43
	s_branch .LBB1117_503
.LBB1117_502:                           ;   in Loop: Header=BB1117_503 Depth=1
	s_or_b64 exec, exec, s[46:47]
	s_and_b64 s[44:45], exec, s[48:49]
	s_or_b64 s[34:35], s[44:45], s[34:35]
	s_andn2_b64 s[36:37], s[36:37], exec
	s_and_b64 s[44:45], s[38:39], exec
	s_or_b64 s[36:37], s[36:37], s[44:45]
	s_andn2_b64 exec, exec, s[34:35]
	s_cbranch_execz .LBB1117_507
.LBB1117_503:                           ; =>This Inner Loop Header: Depth=1
	global_load_ushort v33, v[2:3], off
	global_load_ushort v34, v[6:7], off
	s_mov_b64 s[50:51], 0
	s_mov_b64 s[44:45], -1
	s_waitcnt vmcnt(1)
	v_lshlrev_b32_e32 v33, 16, v33
	s_waitcnt vmcnt(0)
	v_lshlrev_b32_e32 v34, 16, v34
	v_cmp_nlt_f32_e32 vcc, v33, v34
	s_and_saveexec_b64 s[46:47], vcc
; %bb.504:                              ;   in Loop: Header=BB1117_503 Depth=1
	v_cmp_ngt_f32_e32 vcc, v33, v34
	s_and_b64 s[42:43], vcc, s[42:43]
	s_orn2_b64 s[44:45], s[42:43], exec
	s_and_b64 s[50:51], vcc, exec
; %bb.505:                              ;   in Loop: Header=BB1117_503 Depth=1
	s_or_b64 exec, exec, s[46:47]
	s_andn2_b64 s[38:39], s[38:39], exec
	s_and_b64 s[42:43], s[44:45], exec
	s_mov_b64 s[48:49], -1
	s_or_b64 s[38:39], s[38:39], s[42:43]
                                        ; implicit-def: $sgpr42_sgpr43
	s_and_saveexec_b64 s[46:47], s[50:51]
	s_cbranch_execz .LBB1117_502
; %bb.506:                              ;   in Loop: Header=BB1117_503 Depth=1
	s_add_u32 s40, s40, -1
	v_add_co_u32_e32 v2, vcc, 2, v2
	s_addc_u32 s41, s41, -1
	v_addc_co_u32_e32 v3, vcc, 0, v3, vcc
	s_cmp_eq_u64 s[40:41], 0
	v_add_co_u32_e32 v6, vcc, 2, v6
	s_cselect_b64 s[48:49], -1, 0
	v_addc_co_u32_e32 v7, vcc, 0, v7, vcc
	s_and_b64 s[42:43], s[44:45], exec
	s_andn2_b64 s[38:39], s[38:39], exec
	s_orn2_b64 s[48:49], s[48:49], exec
	s_branch .LBB1117_502
.LBB1117_507:
	s_or_b64 exec, exec, s[34:35]
	s_xor_b64 s[34:35], s[36:37], -1
	s_andn2_b64 s[2:3], s[2:3], exec
	s_and_b64 s[34:35], s[34:35], exec
	s_or_b64 s[2:3], s[2:3], s[34:35]
.LBB1117_508:
	s_or_b64 exec, exec, s[30:31]
	s_orn2_b64 s[2:3], s[2:3], exec
.LBB1117_509:
	s_or_b64 exec, exec, s[28:29]
	v_cndmask_b32_e64 v6, v19, v18, s[2:3]
	v_cndmask_b32_e64 v2, v10, v15, s[26:27]
	v_add_u32_e32 v10, 1, v6
	v_mov_b32_e32 v6, 0x3ff
	v_cndmask_b32_e64 v6, v6, v8, s[2:3]
	v_min_u32_e32 v6, v10, v6
	v_lshlrev_b32_e32 v6, 3, v6
	v_cndmask_b32_e64 v3, v9, v11, s[26:27]
	ds_read_b64 v[8:9], v6
	v_cndmask_b32_e64 v1, v5, v1, s[0:1]
	v_cndmask_b32_e64 v0, v4, v0, s[0:1]
	;; [unrolled: 1-line block ×3, first 2 shown]
	s_movk_i32 s0, 0x400
	v_cndmask_b32_e64 v5, v16, v20, s[2:3]
	v_cndmask_b32_e64 v4, v17, v21, s[2:3]
	s_waitcnt lgkmcnt(0)
	v_cndmask_b32_e64 v7, v20, v9, s[2:3]
	v_cndmask_b32_e64 v6, v21, v8, s[2:3]
	v_cmp_gt_u32_e32 vcc, s0, v11
	s_and_saveexec_b64 s[0:1], vcc
	s_cbranch_execz .LBB1117_519
; %bb.510:
	v_cndmask_b32_e64 v15, v9, v16, s[2:3]
	v_cndmask_b32_e64 v16, v8, v17, s[2:3]
	;; [unrolled: 1-line block ×3, first 2 shown]
	v_cmp_ge_u32_e32 vcc, v8, v14
	s_or_b64 s[2:3], vcc, s[24:25]
	v_cndmask_b32_e32 v9, v7, v15, vcc
	s_xor_b64 s[24:25], s[2:3], -1
	v_cndmask_b32_e32 v8, v6, v16, vcc
	s_and_saveexec_b64 s[2:3], s[24:25]
	s_cbranch_execz .LBB1117_518
; %bb.511:
	v_mul_lo_u32 v10, v15, s12
	v_mul_lo_u32 v11, v16, s13
	v_mad_u64_u32 v[8:9], s[24:25], v16, s12, 0
	v_add3_u32 v9, v9, v11, v10
	v_lshlrev_b64 v[8:9], 1, v[8:9]
	v_mov_b32_e32 v10, s15
	v_add_co_u32_e32 v8, vcc, s14, v8
	v_addc_co_u32_e32 v9, vcc, v10, v9, vcc
	v_mul_lo_u32 v14, v7, s12
	v_mul_lo_u32 v17, v6, s13
	v_mad_u64_u32 v[10:11], s[24:25], v6, s12, 0
	v_add3_u32 v11, v11, v17, v14
	v_lshlrev_b64 v[10:11], 1, v[10:11]
	v_mov_b32_e32 v14, s15
	v_add_co_u32_e32 v10, vcc, s14, v10
	v_addc_co_u32_e32 v11, vcc, v14, v11, vcc
	s_mov_b64 s[24:25], 0
	s_mov_b64 s[30:31], s[12:13]
                                        ; implicit-def: $sgpr26_sgpr27
                                        ; implicit-def: $sgpr28_sgpr29
                                        ; implicit-def: $sgpr34_sgpr35
	s_branch .LBB1117_513
.LBB1117_512:                           ;   in Loop: Header=BB1117_513 Depth=1
	s_or_b64 exec, exec, s[38:39]
	s_and_b64 s[36:37], exec, s[40:41]
	s_or_b64 s[24:25], s[36:37], s[24:25]
	s_andn2_b64 s[26:27], s[26:27], exec
	s_and_b64 s[36:37], s[28:29], exec
	s_or_b64 s[26:27], s[26:27], s[36:37]
	s_andn2_b64 exec, exec, s[24:25]
	s_cbranch_execz .LBB1117_517
.LBB1117_513:                           ; =>This Inner Loop Header: Depth=1
	global_load_ushort v14, v[8:9], off
	global_load_ushort v17, v[10:11], off
	s_mov_b64 s[42:43], 0
	s_mov_b64 s[36:37], -1
	s_waitcnt vmcnt(1)
	v_lshlrev_b32_e32 v14, 16, v14
	s_waitcnt vmcnt(0)
	v_lshlrev_b32_e32 v17, 16, v17
	v_cmp_nlt_f32_e32 vcc, v14, v17
	s_and_saveexec_b64 s[38:39], vcc
; %bb.514:                              ;   in Loop: Header=BB1117_513 Depth=1
	v_cmp_ngt_f32_e32 vcc, v14, v17
	s_and_b64 s[34:35], vcc, s[34:35]
	s_orn2_b64 s[36:37], s[34:35], exec
	s_and_b64 s[42:43], vcc, exec
; %bb.515:                              ;   in Loop: Header=BB1117_513 Depth=1
	s_or_b64 exec, exec, s[38:39]
	s_andn2_b64 s[28:29], s[28:29], exec
	s_and_b64 s[34:35], s[36:37], exec
	s_mov_b64 s[40:41], -1
	s_or_b64 s[28:29], s[28:29], s[34:35]
                                        ; implicit-def: $sgpr34_sgpr35
	s_and_saveexec_b64 s[38:39], s[42:43]
	s_cbranch_execz .LBB1117_512
; %bb.516:                              ;   in Loop: Header=BB1117_513 Depth=1
	s_add_u32 s30, s30, -1
	v_add_co_u32_e32 v8, vcc, 2, v8
	s_addc_u32 s31, s31, -1
	v_addc_co_u32_e32 v9, vcc, 0, v9, vcc
	s_cmp_eq_u64 s[30:31], 0
	v_add_co_u32_e32 v10, vcc, 2, v10
	s_cselect_b64 s[40:41], -1, 0
	v_addc_co_u32_e32 v11, vcc, 0, v11, vcc
	s_and_b64 s[34:35], s[36:37], exec
	s_andn2_b64 s[28:29], s[28:29], exec
	s_orn2_b64 s[40:41], s[40:41], exec
	s_branch .LBB1117_512
.LBB1117_517:
	s_or_b64 exec, exec, s[24:25]
	v_cndmask_b32_e64 v9, v7, v15, s[26:27]
	v_cndmask_b32_e64 v8, v6, v16, s[26:27]
.LBB1117_518:
	s_or_b64 exec, exec, s[2:3]
	v_pk_mov_b32 v[6:7], v[8:9], v[8:9] op_sel:[0,1]
.LBB1117_519:
	s_or_b64 exec, exec, s[0:1]
.LBB1117_520:
	s_or_b64 exec, exec, s[4:5]
	s_barrier
	s_barrier
	ds_write2_b64 v29, v[0:1], v[2:3] offset1:1
	ds_write2_b64 v29, v[4:5], v[6:7] offset0:2 offset1:3
	s_waitcnt lgkmcnt(0)
	s_barrier
	ds_read_b64 v[2:3], v28
	ds_read_b64 v[4:5], v30 offset:2048
	ds_read_b64 v[6:7], v31 offset:4096
	;; [unrolled: 1-line block ×3, first 2 shown]
	v_mov_b32_e32 v8, s17
	v_add_co_u32_e32 v9, vcc, s16, v22
	v_addc_co_u32_e32 v8, vcc, 0, v8, vcc
	s_waitcnt lgkmcnt(3)
	global_store_dwordx2 v22, v[2:3], s[16:17]
	s_waitcnt lgkmcnt(2)
	global_store_dwordx2 v22, v[4:5], s[16:17] offset:2048
	v_add_co_u32_e32 v2, vcc, 0x1000, v9
	v_addc_co_u32_e32 v3, vcc, 0, v8, vcc
	s_waitcnt lgkmcnt(1)
	global_store_dwordx2 v[2:3], v[6:7], off
	s_mov_b64 s[24:25], -1
	s_branch .LBB1117_877
.LBB1117_521:
	s_lshl_b64 s[0:1], s[20:21], 10
	s_sub_i32 s33, s22, s0
	v_cmp_gt_u32_e64 s[0:1], s33, v12
                                        ; implicit-def: $vgpr0_vgpr1_vgpr2_vgpr3_vgpr4_vgpr5_vgpr6_vgpr7
	s_and_saveexec_b64 s[2:3], s[0:1]
	s_cbranch_execz .LBB1117_523
; %bb.522:
	s_waitcnt lgkmcnt(0)
	global_load_dwordx2 v[0:1], v22, s[8:9]
.LBB1117_523:
	s_or_b64 exec, exec, s[2:3]
	v_add_u32_e32 v8, 0x100, v12
	v_cmp_gt_u32_e64 s[2:3], s33, v8
	s_and_saveexec_b64 s[4:5], s[2:3]
	s_cbranch_execz .LBB1117_525
; %bb.524:
	global_load_dwordx2 v[2:3], v22, s[8:9] offset:2048
.LBB1117_525:
	s_or_b64 exec, exec, s[4:5]
	v_add_u32_e32 v9, 0x200, v12
	v_cmp_gt_u32_e64 s[4:5], s33, v9
	s_and_saveexec_b64 s[20:21], s[4:5]
	s_cbranch_execz .LBB1117_527
; %bb.526:
	v_lshlrev_b32_e32 v4, 3, v9
	global_load_dwordx2 v[4:5], v4, s[8:9]
.LBB1117_527:
	s_or_b64 exec, exec, s[20:21]
	v_add_u32_e32 v10, 0x300, v12
	v_cmp_gt_u32_e64 s[24:25], s33, v10
	s_and_saveexec_b64 s[20:21], s[24:25]
	s_cbranch_execz .LBB1117_529
; %bb.528:
	v_lshlrev_b32_e32 v6, 3, v10
	global_load_dwordx2 v[6:7], v6, s[8:9]
.LBB1117_529:
	s_or_b64 exec, exec, s[20:21]
	v_and_b32_e32 v11, 0xf8, v27
	v_add_u32_e32 v14, v11, v22
	s_waitcnt vmcnt(0) lgkmcnt(0)
	ds_write_b64 v14, v[0:1]
	v_lshrrev_b32_e32 v0, 2, v8
	v_and_b32_e32 v0, 0x1f8, v0
	v_add_u32_e32 v13, v0, v22
	v_lshrrev_b32_e32 v0, 2, v9
	v_and_b32_e32 v0, 0x1f8, v0
	v_add_u32_e32 v15, v0, v22
	;; [unrolled: 3-line block ×3, first 2 shown]
	v_add_lshl_u32 v17, v26, v23, 3
	ds_write_b64 v13, v[2:3] offset:2048
	ds_write_b64 v15, v[4:5] offset:4096
	;; [unrolled: 1-line block ×3, first 2 shown]
	s_waitcnt lgkmcnt(0)
	s_barrier
	ds_read2_b64 v[0:3], v17 offset1:1
	ds_read2_b64 v[4:7], v17 offset0:2 offset1:3
	s_waitcnt lgkmcnt(0)
	s_barrier
	s_load_dword s7, s[10:11], 0xc
	v_mov_b32_e32 v8, 0
	s_mov_b64 s[20:21], 0
	s_waitcnt lgkmcnt(0)
	s_lshr_b32 s8, s7, 16
	s_cmp_lt_u32 s6, s18
	s_cselect_b32 s6, 12, 18
	s_add_u32 s6, s10, s6
	s_addc_u32 s7, s11, 0
	global_load_ushort v8, v8, s[6:7]
	v_mad_u32_u24 v9, v25, s8, v24
	v_cmp_gt_i64_e64 s[6:7], s[12:13], 0
	v_cmp_lt_i64_e64 s[18:19], s[12:13], 1
	s_waitcnt vmcnt(0)
	v_mul_lo_u32 v8, v9, v8
	v_add_lshl_u32 v18, v8, v12, 2
	v_sub_u32_e64 v19, s33, v18 clamp
	v_cmp_lt_u32_e32 vcc, 1, v19
	s_and_b64 s[8:9], vcc, s[6:7]
	s_and_saveexec_b64 s[10:11], s[8:9]
	s_cbranch_execz .LBB1117_539
; %bb.530:
	v_mul_lo_u32 v10, v3, s12
	v_mul_lo_u32 v11, v2, s13
	v_mad_u64_u32 v[8:9], s[22:23], v2, s12, 0
	v_add3_u32 v9, v9, v11, v10
	v_lshlrev_b64 v[8:9], 1, v[8:9]
	v_mov_b32_e32 v10, s15
	v_add_co_u32_e32 v8, vcc, s14, v8
	v_addc_co_u32_e32 v9, vcc, v10, v9, vcc
	v_mul_lo_u32 v20, v1, s12
	v_mul_lo_u32 v21, v0, s13
	v_mad_u64_u32 v[10:11], s[22:23], v0, s12, 0
	v_add3_u32 v11, v11, v21, v20
	v_lshlrev_b64 v[10:11], 1, v[10:11]
	v_mov_b32_e32 v20, s15
	v_add_co_u32_e32 v10, vcc, s14, v10
	v_addc_co_u32_e32 v11, vcc, v20, v11, vcc
	s_mov_b64 s[34:35], s[12:13]
                                        ; implicit-def: $sgpr22_sgpr23
                                        ; implicit-def: $sgpr26_sgpr27
                                        ; implicit-def: $sgpr28_sgpr29
                                        ; implicit-def: $sgpr30_sgpr31
                                        ; implicit-def: $sgpr36_sgpr37
	s_branch .LBB1117_532
.LBB1117_531:                           ;   in Loop: Header=BB1117_532 Depth=1
	s_or_b64 exec, exec, s[38:39]
	s_and_b64 s[38:39], exec, s[40:41]
	s_or_b64 s[20:21], s[38:39], s[20:21]
	s_andn2_b64 s[26:27], s[26:27], exec
	s_and_b64 s[38:39], s[28:29], exec
	s_or_b64 s[26:27], s[26:27], s[38:39]
	s_andn2_b64 s[22:23], s[22:23], exec
	s_and_b64 s[38:39], s[30:31], exec
	s_or_b64 s[22:23], s[22:23], s[38:39]
	s_andn2_b64 exec, exec, s[20:21]
	s_cbranch_execz .LBB1117_536
.LBB1117_532:                           ; =>This Inner Loop Header: Depth=1
	global_load_ushort v20, v[8:9], off
	global_load_ushort v21, v[10:11], off
	s_mov_b64 s[42:43], 0
	s_or_b64 s[30:31], s[30:31], exec
	s_waitcnt vmcnt(1)
	v_lshlrev_b32_e32 v20, 16, v20
	s_waitcnt vmcnt(0)
	v_lshlrev_b32_e32 v21, 16, v21
	v_cmp_nlt_f32_e32 vcc, v20, v21
	s_and_saveexec_b64 s[38:39], vcc
; %bb.533:                              ;   in Loop: Header=BB1117_532 Depth=1
	v_cmp_ngt_f32_e32 vcc, v20, v21
	s_and_b64 s[36:37], vcc, s[36:37]
	s_andn2_b64 s[30:31], s[30:31], exec
	s_and_b64 s[36:37], s[36:37], exec
	s_or_b64 s[30:31], s[30:31], s[36:37]
	s_and_b64 s[42:43], vcc, exec
; %bb.534:                              ;   in Loop: Header=BB1117_532 Depth=1
	s_or_b64 exec, exec, s[38:39]
	s_mov_b64 s[40:41], -1
	s_or_b64 s[28:29], s[28:29], exec
                                        ; implicit-def: $sgpr36_sgpr37
	s_and_saveexec_b64 s[38:39], s[42:43]
	s_cbranch_execz .LBB1117_531
; %bb.535:                              ;   in Loop: Header=BB1117_532 Depth=1
	s_add_u32 s34, s34, -1
	v_add_co_u32_e32 v8, vcc, 2, v8
	s_addc_u32 s35, s35, -1
	v_addc_co_u32_e32 v9, vcc, 0, v9, vcc
	s_cmp_eq_u64 s[34:35], 0
	v_add_co_u32_e32 v10, vcc, 2, v10
	s_cselect_b64 s[40:41], -1, 0
	v_addc_co_u32_e32 v11, vcc, 0, v11, vcc
	s_and_b64 s[36:37], s[30:31], exec
	s_andn2_b64 s[28:29], s[28:29], exec
	s_orn2_b64 s[40:41], s[40:41], exec
	s_branch .LBB1117_531
.LBB1117_536:
	s_or_b64 exec, exec, s[20:21]
	s_and_saveexec_b64 s[20:21], s[26:27]
	s_xor_b64 s[20:21], exec, s[20:21]
	s_cbranch_execz .LBB1117_538
; %bb.537:
	v_cndmask_b32_e64 v25, v1, v3, s[22:23]
	v_cndmask_b32_e64 v24, v0, v2, s[22:23]
	;; [unrolled: 1-line block ×4, first 2 shown]
	v_mov_b32_e32 v28, v4
	v_mov_b32_e32 v29, v5
	;; [unrolled: 1-line block ×4, first 2 shown]
	v_pk_mov_b32 v[0:1], v[24:25], v[24:25] op_sel:[0,1]
	v_pk_mov_b32 v[2:3], v[26:27], v[26:27] op_sel:[0,1]
	;; [unrolled: 1-line block ×4, first 2 shown]
.LBB1117_538:
	s_or_b64 exec, exec, s[20:21]
.LBB1117_539:
	s_or_b64 exec, exec, s[10:11]
	v_cmp_lt_u32_e32 vcc, 3, v19
	s_xor_b64 s[20:21], s[18:19], -1
	s_and_b64 s[10:11], vcc, s[20:21]
	s_and_saveexec_b64 s[22:23], s[10:11]
	s_cbranch_execz .LBB1117_549
; %bb.540:
	v_mul_lo_u32 v10, v7, s12
	v_mul_lo_u32 v11, v6, s13
	v_mad_u64_u32 v[8:9], s[26:27], v6, s12, 0
	v_add3_u32 v9, v9, v11, v10
	v_lshlrev_b64 v[8:9], 1, v[8:9]
	v_mov_b32_e32 v10, s15
	v_add_co_u32_e32 v8, vcc, s14, v8
	v_addc_co_u32_e32 v9, vcc, v10, v9, vcc
	v_mul_lo_u32 v20, v5, s12
	v_mul_lo_u32 v21, v4, s13
	v_mad_u64_u32 v[10:11], s[26:27], v4, s12, 0
	v_add3_u32 v11, v11, v21, v20
	v_lshlrev_b64 v[10:11], 1, v[10:11]
	v_mov_b32_e32 v20, s15
	v_add_co_u32_e32 v10, vcc, s14, v10
	v_addc_co_u32_e32 v11, vcc, v20, v11, vcc
	s_mov_b64 s[28:29], 0
	s_mov_b64 s[38:39], s[12:13]
                                        ; implicit-def: $sgpr26_sgpr27
                                        ; implicit-def: $sgpr30_sgpr31
                                        ; implicit-def: $sgpr34_sgpr35
                                        ; implicit-def: $sgpr36_sgpr37
                                        ; implicit-def: $sgpr40_sgpr41
	s_branch .LBB1117_542
.LBB1117_541:                           ;   in Loop: Header=BB1117_542 Depth=1
	s_or_b64 exec, exec, s[42:43]
	s_and_b64 s[42:43], exec, s[44:45]
	s_or_b64 s[28:29], s[42:43], s[28:29]
	s_andn2_b64 s[30:31], s[30:31], exec
	s_and_b64 s[42:43], s[34:35], exec
	s_or_b64 s[30:31], s[30:31], s[42:43]
	s_andn2_b64 s[26:27], s[26:27], exec
	s_and_b64 s[42:43], s[36:37], exec
	s_or_b64 s[26:27], s[26:27], s[42:43]
	s_andn2_b64 exec, exec, s[28:29]
	s_cbranch_execz .LBB1117_546
.LBB1117_542:                           ; =>This Inner Loop Header: Depth=1
	global_load_ushort v20, v[8:9], off
	global_load_ushort v21, v[10:11], off
	s_or_b64 s[36:37], s[36:37], exec
	s_mov_b64 s[46:47], 0
	s_waitcnt vmcnt(1)
	v_lshlrev_b32_e32 v20, 16, v20
	s_waitcnt vmcnt(0)
	v_lshlrev_b32_e32 v21, 16, v21
	v_cmp_nlt_f32_e32 vcc, v20, v21
	s_and_saveexec_b64 s[42:43], vcc
; %bb.543:                              ;   in Loop: Header=BB1117_542 Depth=1
	v_cmp_ngt_f32_e32 vcc, v20, v21
	s_and_b64 s[40:41], vcc, s[40:41]
	s_andn2_b64 s[36:37], s[36:37], exec
	s_and_b64 s[40:41], s[40:41], exec
	s_or_b64 s[36:37], s[36:37], s[40:41]
	s_and_b64 s[46:47], vcc, exec
; %bb.544:                              ;   in Loop: Header=BB1117_542 Depth=1
	s_or_b64 exec, exec, s[42:43]
	s_mov_b64 s[44:45], -1
	s_or_b64 s[34:35], s[34:35], exec
                                        ; implicit-def: $sgpr40_sgpr41
	s_and_saveexec_b64 s[42:43], s[46:47]
	s_cbranch_execz .LBB1117_541
; %bb.545:                              ;   in Loop: Header=BB1117_542 Depth=1
	s_add_u32 s38, s38, -1
	v_add_co_u32_e32 v8, vcc, 2, v8
	s_addc_u32 s39, s39, -1
	v_addc_co_u32_e32 v9, vcc, 0, v9, vcc
	s_cmp_eq_u64 s[38:39], 0
	v_add_co_u32_e32 v10, vcc, 2, v10
	s_cselect_b64 s[44:45], -1, 0
	v_addc_co_u32_e32 v11, vcc, 0, v11, vcc
	s_and_b64 s[40:41], s[36:37], exec
	s_andn2_b64 s[34:35], s[34:35], exec
	s_orn2_b64 s[44:45], s[44:45], exec
	s_branch .LBB1117_541
.LBB1117_546:
	s_or_b64 exec, exec, s[28:29]
	s_and_saveexec_b64 s[28:29], s[30:31]
	s_xor_b64 s[28:29], exec, s[28:29]
; %bb.547:
	v_cndmask_b32_e64 v8, v7, v5, s[26:27]
	v_cndmask_b32_e64 v9, v6, v4, s[26:27]
	;; [unrolled: 1-line block ×4, first 2 shown]
	v_mov_b32_e32 v6, v9
	v_mov_b32_e32 v7, v8
; %bb.548:
	s_or_b64 exec, exec, s[28:29]
.LBB1117_549:
	s_or_b64 exec, exec, s[22:23]
	v_cmp_lt_u32_e32 vcc, 2, v19
	s_and_b64 s[22:23], vcc, s[20:21]
	s_and_saveexec_b64 s[26:27], s[22:23]
	s_xor_b64 s[26:27], exec, s[26:27]
	s_cbranch_execnz .LBB1117_553
; %bb.550:
	s_or_b64 exec, exec, s[26:27]
	s_and_saveexec_b64 s[26:27], s[8:9]
	s_cbranch_execnz .LBB1117_562
.LBB1117_551:
	s_or_b64 exec, exec, s[26:27]
	s_and_saveexec_b64 s[8:9], s[10:11]
	s_cbranch_execnz .LBB1117_571
.LBB1117_552:
	s_or_b64 exec, exec, s[8:9]
	s_and_saveexec_b64 s[8:9], s[22:23]
	s_cbranch_execnz .LBB1117_580
	s_branch .LBB1117_589
.LBB1117_553:
	v_mul_lo_u32 v10, v5, s12
	v_mul_lo_u32 v11, v4, s13
	v_mad_u64_u32 v[8:9], s[28:29], v4, s12, 0
	v_add3_u32 v9, v9, v11, v10
	v_lshlrev_b64 v[8:9], 1, v[8:9]
	v_mov_b32_e32 v10, s15
	v_add_co_u32_e32 v8, vcc, s14, v8
	v_addc_co_u32_e32 v9, vcc, v10, v9, vcc
	v_mul_lo_u32 v19, v3, s12
	v_mul_lo_u32 v20, v2, s13
	v_mad_u64_u32 v[10:11], s[28:29], v2, s12, 0
	v_add3_u32 v11, v11, v20, v19
	v_lshlrev_b64 v[10:11], 1, v[10:11]
	v_mov_b32_e32 v19, s15
	v_add_co_u32_e32 v10, vcc, s14, v10
	v_addc_co_u32_e32 v11, vcc, v19, v11, vcc
	s_mov_b64 s[30:31], 0
	s_mov_b64 s[40:41], s[12:13]
                                        ; implicit-def: $sgpr28_sgpr29
                                        ; implicit-def: $sgpr34_sgpr35
                                        ; implicit-def: $sgpr36_sgpr37
                                        ; implicit-def: $sgpr38_sgpr39
                                        ; implicit-def: $sgpr42_sgpr43
	s_branch .LBB1117_555
.LBB1117_554:                           ;   in Loop: Header=BB1117_555 Depth=1
	s_or_b64 exec, exec, s[44:45]
	s_and_b64 s[44:45], exec, s[46:47]
	s_or_b64 s[30:31], s[44:45], s[30:31]
	s_andn2_b64 s[34:35], s[34:35], exec
	s_and_b64 s[44:45], s[36:37], exec
	s_or_b64 s[34:35], s[34:35], s[44:45]
	s_andn2_b64 s[28:29], s[28:29], exec
	s_and_b64 s[44:45], s[38:39], exec
	s_or_b64 s[28:29], s[28:29], s[44:45]
	s_andn2_b64 exec, exec, s[30:31]
	s_cbranch_execz .LBB1117_559
.LBB1117_555:                           ; =>This Inner Loop Header: Depth=1
	global_load_ushort v19, v[8:9], off
	global_load_ushort v20, v[10:11], off
	s_or_b64 s[38:39], s[38:39], exec
	s_mov_b64 s[48:49], 0
	s_waitcnt vmcnt(1)
	v_lshlrev_b32_e32 v19, 16, v19
	s_waitcnt vmcnt(0)
	v_lshlrev_b32_e32 v20, 16, v20
	v_cmp_nlt_f32_e32 vcc, v19, v20
	s_and_saveexec_b64 s[44:45], vcc
; %bb.556:                              ;   in Loop: Header=BB1117_555 Depth=1
	v_cmp_ngt_f32_e32 vcc, v19, v20
	s_and_b64 s[42:43], vcc, s[42:43]
	s_andn2_b64 s[38:39], s[38:39], exec
	s_and_b64 s[42:43], s[42:43], exec
	s_or_b64 s[38:39], s[38:39], s[42:43]
	s_and_b64 s[48:49], vcc, exec
; %bb.557:                              ;   in Loop: Header=BB1117_555 Depth=1
	s_or_b64 exec, exec, s[44:45]
	s_mov_b64 s[46:47], -1
	s_or_b64 s[36:37], s[36:37], exec
                                        ; implicit-def: $sgpr42_sgpr43
	s_and_saveexec_b64 s[44:45], s[48:49]
	s_cbranch_execz .LBB1117_554
; %bb.558:                              ;   in Loop: Header=BB1117_555 Depth=1
	s_add_u32 s40, s40, -1
	v_add_co_u32_e32 v8, vcc, 2, v8
	s_addc_u32 s41, s41, -1
	v_addc_co_u32_e32 v9, vcc, 0, v9, vcc
	s_cmp_eq_u64 s[40:41], 0
	v_add_co_u32_e32 v10, vcc, 2, v10
	s_cselect_b64 s[46:47], -1, 0
	v_addc_co_u32_e32 v11, vcc, 0, v11, vcc
	s_and_b64 s[42:43], s[38:39], exec
	s_andn2_b64 s[36:37], s[36:37], exec
	s_orn2_b64 s[46:47], s[46:47], exec
	s_branch .LBB1117_554
.LBB1117_559:
	s_or_b64 exec, exec, s[30:31]
	s_and_saveexec_b64 s[30:31], s[34:35]
	s_xor_b64 s[30:31], exec, s[30:31]
; %bb.560:
	v_cndmask_b32_e64 v8, v5, v3, s[28:29]
	v_cndmask_b32_e64 v9, v4, v2, s[28:29]
	;; [unrolled: 1-line block ×4, first 2 shown]
	v_mov_b32_e32 v4, v9
	v_mov_b32_e32 v5, v8
; %bb.561:
	s_or_b64 exec, exec, s[30:31]
	s_or_b64 exec, exec, s[26:27]
	s_and_saveexec_b64 s[26:27], s[8:9]
	s_cbranch_execz .LBB1117_551
.LBB1117_562:
	v_mul_lo_u32 v10, v3, s12
	v_mul_lo_u32 v11, v2, s13
	v_mad_u64_u32 v[8:9], s[8:9], v2, s12, 0
	v_add3_u32 v9, v9, v11, v10
	v_lshlrev_b64 v[8:9], 1, v[8:9]
	v_mov_b32_e32 v10, s15
	v_add_co_u32_e32 v8, vcc, s14, v8
	v_addc_co_u32_e32 v9, vcc, v10, v9, vcc
	v_mul_lo_u32 v19, v1, s12
	v_mul_lo_u32 v20, v0, s13
	v_mad_u64_u32 v[10:11], s[8:9], v0, s12, 0
	v_add3_u32 v11, v11, v20, v19
	v_lshlrev_b64 v[10:11], 1, v[10:11]
	v_mov_b32_e32 v19, s15
	v_add_co_u32_e32 v10, vcc, s14, v10
	v_addc_co_u32_e32 v11, vcc, v19, v11, vcc
	s_mov_b64 s[28:29], 0
	s_mov_b64 s[38:39], s[12:13]
                                        ; implicit-def: $sgpr8_sgpr9
                                        ; implicit-def: $sgpr30_sgpr31
                                        ; implicit-def: $sgpr34_sgpr35
                                        ; implicit-def: $sgpr36_sgpr37
                                        ; implicit-def: $sgpr40_sgpr41
	s_branch .LBB1117_564
.LBB1117_563:                           ;   in Loop: Header=BB1117_564 Depth=1
	s_or_b64 exec, exec, s[42:43]
	s_and_b64 s[42:43], exec, s[44:45]
	s_or_b64 s[28:29], s[42:43], s[28:29]
	s_andn2_b64 s[30:31], s[30:31], exec
	s_and_b64 s[42:43], s[34:35], exec
	s_or_b64 s[30:31], s[30:31], s[42:43]
	s_andn2_b64 s[8:9], s[8:9], exec
	s_and_b64 s[42:43], s[36:37], exec
	s_or_b64 s[8:9], s[8:9], s[42:43]
	s_andn2_b64 exec, exec, s[28:29]
	s_cbranch_execz .LBB1117_568
.LBB1117_564:                           ; =>This Inner Loop Header: Depth=1
	global_load_ushort v19, v[8:9], off
	global_load_ushort v20, v[10:11], off
	s_or_b64 s[36:37], s[36:37], exec
	s_mov_b64 s[46:47], 0
	s_waitcnt vmcnt(1)
	v_lshlrev_b32_e32 v19, 16, v19
	s_waitcnt vmcnt(0)
	v_lshlrev_b32_e32 v20, 16, v20
	v_cmp_nlt_f32_e32 vcc, v19, v20
	s_and_saveexec_b64 s[42:43], vcc
; %bb.565:                              ;   in Loop: Header=BB1117_564 Depth=1
	v_cmp_ngt_f32_e32 vcc, v19, v20
	s_and_b64 s[40:41], vcc, s[40:41]
	s_andn2_b64 s[36:37], s[36:37], exec
	s_and_b64 s[40:41], s[40:41], exec
	s_or_b64 s[36:37], s[36:37], s[40:41]
	s_and_b64 s[46:47], vcc, exec
; %bb.566:                              ;   in Loop: Header=BB1117_564 Depth=1
	s_or_b64 exec, exec, s[42:43]
	s_mov_b64 s[44:45], -1
	s_or_b64 s[34:35], s[34:35], exec
                                        ; implicit-def: $sgpr40_sgpr41
	s_and_saveexec_b64 s[42:43], s[46:47]
	s_cbranch_execz .LBB1117_563
; %bb.567:                              ;   in Loop: Header=BB1117_564 Depth=1
	s_add_u32 s38, s38, -1
	v_add_co_u32_e32 v8, vcc, 2, v8
	s_addc_u32 s39, s39, -1
	v_addc_co_u32_e32 v9, vcc, 0, v9, vcc
	s_cmp_eq_u64 s[38:39], 0
	v_add_co_u32_e32 v10, vcc, 2, v10
	s_cselect_b64 s[44:45], -1, 0
	v_addc_co_u32_e32 v11, vcc, 0, v11, vcc
	s_and_b64 s[40:41], s[36:37], exec
	s_andn2_b64 s[34:35], s[34:35], exec
	s_orn2_b64 s[44:45], s[44:45], exec
	s_branch .LBB1117_563
.LBB1117_568:
	s_or_b64 exec, exec, s[28:29]
	s_and_saveexec_b64 s[28:29], s[30:31]
	s_xor_b64 s[28:29], exec, s[28:29]
	s_cbranch_execz .LBB1117_570
; %bb.569:
	v_cndmask_b32_e64 v25, v1, v3, s[8:9]
	v_cndmask_b32_e64 v24, v0, v2, s[8:9]
	;; [unrolled: 1-line block ×4, first 2 shown]
	v_mov_b32_e32 v28, v4
	v_mov_b32_e32 v29, v5
	;; [unrolled: 1-line block ×4, first 2 shown]
	v_pk_mov_b32 v[0:1], v[24:25], v[24:25] op_sel:[0,1]
	v_pk_mov_b32 v[2:3], v[26:27], v[26:27] op_sel:[0,1]
	;; [unrolled: 1-line block ×4, first 2 shown]
.LBB1117_570:
	s_or_b64 exec, exec, s[28:29]
	s_or_b64 exec, exec, s[26:27]
	s_and_saveexec_b64 s[8:9], s[10:11]
	s_cbranch_execz .LBB1117_552
.LBB1117_571:
	v_mul_lo_u32 v10, v7, s12
	v_mul_lo_u32 v11, v6, s13
	v_mad_u64_u32 v[8:9], s[10:11], v6, s12, 0
	v_add3_u32 v9, v9, v11, v10
	v_lshlrev_b64 v[8:9], 1, v[8:9]
	v_mov_b32_e32 v10, s15
	v_add_co_u32_e32 v8, vcc, s14, v8
	v_addc_co_u32_e32 v9, vcc, v10, v9, vcc
	v_mul_lo_u32 v19, v5, s12
	v_mul_lo_u32 v20, v4, s13
	v_mad_u64_u32 v[10:11], s[10:11], v4, s12, 0
	v_add3_u32 v11, v11, v20, v19
	v_lshlrev_b64 v[10:11], 1, v[10:11]
	v_mov_b32_e32 v19, s15
	v_add_co_u32_e32 v10, vcc, s14, v10
	v_addc_co_u32_e32 v11, vcc, v19, v11, vcc
	s_mov_b64 s[26:27], 0
	s_mov_b64 s[36:37], s[12:13]
                                        ; implicit-def: $sgpr10_sgpr11
                                        ; implicit-def: $sgpr28_sgpr29
                                        ; implicit-def: $sgpr30_sgpr31
                                        ; implicit-def: $sgpr34_sgpr35
                                        ; implicit-def: $sgpr38_sgpr39
	s_branch .LBB1117_573
.LBB1117_572:                           ;   in Loop: Header=BB1117_573 Depth=1
	s_or_b64 exec, exec, s[40:41]
	s_and_b64 s[40:41], exec, s[42:43]
	s_or_b64 s[26:27], s[40:41], s[26:27]
	s_andn2_b64 s[28:29], s[28:29], exec
	s_and_b64 s[40:41], s[30:31], exec
	s_or_b64 s[28:29], s[28:29], s[40:41]
	s_andn2_b64 s[10:11], s[10:11], exec
	s_and_b64 s[40:41], s[34:35], exec
	s_or_b64 s[10:11], s[10:11], s[40:41]
	s_andn2_b64 exec, exec, s[26:27]
	s_cbranch_execz .LBB1117_577
.LBB1117_573:                           ; =>This Inner Loop Header: Depth=1
	global_load_ushort v19, v[8:9], off
	global_load_ushort v20, v[10:11], off
	s_or_b64 s[34:35], s[34:35], exec
	s_mov_b64 s[44:45], 0
	s_waitcnt vmcnt(1)
	v_lshlrev_b32_e32 v19, 16, v19
	s_waitcnt vmcnt(0)
	v_lshlrev_b32_e32 v20, 16, v20
	v_cmp_nlt_f32_e32 vcc, v19, v20
	s_and_saveexec_b64 s[40:41], vcc
; %bb.574:                              ;   in Loop: Header=BB1117_573 Depth=1
	v_cmp_ngt_f32_e32 vcc, v19, v20
	s_and_b64 s[38:39], vcc, s[38:39]
	s_andn2_b64 s[34:35], s[34:35], exec
	s_and_b64 s[38:39], s[38:39], exec
	s_or_b64 s[34:35], s[34:35], s[38:39]
	s_and_b64 s[44:45], vcc, exec
; %bb.575:                              ;   in Loop: Header=BB1117_573 Depth=1
	s_or_b64 exec, exec, s[40:41]
	s_mov_b64 s[42:43], -1
	s_or_b64 s[30:31], s[30:31], exec
                                        ; implicit-def: $sgpr38_sgpr39
	s_and_saveexec_b64 s[40:41], s[44:45]
	s_cbranch_execz .LBB1117_572
; %bb.576:                              ;   in Loop: Header=BB1117_573 Depth=1
	s_add_u32 s36, s36, -1
	v_add_co_u32_e32 v8, vcc, 2, v8
	s_addc_u32 s37, s37, -1
	v_addc_co_u32_e32 v9, vcc, 0, v9, vcc
	s_cmp_eq_u64 s[36:37], 0
	v_add_co_u32_e32 v10, vcc, 2, v10
	s_cselect_b64 s[42:43], -1, 0
	v_addc_co_u32_e32 v11, vcc, 0, v11, vcc
	s_and_b64 s[38:39], s[34:35], exec
	s_andn2_b64 s[30:31], s[30:31], exec
	s_orn2_b64 s[42:43], s[42:43], exec
	s_branch .LBB1117_572
.LBB1117_577:
	s_or_b64 exec, exec, s[26:27]
	s_and_saveexec_b64 s[26:27], s[28:29]
	s_xor_b64 s[26:27], exec, s[26:27]
; %bb.578:
	v_cndmask_b32_e64 v8, v7, v5, s[10:11]
	v_cndmask_b32_e64 v9, v6, v4, s[10:11]
	;; [unrolled: 1-line block ×4, first 2 shown]
	v_mov_b32_e32 v6, v9
	v_mov_b32_e32 v7, v8
; %bb.579:
	s_or_b64 exec, exec, s[26:27]
	s_or_b64 exec, exec, s[8:9]
	s_and_saveexec_b64 s[8:9], s[22:23]
	s_cbranch_execz .LBB1117_589
.LBB1117_580:
	v_mul_lo_u32 v10, v5, s12
	v_mul_lo_u32 v11, v4, s13
	v_mad_u64_u32 v[8:9], s[10:11], v4, s12, 0
	v_add3_u32 v9, v9, v11, v10
	v_lshlrev_b64 v[8:9], 1, v[8:9]
	v_mov_b32_e32 v10, s15
	v_add_co_u32_e32 v8, vcc, s14, v8
	v_addc_co_u32_e32 v9, vcc, v10, v9, vcc
	v_mul_lo_u32 v19, v3, s12
	v_mul_lo_u32 v20, v2, s13
	v_mad_u64_u32 v[10:11], s[10:11], v2, s12, 0
	v_add3_u32 v11, v11, v20, v19
	v_lshlrev_b64 v[10:11], 1, v[10:11]
	v_mov_b32_e32 v19, s15
	v_add_co_u32_e32 v10, vcc, s14, v10
	v_addc_co_u32_e32 v11, vcc, v19, v11, vcc
	s_mov_b64 s[22:23], 0
	s_mov_b64 s[34:35], s[12:13]
                                        ; implicit-def: $sgpr10_sgpr11
                                        ; implicit-def: $sgpr26_sgpr27
                                        ; implicit-def: $sgpr28_sgpr29
                                        ; implicit-def: $sgpr30_sgpr31
                                        ; implicit-def: $sgpr36_sgpr37
	s_branch .LBB1117_582
.LBB1117_581:                           ;   in Loop: Header=BB1117_582 Depth=1
	s_or_b64 exec, exec, s[38:39]
	s_and_b64 s[38:39], exec, s[40:41]
	s_or_b64 s[22:23], s[38:39], s[22:23]
	s_andn2_b64 s[26:27], s[26:27], exec
	s_and_b64 s[38:39], s[28:29], exec
	s_or_b64 s[26:27], s[26:27], s[38:39]
	s_andn2_b64 s[10:11], s[10:11], exec
	s_and_b64 s[38:39], s[30:31], exec
	s_or_b64 s[10:11], s[10:11], s[38:39]
	s_andn2_b64 exec, exec, s[22:23]
	s_cbranch_execz .LBB1117_586
.LBB1117_582:                           ; =>This Inner Loop Header: Depth=1
	global_load_ushort v19, v[8:9], off
	global_load_ushort v20, v[10:11], off
	s_or_b64 s[30:31], s[30:31], exec
	s_mov_b64 s[42:43], 0
	s_waitcnt vmcnt(1)
	v_lshlrev_b32_e32 v19, 16, v19
	s_waitcnt vmcnt(0)
	v_lshlrev_b32_e32 v20, 16, v20
	v_cmp_nlt_f32_e32 vcc, v19, v20
	s_and_saveexec_b64 s[38:39], vcc
; %bb.583:                              ;   in Loop: Header=BB1117_582 Depth=1
	v_cmp_ngt_f32_e32 vcc, v19, v20
	s_and_b64 s[36:37], vcc, s[36:37]
	s_andn2_b64 s[30:31], s[30:31], exec
	s_and_b64 s[36:37], s[36:37], exec
	s_or_b64 s[30:31], s[30:31], s[36:37]
	s_and_b64 s[42:43], vcc, exec
; %bb.584:                              ;   in Loop: Header=BB1117_582 Depth=1
	s_or_b64 exec, exec, s[38:39]
	s_mov_b64 s[40:41], -1
	s_or_b64 s[28:29], s[28:29], exec
                                        ; implicit-def: $sgpr36_sgpr37
	s_and_saveexec_b64 s[38:39], s[42:43]
	s_cbranch_execz .LBB1117_581
; %bb.585:                              ;   in Loop: Header=BB1117_582 Depth=1
	s_add_u32 s34, s34, -1
	v_add_co_u32_e32 v8, vcc, 2, v8
	s_addc_u32 s35, s35, -1
	v_addc_co_u32_e32 v9, vcc, 0, v9, vcc
	s_cmp_eq_u64 s[34:35], 0
	v_add_co_u32_e32 v10, vcc, 2, v10
	s_cselect_b64 s[40:41], -1, 0
	v_addc_co_u32_e32 v11, vcc, 0, v11, vcc
	s_and_b64 s[36:37], s[30:31], exec
	s_andn2_b64 s[28:29], s[28:29], exec
	s_orn2_b64 s[40:41], s[40:41], exec
	s_branch .LBB1117_581
.LBB1117_586:
	s_or_b64 exec, exec, s[22:23]
	s_and_saveexec_b64 s[22:23], s[26:27]
	s_xor_b64 s[22:23], exec, s[22:23]
; %bb.587:
	v_cndmask_b32_e64 v8, v5, v3, s[10:11]
	v_cndmask_b32_e64 v9, v4, v2, s[10:11]
	;; [unrolled: 1-line block ×4, first 2 shown]
	v_mov_b32_e32 v4, v9
	v_mov_b32_e32 v5, v8
; %bb.588:
	s_or_b64 exec, exec, s[22:23]
.LBB1117_589:
	s_or_b64 exec, exec, s[8:9]
	v_mbcnt_lo_u32_b32 v8, -1, 0
	v_mbcnt_hi_u32_b32 v8, -1, v8
	v_and_b32_e32 v9, 0xffffff00, v18
	v_lshlrev_b32_e32 v18, 3, v9
	v_lshlrev_b32_e32 v20, 2, v8
	v_sub_u32_e64 v19, s33, v9 clamp
	v_lshl_add_u32 v21, v8, 5, v18
	v_or_b32_e32 v8, 4, v20
	v_min_u32_e32 v24, v19, v8
	v_add_u32_e32 v8, 4, v24
	v_and_b32_e32 v28, 0x1f8, v20
	v_min_u32_e32 v25, v19, v8
	v_and_b32_e32 v8, 4, v20
	v_min_u32_e32 v29, v19, v8
	v_sub_u32_e32 v8, v24, v28
	v_sub_u32_e32 v9, v25, v24
	v_sub_u32_e64 v27, v29, v9 clamp
	v_min_u32_e32 v30, v29, v8
	v_cndmask_b32_e64 v8, 0, 1, s[6:7]
	v_lshl_add_u32 v26, v28, 3, v18
	v_cmp_lt_u32_e32 vcc, v27, v30
	v_cmp_ne_u32_e64 s[6:7], 1, v8
	ds_write_b128 v21, v[0:3]
	ds_write_b128 v21, v[4:7] offset:16
	; wave barrier
	s_and_saveexec_b64 s[8:9], vcc
	s_cbranch_execz .LBB1117_601
; %bb.590:
	v_lshlrev_b32_e32 v8, 3, v24
	v_lshlrev_b32_e32 v9, 3, v29
	v_add3_u32 v31, v18, v8, v9
	s_lshl_b64 s[22:23], s[12:13], 1
	s_mov_b64 s[10:11], 0
	s_branch .LBB1117_593
.LBB1117_591:                           ;   in Loop: Header=BB1117_593 Depth=1
	s_or_b64 exec, exec, s[28:29]
.LBB1117_592:                           ;   in Loop: Header=BB1117_593 Depth=1
	v_add_u32_e32 v8, 1, v32
	v_cndmask_b32_e64 v30, v30, v32, s[26:27]
	v_cndmask_b32_e64 v27, v8, v27, s[26:27]
	v_cmp_ge_u32_e32 vcc, v27, v30
	s_or_b64 s[10:11], vcc, s[10:11]
	s_andn2_b64 exec, exec, s[10:11]
	s_cbranch_execz .LBB1117_600
.LBB1117_593:                           ; =>This Loop Header: Depth=1
                                        ;     Child Loop BB1117_596 Depth 2
	v_add_u32_e32 v8, v30, v27
	v_lshrrev_b32_e32 v32, 1, v8
	s_and_b64 vcc, exec, s[6:7]
	s_mov_b64 s[26:27], 0
	s_cbranch_vccnz .LBB1117_592
; %bb.594:                              ;   in Loop: Header=BB1117_593 Depth=1
	v_not_b32_e32 v8, v32
	v_lshl_add_u32 v8, v8, 3, v31
	ds_read_b64 v[8:9], v8
	v_lshl_add_u32 v33, v32, 3, v26
	ds_read_b64 v[34:35], v33
	v_pk_mov_b32 v[10:11], s[14:15], s[14:15] op_sel:[0,1]
	s_mov_b64 s[28:29], 0
	s_waitcnt lgkmcnt(1)
	v_mul_lo_u32 v33, s22, v9
	v_mul_lo_u32 v36, s23, v8
	v_mad_u64_u32 v[8:9], s[26:27], s22, v8, v[10:11]
	v_add3_u32 v9, v36, v9, v33
	s_waitcnt lgkmcnt(0)
	v_mul_lo_u32 v33, s22, v35
	v_mul_lo_u32 v35, s23, v34
	v_mad_u64_u32 v[10:11], s[26:27], s22, v34, v[10:11]
	v_add3_u32 v11, v35, v11, v33
	s_mov_b64 s[34:35], s[12:13]
                                        ; implicit-def: $sgpr26_sgpr27
                                        ; implicit-def: $sgpr30_sgpr31
                                        ; implicit-def: $sgpr36_sgpr37
	s_branch .LBB1117_596
.LBB1117_595:                           ;   in Loop: Header=BB1117_596 Depth=2
	s_or_b64 exec, exec, s[42:43]
	s_and_b64 s[38:39], exec, s[38:39]
	s_or_b64 s[28:29], s[38:39], s[28:29]
	s_andn2_b64 s[26:27], s[26:27], exec
	s_and_b64 s[38:39], s[30:31], exec
	s_or_b64 s[26:27], s[26:27], s[38:39]
	s_andn2_b64 exec, exec, s[28:29]
	s_cbranch_execz .LBB1117_591
.LBB1117_596:                           ;   Parent Loop BB1117_593 Depth=1
                                        ; =>  This Inner Loop Header: Depth=2
	global_load_ushort v33, v[8:9], off
	global_load_ushort v34, v[10:11], off
	s_mov_b64 s[38:39], -1
	s_mov_b64 s[44:45], 0
	s_mov_b64 s[40:41], -1
	s_waitcnt vmcnt(1)
	v_lshlrev_b32_e32 v33, 16, v33
	s_waitcnt vmcnt(0)
	v_lshlrev_b32_e32 v34, 16, v34
	v_cmp_nlt_f32_e32 vcc, v33, v34
	s_and_saveexec_b64 s[42:43], vcc
; %bb.597:                              ;   in Loop: Header=BB1117_596 Depth=2
	v_cmp_ngt_f32_e32 vcc, v33, v34
	s_and_b64 s[36:37], vcc, s[36:37]
	s_orn2_b64 s[40:41], s[36:37], exec
	s_and_b64 s[44:45], vcc, exec
; %bb.598:                              ;   in Loop: Header=BB1117_596 Depth=2
	s_or_b64 exec, exec, s[42:43]
	s_andn2_b64 s[30:31], s[30:31], exec
	s_and_b64 s[36:37], s[40:41], exec
	s_or_b64 s[30:31], s[30:31], s[36:37]
                                        ; implicit-def: $sgpr36_sgpr37
	s_and_saveexec_b64 s[42:43], s[44:45]
	s_cbranch_execz .LBB1117_595
; %bb.599:                              ;   in Loop: Header=BB1117_596 Depth=2
	s_add_u32 s34, s34, -1
	v_add_co_u32_e32 v8, vcc, 2, v8
	s_addc_u32 s35, s35, -1
	v_addc_co_u32_e32 v9, vcc, 0, v9, vcc
	s_cmp_eq_u64 s[34:35], 0
	v_add_co_u32_e32 v10, vcc, 2, v10
	s_cselect_b64 s[38:39], -1, 0
	v_addc_co_u32_e32 v11, vcc, 0, v11, vcc
	s_andn2_b64 s[30:31], s[30:31], exec
	s_and_b64 s[36:37], s[40:41], exec
	s_orn2_b64 s[38:39], s[38:39], exec
	s_branch .LBB1117_595
.LBB1117_600:
	s_or_b64 exec, exec, s[10:11]
.LBB1117_601:
	s_or_b64 exec, exec, s[8:9]
	v_add_u32_e32 v9, v24, v29
	v_add_u32_e32 v8, v27, v28
	v_sub_u32_e32 v9, v9, v27
	v_cmp_le_u32_e32 vcc, v8, v24
	v_cmp_le_u32_e64 s[8:9], v9, v25
	s_or_b64 s[8:9], vcc, s[8:9]
	s_and_saveexec_b64 s[22:23], s[8:9]
	s_cbranch_execz .LBB1117_645
; %bb.602:
	v_cmp_ge_u32_e32 vcc, v8, v24
	v_cmp_lt_u32_e64 s[8:9], v8, v24
                                        ; implicit-def: $vgpr0_vgpr1
	s_and_saveexec_b64 s[10:11], s[8:9]
	s_cbranch_execz .LBB1117_604
; %bb.603:
	v_lshl_add_u32 v0, v27, 3, v26
	ds_read_b64 v[0:1], v0
.LBB1117_604:
	s_or_b64 exec, exec, s[10:11]
	v_cmp_ge_u32_e64 s[8:9], v9, v25
	v_cmp_lt_u32_e64 s[10:11], v9, v25
                                        ; implicit-def: $vgpr2_vgpr3
	s_and_saveexec_b64 s[26:27], s[10:11]
	s_cbranch_execz .LBB1117_606
; %bb.605:
	v_lshl_add_u32 v2, v9, 3, v18
	ds_read_b64 v[2:3], v2
.LBB1117_606:
	s_or_b64 exec, exec, s[26:27]
	s_or_b64 s[10:11], vcc, s[8:9]
	s_or_b64 s[10:11], s[10:11], s[18:19]
	s_xor_b64 s[26:27], s[10:11], -1
	s_xor_b64 s[10:11], vcc, -1
	s_or_b64 s[8:9], s[8:9], s[10:11]
	s_and_saveexec_b64 s[10:11], s[26:27]
	s_cbranch_execz .LBB1117_614
; %bb.607:
	s_waitcnt lgkmcnt(0)
	v_mul_lo_u32 v6, v3, s12
	v_mul_lo_u32 v7, v2, s13
	v_mad_u64_u32 v[4:5], s[26:27], v2, s12, 0
	v_add3_u32 v5, v5, v7, v6
	v_lshlrev_b64 v[4:5], 1, v[4:5]
	v_mov_b32_e32 v6, s15
	v_add_co_u32_e32 v4, vcc, s14, v4
	v_addc_co_u32_e32 v5, vcc, v6, v5, vcc
	v_mul_lo_u32 v10, v1, s12
	v_mul_lo_u32 v11, v0, s13
	v_mad_u64_u32 v[6:7], s[26:27], v0, s12, 0
	v_add3_u32 v7, v7, v11, v10
	v_lshlrev_b64 v[6:7], 1, v[6:7]
	v_mov_b32_e32 v10, s15
	v_add_co_u32_e32 v6, vcc, s14, v6
	v_addc_co_u32_e32 v7, vcc, v10, v7, vcc
	s_mov_b64 s[26:27], 0
	s_mov_b64 s[34:35], s[12:13]
                                        ; implicit-def: $sgpr28_sgpr29
                                        ; implicit-def: $sgpr30_sgpr31
                                        ; implicit-def: $sgpr36_sgpr37
	s_branch .LBB1117_609
.LBB1117_608:                           ;   in Loop: Header=BB1117_609 Depth=1
	s_or_b64 exec, exec, s[40:41]
	s_and_b64 s[38:39], exec, s[42:43]
	s_or_b64 s[26:27], s[38:39], s[26:27]
	s_andn2_b64 s[28:29], s[28:29], exec
	s_and_b64 s[38:39], s[30:31], exec
	s_or_b64 s[28:29], s[28:29], s[38:39]
	s_andn2_b64 exec, exec, s[26:27]
	s_cbranch_execz .LBB1117_613
.LBB1117_609:                           ; =>This Inner Loop Header: Depth=1
	global_load_ushort v10, v[4:5], off
	global_load_ushort v11, v[6:7], off
	s_mov_b64 s[44:45], 0
	s_mov_b64 s[38:39], -1
	s_waitcnt vmcnt(1)
	v_lshlrev_b32_e32 v10, 16, v10
	s_waitcnt vmcnt(0)
	v_lshlrev_b32_e32 v11, 16, v11
	v_cmp_nlt_f32_e32 vcc, v10, v11
	s_and_saveexec_b64 s[40:41], vcc
; %bb.610:                              ;   in Loop: Header=BB1117_609 Depth=1
	v_cmp_ngt_f32_e32 vcc, v10, v11
	s_and_b64 s[36:37], vcc, s[36:37]
	s_orn2_b64 s[38:39], s[36:37], exec
	s_and_b64 s[44:45], vcc, exec
; %bb.611:                              ;   in Loop: Header=BB1117_609 Depth=1
	s_or_b64 exec, exec, s[40:41]
	s_andn2_b64 s[30:31], s[30:31], exec
	s_and_b64 s[36:37], s[38:39], exec
	s_mov_b64 s[42:43], -1
	s_or_b64 s[30:31], s[30:31], s[36:37]
                                        ; implicit-def: $sgpr36_sgpr37
	s_and_saveexec_b64 s[40:41], s[44:45]
	s_cbranch_execz .LBB1117_608
; %bb.612:                              ;   in Loop: Header=BB1117_609 Depth=1
	s_add_u32 s34, s34, -1
	v_add_co_u32_e32 v4, vcc, 2, v4
	s_addc_u32 s35, s35, -1
	v_addc_co_u32_e32 v5, vcc, 0, v5, vcc
	s_cmp_eq_u64 s[34:35], 0
	v_add_co_u32_e32 v6, vcc, 2, v6
	s_cselect_b64 s[42:43], -1, 0
	v_addc_co_u32_e32 v7, vcc, 0, v7, vcc
	s_and_b64 s[36:37], s[38:39], exec
	s_andn2_b64 s[30:31], s[30:31], exec
	s_orn2_b64 s[42:43], s[42:43], exec
	s_branch .LBB1117_608
.LBB1117_613:
	s_or_b64 exec, exec, s[26:27]
	s_xor_b64 s[26:27], s[28:29], -1
	s_andn2_b64 s[8:9], s[8:9], exec
	s_and_b64 s[26:27], s[26:27], exec
	s_or_b64 s[8:9], s[8:9], s[26:27]
.LBB1117_614:
	s_or_b64 exec, exec, s[10:11]
	v_cndmask_b32_e64 v4, v9, v8, s[8:9]
	v_cndmask_b32_e64 v5, v25, v24, s[8:9]
	v_add_u32_e32 v6, 1, v4
	v_add_u32_e32 v4, -1, v5
	v_min_u32_e32 v4, v6, v4
	v_lshl_add_u32 v4, v4, 3, v18
	ds_read_b64 v[4:5], v4
	v_cndmask_b32_e64 v9, v6, v9, s[8:9]
	v_cndmask_b32_e64 v8, v8, v6, s[8:9]
	v_cmp_lt_u32_e32 vcc, v9, v25
	s_mov_b64 s[10:11], -1
	s_waitcnt lgkmcnt(0)
	v_cndmask_b32_e64 v10, v5, v3, s[8:9]
	v_cndmask_b32_e64 v11, v4, v2, s[8:9]
	;; [unrolled: 1-line block ×4, first 2 shown]
	s_mov_b64 s[26:27], -1
	s_and_saveexec_b64 s[28:29], vcc
	s_cbranch_execz .LBB1117_624
; %bb.615:
	v_cmp_lt_u32_e64 s[26:27], v8, v24
	s_and_b64 s[34:35], s[26:27], s[20:21]
	s_and_saveexec_b64 s[30:31], s[34:35]
	s_cbranch_execz .LBB1117_623
; %bb.616:
	v_mul_lo_u32 v6, v10, s12
	v_mul_lo_u32 v7, v11, s13
	v_mad_u64_u32 v[4:5], s[34:35], v11, s12, 0
	v_add3_u32 v5, v5, v7, v6
	v_lshlrev_b64 v[4:5], 1, v[4:5]
	v_mov_b32_e32 v6, s15
	v_add_co_u32_e32 v4, vcc, s14, v4
	v_addc_co_u32_e32 v5, vcc, v6, v5, vcc
	v_mul_lo_u32 v28, v26, s12
	v_mul_lo_u32 v29, v27, s13
	v_mad_u64_u32 v[6:7], s[34:35], v27, s12, 0
	v_add3_u32 v7, v7, v29, v28
	v_lshlrev_b64 v[6:7], 1, v[6:7]
	v_mov_b32_e32 v28, s15
	v_add_co_u32_e32 v6, vcc, s14, v6
	v_addc_co_u32_e32 v7, vcc, v28, v7, vcc
	s_mov_b64 s[34:35], 0
	s_mov_b64 s[40:41], s[12:13]
                                        ; implicit-def: $sgpr36_sgpr37
                                        ; implicit-def: $sgpr38_sgpr39
                                        ; implicit-def: $sgpr42_sgpr43
	s_branch .LBB1117_618
.LBB1117_617:                           ;   in Loop: Header=BB1117_618 Depth=1
	s_or_b64 exec, exec, s[46:47]
	s_and_b64 s[44:45], exec, s[48:49]
	s_or_b64 s[34:35], s[44:45], s[34:35]
	s_andn2_b64 s[36:37], s[36:37], exec
	s_and_b64 s[44:45], s[38:39], exec
	s_or_b64 s[36:37], s[36:37], s[44:45]
	s_andn2_b64 exec, exec, s[34:35]
	s_cbranch_execz .LBB1117_622
.LBB1117_618:                           ; =>This Inner Loop Header: Depth=1
	global_load_ushort v28, v[4:5], off
	global_load_ushort v29, v[6:7], off
	s_mov_b64 s[50:51], 0
	s_mov_b64 s[44:45], -1
	s_waitcnt vmcnt(1)
	v_lshlrev_b32_e32 v28, 16, v28
	s_waitcnt vmcnt(0)
	v_lshlrev_b32_e32 v29, 16, v29
	v_cmp_nlt_f32_e32 vcc, v28, v29
	s_and_saveexec_b64 s[46:47], vcc
; %bb.619:                              ;   in Loop: Header=BB1117_618 Depth=1
	v_cmp_ngt_f32_e32 vcc, v28, v29
	s_and_b64 s[42:43], vcc, s[42:43]
	s_orn2_b64 s[44:45], s[42:43], exec
	s_and_b64 s[50:51], vcc, exec
; %bb.620:                              ;   in Loop: Header=BB1117_618 Depth=1
	s_or_b64 exec, exec, s[46:47]
	s_andn2_b64 s[38:39], s[38:39], exec
	s_and_b64 s[42:43], s[44:45], exec
	s_mov_b64 s[48:49], -1
	s_or_b64 s[38:39], s[38:39], s[42:43]
                                        ; implicit-def: $sgpr42_sgpr43
	s_and_saveexec_b64 s[46:47], s[50:51]
	s_cbranch_execz .LBB1117_617
; %bb.621:                              ;   in Loop: Header=BB1117_618 Depth=1
	s_add_u32 s40, s40, -1
	v_add_co_u32_e32 v4, vcc, 2, v4
	s_addc_u32 s41, s41, -1
	v_addc_co_u32_e32 v5, vcc, 0, v5, vcc
	s_cmp_eq_u64 s[40:41], 0
	v_add_co_u32_e32 v6, vcc, 2, v6
	s_cselect_b64 s[48:49], -1, 0
	v_addc_co_u32_e32 v7, vcc, 0, v7, vcc
	s_and_b64 s[42:43], s[44:45], exec
	s_andn2_b64 s[38:39], s[38:39], exec
	s_orn2_b64 s[48:49], s[48:49], exec
	s_branch .LBB1117_617
.LBB1117_622:
	s_or_b64 exec, exec, s[34:35]
	s_xor_b64 s[34:35], s[36:37], -1
	s_andn2_b64 s[26:27], s[26:27], exec
	s_and_b64 s[34:35], s[34:35], exec
	s_or_b64 s[26:27], s[26:27], s[34:35]
.LBB1117_623:
	s_or_b64 exec, exec, s[30:31]
	s_orn2_b64 s[26:27], s[26:27], exec
.LBB1117_624:
	s_or_b64 exec, exec, s[28:29]
	v_cndmask_b32_e64 v4, v9, v8, s[26:27]
	v_cndmask_b32_e64 v5, v25, v24, s[26:27]
	v_add_u32_e32 v6, 1, v4
	v_add_u32_e32 v4, -1, v5
	v_min_u32_e32 v4, v6, v4
	v_lshl_add_u32 v4, v4, 3, v18
	ds_read_b64 v[4:5], v4
	v_cndmask_b32_e64 v9, v6, v9, s[26:27]
	v_cndmask_b32_e64 v8, v8, v6, s[26:27]
	v_cmp_lt_u32_e32 vcc, v9, v25
	s_waitcnt lgkmcnt(0)
	v_cndmask_b32_e64 v28, v5, v10, s[26:27]
	v_cndmask_b32_e64 v29, v4, v11, s[26:27]
	;; [unrolled: 1-line block ×4, first 2 shown]
	s_and_saveexec_b64 s[28:29], vcc
	s_cbranch_execz .LBB1117_634
; %bb.625:
	v_cmp_lt_u32_e64 s[10:11], v8, v24
	s_and_b64 s[34:35], s[10:11], s[20:21]
	s_and_saveexec_b64 s[30:31], s[34:35]
	s_cbranch_execz .LBB1117_633
; %bb.626:
	v_mul_lo_u32 v6, v28, s12
	v_mul_lo_u32 v7, v29, s13
	v_mad_u64_u32 v[4:5], s[34:35], v29, s12, 0
	v_add3_u32 v5, v5, v7, v6
	v_lshlrev_b64 v[4:5], 1, v[4:5]
	v_mov_b32_e32 v6, s15
	v_add_co_u32_e32 v4, vcc, s14, v4
	v_addc_co_u32_e32 v5, vcc, v6, v5, vcc
	v_mul_lo_u32 v32, v30, s12
	v_mul_lo_u32 v33, v31, s13
	v_mad_u64_u32 v[6:7], s[34:35], v31, s12, 0
	v_add3_u32 v7, v7, v33, v32
	v_lshlrev_b64 v[6:7], 1, v[6:7]
	v_mov_b32_e32 v32, s15
	v_add_co_u32_e32 v6, vcc, s14, v6
	v_addc_co_u32_e32 v7, vcc, v32, v7, vcc
	s_mov_b64 s[34:35], 0
	s_mov_b64 s[40:41], s[12:13]
                                        ; implicit-def: $sgpr36_sgpr37
                                        ; implicit-def: $sgpr38_sgpr39
                                        ; implicit-def: $sgpr42_sgpr43
	s_branch .LBB1117_628
.LBB1117_627:                           ;   in Loop: Header=BB1117_628 Depth=1
	s_or_b64 exec, exec, s[46:47]
	s_and_b64 s[44:45], exec, s[48:49]
	s_or_b64 s[34:35], s[44:45], s[34:35]
	s_andn2_b64 s[36:37], s[36:37], exec
	s_and_b64 s[44:45], s[38:39], exec
	s_or_b64 s[36:37], s[36:37], s[44:45]
	s_andn2_b64 exec, exec, s[34:35]
	s_cbranch_execz .LBB1117_632
.LBB1117_628:                           ; =>This Inner Loop Header: Depth=1
	global_load_ushort v32, v[4:5], off
	global_load_ushort v33, v[6:7], off
	s_mov_b64 s[50:51], 0
	s_mov_b64 s[44:45], -1
	s_waitcnt vmcnt(1)
	v_lshlrev_b32_e32 v32, 16, v32
	s_waitcnt vmcnt(0)
	v_lshlrev_b32_e32 v33, 16, v33
	v_cmp_nlt_f32_e32 vcc, v32, v33
	s_and_saveexec_b64 s[46:47], vcc
; %bb.629:                              ;   in Loop: Header=BB1117_628 Depth=1
	v_cmp_ngt_f32_e32 vcc, v32, v33
	s_and_b64 s[42:43], vcc, s[42:43]
	s_orn2_b64 s[44:45], s[42:43], exec
	s_and_b64 s[50:51], vcc, exec
; %bb.630:                              ;   in Loop: Header=BB1117_628 Depth=1
	s_or_b64 exec, exec, s[46:47]
	s_andn2_b64 s[38:39], s[38:39], exec
	s_and_b64 s[42:43], s[44:45], exec
	s_mov_b64 s[48:49], -1
	s_or_b64 s[38:39], s[38:39], s[42:43]
                                        ; implicit-def: $sgpr42_sgpr43
	s_and_saveexec_b64 s[46:47], s[50:51]
	s_cbranch_execz .LBB1117_627
; %bb.631:                              ;   in Loop: Header=BB1117_628 Depth=1
	s_add_u32 s40, s40, -1
	v_add_co_u32_e32 v4, vcc, 2, v4
	s_addc_u32 s41, s41, -1
	v_addc_co_u32_e32 v5, vcc, 0, v5, vcc
	s_cmp_eq_u64 s[40:41], 0
	v_add_co_u32_e32 v6, vcc, 2, v6
	s_cselect_b64 s[48:49], -1, 0
	v_addc_co_u32_e32 v7, vcc, 0, v7, vcc
	s_and_b64 s[42:43], s[44:45], exec
	s_andn2_b64 s[38:39], s[38:39], exec
	s_orn2_b64 s[48:49], s[48:49], exec
	s_branch .LBB1117_627
.LBB1117_632:
	s_or_b64 exec, exec, s[34:35]
	s_xor_b64 s[34:35], s[36:37], -1
	s_andn2_b64 s[10:11], s[10:11], exec
	s_and_b64 s[34:35], s[34:35], exec
	s_or_b64 s[10:11], s[10:11], s[34:35]
.LBB1117_633:
	s_or_b64 exec, exec, s[30:31]
	s_orn2_b64 s[10:11], s[10:11], exec
.LBB1117_634:
	s_or_b64 exec, exec, s[28:29]
	v_cndmask_b32_e64 v4, v9, v8, s[10:11]
	v_cndmask_b32_e64 v5, v25, v24, s[10:11]
	v_add_u32_e32 v33, 1, v4
	v_add_u32_e32 v4, -1, v5
	v_min_u32_e32 v4, v33, v4
	v_lshl_add_u32 v4, v4, 3, v18
	ds_read_b64 v[4:5], v4
	v_cndmask_b32_e64 v9, v33, v9, s[10:11]
	v_cmp_lt_u32_e32 vcc, v9, v25
	s_waitcnt lgkmcnt(0)
	v_cndmask_b32_e64 v7, v30, v5, s[10:11]
	v_cndmask_b32_e64 v6, v31, v4, s[10:11]
	s_and_saveexec_b64 s[28:29], vcc
	s_cbranch_execz .LBB1117_644
; %bb.635:
	v_cndmask_b32_e64 v32, v4, v29, s[10:11]
	v_cndmask_b32_e64 v4, v8, v33, s[10:11]
	v_cmp_ge_u32_e32 vcc, v4, v24
	v_cndmask_b32_e64 v25, v5, v28, s[10:11]
	s_or_b64 s[30:31], vcc, s[18:19]
	v_cndmask_b32_e32 v5, v7, v25, vcc
	s_xor_b64 s[34:35], s[30:31], -1
	v_cndmask_b32_e32 v4, v6, v32, vcc
	s_and_saveexec_b64 s[30:31], s[34:35]
	s_cbranch_execz .LBB1117_643
; %bb.636:
	v_mul_lo_u32 v8, v25, s12
	v_mul_lo_u32 v9, v32, s13
	v_mad_u64_u32 v[4:5], s[34:35], v32, s12, 0
	v_add3_u32 v5, v5, v9, v8
	v_lshlrev_b64 v[4:5], 1, v[4:5]
	v_mov_b32_e32 v8, s15
	v_add_co_u32_e32 v4, vcc, s14, v4
	v_addc_co_u32_e32 v5, vcc, v8, v5, vcc
	v_mul_lo_u32 v24, v7, s12
	v_mul_lo_u32 v33, v6, s13
	v_mad_u64_u32 v[8:9], s[34:35], v6, s12, 0
	v_add3_u32 v9, v9, v33, v24
	v_lshlrev_b64 v[8:9], 1, v[8:9]
	v_mov_b32_e32 v24, s15
	v_add_co_u32_e32 v8, vcc, s14, v8
	v_addc_co_u32_e32 v9, vcc, v24, v9, vcc
	s_mov_b64 s[34:35], 0
	s_mov_b64 s[40:41], s[12:13]
                                        ; implicit-def: $sgpr36_sgpr37
                                        ; implicit-def: $sgpr38_sgpr39
                                        ; implicit-def: $sgpr42_sgpr43
	s_branch .LBB1117_638
.LBB1117_637:                           ;   in Loop: Header=BB1117_638 Depth=1
	s_or_b64 exec, exec, s[46:47]
	s_and_b64 s[44:45], exec, s[48:49]
	s_or_b64 s[34:35], s[44:45], s[34:35]
	s_andn2_b64 s[36:37], s[36:37], exec
	s_and_b64 s[44:45], s[38:39], exec
	s_or_b64 s[36:37], s[36:37], s[44:45]
	s_andn2_b64 exec, exec, s[34:35]
	s_cbranch_execz .LBB1117_642
.LBB1117_638:                           ; =>This Inner Loop Header: Depth=1
	global_load_ushort v24, v[4:5], off
	global_load_ushort v33, v[8:9], off
	s_mov_b64 s[50:51], 0
	s_mov_b64 s[44:45], -1
	s_waitcnt vmcnt(1)
	v_lshlrev_b32_e32 v24, 16, v24
	s_waitcnt vmcnt(0)
	v_lshlrev_b32_e32 v33, 16, v33
	v_cmp_nlt_f32_e32 vcc, v24, v33
	s_and_saveexec_b64 s[46:47], vcc
; %bb.639:                              ;   in Loop: Header=BB1117_638 Depth=1
	v_cmp_ngt_f32_e32 vcc, v24, v33
	s_and_b64 s[42:43], vcc, s[42:43]
	s_orn2_b64 s[44:45], s[42:43], exec
	s_and_b64 s[50:51], vcc, exec
; %bb.640:                              ;   in Loop: Header=BB1117_638 Depth=1
	s_or_b64 exec, exec, s[46:47]
	s_andn2_b64 s[38:39], s[38:39], exec
	s_and_b64 s[42:43], s[44:45], exec
	s_mov_b64 s[48:49], -1
	s_or_b64 s[38:39], s[38:39], s[42:43]
                                        ; implicit-def: $sgpr42_sgpr43
	s_and_saveexec_b64 s[46:47], s[50:51]
	s_cbranch_execz .LBB1117_637
; %bb.641:                              ;   in Loop: Header=BB1117_638 Depth=1
	s_add_u32 s40, s40, -1
	v_add_co_u32_e32 v4, vcc, 2, v4
	s_addc_u32 s41, s41, -1
	v_addc_co_u32_e32 v5, vcc, 0, v5, vcc
	s_cmp_eq_u64 s[40:41], 0
	v_add_co_u32_e32 v8, vcc, 2, v8
	s_cselect_b64 s[48:49], -1, 0
	v_addc_co_u32_e32 v9, vcc, 0, v9, vcc
	s_and_b64 s[42:43], s[44:45], exec
	s_andn2_b64 s[38:39], s[38:39], exec
	s_orn2_b64 s[48:49], s[48:49], exec
	s_branch .LBB1117_637
.LBB1117_642:
	s_or_b64 exec, exec, s[34:35]
	v_cndmask_b32_e64 v5, v7, v25, s[36:37]
	v_cndmask_b32_e64 v4, v6, v32, s[36:37]
.LBB1117_643:
	s_or_b64 exec, exec, s[30:31]
	v_pk_mov_b32 v[6:7], v[4:5], v[4:5] op_sel:[0,1]
.LBB1117_644:
	s_or_b64 exec, exec, s[28:29]
	v_cndmask_b32_e64 v1, v3, v1, s[8:9]
	v_cndmask_b32_e64 v0, v2, v0, s[8:9]
	;; [unrolled: 1-line block ×6, first 2 shown]
.LBB1117_645:
	s_or_b64 exec, exec, s[22:23]
	v_and_b32_e32 v28, 0x1f0, v20
	v_or_b32_e32 v8, 8, v28
	v_min_u32_e32 v24, v19, v8
	v_add_u32_e32 v8, 8, v24
	v_min_u32_e32 v25, v19, v8
	v_and_b32_e32 v8, 12, v20
	v_min_u32_e32 v29, v19, v8
	v_sub_u32_e32 v8, v24, v28
	v_sub_u32_e32 v9, v25, v24
	v_sub_u32_e64 v27, v29, v9 clamp
	v_min_u32_e32 v30, v29, v8
	v_lshl_add_u32 v26, v28, 3, v18
	v_cmp_lt_u32_e32 vcc, v27, v30
	; wave barrier
	ds_write_b128 v21, v[0:3]
	ds_write_b128 v21, v[4:7] offset:16
	; wave barrier
	s_and_saveexec_b64 s[8:9], vcc
	s_cbranch_execz .LBB1117_657
; %bb.646:
	v_lshlrev_b32_e32 v8, 3, v24
	v_lshlrev_b32_e32 v9, 3, v29
	v_add3_u32 v31, v18, v8, v9
	s_lshl_b64 s[22:23], s[12:13], 1
	s_mov_b64 s[10:11], 0
	s_branch .LBB1117_649
.LBB1117_647:                           ;   in Loop: Header=BB1117_649 Depth=1
	s_or_b64 exec, exec, s[28:29]
.LBB1117_648:                           ;   in Loop: Header=BB1117_649 Depth=1
	v_add_u32_e32 v8, 1, v32
	v_cndmask_b32_e64 v30, v30, v32, s[26:27]
	v_cndmask_b32_e64 v27, v8, v27, s[26:27]
	v_cmp_ge_u32_e32 vcc, v27, v30
	s_or_b64 s[10:11], vcc, s[10:11]
	s_andn2_b64 exec, exec, s[10:11]
	s_cbranch_execz .LBB1117_656
.LBB1117_649:                           ; =>This Loop Header: Depth=1
                                        ;     Child Loop BB1117_652 Depth 2
	v_add_u32_e32 v8, v30, v27
	v_lshrrev_b32_e32 v32, 1, v8
	s_and_b64 vcc, exec, s[6:7]
	s_mov_b64 s[26:27], 0
	s_cbranch_vccnz .LBB1117_648
; %bb.650:                              ;   in Loop: Header=BB1117_649 Depth=1
	v_not_b32_e32 v8, v32
	v_lshl_add_u32 v8, v8, 3, v31
	ds_read_b64 v[8:9], v8
	v_lshl_add_u32 v33, v32, 3, v26
	ds_read_b64 v[34:35], v33
	v_pk_mov_b32 v[10:11], s[14:15], s[14:15] op_sel:[0,1]
	s_mov_b64 s[28:29], 0
	s_waitcnt lgkmcnt(1)
	v_mul_lo_u32 v33, s22, v9
	v_mul_lo_u32 v36, s23, v8
	v_mad_u64_u32 v[8:9], s[26:27], s22, v8, v[10:11]
	v_add3_u32 v9, v36, v9, v33
	s_waitcnt lgkmcnt(0)
	v_mul_lo_u32 v33, s22, v35
	v_mul_lo_u32 v35, s23, v34
	v_mad_u64_u32 v[10:11], s[26:27], s22, v34, v[10:11]
	v_add3_u32 v11, v35, v11, v33
	s_mov_b64 s[34:35], s[12:13]
                                        ; implicit-def: $sgpr26_sgpr27
                                        ; implicit-def: $sgpr30_sgpr31
                                        ; implicit-def: $sgpr36_sgpr37
	s_branch .LBB1117_652
.LBB1117_651:                           ;   in Loop: Header=BB1117_652 Depth=2
	s_or_b64 exec, exec, s[42:43]
	s_and_b64 s[38:39], exec, s[38:39]
	s_or_b64 s[28:29], s[38:39], s[28:29]
	s_andn2_b64 s[26:27], s[26:27], exec
	s_and_b64 s[38:39], s[30:31], exec
	s_or_b64 s[26:27], s[26:27], s[38:39]
	s_andn2_b64 exec, exec, s[28:29]
	s_cbranch_execz .LBB1117_647
.LBB1117_652:                           ;   Parent Loop BB1117_649 Depth=1
                                        ; =>  This Inner Loop Header: Depth=2
	global_load_ushort v33, v[8:9], off
	global_load_ushort v34, v[10:11], off
	s_mov_b64 s[38:39], -1
	s_mov_b64 s[44:45], 0
	s_mov_b64 s[40:41], -1
	s_waitcnt vmcnt(1)
	v_lshlrev_b32_e32 v33, 16, v33
	s_waitcnt vmcnt(0)
	v_lshlrev_b32_e32 v34, 16, v34
	v_cmp_nlt_f32_e32 vcc, v33, v34
	s_and_saveexec_b64 s[42:43], vcc
; %bb.653:                              ;   in Loop: Header=BB1117_652 Depth=2
	v_cmp_ngt_f32_e32 vcc, v33, v34
	s_and_b64 s[36:37], vcc, s[36:37]
	s_orn2_b64 s[40:41], s[36:37], exec
	s_and_b64 s[44:45], vcc, exec
; %bb.654:                              ;   in Loop: Header=BB1117_652 Depth=2
	s_or_b64 exec, exec, s[42:43]
	s_andn2_b64 s[30:31], s[30:31], exec
	s_and_b64 s[36:37], s[40:41], exec
	s_or_b64 s[30:31], s[30:31], s[36:37]
                                        ; implicit-def: $sgpr36_sgpr37
	s_and_saveexec_b64 s[42:43], s[44:45]
	s_cbranch_execz .LBB1117_651
; %bb.655:                              ;   in Loop: Header=BB1117_652 Depth=2
	s_add_u32 s34, s34, -1
	v_add_co_u32_e32 v8, vcc, 2, v8
	s_addc_u32 s35, s35, -1
	v_addc_co_u32_e32 v9, vcc, 0, v9, vcc
	s_cmp_eq_u64 s[34:35], 0
	v_add_co_u32_e32 v10, vcc, 2, v10
	s_cselect_b64 s[38:39], -1, 0
	v_addc_co_u32_e32 v11, vcc, 0, v11, vcc
	s_andn2_b64 s[30:31], s[30:31], exec
	s_and_b64 s[36:37], s[40:41], exec
	s_orn2_b64 s[38:39], s[38:39], exec
	s_branch .LBB1117_651
.LBB1117_656:
	s_or_b64 exec, exec, s[10:11]
.LBB1117_657:
	s_or_b64 exec, exec, s[8:9]
	v_add_u32_e32 v9, v24, v29
	v_add_u32_e32 v8, v27, v28
	v_sub_u32_e32 v9, v9, v27
	v_cmp_le_u32_e32 vcc, v8, v24
	v_cmp_le_u32_e64 s[8:9], v9, v25
	s_or_b64 s[8:9], vcc, s[8:9]
	s_and_saveexec_b64 s[22:23], s[8:9]
	s_cbranch_execz .LBB1117_701
; %bb.658:
	v_cmp_ge_u32_e32 vcc, v8, v24
	v_cmp_lt_u32_e64 s[8:9], v8, v24
                                        ; implicit-def: $vgpr0_vgpr1
	s_and_saveexec_b64 s[10:11], s[8:9]
	s_cbranch_execz .LBB1117_660
; %bb.659:
	v_lshl_add_u32 v0, v27, 3, v26
	ds_read_b64 v[0:1], v0
.LBB1117_660:
	s_or_b64 exec, exec, s[10:11]
	v_cmp_ge_u32_e64 s[8:9], v9, v25
	v_cmp_lt_u32_e64 s[10:11], v9, v25
                                        ; implicit-def: $vgpr2_vgpr3
	s_and_saveexec_b64 s[26:27], s[10:11]
	s_cbranch_execz .LBB1117_662
; %bb.661:
	v_lshl_add_u32 v2, v9, 3, v18
	ds_read_b64 v[2:3], v2
.LBB1117_662:
	s_or_b64 exec, exec, s[26:27]
	s_or_b64 s[10:11], vcc, s[8:9]
	s_or_b64 s[10:11], s[10:11], s[18:19]
	s_xor_b64 s[26:27], s[10:11], -1
	s_xor_b64 s[10:11], vcc, -1
	s_or_b64 s[8:9], s[8:9], s[10:11]
	s_and_saveexec_b64 s[10:11], s[26:27]
	s_cbranch_execz .LBB1117_670
; %bb.663:
	s_waitcnt lgkmcnt(0)
	v_mul_lo_u32 v6, v3, s12
	v_mul_lo_u32 v7, v2, s13
	v_mad_u64_u32 v[4:5], s[26:27], v2, s12, 0
	v_add3_u32 v5, v5, v7, v6
	v_lshlrev_b64 v[4:5], 1, v[4:5]
	v_mov_b32_e32 v6, s15
	v_add_co_u32_e32 v4, vcc, s14, v4
	v_addc_co_u32_e32 v5, vcc, v6, v5, vcc
	v_mul_lo_u32 v10, v1, s12
	v_mul_lo_u32 v11, v0, s13
	v_mad_u64_u32 v[6:7], s[26:27], v0, s12, 0
	v_add3_u32 v7, v7, v11, v10
	v_lshlrev_b64 v[6:7], 1, v[6:7]
	v_mov_b32_e32 v10, s15
	v_add_co_u32_e32 v6, vcc, s14, v6
	v_addc_co_u32_e32 v7, vcc, v10, v7, vcc
	s_mov_b64 s[26:27], 0
	s_mov_b64 s[34:35], s[12:13]
                                        ; implicit-def: $sgpr28_sgpr29
                                        ; implicit-def: $sgpr30_sgpr31
                                        ; implicit-def: $sgpr36_sgpr37
	s_branch .LBB1117_665
.LBB1117_664:                           ;   in Loop: Header=BB1117_665 Depth=1
	s_or_b64 exec, exec, s[40:41]
	s_and_b64 s[38:39], exec, s[42:43]
	s_or_b64 s[26:27], s[38:39], s[26:27]
	s_andn2_b64 s[28:29], s[28:29], exec
	s_and_b64 s[38:39], s[30:31], exec
	s_or_b64 s[28:29], s[28:29], s[38:39]
	s_andn2_b64 exec, exec, s[26:27]
	s_cbranch_execz .LBB1117_669
.LBB1117_665:                           ; =>This Inner Loop Header: Depth=1
	global_load_ushort v10, v[4:5], off
	global_load_ushort v11, v[6:7], off
	s_mov_b64 s[44:45], 0
	s_mov_b64 s[38:39], -1
	s_waitcnt vmcnt(1)
	v_lshlrev_b32_e32 v10, 16, v10
	s_waitcnt vmcnt(0)
	v_lshlrev_b32_e32 v11, 16, v11
	v_cmp_nlt_f32_e32 vcc, v10, v11
	s_and_saveexec_b64 s[40:41], vcc
; %bb.666:                              ;   in Loop: Header=BB1117_665 Depth=1
	v_cmp_ngt_f32_e32 vcc, v10, v11
	s_and_b64 s[36:37], vcc, s[36:37]
	s_orn2_b64 s[38:39], s[36:37], exec
	s_and_b64 s[44:45], vcc, exec
; %bb.667:                              ;   in Loop: Header=BB1117_665 Depth=1
	s_or_b64 exec, exec, s[40:41]
	s_andn2_b64 s[30:31], s[30:31], exec
	s_and_b64 s[36:37], s[38:39], exec
	s_mov_b64 s[42:43], -1
	s_or_b64 s[30:31], s[30:31], s[36:37]
                                        ; implicit-def: $sgpr36_sgpr37
	s_and_saveexec_b64 s[40:41], s[44:45]
	s_cbranch_execz .LBB1117_664
; %bb.668:                              ;   in Loop: Header=BB1117_665 Depth=1
	s_add_u32 s34, s34, -1
	v_add_co_u32_e32 v4, vcc, 2, v4
	s_addc_u32 s35, s35, -1
	v_addc_co_u32_e32 v5, vcc, 0, v5, vcc
	s_cmp_eq_u64 s[34:35], 0
	v_add_co_u32_e32 v6, vcc, 2, v6
	s_cselect_b64 s[42:43], -1, 0
	v_addc_co_u32_e32 v7, vcc, 0, v7, vcc
	s_and_b64 s[36:37], s[38:39], exec
	s_andn2_b64 s[30:31], s[30:31], exec
	s_orn2_b64 s[42:43], s[42:43], exec
	s_branch .LBB1117_664
.LBB1117_669:
	s_or_b64 exec, exec, s[26:27]
	s_xor_b64 s[26:27], s[28:29], -1
	s_andn2_b64 s[8:9], s[8:9], exec
	s_and_b64 s[26:27], s[26:27], exec
	s_or_b64 s[8:9], s[8:9], s[26:27]
.LBB1117_670:
	s_or_b64 exec, exec, s[10:11]
	v_cndmask_b32_e64 v4, v9, v8, s[8:9]
	v_cndmask_b32_e64 v5, v25, v24, s[8:9]
	v_add_u32_e32 v6, 1, v4
	v_add_u32_e32 v4, -1, v5
	v_min_u32_e32 v4, v6, v4
	v_lshl_add_u32 v4, v4, 3, v18
	ds_read_b64 v[4:5], v4
	v_cndmask_b32_e64 v9, v6, v9, s[8:9]
	v_cndmask_b32_e64 v8, v8, v6, s[8:9]
	v_cmp_lt_u32_e32 vcc, v9, v25
	s_mov_b64 s[10:11], -1
	s_waitcnt lgkmcnt(0)
	v_cndmask_b32_e64 v10, v5, v3, s[8:9]
	v_cndmask_b32_e64 v11, v4, v2, s[8:9]
	;; [unrolled: 1-line block ×4, first 2 shown]
	s_mov_b64 s[26:27], -1
	s_and_saveexec_b64 s[28:29], vcc
	s_cbranch_execz .LBB1117_680
; %bb.671:
	v_cmp_lt_u32_e64 s[26:27], v8, v24
	s_and_b64 s[34:35], s[26:27], s[20:21]
	s_and_saveexec_b64 s[30:31], s[34:35]
	s_cbranch_execz .LBB1117_679
; %bb.672:
	v_mul_lo_u32 v6, v10, s12
	v_mul_lo_u32 v7, v11, s13
	v_mad_u64_u32 v[4:5], s[34:35], v11, s12, 0
	v_add3_u32 v5, v5, v7, v6
	v_lshlrev_b64 v[4:5], 1, v[4:5]
	v_mov_b32_e32 v6, s15
	v_add_co_u32_e32 v4, vcc, s14, v4
	v_addc_co_u32_e32 v5, vcc, v6, v5, vcc
	v_mul_lo_u32 v28, v26, s12
	v_mul_lo_u32 v29, v27, s13
	v_mad_u64_u32 v[6:7], s[34:35], v27, s12, 0
	v_add3_u32 v7, v7, v29, v28
	v_lshlrev_b64 v[6:7], 1, v[6:7]
	v_mov_b32_e32 v28, s15
	v_add_co_u32_e32 v6, vcc, s14, v6
	v_addc_co_u32_e32 v7, vcc, v28, v7, vcc
	s_mov_b64 s[34:35], 0
	s_mov_b64 s[40:41], s[12:13]
                                        ; implicit-def: $sgpr36_sgpr37
                                        ; implicit-def: $sgpr38_sgpr39
                                        ; implicit-def: $sgpr42_sgpr43
	s_branch .LBB1117_674
.LBB1117_673:                           ;   in Loop: Header=BB1117_674 Depth=1
	s_or_b64 exec, exec, s[46:47]
	s_and_b64 s[44:45], exec, s[48:49]
	s_or_b64 s[34:35], s[44:45], s[34:35]
	s_andn2_b64 s[36:37], s[36:37], exec
	s_and_b64 s[44:45], s[38:39], exec
	s_or_b64 s[36:37], s[36:37], s[44:45]
	s_andn2_b64 exec, exec, s[34:35]
	s_cbranch_execz .LBB1117_678
.LBB1117_674:                           ; =>This Inner Loop Header: Depth=1
	global_load_ushort v28, v[4:5], off
	global_load_ushort v29, v[6:7], off
	s_mov_b64 s[50:51], 0
	s_mov_b64 s[44:45], -1
	s_waitcnt vmcnt(1)
	v_lshlrev_b32_e32 v28, 16, v28
	s_waitcnt vmcnt(0)
	v_lshlrev_b32_e32 v29, 16, v29
	v_cmp_nlt_f32_e32 vcc, v28, v29
	s_and_saveexec_b64 s[46:47], vcc
; %bb.675:                              ;   in Loop: Header=BB1117_674 Depth=1
	v_cmp_ngt_f32_e32 vcc, v28, v29
	s_and_b64 s[42:43], vcc, s[42:43]
	s_orn2_b64 s[44:45], s[42:43], exec
	s_and_b64 s[50:51], vcc, exec
; %bb.676:                              ;   in Loop: Header=BB1117_674 Depth=1
	s_or_b64 exec, exec, s[46:47]
	s_andn2_b64 s[38:39], s[38:39], exec
	s_and_b64 s[42:43], s[44:45], exec
	s_mov_b64 s[48:49], -1
	s_or_b64 s[38:39], s[38:39], s[42:43]
                                        ; implicit-def: $sgpr42_sgpr43
	s_and_saveexec_b64 s[46:47], s[50:51]
	s_cbranch_execz .LBB1117_673
; %bb.677:                              ;   in Loop: Header=BB1117_674 Depth=1
	s_add_u32 s40, s40, -1
	v_add_co_u32_e32 v4, vcc, 2, v4
	s_addc_u32 s41, s41, -1
	v_addc_co_u32_e32 v5, vcc, 0, v5, vcc
	s_cmp_eq_u64 s[40:41], 0
	v_add_co_u32_e32 v6, vcc, 2, v6
	s_cselect_b64 s[48:49], -1, 0
	v_addc_co_u32_e32 v7, vcc, 0, v7, vcc
	s_and_b64 s[42:43], s[44:45], exec
	s_andn2_b64 s[38:39], s[38:39], exec
	s_orn2_b64 s[48:49], s[48:49], exec
	s_branch .LBB1117_673
.LBB1117_678:
	s_or_b64 exec, exec, s[34:35]
	s_xor_b64 s[34:35], s[36:37], -1
	s_andn2_b64 s[26:27], s[26:27], exec
	s_and_b64 s[34:35], s[34:35], exec
	s_or_b64 s[26:27], s[26:27], s[34:35]
.LBB1117_679:
	s_or_b64 exec, exec, s[30:31]
	s_orn2_b64 s[26:27], s[26:27], exec
.LBB1117_680:
	s_or_b64 exec, exec, s[28:29]
	v_cndmask_b32_e64 v4, v9, v8, s[26:27]
	v_cndmask_b32_e64 v5, v25, v24, s[26:27]
	v_add_u32_e32 v6, 1, v4
	v_add_u32_e32 v4, -1, v5
	v_min_u32_e32 v4, v6, v4
	v_lshl_add_u32 v4, v4, 3, v18
	ds_read_b64 v[4:5], v4
	v_cndmask_b32_e64 v9, v6, v9, s[26:27]
	v_cndmask_b32_e64 v8, v8, v6, s[26:27]
	v_cmp_lt_u32_e32 vcc, v9, v25
	s_waitcnt lgkmcnt(0)
	v_cndmask_b32_e64 v28, v5, v10, s[26:27]
	v_cndmask_b32_e64 v29, v4, v11, s[26:27]
	;; [unrolled: 1-line block ×4, first 2 shown]
	s_and_saveexec_b64 s[28:29], vcc
	s_cbranch_execz .LBB1117_690
; %bb.681:
	v_cmp_lt_u32_e64 s[10:11], v8, v24
	s_and_b64 s[34:35], s[10:11], s[20:21]
	s_and_saveexec_b64 s[30:31], s[34:35]
	s_cbranch_execz .LBB1117_689
; %bb.682:
	v_mul_lo_u32 v6, v28, s12
	v_mul_lo_u32 v7, v29, s13
	v_mad_u64_u32 v[4:5], s[34:35], v29, s12, 0
	v_add3_u32 v5, v5, v7, v6
	v_lshlrev_b64 v[4:5], 1, v[4:5]
	v_mov_b32_e32 v6, s15
	v_add_co_u32_e32 v4, vcc, s14, v4
	v_addc_co_u32_e32 v5, vcc, v6, v5, vcc
	v_mul_lo_u32 v32, v30, s12
	v_mul_lo_u32 v33, v31, s13
	v_mad_u64_u32 v[6:7], s[34:35], v31, s12, 0
	v_add3_u32 v7, v7, v33, v32
	v_lshlrev_b64 v[6:7], 1, v[6:7]
	v_mov_b32_e32 v32, s15
	v_add_co_u32_e32 v6, vcc, s14, v6
	v_addc_co_u32_e32 v7, vcc, v32, v7, vcc
	s_mov_b64 s[34:35], 0
	s_mov_b64 s[40:41], s[12:13]
                                        ; implicit-def: $sgpr36_sgpr37
                                        ; implicit-def: $sgpr38_sgpr39
                                        ; implicit-def: $sgpr42_sgpr43
	s_branch .LBB1117_684
.LBB1117_683:                           ;   in Loop: Header=BB1117_684 Depth=1
	s_or_b64 exec, exec, s[46:47]
	s_and_b64 s[44:45], exec, s[48:49]
	s_or_b64 s[34:35], s[44:45], s[34:35]
	s_andn2_b64 s[36:37], s[36:37], exec
	s_and_b64 s[44:45], s[38:39], exec
	s_or_b64 s[36:37], s[36:37], s[44:45]
	s_andn2_b64 exec, exec, s[34:35]
	s_cbranch_execz .LBB1117_688
.LBB1117_684:                           ; =>This Inner Loop Header: Depth=1
	global_load_ushort v32, v[4:5], off
	global_load_ushort v33, v[6:7], off
	s_mov_b64 s[50:51], 0
	s_mov_b64 s[44:45], -1
	s_waitcnt vmcnt(1)
	v_lshlrev_b32_e32 v32, 16, v32
	s_waitcnt vmcnt(0)
	v_lshlrev_b32_e32 v33, 16, v33
	v_cmp_nlt_f32_e32 vcc, v32, v33
	s_and_saveexec_b64 s[46:47], vcc
; %bb.685:                              ;   in Loop: Header=BB1117_684 Depth=1
	v_cmp_ngt_f32_e32 vcc, v32, v33
	s_and_b64 s[42:43], vcc, s[42:43]
	s_orn2_b64 s[44:45], s[42:43], exec
	s_and_b64 s[50:51], vcc, exec
; %bb.686:                              ;   in Loop: Header=BB1117_684 Depth=1
	s_or_b64 exec, exec, s[46:47]
	s_andn2_b64 s[38:39], s[38:39], exec
	s_and_b64 s[42:43], s[44:45], exec
	s_mov_b64 s[48:49], -1
	s_or_b64 s[38:39], s[38:39], s[42:43]
                                        ; implicit-def: $sgpr42_sgpr43
	s_and_saveexec_b64 s[46:47], s[50:51]
	s_cbranch_execz .LBB1117_683
; %bb.687:                              ;   in Loop: Header=BB1117_684 Depth=1
	s_add_u32 s40, s40, -1
	v_add_co_u32_e32 v4, vcc, 2, v4
	s_addc_u32 s41, s41, -1
	v_addc_co_u32_e32 v5, vcc, 0, v5, vcc
	s_cmp_eq_u64 s[40:41], 0
	v_add_co_u32_e32 v6, vcc, 2, v6
	s_cselect_b64 s[48:49], -1, 0
	v_addc_co_u32_e32 v7, vcc, 0, v7, vcc
	s_and_b64 s[42:43], s[44:45], exec
	s_andn2_b64 s[38:39], s[38:39], exec
	s_orn2_b64 s[48:49], s[48:49], exec
	s_branch .LBB1117_683
.LBB1117_688:
	s_or_b64 exec, exec, s[34:35]
	s_xor_b64 s[34:35], s[36:37], -1
	s_andn2_b64 s[10:11], s[10:11], exec
	s_and_b64 s[34:35], s[34:35], exec
	s_or_b64 s[10:11], s[10:11], s[34:35]
.LBB1117_689:
	s_or_b64 exec, exec, s[30:31]
	s_orn2_b64 s[10:11], s[10:11], exec
.LBB1117_690:
	s_or_b64 exec, exec, s[28:29]
	v_cndmask_b32_e64 v4, v9, v8, s[10:11]
	v_cndmask_b32_e64 v5, v25, v24, s[10:11]
	v_add_u32_e32 v33, 1, v4
	v_add_u32_e32 v4, -1, v5
	v_min_u32_e32 v4, v33, v4
	v_lshl_add_u32 v4, v4, 3, v18
	ds_read_b64 v[4:5], v4
	v_cndmask_b32_e64 v9, v33, v9, s[10:11]
	v_cmp_lt_u32_e32 vcc, v9, v25
	s_waitcnt lgkmcnt(0)
	v_cndmask_b32_e64 v7, v30, v5, s[10:11]
	v_cndmask_b32_e64 v6, v31, v4, s[10:11]
	s_and_saveexec_b64 s[28:29], vcc
	s_cbranch_execz .LBB1117_700
; %bb.691:
	v_cndmask_b32_e64 v32, v4, v29, s[10:11]
	v_cndmask_b32_e64 v4, v8, v33, s[10:11]
	v_cmp_ge_u32_e32 vcc, v4, v24
	v_cndmask_b32_e64 v25, v5, v28, s[10:11]
	s_or_b64 s[30:31], vcc, s[18:19]
	v_cndmask_b32_e32 v5, v7, v25, vcc
	s_xor_b64 s[34:35], s[30:31], -1
	v_cndmask_b32_e32 v4, v6, v32, vcc
	s_and_saveexec_b64 s[30:31], s[34:35]
	s_cbranch_execz .LBB1117_699
; %bb.692:
	v_mul_lo_u32 v8, v25, s12
	v_mul_lo_u32 v9, v32, s13
	v_mad_u64_u32 v[4:5], s[34:35], v32, s12, 0
	v_add3_u32 v5, v5, v9, v8
	v_lshlrev_b64 v[4:5], 1, v[4:5]
	v_mov_b32_e32 v8, s15
	v_add_co_u32_e32 v4, vcc, s14, v4
	v_addc_co_u32_e32 v5, vcc, v8, v5, vcc
	v_mul_lo_u32 v24, v7, s12
	v_mul_lo_u32 v33, v6, s13
	v_mad_u64_u32 v[8:9], s[34:35], v6, s12, 0
	v_add3_u32 v9, v9, v33, v24
	v_lshlrev_b64 v[8:9], 1, v[8:9]
	v_mov_b32_e32 v24, s15
	v_add_co_u32_e32 v8, vcc, s14, v8
	v_addc_co_u32_e32 v9, vcc, v24, v9, vcc
	s_mov_b64 s[34:35], 0
	s_mov_b64 s[40:41], s[12:13]
                                        ; implicit-def: $sgpr36_sgpr37
                                        ; implicit-def: $sgpr38_sgpr39
                                        ; implicit-def: $sgpr42_sgpr43
	s_branch .LBB1117_694
.LBB1117_693:                           ;   in Loop: Header=BB1117_694 Depth=1
	s_or_b64 exec, exec, s[46:47]
	s_and_b64 s[44:45], exec, s[48:49]
	s_or_b64 s[34:35], s[44:45], s[34:35]
	s_andn2_b64 s[36:37], s[36:37], exec
	s_and_b64 s[44:45], s[38:39], exec
	s_or_b64 s[36:37], s[36:37], s[44:45]
	s_andn2_b64 exec, exec, s[34:35]
	s_cbranch_execz .LBB1117_698
.LBB1117_694:                           ; =>This Inner Loop Header: Depth=1
	global_load_ushort v24, v[4:5], off
	global_load_ushort v33, v[8:9], off
	s_mov_b64 s[50:51], 0
	s_mov_b64 s[44:45], -1
	s_waitcnt vmcnt(1)
	v_lshlrev_b32_e32 v24, 16, v24
	s_waitcnt vmcnt(0)
	v_lshlrev_b32_e32 v33, 16, v33
	v_cmp_nlt_f32_e32 vcc, v24, v33
	s_and_saveexec_b64 s[46:47], vcc
; %bb.695:                              ;   in Loop: Header=BB1117_694 Depth=1
	v_cmp_ngt_f32_e32 vcc, v24, v33
	s_and_b64 s[42:43], vcc, s[42:43]
	s_orn2_b64 s[44:45], s[42:43], exec
	s_and_b64 s[50:51], vcc, exec
; %bb.696:                              ;   in Loop: Header=BB1117_694 Depth=1
	s_or_b64 exec, exec, s[46:47]
	s_andn2_b64 s[38:39], s[38:39], exec
	s_and_b64 s[42:43], s[44:45], exec
	s_mov_b64 s[48:49], -1
	s_or_b64 s[38:39], s[38:39], s[42:43]
                                        ; implicit-def: $sgpr42_sgpr43
	s_and_saveexec_b64 s[46:47], s[50:51]
	s_cbranch_execz .LBB1117_693
; %bb.697:                              ;   in Loop: Header=BB1117_694 Depth=1
	s_add_u32 s40, s40, -1
	v_add_co_u32_e32 v4, vcc, 2, v4
	s_addc_u32 s41, s41, -1
	v_addc_co_u32_e32 v5, vcc, 0, v5, vcc
	s_cmp_eq_u64 s[40:41], 0
	v_add_co_u32_e32 v8, vcc, 2, v8
	s_cselect_b64 s[48:49], -1, 0
	v_addc_co_u32_e32 v9, vcc, 0, v9, vcc
	s_and_b64 s[42:43], s[44:45], exec
	s_andn2_b64 s[38:39], s[38:39], exec
	s_orn2_b64 s[48:49], s[48:49], exec
	s_branch .LBB1117_693
.LBB1117_698:
	s_or_b64 exec, exec, s[34:35]
	v_cndmask_b32_e64 v5, v7, v25, s[36:37]
	v_cndmask_b32_e64 v4, v6, v32, s[36:37]
.LBB1117_699:
	s_or_b64 exec, exec, s[30:31]
	v_pk_mov_b32 v[6:7], v[4:5], v[4:5] op_sel:[0,1]
.LBB1117_700:
	s_or_b64 exec, exec, s[28:29]
	v_cndmask_b32_e64 v1, v3, v1, s[8:9]
	v_cndmask_b32_e64 v0, v2, v0, s[8:9]
	;; [unrolled: 1-line block ×6, first 2 shown]
.LBB1117_701:
	s_or_b64 exec, exec, s[22:23]
	v_and_b32_e32 v28, 0x1e0, v20
	v_or_b32_e32 v8, 16, v28
	v_min_u32_e32 v24, v19, v8
	v_add_u32_e32 v8, 16, v24
	v_min_u32_e32 v25, v19, v8
	v_and_b32_e32 v8, 28, v20
	v_min_u32_e32 v29, v19, v8
	v_sub_u32_e32 v8, v24, v28
	v_sub_u32_e32 v9, v25, v24
	v_sub_u32_e64 v27, v29, v9 clamp
	v_min_u32_e32 v30, v29, v8
	v_lshl_add_u32 v26, v28, 3, v18
	v_cmp_lt_u32_e32 vcc, v27, v30
	; wave barrier
	ds_write_b128 v21, v[0:3]
	ds_write_b128 v21, v[4:7] offset:16
	; wave barrier
	s_and_saveexec_b64 s[8:9], vcc
	s_cbranch_execz .LBB1117_713
; %bb.702:
	v_lshlrev_b32_e32 v8, 3, v24
	v_lshlrev_b32_e32 v9, 3, v29
	v_add3_u32 v31, v18, v8, v9
	s_lshl_b64 s[22:23], s[12:13], 1
	s_mov_b64 s[10:11], 0
	s_branch .LBB1117_705
.LBB1117_703:                           ;   in Loop: Header=BB1117_705 Depth=1
	s_or_b64 exec, exec, s[28:29]
.LBB1117_704:                           ;   in Loop: Header=BB1117_705 Depth=1
	v_add_u32_e32 v8, 1, v32
	v_cndmask_b32_e64 v30, v30, v32, s[26:27]
	v_cndmask_b32_e64 v27, v8, v27, s[26:27]
	v_cmp_ge_u32_e32 vcc, v27, v30
	s_or_b64 s[10:11], vcc, s[10:11]
	s_andn2_b64 exec, exec, s[10:11]
	s_cbranch_execz .LBB1117_712
.LBB1117_705:                           ; =>This Loop Header: Depth=1
                                        ;     Child Loop BB1117_708 Depth 2
	v_add_u32_e32 v8, v30, v27
	v_lshrrev_b32_e32 v32, 1, v8
	s_and_b64 vcc, exec, s[6:7]
	s_mov_b64 s[26:27], 0
	s_cbranch_vccnz .LBB1117_704
; %bb.706:                              ;   in Loop: Header=BB1117_705 Depth=1
	v_not_b32_e32 v8, v32
	v_lshl_add_u32 v8, v8, 3, v31
	ds_read_b64 v[8:9], v8
	v_lshl_add_u32 v33, v32, 3, v26
	ds_read_b64 v[34:35], v33
	v_pk_mov_b32 v[10:11], s[14:15], s[14:15] op_sel:[0,1]
	s_mov_b64 s[28:29], 0
	s_waitcnt lgkmcnt(1)
	v_mul_lo_u32 v33, s22, v9
	v_mul_lo_u32 v36, s23, v8
	v_mad_u64_u32 v[8:9], s[26:27], s22, v8, v[10:11]
	v_add3_u32 v9, v36, v9, v33
	s_waitcnt lgkmcnt(0)
	v_mul_lo_u32 v33, s22, v35
	v_mul_lo_u32 v35, s23, v34
	v_mad_u64_u32 v[10:11], s[26:27], s22, v34, v[10:11]
	v_add3_u32 v11, v35, v11, v33
	s_mov_b64 s[34:35], s[12:13]
                                        ; implicit-def: $sgpr26_sgpr27
                                        ; implicit-def: $sgpr30_sgpr31
                                        ; implicit-def: $sgpr36_sgpr37
	s_branch .LBB1117_708
.LBB1117_707:                           ;   in Loop: Header=BB1117_708 Depth=2
	s_or_b64 exec, exec, s[42:43]
	s_and_b64 s[38:39], exec, s[38:39]
	s_or_b64 s[28:29], s[38:39], s[28:29]
	s_andn2_b64 s[26:27], s[26:27], exec
	s_and_b64 s[38:39], s[30:31], exec
	s_or_b64 s[26:27], s[26:27], s[38:39]
	s_andn2_b64 exec, exec, s[28:29]
	s_cbranch_execz .LBB1117_703
.LBB1117_708:                           ;   Parent Loop BB1117_705 Depth=1
                                        ; =>  This Inner Loop Header: Depth=2
	global_load_ushort v33, v[8:9], off
	global_load_ushort v34, v[10:11], off
	s_mov_b64 s[38:39], -1
	s_mov_b64 s[44:45], 0
	s_mov_b64 s[40:41], -1
	s_waitcnt vmcnt(1)
	v_lshlrev_b32_e32 v33, 16, v33
	s_waitcnt vmcnt(0)
	v_lshlrev_b32_e32 v34, 16, v34
	v_cmp_nlt_f32_e32 vcc, v33, v34
	s_and_saveexec_b64 s[42:43], vcc
; %bb.709:                              ;   in Loop: Header=BB1117_708 Depth=2
	v_cmp_ngt_f32_e32 vcc, v33, v34
	s_and_b64 s[36:37], vcc, s[36:37]
	s_orn2_b64 s[40:41], s[36:37], exec
	s_and_b64 s[44:45], vcc, exec
; %bb.710:                              ;   in Loop: Header=BB1117_708 Depth=2
	s_or_b64 exec, exec, s[42:43]
	s_andn2_b64 s[30:31], s[30:31], exec
	s_and_b64 s[36:37], s[40:41], exec
	s_or_b64 s[30:31], s[30:31], s[36:37]
                                        ; implicit-def: $sgpr36_sgpr37
	s_and_saveexec_b64 s[42:43], s[44:45]
	s_cbranch_execz .LBB1117_707
; %bb.711:                              ;   in Loop: Header=BB1117_708 Depth=2
	s_add_u32 s34, s34, -1
	v_add_co_u32_e32 v8, vcc, 2, v8
	s_addc_u32 s35, s35, -1
	v_addc_co_u32_e32 v9, vcc, 0, v9, vcc
	s_cmp_eq_u64 s[34:35], 0
	v_add_co_u32_e32 v10, vcc, 2, v10
	s_cselect_b64 s[38:39], -1, 0
	v_addc_co_u32_e32 v11, vcc, 0, v11, vcc
	s_andn2_b64 s[30:31], s[30:31], exec
	s_and_b64 s[36:37], s[40:41], exec
	s_orn2_b64 s[38:39], s[38:39], exec
	s_branch .LBB1117_707
.LBB1117_712:
	s_or_b64 exec, exec, s[10:11]
.LBB1117_713:
	s_or_b64 exec, exec, s[8:9]
	v_add_u32_e32 v9, v24, v29
	v_add_u32_e32 v8, v27, v28
	v_sub_u32_e32 v9, v9, v27
	v_cmp_le_u32_e32 vcc, v8, v24
	v_cmp_le_u32_e64 s[8:9], v9, v25
	s_or_b64 s[8:9], vcc, s[8:9]
	s_and_saveexec_b64 s[22:23], s[8:9]
	s_cbranch_execz .LBB1117_757
; %bb.714:
	v_cmp_ge_u32_e32 vcc, v8, v24
	v_cmp_lt_u32_e64 s[8:9], v8, v24
                                        ; implicit-def: $vgpr0_vgpr1
	s_and_saveexec_b64 s[10:11], s[8:9]
	s_cbranch_execz .LBB1117_716
; %bb.715:
	v_lshl_add_u32 v0, v27, 3, v26
	ds_read_b64 v[0:1], v0
.LBB1117_716:
	s_or_b64 exec, exec, s[10:11]
	v_cmp_ge_u32_e64 s[8:9], v9, v25
	v_cmp_lt_u32_e64 s[10:11], v9, v25
                                        ; implicit-def: $vgpr2_vgpr3
	s_and_saveexec_b64 s[26:27], s[10:11]
	s_cbranch_execz .LBB1117_718
; %bb.717:
	v_lshl_add_u32 v2, v9, 3, v18
	ds_read_b64 v[2:3], v2
.LBB1117_718:
	s_or_b64 exec, exec, s[26:27]
	s_or_b64 s[10:11], vcc, s[8:9]
	s_or_b64 s[10:11], s[10:11], s[18:19]
	s_xor_b64 s[26:27], s[10:11], -1
	s_xor_b64 s[10:11], vcc, -1
	s_or_b64 s[8:9], s[8:9], s[10:11]
	s_and_saveexec_b64 s[10:11], s[26:27]
	s_cbranch_execz .LBB1117_726
; %bb.719:
	s_waitcnt lgkmcnt(0)
	v_mul_lo_u32 v6, v3, s12
	v_mul_lo_u32 v7, v2, s13
	v_mad_u64_u32 v[4:5], s[26:27], v2, s12, 0
	v_add3_u32 v5, v5, v7, v6
	v_lshlrev_b64 v[4:5], 1, v[4:5]
	v_mov_b32_e32 v6, s15
	v_add_co_u32_e32 v4, vcc, s14, v4
	v_addc_co_u32_e32 v5, vcc, v6, v5, vcc
	v_mul_lo_u32 v10, v1, s12
	v_mul_lo_u32 v11, v0, s13
	v_mad_u64_u32 v[6:7], s[26:27], v0, s12, 0
	v_add3_u32 v7, v7, v11, v10
	v_lshlrev_b64 v[6:7], 1, v[6:7]
	v_mov_b32_e32 v10, s15
	v_add_co_u32_e32 v6, vcc, s14, v6
	v_addc_co_u32_e32 v7, vcc, v10, v7, vcc
	s_mov_b64 s[26:27], 0
	s_mov_b64 s[34:35], s[12:13]
                                        ; implicit-def: $sgpr28_sgpr29
                                        ; implicit-def: $sgpr30_sgpr31
                                        ; implicit-def: $sgpr36_sgpr37
	s_branch .LBB1117_721
.LBB1117_720:                           ;   in Loop: Header=BB1117_721 Depth=1
	s_or_b64 exec, exec, s[40:41]
	s_and_b64 s[38:39], exec, s[42:43]
	s_or_b64 s[26:27], s[38:39], s[26:27]
	s_andn2_b64 s[28:29], s[28:29], exec
	s_and_b64 s[38:39], s[30:31], exec
	s_or_b64 s[28:29], s[28:29], s[38:39]
	s_andn2_b64 exec, exec, s[26:27]
	s_cbranch_execz .LBB1117_725
.LBB1117_721:                           ; =>This Inner Loop Header: Depth=1
	global_load_ushort v10, v[4:5], off
	global_load_ushort v11, v[6:7], off
	s_mov_b64 s[44:45], 0
	s_mov_b64 s[38:39], -1
	s_waitcnt vmcnt(1)
	v_lshlrev_b32_e32 v10, 16, v10
	s_waitcnt vmcnt(0)
	v_lshlrev_b32_e32 v11, 16, v11
	v_cmp_nlt_f32_e32 vcc, v10, v11
	s_and_saveexec_b64 s[40:41], vcc
; %bb.722:                              ;   in Loop: Header=BB1117_721 Depth=1
	v_cmp_ngt_f32_e32 vcc, v10, v11
	s_and_b64 s[36:37], vcc, s[36:37]
	s_orn2_b64 s[38:39], s[36:37], exec
	s_and_b64 s[44:45], vcc, exec
; %bb.723:                              ;   in Loop: Header=BB1117_721 Depth=1
	s_or_b64 exec, exec, s[40:41]
	s_andn2_b64 s[30:31], s[30:31], exec
	s_and_b64 s[36:37], s[38:39], exec
	s_mov_b64 s[42:43], -1
	s_or_b64 s[30:31], s[30:31], s[36:37]
                                        ; implicit-def: $sgpr36_sgpr37
	s_and_saveexec_b64 s[40:41], s[44:45]
	s_cbranch_execz .LBB1117_720
; %bb.724:                              ;   in Loop: Header=BB1117_721 Depth=1
	s_add_u32 s34, s34, -1
	v_add_co_u32_e32 v4, vcc, 2, v4
	s_addc_u32 s35, s35, -1
	v_addc_co_u32_e32 v5, vcc, 0, v5, vcc
	s_cmp_eq_u64 s[34:35], 0
	v_add_co_u32_e32 v6, vcc, 2, v6
	s_cselect_b64 s[42:43], -1, 0
	v_addc_co_u32_e32 v7, vcc, 0, v7, vcc
	s_and_b64 s[36:37], s[38:39], exec
	s_andn2_b64 s[30:31], s[30:31], exec
	s_orn2_b64 s[42:43], s[42:43], exec
	s_branch .LBB1117_720
.LBB1117_725:
	s_or_b64 exec, exec, s[26:27]
	s_xor_b64 s[26:27], s[28:29], -1
	s_andn2_b64 s[8:9], s[8:9], exec
	s_and_b64 s[26:27], s[26:27], exec
	s_or_b64 s[8:9], s[8:9], s[26:27]
.LBB1117_726:
	s_or_b64 exec, exec, s[10:11]
	v_cndmask_b32_e64 v4, v9, v8, s[8:9]
	v_cndmask_b32_e64 v5, v25, v24, s[8:9]
	v_add_u32_e32 v6, 1, v4
	v_add_u32_e32 v4, -1, v5
	v_min_u32_e32 v4, v6, v4
	v_lshl_add_u32 v4, v4, 3, v18
	ds_read_b64 v[4:5], v4
	v_cndmask_b32_e64 v9, v6, v9, s[8:9]
	v_cndmask_b32_e64 v8, v8, v6, s[8:9]
	v_cmp_lt_u32_e32 vcc, v9, v25
	s_mov_b64 s[10:11], -1
	s_waitcnt lgkmcnt(0)
	v_cndmask_b32_e64 v10, v5, v3, s[8:9]
	v_cndmask_b32_e64 v11, v4, v2, s[8:9]
	;; [unrolled: 1-line block ×4, first 2 shown]
	s_mov_b64 s[26:27], -1
	s_and_saveexec_b64 s[28:29], vcc
	s_cbranch_execz .LBB1117_736
; %bb.727:
	v_cmp_lt_u32_e64 s[26:27], v8, v24
	s_and_b64 s[34:35], s[26:27], s[20:21]
	s_and_saveexec_b64 s[30:31], s[34:35]
	s_cbranch_execz .LBB1117_735
; %bb.728:
	v_mul_lo_u32 v6, v10, s12
	v_mul_lo_u32 v7, v11, s13
	v_mad_u64_u32 v[4:5], s[34:35], v11, s12, 0
	v_add3_u32 v5, v5, v7, v6
	v_lshlrev_b64 v[4:5], 1, v[4:5]
	v_mov_b32_e32 v6, s15
	v_add_co_u32_e32 v4, vcc, s14, v4
	v_addc_co_u32_e32 v5, vcc, v6, v5, vcc
	v_mul_lo_u32 v28, v26, s12
	v_mul_lo_u32 v29, v27, s13
	v_mad_u64_u32 v[6:7], s[34:35], v27, s12, 0
	v_add3_u32 v7, v7, v29, v28
	v_lshlrev_b64 v[6:7], 1, v[6:7]
	v_mov_b32_e32 v28, s15
	v_add_co_u32_e32 v6, vcc, s14, v6
	v_addc_co_u32_e32 v7, vcc, v28, v7, vcc
	s_mov_b64 s[34:35], 0
	s_mov_b64 s[40:41], s[12:13]
                                        ; implicit-def: $sgpr36_sgpr37
                                        ; implicit-def: $sgpr38_sgpr39
                                        ; implicit-def: $sgpr42_sgpr43
	s_branch .LBB1117_730
.LBB1117_729:                           ;   in Loop: Header=BB1117_730 Depth=1
	s_or_b64 exec, exec, s[46:47]
	s_and_b64 s[44:45], exec, s[48:49]
	s_or_b64 s[34:35], s[44:45], s[34:35]
	s_andn2_b64 s[36:37], s[36:37], exec
	s_and_b64 s[44:45], s[38:39], exec
	s_or_b64 s[36:37], s[36:37], s[44:45]
	s_andn2_b64 exec, exec, s[34:35]
	s_cbranch_execz .LBB1117_734
.LBB1117_730:                           ; =>This Inner Loop Header: Depth=1
	global_load_ushort v28, v[4:5], off
	global_load_ushort v29, v[6:7], off
	s_mov_b64 s[50:51], 0
	s_mov_b64 s[44:45], -1
	s_waitcnt vmcnt(1)
	v_lshlrev_b32_e32 v28, 16, v28
	s_waitcnt vmcnt(0)
	v_lshlrev_b32_e32 v29, 16, v29
	v_cmp_nlt_f32_e32 vcc, v28, v29
	s_and_saveexec_b64 s[46:47], vcc
; %bb.731:                              ;   in Loop: Header=BB1117_730 Depth=1
	v_cmp_ngt_f32_e32 vcc, v28, v29
	s_and_b64 s[42:43], vcc, s[42:43]
	s_orn2_b64 s[44:45], s[42:43], exec
	s_and_b64 s[50:51], vcc, exec
; %bb.732:                              ;   in Loop: Header=BB1117_730 Depth=1
	s_or_b64 exec, exec, s[46:47]
	s_andn2_b64 s[38:39], s[38:39], exec
	s_and_b64 s[42:43], s[44:45], exec
	s_mov_b64 s[48:49], -1
	s_or_b64 s[38:39], s[38:39], s[42:43]
                                        ; implicit-def: $sgpr42_sgpr43
	s_and_saveexec_b64 s[46:47], s[50:51]
	s_cbranch_execz .LBB1117_729
; %bb.733:                              ;   in Loop: Header=BB1117_730 Depth=1
	s_add_u32 s40, s40, -1
	v_add_co_u32_e32 v4, vcc, 2, v4
	s_addc_u32 s41, s41, -1
	v_addc_co_u32_e32 v5, vcc, 0, v5, vcc
	s_cmp_eq_u64 s[40:41], 0
	v_add_co_u32_e32 v6, vcc, 2, v6
	s_cselect_b64 s[48:49], -1, 0
	v_addc_co_u32_e32 v7, vcc, 0, v7, vcc
	s_and_b64 s[42:43], s[44:45], exec
	s_andn2_b64 s[38:39], s[38:39], exec
	s_orn2_b64 s[48:49], s[48:49], exec
	s_branch .LBB1117_729
.LBB1117_734:
	s_or_b64 exec, exec, s[34:35]
	s_xor_b64 s[34:35], s[36:37], -1
	s_andn2_b64 s[26:27], s[26:27], exec
	s_and_b64 s[34:35], s[34:35], exec
	s_or_b64 s[26:27], s[26:27], s[34:35]
.LBB1117_735:
	s_or_b64 exec, exec, s[30:31]
	s_orn2_b64 s[26:27], s[26:27], exec
.LBB1117_736:
	s_or_b64 exec, exec, s[28:29]
	v_cndmask_b32_e64 v4, v9, v8, s[26:27]
	v_cndmask_b32_e64 v5, v25, v24, s[26:27]
	v_add_u32_e32 v6, 1, v4
	v_add_u32_e32 v4, -1, v5
	v_min_u32_e32 v4, v6, v4
	v_lshl_add_u32 v4, v4, 3, v18
	ds_read_b64 v[4:5], v4
	v_cndmask_b32_e64 v9, v6, v9, s[26:27]
	v_cndmask_b32_e64 v8, v8, v6, s[26:27]
	v_cmp_lt_u32_e32 vcc, v9, v25
	s_waitcnt lgkmcnt(0)
	v_cndmask_b32_e64 v28, v5, v10, s[26:27]
	v_cndmask_b32_e64 v29, v4, v11, s[26:27]
	;; [unrolled: 1-line block ×4, first 2 shown]
	s_and_saveexec_b64 s[28:29], vcc
	s_cbranch_execz .LBB1117_746
; %bb.737:
	v_cmp_lt_u32_e64 s[10:11], v8, v24
	s_and_b64 s[34:35], s[10:11], s[20:21]
	s_and_saveexec_b64 s[30:31], s[34:35]
	s_cbranch_execz .LBB1117_745
; %bb.738:
	v_mul_lo_u32 v6, v28, s12
	v_mul_lo_u32 v7, v29, s13
	v_mad_u64_u32 v[4:5], s[34:35], v29, s12, 0
	v_add3_u32 v5, v5, v7, v6
	v_lshlrev_b64 v[4:5], 1, v[4:5]
	v_mov_b32_e32 v6, s15
	v_add_co_u32_e32 v4, vcc, s14, v4
	v_addc_co_u32_e32 v5, vcc, v6, v5, vcc
	v_mul_lo_u32 v32, v30, s12
	v_mul_lo_u32 v33, v31, s13
	v_mad_u64_u32 v[6:7], s[34:35], v31, s12, 0
	v_add3_u32 v7, v7, v33, v32
	v_lshlrev_b64 v[6:7], 1, v[6:7]
	v_mov_b32_e32 v32, s15
	v_add_co_u32_e32 v6, vcc, s14, v6
	v_addc_co_u32_e32 v7, vcc, v32, v7, vcc
	s_mov_b64 s[34:35], 0
	s_mov_b64 s[40:41], s[12:13]
                                        ; implicit-def: $sgpr36_sgpr37
                                        ; implicit-def: $sgpr38_sgpr39
                                        ; implicit-def: $sgpr42_sgpr43
	s_branch .LBB1117_740
.LBB1117_739:                           ;   in Loop: Header=BB1117_740 Depth=1
	s_or_b64 exec, exec, s[46:47]
	s_and_b64 s[44:45], exec, s[48:49]
	s_or_b64 s[34:35], s[44:45], s[34:35]
	s_andn2_b64 s[36:37], s[36:37], exec
	s_and_b64 s[44:45], s[38:39], exec
	s_or_b64 s[36:37], s[36:37], s[44:45]
	s_andn2_b64 exec, exec, s[34:35]
	s_cbranch_execz .LBB1117_744
.LBB1117_740:                           ; =>This Inner Loop Header: Depth=1
	global_load_ushort v32, v[4:5], off
	global_load_ushort v33, v[6:7], off
	s_mov_b64 s[50:51], 0
	s_mov_b64 s[44:45], -1
	s_waitcnt vmcnt(1)
	v_lshlrev_b32_e32 v32, 16, v32
	s_waitcnt vmcnt(0)
	v_lshlrev_b32_e32 v33, 16, v33
	v_cmp_nlt_f32_e32 vcc, v32, v33
	s_and_saveexec_b64 s[46:47], vcc
; %bb.741:                              ;   in Loop: Header=BB1117_740 Depth=1
	v_cmp_ngt_f32_e32 vcc, v32, v33
	s_and_b64 s[42:43], vcc, s[42:43]
	s_orn2_b64 s[44:45], s[42:43], exec
	s_and_b64 s[50:51], vcc, exec
; %bb.742:                              ;   in Loop: Header=BB1117_740 Depth=1
	s_or_b64 exec, exec, s[46:47]
	s_andn2_b64 s[38:39], s[38:39], exec
	s_and_b64 s[42:43], s[44:45], exec
	s_mov_b64 s[48:49], -1
	s_or_b64 s[38:39], s[38:39], s[42:43]
                                        ; implicit-def: $sgpr42_sgpr43
	s_and_saveexec_b64 s[46:47], s[50:51]
	s_cbranch_execz .LBB1117_739
; %bb.743:                              ;   in Loop: Header=BB1117_740 Depth=1
	s_add_u32 s40, s40, -1
	v_add_co_u32_e32 v4, vcc, 2, v4
	s_addc_u32 s41, s41, -1
	v_addc_co_u32_e32 v5, vcc, 0, v5, vcc
	s_cmp_eq_u64 s[40:41], 0
	v_add_co_u32_e32 v6, vcc, 2, v6
	s_cselect_b64 s[48:49], -1, 0
	v_addc_co_u32_e32 v7, vcc, 0, v7, vcc
	s_and_b64 s[42:43], s[44:45], exec
	s_andn2_b64 s[38:39], s[38:39], exec
	s_orn2_b64 s[48:49], s[48:49], exec
	s_branch .LBB1117_739
.LBB1117_744:
	s_or_b64 exec, exec, s[34:35]
	s_xor_b64 s[34:35], s[36:37], -1
	s_andn2_b64 s[10:11], s[10:11], exec
	s_and_b64 s[34:35], s[34:35], exec
	s_or_b64 s[10:11], s[10:11], s[34:35]
.LBB1117_745:
	s_or_b64 exec, exec, s[30:31]
	s_orn2_b64 s[10:11], s[10:11], exec
.LBB1117_746:
	s_or_b64 exec, exec, s[28:29]
	v_cndmask_b32_e64 v4, v9, v8, s[10:11]
	v_cndmask_b32_e64 v5, v25, v24, s[10:11]
	v_add_u32_e32 v33, 1, v4
	v_add_u32_e32 v4, -1, v5
	v_min_u32_e32 v4, v33, v4
	v_lshl_add_u32 v4, v4, 3, v18
	ds_read_b64 v[4:5], v4
	v_cndmask_b32_e64 v9, v33, v9, s[10:11]
	v_cmp_lt_u32_e32 vcc, v9, v25
	s_waitcnt lgkmcnt(0)
	v_cndmask_b32_e64 v7, v30, v5, s[10:11]
	v_cndmask_b32_e64 v6, v31, v4, s[10:11]
	s_and_saveexec_b64 s[28:29], vcc
	s_cbranch_execz .LBB1117_756
; %bb.747:
	v_cndmask_b32_e64 v32, v4, v29, s[10:11]
	v_cndmask_b32_e64 v4, v8, v33, s[10:11]
	v_cmp_ge_u32_e32 vcc, v4, v24
	v_cndmask_b32_e64 v25, v5, v28, s[10:11]
	s_or_b64 s[30:31], vcc, s[18:19]
	v_cndmask_b32_e32 v5, v7, v25, vcc
	s_xor_b64 s[34:35], s[30:31], -1
	v_cndmask_b32_e32 v4, v6, v32, vcc
	s_and_saveexec_b64 s[30:31], s[34:35]
	s_cbranch_execz .LBB1117_755
; %bb.748:
	v_mul_lo_u32 v8, v25, s12
	v_mul_lo_u32 v9, v32, s13
	v_mad_u64_u32 v[4:5], s[34:35], v32, s12, 0
	v_add3_u32 v5, v5, v9, v8
	v_lshlrev_b64 v[4:5], 1, v[4:5]
	v_mov_b32_e32 v8, s15
	v_add_co_u32_e32 v4, vcc, s14, v4
	v_addc_co_u32_e32 v5, vcc, v8, v5, vcc
	v_mul_lo_u32 v24, v7, s12
	v_mul_lo_u32 v33, v6, s13
	v_mad_u64_u32 v[8:9], s[34:35], v6, s12, 0
	v_add3_u32 v9, v9, v33, v24
	v_lshlrev_b64 v[8:9], 1, v[8:9]
	v_mov_b32_e32 v24, s15
	v_add_co_u32_e32 v8, vcc, s14, v8
	v_addc_co_u32_e32 v9, vcc, v24, v9, vcc
	s_mov_b64 s[34:35], 0
	s_mov_b64 s[40:41], s[12:13]
                                        ; implicit-def: $sgpr36_sgpr37
                                        ; implicit-def: $sgpr38_sgpr39
                                        ; implicit-def: $sgpr42_sgpr43
	s_branch .LBB1117_750
.LBB1117_749:                           ;   in Loop: Header=BB1117_750 Depth=1
	s_or_b64 exec, exec, s[46:47]
	s_and_b64 s[44:45], exec, s[48:49]
	s_or_b64 s[34:35], s[44:45], s[34:35]
	s_andn2_b64 s[36:37], s[36:37], exec
	s_and_b64 s[44:45], s[38:39], exec
	s_or_b64 s[36:37], s[36:37], s[44:45]
	s_andn2_b64 exec, exec, s[34:35]
	s_cbranch_execz .LBB1117_754
.LBB1117_750:                           ; =>This Inner Loop Header: Depth=1
	global_load_ushort v24, v[4:5], off
	global_load_ushort v33, v[8:9], off
	s_mov_b64 s[50:51], 0
	s_mov_b64 s[44:45], -1
	s_waitcnt vmcnt(1)
	v_lshlrev_b32_e32 v24, 16, v24
	s_waitcnt vmcnt(0)
	v_lshlrev_b32_e32 v33, 16, v33
	v_cmp_nlt_f32_e32 vcc, v24, v33
	s_and_saveexec_b64 s[46:47], vcc
; %bb.751:                              ;   in Loop: Header=BB1117_750 Depth=1
	v_cmp_ngt_f32_e32 vcc, v24, v33
	s_and_b64 s[42:43], vcc, s[42:43]
	s_orn2_b64 s[44:45], s[42:43], exec
	s_and_b64 s[50:51], vcc, exec
; %bb.752:                              ;   in Loop: Header=BB1117_750 Depth=1
	s_or_b64 exec, exec, s[46:47]
	s_andn2_b64 s[38:39], s[38:39], exec
	s_and_b64 s[42:43], s[44:45], exec
	s_mov_b64 s[48:49], -1
	s_or_b64 s[38:39], s[38:39], s[42:43]
                                        ; implicit-def: $sgpr42_sgpr43
	s_and_saveexec_b64 s[46:47], s[50:51]
	s_cbranch_execz .LBB1117_749
; %bb.753:                              ;   in Loop: Header=BB1117_750 Depth=1
	s_add_u32 s40, s40, -1
	v_add_co_u32_e32 v4, vcc, 2, v4
	s_addc_u32 s41, s41, -1
	v_addc_co_u32_e32 v5, vcc, 0, v5, vcc
	s_cmp_eq_u64 s[40:41], 0
	v_add_co_u32_e32 v8, vcc, 2, v8
	s_cselect_b64 s[48:49], -1, 0
	v_addc_co_u32_e32 v9, vcc, 0, v9, vcc
	s_and_b64 s[42:43], s[44:45], exec
	s_andn2_b64 s[38:39], s[38:39], exec
	s_orn2_b64 s[48:49], s[48:49], exec
	s_branch .LBB1117_749
.LBB1117_754:
	s_or_b64 exec, exec, s[34:35]
	v_cndmask_b32_e64 v5, v7, v25, s[36:37]
	v_cndmask_b32_e64 v4, v6, v32, s[36:37]
.LBB1117_755:
	s_or_b64 exec, exec, s[30:31]
	v_pk_mov_b32 v[6:7], v[4:5], v[4:5] op_sel:[0,1]
.LBB1117_756:
	s_or_b64 exec, exec, s[28:29]
	v_cndmask_b32_e64 v1, v3, v1, s[8:9]
	v_cndmask_b32_e64 v0, v2, v0, s[8:9]
	;; [unrolled: 1-line block ×6, first 2 shown]
.LBB1117_757:
	s_or_b64 exec, exec, s[22:23]
	v_and_b32_e32 v25, 0x1c0, v20
	v_or_b32_e32 v8, 32, v25
	; wave barrier
	ds_write_b128 v21, v[0:3]
	ds_write_b128 v21, v[4:7] offset:16
	v_min_u32_e32 v21, v19, v8
	v_add_u32_e32 v8, 32, v21
	v_min_u32_e32 v24, v19, v8
	v_and_b32_e32 v8, 60, v20
	v_min_u32_e32 v26, v19, v8
	v_sub_u32_e32 v8, v21, v25
	v_sub_u32_e32 v9, v24, v21
	v_sub_u32_e64 v20, v26, v9 clamp
	v_min_u32_e32 v27, v26, v8
	v_lshl_add_u32 v19, v25, 3, v18
	v_cmp_lt_u32_e32 vcc, v20, v27
	; wave barrier
	s_and_saveexec_b64 s[8:9], vcc
	s_cbranch_execz .LBB1117_769
; %bb.758:
	v_lshlrev_b32_e32 v8, 3, v21
	v_lshlrev_b32_e32 v9, 3, v26
	v_add3_u32 v28, v18, v8, v9
	s_lshl_b64 s[22:23], s[12:13], 1
	s_mov_b64 s[10:11], 0
	s_branch .LBB1117_761
.LBB1117_759:                           ;   in Loop: Header=BB1117_761 Depth=1
	s_or_b64 exec, exec, s[28:29]
.LBB1117_760:                           ;   in Loop: Header=BB1117_761 Depth=1
	v_add_u32_e32 v8, 1, v29
	v_cndmask_b32_e64 v27, v27, v29, s[26:27]
	v_cndmask_b32_e64 v20, v8, v20, s[26:27]
	v_cmp_ge_u32_e32 vcc, v20, v27
	s_or_b64 s[10:11], vcc, s[10:11]
	s_andn2_b64 exec, exec, s[10:11]
	s_cbranch_execz .LBB1117_768
.LBB1117_761:                           ; =>This Loop Header: Depth=1
                                        ;     Child Loop BB1117_764 Depth 2
	v_add_u32_e32 v8, v27, v20
	v_lshrrev_b32_e32 v29, 1, v8
	s_and_b64 vcc, exec, s[6:7]
	s_mov_b64 s[26:27], 0
	s_cbranch_vccnz .LBB1117_760
; %bb.762:                              ;   in Loop: Header=BB1117_761 Depth=1
	v_not_b32_e32 v8, v29
	v_lshl_add_u32 v8, v8, 3, v28
	ds_read_b64 v[8:9], v8
	v_lshl_add_u32 v30, v29, 3, v19
	ds_read_b64 v[30:31], v30
	v_pk_mov_b32 v[10:11], s[14:15], s[14:15] op_sel:[0,1]
	s_mov_b64 s[28:29], 0
	s_waitcnt lgkmcnt(1)
	v_mul_lo_u32 v32, s22, v9
	v_mul_lo_u32 v33, s23, v8
	v_mad_u64_u32 v[8:9], s[26:27], s22, v8, v[10:11]
	v_add3_u32 v9, v33, v9, v32
	s_waitcnt lgkmcnt(0)
	v_mul_lo_u32 v31, s22, v31
	v_mul_lo_u32 v32, s23, v30
	v_mad_u64_u32 v[10:11], s[26:27], s22, v30, v[10:11]
	v_add3_u32 v11, v32, v11, v31
	s_mov_b64 s[34:35], s[12:13]
                                        ; implicit-def: $sgpr26_sgpr27
                                        ; implicit-def: $sgpr30_sgpr31
                                        ; implicit-def: $sgpr36_sgpr37
	s_branch .LBB1117_764
.LBB1117_763:                           ;   in Loop: Header=BB1117_764 Depth=2
	s_or_b64 exec, exec, s[42:43]
	s_and_b64 s[38:39], exec, s[38:39]
	s_or_b64 s[28:29], s[38:39], s[28:29]
	s_andn2_b64 s[26:27], s[26:27], exec
	s_and_b64 s[38:39], s[30:31], exec
	s_or_b64 s[26:27], s[26:27], s[38:39]
	s_andn2_b64 exec, exec, s[28:29]
	s_cbranch_execz .LBB1117_759
.LBB1117_764:                           ;   Parent Loop BB1117_761 Depth=1
                                        ; =>  This Inner Loop Header: Depth=2
	global_load_ushort v30, v[8:9], off
	global_load_ushort v31, v[10:11], off
	s_mov_b64 s[38:39], -1
	s_mov_b64 s[44:45], 0
	s_mov_b64 s[40:41], -1
	s_waitcnt vmcnt(1)
	v_lshlrev_b32_e32 v30, 16, v30
	s_waitcnt vmcnt(0)
	v_lshlrev_b32_e32 v31, 16, v31
	v_cmp_nlt_f32_e32 vcc, v30, v31
	s_and_saveexec_b64 s[42:43], vcc
; %bb.765:                              ;   in Loop: Header=BB1117_764 Depth=2
	v_cmp_ngt_f32_e32 vcc, v30, v31
	s_and_b64 s[36:37], vcc, s[36:37]
	s_orn2_b64 s[40:41], s[36:37], exec
	s_and_b64 s[44:45], vcc, exec
; %bb.766:                              ;   in Loop: Header=BB1117_764 Depth=2
	s_or_b64 exec, exec, s[42:43]
	s_andn2_b64 s[30:31], s[30:31], exec
	s_and_b64 s[36:37], s[40:41], exec
	s_or_b64 s[30:31], s[30:31], s[36:37]
                                        ; implicit-def: $sgpr36_sgpr37
	s_and_saveexec_b64 s[42:43], s[44:45]
	s_cbranch_execz .LBB1117_763
; %bb.767:                              ;   in Loop: Header=BB1117_764 Depth=2
	s_add_u32 s34, s34, -1
	v_add_co_u32_e32 v8, vcc, 2, v8
	s_addc_u32 s35, s35, -1
	v_addc_co_u32_e32 v9, vcc, 0, v9, vcc
	s_cmp_eq_u64 s[34:35], 0
	v_add_co_u32_e32 v10, vcc, 2, v10
	s_cselect_b64 s[38:39], -1, 0
	v_addc_co_u32_e32 v11, vcc, 0, v11, vcc
	s_andn2_b64 s[30:31], s[30:31], exec
	s_and_b64 s[36:37], s[40:41], exec
	s_orn2_b64 s[38:39], s[38:39], exec
	s_branch .LBB1117_763
.LBB1117_768:
	s_or_b64 exec, exec, s[10:11]
.LBB1117_769:
	s_or_b64 exec, exec, s[8:9]
	v_add_u32_e32 v9, v21, v26
	v_add_u32_e32 v8, v20, v25
	v_sub_u32_e32 v9, v9, v20
	v_cmp_le_u32_e32 vcc, v8, v21
	v_cmp_le_u32_e64 s[8:9], v9, v24
	s_or_b64 s[8:9], vcc, s[8:9]
	s_and_saveexec_b64 s[22:23], s[8:9]
	s_cbranch_execz .LBB1117_813
; %bb.770:
	v_cmp_ge_u32_e32 vcc, v8, v21
	v_cmp_lt_u32_e64 s[8:9], v8, v21
                                        ; implicit-def: $vgpr0_vgpr1
	s_and_saveexec_b64 s[10:11], s[8:9]
	s_cbranch_execz .LBB1117_772
; %bb.771:
	v_lshl_add_u32 v0, v20, 3, v19
	ds_read_b64 v[0:1], v0
.LBB1117_772:
	s_or_b64 exec, exec, s[10:11]
	v_cmp_ge_u32_e64 s[8:9], v9, v24
	v_cmp_lt_u32_e64 s[10:11], v9, v24
                                        ; implicit-def: $vgpr2_vgpr3
	s_and_saveexec_b64 s[26:27], s[10:11]
	s_cbranch_execz .LBB1117_774
; %bb.773:
	v_lshl_add_u32 v2, v9, 3, v18
	ds_read_b64 v[2:3], v2
.LBB1117_774:
	s_or_b64 exec, exec, s[26:27]
	s_or_b64 s[10:11], vcc, s[8:9]
	s_or_b64 s[10:11], s[10:11], s[18:19]
	s_xor_b64 s[26:27], s[10:11], -1
	s_xor_b64 s[10:11], vcc, -1
	s_or_b64 s[8:9], s[8:9], s[10:11]
	s_and_saveexec_b64 s[10:11], s[26:27]
	s_cbranch_execz .LBB1117_782
; %bb.775:
	s_waitcnt lgkmcnt(0)
	v_mul_lo_u32 v6, v3, s12
	v_mul_lo_u32 v7, v2, s13
	v_mad_u64_u32 v[4:5], s[26:27], v2, s12, 0
	v_add3_u32 v5, v5, v7, v6
	v_lshlrev_b64 v[4:5], 1, v[4:5]
	v_mov_b32_e32 v6, s15
	v_add_co_u32_e32 v4, vcc, s14, v4
	v_addc_co_u32_e32 v5, vcc, v6, v5, vcc
	v_mul_lo_u32 v10, v1, s12
	v_mul_lo_u32 v11, v0, s13
	v_mad_u64_u32 v[6:7], s[26:27], v0, s12, 0
	v_add3_u32 v7, v7, v11, v10
	v_lshlrev_b64 v[6:7], 1, v[6:7]
	v_mov_b32_e32 v10, s15
	v_add_co_u32_e32 v6, vcc, s14, v6
	v_addc_co_u32_e32 v7, vcc, v10, v7, vcc
	s_mov_b64 s[26:27], 0
	s_mov_b64 s[34:35], s[12:13]
                                        ; implicit-def: $sgpr28_sgpr29
                                        ; implicit-def: $sgpr30_sgpr31
                                        ; implicit-def: $sgpr36_sgpr37
	s_branch .LBB1117_777
.LBB1117_776:                           ;   in Loop: Header=BB1117_777 Depth=1
	s_or_b64 exec, exec, s[40:41]
	s_and_b64 s[38:39], exec, s[42:43]
	s_or_b64 s[26:27], s[38:39], s[26:27]
	s_andn2_b64 s[28:29], s[28:29], exec
	s_and_b64 s[38:39], s[30:31], exec
	s_or_b64 s[28:29], s[28:29], s[38:39]
	s_andn2_b64 exec, exec, s[26:27]
	s_cbranch_execz .LBB1117_781
.LBB1117_777:                           ; =>This Inner Loop Header: Depth=1
	global_load_ushort v10, v[4:5], off
	global_load_ushort v11, v[6:7], off
	s_mov_b64 s[44:45], 0
	s_mov_b64 s[38:39], -1
	s_waitcnt vmcnt(1)
	v_lshlrev_b32_e32 v10, 16, v10
	s_waitcnt vmcnt(0)
	v_lshlrev_b32_e32 v11, 16, v11
	v_cmp_nlt_f32_e32 vcc, v10, v11
	s_and_saveexec_b64 s[40:41], vcc
; %bb.778:                              ;   in Loop: Header=BB1117_777 Depth=1
	v_cmp_ngt_f32_e32 vcc, v10, v11
	s_and_b64 s[36:37], vcc, s[36:37]
	s_orn2_b64 s[38:39], s[36:37], exec
	s_and_b64 s[44:45], vcc, exec
; %bb.779:                              ;   in Loop: Header=BB1117_777 Depth=1
	s_or_b64 exec, exec, s[40:41]
	s_andn2_b64 s[30:31], s[30:31], exec
	s_and_b64 s[36:37], s[38:39], exec
	s_mov_b64 s[42:43], -1
	s_or_b64 s[30:31], s[30:31], s[36:37]
                                        ; implicit-def: $sgpr36_sgpr37
	s_and_saveexec_b64 s[40:41], s[44:45]
	s_cbranch_execz .LBB1117_776
; %bb.780:                              ;   in Loop: Header=BB1117_777 Depth=1
	s_add_u32 s34, s34, -1
	v_add_co_u32_e32 v4, vcc, 2, v4
	s_addc_u32 s35, s35, -1
	v_addc_co_u32_e32 v5, vcc, 0, v5, vcc
	s_cmp_eq_u64 s[34:35], 0
	v_add_co_u32_e32 v6, vcc, 2, v6
	s_cselect_b64 s[42:43], -1, 0
	v_addc_co_u32_e32 v7, vcc, 0, v7, vcc
	s_and_b64 s[36:37], s[38:39], exec
	s_andn2_b64 s[30:31], s[30:31], exec
	s_orn2_b64 s[42:43], s[42:43], exec
	s_branch .LBB1117_776
.LBB1117_781:
	s_or_b64 exec, exec, s[26:27]
	s_xor_b64 s[26:27], s[28:29], -1
	s_andn2_b64 s[8:9], s[8:9], exec
	s_and_b64 s[26:27], s[26:27], exec
	s_or_b64 s[8:9], s[8:9], s[26:27]
.LBB1117_782:
	s_or_b64 exec, exec, s[10:11]
	v_cndmask_b32_e64 v4, v9, v8, s[8:9]
	v_cndmask_b32_e64 v5, v24, v21, s[8:9]
	v_add_u32_e32 v6, 1, v4
	v_add_u32_e32 v4, -1, v5
	v_min_u32_e32 v4, v6, v4
	v_lshl_add_u32 v4, v4, 3, v18
	ds_read_b64 v[4:5], v4
	v_cndmask_b32_e64 v9, v6, v9, s[8:9]
	v_cndmask_b32_e64 v8, v8, v6, s[8:9]
	v_cmp_lt_u32_e32 vcc, v9, v24
	s_mov_b64 s[10:11], -1
	s_waitcnt lgkmcnt(0)
	v_cndmask_b32_e64 v10, v5, v3, s[8:9]
	v_cndmask_b32_e64 v11, v4, v2, s[8:9]
	;; [unrolled: 1-line block ×4, first 2 shown]
	s_mov_b64 s[26:27], -1
	s_and_saveexec_b64 s[28:29], vcc
	s_cbranch_execz .LBB1117_792
; %bb.783:
	v_cmp_lt_u32_e64 s[26:27], v8, v21
	s_and_b64 s[34:35], s[26:27], s[20:21]
	s_and_saveexec_b64 s[30:31], s[34:35]
	s_cbranch_execz .LBB1117_791
; %bb.784:
	v_mul_lo_u32 v6, v10, s12
	v_mul_lo_u32 v7, v11, s13
	v_mad_u64_u32 v[4:5], s[34:35], v11, s12, 0
	v_add3_u32 v5, v5, v7, v6
	v_lshlrev_b64 v[4:5], 1, v[4:5]
	v_mov_b32_e32 v6, s15
	v_add_co_u32_e32 v4, vcc, s14, v4
	v_addc_co_u32_e32 v5, vcc, v6, v5, vcc
	v_mul_lo_u32 v25, v19, s12
	v_mul_lo_u32 v26, v20, s13
	v_mad_u64_u32 v[6:7], s[34:35], v20, s12, 0
	v_add3_u32 v7, v7, v26, v25
	v_lshlrev_b64 v[6:7], 1, v[6:7]
	v_mov_b32_e32 v25, s15
	v_add_co_u32_e32 v6, vcc, s14, v6
	v_addc_co_u32_e32 v7, vcc, v25, v7, vcc
	s_mov_b64 s[34:35], 0
	s_mov_b64 s[40:41], s[12:13]
                                        ; implicit-def: $sgpr36_sgpr37
                                        ; implicit-def: $sgpr38_sgpr39
                                        ; implicit-def: $sgpr42_sgpr43
	s_branch .LBB1117_786
.LBB1117_785:                           ;   in Loop: Header=BB1117_786 Depth=1
	s_or_b64 exec, exec, s[46:47]
	s_and_b64 s[44:45], exec, s[48:49]
	s_or_b64 s[34:35], s[44:45], s[34:35]
	s_andn2_b64 s[36:37], s[36:37], exec
	s_and_b64 s[44:45], s[38:39], exec
	s_or_b64 s[36:37], s[36:37], s[44:45]
	s_andn2_b64 exec, exec, s[34:35]
	s_cbranch_execz .LBB1117_790
.LBB1117_786:                           ; =>This Inner Loop Header: Depth=1
	global_load_ushort v25, v[4:5], off
	global_load_ushort v26, v[6:7], off
	s_mov_b64 s[50:51], 0
	s_mov_b64 s[44:45], -1
	s_waitcnt vmcnt(1)
	v_lshlrev_b32_e32 v25, 16, v25
	s_waitcnt vmcnt(0)
	v_lshlrev_b32_e32 v26, 16, v26
	v_cmp_nlt_f32_e32 vcc, v25, v26
	s_and_saveexec_b64 s[46:47], vcc
; %bb.787:                              ;   in Loop: Header=BB1117_786 Depth=1
	v_cmp_ngt_f32_e32 vcc, v25, v26
	s_and_b64 s[42:43], vcc, s[42:43]
	s_orn2_b64 s[44:45], s[42:43], exec
	s_and_b64 s[50:51], vcc, exec
; %bb.788:                              ;   in Loop: Header=BB1117_786 Depth=1
	s_or_b64 exec, exec, s[46:47]
	s_andn2_b64 s[38:39], s[38:39], exec
	s_and_b64 s[42:43], s[44:45], exec
	s_mov_b64 s[48:49], -1
	s_or_b64 s[38:39], s[38:39], s[42:43]
                                        ; implicit-def: $sgpr42_sgpr43
	s_and_saveexec_b64 s[46:47], s[50:51]
	s_cbranch_execz .LBB1117_785
; %bb.789:                              ;   in Loop: Header=BB1117_786 Depth=1
	s_add_u32 s40, s40, -1
	v_add_co_u32_e32 v4, vcc, 2, v4
	s_addc_u32 s41, s41, -1
	v_addc_co_u32_e32 v5, vcc, 0, v5, vcc
	s_cmp_eq_u64 s[40:41], 0
	v_add_co_u32_e32 v6, vcc, 2, v6
	s_cselect_b64 s[48:49], -1, 0
	v_addc_co_u32_e32 v7, vcc, 0, v7, vcc
	s_and_b64 s[42:43], s[44:45], exec
	s_andn2_b64 s[38:39], s[38:39], exec
	s_orn2_b64 s[48:49], s[48:49], exec
	s_branch .LBB1117_785
.LBB1117_790:
	s_or_b64 exec, exec, s[34:35]
	s_xor_b64 s[34:35], s[36:37], -1
	s_andn2_b64 s[26:27], s[26:27], exec
	s_and_b64 s[34:35], s[34:35], exec
	s_or_b64 s[26:27], s[26:27], s[34:35]
.LBB1117_791:
	s_or_b64 exec, exec, s[30:31]
	s_orn2_b64 s[26:27], s[26:27], exec
.LBB1117_792:
	s_or_b64 exec, exec, s[28:29]
	v_cndmask_b32_e64 v4, v9, v8, s[26:27]
	v_cndmask_b32_e64 v5, v24, v21, s[26:27]
	v_add_u32_e32 v6, 1, v4
	v_add_u32_e32 v4, -1, v5
	v_min_u32_e32 v4, v6, v4
	v_lshl_add_u32 v4, v4, 3, v18
	ds_read_b64 v[4:5], v4
	v_cndmask_b32_e64 v9, v6, v9, s[26:27]
	v_cndmask_b32_e64 v8, v8, v6, s[26:27]
	v_cmp_lt_u32_e32 vcc, v9, v24
	s_waitcnt lgkmcnt(0)
	v_cndmask_b32_e64 v25, v5, v10, s[26:27]
	v_cndmask_b32_e64 v26, v4, v11, s[26:27]
	;; [unrolled: 1-line block ×4, first 2 shown]
	s_and_saveexec_b64 s[28:29], vcc
	s_cbranch_execz .LBB1117_802
; %bb.793:
	v_cmp_lt_u32_e64 s[10:11], v8, v21
	s_and_b64 s[34:35], s[10:11], s[20:21]
	s_and_saveexec_b64 s[30:31], s[34:35]
	s_cbranch_execz .LBB1117_801
; %bb.794:
	v_mul_lo_u32 v6, v25, s12
	v_mul_lo_u32 v7, v26, s13
	v_mad_u64_u32 v[4:5], s[34:35], v26, s12, 0
	v_add3_u32 v5, v5, v7, v6
	v_lshlrev_b64 v[4:5], 1, v[4:5]
	v_mov_b32_e32 v6, s15
	v_add_co_u32_e32 v4, vcc, s14, v4
	v_addc_co_u32_e32 v5, vcc, v6, v5, vcc
	v_mul_lo_u32 v29, v27, s12
	v_mul_lo_u32 v30, v28, s13
	v_mad_u64_u32 v[6:7], s[34:35], v28, s12, 0
	v_add3_u32 v7, v7, v30, v29
	v_lshlrev_b64 v[6:7], 1, v[6:7]
	v_mov_b32_e32 v29, s15
	v_add_co_u32_e32 v6, vcc, s14, v6
	v_addc_co_u32_e32 v7, vcc, v29, v7, vcc
	s_mov_b64 s[34:35], 0
	s_mov_b64 s[40:41], s[12:13]
                                        ; implicit-def: $sgpr36_sgpr37
                                        ; implicit-def: $sgpr38_sgpr39
                                        ; implicit-def: $sgpr42_sgpr43
	s_branch .LBB1117_796
.LBB1117_795:                           ;   in Loop: Header=BB1117_796 Depth=1
	s_or_b64 exec, exec, s[46:47]
	s_and_b64 s[44:45], exec, s[48:49]
	s_or_b64 s[34:35], s[44:45], s[34:35]
	s_andn2_b64 s[36:37], s[36:37], exec
	s_and_b64 s[44:45], s[38:39], exec
	s_or_b64 s[36:37], s[36:37], s[44:45]
	s_andn2_b64 exec, exec, s[34:35]
	s_cbranch_execz .LBB1117_800
.LBB1117_796:                           ; =>This Inner Loop Header: Depth=1
	global_load_ushort v29, v[4:5], off
	global_load_ushort v30, v[6:7], off
	s_mov_b64 s[50:51], 0
	s_mov_b64 s[44:45], -1
	s_waitcnt vmcnt(1)
	v_lshlrev_b32_e32 v29, 16, v29
	s_waitcnt vmcnt(0)
	v_lshlrev_b32_e32 v30, 16, v30
	v_cmp_nlt_f32_e32 vcc, v29, v30
	s_and_saveexec_b64 s[46:47], vcc
; %bb.797:                              ;   in Loop: Header=BB1117_796 Depth=1
	v_cmp_ngt_f32_e32 vcc, v29, v30
	s_and_b64 s[42:43], vcc, s[42:43]
	s_orn2_b64 s[44:45], s[42:43], exec
	s_and_b64 s[50:51], vcc, exec
; %bb.798:                              ;   in Loop: Header=BB1117_796 Depth=1
	s_or_b64 exec, exec, s[46:47]
	s_andn2_b64 s[38:39], s[38:39], exec
	s_and_b64 s[42:43], s[44:45], exec
	s_mov_b64 s[48:49], -1
	s_or_b64 s[38:39], s[38:39], s[42:43]
                                        ; implicit-def: $sgpr42_sgpr43
	s_and_saveexec_b64 s[46:47], s[50:51]
	s_cbranch_execz .LBB1117_795
; %bb.799:                              ;   in Loop: Header=BB1117_796 Depth=1
	s_add_u32 s40, s40, -1
	v_add_co_u32_e32 v4, vcc, 2, v4
	s_addc_u32 s41, s41, -1
	v_addc_co_u32_e32 v5, vcc, 0, v5, vcc
	s_cmp_eq_u64 s[40:41], 0
	v_add_co_u32_e32 v6, vcc, 2, v6
	s_cselect_b64 s[48:49], -1, 0
	v_addc_co_u32_e32 v7, vcc, 0, v7, vcc
	s_and_b64 s[42:43], s[44:45], exec
	s_andn2_b64 s[38:39], s[38:39], exec
	s_orn2_b64 s[48:49], s[48:49], exec
	s_branch .LBB1117_795
.LBB1117_800:
	s_or_b64 exec, exec, s[34:35]
	s_xor_b64 s[34:35], s[36:37], -1
	s_andn2_b64 s[10:11], s[10:11], exec
	s_and_b64 s[34:35], s[34:35], exec
	s_or_b64 s[10:11], s[10:11], s[34:35]
.LBB1117_801:
	s_or_b64 exec, exec, s[30:31]
	s_orn2_b64 s[10:11], s[10:11], exec
.LBB1117_802:
	s_or_b64 exec, exec, s[28:29]
	v_cndmask_b32_e64 v4, v9, v8, s[10:11]
	v_cndmask_b32_e64 v5, v24, v21, s[10:11]
	v_add_u32_e32 v29, 1, v4
	v_add_u32_e32 v4, -1, v5
	v_min_u32_e32 v4, v29, v4
	v_lshl_add_u32 v4, v4, 3, v18
	ds_read_b64 v[4:5], v4
	v_cndmask_b32_e64 v9, v29, v9, s[10:11]
	v_cmp_lt_u32_e32 vcc, v9, v24
	s_waitcnt lgkmcnt(0)
	v_cndmask_b32_e64 v7, v27, v5, s[10:11]
	v_cndmask_b32_e64 v6, v28, v4, s[10:11]
	s_and_saveexec_b64 s[28:29], vcc
	s_cbranch_execz .LBB1117_812
; %bb.803:
	v_cndmask_b32_e64 v24, v4, v26, s[10:11]
	v_cndmask_b32_e64 v4, v8, v29, s[10:11]
	v_cmp_ge_u32_e32 vcc, v4, v21
	v_cndmask_b32_e64 v18, v5, v25, s[10:11]
	s_or_b64 s[30:31], vcc, s[18:19]
	v_cndmask_b32_e32 v5, v7, v18, vcc
	s_xor_b64 s[34:35], s[30:31], -1
	v_cndmask_b32_e32 v4, v6, v24, vcc
	s_and_saveexec_b64 s[30:31], s[34:35]
	s_cbranch_execz .LBB1117_811
; %bb.804:
	v_mul_lo_u32 v8, v18, s12
	v_mul_lo_u32 v9, v24, s13
	v_mad_u64_u32 v[4:5], s[34:35], v24, s12, 0
	v_add3_u32 v5, v5, v9, v8
	v_lshlrev_b64 v[4:5], 1, v[4:5]
	v_mov_b32_e32 v8, s15
	v_add_co_u32_e32 v4, vcc, s14, v4
	v_addc_co_u32_e32 v5, vcc, v8, v5, vcc
	v_mul_lo_u32 v21, v7, s12
	v_mul_lo_u32 v29, v6, s13
	v_mad_u64_u32 v[8:9], s[34:35], v6, s12, 0
	v_add3_u32 v9, v9, v29, v21
	v_lshlrev_b64 v[8:9], 1, v[8:9]
	v_mov_b32_e32 v21, s15
	v_add_co_u32_e32 v8, vcc, s14, v8
	v_addc_co_u32_e32 v9, vcc, v21, v9, vcc
	s_mov_b64 s[34:35], 0
	s_mov_b64 s[40:41], s[12:13]
                                        ; implicit-def: $sgpr36_sgpr37
                                        ; implicit-def: $sgpr38_sgpr39
                                        ; implicit-def: $sgpr42_sgpr43
	s_branch .LBB1117_806
.LBB1117_805:                           ;   in Loop: Header=BB1117_806 Depth=1
	s_or_b64 exec, exec, s[46:47]
	s_and_b64 s[44:45], exec, s[48:49]
	s_or_b64 s[34:35], s[44:45], s[34:35]
	s_andn2_b64 s[36:37], s[36:37], exec
	s_and_b64 s[44:45], s[38:39], exec
	s_or_b64 s[36:37], s[36:37], s[44:45]
	s_andn2_b64 exec, exec, s[34:35]
	s_cbranch_execz .LBB1117_810
.LBB1117_806:                           ; =>This Inner Loop Header: Depth=1
	global_load_ushort v21, v[4:5], off
	global_load_ushort v29, v[8:9], off
	s_mov_b64 s[50:51], 0
	s_mov_b64 s[44:45], -1
	s_waitcnt vmcnt(1)
	v_lshlrev_b32_e32 v21, 16, v21
	s_waitcnt vmcnt(0)
	v_lshlrev_b32_e32 v29, 16, v29
	v_cmp_nlt_f32_e32 vcc, v21, v29
	s_and_saveexec_b64 s[46:47], vcc
; %bb.807:                              ;   in Loop: Header=BB1117_806 Depth=1
	v_cmp_ngt_f32_e32 vcc, v21, v29
	s_and_b64 s[42:43], vcc, s[42:43]
	s_orn2_b64 s[44:45], s[42:43], exec
	s_and_b64 s[50:51], vcc, exec
; %bb.808:                              ;   in Loop: Header=BB1117_806 Depth=1
	s_or_b64 exec, exec, s[46:47]
	s_andn2_b64 s[38:39], s[38:39], exec
	s_and_b64 s[42:43], s[44:45], exec
	s_mov_b64 s[48:49], -1
	s_or_b64 s[38:39], s[38:39], s[42:43]
                                        ; implicit-def: $sgpr42_sgpr43
	s_and_saveexec_b64 s[46:47], s[50:51]
	s_cbranch_execz .LBB1117_805
; %bb.809:                              ;   in Loop: Header=BB1117_806 Depth=1
	s_add_u32 s40, s40, -1
	v_add_co_u32_e32 v4, vcc, 2, v4
	s_addc_u32 s41, s41, -1
	v_addc_co_u32_e32 v5, vcc, 0, v5, vcc
	s_cmp_eq_u64 s[40:41], 0
	v_add_co_u32_e32 v8, vcc, 2, v8
	s_cselect_b64 s[48:49], -1, 0
	v_addc_co_u32_e32 v9, vcc, 0, v9, vcc
	s_and_b64 s[42:43], s[44:45], exec
	s_andn2_b64 s[38:39], s[38:39], exec
	s_orn2_b64 s[48:49], s[48:49], exec
	s_branch .LBB1117_805
.LBB1117_810:
	s_or_b64 exec, exec, s[34:35]
	v_cndmask_b32_e64 v5, v7, v18, s[36:37]
	v_cndmask_b32_e64 v4, v6, v24, s[36:37]
.LBB1117_811:
	s_or_b64 exec, exec, s[30:31]
	v_pk_mov_b32 v[6:7], v[4:5], v[4:5] op_sel:[0,1]
.LBB1117_812:
	s_or_b64 exec, exec, s[28:29]
	v_cndmask_b32_e64 v1, v3, v1, s[8:9]
	v_cndmask_b32_e64 v0, v2, v0, s[8:9]
	;; [unrolled: 1-line block ×6, first 2 shown]
.LBB1117_813:
	s_or_b64 exec, exec, s[22:23]
	s_cmpk_lt_u32 s33, 0x41
	; wave barrier
	s_waitcnt lgkmcnt(0)
	s_barrier
	s_cbranch_scc1 .LBB1117_872
; %bb.814:
	v_lshlrev_b32_e32 v18, 3, v23
	s_lshl_b64 s[22:23], s[12:13], 1
	s_mov_b32 s54, 64
	s_branch .LBB1117_819
.LBB1117_815:                           ;   in Loop: Header=BB1117_819 Depth=1
	s_or_b64 exec, exec, s[36:37]
	v_cndmask_b32_e64 v5, v7, v20, s[38:39]
	v_cndmask_b32_e64 v4, v6, v29, s[38:39]
.LBB1117_816:                           ;   in Loop: Header=BB1117_819 Depth=1
	s_or_b64 exec, exec, s[34:35]
	v_pk_mov_b32 v[6:7], v[4:5], v[4:5] op_sel:[0,1]
.LBB1117_817:                           ;   in Loop: Header=BB1117_819 Depth=1
	s_or_b64 exec, exec, s[30:31]
	v_cndmask_b32_e64 v1, v3, v1, s[8:9]
	v_cndmask_b32_e64 v0, v2, v0, s[8:9]
	;; [unrolled: 1-line block ×6, first 2 shown]
.LBB1117_818:                           ;   in Loop: Header=BB1117_819 Depth=1
	s_or_b64 exec, exec, s[26:27]
	s_cmp_lt_u32 s54, s33
	s_barrier
	s_cbranch_scc0 .LBB1117_872
.LBB1117_819:                           ; =>This Loop Header: Depth=1
                                        ;     Child Loop BB1117_823 Depth 2
                                        ;       Child Loop BB1117_826 Depth 3
                                        ;     Child Loop BB1117_839 Depth 2
                                        ;     Child Loop BB1117_848 Depth 2
	;; [unrolled: 1-line block ×4, first 2 shown]
	s_mov_b32 s8, s54
	s_lshl_b32 s54, s54, 1
	s_sub_i32 s10, 0, s54
	v_and_b32_e32 v25, s10, v23
	v_add_u32_e32 v8, s8, v25
	v_min_u32_e32 v19, s33, v8
	s_add_i32 s9, s54, -1
	v_add_u32_e32 v8, s8, v19
	v_min_u32_e32 v20, s33, v8
	v_and_b32_e32 v8, s9, v23
	v_min_u32_e32 v26, s33, v8
	v_sub_u32_e32 v8, v19, v25
	v_sub_u32_e32 v9, v20, v19
	v_sub_u32_e64 v24, v26, v9 clamp
	v_min_u32_e32 v27, v26, v8
	v_lshlrev_b32_e32 v21, 3, v25
	v_cmp_lt_u32_e32 vcc, v24, v27
	ds_write_b128 v18, v[0:3]
	ds_write_b128 v18, v[4:7] offset:16
	s_waitcnt lgkmcnt(0)
	s_barrier
	s_and_saveexec_b64 s[8:9], vcc
	s_cbranch_execz .LBB1117_831
; %bb.820:                              ;   in Loop: Header=BB1117_819 Depth=1
	v_lshlrev_b32_e32 v8, 3, v26
	v_lshl_add_u32 v28, v19, 3, v8
	s_mov_b64 s[10:11], 0
	s_branch .LBB1117_823
.LBB1117_821:                           ;   in Loop: Header=BB1117_823 Depth=2
	s_or_b64 exec, exec, s[28:29]
.LBB1117_822:                           ;   in Loop: Header=BB1117_823 Depth=2
	v_add_u32_e32 v8, 1, v29
	v_cndmask_b32_e64 v27, v27, v29, s[26:27]
	v_cndmask_b32_e64 v24, v8, v24, s[26:27]
	v_cmp_ge_u32_e32 vcc, v24, v27
	s_or_b64 s[10:11], vcc, s[10:11]
	s_andn2_b64 exec, exec, s[10:11]
	s_cbranch_execz .LBB1117_830
.LBB1117_823:                           ;   Parent Loop BB1117_819 Depth=1
                                        ; =>  This Loop Header: Depth=2
                                        ;       Child Loop BB1117_826 Depth 3
	v_add_u32_e32 v8, v27, v24
	v_lshrrev_b32_e32 v29, 1, v8
	s_and_b64 vcc, exec, s[6:7]
	s_mov_b64 s[26:27], 0
	s_cbranch_vccnz .LBB1117_822
; %bb.824:                              ;   in Loop: Header=BB1117_823 Depth=2
	v_not_b32_e32 v8, v29
	v_lshl_add_u32 v8, v8, 3, v28
	ds_read_b64 v[8:9], v8
	v_lshl_add_u32 v30, v29, 3, v21
	ds_read_b64 v[30:31], v30
	v_pk_mov_b32 v[10:11], s[14:15], s[14:15] op_sel:[0,1]
	s_mov_b64 s[28:29], 0
	s_waitcnt lgkmcnt(1)
	v_mul_lo_u32 v32, s22, v9
	v_mul_lo_u32 v33, s23, v8
	v_mad_u64_u32 v[8:9], s[26:27], s22, v8, v[10:11]
	v_add3_u32 v9, v33, v9, v32
	s_waitcnt lgkmcnt(0)
	v_mul_lo_u32 v31, s22, v31
	v_mul_lo_u32 v32, s23, v30
	v_mad_u64_u32 v[10:11], s[26:27], s22, v30, v[10:11]
	v_add3_u32 v11, v32, v11, v31
	s_mov_b64 s[34:35], s[12:13]
                                        ; implicit-def: $sgpr26_sgpr27
                                        ; implicit-def: $sgpr30_sgpr31
                                        ; implicit-def: $sgpr36_sgpr37
	s_branch .LBB1117_826
.LBB1117_825:                           ;   in Loop: Header=BB1117_826 Depth=3
	s_or_b64 exec, exec, s[42:43]
	s_and_b64 s[38:39], exec, s[38:39]
	s_or_b64 s[28:29], s[38:39], s[28:29]
	s_andn2_b64 s[26:27], s[26:27], exec
	s_and_b64 s[38:39], s[30:31], exec
	s_or_b64 s[26:27], s[26:27], s[38:39]
	s_andn2_b64 exec, exec, s[28:29]
	s_cbranch_execz .LBB1117_821
.LBB1117_826:                           ;   Parent Loop BB1117_819 Depth=1
                                        ;     Parent Loop BB1117_823 Depth=2
                                        ; =>    This Inner Loop Header: Depth=3
	global_load_ushort v30, v[8:9], off
	global_load_ushort v31, v[10:11], off
	s_mov_b64 s[38:39], -1
	s_mov_b64 s[44:45], 0
	s_mov_b64 s[40:41], -1
	s_waitcnt vmcnt(1)
	v_lshlrev_b32_e32 v30, 16, v30
	s_waitcnt vmcnt(0)
	v_lshlrev_b32_e32 v31, 16, v31
	v_cmp_nlt_f32_e32 vcc, v30, v31
	s_and_saveexec_b64 s[42:43], vcc
; %bb.827:                              ;   in Loop: Header=BB1117_826 Depth=3
	v_cmp_ngt_f32_e32 vcc, v30, v31
	s_and_b64 s[36:37], vcc, s[36:37]
	s_orn2_b64 s[40:41], s[36:37], exec
	s_and_b64 s[44:45], vcc, exec
; %bb.828:                              ;   in Loop: Header=BB1117_826 Depth=3
	s_or_b64 exec, exec, s[42:43]
	s_andn2_b64 s[30:31], s[30:31], exec
	s_and_b64 s[36:37], s[40:41], exec
	s_or_b64 s[30:31], s[30:31], s[36:37]
                                        ; implicit-def: $sgpr36_sgpr37
	s_and_saveexec_b64 s[42:43], s[44:45]
	s_cbranch_execz .LBB1117_825
; %bb.829:                              ;   in Loop: Header=BB1117_826 Depth=3
	s_add_u32 s34, s34, -1
	v_add_co_u32_e32 v8, vcc, 2, v8
	s_addc_u32 s35, s35, -1
	v_addc_co_u32_e32 v9, vcc, 0, v9, vcc
	s_cmp_eq_u64 s[34:35], 0
	v_add_co_u32_e32 v10, vcc, 2, v10
	s_cselect_b64 s[38:39], -1, 0
	v_addc_co_u32_e32 v11, vcc, 0, v11, vcc
	s_andn2_b64 s[30:31], s[30:31], exec
	s_and_b64 s[36:37], s[40:41], exec
	s_orn2_b64 s[38:39], s[38:39], exec
	s_branch .LBB1117_825
.LBB1117_830:                           ;   in Loop: Header=BB1117_819 Depth=1
	s_or_b64 exec, exec, s[10:11]
.LBB1117_831:                           ;   in Loop: Header=BB1117_819 Depth=1
	s_or_b64 exec, exec, s[8:9]
	v_sub_u32_e32 v9, v26, v24
	v_add_u32_e32 v8, v24, v25
	v_add_u32_e32 v9, v9, v19
	v_cmp_le_u32_e32 vcc, v8, v19
	v_cmp_le_u32_e64 s[8:9], v9, v20
	s_or_b64 s[8:9], vcc, s[8:9]
	s_and_saveexec_b64 s[26:27], s[8:9]
	s_cbranch_execz .LBB1117_818
; %bb.832:                              ;   in Loop: Header=BB1117_819 Depth=1
	v_cmp_ge_u32_e32 vcc, v8, v19
	v_cmp_lt_u32_e64 s[8:9], v8, v19
                                        ; implicit-def: $vgpr0_vgpr1
	s_and_saveexec_b64 s[10:11], s[8:9]
	s_cbranch_execz .LBB1117_834
; %bb.833:                              ;   in Loop: Header=BB1117_819 Depth=1
	v_lshl_add_u32 v0, v24, 3, v21
	ds_read_b64 v[0:1], v0
.LBB1117_834:                           ;   in Loop: Header=BB1117_819 Depth=1
	s_or_b64 exec, exec, s[10:11]
	v_cmp_ge_u32_e64 s[8:9], v9, v20
	v_cmp_lt_u32_e64 s[10:11], v9, v20
                                        ; implicit-def: $vgpr2_vgpr3
	s_and_saveexec_b64 s[28:29], s[10:11]
	s_cbranch_execz .LBB1117_836
; %bb.835:                              ;   in Loop: Header=BB1117_819 Depth=1
	v_lshlrev_b32_e32 v2, 3, v9
	ds_read_b64 v[2:3], v2
.LBB1117_836:                           ;   in Loop: Header=BB1117_819 Depth=1
	s_or_b64 exec, exec, s[28:29]
	s_or_b64 s[10:11], vcc, s[8:9]
	s_or_b64 s[10:11], s[10:11], s[18:19]
	s_xor_b64 s[28:29], s[10:11], -1
	s_xor_b64 s[10:11], vcc, -1
	s_or_b64 s[8:9], s[8:9], s[10:11]
	s_and_saveexec_b64 s[10:11], s[28:29]
	s_cbranch_execz .LBB1117_844
; %bb.837:                              ;   in Loop: Header=BB1117_819 Depth=1
	v_pk_mov_b32 v[6:7], s[14:15], s[14:15] op_sel:[0,1]
	s_waitcnt lgkmcnt(0)
	v_mad_u64_u32 v[4:5], s[28:29], s22, v2, v[6:7]
	v_mul_lo_u32 v10, s22, v3
	v_mul_lo_u32 v11, s23, v2
	v_add3_u32 v5, v11, v5, v10
	v_mad_u64_u32 v[6:7], s[28:29], s22, v0, v[6:7]
	v_mul_lo_u32 v10, s22, v1
	v_mul_lo_u32 v11, s23, v0
	v_add3_u32 v7, v11, v7, v10
	s_mov_b64 s[28:29], 0
	s_mov_b64 s[36:37], s[12:13]
                                        ; implicit-def: $sgpr30_sgpr31
                                        ; implicit-def: $sgpr34_sgpr35
                                        ; implicit-def: $sgpr38_sgpr39
	s_branch .LBB1117_839
.LBB1117_838:                           ;   in Loop: Header=BB1117_839 Depth=2
	s_or_b64 exec, exec, s[44:45]
	s_and_b64 s[40:41], exec, s[40:41]
	s_or_b64 s[28:29], s[40:41], s[28:29]
	s_andn2_b64 s[30:31], s[30:31], exec
	s_and_b64 s[40:41], s[34:35], exec
	s_or_b64 s[30:31], s[30:31], s[40:41]
	s_andn2_b64 exec, exec, s[28:29]
	s_cbranch_execz .LBB1117_843
.LBB1117_839:                           ;   Parent Loop BB1117_819 Depth=1
                                        ; =>  This Inner Loop Header: Depth=2
	global_load_ushort v10, v[4:5], off
	global_load_ushort v11, v[6:7], off
	s_mov_b64 s[40:41], -1
	s_mov_b64 s[46:47], 0
	s_mov_b64 s[42:43], -1
	s_waitcnt vmcnt(1)
	v_lshlrev_b32_e32 v10, 16, v10
	s_waitcnt vmcnt(0)
	v_lshlrev_b32_e32 v11, 16, v11
	v_cmp_nlt_f32_e32 vcc, v10, v11
	s_and_saveexec_b64 s[44:45], vcc
; %bb.840:                              ;   in Loop: Header=BB1117_839 Depth=2
	v_cmp_ngt_f32_e32 vcc, v10, v11
	s_and_b64 s[38:39], vcc, s[38:39]
	s_orn2_b64 s[42:43], s[38:39], exec
	s_and_b64 s[46:47], vcc, exec
; %bb.841:                              ;   in Loop: Header=BB1117_839 Depth=2
	s_or_b64 exec, exec, s[44:45]
	s_andn2_b64 s[34:35], s[34:35], exec
	s_and_b64 s[38:39], s[42:43], exec
	s_or_b64 s[34:35], s[34:35], s[38:39]
                                        ; implicit-def: $sgpr38_sgpr39
	s_and_saveexec_b64 s[44:45], s[46:47]
	s_cbranch_execz .LBB1117_838
; %bb.842:                              ;   in Loop: Header=BB1117_839 Depth=2
	s_add_u32 s36, s36, -1
	v_add_co_u32_e32 v4, vcc, 2, v4
	s_addc_u32 s37, s37, -1
	v_addc_co_u32_e32 v5, vcc, 0, v5, vcc
	s_cmp_eq_u64 s[36:37], 0
	v_add_co_u32_e32 v6, vcc, 2, v6
	s_cselect_b64 s[40:41], -1, 0
	v_addc_co_u32_e32 v7, vcc, 0, v7, vcc
	s_and_b64 s[38:39], s[42:43], exec
	s_andn2_b64 s[34:35], s[34:35], exec
	s_orn2_b64 s[40:41], s[40:41], exec
	s_branch .LBB1117_838
.LBB1117_843:                           ;   in Loop: Header=BB1117_819 Depth=1
	s_or_b64 exec, exec, s[28:29]
	s_xor_b64 s[28:29], s[30:31], -1
	s_andn2_b64 s[8:9], s[8:9], exec
	s_and_b64 s[28:29], s[28:29], exec
	s_or_b64 s[8:9], s[8:9], s[28:29]
.LBB1117_844:                           ;   in Loop: Header=BB1117_819 Depth=1
	s_or_b64 exec, exec, s[10:11]
	v_cndmask_b32_e64 v4, v9, v8, s[8:9]
	v_cndmask_b32_e64 v5, v20, v19, s[8:9]
	v_add_u32_e32 v6, 1, v4
	v_add_u32_e32 v4, -1, v5
	v_min_u32_e32 v4, v6, v4
	v_lshlrev_b32_e32 v4, 3, v4
	ds_read_b64 v[4:5], v4
	v_cndmask_b32_e64 v9, v6, v9, s[8:9]
	v_cndmask_b32_e64 v8, v8, v6, s[8:9]
	v_cmp_lt_u32_e32 vcc, v9, v20
	s_mov_b64 s[10:11], -1
	s_waitcnt lgkmcnt(0)
	v_cndmask_b32_e64 v10, v5, v3, s[8:9]
	v_cndmask_b32_e64 v11, v4, v2, s[8:9]
	v_cndmask_b32_e64 v21, v1, v5, s[8:9]
	v_cndmask_b32_e64 v24, v0, v4, s[8:9]
	s_mov_b64 s[28:29], -1
	s_and_saveexec_b64 s[30:31], vcc
	s_cbranch_execz .LBB1117_854
; %bb.845:                              ;   in Loop: Header=BB1117_819 Depth=1
	v_cmp_lt_u32_e64 s[28:29], v8, v19
	s_and_b64 s[36:37], s[28:29], s[20:21]
	s_and_saveexec_b64 s[34:35], s[36:37]
	s_cbranch_execz .LBB1117_853
; %bb.846:                              ;   in Loop: Header=BB1117_819 Depth=1
	v_pk_mov_b32 v[6:7], s[14:15], s[14:15] op_sel:[0,1]
	v_mad_u64_u32 v[4:5], s[36:37], s22, v11, v[6:7]
	v_mul_lo_u32 v25, s22, v10
	v_mul_lo_u32 v26, s23, v11
	v_add3_u32 v5, v26, v5, v25
	v_mad_u64_u32 v[6:7], s[36:37], s22, v24, v[6:7]
	v_mul_lo_u32 v25, s22, v21
	v_mul_lo_u32 v26, s23, v24
	v_add3_u32 v7, v26, v7, v25
	s_mov_b64 s[36:37], 0
	s_mov_b64 s[42:43], s[12:13]
                                        ; implicit-def: $sgpr38_sgpr39
                                        ; implicit-def: $sgpr40_sgpr41
                                        ; implicit-def: $sgpr44_sgpr45
	s_branch .LBB1117_848
.LBB1117_847:                           ;   in Loop: Header=BB1117_848 Depth=2
	s_or_b64 exec, exec, s[50:51]
	s_and_b64 s[46:47], exec, s[46:47]
	s_or_b64 s[36:37], s[46:47], s[36:37]
	s_andn2_b64 s[38:39], s[38:39], exec
	s_and_b64 s[46:47], s[40:41], exec
	s_or_b64 s[38:39], s[38:39], s[46:47]
	s_andn2_b64 exec, exec, s[36:37]
	s_cbranch_execz .LBB1117_852
.LBB1117_848:                           ;   Parent Loop BB1117_819 Depth=1
                                        ; =>  This Inner Loop Header: Depth=2
	global_load_ushort v25, v[4:5], off
	global_load_ushort v26, v[6:7], off
	s_mov_b64 s[46:47], -1
	s_mov_b64 s[52:53], 0
	s_mov_b64 s[48:49], -1
	s_waitcnt vmcnt(1)
	v_lshlrev_b32_e32 v25, 16, v25
	s_waitcnt vmcnt(0)
	v_lshlrev_b32_e32 v26, 16, v26
	v_cmp_nlt_f32_e32 vcc, v25, v26
	s_and_saveexec_b64 s[50:51], vcc
; %bb.849:                              ;   in Loop: Header=BB1117_848 Depth=2
	v_cmp_ngt_f32_e32 vcc, v25, v26
	s_and_b64 s[44:45], vcc, s[44:45]
	s_orn2_b64 s[48:49], s[44:45], exec
	s_and_b64 s[52:53], vcc, exec
; %bb.850:                              ;   in Loop: Header=BB1117_848 Depth=2
	s_or_b64 exec, exec, s[50:51]
	s_andn2_b64 s[40:41], s[40:41], exec
	s_and_b64 s[44:45], s[48:49], exec
	s_or_b64 s[40:41], s[40:41], s[44:45]
                                        ; implicit-def: $sgpr44_sgpr45
	s_and_saveexec_b64 s[50:51], s[52:53]
	s_cbranch_execz .LBB1117_847
; %bb.851:                              ;   in Loop: Header=BB1117_848 Depth=2
	s_add_u32 s42, s42, -1
	v_add_co_u32_e32 v4, vcc, 2, v4
	s_addc_u32 s43, s43, -1
	v_addc_co_u32_e32 v5, vcc, 0, v5, vcc
	s_cmp_eq_u64 s[42:43], 0
	v_add_co_u32_e32 v6, vcc, 2, v6
	s_cselect_b64 s[46:47], -1, 0
	v_addc_co_u32_e32 v7, vcc, 0, v7, vcc
	s_and_b64 s[44:45], s[48:49], exec
	s_andn2_b64 s[40:41], s[40:41], exec
	s_orn2_b64 s[46:47], s[46:47], exec
	s_branch .LBB1117_847
.LBB1117_852:                           ;   in Loop: Header=BB1117_819 Depth=1
	s_or_b64 exec, exec, s[36:37]
	s_xor_b64 s[36:37], s[38:39], -1
	s_andn2_b64 s[28:29], s[28:29], exec
	s_and_b64 s[36:37], s[36:37], exec
	s_or_b64 s[28:29], s[28:29], s[36:37]
.LBB1117_853:                           ;   in Loop: Header=BB1117_819 Depth=1
	s_or_b64 exec, exec, s[34:35]
	s_orn2_b64 s[28:29], s[28:29], exec
.LBB1117_854:                           ;   in Loop: Header=BB1117_819 Depth=1
	s_or_b64 exec, exec, s[30:31]
	v_cndmask_b32_e64 v4, v9, v8, s[28:29]
	v_cndmask_b32_e64 v5, v20, v19, s[28:29]
	v_add_u32_e32 v6, 1, v4
	v_add_u32_e32 v4, -1, v5
	v_min_u32_e32 v4, v6, v4
	v_lshlrev_b32_e32 v4, 3, v4
	ds_read_b64 v[4:5], v4
	v_cndmask_b32_e64 v9, v6, v9, s[28:29]
	v_cndmask_b32_e64 v8, v8, v6, s[28:29]
	v_cmp_lt_u32_e32 vcc, v9, v20
	s_waitcnt lgkmcnt(0)
	v_cndmask_b32_e64 v25, v5, v10, s[28:29]
	v_cndmask_b32_e64 v26, v4, v11, s[28:29]
	;; [unrolled: 1-line block ×4, first 2 shown]
	s_and_saveexec_b64 s[30:31], vcc
	s_cbranch_execz .LBB1117_864
; %bb.855:                              ;   in Loop: Header=BB1117_819 Depth=1
	v_cmp_lt_u32_e64 s[10:11], v8, v19
	s_and_b64 s[36:37], s[10:11], s[20:21]
	s_and_saveexec_b64 s[34:35], s[36:37]
	s_cbranch_execz .LBB1117_863
; %bb.856:                              ;   in Loop: Header=BB1117_819 Depth=1
	v_pk_mov_b32 v[6:7], s[14:15], s[14:15] op_sel:[0,1]
	v_mad_u64_u32 v[4:5], s[36:37], s22, v26, v[6:7]
	v_mul_lo_u32 v29, s22, v25
	v_mul_lo_u32 v30, s23, v26
	v_add3_u32 v5, v30, v5, v29
	v_mad_u64_u32 v[6:7], s[36:37], s22, v28, v[6:7]
	v_mul_lo_u32 v29, s22, v27
	v_mul_lo_u32 v30, s23, v28
	v_add3_u32 v7, v30, v7, v29
	s_mov_b64 s[36:37], 0
	s_mov_b64 s[42:43], s[12:13]
                                        ; implicit-def: $sgpr38_sgpr39
                                        ; implicit-def: $sgpr40_sgpr41
                                        ; implicit-def: $sgpr44_sgpr45
	s_branch .LBB1117_858
.LBB1117_857:                           ;   in Loop: Header=BB1117_858 Depth=2
	s_or_b64 exec, exec, s[50:51]
	s_and_b64 s[46:47], exec, s[46:47]
	s_or_b64 s[36:37], s[46:47], s[36:37]
	s_andn2_b64 s[38:39], s[38:39], exec
	s_and_b64 s[46:47], s[40:41], exec
	s_or_b64 s[38:39], s[38:39], s[46:47]
	s_andn2_b64 exec, exec, s[36:37]
	s_cbranch_execz .LBB1117_862
.LBB1117_858:                           ;   Parent Loop BB1117_819 Depth=1
                                        ; =>  This Inner Loop Header: Depth=2
	global_load_ushort v29, v[4:5], off
	global_load_ushort v30, v[6:7], off
	s_mov_b64 s[46:47], -1
	s_mov_b64 s[52:53], 0
	s_mov_b64 s[48:49], -1
	s_waitcnt vmcnt(1)
	v_lshlrev_b32_e32 v29, 16, v29
	s_waitcnt vmcnt(0)
	v_lshlrev_b32_e32 v30, 16, v30
	v_cmp_nlt_f32_e32 vcc, v29, v30
	s_and_saveexec_b64 s[50:51], vcc
; %bb.859:                              ;   in Loop: Header=BB1117_858 Depth=2
	v_cmp_ngt_f32_e32 vcc, v29, v30
	s_and_b64 s[44:45], vcc, s[44:45]
	s_orn2_b64 s[48:49], s[44:45], exec
	s_and_b64 s[52:53], vcc, exec
; %bb.860:                              ;   in Loop: Header=BB1117_858 Depth=2
	s_or_b64 exec, exec, s[50:51]
	s_andn2_b64 s[40:41], s[40:41], exec
	s_and_b64 s[44:45], s[48:49], exec
	s_or_b64 s[40:41], s[40:41], s[44:45]
                                        ; implicit-def: $sgpr44_sgpr45
	s_and_saveexec_b64 s[50:51], s[52:53]
	s_cbranch_execz .LBB1117_857
; %bb.861:                              ;   in Loop: Header=BB1117_858 Depth=2
	s_add_u32 s42, s42, -1
	v_add_co_u32_e32 v4, vcc, 2, v4
	s_addc_u32 s43, s43, -1
	v_addc_co_u32_e32 v5, vcc, 0, v5, vcc
	s_cmp_eq_u64 s[42:43], 0
	v_add_co_u32_e32 v6, vcc, 2, v6
	s_cselect_b64 s[46:47], -1, 0
	v_addc_co_u32_e32 v7, vcc, 0, v7, vcc
	s_and_b64 s[44:45], s[48:49], exec
	s_andn2_b64 s[40:41], s[40:41], exec
	s_orn2_b64 s[46:47], s[46:47], exec
	s_branch .LBB1117_857
.LBB1117_862:                           ;   in Loop: Header=BB1117_819 Depth=1
	s_or_b64 exec, exec, s[36:37]
	s_xor_b64 s[36:37], s[38:39], -1
	s_andn2_b64 s[10:11], s[10:11], exec
	s_and_b64 s[36:37], s[36:37], exec
	s_or_b64 s[10:11], s[10:11], s[36:37]
.LBB1117_863:                           ;   in Loop: Header=BB1117_819 Depth=1
	s_or_b64 exec, exec, s[34:35]
	s_orn2_b64 s[10:11], s[10:11], exec
.LBB1117_864:                           ;   in Loop: Header=BB1117_819 Depth=1
	s_or_b64 exec, exec, s[30:31]
	v_cndmask_b32_e64 v4, v9, v8, s[10:11]
	v_cndmask_b32_e64 v5, v20, v19, s[10:11]
	v_add_u32_e32 v30, 1, v4
	v_add_u32_e32 v4, -1, v5
	v_min_u32_e32 v4, v30, v4
	v_lshlrev_b32_e32 v4, 3, v4
	ds_read_b64 v[4:5], v4
	v_cndmask_b32_e64 v9, v30, v9, s[10:11]
	v_cmp_lt_u32_e32 vcc, v9, v20
	s_waitcnt lgkmcnt(0)
	v_cndmask_b32_e64 v7, v27, v5, s[10:11]
	v_cndmask_b32_e64 v6, v28, v4, s[10:11]
	s_and_saveexec_b64 s[30:31], vcc
	s_cbranch_execz .LBB1117_817
; %bb.865:                              ;   in Loop: Header=BB1117_819 Depth=1
	v_cndmask_b32_e64 v29, v4, v26, s[10:11]
	v_cndmask_b32_e64 v4, v8, v30, s[10:11]
	v_cmp_ge_u32_e32 vcc, v4, v19
	v_cndmask_b32_e64 v20, v5, v25, s[10:11]
	s_or_b64 s[34:35], vcc, s[18:19]
	v_cndmask_b32_e32 v5, v7, v20, vcc
	s_xor_b64 s[36:37], s[34:35], -1
	v_cndmask_b32_e32 v4, v6, v29, vcc
	s_and_saveexec_b64 s[34:35], s[36:37]
	s_cbranch_execz .LBB1117_816
; %bb.866:                              ;   in Loop: Header=BB1117_819 Depth=1
	v_pk_mov_b32 v[8:9], s[14:15], s[14:15] op_sel:[0,1]
	v_mad_u64_u32 v[4:5], s[36:37], s22, v29, v[8:9]
	v_mul_lo_u32 v19, s22, v20
	v_mul_lo_u32 v30, s23, v29
	v_add3_u32 v5, v30, v5, v19
	v_mad_u64_u32 v[8:9], s[36:37], s22, v6, v[8:9]
	v_mul_lo_u32 v19, s22, v7
	v_mul_lo_u32 v30, s23, v6
	v_add3_u32 v9, v30, v9, v19
	s_mov_b64 s[36:37], 0
	s_mov_b64 s[42:43], s[12:13]
                                        ; implicit-def: $sgpr38_sgpr39
                                        ; implicit-def: $sgpr40_sgpr41
                                        ; implicit-def: $sgpr44_sgpr45
	s_branch .LBB1117_868
.LBB1117_867:                           ;   in Loop: Header=BB1117_868 Depth=2
	s_or_b64 exec, exec, s[50:51]
	s_and_b64 s[46:47], exec, s[46:47]
	s_or_b64 s[36:37], s[46:47], s[36:37]
	s_andn2_b64 s[38:39], s[38:39], exec
	s_and_b64 s[46:47], s[40:41], exec
	s_or_b64 s[38:39], s[38:39], s[46:47]
	s_andn2_b64 exec, exec, s[36:37]
	s_cbranch_execz .LBB1117_815
.LBB1117_868:                           ;   Parent Loop BB1117_819 Depth=1
                                        ; =>  This Inner Loop Header: Depth=2
	global_load_ushort v19, v[4:5], off
	global_load_ushort v30, v[8:9], off
	s_mov_b64 s[46:47], -1
	s_mov_b64 s[52:53], 0
	s_mov_b64 s[48:49], -1
	s_waitcnt vmcnt(1)
	v_lshlrev_b32_e32 v19, 16, v19
	s_waitcnt vmcnt(0)
	v_lshlrev_b32_e32 v30, 16, v30
	v_cmp_nlt_f32_e32 vcc, v19, v30
	s_and_saveexec_b64 s[50:51], vcc
; %bb.869:                              ;   in Loop: Header=BB1117_868 Depth=2
	v_cmp_ngt_f32_e32 vcc, v19, v30
	s_and_b64 s[44:45], vcc, s[44:45]
	s_orn2_b64 s[48:49], s[44:45], exec
	s_and_b64 s[52:53], vcc, exec
; %bb.870:                              ;   in Loop: Header=BB1117_868 Depth=2
	s_or_b64 exec, exec, s[50:51]
	s_andn2_b64 s[40:41], s[40:41], exec
	s_and_b64 s[44:45], s[48:49], exec
	s_or_b64 s[40:41], s[40:41], s[44:45]
                                        ; implicit-def: $sgpr44_sgpr45
	s_and_saveexec_b64 s[50:51], s[52:53]
	s_cbranch_execz .LBB1117_867
; %bb.871:                              ;   in Loop: Header=BB1117_868 Depth=2
	s_add_u32 s42, s42, -1
	v_add_co_u32_e32 v4, vcc, 2, v4
	s_addc_u32 s43, s43, -1
	v_addc_co_u32_e32 v5, vcc, 0, v5, vcc
	s_cmp_eq_u64 s[42:43], 0
	v_add_co_u32_e32 v8, vcc, 2, v8
	s_cselect_b64 s[46:47], -1, 0
	v_addc_co_u32_e32 v9, vcc, 0, v9, vcc
	s_and_b64 s[44:45], s[48:49], exec
	s_andn2_b64 s[40:41], s[40:41], exec
	s_orn2_b64 s[46:47], s[46:47], exec
	s_branch .LBB1117_867
.LBB1117_872:
	s_barrier
	ds_write2_b64 v17, v[0:1], v[2:3] offset1:1
	ds_write2_b64 v17, v[4:5], v[6:7] offset0:2 offset1:3
	s_waitcnt lgkmcnt(0)
	s_barrier
	ds_read_b64 v[6:7], v13 offset:2048
	ds_read_b64 v[2:3], v15 offset:4096
	;; [unrolled: 1-line block ×3, first 2 shown]
	v_mov_b32_e32 v5, s17
	v_add_co_u32_e32 v4, vcc, s16, v22
	v_mov_b32_e32 v13, 0
	v_addc_co_u32_e32 v5, vcc, 0, v5, vcc
	s_and_saveexec_b64 s[6:7], s[0:1]
	s_cbranch_execnz .LBB1117_880
; %bb.873:
	s_or_b64 exec, exec, s[6:7]
	s_and_saveexec_b64 s[0:1], s[2:3]
	s_cbranch_execnz .LBB1117_881
.LBB1117_874:
	s_or_b64 exec, exec, s[0:1]
	s_and_saveexec_b64 s[0:1], s[4:5]
	s_cbranch_execz .LBB1117_876
.LBB1117_875:
	v_add_co_u32_e32 v4, vcc, 0x1000, v4
	v_addc_co_u32_e32 v5, vcc, 0, v5, vcc
	s_waitcnt lgkmcnt(1)
	global_store_dwordx2 v[4:5], v[2:3], off
.LBB1117_876:
	s_or_b64 exec, exec, s[0:1]
.LBB1117_877:
	s_and_saveexec_b64 s[0:1], s[24:25]
	s_cbranch_execz .LBB1117_879
; %bb.878:
	s_waitcnt lgkmcnt(1)
	v_lshlrev_b64 v[2:3], 3, v[12:13]
	v_mov_b32_e32 v4, s17
	v_add_co_u32_e32 v2, vcc, s16, v2
	v_addc_co_u32_e32 v3, vcc, v4, v3, vcc
	v_add_co_u32_e32 v2, vcc, 0x1000, v2
	v_addc_co_u32_e32 v3, vcc, 0, v3, vcc
	s_waitcnt lgkmcnt(0)
	global_store_dwordx2 v[2:3], v[0:1], off offset:2048
.LBB1117_879:
	s_endpgm
.LBB1117_880:
	ds_read_b64 v[8:9], v14
	s_waitcnt lgkmcnt(0)
	global_store_dwordx2 v[4:5], v[8:9], off
	s_or_b64 exec, exec, s[6:7]
	s_and_saveexec_b64 s[0:1], s[2:3]
	s_cbranch_execz .LBB1117_874
.LBB1117_881:
	s_waitcnt lgkmcnt(2)
	global_store_dwordx2 v[4:5], v[6:7], off offset:2048
	s_or_b64 exec, exec, s[0:1]
	s_and_saveexec_b64 s[0:1], s[4:5]
	s_cbranch_execnz .LBB1117_875
	s_branch .LBB1117_876
	.section	.rodata,"a",@progbits
	.p2align	6, 0x0
	.amdhsa_kernel _ZN7rocprim17ROCPRIM_400000_NS6detail17trampoline_kernelINS0_14default_configENS1_37merge_sort_block_sort_config_selectorIlNS0_10empty_typeEEEZNS1_21merge_sort_block_sortIS3_PlS8_PS5_S9_ZN2at6native12_GLOBAL__N_124unique_dim_cuda_templateIN3c108BFloat16EEESt5tupleIJNSA_6TensorESH_SH_EERKSH_lbbbEUlllE_EE10hipError_tT0_T1_T2_T3_mRjT4_P12ihipStream_tbNS1_7vsmem_tEEUlT_E_NS1_11comp_targetILNS1_3genE4ELNS1_11target_archE910ELNS1_3gpuE8ELNS1_3repE0EEENS1_30default_config_static_selectorELNS0_4arch9wavefront6targetE1EEEvSO_
		.amdhsa_group_segment_fixed_size 8448
		.amdhsa_private_segment_fixed_size 0
		.amdhsa_kernarg_size 328
		.amdhsa_user_sgpr_count 6
		.amdhsa_user_sgpr_private_segment_buffer 1
		.amdhsa_user_sgpr_dispatch_ptr 0
		.amdhsa_user_sgpr_queue_ptr 0
		.amdhsa_user_sgpr_kernarg_segment_ptr 1
		.amdhsa_user_sgpr_dispatch_id 0
		.amdhsa_user_sgpr_flat_scratch_init 0
		.amdhsa_user_sgpr_kernarg_preload_length 0
		.amdhsa_user_sgpr_kernarg_preload_offset 0
		.amdhsa_user_sgpr_private_segment_size 0
		.amdhsa_uses_dynamic_stack 0
		.amdhsa_system_sgpr_private_segment_wavefront_offset 0
		.amdhsa_system_sgpr_workgroup_id_x 1
		.amdhsa_system_sgpr_workgroup_id_y 1
		.amdhsa_system_sgpr_workgroup_id_z 1
		.amdhsa_system_sgpr_workgroup_info 0
		.amdhsa_system_vgpr_workitem_id 2
		.amdhsa_next_free_vgpr 42
		.amdhsa_next_free_sgpr 55
		.amdhsa_accum_offset 44
		.amdhsa_reserve_vcc 1
		.amdhsa_reserve_flat_scratch 0
		.amdhsa_float_round_mode_32 0
		.amdhsa_float_round_mode_16_64 0
		.amdhsa_float_denorm_mode_32 3
		.amdhsa_float_denorm_mode_16_64 3
		.amdhsa_dx10_clamp 1
		.amdhsa_ieee_mode 1
		.amdhsa_fp16_overflow 0
		.amdhsa_tg_split 0
		.amdhsa_exception_fp_ieee_invalid_op 0
		.amdhsa_exception_fp_denorm_src 0
		.amdhsa_exception_fp_ieee_div_zero 0
		.amdhsa_exception_fp_ieee_overflow 0
		.amdhsa_exception_fp_ieee_underflow 0
		.amdhsa_exception_fp_ieee_inexact 0
		.amdhsa_exception_int_div_zero 0
	.end_amdhsa_kernel
	.section	.text._ZN7rocprim17ROCPRIM_400000_NS6detail17trampoline_kernelINS0_14default_configENS1_37merge_sort_block_sort_config_selectorIlNS0_10empty_typeEEEZNS1_21merge_sort_block_sortIS3_PlS8_PS5_S9_ZN2at6native12_GLOBAL__N_124unique_dim_cuda_templateIN3c108BFloat16EEESt5tupleIJNSA_6TensorESH_SH_EERKSH_lbbbEUlllE_EE10hipError_tT0_T1_T2_T3_mRjT4_P12ihipStream_tbNS1_7vsmem_tEEUlT_E_NS1_11comp_targetILNS1_3genE4ELNS1_11target_archE910ELNS1_3gpuE8ELNS1_3repE0EEENS1_30default_config_static_selectorELNS0_4arch9wavefront6targetE1EEEvSO_,"axG",@progbits,_ZN7rocprim17ROCPRIM_400000_NS6detail17trampoline_kernelINS0_14default_configENS1_37merge_sort_block_sort_config_selectorIlNS0_10empty_typeEEEZNS1_21merge_sort_block_sortIS3_PlS8_PS5_S9_ZN2at6native12_GLOBAL__N_124unique_dim_cuda_templateIN3c108BFloat16EEESt5tupleIJNSA_6TensorESH_SH_EERKSH_lbbbEUlllE_EE10hipError_tT0_T1_T2_T3_mRjT4_P12ihipStream_tbNS1_7vsmem_tEEUlT_E_NS1_11comp_targetILNS1_3genE4ELNS1_11target_archE910ELNS1_3gpuE8ELNS1_3repE0EEENS1_30default_config_static_selectorELNS0_4arch9wavefront6targetE1EEEvSO_,comdat
.Lfunc_end1117:
	.size	_ZN7rocprim17ROCPRIM_400000_NS6detail17trampoline_kernelINS0_14default_configENS1_37merge_sort_block_sort_config_selectorIlNS0_10empty_typeEEEZNS1_21merge_sort_block_sortIS3_PlS8_PS5_S9_ZN2at6native12_GLOBAL__N_124unique_dim_cuda_templateIN3c108BFloat16EEESt5tupleIJNSA_6TensorESH_SH_EERKSH_lbbbEUlllE_EE10hipError_tT0_T1_T2_T3_mRjT4_P12ihipStream_tbNS1_7vsmem_tEEUlT_E_NS1_11comp_targetILNS1_3genE4ELNS1_11target_archE910ELNS1_3gpuE8ELNS1_3repE0EEENS1_30default_config_static_selectorELNS0_4arch9wavefront6targetE1EEEvSO_, .Lfunc_end1117-_ZN7rocprim17ROCPRIM_400000_NS6detail17trampoline_kernelINS0_14default_configENS1_37merge_sort_block_sort_config_selectorIlNS0_10empty_typeEEEZNS1_21merge_sort_block_sortIS3_PlS8_PS5_S9_ZN2at6native12_GLOBAL__N_124unique_dim_cuda_templateIN3c108BFloat16EEESt5tupleIJNSA_6TensorESH_SH_EERKSH_lbbbEUlllE_EE10hipError_tT0_T1_T2_T3_mRjT4_P12ihipStream_tbNS1_7vsmem_tEEUlT_E_NS1_11comp_targetILNS1_3genE4ELNS1_11target_archE910ELNS1_3gpuE8ELNS1_3repE0EEENS1_30default_config_static_selectorELNS0_4arch9wavefront6targetE1EEEvSO_
                                        ; -- End function
	.section	.AMDGPU.csdata,"",@progbits
; Kernel info:
; codeLenInByte = 36860
; NumSgprs: 59
; NumVgprs: 42
; NumAgprs: 0
; TotalNumVgprs: 42
; ScratchSize: 0
; MemoryBound: 0
; FloatMode: 240
; IeeeMode: 1
; LDSByteSize: 8448 bytes/workgroup (compile time only)
; SGPRBlocks: 7
; VGPRBlocks: 5
; NumSGPRsForWavesPerEU: 59
; NumVGPRsForWavesPerEU: 42
; AccumOffset: 44
; Occupancy: 7
; WaveLimiterHint : 1
; COMPUTE_PGM_RSRC2:SCRATCH_EN: 0
; COMPUTE_PGM_RSRC2:USER_SGPR: 6
; COMPUTE_PGM_RSRC2:TRAP_HANDLER: 0
; COMPUTE_PGM_RSRC2:TGID_X_EN: 1
; COMPUTE_PGM_RSRC2:TGID_Y_EN: 1
; COMPUTE_PGM_RSRC2:TGID_Z_EN: 1
; COMPUTE_PGM_RSRC2:TIDIG_COMP_CNT: 2
; COMPUTE_PGM_RSRC3_GFX90A:ACCUM_OFFSET: 10
; COMPUTE_PGM_RSRC3_GFX90A:TG_SPLIT: 0
	.section	.text._ZN7rocprim17ROCPRIM_400000_NS6detail17trampoline_kernelINS0_14default_configENS1_37merge_sort_block_sort_config_selectorIlNS0_10empty_typeEEEZNS1_21merge_sort_block_sortIS3_PlS8_PS5_S9_ZN2at6native12_GLOBAL__N_124unique_dim_cuda_templateIN3c108BFloat16EEESt5tupleIJNSA_6TensorESH_SH_EERKSH_lbbbEUlllE_EE10hipError_tT0_T1_T2_T3_mRjT4_P12ihipStream_tbNS1_7vsmem_tEEUlT_E_NS1_11comp_targetILNS1_3genE3ELNS1_11target_archE908ELNS1_3gpuE7ELNS1_3repE0EEENS1_30default_config_static_selectorELNS0_4arch9wavefront6targetE1EEEvSO_,"axG",@progbits,_ZN7rocprim17ROCPRIM_400000_NS6detail17trampoline_kernelINS0_14default_configENS1_37merge_sort_block_sort_config_selectorIlNS0_10empty_typeEEEZNS1_21merge_sort_block_sortIS3_PlS8_PS5_S9_ZN2at6native12_GLOBAL__N_124unique_dim_cuda_templateIN3c108BFloat16EEESt5tupleIJNSA_6TensorESH_SH_EERKSH_lbbbEUlllE_EE10hipError_tT0_T1_T2_T3_mRjT4_P12ihipStream_tbNS1_7vsmem_tEEUlT_E_NS1_11comp_targetILNS1_3genE3ELNS1_11target_archE908ELNS1_3gpuE7ELNS1_3repE0EEENS1_30default_config_static_selectorELNS0_4arch9wavefront6targetE1EEEvSO_,comdat
	.globl	_ZN7rocprim17ROCPRIM_400000_NS6detail17trampoline_kernelINS0_14default_configENS1_37merge_sort_block_sort_config_selectorIlNS0_10empty_typeEEEZNS1_21merge_sort_block_sortIS3_PlS8_PS5_S9_ZN2at6native12_GLOBAL__N_124unique_dim_cuda_templateIN3c108BFloat16EEESt5tupleIJNSA_6TensorESH_SH_EERKSH_lbbbEUlllE_EE10hipError_tT0_T1_T2_T3_mRjT4_P12ihipStream_tbNS1_7vsmem_tEEUlT_E_NS1_11comp_targetILNS1_3genE3ELNS1_11target_archE908ELNS1_3gpuE7ELNS1_3repE0EEENS1_30default_config_static_selectorELNS0_4arch9wavefront6targetE1EEEvSO_ ; -- Begin function _ZN7rocprim17ROCPRIM_400000_NS6detail17trampoline_kernelINS0_14default_configENS1_37merge_sort_block_sort_config_selectorIlNS0_10empty_typeEEEZNS1_21merge_sort_block_sortIS3_PlS8_PS5_S9_ZN2at6native12_GLOBAL__N_124unique_dim_cuda_templateIN3c108BFloat16EEESt5tupleIJNSA_6TensorESH_SH_EERKSH_lbbbEUlllE_EE10hipError_tT0_T1_T2_T3_mRjT4_P12ihipStream_tbNS1_7vsmem_tEEUlT_E_NS1_11comp_targetILNS1_3genE3ELNS1_11target_archE908ELNS1_3gpuE7ELNS1_3repE0EEENS1_30default_config_static_selectorELNS0_4arch9wavefront6targetE1EEEvSO_
	.p2align	8
	.type	_ZN7rocprim17ROCPRIM_400000_NS6detail17trampoline_kernelINS0_14default_configENS1_37merge_sort_block_sort_config_selectorIlNS0_10empty_typeEEEZNS1_21merge_sort_block_sortIS3_PlS8_PS5_S9_ZN2at6native12_GLOBAL__N_124unique_dim_cuda_templateIN3c108BFloat16EEESt5tupleIJNSA_6TensorESH_SH_EERKSH_lbbbEUlllE_EE10hipError_tT0_T1_T2_T3_mRjT4_P12ihipStream_tbNS1_7vsmem_tEEUlT_E_NS1_11comp_targetILNS1_3genE3ELNS1_11target_archE908ELNS1_3gpuE7ELNS1_3repE0EEENS1_30default_config_static_selectorELNS0_4arch9wavefront6targetE1EEEvSO_,@function
_ZN7rocprim17ROCPRIM_400000_NS6detail17trampoline_kernelINS0_14default_configENS1_37merge_sort_block_sort_config_selectorIlNS0_10empty_typeEEEZNS1_21merge_sort_block_sortIS3_PlS8_PS5_S9_ZN2at6native12_GLOBAL__N_124unique_dim_cuda_templateIN3c108BFloat16EEESt5tupleIJNSA_6TensorESH_SH_EERKSH_lbbbEUlllE_EE10hipError_tT0_T1_T2_T3_mRjT4_P12ihipStream_tbNS1_7vsmem_tEEUlT_E_NS1_11comp_targetILNS1_3genE3ELNS1_11target_archE908ELNS1_3gpuE7ELNS1_3repE0EEENS1_30default_config_static_selectorELNS0_4arch9wavefront6targetE1EEEvSO_: ; @_ZN7rocprim17ROCPRIM_400000_NS6detail17trampoline_kernelINS0_14default_configENS1_37merge_sort_block_sort_config_selectorIlNS0_10empty_typeEEEZNS1_21merge_sort_block_sortIS3_PlS8_PS5_S9_ZN2at6native12_GLOBAL__N_124unique_dim_cuda_templateIN3c108BFloat16EEESt5tupleIJNSA_6TensorESH_SH_EERKSH_lbbbEUlllE_EE10hipError_tT0_T1_T2_T3_mRjT4_P12ihipStream_tbNS1_7vsmem_tEEUlT_E_NS1_11comp_targetILNS1_3genE3ELNS1_11target_archE908ELNS1_3gpuE7ELNS1_3repE0EEENS1_30default_config_static_selectorELNS0_4arch9wavefront6targetE1EEEvSO_
; %bb.0:
	.section	.rodata,"a",@progbits
	.p2align	6, 0x0
	.amdhsa_kernel _ZN7rocprim17ROCPRIM_400000_NS6detail17trampoline_kernelINS0_14default_configENS1_37merge_sort_block_sort_config_selectorIlNS0_10empty_typeEEEZNS1_21merge_sort_block_sortIS3_PlS8_PS5_S9_ZN2at6native12_GLOBAL__N_124unique_dim_cuda_templateIN3c108BFloat16EEESt5tupleIJNSA_6TensorESH_SH_EERKSH_lbbbEUlllE_EE10hipError_tT0_T1_T2_T3_mRjT4_P12ihipStream_tbNS1_7vsmem_tEEUlT_E_NS1_11comp_targetILNS1_3genE3ELNS1_11target_archE908ELNS1_3gpuE7ELNS1_3repE0EEENS1_30default_config_static_selectorELNS0_4arch9wavefront6targetE1EEEvSO_
		.amdhsa_group_segment_fixed_size 0
		.amdhsa_private_segment_fixed_size 0
		.amdhsa_kernarg_size 72
		.amdhsa_user_sgpr_count 6
		.amdhsa_user_sgpr_private_segment_buffer 1
		.amdhsa_user_sgpr_dispatch_ptr 0
		.amdhsa_user_sgpr_queue_ptr 0
		.amdhsa_user_sgpr_kernarg_segment_ptr 1
		.amdhsa_user_sgpr_dispatch_id 0
		.amdhsa_user_sgpr_flat_scratch_init 0
		.amdhsa_user_sgpr_kernarg_preload_length 0
		.amdhsa_user_sgpr_kernarg_preload_offset 0
		.amdhsa_user_sgpr_private_segment_size 0
		.amdhsa_uses_dynamic_stack 0
		.amdhsa_system_sgpr_private_segment_wavefront_offset 0
		.amdhsa_system_sgpr_workgroup_id_x 1
		.amdhsa_system_sgpr_workgroup_id_y 0
		.amdhsa_system_sgpr_workgroup_id_z 0
		.amdhsa_system_sgpr_workgroup_info 0
		.amdhsa_system_vgpr_workitem_id 0
		.amdhsa_next_free_vgpr 1
		.amdhsa_next_free_sgpr 0
		.amdhsa_accum_offset 4
		.amdhsa_reserve_vcc 0
		.amdhsa_reserve_flat_scratch 0
		.amdhsa_float_round_mode_32 0
		.amdhsa_float_round_mode_16_64 0
		.amdhsa_float_denorm_mode_32 3
		.amdhsa_float_denorm_mode_16_64 3
		.amdhsa_dx10_clamp 1
		.amdhsa_ieee_mode 1
		.amdhsa_fp16_overflow 0
		.amdhsa_tg_split 0
		.amdhsa_exception_fp_ieee_invalid_op 0
		.amdhsa_exception_fp_denorm_src 0
		.amdhsa_exception_fp_ieee_div_zero 0
		.amdhsa_exception_fp_ieee_overflow 0
		.amdhsa_exception_fp_ieee_underflow 0
		.amdhsa_exception_fp_ieee_inexact 0
		.amdhsa_exception_int_div_zero 0
	.end_amdhsa_kernel
	.section	.text._ZN7rocprim17ROCPRIM_400000_NS6detail17trampoline_kernelINS0_14default_configENS1_37merge_sort_block_sort_config_selectorIlNS0_10empty_typeEEEZNS1_21merge_sort_block_sortIS3_PlS8_PS5_S9_ZN2at6native12_GLOBAL__N_124unique_dim_cuda_templateIN3c108BFloat16EEESt5tupleIJNSA_6TensorESH_SH_EERKSH_lbbbEUlllE_EE10hipError_tT0_T1_T2_T3_mRjT4_P12ihipStream_tbNS1_7vsmem_tEEUlT_E_NS1_11comp_targetILNS1_3genE3ELNS1_11target_archE908ELNS1_3gpuE7ELNS1_3repE0EEENS1_30default_config_static_selectorELNS0_4arch9wavefront6targetE1EEEvSO_,"axG",@progbits,_ZN7rocprim17ROCPRIM_400000_NS6detail17trampoline_kernelINS0_14default_configENS1_37merge_sort_block_sort_config_selectorIlNS0_10empty_typeEEEZNS1_21merge_sort_block_sortIS3_PlS8_PS5_S9_ZN2at6native12_GLOBAL__N_124unique_dim_cuda_templateIN3c108BFloat16EEESt5tupleIJNSA_6TensorESH_SH_EERKSH_lbbbEUlllE_EE10hipError_tT0_T1_T2_T3_mRjT4_P12ihipStream_tbNS1_7vsmem_tEEUlT_E_NS1_11comp_targetILNS1_3genE3ELNS1_11target_archE908ELNS1_3gpuE7ELNS1_3repE0EEENS1_30default_config_static_selectorELNS0_4arch9wavefront6targetE1EEEvSO_,comdat
.Lfunc_end1118:
	.size	_ZN7rocprim17ROCPRIM_400000_NS6detail17trampoline_kernelINS0_14default_configENS1_37merge_sort_block_sort_config_selectorIlNS0_10empty_typeEEEZNS1_21merge_sort_block_sortIS3_PlS8_PS5_S9_ZN2at6native12_GLOBAL__N_124unique_dim_cuda_templateIN3c108BFloat16EEESt5tupleIJNSA_6TensorESH_SH_EERKSH_lbbbEUlllE_EE10hipError_tT0_T1_T2_T3_mRjT4_P12ihipStream_tbNS1_7vsmem_tEEUlT_E_NS1_11comp_targetILNS1_3genE3ELNS1_11target_archE908ELNS1_3gpuE7ELNS1_3repE0EEENS1_30default_config_static_selectorELNS0_4arch9wavefront6targetE1EEEvSO_, .Lfunc_end1118-_ZN7rocprim17ROCPRIM_400000_NS6detail17trampoline_kernelINS0_14default_configENS1_37merge_sort_block_sort_config_selectorIlNS0_10empty_typeEEEZNS1_21merge_sort_block_sortIS3_PlS8_PS5_S9_ZN2at6native12_GLOBAL__N_124unique_dim_cuda_templateIN3c108BFloat16EEESt5tupleIJNSA_6TensorESH_SH_EERKSH_lbbbEUlllE_EE10hipError_tT0_T1_T2_T3_mRjT4_P12ihipStream_tbNS1_7vsmem_tEEUlT_E_NS1_11comp_targetILNS1_3genE3ELNS1_11target_archE908ELNS1_3gpuE7ELNS1_3repE0EEENS1_30default_config_static_selectorELNS0_4arch9wavefront6targetE1EEEvSO_
                                        ; -- End function
	.section	.AMDGPU.csdata,"",@progbits
; Kernel info:
; codeLenInByte = 0
; NumSgprs: 4
; NumVgprs: 0
; NumAgprs: 0
; TotalNumVgprs: 0
; ScratchSize: 0
; MemoryBound: 0
; FloatMode: 240
; IeeeMode: 1
; LDSByteSize: 0 bytes/workgroup (compile time only)
; SGPRBlocks: 0
; VGPRBlocks: 0
; NumSGPRsForWavesPerEU: 4
; NumVGPRsForWavesPerEU: 1
; AccumOffset: 4
; Occupancy: 8
; WaveLimiterHint : 0
; COMPUTE_PGM_RSRC2:SCRATCH_EN: 0
; COMPUTE_PGM_RSRC2:USER_SGPR: 6
; COMPUTE_PGM_RSRC2:TRAP_HANDLER: 0
; COMPUTE_PGM_RSRC2:TGID_X_EN: 1
; COMPUTE_PGM_RSRC2:TGID_Y_EN: 0
; COMPUTE_PGM_RSRC2:TGID_Z_EN: 0
; COMPUTE_PGM_RSRC2:TIDIG_COMP_CNT: 0
; COMPUTE_PGM_RSRC3_GFX90A:ACCUM_OFFSET: 0
; COMPUTE_PGM_RSRC3_GFX90A:TG_SPLIT: 0
	.section	.text._ZN7rocprim17ROCPRIM_400000_NS6detail17trampoline_kernelINS0_14default_configENS1_37merge_sort_block_sort_config_selectorIlNS0_10empty_typeEEEZNS1_21merge_sort_block_sortIS3_PlS8_PS5_S9_ZN2at6native12_GLOBAL__N_124unique_dim_cuda_templateIN3c108BFloat16EEESt5tupleIJNSA_6TensorESH_SH_EERKSH_lbbbEUlllE_EE10hipError_tT0_T1_T2_T3_mRjT4_P12ihipStream_tbNS1_7vsmem_tEEUlT_E_NS1_11comp_targetILNS1_3genE2ELNS1_11target_archE906ELNS1_3gpuE6ELNS1_3repE0EEENS1_30default_config_static_selectorELNS0_4arch9wavefront6targetE1EEEvSO_,"axG",@progbits,_ZN7rocprim17ROCPRIM_400000_NS6detail17trampoline_kernelINS0_14default_configENS1_37merge_sort_block_sort_config_selectorIlNS0_10empty_typeEEEZNS1_21merge_sort_block_sortIS3_PlS8_PS5_S9_ZN2at6native12_GLOBAL__N_124unique_dim_cuda_templateIN3c108BFloat16EEESt5tupleIJNSA_6TensorESH_SH_EERKSH_lbbbEUlllE_EE10hipError_tT0_T1_T2_T3_mRjT4_P12ihipStream_tbNS1_7vsmem_tEEUlT_E_NS1_11comp_targetILNS1_3genE2ELNS1_11target_archE906ELNS1_3gpuE6ELNS1_3repE0EEENS1_30default_config_static_selectorELNS0_4arch9wavefront6targetE1EEEvSO_,comdat
	.globl	_ZN7rocprim17ROCPRIM_400000_NS6detail17trampoline_kernelINS0_14default_configENS1_37merge_sort_block_sort_config_selectorIlNS0_10empty_typeEEEZNS1_21merge_sort_block_sortIS3_PlS8_PS5_S9_ZN2at6native12_GLOBAL__N_124unique_dim_cuda_templateIN3c108BFloat16EEESt5tupleIJNSA_6TensorESH_SH_EERKSH_lbbbEUlllE_EE10hipError_tT0_T1_T2_T3_mRjT4_P12ihipStream_tbNS1_7vsmem_tEEUlT_E_NS1_11comp_targetILNS1_3genE2ELNS1_11target_archE906ELNS1_3gpuE6ELNS1_3repE0EEENS1_30default_config_static_selectorELNS0_4arch9wavefront6targetE1EEEvSO_ ; -- Begin function _ZN7rocprim17ROCPRIM_400000_NS6detail17trampoline_kernelINS0_14default_configENS1_37merge_sort_block_sort_config_selectorIlNS0_10empty_typeEEEZNS1_21merge_sort_block_sortIS3_PlS8_PS5_S9_ZN2at6native12_GLOBAL__N_124unique_dim_cuda_templateIN3c108BFloat16EEESt5tupleIJNSA_6TensorESH_SH_EERKSH_lbbbEUlllE_EE10hipError_tT0_T1_T2_T3_mRjT4_P12ihipStream_tbNS1_7vsmem_tEEUlT_E_NS1_11comp_targetILNS1_3genE2ELNS1_11target_archE906ELNS1_3gpuE6ELNS1_3repE0EEENS1_30default_config_static_selectorELNS0_4arch9wavefront6targetE1EEEvSO_
	.p2align	8
	.type	_ZN7rocprim17ROCPRIM_400000_NS6detail17trampoline_kernelINS0_14default_configENS1_37merge_sort_block_sort_config_selectorIlNS0_10empty_typeEEEZNS1_21merge_sort_block_sortIS3_PlS8_PS5_S9_ZN2at6native12_GLOBAL__N_124unique_dim_cuda_templateIN3c108BFloat16EEESt5tupleIJNSA_6TensorESH_SH_EERKSH_lbbbEUlllE_EE10hipError_tT0_T1_T2_T3_mRjT4_P12ihipStream_tbNS1_7vsmem_tEEUlT_E_NS1_11comp_targetILNS1_3genE2ELNS1_11target_archE906ELNS1_3gpuE6ELNS1_3repE0EEENS1_30default_config_static_selectorELNS0_4arch9wavefront6targetE1EEEvSO_,@function
_ZN7rocprim17ROCPRIM_400000_NS6detail17trampoline_kernelINS0_14default_configENS1_37merge_sort_block_sort_config_selectorIlNS0_10empty_typeEEEZNS1_21merge_sort_block_sortIS3_PlS8_PS5_S9_ZN2at6native12_GLOBAL__N_124unique_dim_cuda_templateIN3c108BFloat16EEESt5tupleIJNSA_6TensorESH_SH_EERKSH_lbbbEUlllE_EE10hipError_tT0_T1_T2_T3_mRjT4_P12ihipStream_tbNS1_7vsmem_tEEUlT_E_NS1_11comp_targetILNS1_3genE2ELNS1_11target_archE906ELNS1_3gpuE6ELNS1_3repE0EEENS1_30default_config_static_selectorELNS0_4arch9wavefront6targetE1EEEvSO_: ; @_ZN7rocprim17ROCPRIM_400000_NS6detail17trampoline_kernelINS0_14default_configENS1_37merge_sort_block_sort_config_selectorIlNS0_10empty_typeEEEZNS1_21merge_sort_block_sortIS3_PlS8_PS5_S9_ZN2at6native12_GLOBAL__N_124unique_dim_cuda_templateIN3c108BFloat16EEESt5tupleIJNSA_6TensorESH_SH_EERKSH_lbbbEUlllE_EE10hipError_tT0_T1_T2_T3_mRjT4_P12ihipStream_tbNS1_7vsmem_tEEUlT_E_NS1_11comp_targetILNS1_3genE2ELNS1_11target_archE906ELNS1_3gpuE6ELNS1_3repE0EEENS1_30default_config_static_selectorELNS0_4arch9wavefront6targetE1EEEvSO_
; %bb.0:
	.section	.rodata,"a",@progbits
	.p2align	6, 0x0
	.amdhsa_kernel _ZN7rocprim17ROCPRIM_400000_NS6detail17trampoline_kernelINS0_14default_configENS1_37merge_sort_block_sort_config_selectorIlNS0_10empty_typeEEEZNS1_21merge_sort_block_sortIS3_PlS8_PS5_S9_ZN2at6native12_GLOBAL__N_124unique_dim_cuda_templateIN3c108BFloat16EEESt5tupleIJNSA_6TensorESH_SH_EERKSH_lbbbEUlllE_EE10hipError_tT0_T1_T2_T3_mRjT4_P12ihipStream_tbNS1_7vsmem_tEEUlT_E_NS1_11comp_targetILNS1_3genE2ELNS1_11target_archE906ELNS1_3gpuE6ELNS1_3repE0EEENS1_30default_config_static_selectorELNS0_4arch9wavefront6targetE1EEEvSO_
		.amdhsa_group_segment_fixed_size 0
		.amdhsa_private_segment_fixed_size 0
		.amdhsa_kernarg_size 72
		.amdhsa_user_sgpr_count 6
		.amdhsa_user_sgpr_private_segment_buffer 1
		.amdhsa_user_sgpr_dispatch_ptr 0
		.amdhsa_user_sgpr_queue_ptr 0
		.amdhsa_user_sgpr_kernarg_segment_ptr 1
		.amdhsa_user_sgpr_dispatch_id 0
		.amdhsa_user_sgpr_flat_scratch_init 0
		.amdhsa_user_sgpr_kernarg_preload_length 0
		.amdhsa_user_sgpr_kernarg_preload_offset 0
		.amdhsa_user_sgpr_private_segment_size 0
		.amdhsa_uses_dynamic_stack 0
		.amdhsa_system_sgpr_private_segment_wavefront_offset 0
		.amdhsa_system_sgpr_workgroup_id_x 1
		.amdhsa_system_sgpr_workgroup_id_y 0
		.amdhsa_system_sgpr_workgroup_id_z 0
		.amdhsa_system_sgpr_workgroup_info 0
		.amdhsa_system_vgpr_workitem_id 0
		.amdhsa_next_free_vgpr 1
		.amdhsa_next_free_sgpr 0
		.amdhsa_accum_offset 4
		.amdhsa_reserve_vcc 0
		.amdhsa_reserve_flat_scratch 0
		.amdhsa_float_round_mode_32 0
		.amdhsa_float_round_mode_16_64 0
		.amdhsa_float_denorm_mode_32 3
		.amdhsa_float_denorm_mode_16_64 3
		.amdhsa_dx10_clamp 1
		.amdhsa_ieee_mode 1
		.amdhsa_fp16_overflow 0
		.amdhsa_tg_split 0
		.amdhsa_exception_fp_ieee_invalid_op 0
		.amdhsa_exception_fp_denorm_src 0
		.amdhsa_exception_fp_ieee_div_zero 0
		.amdhsa_exception_fp_ieee_overflow 0
		.amdhsa_exception_fp_ieee_underflow 0
		.amdhsa_exception_fp_ieee_inexact 0
		.amdhsa_exception_int_div_zero 0
	.end_amdhsa_kernel
	.section	.text._ZN7rocprim17ROCPRIM_400000_NS6detail17trampoline_kernelINS0_14default_configENS1_37merge_sort_block_sort_config_selectorIlNS0_10empty_typeEEEZNS1_21merge_sort_block_sortIS3_PlS8_PS5_S9_ZN2at6native12_GLOBAL__N_124unique_dim_cuda_templateIN3c108BFloat16EEESt5tupleIJNSA_6TensorESH_SH_EERKSH_lbbbEUlllE_EE10hipError_tT0_T1_T2_T3_mRjT4_P12ihipStream_tbNS1_7vsmem_tEEUlT_E_NS1_11comp_targetILNS1_3genE2ELNS1_11target_archE906ELNS1_3gpuE6ELNS1_3repE0EEENS1_30default_config_static_selectorELNS0_4arch9wavefront6targetE1EEEvSO_,"axG",@progbits,_ZN7rocprim17ROCPRIM_400000_NS6detail17trampoline_kernelINS0_14default_configENS1_37merge_sort_block_sort_config_selectorIlNS0_10empty_typeEEEZNS1_21merge_sort_block_sortIS3_PlS8_PS5_S9_ZN2at6native12_GLOBAL__N_124unique_dim_cuda_templateIN3c108BFloat16EEESt5tupleIJNSA_6TensorESH_SH_EERKSH_lbbbEUlllE_EE10hipError_tT0_T1_T2_T3_mRjT4_P12ihipStream_tbNS1_7vsmem_tEEUlT_E_NS1_11comp_targetILNS1_3genE2ELNS1_11target_archE906ELNS1_3gpuE6ELNS1_3repE0EEENS1_30default_config_static_selectorELNS0_4arch9wavefront6targetE1EEEvSO_,comdat
.Lfunc_end1119:
	.size	_ZN7rocprim17ROCPRIM_400000_NS6detail17trampoline_kernelINS0_14default_configENS1_37merge_sort_block_sort_config_selectorIlNS0_10empty_typeEEEZNS1_21merge_sort_block_sortIS3_PlS8_PS5_S9_ZN2at6native12_GLOBAL__N_124unique_dim_cuda_templateIN3c108BFloat16EEESt5tupleIJNSA_6TensorESH_SH_EERKSH_lbbbEUlllE_EE10hipError_tT0_T1_T2_T3_mRjT4_P12ihipStream_tbNS1_7vsmem_tEEUlT_E_NS1_11comp_targetILNS1_3genE2ELNS1_11target_archE906ELNS1_3gpuE6ELNS1_3repE0EEENS1_30default_config_static_selectorELNS0_4arch9wavefront6targetE1EEEvSO_, .Lfunc_end1119-_ZN7rocprim17ROCPRIM_400000_NS6detail17trampoline_kernelINS0_14default_configENS1_37merge_sort_block_sort_config_selectorIlNS0_10empty_typeEEEZNS1_21merge_sort_block_sortIS3_PlS8_PS5_S9_ZN2at6native12_GLOBAL__N_124unique_dim_cuda_templateIN3c108BFloat16EEESt5tupleIJNSA_6TensorESH_SH_EERKSH_lbbbEUlllE_EE10hipError_tT0_T1_T2_T3_mRjT4_P12ihipStream_tbNS1_7vsmem_tEEUlT_E_NS1_11comp_targetILNS1_3genE2ELNS1_11target_archE906ELNS1_3gpuE6ELNS1_3repE0EEENS1_30default_config_static_selectorELNS0_4arch9wavefront6targetE1EEEvSO_
                                        ; -- End function
	.section	.AMDGPU.csdata,"",@progbits
; Kernel info:
; codeLenInByte = 0
; NumSgprs: 4
; NumVgprs: 0
; NumAgprs: 0
; TotalNumVgprs: 0
; ScratchSize: 0
; MemoryBound: 0
; FloatMode: 240
; IeeeMode: 1
; LDSByteSize: 0 bytes/workgroup (compile time only)
; SGPRBlocks: 0
; VGPRBlocks: 0
; NumSGPRsForWavesPerEU: 4
; NumVGPRsForWavesPerEU: 1
; AccumOffset: 4
; Occupancy: 8
; WaveLimiterHint : 0
; COMPUTE_PGM_RSRC2:SCRATCH_EN: 0
; COMPUTE_PGM_RSRC2:USER_SGPR: 6
; COMPUTE_PGM_RSRC2:TRAP_HANDLER: 0
; COMPUTE_PGM_RSRC2:TGID_X_EN: 1
; COMPUTE_PGM_RSRC2:TGID_Y_EN: 0
; COMPUTE_PGM_RSRC2:TGID_Z_EN: 0
; COMPUTE_PGM_RSRC2:TIDIG_COMP_CNT: 0
; COMPUTE_PGM_RSRC3_GFX90A:ACCUM_OFFSET: 0
; COMPUTE_PGM_RSRC3_GFX90A:TG_SPLIT: 0
	.section	.text._ZN7rocprim17ROCPRIM_400000_NS6detail17trampoline_kernelINS0_14default_configENS1_37merge_sort_block_sort_config_selectorIlNS0_10empty_typeEEEZNS1_21merge_sort_block_sortIS3_PlS8_PS5_S9_ZN2at6native12_GLOBAL__N_124unique_dim_cuda_templateIN3c108BFloat16EEESt5tupleIJNSA_6TensorESH_SH_EERKSH_lbbbEUlllE_EE10hipError_tT0_T1_T2_T3_mRjT4_P12ihipStream_tbNS1_7vsmem_tEEUlT_E_NS1_11comp_targetILNS1_3genE10ELNS1_11target_archE1201ELNS1_3gpuE5ELNS1_3repE0EEENS1_30default_config_static_selectorELNS0_4arch9wavefront6targetE1EEEvSO_,"axG",@progbits,_ZN7rocprim17ROCPRIM_400000_NS6detail17trampoline_kernelINS0_14default_configENS1_37merge_sort_block_sort_config_selectorIlNS0_10empty_typeEEEZNS1_21merge_sort_block_sortIS3_PlS8_PS5_S9_ZN2at6native12_GLOBAL__N_124unique_dim_cuda_templateIN3c108BFloat16EEESt5tupleIJNSA_6TensorESH_SH_EERKSH_lbbbEUlllE_EE10hipError_tT0_T1_T2_T3_mRjT4_P12ihipStream_tbNS1_7vsmem_tEEUlT_E_NS1_11comp_targetILNS1_3genE10ELNS1_11target_archE1201ELNS1_3gpuE5ELNS1_3repE0EEENS1_30default_config_static_selectorELNS0_4arch9wavefront6targetE1EEEvSO_,comdat
	.globl	_ZN7rocprim17ROCPRIM_400000_NS6detail17trampoline_kernelINS0_14default_configENS1_37merge_sort_block_sort_config_selectorIlNS0_10empty_typeEEEZNS1_21merge_sort_block_sortIS3_PlS8_PS5_S9_ZN2at6native12_GLOBAL__N_124unique_dim_cuda_templateIN3c108BFloat16EEESt5tupleIJNSA_6TensorESH_SH_EERKSH_lbbbEUlllE_EE10hipError_tT0_T1_T2_T3_mRjT4_P12ihipStream_tbNS1_7vsmem_tEEUlT_E_NS1_11comp_targetILNS1_3genE10ELNS1_11target_archE1201ELNS1_3gpuE5ELNS1_3repE0EEENS1_30default_config_static_selectorELNS0_4arch9wavefront6targetE1EEEvSO_ ; -- Begin function _ZN7rocprim17ROCPRIM_400000_NS6detail17trampoline_kernelINS0_14default_configENS1_37merge_sort_block_sort_config_selectorIlNS0_10empty_typeEEEZNS1_21merge_sort_block_sortIS3_PlS8_PS5_S9_ZN2at6native12_GLOBAL__N_124unique_dim_cuda_templateIN3c108BFloat16EEESt5tupleIJNSA_6TensorESH_SH_EERKSH_lbbbEUlllE_EE10hipError_tT0_T1_T2_T3_mRjT4_P12ihipStream_tbNS1_7vsmem_tEEUlT_E_NS1_11comp_targetILNS1_3genE10ELNS1_11target_archE1201ELNS1_3gpuE5ELNS1_3repE0EEENS1_30default_config_static_selectorELNS0_4arch9wavefront6targetE1EEEvSO_
	.p2align	8
	.type	_ZN7rocprim17ROCPRIM_400000_NS6detail17trampoline_kernelINS0_14default_configENS1_37merge_sort_block_sort_config_selectorIlNS0_10empty_typeEEEZNS1_21merge_sort_block_sortIS3_PlS8_PS5_S9_ZN2at6native12_GLOBAL__N_124unique_dim_cuda_templateIN3c108BFloat16EEESt5tupleIJNSA_6TensorESH_SH_EERKSH_lbbbEUlllE_EE10hipError_tT0_T1_T2_T3_mRjT4_P12ihipStream_tbNS1_7vsmem_tEEUlT_E_NS1_11comp_targetILNS1_3genE10ELNS1_11target_archE1201ELNS1_3gpuE5ELNS1_3repE0EEENS1_30default_config_static_selectorELNS0_4arch9wavefront6targetE1EEEvSO_,@function
_ZN7rocprim17ROCPRIM_400000_NS6detail17trampoline_kernelINS0_14default_configENS1_37merge_sort_block_sort_config_selectorIlNS0_10empty_typeEEEZNS1_21merge_sort_block_sortIS3_PlS8_PS5_S9_ZN2at6native12_GLOBAL__N_124unique_dim_cuda_templateIN3c108BFloat16EEESt5tupleIJNSA_6TensorESH_SH_EERKSH_lbbbEUlllE_EE10hipError_tT0_T1_T2_T3_mRjT4_P12ihipStream_tbNS1_7vsmem_tEEUlT_E_NS1_11comp_targetILNS1_3genE10ELNS1_11target_archE1201ELNS1_3gpuE5ELNS1_3repE0EEENS1_30default_config_static_selectorELNS0_4arch9wavefront6targetE1EEEvSO_: ; @_ZN7rocprim17ROCPRIM_400000_NS6detail17trampoline_kernelINS0_14default_configENS1_37merge_sort_block_sort_config_selectorIlNS0_10empty_typeEEEZNS1_21merge_sort_block_sortIS3_PlS8_PS5_S9_ZN2at6native12_GLOBAL__N_124unique_dim_cuda_templateIN3c108BFloat16EEESt5tupleIJNSA_6TensorESH_SH_EERKSH_lbbbEUlllE_EE10hipError_tT0_T1_T2_T3_mRjT4_P12ihipStream_tbNS1_7vsmem_tEEUlT_E_NS1_11comp_targetILNS1_3genE10ELNS1_11target_archE1201ELNS1_3gpuE5ELNS1_3repE0EEENS1_30default_config_static_selectorELNS0_4arch9wavefront6targetE1EEEvSO_
; %bb.0:
	.section	.rodata,"a",@progbits
	.p2align	6, 0x0
	.amdhsa_kernel _ZN7rocprim17ROCPRIM_400000_NS6detail17trampoline_kernelINS0_14default_configENS1_37merge_sort_block_sort_config_selectorIlNS0_10empty_typeEEEZNS1_21merge_sort_block_sortIS3_PlS8_PS5_S9_ZN2at6native12_GLOBAL__N_124unique_dim_cuda_templateIN3c108BFloat16EEESt5tupleIJNSA_6TensorESH_SH_EERKSH_lbbbEUlllE_EE10hipError_tT0_T1_T2_T3_mRjT4_P12ihipStream_tbNS1_7vsmem_tEEUlT_E_NS1_11comp_targetILNS1_3genE10ELNS1_11target_archE1201ELNS1_3gpuE5ELNS1_3repE0EEENS1_30default_config_static_selectorELNS0_4arch9wavefront6targetE1EEEvSO_
		.amdhsa_group_segment_fixed_size 0
		.amdhsa_private_segment_fixed_size 0
		.amdhsa_kernarg_size 72
		.amdhsa_user_sgpr_count 6
		.amdhsa_user_sgpr_private_segment_buffer 1
		.amdhsa_user_sgpr_dispatch_ptr 0
		.amdhsa_user_sgpr_queue_ptr 0
		.amdhsa_user_sgpr_kernarg_segment_ptr 1
		.amdhsa_user_sgpr_dispatch_id 0
		.amdhsa_user_sgpr_flat_scratch_init 0
		.amdhsa_user_sgpr_kernarg_preload_length 0
		.amdhsa_user_sgpr_kernarg_preload_offset 0
		.amdhsa_user_sgpr_private_segment_size 0
		.amdhsa_uses_dynamic_stack 0
		.amdhsa_system_sgpr_private_segment_wavefront_offset 0
		.amdhsa_system_sgpr_workgroup_id_x 1
		.amdhsa_system_sgpr_workgroup_id_y 0
		.amdhsa_system_sgpr_workgroup_id_z 0
		.amdhsa_system_sgpr_workgroup_info 0
		.amdhsa_system_vgpr_workitem_id 0
		.amdhsa_next_free_vgpr 1
		.amdhsa_next_free_sgpr 0
		.amdhsa_accum_offset 4
		.amdhsa_reserve_vcc 0
		.amdhsa_reserve_flat_scratch 0
		.amdhsa_float_round_mode_32 0
		.amdhsa_float_round_mode_16_64 0
		.amdhsa_float_denorm_mode_32 3
		.amdhsa_float_denorm_mode_16_64 3
		.amdhsa_dx10_clamp 1
		.amdhsa_ieee_mode 1
		.amdhsa_fp16_overflow 0
		.amdhsa_tg_split 0
		.amdhsa_exception_fp_ieee_invalid_op 0
		.amdhsa_exception_fp_denorm_src 0
		.amdhsa_exception_fp_ieee_div_zero 0
		.amdhsa_exception_fp_ieee_overflow 0
		.amdhsa_exception_fp_ieee_underflow 0
		.amdhsa_exception_fp_ieee_inexact 0
		.amdhsa_exception_int_div_zero 0
	.end_amdhsa_kernel
	.section	.text._ZN7rocprim17ROCPRIM_400000_NS6detail17trampoline_kernelINS0_14default_configENS1_37merge_sort_block_sort_config_selectorIlNS0_10empty_typeEEEZNS1_21merge_sort_block_sortIS3_PlS8_PS5_S9_ZN2at6native12_GLOBAL__N_124unique_dim_cuda_templateIN3c108BFloat16EEESt5tupleIJNSA_6TensorESH_SH_EERKSH_lbbbEUlllE_EE10hipError_tT0_T1_T2_T3_mRjT4_P12ihipStream_tbNS1_7vsmem_tEEUlT_E_NS1_11comp_targetILNS1_3genE10ELNS1_11target_archE1201ELNS1_3gpuE5ELNS1_3repE0EEENS1_30default_config_static_selectorELNS0_4arch9wavefront6targetE1EEEvSO_,"axG",@progbits,_ZN7rocprim17ROCPRIM_400000_NS6detail17trampoline_kernelINS0_14default_configENS1_37merge_sort_block_sort_config_selectorIlNS0_10empty_typeEEEZNS1_21merge_sort_block_sortIS3_PlS8_PS5_S9_ZN2at6native12_GLOBAL__N_124unique_dim_cuda_templateIN3c108BFloat16EEESt5tupleIJNSA_6TensorESH_SH_EERKSH_lbbbEUlllE_EE10hipError_tT0_T1_T2_T3_mRjT4_P12ihipStream_tbNS1_7vsmem_tEEUlT_E_NS1_11comp_targetILNS1_3genE10ELNS1_11target_archE1201ELNS1_3gpuE5ELNS1_3repE0EEENS1_30default_config_static_selectorELNS0_4arch9wavefront6targetE1EEEvSO_,comdat
.Lfunc_end1120:
	.size	_ZN7rocprim17ROCPRIM_400000_NS6detail17trampoline_kernelINS0_14default_configENS1_37merge_sort_block_sort_config_selectorIlNS0_10empty_typeEEEZNS1_21merge_sort_block_sortIS3_PlS8_PS5_S9_ZN2at6native12_GLOBAL__N_124unique_dim_cuda_templateIN3c108BFloat16EEESt5tupleIJNSA_6TensorESH_SH_EERKSH_lbbbEUlllE_EE10hipError_tT0_T1_T2_T3_mRjT4_P12ihipStream_tbNS1_7vsmem_tEEUlT_E_NS1_11comp_targetILNS1_3genE10ELNS1_11target_archE1201ELNS1_3gpuE5ELNS1_3repE0EEENS1_30default_config_static_selectorELNS0_4arch9wavefront6targetE1EEEvSO_, .Lfunc_end1120-_ZN7rocprim17ROCPRIM_400000_NS6detail17trampoline_kernelINS0_14default_configENS1_37merge_sort_block_sort_config_selectorIlNS0_10empty_typeEEEZNS1_21merge_sort_block_sortIS3_PlS8_PS5_S9_ZN2at6native12_GLOBAL__N_124unique_dim_cuda_templateIN3c108BFloat16EEESt5tupleIJNSA_6TensorESH_SH_EERKSH_lbbbEUlllE_EE10hipError_tT0_T1_T2_T3_mRjT4_P12ihipStream_tbNS1_7vsmem_tEEUlT_E_NS1_11comp_targetILNS1_3genE10ELNS1_11target_archE1201ELNS1_3gpuE5ELNS1_3repE0EEENS1_30default_config_static_selectorELNS0_4arch9wavefront6targetE1EEEvSO_
                                        ; -- End function
	.section	.AMDGPU.csdata,"",@progbits
; Kernel info:
; codeLenInByte = 0
; NumSgprs: 4
; NumVgprs: 0
; NumAgprs: 0
; TotalNumVgprs: 0
; ScratchSize: 0
; MemoryBound: 0
; FloatMode: 240
; IeeeMode: 1
; LDSByteSize: 0 bytes/workgroup (compile time only)
; SGPRBlocks: 0
; VGPRBlocks: 0
; NumSGPRsForWavesPerEU: 4
; NumVGPRsForWavesPerEU: 1
; AccumOffset: 4
; Occupancy: 8
; WaveLimiterHint : 0
; COMPUTE_PGM_RSRC2:SCRATCH_EN: 0
; COMPUTE_PGM_RSRC2:USER_SGPR: 6
; COMPUTE_PGM_RSRC2:TRAP_HANDLER: 0
; COMPUTE_PGM_RSRC2:TGID_X_EN: 1
; COMPUTE_PGM_RSRC2:TGID_Y_EN: 0
; COMPUTE_PGM_RSRC2:TGID_Z_EN: 0
; COMPUTE_PGM_RSRC2:TIDIG_COMP_CNT: 0
; COMPUTE_PGM_RSRC3_GFX90A:ACCUM_OFFSET: 0
; COMPUTE_PGM_RSRC3_GFX90A:TG_SPLIT: 0
	.section	.text._ZN7rocprim17ROCPRIM_400000_NS6detail17trampoline_kernelINS0_14default_configENS1_37merge_sort_block_sort_config_selectorIlNS0_10empty_typeEEEZNS1_21merge_sort_block_sortIS3_PlS8_PS5_S9_ZN2at6native12_GLOBAL__N_124unique_dim_cuda_templateIN3c108BFloat16EEESt5tupleIJNSA_6TensorESH_SH_EERKSH_lbbbEUlllE_EE10hipError_tT0_T1_T2_T3_mRjT4_P12ihipStream_tbNS1_7vsmem_tEEUlT_E_NS1_11comp_targetILNS1_3genE10ELNS1_11target_archE1200ELNS1_3gpuE4ELNS1_3repE0EEENS1_30default_config_static_selectorELNS0_4arch9wavefront6targetE1EEEvSO_,"axG",@progbits,_ZN7rocprim17ROCPRIM_400000_NS6detail17trampoline_kernelINS0_14default_configENS1_37merge_sort_block_sort_config_selectorIlNS0_10empty_typeEEEZNS1_21merge_sort_block_sortIS3_PlS8_PS5_S9_ZN2at6native12_GLOBAL__N_124unique_dim_cuda_templateIN3c108BFloat16EEESt5tupleIJNSA_6TensorESH_SH_EERKSH_lbbbEUlllE_EE10hipError_tT0_T1_T2_T3_mRjT4_P12ihipStream_tbNS1_7vsmem_tEEUlT_E_NS1_11comp_targetILNS1_3genE10ELNS1_11target_archE1200ELNS1_3gpuE4ELNS1_3repE0EEENS1_30default_config_static_selectorELNS0_4arch9wavefront6targetE1EEEvSO_,comdat
	.globl	_ZN7rocprim17ROCPRIM_400000_NS6detail17trampoline_kernelINS0_14default_configENS1_37merge_sort_block_sort_config_selectorIlNS0_10empty_typeEEEZNS1_21merge_sort_block_sortIS3_PlS8_PS5_S9_ZN2at6native12_GLOBAL__N_124unique_dim_cuda_templateIN3c108BFloat16EEESt5tupleIJNSA_6TensorESH_SH_EERKSH_lbbbEUlllE_EE10hipError_tT0_T1_T2_T3_mRjT4_P12ihipStream_tbNS1_7vsmem_tEEUlT_E_NS1_11comp_targetILNS1_3genE10ELNS1_11target_archE1200ELNS1_3gpuE4ELNS1_3repE0EEENS1_30default_config_static_selectorELNS0_4arch9wavefront6targetE1EEEvSO_ ; -- Begin function _ZN7rocprim17ROCPRIM_400000_NS6detail17trampoline_kernelINS0_14default_configENS1_37merge_sort_block_sort_config_selectorIlNS0_10empty_typeEEEZNS1_21merge_sort_block_sortIS3_PlS8_PS5_S9_ZN2at6native12_GLOBAL__N_124unique_dim_cuda_templateIN3c108BFloat16EEESt5tupleIJNSA_6TensorESH_SH_EERKSH_lbbbEUlllE_EE10hipError_tT0_T1_T2_T3_mRjT4_P12ihipStream_tbNS1_7vsmem_tEEUlT_E_NS1_11comp_targetILNS1_3genE10ELNS1_11target_archE1200ELNS1_3gpuE4ELNS1_3repE0EEENS1_30default_config_static_selectorELNS0_4arch9wavefront6targetE1EEEvSO_
	.p2align	8
	.type	_ZN7rocprim17ROCPRIM_400000_NS6detail17trampoline_kernelINS0_14default_configENS1_37merge_sort_block_sort_config_selectorIlNS0_10empty_typeEEEZNS1_21merge_sort_block_sortIS3_PlS8_PS5_S9_ZN2at6native12_GLOBAL__N_124unique_dim_cuda_templateIN3c108BFloat16EEESt5tupleIJNSA_6TensorESH_SH_EERKSH_lbbbEUlllE_EE10hipError_tT0_T1_T2_T3_mRjT4_P12ihipStream_tbNS1_7vsmem_tEEUlT_E_NS1_11comp_targetILNS1_3genE10ELNS1_11target_archE1200ELNS1_3gpuE4ELNS1_3repE0EEENS1_30default_config_static_selectorELNS0_4arch9wavefront6targetE1EEEvSO_,@function
_ZN7rocprim17ROCPRIM_400000_NS6detail17trampoline_kernelINS0_14default_configENS1_37merge_sort_block_sort_config_selectorIlNS0_10empty_typeEEEZNS1_21merge_sort_block_sortIS3_PlS8_PS5_S9_ZN2at6native12_GLOBAL__N_124unique_dim_cuda_templateIN3c108BFloat16EEESt5tupleIJNSA_6TensorESH_SH_EERKSH_lbbbEUlllE_EE10hipError_tT0_T1_T2_T3_mRjT4_P12ihipStream_tbNS1_7vsmem_tEEUlT_E_NS1_11comp_targetILNS1_3genE10ELNS1_11target_archE1200ELNS1_3gpuE4ELNS1_3repE0EEENS1_30default_config_static_selectorELNS0_4arch9wavefront6targetE1EEEvSO_: ; @_ZN7rocprim17ROCPRIM_400000_NS6detail17trampoline_kernelINS0_14default_configENS1_37merge_sort_block_sort_config_selectorIlNS0_10empty_typeEEEZNS1_21merge_sort_block_sortIS3_PlS8_PS5_S9_ZN2at6native12_GLOBAL__N_124unique_dim_cuda_templateIN3c108BFloat16EEESt5tupleIJNSA_6TensorESH_SH_EERKSH_lbbbEUlllE_EE10hipError_tT0_T1_T2_T3_mRjT4_P12ihipStream_tbNS1_7vsmem_tEEUlT_E_NS1_11comp_targetILNS1_3genE10ELNS1_11target_archE1200ELNS1_3gpuE4ELNS1_3repE0EEENS1_30default_config_static_selectorELNS0_4arch9wavefront6targetE1EEEvSO_
; %bb.0:
	.section	.rodata,"a",@progbits
	.p2align	6, 0x0
	.amdhsa_kernel _ZN7rocprim17ROCPRIM_400000_NS6detail17trampoline_kernelINS0_14default_configENS1_37merge_sort_block_sort_config_selectorIlNS0_10empty_typeEEEZNS1_21merge_sort_block_sortIS3_PlS8_PS5_S9_ZN2at6native12_GLOBAL__N_124unique_dim_cuda_templateIN3c108BFloat16EEESt5tupleIJNSA_6TensorESH_SH_EERKSH_lbbbEUlllE_EE10hipError_tT0_T1_T2_T3_mRjT4_P12ihipStream_tbNS1_7vsmem_tEEUlT_E_NS1_11comp_targetILNS1_3genE10ELNS1_11target_archE1200ELNS1_3gpuE4ELNS1_3repE0EEENS1_30default_config_static_selectorELNS0_4arch9wavefront6targetE1EEEvSO_
		.amdhsa_group_segment_fixed_size 0
		.amdhsa_private_segment_fixed_size 0
		.amdhsa_kernarg_size 72
		.amdhsa_user_sgpr_count 6
		.amdhsa_user_sgpr_private_segment_buffer 1
		.amdhsa_user_sgpr_dispatch_ptr 0
		.amdhsa_user_sgpr_queue_ptr 0
		.amdhsa_user_sgpr_kernarg_segment_ptr 1
		.amdhsa_user_sgpr_dispatch_id 0
		.amdhsa_user_sgpr_flat_scratch_init 0
		.amdhsa_user_sgpr_kernarg_preload_length 0
		.amdhsa_user_sgpr_kernarg_preload_offset 0
		.amdhsa_user_sgpr_private_segment_size 0
		.amdhsa_uses_dynamic_stack 0
		.amdhsa_system_sgpr_private_segment_wavefront_offset 0
		.amdhsa_system_sgpr_workgroup_id_x 1
		.amdhsa_system_sgpr_workgroup_id_y 0
		.amdhsa_system_sgpr_workgroup_id_z 0
		.amdhsa_system_sgpr_workgroup_info 0
		.amdhsa_system_vgpr_workitem_id 0
		.amdhsa_next_free_vgpr 1
		.amdhsa_next_free_sgpr 0
		.amdhsa_accum_offset 4
		.amdhsa_reserve_vcc 0
		.amdhsa_reserve_flat_scratch 0
		.amdhsa_float_round_mode_32 0
		.amdhsa_float_round_mode_16_64 0
		.amdhsa_float_denorm_mode_32 3
		.amdhsa_float_denorm_mode_16_64 3
		.amdhsa_dx10_clamp 1
		.amdhsa_ieee_mode 1
		.amdhsa_fp16_overflow 0
		.amdhsa_tg_split 0
		.amdhsa_exception_fp_ieee_invalid_op 0
		.amdhsa_exception_fp_denorm_src 0
		.amdhsa_exception_fp_ieee_div_zero 0
		.amdhsa_exception_fp_ieee_overflow 0
		.amdhsa_exception_fp_ieee_underflow 0
		.amdhsa_exception_fp_ieee_inexact 0
		.amdhsa_exception_int_div_zero 0
	.end_amdhsa_kernel
	.section	.text._ZN7rocprim17ROCPRIM_400000_NS6detail17trampoline_kernelINS0_14default_configENS1_37merge_sort_block_sort_config_selectorIlNS0_10empty_typeEEEZNS1_21merge_sort_block_sortIS3_PlS8_PS5_S9_ZN2at6native12_GLOBAL__N_124unique_dim_cuda_templateIN3c108BFloat16EEESt5tupleIJNSA_6TensorESH_SH_EERKSH_lbbbEUlllE_EE10hipError_tT0_T1_T2_T3_mRjT4_P12ihipStream_tbNS1_7vsmem_tEEUlT_E_NS1_11comp_targetILNS1_3genE10ELNS1_11target_archE1200ELNS1_3gpuE4ELNS1_3repE0EEENS1_30default_config_static_selectorELNS0_4arch9wavefront6targetE1EEEvSO_,"axG",@progbits,_ZN7rocprim17ROCPRIM_400000_NS6detail17trampoline_kernelINS0_14default_configENS1_37merge_sort_block_sort_config_selectorIlNS0_10empty_typeEEEZNS1_21merge_sort_block_sortIS3_PlS8_PS5_S9_ZN2at6native12_GLOBAL__N_124unique_dim_cuda_templateIN3c108BFloat16EEESt5tupleIJNSA_6TensorESH_SH_EERKSH_lbbbEUlllE_EE10hipError_tT0_T1_T2_T3_mRjT4_P12ihipStream_tbNS1_7vsmem_tEEUlT_E_NS1_11comp_targetILNS1_3genE10ELNS1_11target_archE1200ELNS1_3gpuE4ELNS1_3repE0EEENS1_30default_config_static_selectorELNS0_4arch9wavefront6targetE1EEEvSO_,comdat
.Lfunc_end1121:
	.size	_ZN7rocprim17ROCPRIM_400000_NS6detail17trampoline_kernelINS0_14default_configENS1_37merge_sort_block_sort_config_selectorIlNS0_10empty_typeEEEZNS1_21merge_sort_block_sortIS3_PlS8_PS5_S9_ZN2at6native12_GLOBAL__N_124unique_dim_cuda_templateIN3c108BFloat16EEESt5tupleIJNSA_6TensorESH_SH_EERKSH_lbbbEUlllE_EE10hipError_tT0_T1_T2_T3_mRjT4_P12ihipStream_tbNS1_7vsmem_tEEUlT_E_NS1_11comp_targetILNS1_3genE10ELNS1_11target_archE1200ELNS1_3gpuE4ELNS1_3repE0EEENS1_30default_config_static_selectorELNS0_4arch9wavefront6targetE1EEEvSO_, .Lfunc_end1121-_ZN7rocprim17ROCPRIM_400000_NS6detail17trampoline_kernelINS0_14default_configENS1_37merge_sort_block_sort_config_selectorIlNS0_10empty_typeEEEZNS1_21merge_sort_block_sortIS3_PlS8_PS5_S9_ZN2at6native12_GLOBAL__N_124unique_dim_cuda_templateIN3c108BFloat16EEESt5tupleIJNSA_6TensorESH_SH_EERKSH_lbbbEUlllE_EE10hipError_tT0_T1_T2_T3_mRjT4_P12ihipStream_tbNS1_7vsmem_tEEUlT_E_NS1_11comp_targetILNS1_3genE10ELNS1_11target_archE1200ELNS1_3gpuE4ELNS1_3repE0EEENS1_30default_config_static_selectorELNS0_4arch9wavefront6targetE1EEEvSO_
                                        ; -- End function
	.section	.AMDGPU.csdata,"",@progbits
; Kernel info:
; codeLenInByte = 0
; NumSgprs: 4
; NumVgprs: 0
; NumAgprs: 0
; TotalNumVgprs: 0
; ScratchSize: 0
; MemoryBound: 0
; FloatMode: 240
; IeeeMode: 1
; LDSByteSize: 0 bytes/workgroup (compile time only)
; SGPRBlocks: 0
; VGPRBlocks: 0
; NumSGPRsForWavesPerEU: 4
; NumVGPRsForWavesPerEU: 1
; AccumOffset: 4
; Occupancy: 8
; WaveLimiterHint : 0
; COMPUTE_PGM_RSRC2:SCRATCH_EN: 0
; COMPUTE_PGM_RSRC2:USER_SGPR: 6
; COMPUTE_PGM_RSRC2:TRAP_HANDLER: 0
; COMPUTE_PGM_RSRC2:TGID_X_EN: 1
; COMPUTE_PGM_RSRC2:TGID_Y_EN: 0
; COMPUTE_PGM_RSRC2:TGID_Z_EN: 0
; COMPUTE_PGM_RSRC2:TIDIG_COMP_CNT: 0
; COMPUTE_PGM_RSRC3_GFX90A:ACCUM_OFFSET: 0
; COMPUTE_PGM_RSRC3_GFX90A:TG_SPLIT: 0
	.section	.text._ZN7rocprim17ROCPRIM_400000_NS6detail17trampoline_kernelINS0_14default_configENS1_37merge_sort_block_sort_config_selectorIlNS0_10empty_typeEEEZNS1_21merge_sort_block_sortIS3_PlS8_PS5_S9_ZN2at6native12_GLOBAL__N_124unique_dim_cuda_templateIN3c108BFloat16EEESt5tupleIJNSA_6TensorESH_SH_EERKSH_lbbbEUlllE_EE10hipError_tT0_T1_T2_T3_mRjT4_P12ihipStream_tbNS1_7vsmem_tEEUlT_E_NS1_11comp_targetILNS1_3genE9ELNS1_11target_archE1100ELNS1_3gpuE3ELNS1_3repE0EEENS1_30default_config_static_selectorELNS0_4arch9wavefront6targetE1EEEvSO_,"axG",@progbits,_ZN7rocprim17ROCPRIM_400000_NS6detail17trampoline_kernelINS0_14default_configENS1_37merge_sort_block_sort_config_selectorIlNS0_10empty_typeEEEZNS1_21merge_sort_block_sortIS3_PlS8_PS5_S9_ZN2at6native12_GLOBAL__N_124unique_dim_cuda_templateIN3c108BFloat16EEESt5tupleIJNSA_6TensorESH_SH_EERKSH_lbbbEUlllE_EE10hipError_tT0_T1_T2_T3_mRjT4_P12ihipStream_tbNS1_7vsmem_tEEUlT_E_NS1_11comp_targetILNS1_3genE9ELNS1_11target_archE1100ELNS1_3gpuE3ELNS1_3repE0EEENS1_30default_config_static_selectorELNS0_4arch9wavefront6targetE1EEEvSO_,comdat
	.globl	_ZN7rocprim17ROCPRIM_400000_NS6detail17trampoline_kernelINS0_14default_configENS1_37merge_sort_block_sort_config_selectorIlNS0_10empty_typeEEEZNS1_21merge_sort_block_sortIS3_PlS8_PS5_S9_ZN2at6native12_GLOBAL__N_124unique_dim_cuda_templateIN3c108BFloat16EEESt5tupleIJNSA_6TensorESH_SH_EERKSH_lbbbEUlllE_EE10hipError_tT0_T1_T2_T3_mRjT4_P12ihipStream_tbNS1_7vsmem_tEEUlT_E_NS1_11comp_targetILNS1_3genE9ELNS1_11target_archE1100ELNS1_3gpuE3ELNS1_3repE0EEENS1_30default_config_static_selectorELNS0_4arch9wavefront6targetE1EEEvSO_ ; -- Begin function _ZN7rocprim17ROCPRIM_400000_NS6detail17trampoline_kernelINS0_14default_configENS1_37merge_sort_block_sort_config_selectorIlNS0_10empty_typeEEEZNS1_21merge_sort_block_sortIS3_PlS8_PS5_S9_ZN2at6native12_GLOBAL__N_124unique_dim_cuda_templateIN3c108BFloat16EEESt5tupleIJNSA_6TensorESH_SH_EERKSH_lbbbEUlllE_EE10hipError_tT0_T1_T2_T3_mRjT4_P12ihipStream_tbNS1_7vsmem_tEEUlT_E_NS1_11comp_targetILNS1_3genE9ELNS1_11target_archE1100ELNS1_3gpuE3ELNS1_3repE0EEENS1_30default_config_static_selectorELNS0_4arch9wavefront6targetE1EEEvSO_
	.p2align	8
	.type	_ZN7rocprim17ROCPRIM_400000_NS6detail17trampoline_kernelINS0_14default_configENS1_37merge_sort_block_sort_config_selectorIlNS0_10empty_typeEEEZNS1_21merge_sort_block_sortIS3_PlS8_PS5_S9_ZN2at6native12_GLOBAL__N_124unique_dim_cuda_templateIN3c108BFloat16EEESt5tupleIJNSA_6TensorESH_SH_EERKSH_lbbbEUlllE_EE10hipError_tT0_T1_T2_T3_mRjT4_P12ihipStream_tbNS1_7vsmem_tEEUlT_E_NS1_11comp_targetILNS1_3genE9ELNS1_11target_archE1100ELNS1_3gpuE3ELNS1_3repE0EEENS1_30default_config_static_selectorELNS0_4arch9wavefront6targetE1EEEvSO_,@function
_ZN7rocprim17ROCPRIM_400000_NS6detail17trampoline_kernelINS0_14default_configENS1_37merge_sort_block_sort_config_selectorIlNS0_10empty_typeEEEZNS1_21merge_sort_block_sortIS3_PlS8_PS5_S9_ZN2at6native12_GLOBAL__N_124unique_dim_cuda_templateIN3c108BFloat16EEESt5tupleIJNSA_6TensorESH_SH_EERKSH_lbbbEUlllE_EE10hipError_tT0_T1_T2_T3_mRjT4_P12ihipStream_tbNS1_7vsmem_tEEUlT_E_NS1_11comp_targetILNS1_3genE9ELNS1_11target_archE1100ELNS1_3gpuE3ELNS1_3repE0EEENS1_30default_config_static_selectorELNS0_4arch9wavefront6targetE1EEEvSO_: ; @_ZN7rocprim17ROCPRIM_400000_NS6detail17trampoline_kernelINS0_14default_configENS1_37merge_sort_block_sort_config_selectorIlNS0_10empty_typeEEEZNS1_21merge_sort_block_sortIS3_PlS8_PS5_S9_ZN2at6native12_GLOBAL__N_124unique_dim_cuda_templateIN3c108BFloat16EEESt5tupleIJNSA_6TensorESH_SH_EERKSH_lbbbEUlllE_EE10hipError_tT0_T1_T2_T3_mRjT4_P12ihipStream_tbNS1_7vsmem_tEEUlT_E_NS1_11comp_targetILNS1_3genE9ELNS1_11target_archE1100ELNS1_3gpuE3ELNS1_3repE0EEENS1_30default_config_static_selectorELNS0_4arch9wavefront6targetE1EEEvSO_
; %bb.0:
	.section	.rodata,"a",@progbits
	.p2align	6, 0x0
	.amdhsa_kernel _ZN7rocprim17ROCPRIM_400000_NS6detail17trampoline_kernelINS0_14default_configENS1_37merge_sort_block_sort_config_selectorIlNS0_10empty_typeEEEZNS1_21merge_sort_block_sortIS3_PlS8_PS5_S9_ZN2at6native12_GLOBAL__N_124unique_dim_cuda_templateIN3c108BFloat16EEESt5tupleIJNSA_6TensorESH_SH_EERKSH_lbbbEUlllE_EE10hipError_tT0_T1_T2_T3_mRjT4_P12ihipStream_tbNS1_7vsmem_tEEUlT_E_NS1_11comp_targetILNS1_3genE9ELNS1_11target_archE1100ELNS1_3gpuE3ELNS1_3repE0EEENS1_30default_config_static_selectorELNS0_4arch9wavefront6targetE1EEEvSO_
		.amdhsa_group_segment_fixed_size 0
		.amdhsa_private_segment_fixed_size 0
		.amdhsa_kernarg_size 72
		.amdhsa_user_sgpr_count 6
		.amdhsa_user_sgpr_private_segment_buffer 1
		.amdhsa_user_sgpr_dispatch_ptr 0
		.amdhsa_user_sgpr_queue_ptr 0
		.amdhsa_user_sgpr_kernarg_segment_ptr 1
		.amdhsa_user_sgpr_dispatch_id 0
		.amdhsa_user_sgpr_flat_scratch_init 0
		.amdhsa_user_sgpr_kernarg_preload_length 0
		.amdhsa_user_sgpr_kernarg_preload_offset 0
		.amdhsa_user_sgpr_private_segment_size 0
		.amdhsa_uses_dynamic_stack 0
		.amdhsa_system_sgpr_private_segment_wavefront_offset 0
		.amdhsa_system_sgpr_workgroup_id_x 1
		.amdhsa_system_sgpr_workgroup_id_y 0
		.amdhsa_system_sgpr_workgroup_id_z 0
		.amdhsa_system_sgpr_workgroup_info 0
		.amdhsa_system_vgpr_workitem_id 0
		.amdhsa_next_free_vgpr 1
		.amdhsa_next_free_sgpr 0
		.amdhsa_accum_offset 4
		.amdhsa_reserve_vcc 0
		.amdhsa_reserve_flat_scratch 0
		.amdhsa_float_round_mode_32 0
		.amdhsa_float_round_mode_16_64 0
		.amdhsa_float_denorm_mode_32 3
		.amdhsa_float_denorm_mode_16_64 3
		.amdhsa_dx10_clamp 1
		.amdhsa_ieee_mode 1
		.amdhsa_fp16_overflow 0
		.amdhsa_tg_split 0
		.amdhsa_exception_fp_ieee_invalid_op 0
		.amdhsa_exception_fp_denorm_src 0
		.amdhsa_exception_fp_ieee_div_zero 0
		.amdhsa_exception_fp_ieee_overflow 0
		.amdhsa_exception_fp_ieee_underflow 0
		.amdhsa_exception_fp_ieee_inexact 0
		.amdhsa_exception_int_div_zero 0
	.end_amdhsa_kernel
	.section	.text._ZN7rocprim17ROCPRIM_400000_NS6detail17trampoline_kernelINS0_14default_configENS1_37merge_sort_block_sort_config_selectorIlNS0_10empty_typeEEEZNS1_21merge_sort_block_sortIS3_PlS8_PS5_S9_ZN2at6native12_GLOBAL__N_124unique_dim_cuda_templateIN3c108BFloat16EEESt5tupleIJNSA_6TensorESH_SH_EERKSH_lbbbEUlllE_EE10hipError_tT0_T1_T2_T3_mRjT4_P12ihipStream_tbNS1_7vsmem_tEEUlT_E_NS1_11comp_targetILNS1_3genE9ELNS1_11target_archE1100ELNS1_3gpuE3ELNS1_3repE0EEENS1_30default_config_static_selectorELNS0_4arch9wavefront6targetE1EEEvSO_,"axG",@progbits,_ZN7rocprim17ROCPRIM_400000_NS6detail17trampoline_kernelINS0_14default_configENS1_37merge_sort_block_sort_config_selectorIlNS0_10empty_typeEEEZNS1_21merge_sort_block_sortIS3_PlS8_PS5_S9_ZN2at6native12_GLOBAL__N_124unique_dim_cuda_templateIN3c108BFloat16EEESt5tupleIJNSA_6TensorESH_SH_EERKSH_lbbbEUlllE_EE10hipError_tT0_T1_T2_T3_mRjT4_P12ihipStream_tbNS1_7vsmem_tEEUlT_E_NS1_11comp_targetILNS1_3genE9ELNS1_11target_archE1100ELNS1_3gpuE3ELNS1_3repE0EEENS1_30default_config_static_selectorELNS0_4arch9wavefront6targetE1EEEvSO_,comdat
.Lfunc_end1122:
	.size	_ZN7rocprim17ROCPRIM_400000_NS6detail17trampoline_kernelINS0_14default_configENS1_37merge_sort_block_sort_config_selectorIlNS0_10empty_typeEEEZNS1_21merge_sort_block_sortIS3_PlS8_PS5_S9_ZN2at6native12_GLOBAL__N_124unique_dim_cuda_templateIN3c108BFloat16EEESt5tupleIJNSA_6TensorESH_SH_EERKSH_lbbbEUlllE_EE10hipError_tT0_T1_T2_T3_mRjT4_P12ihipStream_tbNS1_7vsmem_tEEUlT_E_NS1_11comp_targetILNS1_3genE9ELNS1_11target_archE1100ELNS1_3gpuE3ELNS1_3repE0EEENS1_30default_config_static_selectorELNS0_4arch9wavefront6targetE1EEEvSO_, .Lfunc_end1122-_ZN7rocprim17ROCPRIM_400000_NS6detail17trampoline_kernelINS0_14default_configENS1_37merge_sort_block_sort_config_selectorIlNS0_10empty_typeEEEZNS1_21merge_sort_block_sortIS3_PlS8_PS5_S9_ZN2at6native12_GLOBAL__N_124unique_dim_cuda_templateIN3c108BFloat16EEESt5tupleIJNSA_6TensorESH_SH_EERKSH_lbbbEUlllE_EE10hipError_tT0_T1_T2_T3_mRjT4_P12ihipStream_tbNS1_7vsmem_tEEUlT_E_NS1_11comp_targetILNS1_3genE9ELNS1_11target_archE1100ELNS1_3gpuE3ELNS1_3repE0EEENS1_30default_config_static_selectorELNS0_4arch9wavefront6targetE1EEEvSO_
                                        ; -- End function
	.section	.AMDGPU.csdata,"",@progbits
; Kernel info:
; codeLenInByte = 0
; NumSgprs: 4
; NumVgprs: 0
; NumAgprs: 0
; TotalNumVgprs: 0
; ScratchSize: 0
; MemoryBound: 0
; FloatMode: 240
; IeeeMode: 1
; LDSByteSize: 0 bytes/workgroup (compile time only)
; SGPRBlocks: 0
; VGPRBlocks: 0
; NumSGPRsForWavesPerEU: 4
; NumVGPRsForWavesPerEU: 1
; AccumOffset: 4
; Occupancy: 8
; WaveLimiterHint : 0
; COMPUTE_PGM_RSRC2:SCRATCH_EN: 0
; COMPUTE_PGM_RSRC2:USER_SGPR: 6
; COMPUTE_PGM_RSRC2:TRAP_HANDLER: 0
; COMPUTE_PGM_RSRC2:TGID_X_EN: 1
; COMPUTE_PGM_RSRC2:TGID_Y_EN: 0
; COMPUTE_PGM_RSRC2:TGID_Z_EN: 0
; COMPUTE_PGM_RSRC2:TIDIG_COMP_CNT: 0
; COMPUTE_PGM_RSRC3_GFX90A:ACCUM_OFFSET: 0
; COMPUTE_PGM_RSRC3_GFX90A:TG_SPLIT: 0
	.section	.text._ZN7rocprim17ROCPRIM_400000_NS6detail17trampoline_kernelINS0_14default_configENS1_37merge_sort_block_sort_config_selectorIlNS0_10empty_typeEEEZNS1_21merge_sort_block_sortIS3_PlS8_PS5_S9_ZN2at6native12_GLOBAL__N_124unique_dim_cuda_templateIN3c108BFloat16EEESt5tupleIJNSA_6TensorESH_SH_EERKSH_lbbbEUlllE_EE10hipError_tT0_T1_T2_T3_mRjT4_P12ihipStream_tbNS1_7vsmem_tEEUlT_E_NS1_11comp_targetILNS1_3genE8ELNS1_11target_archE1030ELNS1_3gpuE2ELNS1_3repE0EEENS1_30default_config_static_selectorELNS0_4arch9wavefront6targetE1EEEvSO_,"axG",@progbits,_ZN7rocprim17ROCPRIM_400000_NS6detail17trampoline_kernelINS0_14default_configENS1_37merge_sort_block_sort_config_selectorIlNS0_10empty_typeEEEZNS1_21merge_sort_block_sortIS3_PlS8_PS5_S9_ZN2at6native12_GLOBAL__N_124unique_dim_cuda_templateIN3c108BFloat16EEESt5tupleIJNSA_6TensorESH_SH_EERKSH_lbbbEUlllE_EE10hipError_tT0_T1_T2_T3_mRjT4_P12ihipStream_tbNS1_7vsmem_tEEUlT_E_NS1_11comp_targetILNS1_3genE8ELNS1_11target_archE1030ELNS1_3gpuE2ELNS1_3repE0EEENS1_30default_config_static_selectorELNS0_4arch9wavefront6targetE1EEEvSO_,comdat
	.globl	_ZN7rocprim17ROCPRIM_400000_NS6detail17trampoline_kernelINS0_14default_configENS1_37merge_sort_block_sort_config_selectorIlNS0_10empty_typeEEEZNS1_21merge_sort_block_sortIS3_PlS8_PS5_S9_ZN2at6native12_GLOBAL__N_124unique_dim_cuda_templateIN3c108BFloat16EEESt5tupleIJNSA_6TensorESH_SH_EERKSH_lbbbEUlllE_EE10hipError_tT0_T1_T2_T3_mRjT4_P12ihipStream_tbNS1_7vsmem_tEEUlT_E_NS1_11comp_targetILNS1_3genE8ELNS1_11target_archE1030ELNS1_3gpuE2ELNS1_3repE0EEENS1_30default_config_static_selectorELNS0_4arch9wavefront6targetE1EEEvSO_ ; -- Begin function _ZN7rocprim17ROCPRIM_400000_NS6detail17trampoline_kernelINS0_14default_configENS1_37merge_sort_block_sort_config_selectorIlNS0_10empty_typeEEEZNS1_21merge_sort_block_sortIS3_PlS8_PS5_S9_ZN2at6native12_GLOBAL__N_124unique_dim_cuda_templateIN3c108BFloat16EEESt5tupleIJNSA_6TensorESH_SH_EERKSH_lbbbEUlllE_EE10hipError_tT0_T1_T2_T3_mRjT4_P12ihipStream_tbNS1_7vsmem_tEEUlT_E_NS1_11comp_targetILNS1_3genE8ELNS1_11target_archE1030ELNS1_3gpuE2ELNS1_3repE0EEENS1_30default_config_static_selectorELNS0_4arch9wavefront6targetE1EEEvSO_
	.p2align	8
	.type	_ZN7rocprim17ROCPRIM_400000_NS6detail17trampoline_kernelINS0_14default_configENS1_37merge_sort_block_sort_config_selectorIlNS0_10empty_typeEEEZNS1_21merge_sort_block_sortIS3_PlS8_PS5_S9_ZN2at6native12_GLOBAL__N_124unique_dim_cuda_templateIN3c108BFloat16EEESt5tupleIJNSA_6TensorESH_SH_EERKSH_lbbbEUlllE_EE10hipError_tT0_T1_T2_T3_mRjT4_P12ihipStream_tbNS1_7vsmem_tEEUlT_E_NS1_11comp_targetILNS1_3genE8ELNS1_11target_archE1030ELNS1_3gpuE2ELNS1_3repE0EEENS1_30default_config_static_selectorELNS0_4arch9wavefront6targetE1EEEvSO_,@function
_ZN7rocprim17ROCPRIM_400000_NS6detail17trampoline_kernelINS0_14default_configENS1_37merge_sort_block_sort_config_selectorIlNS0_10empty_typeEEEZNS1_21merge_sort_block_sortIS3_PlS8_PS5_S9_ZN2at6native12_GLOBAL__N_124unique_dim_cuda_templateIN3c108BFloat16EEESt5tupleIJNSA_6TensorESH_SH_EERKSH_lbbbEUlllE_EE10hipError_tT0_T1_T2_T3_mRjT4_P12ihipStream_tbNS1_7vsmem_tEEUlT_E_NS1_11comp_targetILNS1_3genE8ELNS1_11target_archE1030ELNS1_3gpuE2ELNS1_3repE0EEENS1_30default_config_static_selectorELNS0_4arch9wavefront6targetE1EEEvSO_: ; @_ZN7rocprim17ROCPRIM_400000_NS6detail17trampoline_kernelINS0_14default_configENS1_37merge_sort_block_sort_config_selectorIlNS0_10empty_typeEEEZNS1_21merge_sort_block_sortIS3_PlS8_PS5_S9_ZN2at6native12_GLOBAL__N_124unique_dim_cuda_templateIN3c108BFloat16EEESt5tupleIJNSA_6TensorESH_SH_EERKSH_lbbbEUlllE_EE10hipError_tT0_T1_T2_T3_mRjT4_P12ihipStream_tbNS1_7vsmem_tEEUlT_E_NS1_11comp_targetILNS1_3genE8ELNS1_11target_archE1030ELNS1_3gpuE2ELNS1_3repE0EEENS1_30default_config_static_selectorELNS0_4arch9wavefront6targetE1EEEvSO_
; %bb.0:
	.section	.rodata,"a",@progbits
	.p2align	6, 0x0
	.amdhsa_kernel _ZN7rocprim17ROCPRIM_400000_NS6detail17trampoline_kernelINS0_14default_configENS1_37merge_sort_block_sort_config_selectorIlNS0_10empty_typeEEEZNS1_21merge_sort_block_sortIS3_PlS8_PS5_S9_ZN2at6native12_GLOBAL__N_124unique_dim_cuda_templateIN3c108BFloat16EEESt5tupleIJNSA_6TensorESH_SH_EERKSH_lbbbEUlllE_EE10hipError_tT0_T1_T2_T3_mRjT4_P12ihipStream_tbNS1_7vsmem_tEEUlT_E_NS1_11comp_targetILNS1_3genE8ELNS1_11target_archE1030ELNS1_3gpuE2ELNS1_3repE0EEENS1_30default_config_static_selectorELNS0_4arch9wavefront6targetE1EEEvSO_
		.amdhsa_group_segment_fixed_size 0
		.amdhsa_private_segment_fixed_size 0
		.amdhsa_kernarg_size 72
		.amdhsa_user_sgpr_count 6
		.amdhsa_user_sgpr_private_segment_buffer 1
		.amdhsa_user_sgpr_dispatch_ptr 0
		.amdhsa_user_sgpr_queue_ptr 0
		.amdhsa_user_sgpr_kernarg_segment_ptr 1
		.amdhsa_user_sgpr_dispatch_id 0
		.amdhsa_user_sgpr_flat_scratch_init 0
		.amdhsa_user_sgpr_kernarg_preload_length 0
		.amdhsa_user_sgpr_kernarg_preload_offset 0
		.amdhsa_user_sgpr_private_segment_size 0
		.amdhsa_uses_dynamic_stack 0
		.amdhsa_system_sgpr_private_segment_wavefront_offset 0
		.amdhsa_system_sgpr_workgroup_id_x 1
		.amdhsa_system_sgpr_workgroup_id_y 0
		.amdhsa_system_sgpr_workgroup_id_z 0
		.amdhsa_system_sgpr_workgroup_info 0
		.amdhsa_system_vgpr_workitem_id 0
		.amdhsa_next_free_vgpr 1
		.amdhsa_next_free_sgpr 0
		.amdhsa_accum_offset 4
		.amdhsa_reserve_vcc 0
		.amdhsa_reserve_flat_scratch 0
		.amdhsa_float_round_mode_32 0
		.amdhsa_float_round_mode_16_64 0
		.amdhsa_float_denorm_mode_32 3
		.amdhsa_float_denorm_mode_16_64 3
		.amdhsa_dx10_clamp 1
		.amdhsa_ieee_mode 1
		.amdhsa_fp16_overflow 0
		.amdhsa_tg_split 0
		.amdhsa_exception_fp_ieee_invalid_op 0
		.amdhsa_exception_fp_denorm_src 0
		.amdhsa_exception_fp_ieee_div_zero 0
		.amdhsa_exception_fp_ieee_overflow 0
		.amdhsa_exception_fp_ieee_underflow 0
		.amdhsa_exception_fp_ieee_inexact 0
		.amdhsa_exception_int_div_zero 0
	.end_amdhsa_kernel
	.section	.text._ZN7rocprim17ROCPRIM_400000_NS6detail17trampoline_kernelINS0_14default_configENS1_37merge_sort_block_sort_config_selectorIlNS0_10empty_typeEEEZNS1_21merge_sort_block_sortIS3_PlS8_PS5_S9_ZN2at6native12_GLOBAL__N_124unique_dim_cuda_templateIN3c108BFloat16EEESt5tupleIJNSA_6TensorESH_SH_EERKSH_lbbbEUlllE_EE10hipError_tT0_T1_T2_T3_mRjT4_P12ihipStream_tbNS1_7vsmem_tEEUlT_E_NS1_11comp_targetILNS1_3genE8ELNS1_11target_archE1030ELNS1_3gpuE2ELNS1_3repE0EEENS1_30default_config_static_selectorELNS0_4arch9wavefront6targetE1EEEvSO_,"axG",@progbits,_ZN7rocprim17ROCPRIM_400000_NS6detail17trampoline_kernelINS0_14default_configENS1_37merge_sort_block_sort_config_selectorIlNS0_10empty_typeEEEZNS1_21merge_sort_block_sortIS3_PlS8_PS5_S9_ZN2at6native12_GLOBAL__N_124unique_dim_cuda_templateIN3c108BFloat16EEESt5tupleIJNSA_6TensorESH_SH_EERKSH_lbbbEUlllE_EE10hipError_tT0_T1_T2_T3_mRjT4_P12ihipStream_tbNS1_7vsmem_tEEUlT_E_NS1_11comp_targetILNS1_3genE8ELNS1_11target_archE1030ELNS1_3gpuE2ELNS1_3repE0EEENS1_30default_config_static_selectorELNS0_4arch9wavefront6targetE1EEEvSO_,comdat
.Lfunc_end1123:
	.size	_ZN7rocprim17ROCPRIM_400000_NS6detail17trampoline_kernelINS0_14default_configENS1_37merge_sort_block_sort_config_selectorIlNS0_10empty_typeEEEZNS1_21merge_sort_block_sortIS3_PlS8_PS5_S9_ZN2at6native12_GLOBAL__N_124unique_dim_cuda_templateIN3c108BFloat16EEESt5tupleIJNSA_6TensorESH_SH_EERKSH_lbbbEUlllE_EE10hipError_tT0_T1_T2_T3_mRjT4_P12ihipStream_tbNS1_7vsmem_tEEUlT_E_NS1_11comp_targetILNS1_3genE8ELNS1_11target_archE1030ELNS1_3gpuE2ELNS1_3repE0EEENS1_30default_config_static_selectorELNS0_4arch9wavefront6targetE1EEEvSO_, .Lfunc_end1123-_ZN7rocprim17ROCPRIM_400000_NS6detail17trampoline_kernelINS0_14default_configENS1_37merge_sort_block_sort_config_selectorIlNS0_10empty_typeEEEZNS1_21merge_sort_block_sortIS3_PlS8_PS5_S9_ZN2at6native12_GLOBAL__N_124unique_dim_cuda_templateIN3c108BFloat16EEESt5tupleIJNSA_6TensorESH_SH_EERKSH_lbbbEUlllE_EE10hipError_tT0_T1_T2_T3_mRjT4_P12ihipStream_tbNS1_7vsmem_tEEUlT_E_NS1_11comp_targetILNS1_3genE8ELNS1_11target_archE1030ELNS1_3gpuE2ELNS1_3repE0EEENS1_30default_config_static_selectorELNS0_4arch9wavefront6targetE1EEEvSO_
                                        ; -- End function
	.section	.AMDGPU.csdata,"",@progbits
; Kernel info:
; codeLenInByte = 0
; NumSgprs: 4
; NumVgprs: 0
; NumAgprs: 0
; TotalNumVgprs: 0
; ScratchSize: 0
; MemoryBound: 0
; FloatMode: 240
; IeeeMode: 1
; LDSByteSize: 0 bytes/workgroup (compile time only)
; SGPRBlocks: 0
; VGPRBlocks: 0
; NumSGPRsForWavesPerEU: 4
; NumVGPRsForWavesPerEU: 1
; AccumOffset: 4
; Occupancy: 8
; WaveLimiterHint : 0
; COMPUTE_PGM_RSRC2:SCRATCH_EN: 0
; COMPUTE_PGM_RSRC2:USER_SGPR: 6
; COMPUTE_PGM_RSRC2:TRAP_HANDLER: 0
; COMPUTE_PGM_RSRC2:TGID_X_EN: 1
; COMPUTE_PGM_RSRC2:TGID_Y_EN: 0
; COMPUTE_PGM_RSRC2:TGID_Z_EN: 0
; COMPUTE_PGM_RSRC2:TIDIG_COMP_CNT: 0
; COMPUTE_PGM_RSRC3_GFX90A:ACCUM_OFFSET: 0
; COMPUTE_PGM_RSRC3_GFX90A:TG_SPLIT: 0
	.section	.text._ZN7rocprim17ROCPRIM_400000_NS6detail17trampoline_kernelINS0_14default_configENS1_38merge_sort_block_merge_config_selectorIlNS0_10empty_typeEEEZZNS1_27merge_sort_block_merge_implIS3_PlPS5_mZN2at6native12_GLOBAL__N_124unique_dim_cuda_templateIN3c108BFloat16EEESt5tupleIJNSA_6TensorESH_SH_EERKSH_lbbbEUlllE_EE10hipError_tT0_T1_T2_jT3_P12ihipStream_tbPNSt15iterator_traitsISN_E10value_typeEPNST_ISO_E10value_typeEPSP_NS1_7vsmem_tEENKUlT_SN_SO_SP_E_clIS8_S8_S9_S9_EESM_S12_SN_SO_SP_EUlS12_E_NS1_11comp_targetILNS1_3genE0ELNS1_11target_archE4294967295ELNS1_3gpuE0ELNS1_3repE0EEENS1_48merge_mergepath_partition_config_static_selectorELNS0_4arch9wavefront6targetE1EEEvSO_,"axG",@progbits,_ZN7rocprim17ROCPRIM_400000_NS6detail17trampoline_kernelINS0_14default_configENS1_38merge_sort_block_merge_config_selectorIlNS0_10empty_typeEEEZZNS1_27merge_sort_block_merge_implIS3_PlPS5_mZN2at6native12_GLOBAL__N_124unique_dim_cuda_templateIN3c108BFloat16EEESt5tupleIJNSA_6TensorESH_SH_EERKSH_lbbbEUlllE_EE10hipError_tT0_T1_T2_jT3_P12ihipStream_tbPNSt15iterator_traitsISN_E10value_typeEPNST_ISO_E10value_typeEPSP_NS1_7vsmem_tEENKUlT_SN_SO_SP_E_clIS8_S8_S9_S9_EESM_S12_SN_SO_SP_EUlS12_E_NS1_11comp_targetILNS1_3genE0ELNS1_11target_archE4294967295ELNS1_3gpuE0ELNS1_3repE0EEENS1_48merge_mergepath_partition_config_static_selectorELNS0_4arch9wavefront6targetE1EEEvSO_,comdat
	.globl	_ZN7rocprim17ROCPRIM_400000_NS6detail17trampoline_kernelINS0_14default_configENS1_38merge_sort_block_merge_config_selectorIlNS0_10empty_typeEEEZZNS1_27merge_sort_block_merge_implIS3_PlPS5_mZN2at6native12_GLOBAL__N_124unique_dim_cuda_templateIN3c108BFloat16EEESt5tupleIJNSA_6TensorESH_SH_EERKSH_lbbbEUlllE_EE10hipError_tT0_T1_T2_jT3_P12ihipStream_tbPNSt15iterator_traitsISN_E10value_typeEPNST_ISO_E10value_typeEPSP_NS1_7vsmem_tEENKUlT_SN_SO_SP_E_clIS8_S8_S9_S9_EESM_S12_SN_SO_SP_EUlS12_E_NS1_11comp_targetILNS1_3genE0ELNS1_11target_archE4294967295ELNS1_3gpuE0ELNS1_3repE0EEENS1_48merge_mergepath_partition_config_static_selectorELNS0_4arch9wavefront6targetE1EEEvSO_ ; -- Begin function _ZN7rocprim17ROCPRIM_400000_NS6detail17trampoline_kernelINS0_14default_configENS1_38merge_sort_block_merge_config_selectorIlNS0_10empty_typeEEEZZNS1_27merge_sort_block_merge_implIS3_PlPS5_mZN2at6native12_GLOBAL__N_124unique_dim_cuda_templateIN3c108BFloat16EEESt5tupleIJNSA_6TensorESH_SH_EERKSH_lbbbEUlllE_EE10hipError_tT0_T1_T2_jT3_P12ihipStream_tbPNSt15iterator_traitsISN_E10value_typeEPNST_ISO_E10value_typeEPSP_NS1_7vsmem_tEENKUlT_SN_SO_SP_E_clIS8_S8_S9_S9_EESM_S12_SN_SO_SP_EUlS12_E_NS1_11comp_targetILNS1_3genE0ELNS1_11target_archE4294967295ELNS1_3gpuE0ELNS1_3repE0EEENS1_48merge_mergepath_partition_config_static_selectorELNS0_4arch9wavefront6targetE1EEEvSO_
	.p2align	8
	.type	_ZN7rocprim17ROCPRIM_400000_NS6detail17trampoline_kernelINS0_14default_configENS1_38merge_sort_block_merge_config_selectorIlNS0_10empty_typeEEEZZNS1_27merge_sort_block_merge_implIS3_PlPS5_mZN2at6native12_GLOBAL__N_124unique_dim_cuda_templateIN3c108BFloat16EEESt5tupleIJNSA_6TensorESH_SH_EERKSH_lbbbEUlllE_EE10hipError_tT0_T1_T2_jT3_P12ihipStream_tbPNSt15iterator_traitsISN_E10value_typeEPNST_ISO_E10value_typeEPSP_NS1_7vsmem_tEENKUlT_SN_SO_SP_E_clIS8_S8_S9_S9_EESM_S12_SN_SO_SP_EUlS12_E_NS1_11comp_targetILNS1_3genE0ELNS1_11target_archE4294967295ELNS1_3gpuE0ELNS1_3repE0EEENS1_48merge_mergepath_partition_config_static_selectorELNS0_4arch9wavefront6targetE1EEEvSO_,@function
_ZN7rocprim17ROCPRIM_400000_NS6detail17trampoline_kernelINS0_14default_configENS1_38merge_sort_block_merge_config_selectorIlNS0_10empty_typeEEEZZNS1_27merge_sort_block_merge_implIS3_PlPS5_mZN2at6native12_GLOBAL__N_124unique_dim_cuda_templateIN3c108BFloat16EEESt5tupleIJNSA_6TensorESH_SH_EERKSH_lbbbEUlllE_EE10hipError_tT0_T1_T2_jT3_P12ihipStream_tbPNSt15iterator_traitsISN_E10value_typeEPNST_ISO_E10value_typeEPSP_NS1_7vsmem_tEENKUlT_SN_SO_SP_E_clIS8_S8_S9_S9_EESM_S12_SN_SO_SP_EUlS12_E_NS1_11comp_targetILNS1_3genE0ELNS1_11target_archE4294967295ELNS1_3gpuE0ELNS1_3repE0EEENS1_48merge_mergepath_partition_config_static_selectorELNS0_4arch9wavefront6targetE1EEEvSO_: ; @_ZN7rocprim17ROCPRIM_400000_NS6detail17trampoline_kernelINS0_14default_configENS1_38merge_sort_block_merge_config_selectorIlNS0_10empty_typeEEEZZNS1_27merge_sort_block_merge_implIS3_PlPS5_mZN2at6native12_GLOBAL__N_124unique_dim_cuda_templateIN3c108BFloat16EEESt5tupleIJNSA_6TensorESH_SH_EERKSH_lbbbEUlllE_EE10hipError_tT0_T1_T2_jT3_P12ihipStream_tbPNSt15iterator_traitsISN_E10value_typeEPNST_ISO_E10value_typeEPSP_NS1_7vsmem_tEENKUlT_SN_SO_SP_E_clIS8_S8_S9_S9_EESM_S12_SN_SO_SP_EUlS12_E_NS1_11comp_targetILNS1_3genE0ELNS1_11target_archE4294967295ELNS1_3gpuE0ELNS1_3repE0EEENS1_48merge_mergepath_partition_config_static_selectorELNS0_4arch9wavefront6targetE1EEEvSO_
; %bb.0:
	.section	.rodata,"a",@progbits
	.p2align	6, 0x0
	.amdhsa_kernel _ZN7rocprim17ROCPRIM_400000_NS6detail17trampoline_kernelINS0_14default_configENS1_38merge_sort_block_merge_config_selectorIlNS0_10empty_typeEEEZZNS1_27merge_sort_block_merge_implIS3_PlPS5_mZN2at6native12_GLOBAL__N_124unique_dim_cuda_templateIN3c108BFloat16EEESt5tupleIJNSA_6TensorESH_SH_EERKSH_lbbbEUlllE_EE10hipError_tT0_T1_T2_jT3_P12ihipStream_tbPNSt15iterator_traitsISN_E10value_typeEPNST_ISO_E10value_typeEPSP_NS1_7vsmem_tEENKUlT_SN_SO_SP_E_clIS8_S8_S9_S9_EESM_S12_SN_SO_SP_EUlS12_E_NS1_11comp_targetILNS1_3genE0ELNS1_11target_archE4294967295ELNS1_3gpuE0ELNS1_3repE0EEENS1_48merge_mergepath_partition_config_static_selectorELNS0_4arch9wavefront6targetE1EEEvSO_
		.amdhsa_group_segment_fixed_size 0
		.amdhsa_private_segment_fixed_size 0
		.amdhsa_kernarg_size 56
		.amdhsa_user_sgpr_count 6
		.amdhsa_user_sgpr_private_segment_buffer 1
		.amdhsa_user_sgpr_dispatch_ptr 0
		.amdhsa_user_sgpr_queue_ptr 0
		.amdhsa_user_sgpr_kernarg_segment_ptr 1
		.amdhsa_user_sgpr_dispatch_id 0
		.amdhsa_user_sgpr_flat_scratch_init 0
		.amdhsa_user_sgpr_kernarg_preload_length 0
		.amdhsa_user_sgpr_kernarg_preload_offset 0
		.amdhsa_user_sgpr_private_segment_size 0
		.amdhsa_uses_dynamic_stack 0
		.amdhsa_system_sgpr_private_segment_wavefront_offset 0
		.amdhsa_system_sgpr_workgroup_id_x 1
		.amdhsa_system_sgpr_workgroup_id_y 0
		.amdhsa_system_sgpr_workgroup_id_z 0
		.amdhsa_system_sgpr_workgroup_info 0
		.amdhsa_system_vgpr_workitem_id 0
		.amdhsa_next_free_vgpr 1
		.amdhsa_next_free_sgpr 0
		.amdhsa_accum_offset 4
		.amdhsa_reserve_vcc 0
		.amdhsa_reserve_flat_scratch 0
		.amdhsa_float_round_mode_32 0
		.amdhsa_float_round_mode_16_64 0
		.amdhsa_float_denorm_mode_32 3
		.amdhsa_float_denorm_mode_16_64 3
		.amdhsa_dx10_clamp 1
		.amdhsa_ieee_mode 1
		.amdhsa_fp16_overflow 0
		.amdhsa_tg_split 0
		.amdhsa_exception_fp_ieee_invalid_op 0
		.amdhsa_exception_fp_denorm_src 0
		.amdhsa_exception_fp_ieee_div_zero 0
		.amdhsa_exception_fp_ieee_overflow 0
		.amdhsa_exception_fp_ieee_underflow 0
		.amdhsa_exception_fp_ieee_inexact 0
		.amdhsa_exception_int_div_zero 0
	.end_amdhsa_kernel
	.section	.text._ZN7rocprim17ROCPRIM_400000_NS6detail17trampoline_kernelINS0_14default_configENS1_38merge_sort_block_merge_config_selectorIlNS0_10empty_typeEEEZZNS1_27merge_sort_block_merge_implIS3_PlPS5_mZN2at6native12_GLOBAL__N_124unique_dim_cuda_templateIN3c108BFloat16EEESt5tupleIJNSA_6TensorESH_SH_EERKSH_lbbbEUlllE_EE10hipError_tT0_T1_T2_jT3_P12ihipStream_tbPNSt15iterator_traitsISN_E10value_typeEPNST_ISO_E10value_typeEPSP_NS1_7vsmem_tEENKUlT_SN_SO_SP_E_clIS8_S8_S9_S9_EESM_S12_SN_SO_SP_EUlS12_E_NS1_11comp_targetILNS1_3genE0ELNS1_11target_archE4294967295ELNS1_3gpuE0ELNS1_3repE0EEENS1_48merge_mergepath_partition_config_static_selectorELNS0_4arch9wavefront6targetE1EEEvSO_,"axG",@progbits,_ZN7rocprim17ROCPRIM_400000_NS6detail17trampoline_kernelINS0_14default_configENS1_38merge_sort_block_merge_config_selectorIlNS0_10empty_typeEEEZZNS1_27merge_sort_block_merge_implIS3_PlPS5_mZN2at6native12_GLOBAL__N_124unique_dim_cuda_templateIN3c108BFloat16EEESt5tupleIJNSA_6TensorESH_SH_EERKSH_lbbbEUlllE_EE10hipError_tT0_T1_T2_jT3_P12ihipStream_tbPNSt15iterator_traitsISN_E10value_typeEPNST_ISO_E10value_typeEPSP_NS1_7vsmem_tEENKUlT_SN_SO_SP_E_clIS8_S8_S9_S9_EESM_S12_SN_SO_SP_EUlS12_E_NS1_11comp_targetILNS1_3genE0ELNS1_11target_archE4294967295ELNS1_3gpuE0ELNS1_3repE0EEENS1_48merge_mergepath_partition_config_static_selectorELNS0_4arch9wavefront6targetE1EEEvSO_,comdat
.Lfunc_end1124:
	.size	_ZN7rocprim17ROCPRIM_400000_NS6detail17trampoline_kernelINS0_14default_configENS1_38merge_sort_block_merge_config_selectorIlNS0_10empty_typeEEEZZNS1_27merge_sort_block_merge_implIS3_PlPS5_mZN2at6native12_GLOBAL__N_124unique_dim_cuda_templateIN3c108BFloat16EEESt5tupleIJNSA_6TensorESH_SH_EERKSH_lbbbEUlllE_EE10hipError_tT0_T1_T2_jT3_P12ihipStream_tbPNSt15iterator_traitsISN_E10value_typeEPNST_ISO_E10value_typeEPSP_NS1_7vsmem_tEENKUlT_SN_SO_SP_E_clIS8_S8_S9_S9_EESM_S12_SN_SO_SP_EUlS12_E_NS1_11comp_targetILNS1_3genE0ELNS1_11target_archE4294967295ELNS1_3gpuE0ELNS1_3repE0EEENS1_48merge_mergepath_partition_config_static_selectorELNS0_4arch9wavefront6targetE1EEEvSO_, .Lfunc_end1124-_ZN7rocprim17ROCPRIM_400000_NS6detail17trampoline_kernelINS0_14default_configENS1_38merge_sort_block_merge_config_selectorIlNS0_10empty_typeEEEZZNS1_27merge_sort_block_merge_implIS3_PlPS5_mZN2at6native12_GLOBAL__N_124unique_dim_cuda_templateIN3c108BFloat16EEESt5tupleIJNSA_6TensorESH_SH_EERKSH_lbbbEUlllE_EE10hipError_tT0_T1_T2_jT3_P12ihipStream_tbPNSt15iterator_traitsISN_E10value_typeEPNST_ISO_E10value_typeEPSP_NS1_7vsmem_tEENKUlT_SN_SO_SP_E_clIS8_S8_S9_S9_EESM_S12_SN_SO_SP_EUlS12_E_NS1_11comp_targetILNS1_3genE0ELNS1_11target_archE4294967295ELNS1_3gpuE0ELNS1_3repE0EEENS1_48merge_mergepath_partition_config_static_selectorELNS0_4arch9wavefront6targetE1EEEvSO_
                                        ; -- End function
	.section	.AMDGPU.csdata,"",@progbits
; Kernel info:
; codeLenInByte = 0
; NumSgprs: 4
; NumVgprs: 0
; NumAgprs: 0
; TotalNumVgprs: 0
; ScratchSize: 0
; MemoryBound: 0
; FloatMode: 240
; IeeeMode: 1
; LDSByteSize: 0 bytes/workgroup (compile time only)
; SGPRBlocks: 0
; VGPRBlocks: 0
; NumSGPRsForWavesPerEU: 4
; NumVGPRsForWavesPerEU: 1
; AccumOffset: 4
; Occupancy: 8
; WaveLimiterHint : 0
; COMPUTE_PGM_RSRC2:SCRATCH_EN: 0
; COMPUTE_PGM_RSRC2:USER_SGPR: 6
; COMPUTE_PGM_RSRC2:TRAP_HANDLER: 0
; COMPUTE_PGM_RSRC2:TGID_X_EN: 1
; COMPUTE_PGM_RSRC2:TGID_Y_EN: 0
; COMPUTE_PGM_RSRC2:TGID_Z_EN: 0
; COMPUTE_PGM_RSRC2:TIDIG_COMP_CNT: 0
; COMPUTE_PGM_RSRC3_GFX90A:ACCUM_OFFSET: 0
; COMPUTE_PGM_RSRC3_GFX90A:TG_SPLIT: 0
	.section	.text._ZN7rocprim17ROCPRIM_400000_NS6detail17trampoline_kernelINS0_14default_configENS1_38merge_sort_block_merge_config_selectorIlNS0_10empty_typeEEEZZNS1_27merge_sort_block_merge_implIS3_PlPS5_mZN2at6native12_GLOBAL__N_124unique_dim_cuda_templateIN3c108BFloat16EEESt5tupleIJNSA_6TensorESH_SH_EERKSH_lbbbEUlllE_EE10hipError_tT0_T1_T2_jT3_P12ihipStream_tbPNSt15iterator_traitsISN_E10value_typeEPNST_ISO_E10value_typeEPSP_NS1_7vsmem_tEENKUlT_SN_SO_SP_E_clIS8_S8_S9_S9_EESM_S12_SN_SO_SP_EUlS12_E_NS1_11comp_targetILNS1_3genE10ELNS1_11target_archE1201ELNS1_3gpuE5ELNS1_3repE0EEENS1_48merge_mergepath_partition_config_static_selectorELNS0_4arch9wavefront6targetE1EEEvSO_,"axG",@progbits,_ZN7rocprim17ROCPRIM_400000_NS6detail17trampoline_kernelINS0_14default_configENS1_38merge_sort_block_merge_config_selectorIlNS0_10empty_typeEEEZZNS1_27merge_sort_block_merge_implIS3_PlPS5_mZN2at6native12_GLOBAL__N_124unique_dim_cuda_templateIN3c108BFloat16EEESt5tupleIJNSA_6TensorESH_SH_EERKSH_lbbbEUlllE_EE10hipError_tT0_T1_T2_jT3_P12ihipStream_tbPNSt15iterator_traitsISN_E10value_typeEPNST_ISO_E10value_typeEPSP_NS1_7vsmem_tEENKUlT_SN_SO_SP_E_clIS8_S8_S9_S9_EESM_S12_SN_SO_SP_EUlS12_E_NS1_11comp_targetILNS1_3genE10ELNS1_11target_archE1201ELNS1_3gpuE5ELNS1_3repE0EEENS1_48merge_mergepath_partition_config_static_selectorELNS0_4arch9wavefront6targetE1EEEvSO_,comdat
	.globl	_ZN7rocprim17ROCPRIM_400000_NS6detail17trampoline_kernelINS0_14default_configENS1_38merge_sort_block_merge_config_selectorIlNS0_10empty_typeEEEZZNS1_27merge_sort_block_merge_implIS3_PlPS5_mZN2at6native12_GLOBAL__N_124unique_dim_cuda_templateIN3c108BFloat16EEESt5tupleIJNSA_6TensorESH_SH_EERKSH_lbbbEUlllE_EE10hipError_tT0_T1_T2_jT3_P12ihipStream_tbPNSt15iterator_traitsISN_E10value_typeEPNST_ISO_E10value_typeEPSP_NS1_7vsmem_tEENKUlT_SN_SO_SP_E_clIS8_S8_S9_S9_EESM_S12_SN_SO_SP_EUlS12_E_NS1_11comp_targetILNS1_3genE10ELNS1_11target_archE1201ELNS1_3gpuE5ELNS1_3repE0EEENS1_48merge_mergepath_partition_config_static_selectorELNS0_4arch9wavefront6targetE1EEEvSO_ ; -- Begin function _ZN7rocprim17ROCPRIM_400000_NS6detail17trampoline_kernelINS0_14default_configENS1_38merge_sort_block_merge_config_selectorIlNS0_10empty_typeEEEZZNS1_27merge_sort_block_merge_implIS3_PlPS5_mZN2at6native12_GLOBAL__N_124unique_dim_cuda_templateIN3c108BFloat16EEESt5tupleIJNSA_6TensorESH_SH_EERKSH_lbbbEUlllE_EE10hipError_tT0_T1_T2_jT3_P12ihipStream_tbPNSt15iterator_traitsISN_E10value_typeEPNST_ISO_E10value_typeEPSP_NS1_7vsmem_tEENKUlT_SN_SO_SP_E_clIS8_S8_S9_S9_EESM_S12_SN_SO_SP_EUlS12_E_NS1_11comp_targetILNS1_3genE10ELNS1_11target_archE1201ELNS1_3gpuE5ELNS1_3repE0EEENS1_48merge_mergepath_partition_config_static_selectorELNS0_4arch9wavefront6targetE1EEEvSO_
	.p2align	8
	.type	_ZN7rocprim17ROCPRIM_400000_NS6detail17trampoline_kernelINS0_14default_configENS1_38merge_sort_block_merge_config_selectorIlNS0_10empty_typeEEEZZNS1_27merge_sort_block_merge_implIS3_PlPS5_mZN2at6native12_GLOBAL__N_124unique_dim_cuda_templateIN3c108BFloat16EEESt5tupleIJNSA_6TensorESH_SH_EERKSH_lbbbEUlllE_EE10hipError_tT0_T1_T2_jT3_P12ihipStream_tbPNSt15iterator_traitsISN_E10value_typeEPNST_ISO_E10value_typeEPSP_NS1_7vsmem_tEENKUlT_SN_SO_SP_E_clIS8_S8_S9_S9_EESM_S12_SN_SO_SP_EUlS12_E_NS1_11comp_targetILNS1_3genE10ELNS1_11target_archE1201ELNS1_3gpuE5ELNS1_3repE0EEENS1_48merge_mergepath_partition_config_static_selectorELNS0_4arch9wavefront6targetE1EEEvSO_,@function
_ZN7rocprim17ROCPRIM_400000_NS6detail17trampoline_kernelINS0_14default_configENS1_38merge_sort_block_merge_config_selectorIlNS0_10empty_typeEEEZZNS1_27merge_sort_block_merge_implIS3_PlPS5_mZN2at6native12_GLOBAL__N_124unique_dim_cuda_templateIN3c108BFloat16EEESt5tupleIJNSA_6TensorESH_SH_EERKSH_lbbbEUlllE_EE10hipError_tT0_T1_T2_jT3_P12ihipStream_tbPNSt15iterator_traitsISN_E10value_typeEPNST_ISO_E10value_typeEPSP_NS1_7vsmem_tEENKUlT_SN_SO_SP_E_clIS8_S8_S9_S9_EESM_S12_SN_SO_SP_EUlS12_E_NS1_11comp_targetILNS1_3genE10ELNS1_11target_archE1201ELNS1_3gpuE5ELNS1_3repE0EEENS1_48merge_mergepath_partition_config_static_selectorELNS0_4arch9wavefront6targetE1EEEvSO_: ; @_ZN7rocprim17ROCPRIM_400000_NS6detail17trampoline_kernelINS0_14default_configENS1_38merge_sort_block_merge_config_selectorIlNS0_10empty_typeEEEZZNS1_27merge_sort_block_merge_implIS3_PlPS5_mZN2at6native12_GLOBAL__N_124unique_dim_cuda_templateIN3c108BFloat16EEESt5tupleIJNSA_6TensorESH_SH_EERKSH_lbbbEUlllE_EE10hipError_tT0_T1_T2_jT3_P12ihipStream_tbPNSt15iterator_traitsISN_E10value_typeEPNST_ISO_E10value_typeEPSP_NS1_7vsmem_tEENKUlT_SN_SO_SP_E_clIS8_S8_S9_S9_EESM_S12_SN_SO_SP_EUlS12_E_NS1_11comp_targetILNS1_3genE10ELNS1_11target_archE1201ELNS1_3gpuE5ELNS1_3repE0EEENS1_48merge_mergepath_partition_config_static_selectorELNS0_4arch9wavefront6targetE1EEEvSO_
; %bb.0:
	.section	.rodata,"a",@progbits
	.p2align	6, 0x0
	.amdhsa_kernel _ZN7rocprim17ROCPRIM_400000_NS6detail17trampoline_kernelINS0_14default_configENS1_38merge_sort_block_merge_config_selectorIlNS0_10empty_typeEEEZZNS1_27merge_sort_block_merge_implIS3_PlPS5_mZN2at6native12_GLOBAL__N_124unique_dim_cuda_templateIN3c108BFloat16EEESt5tupleIJNSA_6TensorESH_SH_EERKSH_lbbbEUlllE_EE10hipError_tT0_T1_T2_jT3_P12ihipStream_tbPNSt15iterator_traitsISN_E10value_typeEPNST_ISO_E10value_typeEPSP_NS1_7vsmem_tEENKUlT_SN_SO_SP_E_clIS8_S8_S9_S9_EESM_S12_SN_SO_SP_EUlS12_E_NS1_11comp_targetILNS1_3genE10ELNS1_11target_archE1201ELNS1_3gpuE5ELNS1_3repE0EEENS1_48merge_mergepath_partition_config_static_selectorELNS0_4arch9wavefront6targetE1EEEvSO_
		.amdhsa_group_segment_fixed_size 0
		.amdhsa_private_segment_fixed_size 0
		.amdhsa_kernarg_size 56
		.amdhsa_user_sgpr_count 6
		.amdhsa_user_sgpr_private_segment_buffer 1
		.amdhsa_user_sgpr_dispatch_ptr 0
		.amdhsa_user_sgpr_queue_ptr 0
		.amdhsa_user_sgpr_kernarg_segment_ptr 1
		.amdhsa_user_sgpr_dispatch_id 0
		.amdhsa_user_sgpr_flat_scratch_init 0
		.amdhsa_user_sgpr_kernarg_preload_length 0
		.amdhsa_user_sgpr_kernarg_preload_offset 0
		.amdhsa_user_sgpr_private_segment_size 0
		.amdhsa_uses_dynamic_stack 0
		.amdhsa_system_sgpr_private_segment_wavefront_offset 0
		.amdhsa_system_sgpr_workgroup_id_x 1
		.amdhsa_system_sgpr_workgroup_id_y 0
		.amdhsa_system_sgpr_workgroup_id_z 0
		.amdhsa_system_sgpr_workgroup_info 0
		.amdhsa_system_vgpr_workitem_id 0
		.amdhsa_next_free_vgpr 1
		.amdhsa_next_free_sgpr 0
		.amdhsa_accum_offset 4
		.amdhsa_reserve_vcc 0
		.amdhsa_reserve_flat_scratch 0
		.amdhsa_float_round_mode_32 0
		.amdhsa_float_round_mode_16_64 0
		.amdhsa_float_denorm_mode_32 3
		.amdhsa_float_denorm_mode_16_64 3
		.amdhsa_dx10_clamp 1
		.amdhsa_ieee_mode 1
		.amdhsa_fp16_overflow 0
		.amdhsa_tg_split 0
		.amdhsa_exception_fp_ieee_invalid_op 0
		.amdhsa_exception_fp_denorm_src 0
		.amdhsa_exception_fp_ieee_div_zero 0
		.amdhsa_exception_fp_ieee_overflow 0
		.amdhsa_exception_fp_ieee_underflow 0
		.amdhsa_exception_fp_ieee_inexact 0
		.amdhsa_exception_int_div_zero 0
	.end_amdhsa_kernel
	.section	.text._ZN7rocprim17ROCPRIM_400000_NS6detail17trampoline_kernelINS0_14default_configENS1_38merge_sort_block_merge_config_selectorIlNS0_10empty_typeEEEZZNS1_27merge_sort_block_merge_implIS3_PlPS5_mZN2at6native12_GLOBAL__N_124unique_dim_cuda_templateIN3c108BFloat16EEESt5tupleIJNSA_6TensorESH_SH_EERKSH_lbbbEUlllE_EE10hipError_tT0_T1_T2_jT3_P12ihipStream_tbPNSt15iterator_traitsISN_E10value_typeEPNST_ISO_E10value_typeEPSP_NS1_7vsmem_tEENKUlT_SN_SO_SP_E_clIS8_S8_S9_S9_EESM_S12_SN_SO_SP_EUlS12_E_NS1_11comp_targetILNS1_3genE10ELNS1_11target_archE1201ELNS1_3gpuE5ELNS1_3repE0EEENS1_48merge_mergepath_partition_config_static_selectorELNS0_4arch9wavefront6targetE1EEEvSO_,"axG",@progbits,_ZN7rocprim17ROCPRIM_400000_NS6detail17trampoline_kernelINS0_14default_configENS1_38merge_sort_block_merge_config_selectorIlNS0_10empty_typeEEEZZNS1_27merge_sort_block_merge_implIS3_PlPS5_mZN2at6native12_GLOBAL__N_124unique_dim_cuda_templateIN3c108BFloat16EEESt5tupleIJNSA_6TensorESH_SH_EERKSH_lbbbEUlllE_EE10hipError_tT0_T1_T2_jT3_P12ihipStream_tbPNSt15iterator_traitsISN_E10value_typeEPNST_ISO_E10value_typeEPSP_NS1_7vsmem_tEENKUlT_SN_SO_SP_E_clIS8_S8_S9_S9_EESM_S12_SN_SO_SP_EUlS12_E_NS1_11comp_targetILNS1_3genE10ELNS1_11target_archE1201ELNS1_3gpuE5ELNS1_3repE0EEENS1_48merge_mergepath_partition_config_static_selectorELNS0_4arch9wavefront6targetE1EEEvSO_,comdat
.Lfunc_end1125:
	.size	_ZN7rocprim17ROCPRIM_400000_NS6detail17trampoline_kernelINS0_14default_configENS1_38merge_sort_block_merge_config_selectorIlNS0_10empty_typeEEEZZNS1_27merge_sort_block_merge_implIS3_PlPS5_mZN2at6native12_GLOBAL__N_124unique_dim_cuda_templateIN3c108BFloat16EEESt5tupleIJNSA_6TensorESH_SH_EERKSH_lbbbEUlllE_EE10hipError_tT0_T1_T2_jT3_P12ihipStream_tbPNSt15iterator_traitsISN_E10value_typeEPNST_ISO_E10value_typeEPSP_NS1_7vsmem_tEENKUlT_SN_SO_SP_E_clIS8_S8_S9_S9_EESM_S12_SN_SO_SP_EUlS12_E_NS1_11comp_targetILNS1_3genE10ELNS1_11target_archE1201ELNS1_3gpuE5ELNS1_3repE0EEENS1_48merge_mergepath_partition_config_static_selectorELNS0_4arch9wavefront6targetE1EEEvSO_, .Lfunc_end1125-_ZN7rocprim17ROCPRIM_400000_NS6detail17trampoline_kernelINS0_14default_configENS1_38merge_sort_block_merge_config_selectorIlNS0_10empty_typeEEEZZNS1_27merge_sort_block_merge_implIS3_PlPS5_mZN2at6native12_GLOBAL__N_124unique_dim_cuda_templateIN3c108BFloat16EEESt5tupleIJNSA_6TensorESH_SH_EERKSH_lbbbEUlllE_EE10hipError_tT0_T1_T2_jT3_P12ihipStream_tbPNSt15iterator_traitsISN_E10value_typeEPNST_ISO_E10value_typeEPSP_NS1_7vsmem_tEENKUlT_SN_SO_SP_E_clIS8_S8_S9_S9_EESM_S12_SN_SO_SP_EUlS12_E_NS1_11comp_targetILNS1_3genE10ELNS1_11target_archE1201ELNS1_3gpuE5ELNS1_3repE0EEENS1_48merge_mergepath_partition_config_static_selectorELNS0_4arch9wavefront6targetE1EEEvSO_
                                        ; -- End function
	.section	.AMDGPU.csdata,"",@progbits
; Kernel info:
; codeLenInByte = 0
; NumSgprs: 4
; NumVgprs: 0
; NumAgprs: 0
; TotalNumVgprs: 0
; ScratchSize: 0
; MemoryBound: 0
; FloatMode: 240
; IeeeMode: 1
; LDSByteSize: 0 bytes/workgroup (compile time only)
; SGPRBlocks: 0
; VGPRBlocks: 0
; NumSGPRsForWavesPerEU: 4
; NumVGPRsForWavesPerEU: 1
; AccumOffset: 4
; Occupancy: 8
; WaveLimiterHint : 0
; COMPUTE_PGM_RSRC2:SCRATCH_EN: 0
; COMPUTE_PGM_RSRC2:USER_SGPR: 6
; COMPUTE_PGM_RSRC2:TRAP_HANDLER: 0
; COMPUTE_PGM_RSRC2:TGID_X_EN: 1
; COMPUTE_PGM_RSRC2:TGID_Y_EN: 0
; COMPUTE_PGM_RSRC2:TGID_Z_EN: 0
; COMPUTE_PGM_RSRC2:TIDIG_COMP_CNT: 0
; COMPUTE_PGM_RSRC3_GFX90A:ACCUM_OFFSET: 0
; COMPUTE_PGM_RSRC3_GFX90A:TG_SPLIT: 0
	.section	.text._ZN7rocprim17ROCPRIM_400000_NS6detail17trampoline_kernelINS0_14default_configENS1_38merge_sort_block_merge_config_selectorIlNS0_10empty_typeEEEZZNS1_27merge_sort_block_merge_implIS3_PlPS5_mZN2at6native12_GLOBAL__N_124unique_dim_cuda_templateIN3c108BFloat16EEESt5tupleIJNSA_6TensorESH_SH_EERKSH_lbbbEUlllE_EE10hipError_tT0_T1_T2_jT3_P12ihipStream_tbPNSt15iterator_traitsISN_E10value_typeEPNST_ISO_E10value_typeEPSP_NS1_7vsmem_tEENKUlT_SN_SO_SP_E_clIS8_S8_S9_S9_EESM_S12_SN_SO_SP_EUlS12_E_NS1_11comp_targetILNS1_3genE5ELNS1_11target_archE942ELNS1_3gpuE9ELNS1_3repE0EEENS1_48merge_mergepath_partition_config_static_selectorELNS0_4arch9wavefront6targetE1EEEvSO_,"axG",@progbits,_ZN7rocprim17ROCPRIM_400000_NS6detail17trampoline_kernelINS0_14default_configENS1_38merge_sort_block_merge_config_selectorIlNS0_10empty_typeEEEZZNS1_27merge_sort_block_merge_implIS3_PlPS5_mZN2at6native12_GLOBAL__N_124unique_dim_cuda_templateIN3c108BFloat16EEESt5tupleIJNSA_6TensorESH_SH_EERKSH_lbbbEUlllE_EE10hipError_tT0_T1_T2_jT3_P12ihipStream_tbPNSt15iterator_traitsISN_E10value_typeEPNST_ISO_E10value_typeEPSP_NS1_7vsmem_tEENKUlT_SN_SO_SP_E_clIS8_S8_S9_S9_EESM_S12_SN_SO_SP_EUlS12_E_NS1_11comp_targetILNS1_3genE5ELNS1_11target_archE942ELNS1_3gpuE9ELNS1_3repE0EEENS1_48merge_mergepath_partition_config_static_selectorELNS0_4arch9wavefront6targetE1EEEvSO_,comdat
	.globl	_ZN7rocprim17ROCPRIM_400000_NS6detail17trampoline_kernelINS0_14default_configENS1_38merge_sort_block_merge_config_selectorIlNS0_10empty_typeEEEZZNS1_27merge_sort_block_merge_implIS3_PlPS5_mZN2at6native12_GLOBAL__N_124unique_dim_cuda_templateIN3c108BFloat16EEESt5tupleIJNSA_6TensorESH_SH_EERKSH_lbbbEUlllE_EE10hipError_tT0_T1_T2_jT3_P12ihipStream_tbPNSt15iterator_traitsISN_E10value_typeEPNST_ISO_E10value_typeEPSP_NS1_7vsmem_tEENKUlT_SN_SO_SP_E_clIS8_S8_S9_S9_EESM_S12_SN_SO_SP_EUlS12_E_NS1_11comp_targetILNS1_3genE5ELNS1_11target_archE942ELNS1_3gpuE9ELNS1_3repE0EEENS1_48merge_mergepath_partition_config_static_selectorELNS0_4arch9wavefront6targetE1EEEvSO_ ; -- Begin function _ZN7rocprim17ROCPRIM_400000_NS6detail17trampoline_kernelINS0_14default_configENS1_38merge_sort_block_merge_config_selectorIlNS0_10empty_typeEEEZZNS1_27merge_sort_block_merge_implIS3_PlPS5_mZN2at6native12_GLOBAL__N_124unique_dim_cuda_templateIN3c108BFloat16EEESt5tupleIJNSA_6TensorESH_SH_EERKSH_lbbbEUlllE_EE10hipError_tT0_T1_T2_jT3_P12ihipStream_tbPNSt15iterator_traitsISN_E10value_typeEPNST_ISO_E10value_typeEPSP_NS1_7vsmem_tEENKUlT_SN_SO_SP_E_clIS8_S8_S9_S9_EESM_S12_SN_SO_SP_EUlS12_E_NS1_11comp_targetILNS1_3genE5ELNS1_11target_archE942ELNS1_3gpuE9ELNS1_3repE0EEENS1_48merge_mergepath_partition_config_static_selectorELNS0_4arch9wavefront6targetE1EEEvSO_
	.p2align	8
	.type	_ZN7rocprim17ROCPRIM_400000_NS6detail17trampoline_kernelINS0_14default_configENS1_38merge_sort_block_merge_config_selectorIlNS0_10empty_typeEEEZZNS1_27merge_sort_block_merge_implIS3_PlPS5_mZN2at6native12_GLOBAL__N_124unique_dim_cuda_templateIN3c108BFloat16EEESt5tupleIJNSA_6TensorESH_SH_EERKSH_lbbbEUlllE_EE10hipError_tT0_T1_T2_jT3_P12ihipStream_tbPNSt15iterator_traitsISN_E10value_typeEPNST_ISO_E10value_typeEPSP_NS1_7vsmem_tEENKUlT_SN_SO_SP_E_clIS8_S8_S9_S9_EESM_S12_SN_SO_SP_EUlS12_E_NS1_11comp_targetILNS1_3genE5ELNS1_11target_archE942ELNS1_3gpuE9ELNS1_3repE0EEENS1_48merge_mergepath_partition_config_static_selectorELNS0_4arch9wavefront6targetE1EEEvSO_,@function
_ZN7rocprim17ROCPRIM_400000_NS6detail17trampoline_kernelINS0_14default_configENS1_38merge_sort_block_merge_config_selectorIlNS0_10empty_typeEEEZZNS1_27merge_sort_block_merge_implIS3_PlPS5_mZN2at6native12_GLOBAL__N_124unique_dim_cuda_templateIN3c108BFloat16EEESt5tupleIJNSA_6TensorESH_SH_EERKSH_lbbbEUlllE_EE10hipError_tT0_T1_T2_jT3_P12ihipStream_tbPNSt15iterator_traitsISN_E10value_typeEPNST_ISO_E10value_typeEPSP_NS1_7vsmem_tEENKUlT_SN_SO_SP_E_clIS8_S8_S9_S9_EESM_S12_SN_SO_SP_EUlS12_E_NS1_11comp_targetILNS1_3genE5ELNS1_11target_archE942ELNS1_3gpuE9ELNS1_3repE0EEENS1_48merge_mergepath_partition_config_static_selectorELNS0_4arch9wavefront6targetE1EEEvSO_: ; @_ZN7rocprim17ROCPRIM_400000_NS6detail17trampoline_kernelINS0_14default_configENS1_38merge_sort_block_merge_config_selectorIlNS0_10empty_typeEEEZZNS1_27merge_sort_block_merge_implIS3_PlPS5_mZN2at6native12_GLOBAL__N_124unique_dim_cuda_templateIN3c108BFloat16EEESt5tupleIJNSA_6TensorESH_SH_EERKSH_lbbbEUlllE_EE10hipError_tT0_T1_T2_jT3_P12ihipStream_tbPNSt15iterator_traitsISN_E10value_typeEPNST_ISO_E10value_typeEPSP_NS1_7vsmem_tEENKUlT_SN_SO_SP_E_clIS8_S8_S9_S9_EESM_S12_SN_SO_SP_EUlS12_E_NS1_11comp_targetILNS1_3genE5ELNS1_11target_archE942ELNS1_3gpuE9ELNS1_3repE0EEENS1_48merge_mergepath_partition_config_static_selectorELNS0_4arch9wavefront6targetE1EEEvSO_
; %bb.0:
	.section	.rodata,"a",@progbits
	.p2align	6, 0x0
	.amdhsa_kernel _ZN7rocprim17ROCPRIM_400000_NS6detail17trampoline_kernelINS0_14default_configENS1_38merge_sort_block_merge_config_selectorIlNS0_10empty_typeEEEZZNS1_27merge_sort_block_merge_implIS3_PlPS5_mZN2at6native12_GLOBAL__N_124unique_dim_cuda_templateIN3c108BFloat16EEESt5tupleIJNSA_6TensorESH_SH_EERKSH_lbbbEUlllE_EE10hipError_tT0_T1_T2_jT3_P12ihipStream_tbPNSt15iterator_traitsISN_E10value_typeEPNST_ISO_E10value_typeEPSP_NS1_7vsmem_tEENKUlT_SN_SO_SP_E_clIS8_S8_S9_S9_EESM_S12_SN_SO_SP_EUlS12_E_NS1_11comp_targetILNS1_3genE5ELNS1_11target_archE942ELNS1_3gpuE9ELNS1_3repE0EEENS1_48merge_mergepath_partition_config_static_selectorELNS0_4arch9wavefront6targetE1EEEvSO_
		.amdhsa_group_segment_fixed_size 0
		.amdhsa_private_segment_fixed_size 0
		.amdhsa_kernarg_size 56
		.amdhsa_user_sgpr_count 6
		.amdhsa_user_sgpr_private_segment_buffer 1
		.amdhsa_user_sgpr_dispatch_ptr 0
		.amdhsa_user_sgpr_queue_ptr 0
		.amdhsa_user_sgpr_kernarg_segment_ptr 1
		.amdhsa_user_sgpr_dispatch_id 0
		.amdhsa_user_sgpr_flat_scratch_init 0
		.amdhsa_user_sgpr_kernarg_preload_length 0
		.amdhsa_user_sgpr_kernarg_preload_offset 0
		.amdhsa_user_sgpr_private_segment_size 0
		.amdhsa_uses_dynamic_stack 0
		.amdhsa_system_sgpr_private_segment_wavefront_offset 0
		.amdhsa_system_sgpr_workgroup_id_x 1
		.amdhsa_system_sgpr_workgroup_id_y 0
		.amdhsa_system_sgpr_workgroup_id_z 0
		.amdhsa_system_sgpr_workgroup_info 0
		.amdhsa_system_vgpr_workitem_id 0
		.amdhsa_next_free_vgpr 1
		.amdhsa_next_free_sgpr 0
		.amdhsa_accum_offset 4
		.amdhsa_reserve_vcc 0
		.amdhsa_reserve_flat_scratch 0
		.amdhsa_float_round_mode_32 0
		.amdhsa_float_round_mode_16_64 0
		.amdhsa_float_denorm_mode_32 3
		.amdhsa_float_denorm_mode_16_64 3
		.amdhsa_dx10_clamp 1
		.amdhsa_ieee_mode 1
		.amdhsa_fp16_overflow 0
		.amdhsa_tg_split 0
		.amdhsa_exception_fp_ieee_invalid_op 0
		.amdhsa_exception_fp_denorm_src 0
		.amdhsa_exception_fp_ieee_div_zero 0
		.amdhsa_exception_fp_ieee_overflow 0
		.amdhsa_exception_fp_ieee_underflow 0
		.amdhsa_exception_fp_ieee_inexact 0
		.amdhsa_exception_int_div_zero 0
	.end_amdhsa_kernel
	.section	.text._ZN7rocprim17ROCPRIM_400000_NS6detail17trampoline_kernelINS0_14default_configENS1_38merge_sort_block_merge_config_selectorIlNS0_10empty_typeEEEZZNS1_27merge_sort_block_merge_implIS3_PlPS5_mZN2at6native12_GLOBAL__N_124unique_dim_cuda_templateIN3c108BFloat16EEESt5tupleIJNSA_6TensorESH_SH_EERKSH_lbbbEUlllE_EE10hipError_tT0_T1_T2_jT3_P12ihipStream_tbPNSt15iterator_traitsISN_E10value_typeEPNST_ISO_E10value_typeEPSP_NS1_7vsmem_tEENKUlT_SN_SO_SP_E_clIS8_S8_S9_S9_EESM_S12_SN_SO_SP_EUlS12_E_NS1_11comp_targetILNS1_3genE5ELNS1_11target_archE942ELNS1_3gpuE9ELNS1_3repE0EEENS1_48merge_mergepath_partition_config_static_selectorELNS0_4arch9wavefront6targetE1EEEvSO_,"axG",@progbits,_ZN7rocprim17ROCPRIM_400000_NS6detail17trampoline_kernelINS0_14default_configENS1_38merge_sort_block_merge_config_selectorIlNS0_10empty_typeEEEZZNS1_27merge_sort_block_merge_implIS3_PlPS5_mZN2at6native12_GLOBAL__N_124unique_dim_cuda_templateIN3c108BFloat16EEESt5tupleIJNSA_6TensorESH_SH_EERKSH_lbbbEUlllE_EE10hipError_tT0_T1_T2_jT3_P12ihipStream_tbPNSt15iterator_traitsISN_E10value_typeEPNST_ISO_E10value_typeEPSP_NS1_7vsmem_tEENKUlT_SN_SO_SP_E_clIS8_S8_S9_S9_EESM_S12_SN_SO_SP_EUlS12_E_NS1_11comp_targetILNS1_3genE5ELNS1_11target_archE942ELNS1_3gpuE9ELNS1_3repE0EEENS1_48merge_mergepath_partition_config_static_selectorELNS0_4arch9wavefront6targetE1EEEvSO_,comdat
.Lfunc_end1126:
	.size	_ZN7rocprim17ROCPRIM_400000_NS6detail17trampoline_kernelINS0_14default_configENS1_38merge_sort_block_merge_config_selectorIlNS0_10empty_typeEEEZZNS1_27merge_sort_block_merge_implIS3_PlPS5_mZN2at6native12_GLOBAL__N_124unique_dim_cuda_templateIN3c108BFloat16EEESt5tupleIJNSA_6TensorESH_SH_EERKSH_lbbbEUlllE_EE10hipError_tT0_T1_T2_jT3_P12ihipStream_tbPNSt15iterator_traitsISN_E10value_typeEPNST_ISO_E10value_typeEPSP_NS1_7vsmem_tEENKUlT_SN_SO_SP_E_clIS8_S8_S9_S9_EESM_S12_SN_SO_SP_EUlS12_E_NS1_11comp_targetILNS1_3genE5ELNS1_11target_archE942ELNS1_3gpuE9ELNS1_3repE0EEENS1_48merge_mergepath_partition_config_static_selectorELNS0_4arch9wavefront6targetE1EEEvSO_, .Lfunc_end1126-_ZN7rocprim17ROCPRIM_400000_NS6detail17trampoline_kernelINS0_14default_configENS1_38merge_sort_block_merge_config_selectorIlNS0_10empty_typeEEEZZNS1_27merge_sort_block_merge_implIS3_PlPS5_mZN2at6native12_GLOBAL__N_124unique_dim_cuda_templateIN3c108BFloat16EEESt5tupleIJNSA_6TensorESH_SH_EERKSH_lbbbEUlllE_EE10hipError_tT0_T1_T2_jT3_P12ihipStream_tbPNSt15iterator_traitsISN_E10value_typeEPNST_ISO_E10value_typeEPSP_NS1_7vsmem_tEENKUlT_SN_SO_SP_E_clIS8_S8_S9_S9_EESM_S12_SN_SO_SP_EUlS12_E_NS1_11comp_targetILNS1_3genE5ELNS1_11target_archE942ELNS1_3gpuE9ELNS1_3repE0EEENS1_48merge_mergepath_partition_config_static_selectorELNS0_4arch9wavefront6targetE1EEEvSO_
                                        ; -- End function
	.section	.AMDGPU.csdata,"",@progbits
; Kernel info:
; codeLenInByte = 0
; NumSgprs: 4
; NumVgprs: 0
; NumAgprs: 0
; TotalNumVgprs: 0
; ScratchSize: 0
; MemoryBound: 0
; FloatMode: 240
; IeeeMode: 1
; LDSByteSize: 0 bytes/workgroup (compile time only)
; SGPRBlocks: 0
; VGPRBlocks: 0
; NumSGPRsForWavesPerEU: 4
; NumVGPRsForWavesPerEU: 1
; AccumOffset: 4
; Occupancy: 8
; WaveLimiterHint : 0
; COMPUTE_PGM_RSRC2:SCRATCH_EN: 0
; COMPUTE_PGM_RSRC2:USER_SGPR: 6
; COMPUTE_PGM_RSRC2:TRAP_HANDLER: 0
; COMPUTE_PGM_RSRC2:TGID_X_EN: 1
; COMPUTE_PGM_RSRC2:TGID_Y_EN: 0
; COMPUTE_PGM_RSRC2:TGID_Z_EN: 0
; COMPUTE_PGM_RSRC2:TIDIG_COMP_CNT: 0
; COMPUTE_PGM_RSRC3_GFX90A:ACCUM_OFFSET: 0
; COMPUTE_PGM_RSRC3_GFX90A:TG_SPLIT: 0
	.section	.text._ZN7rocprim17ROCPRIM_400000_NS6detail17trampoline_kernelINS0_14default_configENS1_38merge_sort_block_merge_config_selectorIlNS0_10empty_typeEEEZZNS1_27merge_sort_block_merge_implIS3_PlPS5_mZN2at6native12_GLOBAL__N_124unique_dim_cuda_templateIN3c108BFloat16EEESt5tupleIJNSA_6TensorESH_SH_EERKSH_lbbbEUlllE_EE10hipError_tT0_T1_T2_jT3_P12ihipStream_tbPNSt15iterator_traitsISN_E10value_typeEPNST_ISO_E10value_typeEPSP_NS1_7vsmem_tEENKUlT_SN_SO_SP_E_clIS8_S8_S9_S9_EESM_S12_SN_SO_SP_EUlS12_E_NS1_11comp_targetILNS1_3genE4ELNS1_11target_archE910ELNS1_3gpuE8ELNS1_3repE0EEENS1_48merge_mergepath_partition_config_static_selectorELNS0_4arch9wavefront6targetE1EEEvSO_,"axG",@progbits,_ZN7rocprim17ROCPRIM_400000_NS6detail17trampoline_kernelINS0_14default_configENS1_38merge_sort_block_merge_config_selectorIlNS0_10empty_typeEEEZZNS1_27merge_sort_block_merge_implIS3_PlPS5_mZN2at6native12_GLOBAL__N_124unique_dim_cuda_templateIN3c108BFloat16EEESt5tupleIJNSA_6TensorESH_SH_EERKSH_lbbbEUlllE_EE10hipError_tT0_T1_T2_jT3_P12ihipStream_tbPNSt15iterator_traitsISN_E10value_typeEPNST_ISO_E10value_typeEPSP_NS1_7vsmem_tEENKUlT_SN_SO_SP_E_clIS8_S8_S9_S9_EESM_S12_SN_SO_SP_EUlS12_E_NS1_11comp_targetILNS1_3genE4ELNS1_11target_archE910ELNS1_3gpuE8ELNS1_3repE0EEENS1_48merge_mergepath_partition_config_static_selectorELNS0_4arch9wavefront6targetE1EEEvSO_,comdat
	.globl	_ZN7rocprim17ROCPRIM_400000_NS6detail17trampoline_kernelINS0_14default_configENS1_38merge_sort_block_merge_config_selectorIlNS0_10empty_typeEEEZZNS1_27merge_sort_block_merge_implIS3_PlPS5_mZN2at6native12_GLOBAL__N_124unique_dim_cuda_templateIN3c108BFloat16EEESt5tupleIJNSA_6TensorESH_SH_EERKSH_lbbbEUlllE_EE10hipError_tT0_T1_T2_jT3_P12ihipStream_tbPNSt15iterator_traitsISN_E10value_typeEPNST_ISO_E10value_typeEPSP_NS1_7vsmem_tEENKUlT_SN_SO_SP_E_clIS8_S8_S9_S9_EESM_S12_SN_SO_SP_EUlS12_E_NS1_11comp_targetILNS1_3genE4ELNS1_11target_archE910ELNS1_3gpuE8ELNS1_3repE0EEENS1_48merge_mergepath_partition_config_static_selectorELNS0_4arch9wavefront6targetE1EEEvSO_ ; -- Begin function _ZN7rocprim17ROCPRIM_400000_NS6detail17trampoline_kernelINS0_14default_configENS1_38merge_sort_block_merge_config_selectorIlNS0_10empty_typeEEEZZNS1_27merge_sort_block_merge_implIS3_PlPS5_mZN2at6native12_GLOBAL__N_124unique_dim_cuda_templateIN3c108BFloat16EEESt5tupleIJNSA_6TensorESH_SH_EERKSH_lbbbEUlllE_EE10hipError_tT0_T1_T2_jT3_P12ihipStream_tbPNSt15iterator_traitsISN_E10value_typeEPNST_ISO_E10value_typeEPSP_NS1_7vsmem_tEENKUlT_SN_SO_SP_E_clIS8_S8_S9_S9_EESM_S12_SN_SO_SP_EUlS12_E_NS1_11comp_targetILNS1_3genE4ELNS1_11target_archE910ELNS1_3gpuE8ELNS1_3repE0EEENS1_48merge_mergepath_partition_config_static_selectorELNS0_4arch9wavefront6targetE1EEEvSO_
	.p2align	8
	.type	_ZN7rocprim17ROCPRIM_400000_NS6detail17trampoline_kernelINS0_14default_configENS1_38merge_sort_block_merge_config_selectorIlNS0_10empty_typeEEEZZNS1_27merge_sort_block_merge_implIS3_PlPS5_mZN2at6native12_GLOBAL__N_124unique_dim_cuda_templateIN3c108BFloat16EEESt5tupleIJNSA_6TensorESH_SH_EERKSH_lbbbEUlllE_EE10hipError_tT0_T1_T2_jT3_P12ihipStream_tbPNSt15iterator_traitsISN_E10value_typeEPNST_ISO_E10value_typeEPSP_NS1_7vsmem_tEENKUlT_SN_SO_SP_E_clIS8_S8_S9_S9_EESM_S12_SN_SO_SP_EUlS12_E_NS1_11comp_targetILNS1_3genE4ELNS1_11target_archE910ELNS1_3gpuE8ELNS1_3repE0EEENS1_48merge_mergepath_partition_config_static_selectorELNS0_4arch9wavefront6targetE1EEEvSO_,@function
_ZN7rocprim17ROCPRIM_400000_NS6detail17trampoline_kernelINS0_14default_configENS1_38merge_sort_block_merge_config_selectorIlNS0_10empty_typeEEEZZNS1_27merge_sort_block_merge_implIS3_PlPS5_mZN2at6native12_GLOBAL__N_124unique_dim_cuda_templateIN3c108BFloat16EEESt5tupleIJNSA_6TensorESH_SH_EERKSH_lbbbEUlllE_EE10hipError_tT0_T1_T2_jT3_P12ihipStream_tbPNSt15iterator_traitsISN_E10value_typeEPNST_ISO_E10value_typeEPSP_NS1_7vsmem_tEENKUlT_SN_SO_SP_E_clIS8_S8_S9_S9_EESM_S12_SN_SO_SP_EUlS12_E_NS1_11comp_targetILNS1_3genE4ELNS1_11target_archE910ELNS1_3gpuE8ELNS1_3repE0EEENS1_48merge_mergepath_partition_config_static_selectorELNS0_4arch9wavefront6targetE1EEEvSO_: ; @_ZN7rocprim17ROCPRIM_400000_NS6detail17trampoline_kernelINS0_14default_configENS1_38merge_sort_block_merge_config_selectorIlNS0_10empty_typeEEEZZNS1_27merge_sort_block_merge_implIS3_PlPS5_mZN2at6native12_GLOBAL__N_124unique_dim_cuda_templateIN3c108BFloat16EEESt5tupleIJNSA_6TensorESH_SH_EERKSH_lbbbEUlllE_EE10hipError_tT0_T1_T2_jT3_P12ihipStream_tbPNSt15iterator_traitsISN_E10value_typeEPNST_ISO_E10value_typeEPSP_NS1_7vsmem_tEENKUlT_SN_SO_SP_E_clIS8_S8_S9_S9_EESM_S12_SN_SO_SP_EUlS12_E_NS1_11comp_targetILNS1_3genE4ELNS1_11target_archE910ELNS1_3gpuE8ELNS1_3repE0EEENS1_48merge_mergepath_partition_config_static_selectorELNS0_4arch9wavefront6targetE1EEEvSO_
; %bb.0:
	s_load_dword s0, s[4:5], 0x0
	v_lshl_or_b32 v0, s6, 7, v0
	s_waitcnt lgkmcnt(0)
	v_cmp_gt_u32_e32 vcc, s0, v0
	s_and_saveexec_b64 s[0:1], vcc
	s_cbranch_execz .LBB1127_14
; %bb.1:
	s_load_dwordx4 s[0:3], s[4:5], 0x8
	s_load_dwordx8 s[8:15], s[4:5], 0x18
	v_mov_b32_e32 v5, 0
	s_waitcnt lgkmcnt(0)
	v_mov_b32_e32 v1, s0
	v_alignbit_b32 v1, s1, v1, 9
	v_and_b32_e32 v1, -2, v1
	v_add_u32_e32 v2, -1, v1
	v_sub_u32_e32 v1, 0, v1
	v_and_b32_e32 v4, v0, v1
	v_lshlrev_b64 v[8:9], 10, v[4:5]
	v_mov_b32_e32 v1, s3
	v_cmp_lt_u64_e32 vcc, s[2:3], v[8:9]
	v_mov_b32_e32 v4, s2
	v_and_b32_e32 v6, v2, v0
	v_cndmask_b32_e32 v3, v9, v1, vcc
	v_cndmask_b32_e32 v2, v8, v4, vcc
	v_mov_b32_e32 v7, s1
	v_add_co_u32_e32 v8, vcc, s0, v8
	v_addc_co_u32_e32 v9, vcc, v9, v7, vcc
	v_cmp_lt_u64_e32 vcc, s[2:3], v[8:9]
	v_cndmask_b32_e32 v8, v8, v4, vcc
	v_cndmask_b32_e32 v9, v9, v1, vcc
	v_add_co_u32_e32 v10, vcc, s0, v8
	v_addc_co_u32_e32 v11, vcc, v9, v7, vcc
	v_cmp_lt_u64_e32 vcc, s[2:3], v[10:11]
	v_cndmask_b32_e32 v12, v10, v4, vcc
	v_cndmask_b32_e32 v1, v11, v1, vcc
	v_sub_co_u32_e32 v10, vcc, v12, v2
	v_mov_b32_e32 v7, v5
	v_subb_co_u32_e32 v11, vcc, v1, v3, vcc
	v_lshlrev_b64 v[4:5], 10, v[6:7]
	v_cmp_lt_u64_e32 vcc, v[10:11], v[4:5]
	v_cndmask_b32_e32 v11, v5, v11, vcc
	v_cndmask_b32_e32 v10, v4, v10, vcc
	v_sub_co_u32_e32 v6, vcc, v8, v2
	v_subb_co_u32_e32 v7, vcc, v9, v3, vcc
	v_sub_co_u32_e32 v4, vcc, v8, v12
	v_subb_co_u32_e32 v1, vcc, v9, v1, vcc
	v_add_co_u32_e32 v4, vcc, v10, v4
	v_addc_co_u32_e32 v5, vcc, v11, v1, vcc
	v_cmp_gt_u64_e32 vcc, v[4:5], v[10:11]
	v_cndmask_b32_e64 v5, v5, 0, vcc
	v_cndmask_b32_e64 v4, v4, 0, vcc
	v_cmp_lt_u64_e32 vcc, v[10:11], v[6:7]
	v_cndmask_b32_e32 v7, v7, v11, vcc
	v_cndmask_b32_e32 v6, v6, v10, vcc
	v_cmp_lt_u64_e32 vcc, v[4:5], v[6:7]
	s_and_saveexec_b64 s[2:3], vcc
	s_cbranch_execz .LBB1127_13
; %bb.2:
	v_lshlrev_b64 v[12:13], 3, v[2:3]
	v_mov_b32_e32 v14, s9
	v_add_co_u32_e32 v1, vcc, s8, v12
	v_addc_co_u32_e32 v14, vcc, v14, v13, vcc
	v_lshlrev_b64 v[8:9], 3, v[8:9]
	v_mov_b32_e32 v12, s9
	v_add_co_u32_e32 v13, vcc, s8, v8
	v_addc_co_u32_e32 v12, vcc, v12, v9, vcc
	v_lshlrev_b64 v[8:9], 3, v[10:11]
	v_cmp_gt_i64_e64 s[0:1], s[10:11], 0
	v_add_co_u32_e32 v15, vcc, v13, v8
	v_cndmask_b32_e64 v8, 0, 1, s[0:1]
	s_mov_b64 s[4:5], 0
	v_addc_co_u32_e32 v16, vcc, v12, v9, vcc
	s_lshl_b64 s[6:7], s[10:11], 1
	v_cmp_ne_u32_e64 s[0:1], 1, v8
	s_branch .LBB1127_5
.LBB1127_3:                             ;   in Loop: Header=BB1127_5 Depth=1
	s_or_b64 exec, exec, s[16:17]
.LBB1127_4:                             ;   in Loop: Header=BB1127_5 Depth=1
	v_add_co_u32_e32 v10, vcc, 1, v8
	v_addc_co_u32_e32 v11, vcc, 0, v9, vcc
	v_cndmask_b32_e64 v7, v7, v9, s[8:9]
	v_cndmask_b32_e64 v6, v6, v8, s[8:9]
	;; [unrolled: 1-line block ×4, first 2 shown]
	v_cmp_ge_u64_e32 vcc, v[4:5], v[6:7]
	s_or_b64 s[4:5], vcc, s[4:5]
	s_andn2_b64 exec, exec, s[4:5]
	s_cbranch_execz .LBB1127_12
.LBB1127_5:                             ; =>This Loop Header: Depth=1
                                        ;     Child Loop BB1127_8 Depth 2
	v_add_co_u32_e32 v8, vcc, v6, v4
	v_addc_co_u32_e32 v9, vcc, v7, v5, vcc
	v_lshrrev_b64 v[8:9], 1, v[8:9]
	s_and_b64 vcc, exec, s[0:1]
	s_mov_b64 s[8:9], 0
	s_cbranch_vccnz .LBB1127_4
; %bb.6:                                ;   in Loop: Header=BB1127_5 Depth=1
	v_not_b32_e32 v11, v9
	v_not_b32_e32 v10, v8
	v_lshlrev_b64 v[10:11], 3, v[10:11]
	v_add_co_u32_e32 v10, vcc, v15, v10
	v_addc_co_u32_e32 v11, vcc, v16, v11, vcc
	v_lshlrev_b64 v[12:13], 3, v[8:9]
	v_add_co_u32_e32 v12, vcc, v1, v12
	v_addc_co_u32_e32 v13, vcc, v14, v13, vcc
	global_load_dwordx2 v[10:11], v[10:11], off
	v_pk_mov_b32 v[18:19], s[12:13], s[12:13] op_sel:[0,1]
	global_load_dwordx2 v[12:13], v[12:13], off
	s_mov_b64 s[16:17], 0
                                        ; implicit-def: $sgpr8_sgpr9
                                        ; implicit-def: $sgpr18_sgpr19
                                        ; implicit-def: $sgpr22_sgpr23
	s_waitcnt vmcnt(1)
	v_mul_lo_u32 v17, s6, v11
	v_mul_lo_u32 v20, s7, v10
	v_mad_u64_u32 v[10:11], s[20:21], s6, v10, v[18:19]
	s_waitcnt vmcnt(0)
	v_mul_lo_u32 v21, s6, v13
	v_mul_lo_u32 v22, s7, v12
	v_mad_u64_u32 v[12:13], s[20:21], s6, v12, v[18:19]
	v_add3_u32 v11, v20, v11, v17
	v_add3_u32 v13, v22, v13, v21
	s_mov_b64 s[20:21], s[10:11]
	s_branch .LBB1127_8
.LBB1127_7:                             ;   in Loop: Header=BB1127_8 Depth=2
	s_or_b64 exec, exec, s[28:29]
	s_and_b64 s[24:25], exec, s[24:25]
	s_or_b64 s[16:17], s[24:25], s[16:17]
	s_andn2_b64 s[8:9], s[8:9], exec
	s_and_b64 s[24:25], s[18:19], exec
	s_or_b64 s[8:9], s[8:9], s[24:25]
	s_andn2_b64 exec, exec, s[16:17]
	s_cbranch_execz .LBB1127_3
.LBB1127_8:                             ;   Parent Loop BB1127_5 Depth=1
                                        ; =>  This Inner Loop Header: Depth=2
	global_load_ushort v17, v[10:11], off
	global_load_ushort v18, v[12:13], off
	s_mov_b64 s[24:25], -1
	s_mov_b64 s[30:31], 0
	s_mov_b64 s[26:27], -1
	s_waitcnt vmcnt(1)
	v_lshlrev_b32_e32 v17, 16, v17
	s_waitcnt vmcnt(0)
	v_lshlrev_b32_e32 v18, 16, v18
	v_cmp_nlt_f32_e32 vcc, v17, v18
	s_and_saveexec_b64 s[28:29], vcc
; %bb.9:                                ;   in Loop: Header=BB1127_8 Depth=2
	v_cmp_ngt_f32_e32 vcc, v17, v18
	s_and_b64 s[22:23], vcc, s[22:23]
	s_orn2_b64 s[26:27], s[22:23], exec
	s_and_b64 s[30:31], vcc, exec
; %bb.10:                               ;   in Loop: Header=BB1127_8 Depth=2
	s_or_b64 exec, exec, s[28:29]
	s_andn2_b64 s[18:19], s[18:19], exec
	s_and_b64 s[22:23], s[26:27], exec
	s_or_b64 s[18:19], s[18:19], s[22:23]
                                        ; implicit-def: $sgpr22_sgpr23
	s_and_saveexec_b64 s[28:29], s[30:31]
	s_cbranch_execz .LBB1127_7
; %bb.11:                               ;   in Loop: Header=BB1127_8 Depth=2
	s_add_u32 s20, s20, -1
	v_add_co_u32_e32 v10, vcc, 2, v10
	s_addc_u32 s21, s21, -1
	v_addc_co_u32_e32 v11, vcc, 0, v11, vcc
	s_cmp_eq_u64 s[20:21], 0
	v_add_co_u32_e32 v12, vcc, 2, v12
	s_cselect_b64 s[24:25], -1, 0
	v_addc_co_u32_e32 v13, vcc, 0, v13, vcc
	s_andn2_b64 s[18:19], s[18:19], exec
	s_and_b64 s[22:23], s[26:27], exec
	s_orn2_b64 s[24:25], s[24:25], exec
	s_branch .LBB1127_7
.LBB1127_12:
	s_or_b64 exec, exec, s[4:5]
.LBB1127_13:
	s_or_b64 exec, exec, s[2:3]
	v_add_co_u32_e32 v2, vcc, v4, v2
	v_mov_b32_e32 v1, 0
	v_addc_co_u32_e32 v3, vcc, v5, v3, vcc
	v_lshlrev_b64 v[0:1], 3, v[0:1]
	v_mov_b32_e32 v4, s15
	v_add_co_u32_e32 v0, vcc, s14, v0
	v_addc_co_u32_e32 v1, vcc, v4, v1, vcc
	global_store_dwordx2 v[0:1], v[2:3], off
.LBB1127_14:
	s_endpgm
	.section	.rodata,"a",@progbits
	.p2align	6, 0x0
	.amdhsa_kernel _ZN7rocprim17ROCPRIM_400000_NS6detail17trampoline_kernelINS0_14default_configENS1_38merge_sort_block_merge_config_selectorIlNS0_10empty_typeEEEZZNS1_27merge_sort_block_merge_implIS3_PlPS5_mZN2at6native12_GLOBAL__N_124unique_dim_cuda_templateIN3c108BFloat16EEESt5tupleIJNSA_6TensorESH_SH_EERKSH_lbbbEUlllE_EE10hipError_tT0_T1_T2_jT3_P12ihipStream_tbPNSt15iterator_traitsISN_E10value_typeEPNST_ISO_E10value_typeEPSP_NS1_7vsmem_tEENKUlT_SN_SO_SP_E_clIS8_S8_S9_S9_EESM_S12_SN_SO_SP_EUlS12_E_NS1_11comp_targetILNS1_3genE4ELNS1_11target_archE910ELNS1_3gpuE8ELNS1_3repE0EEENS1_48merge_mergepath_partition_config_static_selectorELNS0_4arch9wavefront6targetE1EEEvSO_
		.amdhsa_group_segment_fixed_size 0
		.amdhsa_private_segment_fixed_size 0
		.amdhsa_kernarg_size 56
		.amdhsa_user_sgpr_count 6
		.amdhsa_user_sgpr_private_segment_buffer 1
		.amdhsa_user_sgpr_dispatch_ptr 0
		.amdhsa_user_sgpr_queue_ptr 0
		.amdhsa_user_sgpr_kernarg_segment_ptr 1
		.amdhsa_user_sgpr_dispatch_id 0
		.amdhsa_user_sgpr_flat_scratch_init 0
		.amdhsa_user_sgpr_kernarg_preload_length 0
		.amdhsa_user_sgpr_kernarg_preload_offset 0
		.amdhsa_user_sgpr_private_segment_size 0
		.amdhsa_uses_dynamic_stack 0
		.amdhsa_system_sgpr_private_segment_wavefront_offset 0
		.amdhsa_system_sgpr_workgroup_id_x 1
		.amdhsa_system_sgpr_workgroup_id_y 0
		.amdhsa_system_sgpr_workgroup_id_z 0
		.amdhsa_system_sgpr_workgroup_info 0
		.amdhsa_system_vgpr_workitem_id 0
		.amdhsa_next_free_vgpr 23
		.amdhsa_next_free_sgpr 32
		.amdhsa_accum_offset 24
		.amdhsa_reserve_vcc 1
		.amdhsa_reserve_flat_scratch 0
		.amdhsa_float_round_mode_32 0
		.amdhsa_float_round_mode_16_64 0
		.amdhsa_float_denorm_mode_32 3
		.amdhsa_float_denorm_mode_16_64 3
		.amdhsa_dx10_clamp 1
		.amdhsa_ieee_mode 1
		.amdhsa_fp16_overflow 0
		.amdhsa_tg_split 0
		.amdhsa_exception_fp_ieee_invalid_op 0
		.amdhsa_exception_fp_denorm_src 0
		.amdhsa_exception_fp_ieee_div_zero 0
		.amdhsa_exception_fp_ieee_overflow 0
		.amdhsa_exception_fp_ieee_underflow 0
		.amdhsa_exception_fp_ieee_inexact 0
		.amdhsa_exception_int_div_zero 0
	.end_amdhsa_kernel
	.section	.text._ZN7rocprim17ROCPRIM_400000_NS6detail17trampoline_kernelINS0_14default_configENS1_38merge_sort_block_merge_config_selectorIlNS0_10empty_typeEEEZZNS1_27merge_sort_block_merge_implIS3_PlPS5_mZN2at6native12_GLOBAL__N_124unique_dim_cuda_templateIN3c108BFloat16EEESt5tupleIJNSA_6TensorESH_SH_EERKSH_lbbbEUlllE_EE10hipError_tT0_T1_T2_jT3_P12ihipStream_tbPNSt15iterator_traitsISN_E10value_typeEPNST_ISO_E10value_typeEPSP_NS1_7vsmem_tEENKUlT_SN_SO_SP_E_clIS8_S8_S9_S9_EESM_S12_SN_SO_SP_EUlS12_E_NS1_11comp_targetILNS1_3genE4ELNS1_11target_archE910ELNS1_3gpuE8ELNS1_3repE0EEENS1_48merge_mergepath_partition_config_static_selectorELNS0_4arch9wavefront6targetE1EEEvSO_,"axG",@progbits,_ZN7rocprim17ROCPRIM_400000_NS6detail17trampoline_kernelINS0_14default_configENS1_38merge_sort_block_merge_config_selectorIlNS0_10empty_typeEEEZZNS1_27merge_sort_block_merge_implIS3_PlPS5_mZN2at6native12_GLOBAL__N_124unique_dim_cuda_templateIN3c108BFloat16EEESt5tupleIJNSA_6TensorESH_SH_EERKSH_lbbbEUlllE_EE10hipError_tT0_T1_T2_jT3_P12ihipStream_tbPNSt15iterator_traitsISN_E10value_typeEPNST_ISO_E10value_typeEPSP_NS1_7vsmem_tEENKUlT_SN_SO_SP_E_clIS8_S8_S9_S9_EESM_S12_SN_SO_SP_EUlS12_E_NS1_11comp_targetILNS1_3genE4ELNS1_11target_archE910ELNS1_3gpuE8ELNS1_3repE0EEENS1_48merge_mergepath_partition_config_static_selectorELNS0_4arch9wavefront6targetE1EEEvSO_,comdat
.Lfunc_end1127:
	.size	_ZN7rocprim17ROCPRIM_400000_NS6detail17trampoline_kernelINS0_14default_configENS1_38merge_sort_block_merge_config_selectorIlNS0_10empty_typeEEEZZNS1_27merge_sort_block_merge_implIS3_PlPS5_mZN2at6native12_GLOBAL__N_124unique_dim_cuda_templateIN3c108BFloat16EEESt5tupleIJNSA_6TensorESH_SH_EERKSH_lbbbEUlllE_EE10hipError_tT0_T1_T2_jT3_P12ihipStream_tbPNSt15iterator_traitsISN_E10value_typeEPNST_ISO_E10value_typeEPSP_NS1_7vsmem_tEENKUlT_SN_SO_SP_E_clIS8_S8_S9_S9_EESM_S12_SN_SO_SP_EUlS12_E_NS1_11comp_targetILNS1_3genE4ELNS1_11target_archE910ELNS1_3gpuE8ELNS1_3repE0EEENS1_48merge_mergepath_partition_config_static_selectorELNS0_4arch9wavefront6targetE1EEEvSO_, .Lfunc_end1127-_ZN7rocprim17ROCPRIM_400000_NS6detail17trampoline_kernelINS0_14default_configENS1_38merge_sort_block_merge_config_selectorIlNS0_10empty_typeEEEZZNS1_27merge_sort_block_merge_implIS3_PlPS5_mZN2at6native12_GLOBAL__N_124unique_dim_cuda_templateIN3c108BFloat16EEESt5tupleIJNSA_6TensorESH_SH_EERKSH_lbbbEUlllE_EE10hipError_tT0_T1_T2_jT3_P12ihipStream_tbPNSt15iterator_traitsISN_E10value_typeEPNST_ISO_E10value_typeEPSP_NS1_7vsmem_tEENKUlT_SN_SO_SP_E_clIS8_S8_S9_S9_EESM_S12_SN_SO_SP_EUlS12_E_NS1_11comp_targetILNS1_3genE4ELNS1_11target_archE910ELNS1_3gpuE8ELNS1_3repE0EEENS1_48merge_mergepath_partition_config_static_selectorELNS0_4arch9wavefront6targetE1EEEvSO_
                                        ; -- End function
	.section	.AMDGPU.csdata,"",@progbits
; Kernel info:
; codeLenInByte = 812
; NumSgprs: 36
; NumVgprs: 23
; NumAgprs: 0
; TotalNumVgprs: 23
; ScratchSize: 0
; MemoryBound: 0
; FloatMode: 240
; IeeeMode: 1
; LDSByteSize: 0 bytes/workgroup (compile time only)
; SGPRBlocks: 4
; VGPRBlocks: 2
; NumSGPRsForWavesPerEU: 36
; NumVGPRsForWavesPerEU: 23
; AccumOffset: 24
; Occupancy: 8
; WaveLimiterHint : 0
; COMPUTE_PGM_RSRC2:SCRATCH_EN: 0
; COMPUTE_PGM_RSRC2:USER_SGPR: 6
; COMPUTE_PGM_RSRC2:TRAP_HANDLER: 0
; COMPUTE_PGM_RSRC2:TGID_X_EN: 1
; COMPUTE_PGM_RSRC2:TGID_Y_EN: 0
; COMPUTE_PGM_RSRC2:TGID_Z_EN: 0
; COMPUTE_PGM_RSRC2:TIDIG_COMP_CNT: 0
; COMPUTE_PGM_RSRC3_GFX90A:ACCUM_OFFSET: 5
; COMPUTE_PGM_RSRC3_GFX90A:TG_SPLIT: 0
	.section	.text._ZN7rocprim17ROCPRIM_400000_NS6detail17trampoline_kernelINS0_14default_configENS1_38merge_sort_block_merge_config_selectorIlNS0_10empty_typeEEEZZNS1_27merge_sort_block_merge_implIS3_PlPS5_mZN2at6native12_GLOBAL__N_124unique_dim_cuda_templateIN3c108BFloat16EEESt5tupleIJNSA_6TensorESH_SH_EERKSH_lbbbEUlllE_EE10hipError_tT0_T1_T2_jT3_P12ihipStream_tbPNSt15iterator_traitsISN_E10value_typeEPNST_ISO_E10value_typeEPSP_NS1_7vsmem_tEENKUlT_SN_SO_SP_E_clIS8_S8_S9_S9_EESM_S12_SN_SO_SP_EUlS12_E_NS1_11comp_targetILNS1_3genE3ELNS1_11target_archE908ELNS1_3gpuE7ELNS1_3repE0EEENS1_48merge_mergepath_partition_config_static_selectorELNS0_4arch9wavefront6targetE1EEEvSO_,"axG",@progbits,_ZN7rocprim17ROCPRIM_400000_NS6detail17trampoline_kernelINS0_14default_configENS1_38merge_sort_block_merge_config_selectorIlNS0_10empty_typeEEEZZNS1_27merge_sort_block_merge_implIS3_PlPS5_mZN2at6native12_GLOBAL__N_124unique_dim_cuda_templateIN3c108BFloat16EEESt5tupleIJNSA_6TensorESH_SH_EERKSH_lbbbEUlllE_EE10hipError_tT0_T1_T2_jT3_P12ihipStream_tbPNSt15iterator_traitsISN_E10value_typeEPNST_ISO_E10value_typeEPSP_NS1_7vsmem_tEENKUlT_SN_SO_SP_E_clIS8_S8_S9_S9_EESM_S12_SN_SO_SP_EUlS12_E_NS1_11comp_targetILNS1_3genE3ELNS1_11target_archE908ELNS1_3gpuE7ELNS1_3repE0EEENS1_48merge_mergepath_partition_config_static_selectorELNS0_4arch9wavefront6targetE1EEEvSO_,comdat
	.globl	_ZN7rocprim17ROCPRIM_400000_NS6detail17trampoline_kernelINS0_14default_configENS1_38merge_sort_block_merge_config_selectorIlNS0_10empty_typeEEEZZNS1_27merge_sort_block_merge_implIS3_PlPS5_mZN2at6native12_GLOBAL__N_124unique_dim_cuda_templateIN3c108BFloat16EEESt5tupleIJNSA_6TensorESH_SH_EERKSH_lbbbEUlllE_EE10hipError_tT0_T1_T2_jT3_P12ihipStream_tbPNSt15iterator_traitsISN_E10value_typeEPNST_ISO_E10value_typeEPSP_NS1_7vsmem_tEENKUlT_SN_SO_SP_E_clIS8_S8_S9_S9_EESM_S12_SN_SO_SP_EUlS12_E_NS1_11comp_targetILNS1_3genE3ELNS1_11target_archE908ELNS1_3gpuE7ELNS1_3repE0EEENS1_48merge_mergepath_partition_config_static_selectorELNS0_4arch9wavefront6targetE1EEEvSO_ ; -- Begin function _ZN7rocprim17ROCPRIM_400000_NS6detail17trampoline_kernelINS0_14default_configENS1_38merge_sort_block_merge_config_selectorIlNS0_10empty_typeEEEZZNS1_27merge_sort_block_merge_implIS3_PlPS5_mZN2at6native12_GLOBAL__N_124unique_dim_cuda_templateIN3c108BFloat16EEESt5tupleIJNSA_6TensorESH_SH_EERKSH_lbbbEUlllE_EE10hipError_tT0_T1_T2_jT3_P12ihipStream_tbPNSt15iterator_traitsISN_E10value_typeEPNST_ISO_E10value_typeEPSP_NS1_7vsmem_tEENKUlT_SN_SO_SP_E_clIS8_S8_S9_S9_EESM_S12_SN_SO_SP_EUlS12_E_NS1_11comp_targetILNS1_3genE3ELNS1_11target_archE908ELNS1_3gpuE7ELNS1_3repE0EEENS1_48merge_mergepath_partition_config_static_selectorELNS0_4arch9wavefront6targetE1EEEvSO_
	.p2align	8
	.type	_ZN7rocprim17ROCPRIM_400000_NS6detail17trampoline_kernelINS0_14default_configENS1_38merge_sort_block_merge_config_selectorIlNS0_10empty_typeEEEZZNS1_27merge_sort_block_merge_implIS3_PlPS5_mZN2at6native12_GLOBAL__N_124unique_dim_cuda_templateIN3c108BFloat16EEESt5tupleIJNSA_6TensorESH_SH_EERKSH_lbbbEUlllE_EE10hipError_tT0_T1_T2_jT3_P12ihipStream_tbPNSt15iterator_traitsISN_E10value_typeEPNST_ISO_E10value_typeEPSP_NS1_7vsmem_tEENKUlT_SN_SO_SP_E_clIS8_S8_S9_S9_EESM_S12_SN_SO_SP_EUlS12_E_NS1_11comp_targetILNS1_3genE3ELNS1_11target_archE908ELNS1_3gpuE7ELNS1_3repE0EEENS1_48merge_mergepath_partition_config_static_selectorELNS0_4arch9wavefront6targetE1EEEvSO_,@function
_ZN7rocprim17ROCPRIM_400000_NS6detail17trampoline_kernelINS0_14default_configENS1_38merge_sort_block_merge_config_selectorIlNS0_10empty_typeEEEZZNS1_27merge_sort_block_merge_implIS3_PlPS5_mZN2at6native12_GLOBAL__N_124unique_dim_cuda_templateIN3c108BFloat16EEESt5tupleIJNSA_6TensorESH_SH_EERKSH_lbbbEUlllE_EE10hipError_tT0_T1_T2_jT3_P12ihipStream_tbPNSt15iterator_traitsISN_E10value_typeEPNST_ISO_E10value_typeEPSP_NS1_7vsmem_tEENKUlT_SN_SO_SP_E_clIS8_S8_S9_S9_EESM_S12_SN_SO_SP_EUlS12_E_NS1_11comp_targetILNS1_3genE3ELNS1_11target_archE908ELNS1_3gpuE7ELNS1_3repE0EEENS1_48merge_mergepath_partition_config_static_selectorELNS0_4arch9wavefront6targetE1EEEvSO_: ; @_ZN7rocprim17ROCPRIM_400000_NS6detail17trampoline_kernelINS0_14default_configENS1_38merge_sort_block_merge_config_selectorIlNS0_10empty_typeEEEZZNS1_27merge_sort_block_merge_implIS3_PlPS5_mZN2at6native12_GLOBAL__N_124unique_dim_cuda_templateIN3c108BFloat16EEESt5tupleIJNSA_6TensorESH_SH_EERKSH_lbbbEUlllE_EE10hipError_tT0_T1_T2_jT3_P12ihipStream_tbPNSt15iterator_traitsISN_E10value_typeEPNST_ISO_E10value_typeEPSP_NS1_7vsmem_tEENKUlT_SN_SO_SP_E_clIS8_S8_S9_S9_EESM_S12_SN_SO_SP_EUlS12_E_NS1_11comp_targetILNS1_3genE3ELNS1_11target_archE908ELNS1_3gpuE7ELNS1_3repE0EEENS1_48merge_mergepath_partition_config_static_selectorELNS0_4arch9wavefront6targetE1EEEvSO_
; %bb.0:
	.section	.rodata,"a",@progbits
	.p2align	6, 0x0
	.amdhsa_kernel _ZN7rocprim17ROCPRIM_400000_NS6detail17trampoline_kernelINS0_14default_configENS1_38merge_sort_block_merge_config_selectorIlNS0_10empty_typeEEEZZNS1_27merge_sort_block_merge_implIS3_PlPS5_mZN2at6native12_GLOBAL__N_124unique_dim_cuda_templateIN3c108BFloat16EEESt5tupleIJNSA_6TensorESH_SH_EERKSH_lbbbEUlllE_EE10hipError_tT0_T1_T2_jT3_P12ihipStream_tbPNSt15iterator_traitsISN_E10value_typeEPNST_ISO_E10value_typeEPSP_NS1_7vsmem_tEENKUlT_SN_SO_SP_E_clIS8_S8_S9_S9_EESM_S12_SN_SO_SP_EUlS12_E_NS1_11comp_targetILNS1_3genE3ELNS1_11target_archE908ELNS1_3gpuE7ELNS1_3repE0EEENS1_48merge_mergepath_partition_config_static_selectorELNS0_4arch9wavefront6targetE1EEEvSO_
		.amdhsa_group_segment_fixed_size 0
		.amdhsa_private_segment_fixed_size 0
		.amdhsa_kernarg_size 56
		.amdhsa_user_sgpr_count 6
		.amdhsa_user_sgpr_private_segment_buffer 1
		.amdhsa_user_sgpr_dispatch_ptr 0
		.amdhsa_user_sgpr_queue_ptr 0
		.amdhsa_user_sgpr_kernarg_segment_ptr 1
		.amdhsa_user_sgpr_dispatch_id 0
		.amdhsa_user_sgpr_flat_scratch_init 0
		.amdhsa_user_sgpr_kernarg_preload_length 0
		.amdhsa_user_sgpr_kernarg_preload_offset 0
		.amdhsa_user_sgpr_private_segment_size 0
		.amdhsa_uses_dynamic_stack 0
		.amdhsa_system_sgpr_private_segment_wavefront_offset 0
		.amdhsa_system_sgpr_workgroup_id_x 1
		.amdhsa_system_sgpr_workgroup_id_y 0
		.amdhsa_system_sgpr_workgroup_id_z 0
		.amdhsa_system_sgpr_workgroup_info 0
		.amdhsa_system_vgpr_workitem_id 0
		.amdhsa_next_free_vgpr 1
		.amdhsa_next_free_sgpr 0
		.amdhsa_accum_offset 4
		.amdhsa_reserve_vcc 0
		.amdhsa_reserve_flat_scratch 0
		.amdhsa_float_round_mode_32 0
		.amdhsa_float_round_mode_16_64 0
		.amdhsa_float_denorm_mode_32 3
		.amdhsa_float_denorm_mode_16_64 3
		.amdhsa_dx10_clamp 1
		.amdhsa_ieee_mode 1
		.amdhsa_fp16_overflow 0
		.amdhsa_tg_split 0
		.amdhsa_exception_fp_ieee_invalid_op 0
		.amdhsa_exception_fp_denorm_src 0
		.amdhsa_exception_fp_ieee_div_zero 0
		.amdhsa_exception_fp_ieee_overflow 0
		.amdhsa_exception_fp_ieee_underflow 0
		.amdhsa_exception_fp_ieee_inexact 0
		.amdhsa_exception_int_div_zero 0
	.end_amdhsa_kernel
	.section	.text._ZN7rocprim17ROCPRIM_400000_NS6detail17trampoline_kernelINS0_14default_configENS1_38merge_sort_block_merge_config_selectorIlNS0_10empty_typeEEEZZNS1_27merge_sort_block_merge_implIS3_PlPS5_mZN2at6native12_GLOBAL__N_124unique_dim_cuda_templateIN3c108BFloat16EEESt5tupleIJNSA_6TensorESH_SH_EERKSH_lbbbEUlllE_EE10hipError_tT0_T1_T2_jT3_P12ihipStream_tbPNSt15iterator_traitsISN_E10value_typeEPNST_ISO_E10value_typeEPSP_NS1_7vsmem_tEENKUlT_SN_SO_SP_E_clIS8_S8_S9_S9_EESM_S12_SN_SO_SP_EUlS12_E_NS1_11comp_targetILNS1_3genE3ELNS1_11target_archE908ELNS1_3gpuE7ELNS1_3repE0EEENS1_48merge_mergepath_partition_config_static_selectorELNS0_4arch9wavefront6targetE1EEEvSO_,"axG",@progbits,_ZN7rocprim17ROCPRIM_400000_NS6detail17trampoline_kernelINS0_14default_configENS1_38merge_sort_block_merge_config_selectorIlNS0_10empty_typeEEEZZNS1_27merge_sort_block_merge_implIS3_PlPS5_mZN2at6native12_GLOBAL__N_124unique_dim_cuda_templateIN3c108BFloat16EEESt5tupleIJNSA_6TensorESH_SH_EERKSH_lbbbEUlllE_EE10hipError_tT0_T1_T2_jT3_P12ihipStream_tbPNSt15iterator_traitsISN_E10value_typeEPNST_ISO_E10value_typeEPSP_NS1_7vsmem_tEENKUlT_SN_SO_SP_E_clIS8_S8_S9_S9_EESM_S12_SN_SO_SP_EUlS12_E_NS1_11comp_targetILNS1_3genE3ELNS1_11target_archE908ELNS1_3gpuE7ELNS1_3repE0EEENS1_48merge_mergepath_partition_config_static_selectorELNS0_4arch9wavefront6targetE1EEEvSO_,comdat
.Lfunc_end1128:
	.size	_ZN7rocprim17ROCPRIM_400000_NS6detail17trampoline_kernelINS0_14default_configENS1_38merge_sort_block_merge_config_selectorIlNS0_10empty_typeEEEZZNS1_27merge_sort_block_merge_implIS3_PlPS5_mZN2at6native12_GLOBAL__N_124unique_dim_cuda_templateIN3c108BFloat16EEESt5tupleIJNSA_6TensorESH_SH_EERKSH_lbbbEUlllE_EE10hipError_tT0_T1_T2_jT3_P12ihipStream_tbPNSt15iterator_traitsISN_E10value_typeEPNST_ISO_E10value_typeEPSP_NS1_7vsmem_tEENKUlT_SN_SO_SP_E_clIS8_S8_S9_S9_EESM_S12_SN_SO_SP_EUlS12_E_NS1_11comp_targetILNS1_3genE3ELNS1_11target_archE908ELNS1_3gpuE7ELNS1_3repE0EEENS1_48merge_mergepath_partition_config_static_selectorELNS0_4arch9wavefront6targetE1EEEvSO_, .Lfunc_end1128-_ZN7rocprim17ROCPRIM_400000_NS6detail17trampoline_kernelINS0_14default_configENS1_38merge_sort_block_merge_config_selectorIlNS0_10empty_typeEEEZZNS1_27merge_sort_block_merge_implIS3_PlPS5_mZN2at6native12_GLOBAL__N_124unique_dim_cuda_templateIN3c108BFloat16EEESt5tupleIJNSA_6TensorESH_SH_EERKSH_lbbbEUlllE_EE10hipError_tT0_T1_T2_jT3_P12ihipStream_tbPNSt15iterator_traitsISN_E10value_typeEPNST_ISO_E10value_typeEPSP_NS1_7vsmem_tEENKUlT_SN_SO_SP_E_clIS8_S8_S9_S9_EESM_S12_SN_SO_SP_EUlS12_E_NS1_11comp_targetILNS1_3genE3ELNS1_11target_archE908ELNS1_3gpuE7ELNS1_3repE0EEENS1_48merge_mergepath_partition_config_static_selectorELNS0_4arch9wavefront6targetE1EEEvSO_
                                        ; -- End function
	.section	.AMDGPU.csdata,"",@progbits
; Kernel info:
; codeLenInByte = 0
; NumSgprs: 4
; NumVgprs: 0
; NumAgprs: 0
; TotalNumVgprs: 0
; ScratchSize: 0
; MemoryBound: 0
; FloatMode: 240
; IeeeMode: 1
; LDSByteSize: 0 bytes/workgroup (compile time only)
; SGPRBlocks: 0
; VGPRBlocks: 0
; NumSGPRsForWavesPerEU: 4
; NumVGPRsForWavesPerEU: 1
; AccumOffset: 4
; Occupancy: 8
; WaveLimiterHint : 0
; COMPUTE_PGM_RSRC2:SCRATCH_EN: 0
; COMPUTE_PGM_RSRC2:USER_SGPR: 6
; COMPUTE_PGM_RSRC2:TRAP_HANDLER: 0
; COMPUTE_PGM_RSRC2:TGID_X_EN: 1
; COMPUTE_PGM_RSRC2:TGID_Y_EN: 0
; COMPUTE_PGM_RSRC2:TGID_Z_EN: 0
; COMPUTE_PGM_RSRC2:TIDIG_COMP_CNT: 0
; COMPUTE_PGM_RSRC3_GFX90A:ACCUM_OFFSET: 0
; COMPUTE_PGM_RSRC3_GFX90A:TG_SPLIT: 0
	.section	.text._ZN7rocprim17ROCPRIM_400000_NS6detail17trampoline_kernelINS0_14default_configENS1_38merge_sort_block_merge_config_selectorIlNS0_10empty_typeEEEZZNS1_27merge_sort_block_merge_implIS3_PlPS5_mZN2at6native12_GLOBAL__N_124unique_dim_cuda_templateIN3c108BFloat16EEESt5tupleIJNSA_6TensorESH_SH_EERKSH_lbbbEUlllE_EE10hipError_tT0_T1_T2_jT3_P12ihipStream_tbPNSt15iterator_traitsISN_E10value_typeEPNST_ISO_E10value_typeEPSP_NS1_7vsmem_tEENKUlT_SN_SO_SP_E_clIS8_S8_S9_S9_EESM_S12_SN_SO_SP_EUlS12_E_NS1_11comp_targetILNS1_3genE2ELNS1_11target_archE906ELNS1_3gpuE6ELNS1_3repE0EEENS1_48merge_mergepath_partition_config_static_selectorELNS0_4arch9wavefront6targetE1EEEvSO_,"axG",@progbits,_ZN7rocprim17ROCPRIM_400000_NS6detail17trampoline_kernelINS0_14default_configENS1_38merge_sort_block_merge_config_selectorIlNS0_10empty_typeEEEZZNS1_27merge_sort_block_merge_implIS3_PlPS5_mZN2at6native12_GLOBAL__N_124unique_dim_cuda_templateIN3c108BFloat16EEESt5tupleIJNSA_6TensorESH_SH_EERKSH_lbbbEUlllE_EE10hipError_tT0_T1_T2_jT3_P12ihipStream_tbPNSt15iterator_traitsISN_E10value_typeEPNST_ISO_E10value_typeEPSP_NS1_7vsmem_tEENKUlT_SN_SO_SP_E_clIS8_S8_S9_S9_EESM_S12_SN_SO_SP_EUlS12_E_NS1_11comp_targetILNS1_3genE2ELNS1_11target_archE906ELNS1_3gpuE6ELNS1_3repE0EEENS1_48merge_mergepath_partition_config_static_selectorELNS0_4arch9wavefront6targetE1EEEvSO_,comdat
	.globl	_ZN7rocprim17ROCPRIM_400000_NS6detail17trampoline_kernelINS0_14default_configENS1_38merge_sort_block_merge_config_selectorIlNS0_10empty_typeEEEZZNS1_27merge_sort_block_merge_implIS3_PlPS5_mZN2at6native12_GLOBAL__N_124unique_dim_cuda_templateIN3c108BFloat16EEESt5tupleIJNSA_6TensorESH_SH_EERKSH_lbbbEUlllE_EE10hipError_tT0_T1_T2_jT3_P12ihipStream_tbPNSt15iterator_traitsISN_E10value_typeEPNST_ISO_E10value_typeEPSP_NS1_7vsmem_tEENKUlT_SN_SO_SP_E_clIS8_S8_S9_S9_EESM_S12_SN_SO_SP_EUlS12_E_NS1_11comp_targetILNS1_3genE2ELNS1_11target_archE906ELNS1_3gpuE6ELNS1_3repE0EEENS1_48merge_mergepath_partition_config_static_selectorELNS0_4arch9wavefront6targetE1EEEvSO_ ; -- Begin function _ZN7rocprim17ROCPRIM_400000_NS6detail17trampoline_kernelINS0_14default_configENS1_38merge_sort_block_merge_config_selectorIlNS0_10empty_typeEEEZZNS1_27merge_sort_block_merge_implIS3_PlPS5_mZN2at6native12_GLOBAL__N_124unique_dim_cuda_templateIN3c108BFloat16EEESt5tupleIJNSA_6TensorESH_SH_EERKSH_lbbbEUlllE_EE10hipError_tT0_T1_T2_jT3_P12ihipStream_tbPNSt15iterator_traitsISN_E10value_typeEPNST_ISO_E10value_typeEPSP_NS1_7vsmem_tEENKUlT_SN_SO_SP_E_clIS8_S8_S9_S9_EESM_S12_SN_SO_SP_EUlS12_E_NS1_11comp_targetILNS1_3genE2ELNS1_11target_archE906ELNS1_3gpuE6ELNS1_3repE0EEENS1_48merge_mergepath_partition_config_static_selectorELNS0_4arch9wavefront6targetE1EEEvSO_
	.p2align	8
	.type	_ZN7rocprim17ROCPRIM_400000_NS6detail17trampoline_kernelINS0_14default_configENS1_38merge_sort_block_merge_config_selectorIlNS0_10empty_typeEEEZZNS1_27merge_sort_block_merge_implIS3_PlPS5_mZN2at6native12_GLOBAL__N_124unique_dim_cuda_templateIN3c108BFloat16EEESt5tupleIJNSA_6TensorESH_SH_EERKSH_lbbbEUlllE_EE10hipError_tT0_T1_T2_jT3_P12ihipStream_tbPNSt15iterator_traitsISN_E10value_typeEPNST_ISO_E10value_typeEPSP_NS1_7vsmem_tEENKUlT_SN_SO_SP_E_clIS8_S8_S9_S9_EESM_S12_SN_SO_SP_EUlS12_E_NS1_11comp_targetILNS1_3genE2ELNS1_11target_archE906ELNS1_3gpuE6ELNS1_3repE0EEENS1_48merge_mergepath_partition_config_static_selectorELNS0_4arch9wavefront6targetE1EEEvSO_,@function
_ZN7rocprim17ROCPRIM_400000_NS6detail17trampoline_kernelINS0_14default_configENS1_38merge_sort_block_merge_config_selectorIlNS0_10empty_typeEEEZZNS1_27merge_sort_block_merge_implIS3_PlPS5_mZN2at6native12_GLOBAL__N_124unique_dim_cuda_templateIN3c108BFloat16EEESt5tupleIJNSA_6TensorESH_SH_EERKSH_lbbbEUlllE_EE10hipError_tT0_T1_T2_jT3_P12ihipStream_tbPNSt15iterator_traitsISN_E10value_typeEPNST_ISO_E10value_typeEPSP_NS1_7vsmem_tEENKUlT_SN_SO_SP_E_clIS8_S8_S9_S9_EESM_S12_SN_SO_SP_EUlS12_E_NS1_11comp_targetILNS1_3genE2ELNS1_11target_archE906ELNS1_3gpuE6ELNS1_3repE0EEENS1_48merge_mergepath_partition_config_static_selectorELNS0_4arch9wavefront6targetE1EEEvSO_: ; @_ZN7rocprim17ROCPRIM_400000_NS6detail17trampoline_kernelINS0_14default_configENS1_38merge_sort_block_merge_config_selectorIlNS0_10empty_typeEEEZZNS1_27merge_sort_block_merge_implIS3_PlPS5_mZN2at6native12_GLOBAL__N_124unique_dim_cuda_templateIN3c108BFloat16EEESt5tupleIJNSA_6TensorESH_SH_EERKSH_lbbbEUlllE_EE10hipError_tT0_T1_T2_jT3_P12ihipStream_tbPNSt15iterator_traitsISN_E10value_typeEPNST_ISO_E10value_typeEPSP_NS1_7vsmem_tEENKUlT_SN_SO_SP_E_clIS8_S8_S9_S9_EESM_S12_SN_SO_SP_EUlS12_E_NS1_11comp_targetILNS1_3genE2ELNS1_11target_archE906ELNS1_3gpuE6ELNS1_3repE0EEENS1_48merge_mergepath_partition_config_static_selectorELNS0_4arch9wavefront6targetE1EEEvSO_
; %bb.0:
	.section	.rodata,"a",@progbits
	.p2align	6, 0x0
	.amdhsa_kernel _ZN7rocprim17ROCPRIM_400000_NS6detail17trampoline_kernelINS0_14default_configENS1_38merge_sort_block_merge_config_selectorIlNS0_10empty_typeEEEZZNS1_27merge_sort_block_merge_implIS3_PlPS5_mZN2at6native12_GLOBAL__N_124unique_dim_cuda_templateIN3c108BFloat16EEESt5tupleIJNSA_6TensorESH_SH_EERKSH_lbbbEUlllE_EE10hipError_tT0_T1_T2_jT3_P12ihipStream_tbPNSt15iterator_traitsISN_E10value_typeEPNST_ISO_E10value_typeEPSP_NS1_7vsmem_tEENKUlT_SN_SO_SP_E_clIS8_S8_S9_S9_EESM_S12_SN_SO_SP_EUlS12_E_NS1_11comp_targetILNS1_3genE2ELNS1_11target_archE906ELNS1_3gpuE6ELNS1_3repE0EEENS1_48merge_mergepath_partition_config_static_selectorELNS0_4arch9wavefront6targetE1EEEvSO_
		.amdhsa_group_segment_fixed_size 0
		.amdhsa_private_segment_fixed_size 0
		.amdhsa_kernarg_size 56
		.amdhsa_user_sgpr_count 6
		.amdhsa_user_sgpr_private_segment_buffer 1
		.amdhsa_user_sgpr_dispatch_ptr 0
		.amdhsa_user_sgpr_queue_ptr 0
		.amdhsa_user_sgpr_kernarg_segment_ptr 1
		.amdhsa_user_sgpr_dispatch_id 0
		.amdhsa_user_sgpr_flat_scratch_init 0
		.amdhsa_user_sgpr_kernarg_preload_length 0
		.amdhsa_user_sgpr_kernarg_preload_offset 0
		.amdhsa_user_sgpr_private_segment_size 0
		.amdhsa_uses_dynamic_stack 0
		.amdhsa_system_sgpr_private_segment_wavefront_offset 0
		.amdhsa_system_sgpr_workgroup_id_x 1
		.amdhsa_system_sgpr_workgroup_id_y 0
		.amdhsa_system_sgpr_workgroup_id_z 0
		.amdhsa_system_sgpr_workgroup_info 0
		.amdhsa_system_vgpr_workitem_id 0
		.amdhsa_next_free_vgpr 1
		.amdhsa_next_free_sgpr 0
		.amdhsa_accum_offset 4
		.amdhsa_reserve_vcc 0
		.amdhsa_reserve_flat_scratch 0
		.amdhsa_float_round_mode_32 0
		.amdhsa_float_round_mode_16_64 0
		.amdhsa_float_denorm_mode_32 3
		.amdhsa_float_denorm_mode_16_64 3
		.amdhsa_dx10_clamp 1
		.amdhsa_ieee_mode 1
		.amdhsa_fp16_overflow 0
		.amdhsa_tg_split 0
		.amdhsa_exception_fp_ieee_invalid_op 0
		.amdhsa_exception_fp_denorm_src 0
		.amdhsa_exception_fp_ieee_div_zero 0
		.amdhsa_exception_fp_ieee_overflow 0
		.amdhsa_exception_fp_ieee_underflow 0
		.amdhsa_exception_fp_ieee_inexact 0
		.amdhsa_exception_int_div_zero 0
	.end_amdhsa_kernel
	.section	.text._ZN7rocprim17ROCPRIM_400000_NS6detail17trampoline_kernelINS0_14default_configENS1_38merge_sort_block_merge_config_selectorIlNS0_10empty_typeEEEZZNS1_27merge_sort_block_merge_implIS3_PlPS5_mZN2at6native12_GLOBAL__N_124unique_dim_cuda_templateIN3c108BFloat16EEESt5tupleIJNSA_6TensorESH_SH_EERKSH_lbbbEUlllE_EE10hipError_tT0_T1_T2_jT3_P12ihipStream_tbPNSt15iterator_traitsISN_E10value_typeEPNST_ISO_E10value_typeEPSP_NS1_7vsmem_tEENKUlT_SN_SO_SP_E_clIS8_S8_S9_S9_EESM_S12_SN_SO_SP_EUlS12_E_NS1_11comp_targetILNS1_3genE2ELNS1_11target_archE906ELNS1_3gpuE6ELNS1_3repE0EEENS1_48merge_mergepath_partition_config_static_selectorELNS0_4arch9wavefront6targetE1EEEvSO_,"axG",@progbits,_ZN7rocprim17ROCPRIM_400000_NS6detail17trampoline_kernelINS0_14default_configENS1_38merge_sort_block_merge_config_selectorIlNS0_10empty_typeEEEZZNS1_27merge_sort_block_merge_implIS3_PlPS5_mZN2at6native12_GLOBAL__N_124unique_dim_cuda_templateIN3c108BFloat16EEESt5tupleIJNSA_6TensorESH_SH_EERKSH_lbbbEUlllE_EE10hipError_tT0_T1_T2_jT3_P12ihipStream_tbPNSt15iterator_traitsISN_E10value_typeEPNST_ISO_E10value_typeEPSP_NS1_7vsmem_tEENKUlT_SN_SO_SP_E_clIS8_S8_S9_S9_EESM_S12_SN_SO_SP_EUlS12_E_NS1_11comp_targetILNS1_3genE2ELNS1_11target_archE906ELNS1_3gpuE6ELNS1_3repE0EEENS1_48merge_mergepath_partition_config_static_selectorELNS0_4arch9wavefront6targetE1EEEvSO_,comdat
.Lfunc_end1129:
	.size	_ZN7rocprim17ROCPRIM_400000_NS6detail17trampoline_kernelINS0_14default_configENS1_38merge_sort_block_merge_config_selectorIlNS0_10empty_typeEEEZZNS1_27merge_sort_block_merge_implIS3_PlPS5_mZN2at6native12_GLOBAL__N_124unique_dim_cuda_templateIN3c108BFloat16EEESt5tupleIJNSA_6TensorESH_SH_EERKSH_lbbbEUlllE_EE10hipError_tT0_T1_T2_jT3_P12ihipStream_tbPNSt15iterator_traitsISN_E10value_typeEPNST_ISO_E10value_typeEPSP_NS1_7vsmem_tEENKUlT_SN_SO_SP_E_clIS8_S8_S9_S9_EESM_S12_SN_SO_SP_EUlS12_E_NS1_11comp_targetILNS1_3genE2ELNS1_11target_archE906ELNS1_3gpuE6ELNS1_3repE0EEENS1_48merge_mergepath_partition_config_static_selectorELNS0_4arch9wavefront6targetE1EEEvSO_, .Lfunc_end1129-_ZN7rocprim17ROCPRIM_400000_NS6detail17trampoline_kernelINS0_14default_configENS1_38merge_sort_block_merge_config_selectorIlNS0_10empty_typeEEEZZNS1_27merge_sort_block_merge_implIS3_PlPS5_mZN2at6native12_GLOBAL__N_124unique_dim_cuda_templateIN3c108BFloat16EEESt5tupleIJNSA_6TensorESH_SH_EERKSH_lbbbEUlllE_EE10hipError_tT0_T1_T2_jT3_P12ihipStream_tbPNSt15iterator_traitsISN_E10value_typeEPNST_ISO_E10value_typeEPSP_NS1_7vsmem_tEENKUlT_SN_SO_SP_E_clIS8_S8_S9_S9_EESM_S12_SN_SO_SP_EUlS12_E_NS1_11comp_targetILNS1_3genE2ELNS1_11target_archE906ELNS1_3gpuE6ELNS1_3repE0EEENS1_48merge_mergepath_partition_config_static_selectorELNS0_4arch9wavefront6targetE1EEEvSO_
                                        ; -- End function
	.section	.AMDGPU.csdata,"",@progbits
; Kernel info:
; codeLenInByte = 0
; NumSgprs: 4
; NumVgprs: 0
; NumAgprs: 0
; TotalNumVgprs: 0
; ScratchSize: 0
; MemoryBound: 0
; FloatMode: 240
; IeeeMode: 1
; LDSByteSize: 0 bytes/workgroup (compile time only)
; SGPRBlocks: 0
; VGPRBlocks: 0
; NumSGPRsForWavesPerEU: 4
; NumVGPRsForWavesPerEU: 1
; AccumOffset: 4
; Occupancy: 8
; WaveLimiterHint : 0
; COMPUTE_PGM_RSRC2:SCRATCH_EN: 0
; COMPUTE_PGM_RSRC2:USER_SGPR: 6
; COMPUTE_PGM_RSRC2:TRAP_HANDLER: 0
; COMPUTE_PGM_RSRC2:TGID_X_EN: 1
; COMPUTE_PGM_RSRC2:TGID_Y_EN: 0
; COMPUTE_PGM_RSRC2:TGID_Z_EN: 0
; COMPUTE_PGM_RSRC2:TIDIG_COMP_CNT: 0
; COMPUTE_PGM_RSRC3_GFX90A:ACCUM_OFFSET: 0
; COMPUTE_PGM_RSRC3_GFX90A:TG_SPLIT: 0
	.section	.text._ZN7rocprim17ROCPRIM_400000_NS6detail17trampoline_kernelINS0_14default_configENS1_38merge_sort_block_merge_config_selectorIlNS0_10empty_typeEEEZZNS1_27merge_sort_block_merge_implIS3_PlPS5_mZN2at6native12_GLOBAL__N_124unique_dim_cuda_templateIN3c108BFloat16EEESt5tupleIJNSA_6TensorESH_SH_EERKSH_lbbbEUlllE_EE10hipError_tT0_T1_T2_jT3_P12ihipStream_tbPNSt15iterator_traitsISN_E10value_typeEPNST_ISO_E10value_typeEPSP_NS1_7vsmem_tEENKUlT_SN_SO_SP_E_clIS8_S8_S9_S9_EESM_S12_SN_SO_SP_EUlS12_E_NS1_11comp_targetILNS1_3genE9ELNS1_11target_archE1100ELNS1_3gpuE3ELNS1_3repE0EEENS1_48merge_mergepath_partition_config_static_selectorELNS0_4arch9wavefront6targetE1EEEvSO_,"axG",@progbits,_ZN7rocprim17ROCPRIM_400000_NS6detail17trampoline_kernelINS0_14default_configENS1_38merge_sort_block_merge_config_selectorIlNS0_10empty_typeEEEZZNS1_27merge_sort_block_merge_implIS3_PlPS5_mZN2at6native12_GLOBAL__N_124unique_dim_cuda_templateIN3c108BFloat16EEESt5tupleIJNSA_6TensorESH_SH_EERKSH_lbbbEUlllE_EE10hipError_tT0_T1_T2_jT3_P12ihipStream_tbPNSt15iterator_traitsISN_E10value_typeEPNST_ISO_E10value_typeEPSP_NS1_7vsmem_tEENKUlT_SN_SO_SP_E_clIS8_S8_S9_S9_EESM_S12_SN_SO_SP_EUlS12_E_NS1_11comp_targetILNS1_3genE9ELNS1_11target_archE1100ELNS1_3gpuE3ELNS1_3repE0EEENS1_48merge_mergepath_partition_config_static_selectorELNS0_4arch9wavefront6targetE1EEEvSO_,comdat
	.globl	_ZN7rocprim17ROCPRIM_400000_NS6detail17trampoline_kernelINS0_14default_configENS1_38merge_sort_block_merge_config_selectorIlNS0_10empty_typeEEEZZNS1_27merge_sort_block_merge_implIS3_PlPS5_mZN2at6native12_GLOBAL__N_124unique_dim_cuda_templateIN3c108BFloat16EEESt5tupleIJNSA_6TensorESH_SH_EERKSH_lbbbEUlllE_EE10hipError_tT0_T1_T2_jT3_P12ihipStream_tbPNSt15iterator_traitsISN_E10value_typeEPNST_ISO_E10value_typeEPSP_NS1_7vsmem_tEENKUlT_SN_SO_SP_E_clIS8_S8_S9_S9_EESM_S12_SN_SO_SP_EUlS12_E_NS1_11comp_targetILNS1_3genE9ELNS1_11target_archE1100ELNS1_3gpuE3ELNS1_3repE0EEENS1_48merge_mergepath_partition_config_static_selectorELNS0_4arch9wavefront6targetE1EEEvSO_ ; -- Begin function _ZN7rocprim17ROCPRIM_400000_NS6detail17trampoline_kernelINS0_14default_configENS1_38merge_sort_block_merge_config_selectorIlNS0_10empty_typeEEEZZNS1_27merge_sort_block_merge_implIS3_PlPS5_mZN2at6native12_GLOBAL__N_124unique_dim_cuda_templateIN3c108BFloat16EEESt5tupleIJNSA_6TensorESH_SH_EERKSH_lbbbEUlllE_EE10hipError_tT0_T1_T2_jT3_P12ihipStream_tbPNSt15iterator_traitsISN_E10value_typeEPNST_ISO_E10value_typeEPSP_NS1_7vsmem_tEENKUlT_SN_SO_SP_E_clIS8_S8_S9_S9_EESM_S12_SN_SO_SP_EUlS12_E_NS1_11comp_targetILNS1_3genE9ELNS1_11target_archE1100ELNS1_3gpuE3ELNS1_3repE0EEENS1_48merge_mergepath_partition_config_static_selectorELNS0_4arch9wavefront6targetE1EEEvSO_
	.p2align	8
	.type	_ZN7rocprim17ROCPRIM_400000_NS6detail17trampoline_kernelINS0_14default_configENS1_38merge_sort_block_merge_config_selectorIlNS0_10empty_typeEEEZZNS1_27merge_sort_block_merge_implIS3_PlPS5_mZN2at6native12_GLOBAL__N_124unique_dim_cuda_templateIN3c108BFloat16EEESt5tupleIJNSA_6TensorESH_SH_EERKSH_lbbbEUlllE_EE10hipError_tT0_T1_T2_jT3_P12ihipStream_tbPNSt15iterator_traitsISN_E10value_typeEPNST_ISO_E10value_typeEPSP_NS1_7vsmem_tEENKUlT_SN_SO_SP_E_clIS8_S8_S9_S9_EESM_S12_SN_SO_SP_EUlS12_E_NS1_11comp_targetILNS1_3genE9ELNS1_11target_archE1100ELNS1_3gpuE3ELNS1_3repE0EEENS1_48merge_mergepath_partition_config_static_selectorELNS0_4arch9wavefront6targetE1EEEvSO_,@function
_ZN7rocprim17ROCPRIM_400000_NS6detail17trampoline_kernelINS0_14default_configENS1_38merge_sort_block_merge_config_selectorIlNS0_10empty_typeEEEZZNS1_27merge_sort_block_merge_implIS3_PlPS5_mZN2at6native12_GLOBAL__N_124unique_dim_cuda_templateIN3c108BFloat16EEESt5tupleIJNSA_6TensorESH_SH_EERKSH_lbbbEUlllE_EE10hipError_tT0_T1_T2_jT3_P12ihipStream_tbPNSt15iterator_traitsISN_E10value_typeEPNST_ISO_E10value_typeEPSP_NS1_7vsmem_tEENKUlT_SN_SO_SP_E_clIS8_S8_S9_S9_EESM_S12_SN_SO_SP_EUlS12_E_NS1_11comp_targetILNS1_3genE9ELNS1_11target_archE1100ELNS1_3gpuE3ELNS1_3repE0EEENS1_48merge_mergepath_partition_config_static_selectorELNS0_4arch9wavefront6targetE1EEEvSO_: ; @_ZN7rocprim17ROCPRIM_400000_NS6detail17trampoline_kernelINS0_14default_configENS1_38merge_sort_block_merge_config_selectorIlNS0_10empty_typeEEEZZNS1_27merge_sort_block_merge_implIS3_PlPS5_mZN2at6native12_GLOBAL__N_124unique_dim_cuda_templateIN3c108BFloat16EEESt5tupleIJNSA_6TensorESH_SH_EERKSH_lbbbEUlllE_EE10hipError_tT0_T1_T2_jT3_P12ihipStream_tbPNSt15iterator_traitsISN_E10value_typeEPNST_ISO_E10value_typeEPSP_NS1_7vsmem_tEENKUlT_SN_SO_SP_E_clIS8_S8_S9_S9_EESM_S12_SN_SO_SP_EUlS12_E_NS1_11comp_targetILNS1_3genE9ELNS1_11target_archE1100ELNS1_3gpuE3ELNS1_3repE0EEENS1_48merge_mergepath_partition_config_static_selectorELNS0_4arch9wavefront6targetE1EEEvSO_
; %bb.0:
	.section	.rodata,"a",@progbits
	.p2align	6, 0x0
	.amdhsa_kernel _ZN7rocprim17ROCPRIM_400000_NS6detail17trampoline_kernelINS0_14default_configENS1_38merge_sort_block_merge_config_selectorIlNS0_10empty_typeEEEZZNS1_27merge_sort_block_merge_implIS3_PlPS5_mZN2at6native12_GLOBAL__N_124unique_dim_cuda_templateIN3c108BFloat16EEESt5tupleIJNSA_6TensorESH_SH_EERKSH_lbbbEUlllE_EE10hipError_tT0_T1_T2_jT3_P12ihipStream_tbPNSt15iterator_traitsISN_E10value_typeEPNST_ISO_E10value_typeEPSP_NS1_7vsmem_tEENKUlT_SN_SO_SP_E_clIS8_S8_S9_S9_EESM_S12_SN_SO_SP_EUlS12_E_NS1_11comp_targetILNS1_3genE9ELNS1_11target_archE1100ELNS1_3gpuE3ELNS1_3repE0EEENS1_48merge_mergepath_partition_config_static_selectorELNS0_4arch9wavefront6targetE1EEEvSO_
		.amdhsa_group_segment_fixed_size 0
		.amdhsa_private_segment_fixed_size 0
		.amdhsa_kernarg_size 56
		.amdhsa_user_sgpr_count 6
		.amdhsa_user_sgpr_private_segment_buffer 1
		.amdhsa_user_sgpr_dispatch_ptr 0
		.amdhsa_user_sgpr_queue_ptr 0
		.amdhsa_user_sgpr_kernarg_segment_ptr 1
		.amdhsa_user_sgpr_dispatch_id 0
		.amdhsa_user_sgpr_flat_scratch_init 0
		.amdhsa_user_sgpr_kernarg_preload_length 0
		.amdhsa_user_sgpr_kernarg_preload_offset 0
		.amdhsa_user_sgpr_private_segment_size 0
		.amdhsa_uses_dynamic_stack 0
		.amdhsa_system_sgpr_private_segment_wavefront_offset 0
		.amdhsa_system_sgpr_workgroup_id_x 1
		.amdhsa_system_sgpr_workgroup_id_y 0
		.amdhsa_system_sgpr_workgroup_id_z 0
		.amdhsa_system_sgpr_workgroup_info 0
		.amdhsa_system_vgpr_workitem_id 0
		.amdhsa_next_free_vgpr 1
		.amdhsa_next_free_sgpr 0
		.amdhsa_accum_offset 4
		.amdhsa_reserve_vcc 0
		.amdhsa_reserve_flat_scratch 0
		.amdhsa_float_round_mode_32 0
		.amdhsa_float_round_mode_16_64 0
		.amdhsa_float_denorm_mode_32 3
		.amdhsa_float_denorm_mode_16_64 3
		.amdhsa_dx10_clamp 1
		.amdhsa_ieee_mode 1
		.amdhsa_fp16_overflow 0
		.amdhsa_tg_split 0
		.amdhsa_exception_fp_ieee_invalid_op 0
		.amdhsa_exception_fp_denorm_src 0
		.amdhsa_exception_fp_ieee_div_zero 0
		.amdhsa_exception_fp_ieee_overflow 0
		.amdhsa_exception_fp_ieee_underflow 0
		.amdhsa_exception_fp_ieee_inexact 0
		.amdhsa_exception_int_div_zero 0
	.end_amdhsa_kernel
	.section	.text._ZN7rocprim17ROCPRIM_400000_NS6detail17trampoline_kernelINS0_14default_configENS1_38merge_sort_block_merge_config_selectorIlNS0_10empty_typeEEEZZNS1_27merge_sort_block_merge_implIS3_PlPS5_mZN2at6native12_GLOBAL__N_124unique_dim_cuda_templateIN3c108BFloat16EEESt5tupleIJNSA_6TensorESH_SH_EERKSH_lbbbEUlllE_EE10hipError_tT0_T1_T2_jT3_P12ihipStream_tbPNSt15iterator_traitsISN_E10value_typeEPNST_ISO_E10value_typeEPSP_NS1_7vsmem_tEENKUlT_SN_SO_SP_E_clIS8_S8_S9_S9_EESM_S12_SN_SO_SP_EUlS12_E_NS1_11comp_targetILNS1_3genE9ELNS1_11target_archE1100ELNS1_3gpuE3ELNS1_3repE0EEENS1_48merge_mergepath_partition_config_static_selectorELNS0_4arch9wavefront6targetE1EEEvSO_,"axG",@progbits,_ZN7rocprim17ROCPRIM_400000_NS6detail17trampoline_kernelINS0_14default_configENS1_38merge_sort_block_merge_config_selectorIlNS0_10empty_typeEEEZZNS1_27merge_sort_block_merge_implIS3_PlPS5_mZN2at6native12_GLOBAL__N_124unique_dim_cuda_templateIN3c108BFloat16EEESt5tupleIJNSA_6TensorESH_SH_EERKSH_lbbbEUlllE_EE10hipError_tT0_T1_T2_jT3_P12ihipStream_tbPNSt15iterator_traitsISN_E10value_typeEPNST_ISO_E10value_typeEPSP_NS1_7vsmem_tEENKUlT_SN_SO_SP_E_clIS8_S8_S9_S9_EESM_S12_SN_SO_SP_EUlS12_E_NS1_11comp_targetILNS1_3genE9ELNS1_11target_archE1100ELNS1_3gpuE3ELNS1_3repE0EEENS1_48merge_mergepath_partition_config_static_selectorELNS0_4arch9wavefront6targetE1EEEvSO_,comdat
.Lfunc_end1130:
	.size	_ZN7rocprim17ROCPRIM_400000_NS6detail17trampoline_kernelINS0_14default_configENS1_38merge_sort_block_merge_config_selectorIlNS0_10empty_typeEEEZZNS1_27merge_sort_block_merge_implIS3_PlPS5_mZN2at6native12_GLOBAL__N_124unique_dim_cuda_templateIN3c108BFloat16EEESt5tupleIJNSA_6TensorESH_SH_EERKSH_lbbbEUlllE_EE10hipError_tT0_T1_T2_jT3_P12ihipStream_tbPNSt15iterator_traitsISN_E10value_typeEPNST_ISO_E10value_typeEPSP_NS1_7vsmem_tEENKUlT_SN_SO_SP_E_clIS8_S8_S9_S9_EESM_S12_SN_SO_SP_EUlS12_E_NS1_11comp_targetILNS1_3genE9ELNS1_11target_archE1100ELNS1_3gpuE3ELNS1_3repE0EEENS1_48merge_mergepath_partition_config_static_selectorELNS0_4arch9wavefront6targetE1EEEvSO_, .Lfunc_end1130-_ZN7rocprim17ROCPRIM_400000_NS6detail17trampoline_kernelINS0_14default_configENS1_38merge_sort_block_merge_config_selectorIlNS0_10empty_typeEEEZZNS1_27merge_sort_block_merge_implIS3_PlPS5_mZN2at6native12_GLOBAL__N_124unique_dim_cuda_templateIN3c108BFloat16EEESt5tupleIJNSA_6TensorESH_SH_EERKSH_lbbbEUlllE_EE10hipError_tT0_T1_T2_jT3_P12ihipStream_tbPNSt15iterator_traitsISN_E10value_typeEPNST_ISO_E10value_typeEPSP_NS1_7vsmem_tEENKUlT_SN_SO_SP_E_clIS8_S8_S9_S9_EESM_S12_SN_SO_SP_EUlS12_E_NS1_11comp_targetILNS1_3genE9ELNS1_11target_archE1100ELNS1_3gpuE3ELNS1_3repE0EEENS1_48merge_mergepath_partition_config_static_selectorELNS0_4arch9wavefront6targetE1EEEvSO_
                                        ; -- End function
	.section	.AMDGPU.csdata,"",@progbits
; Kernel info:
; codeLenInByte = 0
; NumSgprs: 4
; NumVgprs: 0
; NumAgprs: 0
; TotalNumVgprs: 0
; ScratchSize: 0
; MemoryBound: 0
; FloatMode: 240
; IeeeMode: 1
; LDSByteSize: 0 bytes/workgroup (compile time only)
; SGPRBlocks: 0
; VGPRBlocks: 0
; NumSGPRsForWavesPerEU: 4
; NumVGPRsForWavesPerEU: 1
; AccumOffset: 4
; Occupancy: 8
; WaveLimiterHint : 0
; COMPUTE_PGM_RSRC2:SCRATCH_EN: 0
; COMPUTE_PGM_RSRC2:USER_SGPR: 6
; COMPUTE_PGM_RSRC2:TRAP_HANDLER: 0
; COMPUTE_PGM_RSRC2:TGID_X_EN: 1
; COMPUTE_PGM_RSRC2:TGID_Y_EN: 0
; COMPUTE_PGM_RSRC2:TGID_Z_EN: 0
; COMPUTE_PGM_RSRC2:TIDIG_COMP_CNT: 0
; COMPUTE_PGM_RSRC3_GFX90A:ACCUM_OFFSET: 0
; COMPUTE_PGM_RSRC3_GFX90A:TG_SPLIT: 0
	.section	.text._ZN7rocprim17ROCPRIM_400000_NS6detail17trampoline_kernelINS0_14default_configENS1_38merge_sort_block_merge_config_selectorIlNS0_10empty_typeEEEZZNS1_27merge_sort_block_merge_implIS3_PlPS5_mZN2at6native12_GLOBAL__N_124unique_dim_cuda_templateIN3c108BFloat16EEESt5tupleIJNSA_6TensorESH_SH_EERKSH_lbbbEUlllE_EE10hipError_tT0_T1_T2_jT3_P12ihipStream_tbPNSt15iterator_traitsISN_E10value_typeEPNST_ISO_E10value_typeEPSP_NS1_7vsmem_tEENKUlT_SN_SO_SP_E_clIS8_S8_S9_S9_EESM_S12_SN_SO_SP_EUlS12_E_NS1_11comp_targetILNS1_3genE8ELNS1_11target_archE1030ELNS1_3gpuE2ELNS1_3repE0EEENS1_48merge_mergepath_partition_config_static_selectorELNS0_4arch9wavefront6targetE1EEEvSO_,"axG",@progbits,_ZN7rocprim17ROCPRIM_400000_NS6detail17trampoline_kernelINS0_14default_configENS1_38merge_sort_block_merge_config_selectorIlNS0_10empty_typeEEEZZNS1_27merge_sort_block_merge_implIS3_PlPS5_mZN2at6native12_GLOBAL__N_124unique_dim_cuda_templateIN3c108BFloat16EEESt5tupleIJNSA_6TensorESH_SH_EERKSH_lbbbEUlllE_EE10hipError_tT0_T1_T2_jT3_P12ihipStream_tbPNSt15iterator_traitsISN_E10value_typeEPNST_ISO_E10value_typeEPSP_NS1_7vsmem_tEENKUlT_SN_SO_SP_E_clIS8_S8_S9_S9_EESM_S12_SN_SO_SP_EUlS12_E_NS1_11comp_targetILNS1_3genE8ELNS1_11target_archE1030ELNS1_3gpuE2ELNS1_3repE0EEENS1_48merge_mergepath_partition_config_static_selectorELNS0_4arch9wavefront6targetE1EEEvSO_,comdat
	.globl	_ZN7rocprim17ROCPRIM_400000_NS6detail17trampoline_kernelINS0_14default_configENS1_38merge_sort_block_merge_config_selectorIlNS0_10empty_typeEEEZZNS1_27merge_sort_block_merge_implIS3_PlPS5_mZN2at6native12_GLOBAL__N_124unique_dim_cuda_templateIN3c108BFloat16EEESt5tupleIJNSA_6TensorESH_SH_EERKSH_lbbbEUlllE_EE10hipError_tT0_T1_T2_jT3_P12ihipStream_tbPNSt15iterator_traitsISN_E10value_typeEPNST_ISO_E10value_typeEPSP_NS1_7vsmem_tEENKUlT_SN_SO_SP_E_clIS8_S8_S9_S9_EESM_S12_SN_SO_SP_EUlS12_E_NS1_11comp_targetILNS1_3genE8ELNS1_11target_archE1030ELNS1_3gpuE2ELNS1_3repE0EEENS1_48merge_mergepath_partition_config_static_selectorELNS0_4arch9wavefront6targetE1EEEvSO_ ; -- Begin function _ZN7rocprim17ROCPRIM_400000_NS6detail17trampoline_kernelINS0_14default_configENS1_38merge_sort_block_merge_config_selectorIlNS0_10empty_typeEEEZZNS1_27merge_sort_block_merge_implIS3_PlPS5_mZN2at6native12_GLOBAL__N_124unique_dim_cuda_templateIN3c108BFloat16EEESt5tupleIJNSA_6TensorESH_SH_EERKSH_lbbbEUlllE_EE10hipError_tT0_T1_T2_jT3_P12ihipStream_tbPNSt15iterator_traitsISN_E10value_typeEPNST_ISO_E10value_typeEPSP_NS1_7vsmem_tEENKUlT_SN_SO_SP_E_clIS8_S8_S9_S9_EESM_S12_SN_SO_SP_EUlS12_E_NS1_11comp_targetILNS1_3genE8ELNS1_11target_archE1030ELNS1_3gpuE2ELNS1_3repE0EEENS1_48merge_mergepath_partition_config_static_selectorELNS0_4arch9wavefront6targetE1EEEvSO_
	.p2align	8
	.type	_ZN7rocprim17ROCPRIM_400000_NS6detail17trampoline_kernelINS0_14default_configENS1_38merge_sort_block_merge_config_selectorIlNS0_10empty_typeEEEZZNS1_27merge_sort_block_merge_implIS3_PlPS5_mZN2at6native12_GLOBAL__N_124unique_dim_cuda_templateIN3c108BFloat16EEESt5tupleIJNSA_6TensorESH_SH_EERKSH_lbbbEUlllE_EE10hipError_tT0_T1_T2_jT3_P12ihipStream_tbPNSt15iterator_traitsISN_E10value_typeEPNST_ISO_E10value_typeEPSP_NS1_7vsmem_tEENKUlT_SN_SO_SP_E_clIS8_S8_S9_S9_EESM_S12_SN_SO_SP_EUlS12_E_NS1_11comp_targetILNS1_3genE8ELNS1_11target_archE1030ELNS1_3gpuE2ELNS1_3repE0EEENS1_48merge_mergepath_partition_config_static_selectorELNS0_4arch9wavefront6targetE1EEEvSO_,@function
_ZN7rocprim17ROCPRIM_400000_NS6detail17trampoline_kernelINS0_14default_configENS1_38merge_sort_block_merge_config_selectorIlNS0_10empty_typeEEEZZNS1_27merge_sort_block_merge_implIS3_PlPS5_mZN2at6native12_GLOBAL__N_124unique_dim_cuda_templateIN3c108BFloat16EEESt5tupleIJNSA_6TensorESH_SH_EERKSH_lbbbEUlllE_EE10hipError_tT0_T1_T2_jT3_P12ihipStream_tbPNSt15iterator_traitsISN_E10value_typeEPNST_ISO_E10value_typeEPSP_NS1_7vsmem_tEENKUlT_SN_SO_SP_E_clIS8_S8_S9_S9_EESM_S12_SN_SO_SP_EUlS12_E_NS1_11comp_targetILNS1_3genE8ELNS1_11target_archE1030ELNS1_3gpuE2ELNS1_3repE0EEENS1_48merge_mergepath_partition_config_static_selectorELNS0_4arch9wavefront6targetE1EEEvSO_: ; @_ZN7rocprim17ROCPRIM_400000_NS6detail17trampoline_kernelINS0_14default_configENS1_38merge_sort_block_merge_config_selectorIlNS0_10empty_typeEEEZZNS1_27merge_sort_block_merge_implIS3_PlPS5_mZN2at6native12_GLOBAL__N_124unique_dim_cuda_templateIN3c108BFloat16EEESt5tupleIJNSA_6TensorESH_SH_EERKSH_lbbbEUlllE_EE10hipError_tT0_T1_T2_jT3_P12ihipStream_tbPNSt15iterator_traitsISN_E10value_typeEPNST_ISO_E10value_typeEPSP_NS1_7vsmem_tEENKUlT_SN_SO_SP_E_clIS8_S8_S9_S9_EESM_S12_SN_SO_SP_EUlS12_E_NS1_11comp_targetILNS1_3genE8ELNS1_11target_archE1030ELNS1_3gpuE2ELNS1_3repE0EEENS1_48merge_mergepath_partition_config_static_selectorELNS0_4arch9wavefront6targetE1EEEvSO_
; %bb.0:
	.section	.rodata,"a",@progbits
	.p2align	6, 0x0
	.amdhsa_kernel _ZN7rocprim17ROCPRIM_400000_NS6detail17trampoline_kernelINS0_14default_configENS1_38merge_sort_block_merge_config_selectorIlNS0_10empty_typeEEEZZNS1_27merge_sort_block_merge_implIS3_PlPS5_mZN2at6native12_GLOBAL__N_124unique_dim_cuda_templateIN3c108BFloat16EEESt5tupleIJNSA_6TensorESH_SH_EERKSH_lbbbEUlllE_EE10hipError_tT0_T1_T2_jT3_P12ihipStream_tbPNSt15iterator_traitsISN_E10value_typeEPNST_ISO_E10value_typeEPSP_NS1_7vsmem_tEENKUlT_SN_SO_SP_E_clIS8_S8_S9_S9_EESM_S12_SN_SO_SP_EUlS12_E_NS1_11comp_targetILNS1_3genE8ELNS1_11target_archE1030ELNS1_3gpuE2ELNS1_3repE0EEENS1_48merge_mergepath_partition_config_static_selectorELNS0_4arch9wavefront6targetE1EEEvSO_
		.amdhsa_group_segment_fixed_size 0
		.amdhsa_private_segment_fixed_size 0
		.amdhsa_kernarg_size 56
		.amdhsa_user_sgpr_count 6
		.amdhsa_user_sgpr_private_segment_buffer 1
		.amdhsa_user_sgpr_dispatch_ptr 0
		.amdhsa_user_sgpr_queue_ptr 0
		.amdhsa_user_sgpr_kernarg_segment_ptr 1
		.amdhsa_user_sgpr_dispatch_id 0
		.amdhsa_user_sgpr_flat_scratch_init 0
		.amdhsa_user_sgpr_kernarg_preload_length 0
		.amdhsa_user_sgpr_kernarg_preload_offset 0
		.amdhsa_user_sgpr_private_segment_size 0
		.amdhsa_uses_dynamic_stack 0
		.amdhsa_system_sgpr_private_segment_wavefront_offset 0
		.amdhsa_system_sgpr_workgroup_id_x 1
		.amdhsa_system_sgpr_workgroup_id_y 0
		.amdhsa_system_sgpr_workgroup_id_z 0
		.amdhsa_system_sgpr_workgroup_info 0
		.amdhsa_system_vgpr_workitem_id 0
		.amdhsa_next_free_vgpr 1
		.amdhsa_next_free_sgpr 0
		.amdhsa_accum_offset 4
		.amdhsa_reserve_vcc 0
		.amdhsa_reserve_flat_scratch 0
		.amdhsa_float_round_mode_32 0
		.amdhsa_float_round_mode_16_64 0
		.amdhsa_float_denorm_mode_32 3
		.amdhsa_float_denorm_mode_16_64 3
		.amdhsa_dx10_clamp 1
		.amdhsa_ieee_mode 1
		.amdhsa_fp16_overflow 0
		.amdhsa_tg_split 0
		.amdhsa_exception_fp_ieee_invalid_op 0
		.amdhsa_exception_fp_denorm_src 0
		.amdhsa_exception_fp_ieee_div_zero 0
		.amdhsa_exception_fp_ieee_overflow 0
		.amdhsa_exception_fp_ieee_underflow 0
		.amdhsa_exception_fp_ieee_inexact 0
		.amdhsa_exception_int_div_zero 0
	.end_amdhsa_kernel
	.section	.text._ZN7rocprim17ROCPRIM_400000_NS6detail17trampoline_kernelINS0_14default_configENS1_38merge_sort_block_merge_config_selectorIlNS0_10empty_typeEEEZZNS1_27merge_sort_block_merge_implIS3_PlPS5_mZN2at6native12_GLOBAL__N_124unique_dim_cuda_templateIN3c108BFloat16EEESt5tupleIJNSA_6TensorESH_SH_EERKSH_lbbbEUlllE_EE10hipError_tT0_T1_T2_jT3_P12ihipStream_tbPNSt15iterator_traitsISN_E10value_typeEPNST_ISO_E10value_typeEPSP_NS1_7vsmem_tEENKUlT_SN_SO_SP_E_clIS8_S8_S9_S9_EESM_S12_SN_SO_SP_EUlS12_E_NS1_11comp_targetILNS1_3genE8ELNS1_11target_archE1030ELNS1_3gpuE2ELNS1_3repE0EEENS1_48merge_mergepath_partition_config_static_selectorELNS0_4arch9wavefront6targetE1EEEvSO_,"axG",@progbits,_ZN7rocprim17ROCPRIM_400000_NS6detail17trampoline_kernelINS0_14default_configENS1_38merge_sort_block_merge_config_selectorIlNS0_10empty_typeEEEZZNS1_27merge_sort_block_merge_implIS3_PlPS5_mZN2at6native12_GLOBAL__N_124unique_dim_cuda_templateIN3c108BFloat16EEESt5tupleIJNSA_6TensorESH_SH_EERKSH_lbbbEUlllE_EE10hipError_tT0_T1_T2_jT3_P12ihipStream_tbPNSt15iterator_traitsISN_E10value_typeEPNST_ISO_E10value_typeEPSP_NS1_7vsmem_tEENKUlT_SN_SO_SP_E_clIS8_S8_S9_S9_EESM_S12_SN_SO_SP_EUlS12_E_NS1_11comp_targetILNS1_3genE8ELNS1_11target_archE1030ELNS1_3gpuE2ELNS1_3repE0EEENS1_48merge_mergepath_partition_config_static_selectorELNS0_4arch9wavefront6targetE1EEEvSO_,comdat
.Lfunc_end1131:
	.size	_ZN7rocprim17ROCPRIM_400000_NS6detail17trampoline_kernelINS0_14default_configENS1_38merge_sort_block_merge_config_selectorIlNS0_10empty_typeEEEZZNS1_27merge_sort_block_merge_implIS3_PlPS5_mZN2at6native12_GLOBAL__N_124unique_dim_cuda_templateIN3c108BFloat16EEESt5tupleIJNSA_6TensorESH_SH_EERKSH_lbbbEUlllE_EE10hipError_tT0_T1_T2_jT3_P12ihipStream_tbPNSt15iterator_traitsISN_E10value_typeEPNST_ISO_E10value_typeEPSP_NS1_7vsmem_tEENKUlT_SN_SO_SP_E_clIS8_S8_S9_S9_EESM_S12_SN_SO_SP_EUlS12_E_NS1_11comp_targetILNS1_3genE8ELNS1_11target_archE1030ELNS1_3gpuE2ELNS1_3repE0EEENS1_48merge_mergepath_partition_config_static_selectorELNS0_4arch9wavefront6targetE1EEEvSO_, .Lfunc_end1131-_ZN7rocprim17ROCPRIM_400000_NS6detail17trampoline_kernelINS0_14default_configENS1_38merge_sort_block_merge_config_selectorIlNS0_10empty_typeEEEZZNS1_27merge_sort_block_merge_implIS3_PlPS5_mZN2at6native12_GLOBAL__N_124unique_dim_cuda_templateIN3c108BFloat16EEESt5tupleIJNSA_6TensorESH_SH_EERKSH_lbbbEUlllE_EE10hipError_tT0_T1_T2_jT3_P12ihipStream_tbPNSt15iterator_traitsISN_E10value_typeEPNST_ISO_E10value_typeEPSP_NS1_7vsmem_tEENKUlT_SN_SO_SP_E_clIS8_S8_S9_S9_EESM_S12_SN_SO_SP_EUlS12_E_NS1_11comp_targetILNS1_3genE8ELNS1_11target_archE1030ELNS1_3gpuE2ELNS1_3repE0EEENS1_48merge_mergepath_partition_config_static_selectorELNS0_4arch9wavefront6targetE1EEEvSO_
                                        ; -- End function
	.section	.AMDGPU.csdata,"",@progbits
; Kernel info:
; codeLenInByte = 0
; NumSgprs: 4
; NumVgprs: 0
; NumAgprs: 0
; TotalNumVgprs: 0
; ScratchSize: 0
; MemoryBound: 0
; FloatMode: 240
; IeeeMode: 1
; LDSByteSize: 0 bytes/workgroup (compile time only)
; SGPRBlocks: 0
; VGPRBlocks: 0
; NumSGPRsForWavesPerEU: 4
; NumVGPRsForWavesPerEU: 1
; AccumOffset: 4
; Occupancy: 8
; WaveLimiterHint : 0
; COMPUTE_PGM_RSRC2:SCRATCH_EN: 0
; COMPUTE_PGM_RSRC2:USER_SGPR: 6
; COMPUTE_PGM_RSRC2:TRAP_HANDLER: 0
; COMPUTE_PGM_RSRC2:TGID_X_EN: 1
; COMPUTE_PGM_RSRC2:TGID_Y_EN: 0
; COMPUTE_PGM_RSRC2:TGID_Z_EN: 0
; COMPUTE_PGM_RSRC2:TIDIG_COMP_CNT: 0
; COMPUTE_PGM_RSRC3_GFX90A:ACCUM_OFFSET: 0
; COMPUTE_PGM_RSRC3_GFX90A:TG_SPLIT: 0
	.section	.text._ZN7rocprim17ROCPRIM_400000_NS6detail17trampoline_kernelINS0_14default_configENS1_38merge_sort_block_merge_config_selectorIlNS0_10empty_typeEEEZZNS1_27merge_sort_block_merge_implIS3_PlPS5_mZN2at6native12_GLOBAL__N_124unique_dim_cuda_templateIN3c108BFloat16EEESt5tupleIJNSA_6TensorESH_SH_EERKSH_lbbbEUlllE_EE10hipError_tT0_T1_T2_jT3_P12ihipStream_tbPNSt15iterator_traitsISN_E10value_typeEPNST_ISO_E10value_typeEPSP_NS1_7vsmem_tEENKUlT_SN_SO_SP_E_clIS8_S8_S9_S9_EESM_S12_SN_SO_SP_EUlS12_E0_NS1_11comp_targetILNS1_3genE0ELNS1_11target_archE4294967295ELNS1_3gpuE0ELNS1_3repE0EEENS1_38merge_mergepath_config_static_selectorELNS0_4arch9wavefront6targetE1EEEvSO_,"axG",@progbits,_ZN7rocprim17ROCPRIM_400000_NS6detail17trampoline_kernelINS0_14default_configENS1_38merge_sort_block_merge_config_selectorIlNS0_10empty_typeEEEZZNS1_27merge_sort_block_merge_implIS3_PlPS5_mZN2at6native12_GLOBAL__N_124unique_dim_cuda_templateIN3c108BFloat16EEESt5tupleIJNSA_6TensorESH_SH_EERKSH_lbbbEUlllE_EE10hipError_tT0_T1_T2_jT3_P12ihipStream_tbPNSt15iterator_traitsISN_E10value_typeEPNST_ISO_E10value_typeEPSP_NS1_7vsmem_tEENKUlT_SN_SO_SP_E_clIS8_S8_S9_S9_EESM_S12_SN_SO_SP_EUlS12_E0_NS1_11comp_targetILNS1_3genE0ELNS1_11target_archE4294967295ELNS1_3gpuE0ELNS1_3repE0EEENS1_38merge_mergepath_config_static_selectorELNS0_4arch9wavefront6targetE1EEEvSO_,comdat
	.globl	_ZN7rocprim17ROCPRIM_400000_NS6detail17trampoline_kernelINS0_14default_configENS1_38merge_sort_block_merge_config_selectorIlNS0_10empty_typeEEEZZNS1_27merge_sort_block_merge_implIS3_PlPS5_mZN2at6native12_GLOBAL__N_124unique_dim_cuda_templateIN3c108BFloat16EEESt5tupleIJNSA_6TensorESH_SH_EERKSH_lbbbEUlllE_EE10hipError_tT0_T1_T2_jT3_P12ihipStream_tbPNSt15iterator_traitsISN_E10value_typeEPNST_ISO_E10value_typeEPSP_NS1_7vsmem_tEENKUlT_SN_SO_SP_E_clIS8_S8_S9_S9_EESM_S12_SN_SO_SP_EUlS12_E0_NS1_11comp_targetILNS1_3genE0ELNS1_11target_archE4294967295ELNS1_3gpuE0ELNS1_3repE0EEENS1_38merge_mergepath_config_static_selectorELNS0_4arch9wavefront6targetE1EEEvSO_ ; -- Begin function _ZN7rocprim17ROCPRIM_400000_NS6detail17trampoline_kernelINS0_14default_configENS1_38merge_sort_block_merge_config_selectorIlNS0_10empty_typeEEEZZNS1_27merge_sort_block_merge_implIS3_PlPS5_mZN2at6native12_GLOBAL__N_124unique_dim_cuda_templateIN3c108BFloat16EEESt5tupleIJNSA_6TensorESH_SH_EERKSH_lbbbEUlllE_EE10hipError_tT0_T1_T2_jT3_P12ihipStream_tbPNSt15iterator_traitsISN_E10value_typeEPNST_ISO_E10value_typeEPSP_NS1_7vsmem_tEENKUlT_SN_SO_SP_E_clIS8_S8_S9_S9_EESM_S12_SN_SO_SP_EUlS12_E0_NS1_11comp_targetILNS1_3genE0ELNS1_11target_archE4294967295ELNS1_3gpuE0ELNS1_3repE0EEENS1_38merge_mergepath_config_static_selectorELNS0_4arch9wavefront6targetE1EEEvSO_
	.p2align	8
	.type	_ZN7rocprim17ROCPRIM_400000_NS6detail17trampoline_kernelINS0_14default_configENS1_38merge_sort_block_merge_config_selectorIlNS0_10empty_typeEEEZZNS1_27merge_sort_block_merge_implIS3_PlPS5_mZN2at6native12_GLOBAL__N_124unique_dim_cuda_templateIN3c108BFloat16EEESt5tupleIJNSA_6TensorESH_SH_EERKSH_lbbbEUlllE_EE10hipError_tT0_T1_T2_jT3_P12ihipStream_tbPNSt15iterator_traitsISN_E10value_typeEPNST_ISO_E10value_typeEPSP_NS1_7vsmem_tEENKUlT_SN_SO_SP_E_clIS8_S8_S9_S9_EESM_S12_SN_SO_SP_EUlS12_E0_NS1_11comp_targetILNS1_3genE0ELNS1_11target_archE4294967295ELNS1_3gpuE0ELNS1_3repE0EEENS1_38merge_mergepath_config_static_selectorELNS0_4arch9wavefront6targetE1EEEvSO_,@function
_ZN7rocprim17ROCPRIM_400000_NS6detail17trampoline_kernelINS0_14default_configENS1_38merge_sort_block_merge_config_selectorIlNS0_10empty_typeEEEZZNS1_27merge_sort_block_merge_implIS3_PlPS5_mZN2at6native12_GLOBAL__N_124unique_dim_cuda_templateIN3c108BFloat16EEESt5tupleIJNSA_6TensorESH_SH_EERKSH_lbbbEUlllE_EE10hipError_tT0_T1_T2_jT3_P12ihipStream_tbPNSt15iterator_traitsISN_E10value_typeEPNST_ISO_E10value_typeEPSP_NS1_7vsmem_tEENKUlT_SN_SO_SP_E_clIS8_S8_S9_S9_EESM_S12_SN_SO_SP_EUlS12_E0_NS1_11comp_targetILNS1_3genE0ELNS1_11target_archE4294967295ELNS1_3gpuE0ELNS1_3repE0EEENS1_38merge_mergepath_config_static_selectorELNS0_4arch9wavefront6targetE1EEEvSO_: ; @_ZN7rocprim17ROCPRIM_400000_NS6detail17trampoline_kernelINS0_14default_configENS1_38merge_sort_block_merge_config_selectorIlNS0_10empty_typeEEEZZNS1_27merge_sort_block_merge_implIS3_PlPS5_mZN2at6native12_GLOBAL__N_124unique_dim_cuda_templateIN3c108BFloat16EEESt5tupleIJNSA_6TensorESH_SH_EERKSH_lbbbEUlllE_EE10hipError_tT0_T1_T2_jT3_P12ihipStream_tbPNSt15iterator_traitsISN_E10value_typeEPNST_ISO_E10value_typeEPSP_NS1_7vsmem_tEENKUlT_SN_SO_SP_E_clIS8_S8_S9_S9_EESM_S12_SN_SO_SP_EUlS12_E0_NS1_11comp_targetILNS1_3genE0ELNS1_11target_archE4294967295ELNS1_3gpuE0ELNS1_3repE0EEENS1_38merge_mergepath_config_static_selectorELNS0_4arch9wavefront6targetE1EEEvSO_
; %bb.0:
	.section	.rodata,"a",@progbits
	.p2align	6, 0x0
	.amdhsa_kernel _ZN7rocprim17ROCPRIM_400000_NS6detail17trampoline_kernelINS0_14default_configENS1_38merge_sort_block_merge_config_selectorIlNS0_10empty_typeEEEZZNS1_27merge_sort_block_merge_implIS3_PlPS5_mZN2at6native12_GLOBAL__N_124unique_dim_cuda_templateIN3c108BFloat16EEESt5tupleIJNSA_6TensorESH_SH_EERKSH_lbbbEUlllE_EE10hipError_tT0_T1_T2_jT3_P12ihipStream_tbPNSt15iterator_traitsISN_E10value_typeEPNST_ISO_E10value_typeEPSP_NS1_7vsmem_tEENKUlT_SN_SO_SP_E_clIS8_S8_S9_S9_EESM_S12_SN_SO_SP_EUlS12_E0_NS1_11comp_targetILNS1_3genE0ELNS1_11target_archE4294967295ELNS1_3gpuE0ELNS1_3repE0EEENS1_38merge_mergepath_config_static_selectorELNS0_4arch9wavefront6targetE1EEEvSO_
		.amdhsa_group_segment_fixed_size 0
		.amdhsa_private_segment_fixed_size 0
		.amdhsa_kernarg_size 88
		.amdhsa_user_sgpr_count 6
		.amdhsa_user_sgpr_private_segment_buffer 1
		.amdhsa_user_sgpr_dispatch_ptr 0
		.amdhsa_user_sgpr_queue_ptr 0
		.amdhsa_user_sgpr_kernarg_segment_ptr 1
		.amdhsa_user_sgpr_dispatch_id 0
		.amdhsa_user_sgpr_flat_scratch_init 0
		.amdhsa_user_sgpr_kernarg_preload_length 0
		.amdhsa_user_sgpr_kernarg_preload_offset 0
		.amdhsa_user_sgpr_private_segment_size 0
		.amdhsa_uses_dynamic_stack 0
		.amdhsa_system_sgpr_private_segment_wavefront_offset 0
		.amdhsa_system_sgpr_workgroup_id_x 1
		.amdhsa_system_sgpr_workgroup_id_y 0
		.amdhsa_system_sgpr_workgroup_id_z 0
		.amdhsa_system_sgpr_workgroup_info 0
		.amdhsa_system_vgpr_workitem_id 0
		.amdhsa_next_free_vgpr 1
		.amdhsa_next_free_sgpr 0
		.amdhsa_accum_offset 4
		.amdhsa_reserve_vcc 0
		.amdhsa_reserve_flat_scratch 0
		.amdhsa_float_round_mode_32 0
		.amdhsa_float_round_mode_16_64 0
		.amdhsa_float_denorm_mode_32 3
		.amdhsa_float_denorm_mode_16_64 3
		.amdhsa_dx10_clamp 1
		.amdhsa_ieee_mode 1
		.amdhsa_fp16_overflow 0
		.amdhsa_tg_split 0
		.amdhsa_exception_fp_ieee_invalid_op 0
		.amdhsa_exception_fp_denorm_src 0
		.amdhsa_exception_fp_ieee_div_zero 0
		.amdhsa_exception_fp_ieee_overflow 0
		.amdhsa_exception_fp_ieee_underflow 0
		.amdhsa_exception_fp_ieee_inexact 0
		.amdhsa_exception_int_div_zero 0
	.end_amdhsa_kernel
	.section	.text._ZN7rocprim17ROCPRIM_400000_NS6detail17trampoline_kernelINS0_14default_configENS1_38merge_sort_block_merge_config_selectorIlNS0_10empty_typeEEEZZNS1_27merge_sort_block_merge_implIS3_PlPS5_mZN2at6native12_GLOBAL__N_124unique_dim_cuda_templateIN3c108BFloat16EEESt5tupleIJNSA_6TensorESH_SH_EERKSH_lbbbEUlllE_EE10hipError_tT0_T1_T2_jT3_P12ihipStream_tbPNSt15iterator_traitsISN_E10value_typeEPNST_ISO_E10value_typeEPSP_NS1_7vsmem_tEENKUlT_SN_SO_SP_E_clIS8_S8_S9_S9_EESM_S12_SN_SO_SP_EUlS12_E0_NS1_11comp_targetILNS1_3genE0ELNS1_11target_archE4294967295ELNS1_3gpuE0ELNS1_3repE0EEENS1_38merge_mergepath_config_static_selectorELNS0_4arch9wavefront6targetE1EEEvSO_,"axG",@progbits,_ZN7rocprim17ROCPRIM_400000_NS6detail17trampoline_kernelINS0_14default_configENS1_38merge_sort_block_merge_config_selectorIlNS0_10empty_typeEEEZZNS1_27merge_sort_block_merge_implIS3_PlPS5_mZN2at6native12_GLOBAL__N_124unique_dim_cuda_templateIN3c108BFloat16EEESt5tupleIJNSA_6TensorESH_SH_EERKSH_lbbbEUlllE_EE10hipError_tT0_T1_T2_jT3_P12ihipStream_tbPNSt15iterator_traitsISN_E10value_typeEPNST_ISO_E10value_typeEPSP_NS1_7vsmem_tEENKUlT_SN_SO_SP_E_clIS8_S8_S9_S9_EESM_S12_SN_SO_SP_EUlS12_E0_NS1_11comp_targetILNS1_3genE0ELNS1_11target_archE4294967295ELNS1_3gpuE0ELNS1_3repE0EEENS1_38merge_mergepath_config_static_selectorELNS0_4arch9wavefront6targetE1EEEvSO_,comdat
.Lfunc_end1132:
	.size	_ZN7rocprim17ROCPRIM_400000_NS6detail17trampoline_kernelINS0_14default_configENS1_38merge_sort_block_merge_config_selectorIlNS0_10empty_typeEEEZZNS1_27merge_sort_block_merge_implIS3_PlPS5_mZN2at6native12_GLOBAL__N_124unique_dim_cuda_templateIN3c108BFloat16EEESt5tupleIJNSA_6TensorESH_SH_EERKSH_lbbbEUlllE_EE10hipError_tT0_T1_T2_jT3_P12ihipStream_tbPNSt15iterator_traitsISN_E10value_typeEPNST_ISO_E10value_typeEPSP_NS1_7vsmem_tEENKUlT_SN_SO_SP_E_clIS8_S8_S9_S9_EESM_S12_SN_SO_SP_EUlS12_E0_NS1_11comp_targetILNS1_3genE0ELNS1_11target_archE4294967295ELNS1_3gpuE0ELNS1_3repE0EEENS1_38merge_mergepath_config_static_selectorELNS0_4arch9wavefront6targetE1EEEvSO_, .Lfunc_end1132-_ZN7rocprim17ROCPRIM_400000_NS6detail17trampoline_kernelINS0_14default_configENS1_38merge_sort_block_merge_config_selectorIlNS0_10empty_typeEEEZZNS1_27merge_sort_block_merge_implIS3_PlPS5_mZN2at6native12_GLOBAL__N_124unique_dim_cuda_templateIN3c108BFloat16EEESt5tupleIJNSA_6TensorESH_SH_EERKSH_lbbbEUlllE_EE10hipError_tT0_T1_T2_jT3_P12ihipStream_tbPNSt15iterator_traitsISN_E10value_typeEPNST_ISO_E10value_typeEPSP_NS1_7vsmem_tEENKUlT_SN_SO_SP_E_clIS8_S8_S9_S9_EESM_S12_SN_SO_SP_EUlS12_E0_NS1_11comp_targetILNS1_3genE0ELNS1_11target_archE4294967295ELNS1_3gpuE0ELNS1_3repE0EEENS1_38merge_mergepath_config_static_selectorELNS0_4arch9wavefront6targetE1EEEvSO_
                                        ; -- End function
	.section	.AMDGPU.csdata,"",@progbits
; Kernel info:
; codeLenInByte = 0
; NumSgprs: 4
; NumVgprs: 0
; NumAgprs: 0
; TotalNumVgprs: 0
; ScratchSize: 0
; MemoryBound: 0
; FloatMode: 240
; IeeeMode: 1
; LDSByteSize: 0 bytes/workgroup (compile time only)
; SGPRBlocks: 0
; VGPRBlocks: 0
; NumSGPRsForWavesPerEU: 4
; NumVGPRsForWavesPerEU: 1
; AccumOffset: 4
; Occupancy: 8
; WaveLimiterHint : 0
; COMPUTE_PGM_RSRC2:SCRATCH_EN: 0
; COMPUTE_PGM_RSRC2:USER_SGPR: 6
; COMPUTE_PGM_RSRC2:TRAP_HANDLER: 0
; COMPUTE_PGM_RSRC2:TGID_X_EN: 1
; COMPUTE_PGM_RSRC2:TGID_Y_EN: 0
; COMPUTE_PGM_RSRC2:TGID_Z_EN: 0
; COMPUTE_PGM_RSRC2:TIDIG_COMP_CNT: 0
; COMPUTE_PGM_RSRC3_GFX90A:ACCUM_OFFSET: 0
; COMPUTE_PGM_RSRC3_GFX90A:TG_SPLIT: 0
	.section	.text._ZN7rocprim17ROCPRIM_400000_NS6detail17trampoline_kernelINS0_14default_configENS1_38merge_sort_block_merge_config_selectorIlNS0_10empty_typeEEEZZNS1_27merge_sort_block_merge_implIS3_PlPS5_mZN2at6native12_GLOBAL__N_124unique_dim_cuda_templateIN3c108BFloat16EEESt5tupleIJNSA_6TensorESH_SH_EERKSH_lbbbEUlllE_EE10hipError_tT0_T1_T2_jT3_P12ihipStream_tbPNSt15iterator_traitsISN_E10value_typeEPNST_ISO_E10value_typeEPSP_NS1_7vsmem_tEENKUlT_SN_SO_SP_E_clIS8_S8_S9_S9_EESM_S12_SN_SO_SP_EUlS12_E0_NS1_11comp_targetILNS1_3genE10ELNS1_11target_archE1201ELNS1_3gpuE5ELNS1_3repE0EEENS1_38merge_mergepath_config_static_selectorELNS0_4arch9wavefront6targetE1EEEvSO_,"axG",@progbits,_ZN7rocprim17ROCPRIM_400000_NS6detail17trampoline_kernelINS0_14default_configENS1_38merge_sort_block_merge_config_selectorIlNS0_10empty_typeEEEZZNS1_27merge_sort_block_merge_implIS3_PlPS5_mZN2at6native12_GLOBAL__N_124unique_dim_cuda_templateIN3c108BFloat16EEESt5tupleIJNSA_6TensorESH_SH_EERKSH_lbbbEUlllE_EE10hipError_tT0_T1_T2_jT3_P12ihipStream_tbPNSt15iterator_traitsISN_E10value_typeEPNST_ISO_E10value_typeEPSP_NS1_7vsmem_tEENKUlT_SN_SO_SP_E_clIS8_S8_S9_S9_EESM_S12_SN_SO_SP_EUlS12_E0_NS1_11comp_targetILNS1_3genE10ELNS1_11target_archE1201ELNS1_3gpuE5ELNS1_3repE0EEENS1_38merge_mergepath_config_static_selectorELNS0_4arch9wavefront6targetE1EEEvSO_,comdat
	.globl	_ZN7rocprim17ROCPRIM_400000_NS6detail17trampoline_kernelINS0_14default_configENS1_38merge_sort_block_merge_config_selectorIlNS0_10empty_typeEEEZZNS1_27merge_sort_block_merge_implIS3_PlPS5_mZN2at6native12_GLOBAL__N_124unique_dim_cuda_templateIN3c108BFloat16EEESt5tupleIJNSA_6TensorESH_SH_EERKSH_lbbbEUlllE_EE10hipError_tT0_T1_T2_jT3_P12ihipStream_tbPNSt15iterator_traitsISN_E10value_typeEPNST_ISO_E10value_typeEPSP_NS1_7vsmem_tEENKUlT_SN_SO_SP_E_clIS8_S8_S9_S9_EESM_S12_SN_SO_SP_EUlS12_E0_NS1_11comp_targetILNS1_3genE10ELNS1_11target_archE1201ELNS1_3gpuE5ELNS1_3repE0EEENS1_38merge_mergepath_config_static_selectorELNS0_4arch9wavefront6targetE1EEEvSO_ ; -- Begin function _ZN7rocprim17ROCPRIM_400000_NS6detail17trampoline_kernelINS0_14default_configENS1_38merge_sort_block_merge_config_selectorIlNS0_10empty_typeEEEZZNS1_27merge_sort_block_merge_implIS3_PlPS5_mZN2at6native12_GLOBAL__N_124unique_dim_cuda_templateIN3c108BFloat16EEESt5tupleIJNSA_6TensorESH_SH_EERKSH_lbbbEUlllE_EE10hipError_tT0_T1_T2_jT3_P12ihipStream_tbPNSt15iterator_traitsISN_E10value_typeEPNST_ISO_E10value_typeEPSP_NS1_7vsmem_tEENKUlT_SN_SO_SP_E_clIS8_S8_S9_S9_EESM_S12_SN_SO_SP_EUlS12_E0_NS1_11comp_targetILNS1_3genE10ELNS1_11target_archE1201ELNS1_3gpuE5ELNS1_3repE0EEENS1_38merge_mergepath_config_static_selectorELNS0_4arch9wavefront6targetE1EEEvSO_
	.p2align	8
	.type	_ZN7rocprim17ROCPRIM_400000_NS6detail17trampoline_kernelINS0_14default_configENS1_38merge_sort_block_merge_config_selectorIlNS0_10empty_typeEEEZZNS1_27merge_sort_block_merge_implIS3_PlPS5_mZN2at6native12_GLOBAL__N_124unique_dim_cuda_templateIN3c108BFloat16EEESt5tupleIJNSA_6TensorESH_SH_EERKSH_lbbbEUlllE_EE10hipError_tT0_T1_T2_jT3_P12ihipStream_tbPNSt15iterator_traitsISN_E10value_typeEPNST_ISO_E10value_typeEPSP_NS1_7vsmem_tEENKUlT_SN_SO_SP_E_clIS8_S8_S9_S9_EESM_S12_SN_SO_SP_EUlS12_E0_NS1_11comp_targetILNS1_3genE10ELNS1_11target_archE1201ELNS1_3gpuE5ELNS1_3repE0EEENS1_38merge_mergepath_config_static_selectorELNS0_4arch9wavefront6targetE1EEEvSO_,@function
_ZN7rocprim17ROCPRIM_400000_NS6detail17trampoline_kernelINS0_14default_configENS1_38merge_sort_block_merge_config_selectorIlNS0_10empty_typeEEEZZNS1_27merge_sort_block_merge_implIS3_PlPS5_mZN2at6native12_GLOBAL__N_124unique_dim_cuda_templateIN3c108BFloat16EEESt5tupleIJNSA_6TensorESH_SH_EERKSH_lbbbEUlllE_EE10hipError_tT0_T1_T2_jT3_P12ihipStream_tbPNSt15iterator_traitsISN_E10value_typeEPNST_ISO_E10value_typeEPSP_NS1_7vsmem_tEENKUlT_SN_SO_SP_E_clIS8_S8_S9_S9_EESM_S12_SN_SO_SP_EUlS12_E0_NS1_11comp_targetILNS1_3genE10ELNS1_11target_archE1201ELNS1_3gpuE5ELNS1_3repE0EEENS1_38merge_mergepath_config_static_selectorELNS0_4arch9wavefront6targetE1EEEvSO_: ; @_ZN7rocprim17ROCPRIM_400000_NS6detail17trampoline_kernelINS0_14default_configENS1_38merge_sort_block_merge_config_selectorIlNS0_10empty_typeEEEZZNS1_27merge_sort_block_merge_implIS3_PlPS5_mZN2at6native12_GLOBAL__N_124unique_dim_cuda_templateIN3c108BFloat16EEESt5tupleIJNSA_6TensorESH_SH_EERKSH_lbbbEUlllE_EE10hipError_tT0_T1_T2_jT3_P12ihipStream_tbPNSt15iterator_traitsISN_E10value_typeEPNST_ISO_E10value_typeEPSP_NS1_7vsmem_tEENKUlT_SN_SO_SP_E_clIS8_S8_S9_S9_EESM_S12_SN_SO_SP_EUlS12_E0_NS1_11comp_targetILNS1_3genE10ELNS1_11target_archE1201ELNS1_3gpuE5ELNS1_3repE0EEENS1_38merge_mergepath_config_static_selectorELNS0_4arch9wavefront6targetE1EEEvSO_
; %bb.0:
	.section	.rodata,"a",@progbits
	.p2align	6, 0x0
	.amdhsa_kernel _ZN7rocprim17ROCPRIM_400000_NS6detail17trampoline_kernelINS0_14default_configENS1_38merge_sort_block_merge_config_selectorIlNS0_10empty_typeEEEZZNS1_27merge_sort_block_merge_implIS3_PlPS5_mZN2at6native12_GLOBAL__N_124unique_dim_cuda_templateIN3c108BFloat16EEESt5tupleIJNSA_6TensorESH_SH_EERKSH_lbbbEUlllE_EE10hipError_tT0_T1_T2_jT3_P12ihipStream_tbPNSt15iterator_traitsISN_E10value_typeEPNST_ISO_E10value_typeEPSP_NS1_7vsmem_tEENKUlT_SN_SO_SP_E_clIS8_S8_S9_S9_EESM_S12_SN_SO_SP_EUlS12_E0_NS1_11comp_targetILNS1_3genE10ELNS1_11target_archE1201ELNS1_3gpuE5ELNS1_3repE0EEENS1_38merge_mergepath_config_static_selectorELNS0_4arch9wavefront6targetE1EEEvSO_
		.amdhsa_group_segment_fixed_size 0
		.amdhsa_private_segment_fixed_size 0
		.amdhsa_kernarg_size 88
		.amdhsa_user_sgpr_count 6
		.amdhsa_user_sgpr_private_segment_buffer 1
		.amdhsa_user_sgpr_dispatch_ptr 0
		.amdhsa_user_sgpr_queue_ptr 0
		.amdhsa_user_sgpr_kernarg_segment_ptr 1
		.amdhsa_user_sgpr_dispatch_id 0
		.amdhsa_user_sgpr_flat_scratch_init 0
		.amdhsa_user_sgpr_kernarg_preload_length 0
		.amdhsa_user_sgpr_kernarg_preload_offset 0
		.amdhsa_user_sgpr_private_segment_size 0
		.amdhsa_uses_dynamic_stack 0
		.amdhsa_system_sgpr_private_segment_wavefront_offset 0
		.amdhsa_system_sgpr_workgroup_id_x 1
		.amdhsa_system_sgpr_workgroup_id_y 0
		.amdhsa_system_sgpr_workgroup_id_z 0
		.amdhsa_system_sgpr_workgroup_info 0
		.amdhsa_system_vgpr_workitem_id 0
		.amdhsa_next_free_vgpr 1
		.amdhsa_next_free_sgpr 0
		.amdhsa_accum_offset 4
		.amdhsa_reserve_vcc 0
		.amdhsa_reserve_flat_scratch 0
		.amdhsa_float_round_mode_32 0
		.amdhsa_float_round_mode_16_64 0
		.amdhsa_float_denorm_mode_32 3
		.amdhsa_float_denorm_mode_16_64 3
		.amdhsa_dx10_clamp 1
		.amdhsa_ieee_mode 1
		.amdhsa_fp16_overflow 0
		.amdhsa_tg_split 0
		.amdhsa_exception_fp_ieee_invalid_op 0
		.amdhsa_exception_fp_denorm_src 0
		.amdhsa_exception_fp_ieee_div_zero 0
		.amdhsa_exception_fp_ieee_overflow 0
		.amdhsa_exception_fp_ieee_underflow 0
		.amdhsa_exception_fp_ieee_inexact 0
		.amdhsa_exception_int_div_zero 0
	.end_amdhsa_kernel
	.section	.text._ZN7rocprim17ROCPRIM_400000_NS6detail17trampoline_kernelINS0_14default_configENS1_38merge_sort_block_merge_config_selectorIlNS0_10empty_typeEEEZZNS1_27merge_sort_block_merge_implIS3_PlPS5_mZN2at6native12_GLOBAL__N_124unique_dim_cuda_templateIN3c108BFloat16EEESt5tupleIJNSA_6TensorESH_SH_EERKSH_lbbbEUlllE_EE10hipError_tT0_T1_T2_jT3_P12ihipStream_tbPNSt15iterator_traitsISN_E10value_typeEPNST_ISO_E10value_typeEPSP_NS1_7vsmem_tEENKUlT_SN_SO_SP_E_clIS8_S8_S9_S9_EESM_S12_SN_SO_SP_EUlS12_E0_NS1_11comp_targetILNS1_3genE10ELNS1_11target_archE1201ELNS1_3gpuE5ELNS1_3repE0EEENS1_38merge_mergepath_config_static_selectorELNS0_4arch9wavefront6targetE1EEEvSO_,"axG",@progbits,_ZN7rocprim17ROCPRIM_400000_NS6detail17trampoline_kernelINS0_14default_configENS1_38merge_sort_block_merge_config_selectorIlNS0_10empty_typeEEEZZNS1_27merge_sort_block_merge_implIS3_PlPS5_mZN2at6native12_GLOBAL__N_124unique_dim_cuda_templateIN3c108BFloat16EEESt5tupleIJNSA_6TensorESH_SH_EERKSH_lbbbEUlllE_EE10hipError_tT0_T1_T2_jT3_P12ihipStream_tbPNSt15iterator_traitsISN_E10value_typeEPNST_ISO_E10value_typeEPSP_NS1_7vsmem_tEENKUlT_SN_SO_SP_E_clIS8_S8_S9_S9_EESM_S12_SN_SO_SP_EUlS12_E0_NS1_11comp_targetILNS1_3genE10ELNS1_11target_archE1201ELNS1_3gpuE5ELNS1_3repE0EEENS1_38merge_mergepath_config_static_selectorELNS0_4arch9wavefront6targetE1EEEvSO_,comdat
.Lfunc_end1133:
	.size	_ZN7rocprim17ROCPRIM_400000_NS6detail17trampoline_kernelINS0_14default_configENS1_38merge_sort_block_merge_config_selectorIlNS0_10empty_typeEEEZZNS1_27merge_sort_block_merge_implIS3_PlPS5_mZN2at6native12_GLOBAL__N_124unique_dim_cuda_templateIN3c108BFloat16EEESt5tupleIJNSA_6TensorESH_SH_EERKSH_lbbbEUlllE_EE10hipError_tT0_T1_T2_jT3_P12ihipStream_tbPNSt15iterator_traitsISN_E10value_typeEPNST_ISO_E10value_typeEPSP_NS1_7vsmem_tEENKUlT_SN_SO_SP_E_clIS8_S8_S9_S9_EESM_S12_SN_SO_SP_EUlS12_E0_NS1_11comp_targetILNS1_3genE10ELNS1_11target_archE1201ELNS1_3gpuE5ELNS1_3repE0EEENS1_38merge_mergepath_config_static_selectorELNS0_4arch9wavefront6targetE1EEEvSO_, .Lfunc_end1133-_ZN7rocprim17ROCPRIM_400000_NS6detail17trampoline_kernelINS0_14default_configENS1_38merge_sort_block_merge_config_selectorIlNS0_10empty_typeEEEZZNS1_27merge_sort_block_merge_implIS3_PlPS5_mZN2at6native12_GLOBAL__N_124unique_dim_cuda_templateIN3c108BFloat16EEESt5tupleIJNSA_6TensorESH_SH_EERKSH_lbbbEUlllE_EE10hipError_tT0_T1_T2_jT3_P12ihipStream_tbPNSt15iterator_traitsISN_E10value_typeEPNST_ISO_E10value_typeEPSP_NS1_7vsmem_tEENKUlT_SN_SO_SP_E_clIS8_S8_S9_S9_EESM_S12_SN_SO_SP_EUlS12_E0_NS1_11comp_targetILNS1_3genE10ELNS1_11target_archE1201ELNS1_3gpuE5ELNS1_3repE0EEENS1_38merge_mergepath_config_static_selectorELNS0_4arch9wavefront6targetE1EEEvSO_
                                        ; -- End function
	.section	.AMDGPU.csdata,"",@progbits
; Kernel info:
; codeLenInByte = 0
; NumSgprs: 4
; NumVgprs: 0
; NumAgprs: 0
; TotalNumVgprs: 0
; ScratchSize: 0
; MemoryBound: 0
; FloatMode: 240
; IeeeMode: 1
; LDSByteSize: 0 bytes/workgroup (compile time only)
; SGPRBlocks: 0
; VGPRBlocks: 0
; NumSGPRsForWavesPerEU: 4
; NumVGPRsForWavesPerEU: 1
; AccumOffset: 4
; Occupancy: 8
; WaveLimiterHint : 0
; COMPUTE_PGM_RSRC2:SCRATCH_EN: 0
; COMPUTE_PGM_RSRC2:USER_SGPR: 6
; COMPUTE_PGM_RSRC2:TRAP_HANDLER: 0
; COMPUTE_PGM_RSRC2:TGID_X_EN: 1
; COMPUTE_PGM_RSRC2:TGID_Y_EN: 0
; COMPUTE_PGM_RSRC2:TGID_Z_EN: 0
; COMPUTE_PGM_RSRC2:TIDIG_COMP_CNT: 0
; COMPUTE_PGM_RSRC3_GFX90A:ACCUM_OFFSET: 0
; COMPUTE_PGM_RSRC3_GFX90A:TG_SPLIT: 0
	.section	.text._ZN7rocprim17ROCPRIM_400000_NS6detail17trampoline_kernelINS0_14default_configENS1_38merge_sort_block_merge_config_selectorIlNS0_10empty_typeEEEZZNS1_27merge_sort_block_merge_implIS3_PlPS5_mZN2at6native12_GLOBAL__N_124unique_dim_cuda_templateIN3c108BFloat16EEESt5tupleIJNSA_6TensorESH_SH_EERKSH_lbbbEUlllE_EE10hipError_tT0_T1_T2_jT3_P12ihipStream_tbPNSt15iterator_traitsISN_E10value_typeEPNST_ISO_E10value_typeEPSP_NS1_7vsmem_tEENKUlT_SN_SO_SP_E_clIS8_S8_S9_S9_EESM_S12_SN_SO_SP_EUlS12_E0_NS1_11comp_targetILNS1_3genE5ELNS1_11target_archE942ELNS1_3gpuE9ELNS1_3repE0EEENS1_38merge_mergepath_config_static_selectorELNS0_4arch9wavefront6targetE1EEEvSO_,"axG",@progbits,_ZN7rocprim17ROCPRIM_400000_NS6detail17trampoline_kernelINS0_14default_configENS1_38merge_sort_block_merge_config_selectorIlNS0_10empty_typeEEEZZNS1_27merge_sort_block_merge_implIS3_PlPS5_mZN2at6native12_GLOBAL__N_124unique_dim_cuda_templateIN3c108BFloat16EEESt5tupleIJNSA_6TensorESH_SH_EERKSH_lbbbEUlllE_EE10hipError_tT0_T1_T2_jT3_P12ihipStream_tbPNSt15iterator_traitsISN_E10value_typeEPNST_ISO_E10value_typeEPSP_NS1_7vsmem_tEENKUlT_SN_SO_SP_E_clIS8_S8_S9_S9_EESM_S12_SN_SO_SP_EUlS12_E0_NS1_11comp_targetILNS1_3genE5ELNS1_11target_archE942ELNS1_3gpuE9ELNS1_3repE0EEENS1_38merge_mergepath_config_static_selectorELNS0_4arch9wavefront6targetE1EEEvSO_,comdat
	.globl	_ZN7rocprim17ROCPRIM_400000_NS6detail17trampoline_kernelINS0_14default_configENS1_38merge_sort_block_merge_config_selectorIlNS0_10empty_typeEEEZZNS1_27merge_sort_block_merge_implIS3_PlPS5_mZN2at6native12_GLOBAL__N_124unique_dim_cuda_templateIN3c108BFloat16EEESt5tupleIJNSA_6TensorESH_SH_EERKSH_lbbbEUlllE_EE10hipError_tT0_T1_T2_jT3_P12ihipStream_tbPNSt15iterator_traitsISN_E10value_typeEPNST_ISO_E10value_typeEPSP_NS1_7vsmem_tEENKUlT_SN_SO_SP_E_clIS8_S8_S9_S9_EESM_S12_SN_SO_SP_EUlS12_E0_NS1_11comp_targetILNS1_3genE5ELNS1_11target_archE942ELNS1_3gpuE9ELNS1_3repE0EEENS1_38merge_mergepath_config_static_selectorELNS0_4arch9wavefront6targetE1EEEvSO_ ; -- Begin function _ZN7rocprim17ROCPRIM_400000_NS6detail17trampoline_kernelINS0_14default_configENS1_38merge_sort_block_merge_config_selectorIlNS0_10empty_typeEEEZZNS1_27merge_sort_block_merge_implIS3_PlPS5_mZN2at6native12_GLOBAL__N_124unique_dim_cuda_templateIN3c108BFloat16EEESt5tupleIJNSA_6TensorESH_SH_EERKSH_lbbbEUlllE_EE10hipError_tT0_T1_T2_jT3_P12ihipStream_tbPNSt15iterator_traitsISN_E10value_typeEPNST_ISO_E10value_typeEPSP_NS1_7vsmem_tEENKUlT_SN_SO_SP_E_clIS8_S8_S9_S9_EESM_S12_SN_SO_SP_EUlS12_E0_NS1_11comp_targetILNS1_3genE5ELNS1_11target_archE942ELNS1_3gpuE9ELNS1_3repE0EEENS1_38merge_mergepath_config_static_selectorELNS0_4arch9wavefront6targetE1EEEvSO_
	.p2align	8
	.type	_ZN7rocprim17ROCPRIM_400000_NS6detail17trampoline_kernelINS0_14default_configENS1_38merge_sort_block_merge_config_selectorIlNS0_10empty_typeEEEZZNS1_27merge_sort_block_merge_implIS3_PlPS5_mZN2at6native12_GLOBAL__N_124unique_dim_cuda_templateIN3c108BFloat16EEESt5tupleIJNSA_6TensorESH_SH_EERKSH_lbbbEUlllE_EE10hipError_tT0_T1_T2_jT3_P12ihipStream_tbPNSt15iterator_traitsISN_E10value_typeEPNST_ISO_E10value_typeEPSP_NS1_7vsmem_tEENKUlT_SN_SO_SP_E_clIS8_S8_S9_S9_EESM_S12_SN_SO_SP_EUlS12_E0_NS1_11comp_targetILNS1_3genE5ELNS1_11target_archE942ELNS1_3gpuE9ELNS1_3repE0EEENS1_38merge_mergepath_config_static_selectorELNS0_4arch9wavefront6targetE1EEEvSO_,@function
_ZN7rocprim17ROCPRIM_400000_NS6detail17trampoline_kernelINS0_14default_configENS1_38merge_sort_block_merge_config_selectorIlNS0_10empty_typeEEEZZNS1_27merge_sort_block_merge_implIS3_PlPS5_mZN2at6native12_GLOBAL__N_124unique_dim_cuda_templateIN3c108BFloat16EEESt5tupleIJNSA_6TensorESH_SH_EERKSH_lbbbEUlllE_EE10hipError_tT0_T1_T2_jT3_P12ihipStream_tbPNSt15iterator_traitsISN_E10value_typeEPNST_ISO_E10value_typeEPSP_NS1_7vsmem_tEENKUlT_SN_SO_SP_E_clIS8_S8_S9_S9_EESM_S12_SN_SO_SP_EUlS12_E0_NS1_11comp_targetILNS1_3genE5ELNS1_11target_archE942ELNS1_3gpuE9ELNS1_3repE0EEENS1_38merge_mergepath_config_static_selectorELNS0_4arch9wavefront6targetE1EEEvSO_: ; @_ZN7rocprim17ROCPRIM_400000_NS6detail17trampoline_kernelINS0_14default_configENS1_38merge_sort_block_merge_config_selectorIlNS0_10empty_typeEEEZZNS1_27merge_sort_block_merge_implIS3_PlPS5_mZN2at6native12_GLOBAL__N_124unique_dim_cuda_templateIN3c108BFloat16EEESt5tupleIJNSA_6TensorESH_SH_EERKSH_lbbbEUlllE_EE10hipError_tT0_T1_T2_jT3_P12ihipStream_tbPNSt15iterator_traitsISN_E10value_typeEPNST_ISO_E10value_typeEPSP_NS1_7vsmem_tEENKUlT_SN_SO_SP_E_clIS8_S8_S9_S9_EESM_S12_SN_SO_SP_EUlS12_E0_NS1_11comp_targetILNS1_3genE5ELNS1_11target_archE942ELNS1_3gpuE9ELNS1_3repE0EEENS1_38merge_mergepath_config_static_selectorELNS0_4arch9wavefront6targetE1EEEvSO_
; %bb.0:
	.section	.rodata,"a",@progbits
	.p2align	6, 0x0
	.amdhsa_kernel _ZN7rocprim17ROCPRIM_400000_NS6detail17trampoline_kernelINS0_14default_configENS1_38merge_sort_block_merge_config_selectorIlNS0_10empty_typeEEEZZNS1_27merge_sort_block_merge_implIS3_PlPS5_mZN2at6native12_GLOBAL__N_124unique_dim_cuda_templateIN3c108BFloat16EEESt5tupleIJNSA_6TensorESH_SH_EERKSH_lbbbEUlllE_EE10hipError_tT0_T1_T2_jT3_P12ihipStream_tbPNSt15iterator_traitsISN_E10value_typeEPNST_ISO_E10value_typeEPSP_NS1_7vsmem_tEENKUlT_SN_SO_SP_E_clIS8_S8_S9_S9_EESM_S12_SN_SO_SP_EUlS12_E0_NS1_11comp_targetILNS1_3genE5ELNS1_11target_archE942ELNS1_3gpuE9ELNS1_3repE0EEENS1_38merge_mergepath_config_static_selectorELNS0_4arch9wavefront6targetE1EEEvSO_
		.amdhsa_group_segment_fixed_size 0
		.amdhsa_private_segment_fixed_size 0
		.amdhsa_kernarg_size 88
		.amdhsa_user_sgpr_count 6
		.amdhsa_user_sgpr_private_segment_buffer 1
		.amdhsa_user_sgpr_dispatch_ptr 0
		.amdhsa_user_sgpr_queue_ptr 0
		.amdhsa_user_sgpr_kernarg_segment_ptr 1
		.amdhsa_user_sgpr_dispatch_id 0
		.amdhsa_user_sgpr_flat_scratch_init 0
		.amdhsa_user_sgpr_kernarg_preload_length 0
		.amdhsa_user_sgpr_kernarg_preload_offset 0
		.amdhsa_user_sgpr_private_segment_size 0
		.amdhsa_uses_dynamic_stack 0
		.amdhsa_system_sgpr_private_segment_wavefront_offset 0
		.amdhsa_system_sgpr_workgroup_id_x 1
		.amdhsa_system_sgpr_workgroup_id_y 0
		.amdhsa_system_sgpr_workgroup_id_z 0
		.amdhsa_system_sgpr_workgroup_info 0
		.amdhsa_system_vgpr_workitem_id 0
		.amdhsa_next_free_vgpr 1
		.amdhsa_next_free_sgpr 0
		.amdhsa_accum_offset 4
		.amdhsa_reserve_vcc 0
		.amdhsa_reserve_flat_scratch 0
		.amdhsa_float_round_mode_32 0
		.amdhsa_float_round_mode_16_64 0
		.amdhsa_float_denorm_mode_32 3
		.amdhsa_float_denorm_mode_16_64 3
		.amdhsa_dx10_clamp 1
		.amdhsa_ieee_mode 1
		.amdhsa_fp16_overflow 0
		.amdhsa_tg_split 0
		.amdhsa_exception_fp_ieee_invalid_op 0
		.amdhsa_exception_fp_denorm_src 0
		.amdhsa_exception_fp_ieee_div_zero 0
		.amdhsa_exception_fp_ieee_overflow 0
		.amdhsa_exception_fp_ieee_underflow 0
		.amdhsa_exception_fp_ieee_inexact 0
		.amdhsa_exception_int_div_zero 0
	.end_amdhsa_kernel
	.section	.text._ZN7rocprim17ROCPRIM_400000_NS6detail17trampoline_kernelINS0_14default_configENS1_38merge_sort_block_merge_config_selectorIlNS0_10empty_typeEEEZZNS1_27merge_sort_block_merge_implIS3_PlPS5_mZN2at6native12_GLOBAL__N_124unique_dim_cuda_templateIN3c108BFloat16EEESt5tupleIJNSA_6TensorESH_SH_EERKSH_lbbbEUlllE_EE10hipError_tT0_T1_T2_jT3_P12ihipStream_tbPNSt15iterator_traitsISN_E10value_typeEPNST_ISO_E10value_typeEPSP_NS1_7vsmem_tEENKUlT_SN_SO_SP_E_clIS8_S8_S9_S9_EESM_S12_SN_SO_SP_EUlS12_E0_NS1_11comp_targetILNS1_3genE5ELNS1_11target_archE942ELNS1_3gpuE9ELNS1_3repE0EEENS1_38merge_mergepath_config_static_selectorELNS0_4arch9wavefront6targetE1EEEvSO_,"axG",@progbits,_ZN7rocprim17ROCPRIM_400000_NS6detail17trampoline_kernelINS0_14default_configENS1_38merge_sort_block_merge_config_selectorIlNS0_10empty_typeEEEZZNS1_27merge_sort_block_merge_implIS3_PlPS5_mZN2at6native12_GLOBAL__N_124unique_dim_cuda_templateIN3c108BFloat16EEESt5tupleIJNSA_6TensorESH_SH_EERKSH_lbbbEUlllE_EE10hipError_tT0_T1_T2_jT3_P12ihipStream_tbPNSt15iterator_traitsISN_E10value_typeEPNST_ISO_E10value_typeEPSP_NS1_7vsmem_tEENKUlT_SN_SO_SP_E_clIS8_S8_S9_S9_EESM_S12_SN_SO_SP_EUlS12_E0_NS1_11comp_targetILNS1_3genE5ELNS1_11target_archE942ELNS1_3gpuE9ELNS1_3repE0EEENS1_38merge_mergepath_config_static_selectorELNS0_4arch9wavefront6targetE1EEEvSO_,comdat
.Lfunc_end1134:
	.size	_ZN7rocprim17ROCPRIM_400000_NS6detail17trampoline_kernelINS0_14default_configENS1_38merge_sort_block_merge_config_selectorIlNS0_10empty_typeEEEZZNS1_27merge_sort_block_merge_implIS3_PlPS5_mZN2at6native12_GLOBAL__N_124unique_dim_cuda_templateIN3c108BFloat16EEESt5tupleIJNSA_6TensorESH_SH_EERKSH_lbbbEUlllE_EE10hipError_tT0_T1_T2_jT3_P12ihipStream_tbPNSt15iterator_traitsISN_E10value_typeEPNST_ISO_E10value_typeEPSP_NS1_7vsmem_tEENKUlT_SN_SO_SP_E_clIS8_S8_S9_S9_EESM_S12_SN_SO_SP_EUlS12_E0_NS1_11comp_targetILNS1_3genE5ELNS1_11target_archE942ELNS1_3gpuE9ELNS1_3repE0EEENS1_38merge_mergepath_config_static_selectorELNS0_4arch9wavefront6targetE1EEEvSO_, .Lfunc_end1134-_ZN7rocprim17ROCPRIM_400000_NS6detail17trampoline_kernelINS0_14default_configENS1_38merge_sort_block_merge_config_selectorIlNS0_10empty_typeEEEZZNS1_27merge_sort_block_merge_implIS3_PlPS5_mZN2at6native12_GLOBAL__N_124unique_dim_cuda_templateIN3c108BFloat16EEESt5tupleIJNSA_6TensorESH_SH_EERKSH_lbbbEUlllE_EE10hipError_tT0_T1_T2_jT3_P12ihipStream_tbPNSt15iterator_traitsISN_E10value_typeEPNST_ISO_E10value_typeEPSP_NS1_7vsmem_tEENKUlT_SN_SO_SP_E_clIS8_S8_S9_S9_EESM_S12_SN_SO_SP_EUlS12_E0_NS1_11comp_targetILNS1_3genE5ELNS1_11target_archE942ELNS1_3gpuE9ELNS1_3repE0EEENS1_38merge_mergepath_config_static_selectorELNS0_4arch9wavefront6targetE1EEEvSO_
                                        ; -- End function
	.section	.AMDGPU.csdata,"",@progbits
; Kernel info:
; codeLenInByte = 0
; NumSgprs: 4
; NumVgprs: 0
; NumAgprs: 0
; TotalNumVgprs: 0
; ScratchSize: 0
; MemoryBound: 0
; FloatMode: 240
; IeeeMode: 1
; LDSByteSize: 0 bytes/workgroup (compile time only)
; SGPRBlocks: 0
; VGPRBlocks: 0
; NumSGPRsForWavesPerEU: 4
; NumVGPRsForWavesPerEU: 1
; AccumOffset: 4
; Occupancy: 8
; WaveLimiterHint : 0
; COMPUTE_PGM_RSRC2:SCRATCH_EN: 0
; COMPUTE_PGM_RSRC2:USER_SGPR: 6
; COMPUTE_PGM_RSRC2:TRAP_HANDLER: 0
; COMPUTE_PGM_RSRC2:TGID_X_EN: 1
; COMPUTE_PGM_RSRC2:TGID_Y_EN: 0
; COMPUTE_PGM_RSRC2:TGID_Z_EN: 0
; COMPUTE_PGM_RSRC2:TIDIG_COMP_CNT: 0
; COMPUTE_PGM_RSRC3_GFX90A:ACCUM_OFFSET: 0
; COMPUTE_PGM_RSRC3_GFX90A:TG_SPLIT: 0
	.section	.text._ZN7rocprim17ROCPRIM_400000_NS6detail17trampoline_kernelINS0_14default_configENS1_38merge_sort_block_merge_config_selectorIlNS0_10empty_typeEEEZZNS1_27merge_sort_block_merge_implIS3_PlPS5_mZN2at6native12_GLOBAL__N_124unique_dim_cuda_templateIN3c108BFloat16EEESt5tupleIJNSA_6TensorESH_SH_EERKSH_lbbbEUlllE_EE10hipError_tT0_T1_T2_jT3_P12ihipStream_tbPNSt15iterator_traitsISN_E10value_typeEPNST_ISO_E10value_typeEPSP_NS1_7vsmem_tEENKUlT_SN_SO_SP_E_clIS8_S8_S9_S9_EESM_S12_SN_SO_SP_EUlS12_E0_NS1_11comp_targetILNS1_3genE4ELNS1_11target_archE910ELNS1_3gpuE8ELNS1_3repE0EEENS1_38merge_mergepath_config_static_selectorELNS0_4arch9wavefront6targetE1EEEvSO_,"axG",@progbits,_ZN7rocprim17ROCPRIM_400000_NS6detail17trampoline_kernelINS0_14default_configENS1_38merge_sort_block_merge_config_selectorIlNS0_10empty_typeEEEZZNS1_27merge_sort_block_merge_implIS3_PlPS5_mZN2at6native12_GLOBAL__N_124unique_dim_cuda_templateIN3c108BFloat16EEESt5tupleIJNSA_6TensorESH_SH_EERKSH_lbbbEUlllE_EE10hipError_tT0_T1_T2_jT3_P12ihipStream_tbPNSt15iterator_traitsISN_E10value_typeEPNST_ISO_E10value_typeEPSP_NS1_7vsmem_tEENKUlT_SN_SO_SP_E_clIS8_S8_S9_S9_EESM_S12_SN_SO_SP_EUlS12_E0_NS1_11comp_targetILNS1_3genE4ELNS1_11target_archE910ELNS1_3gpuE8ELNS1_3repE0EEENS1_38merge_mergepath_config_static_selectorELNS0_4arch9wavefront6targetE1EEEvSO_,comdat
	.globl	_ZN7rocprim17ROCPRIM_400000_NS6detail17trampoline_kernelINS0_14default_configENS1_38merge_sort_block_merge_config_selectorIlNS0_10empty_typeEEEZZNS1_27merge_sort_block_merge_implIS3_PlPS5_mZN2at6native12_GLOBAL__N_124unique_dim_cuda_templateIN3c108BFloat16EEESt5tupleIJNSA_6TensorESH_SH_EERKSH_lbbbEUlllE_EE10hipError_tT0_T1_T2_jT3_P12ihipStream_tbPNSt15iterator_traitsISN_E10value_typeEPNST_ISO_E10value_typeEPSP_NS1_7vsmem_tEENKUlT_SN_SO_SP_E_clIS8_S8_S9_S9_EESM_S12_SN_SO_SP_EUlS12_E0_NS1_11comp_targetILNS1_3genE4ELNS1_11target_archE910ELNS1_3gpuE8ELNS1_3repE0EEENS1_38merge_mergepath_config_static_selectorELNS0_4arch9wavefront6targetE1EEEvSO_ ; -- Begin function _ZN7rocprim17ROCPRIM_400000_NS6detail17trampoline_kernelINS0_14default_configENS1_38merge_sort_block_merge_config_selectorIlNS0_10empty_typeEEEZZNS1_27merge_sort_block_merge_implIS3_PlPS5_mZN2at6native12_GLOBAL__N_124unique_dim_cuda_templateIN3c108BFloat16EEESt5tupleIJNSA_6TensorESH_SH_EERKSH_lbbbEUlllE_EE10hipError_tT0_T1_T2_jT3_P12ihipStream_tbPNSt15iterator_traitsISN_E10value_typeEPNST_ISO_E10value_typeEPSP_NS1_7vsmem_tEENKUlT_SN_SO_SP_E_clIS8_S8_S9_S9_EESM_S12_SN_SO_SP_EUlS12_E0_NS1_11comp_targetILNS1_3genE4ELNS1_11target_archE910ELNS1_3gpuE8ELNS1_3repE0EEENS1_38merge_mergepath_config_static_selectorELNS0_4arch9wavefront6targetE1EEEvSO_
	.p2align	8
	.type	_ZN7rocprim17ROCPRIM_400000_NS6detail17trampoline_kernelINS0_14default_configENS1_38merge_sort_block_merge_config_selectorIlNS0_10empty_typeEEEZZNS1_27merge_sort_block_merge_implIS3_PlPS5_mZN2at6native12_GLOBAL__N_124unique_dim_cuda_templateIN3c108BFloat16EEESt5tupleIJNSA_6TensorESH_SH_EERKSH_lbbbEUlllE_EE10hipError_tT0_T1_T2_jT3_P12ihipStream_tbPNSt15iterator_traitsISN_E10value_typeEPNST_ISO_E10value_typeEPSP_NS1_7vsmem_tEENKUlT_SN_SO_SP_E_clIS8_S8_S9_S9_EESM_S12_SN_SO_SP_EUlS12_E0_NS1_11comp_targetILNS1_3genE4ELNS1_11target_archE910ELNS1_3gpuE8ELNS1_3repE0EEENS1_38merge_mergepath_config_static_selectorELNS0_4arch9wavefront6targetE1EEEvSO_,@function
_ZN7rocprim17ROCPRIM_400000_NS6detail17trampoline_kernelINS0_14default_configENS1_38merge_sort_block_merge_config_selectorIlNS0_10empty_typeEEEZZNS1_27merge_sort_block_merge_implIS3_PlPS5_mZN2at6native12_GLOBAL__N_124unique_dim_cuda_templateIN3c108BFloat16EEESt5tupleIJNSA_6TensorESH_SH_EERKSH_lbbbEUlllE_EE10hipError_tT0_T1_T2_jT3_P12ihipStream_tbPNSt15iterator_traitsISN_E10value_typeEPNST_ISO_E10value_typeEPSP_NS1_7vsmem_tEENKUlT_SN_SO_SP_E_clIS8_S8_S9_S9_EESM_S12_SN_SO_SP_EUlS12_E0_NS1_11comp_targetILNS1_3genE4ELNS1_11target_archE910ELNS1_3gpuE8ELNS1_3repE0EEENS1_38merge_mergepath_config_static_selectorELNS0_4arch9wavefront6targetE1EEEvSO_: ; @_ZN7rocprim17ROCPRIM_400000_NS6detail17trampoline_kernelINS0_14default_configENS1_38merge_sort_block_merge_config_selectorIlNS0_10empty_typeEEEZZNS1_27merge_sort_block_merge_implIS3_PlPS5_mZN2at6native12_GLOBAL__N_124unique_dim_cuda_templateIN3c108BFloat16EEESt5tupleIJNSA_6TensorESH_SH_EERKSH_lbbbEUlllE_EE10hipError_tT0_T1_T2_jT3_P12ihipStream_tbPNSt15iterator_traitsISN_E10value_typeEPNST_ISO_E10value_typeEPSP_NS1_7vsmem_tEENKUlT_SN_SO_SP_E_clIS8_S8_S9_S9_EESM_S12_SN_SO_SP_EUlS12_E0_NS1_11comp_targetILNS1_3genE4ELNS1_11target_archE910ELNS1_3gpuE8ELNS1_3repE0EEENS1_38merge_mergepath_config_static_selectorELNS0_4arch9wavefront6targetE1EEEvSO_
; %bb.0:
	s_load_dwordx2 s[22:23], s[4:5], 0x58
	s_load_dword s0, s[4:5], 0x38
	s_add_u32 s18, s4, 0x58
	s_addc_u32 s19, s5, 0
	s_waitcnt lgkmcnt(0)
	s_mul_i32 s1, s23, s8
	s_add_i32 s1, s1, s7
	s_mul_i32 s1, s1, s22
	s_add_i32 s20, s1, s6
	s_cmp_ge_u32 s20, s0
	s_cbranch_scc1 .LBB1135_81
; %bb.1:
	s_load_dwordx2 s[0:1], s[4:5], 0x50
	s_load_dwordx4 s[12:15], s[4:5], 0x8
	s_load_dwordx4 s[8:11], s[4:5], 0x28
	s_mov_b32 s21, 0
	s_lshl_b64 s[2:3], s[20:21], 3
	s_waitcnt lgkmcnt(0)
	s_add_u32 s0, s0, s2
	s_addc_u32 s1, s1, s3
	v_mov_b32_e32 v1, s10
	v_alignbit_b32 v1, s11, v1, 9
	v_readfirstlane_b32 s7, v1
	s_and_b32 s7, s7, -2
	s_sub_i32 s33, 0, s7
	s_and_b32 s26, s20, s33
	s_mov_b32 s27, s21
	s_lshl_b64 s[24:25], s[26:27], 10
	s_lshl_b64 s[16:17], s[20:21], 10
	s_sub_u32 s7, s16, s24
	s_load_dwordx4 s[0:3], s[0:1], 0x0
	s_subb_u32 s23, s17, s25
	s_lshl_b64 s[26:27], s[26:27], 11
	s_add_u32 s26, s26, s10
	s_addc_u32 s27, s27, s11
	s_add_u32 s7, s26, s7
	s_addc_u32 s23, s27, s23
	s_waitcnt lgkmcnt(0)
	s_sub_u32 s28, s7, s2
	s_subb_u32 s3, s23, s3
	s_add_u32 s28, s28, 0x400
	s_addc_u32 s29, s3, 0
	v_pk_mov_b32 v[2:3], s[28:29], s[28:29] op_sel:[0,1]
	v_cmp_lt_u64_e32 vcc, s[8:9], v[2:3]
	s_and_b64 s[30:31], vcc, exec
	s_cselect_b32 s3, s8, s28
	s_or_b32 s28, s20, s33
	s_cmp_lg_u32 s28, -1
	s_cbranch_scc1 .LBB1135_3
; %bb.2:
	s_sub_u32 s24, s26, s24
	s_subb_u32 s25, s27, s25
	v_pk_mov_b32 v[2:3], s[24:25], s[24:25] op_sel:[0,1]
	v_cmp_lt_u64_e32 vcc, s[8:9], v[2:3]
	s_and_b64 s[2:3], vcc, exec
	s_cselect_b32 s2, s8, s24
	s_add_u32 s10, s24, s10
	s_addc_u32 s11, s25, s11
	v_pk_mov_b32 v[2:3], s[10:11], s[10:11] op_sel:[0,1]
	v_cmp_lt_u64_e32 vcc, s[8:9], v[2:3]
	s_and_b64 s[24:25], vcc, exec
	s_cselect_b32 s3, s8, s10
.LBB1135_3:
	s_lshr_b64 s[26:27], s[8:9], 10
	s_cmp_lg_u64 s[26:27], s[20:21]
	s_cselect_b64 s[10:11], -1, 0
	s_sub_u32 s24, s7, s0
	s_subb_u32 s25, s23, s1
	v_pk_mov_b32 v[2:3], s[24:25], s[24:25] op_sel:[0,1]
	v_cmp_lt_u64_e32 vcc, s[8:9], v[2:3]
	s_and_b64 s[28:29], vcc, exec
	s_cselect_b32 s28, s8, s24
	s_cselect_b32 s29, s9, s25
	s_sub_i32 s9, s2, s0
	s_sub_i32 s23, s3, s28
	s_lshl_b64 s[0:1], s[0:1], 3
	s_add_u32 s24, s12, s0
	s_addc_u32 s25, s13, s1
	s_lshl_b64 s[0:1], s[28:29], 3
	s_add_u32 s7, s12, s0
	s_addc_u32 s12, s13, s1
	s_cmp_lt_u32 s6, s22
	v_mov_b32_e32 v9, 0
	s_cselect_b32 s0, 12, 18
	global_load_dword v1, v9, s[18:19] offset:14
	s_add_u32 s0, s18, s0
	s_addc_u32 s1, s19, 0
	global_load_ushort v2, v9, s[0:1]
	s_cmp_eq_u64 s[26:27], s[20:21]
	s_waitcnt vmcnt(1)
	v_lshrrev_b32_e32 v3, 16, v1
	v_and_b32_e32 v1, 0xffff, v1
	v_mul_lo_u32 v1, v1, v3
	s_waitcnt vmcnt(0)
	v_mul_lo_u32 v12, v1, v2
	v_lshlrev_b32_e32 v1, 3, v0
	s_cbranch_scc1 .LBB1135_5
; %bb.4:
	v_mov_b32_e32 v2, s25
	v_add_co_u32_e32 v4, vcc, s24, v1
	v_subrev_u32_e32 v8, s9, v0
	v_addc_co_u32_e32 v5, vcc, 0, v2, vcc
	v_lshlrev_b64 v[2:3], 3, v[8:9]
	v_mov_b32_e32 v6, s12
	v_add_co_u32_e32 v2, vcc, s7, v2
	v_addc_co_u32_e32 v3, vcc, v6, v3, vcc
	v_cmp_gt_u32_e32 vcc, s9, v0
	v_add_u32_e32 v8, v12, v0
	v_cndmask_b32_e32 v3, v3, v5, vcc
	v_cndmask_b32_e32 v2, v2, v4, vcc
	v_lshlrev_b64 v[4:5], 3, v[8:9]
	v_mov_b32_e32 v6, s25
	v_add_co_u32_e32 v7, vcc, s24, v4
	v_addc_co_u32_e32 v6, vcc, v6, v5, vcc
	v_subrev_u32_e32 v4, s9, v8
	v_mov_b32_e32 v5, v9
	v_lshlrev_b64 v[4:5], 3, v[4:5]
	v_mov_b32_e32 v10, s12
	v_add_co_u32_e32 v4, vcc, s7, v4
	v_addc_co_u32_e32 v5, vcc, v10, v5, vcc
	v_cmp_gt_u32_e32 vcc, s9, v8
	v_add_u32_e32 v8, v8, v12
	v_cndmask_b32_e32 v5, v5, v6, vcc
	v_cndmask_b32_e32 v4, v4, v7, vcc
	v_lshlrev_b64 v[6:7], 3, v[8:9]
	v_mov_b32_e32 v10, s25
	v_add_co_u32_e32 v11, vcc, s24, v6
	v_addc_co_u32_e32 v10, vcc, v10, v7, vcc
	v_subrev_u32_e32 v6, s9, v8
	v_mov_b32_e32 v7, v9
	v_lshlrev_b64 v[6:7], 3, v[6:7]
	v_mov_b32_e32 v13, s12
	v_add_co_u32_e32 v6, vcc, s7, v6
	v_addc_co_u32_e32 v7, vcc, v13, v7, vcc
	v_cmp_gt_u32_e32 vcc, s9, v8
	v_add_u32_e32 v8, v8, v12
	v_cndmask_b32_e32 v7, v7, v10, vcc
	v_cndmask_b32_e32 v6, v6, v11, vcc
	v_lshlrev_b64 v[10:11], 3, v[8:9]
	v_mov_b32_e32 v13, s25
	v_add_co_u32_e32 v10, vcc, s24, v10
	v_addc_co_u32_e32 v11, vcc, v13, v11, vcc
	v_cmp_gt_u32_e32 vcc, s9, v8
	v_subrev_u32_e32 v8, s9, v8
	v_lshlrev_b64 v[8:9], 3, v[8:9]
	v_mov_b32_e32 v13, s12
	v_add_co_u32_e64 v8, s[0:1], s7, v8
	v_addc_co_u32_e64 v9, s[0:1], v13, v9, s[0:1]
	v_cndmask_b32_e32 v9, v9, v11, vcc
	v_cndmask_b32_e32 v8, v8, v10, vcc
	global_load_dwordx2 v[2:3], v[2:3], off
	s_add_i32 s33, s9, s23
	global_load_dwordx2 v[4:5], v[4:5], off
	s_nop 0
	global_load_dwordx2 v[6:7], v[6:7], off
	s_nop 0
	global_load_dwordx2 v[8:9], v[8:9], off
	s_cbranch_execz .LBB1135_6
	s_branch .LBB1135_15
.LBB1135_5:
                                        ; implicit-def: $vgpr2_vgpr3_vgpr4_vgpr5_vgpr6_vgpr7_vgpr8_vgpr9
                                        ; implicit-def: $sgpr33
.LBB1135_6:
	s_add_i32 s33, s9, s23
	v_cmp_gt_u32_e32 vcc, s33, v0
                                        ; implicit-def: $vgpr2_vgpr3_vgpr4_vgpr5_vgpr6_vgpr7_vgpr8_vgpr9
	s_and_saveexec_b64 s[0:1], vcc
	s_cbranch_execz .LBB1135_8
; %bb.7:
	s_waitcnt vmcnt(3)
	v_mov_b32_e32 v2, s25
	s_waitcnt vmcnt(2)
	v_add_co_u32_e32 v4, vcc, s24, v1
	v_mov_b32_e32 v3, 0
	v_addc_co_u32_e32 v5, vcc, 0, v2, vcc
	v_subrev_u32_e32 v2, s9, v0
	v_lshlrev_b64 v[2:3], 3, v[2:3]
	s_waitcnt vmcnt(1)
	v_mov_b32_e32 v6, s12
	v_add_co_u32_e32 v2, vcc, s7, v2
	v_addc_co_u32_e32 v3, vcc, v6, v3, vcc
	v_cmp_gt_u32_e32 vcc, s9, v0
	v_cndmask_b32_e32 v3, v3, v5, vcc
	v_cndmask_b32_e32 v2, v2, v4, vcc
	global_load_dwordx2 v[2:3], v[2:3], off
.LBB1135_8:
	s_or_b64 exec, exec, s[0:1]
	v_add_u32_e32 v10, v12, v0
	v_cmp_gt_u32_e32 vcc, s33, v10
	s_and_saveexec_b64 s[0:1], vcc
	s_cbranch_execz .LBB1135_10
; %bb.9:
	v_mov_b32_e32 v11, 0
	s_waitcnt vmcnt(2)
	v_lshlrev_b64 v[4:5], 3, v[10:11]
	v_mov_b32_e32 v13, s25
	v_add_co_u32_e32 v14, vcc, s24, v4
	v_addc_co_u32_e32 v13, vcc, v13, v5, vcc
	v_subrev_u32_e32 v4, s9, v10
	v_mov_b32_e32 v5, v11
	v_lshlrev_b64 v[4:5], 3, v[4:5]
	v_mov_b32_e32 v11, s12
	v_add_co_u32_e32 v4, vcc, s7, v4
	v_addc_co_u32_e32 v5, vcc, v11, v5, vcc
	v_cmp_gt_u32_e32 vcc, s9, v10
	v_cndmask_b32_e32 v5, v5, v13, vcc
	v_cndmask_b32_e32 v4, v4, v14, vcc
	global_load_dwordx2 v[4:5], v[4:5], off
.LBB1135_10:
	s_or_b64 exec, exec, s[0:1]
	v_add_u32_e32 v10, v10, v12
	v_cmp_gt_u32_e32 vcc, s33, v10
	s_and_saveexec_b64 s[0:1], vcc
	s_cbranch_execz .LBB1135_12
; %bb.11:
	v_mov_b32_e32 v11, 0
	s_waitcnt vmcnt(1)
	v_lshlrev_b64 v[6:7], 3, v[10:11]
	v_mov_b32_e32 v13, s25
	v_add_co_u32_e32 v14, vcc, s24, v6
	v_addc_co_u32_e32 v13, vcc, v13, v7, vcc
	v_subrev_u32_e32 v6, s9, v10
	v_mov_b32_e32 v7, v11
	v_lshlrev_b64 v[6:7], 3, v[6:7]
	v_mov_b32_e32 v11, s12
	v_add_co_u32_e32 v6, vcc, s7, v6
	v_addc_co_u32_e32 v7, vcc, v11, v7, vcc
	v_cmp_gt_u32_e32 vcc, s9, v10
	v_cndmask_b32_e32 v7, v7, v13, vcc
	v_cndmask_b32_e32 v6, v6, v14, vcc
	global_load_dwordx2 v[6:7], v[6:7], off
.LBB1135_12:
	s_or_b64 exec, exec, s[0:1]
	v_add_u32_e32 v10, v10, v12
	v_cmp_gt_u32_e32 vcc, s33, v10
	s_and_saveexec_b64 s[2:3], vcc
	s_cbranch_execz .LBB1135_14
; %bb.13:
	v_mov_b32_e32 v11, 0
	s_waitcnt vmcnt(0)
	v_lshlrev_b64 v[8:9], 3, v[10:11]
	v_mov_b32_e32 v12, s25
	v_add_co_u32_e32 v13, vcc, s24, v8
	v_addc_co_u32_e32 v12, vcc, v12, v9, vcc
	v_cmp_gt_u32_e32 vcc, s9, v10
	v_subrev_u32_e32 v10, s9, v10
	v_lshlrev_b64 v[8:9], 3, v[10:11]
	v_mov_b32_e32 v10, s12
	v_add_co_u32_e64 v8, s[0:1], s7, v8
	v_addc_co_u32_e64 v9, s[0:1], v10, v9, s[0:1]
	v_cndmask_b32_e32 v9, v9, v12, vcc
	v_cndmask_b32_e32 v8, v8, v13, vcc
	global_load_dwordx2 v[8:9], v[8:9], off
.LBB1135_14:
	s_or_b64 exec, exec, s[2:3]
.LBB1135_15:
	s_load_dwordx4 s[4:7], s[4:5], 0x40
	v_lshlrev_b32_e32 v14, 2, v0
	v_min_u32_e32 v16, s33, v14
	v_sub_u32_e64 v15, v16, s23 clamp
	v_min_u32_e32 v17, s9, v16
	v_cmp_lt_u32_e32 vcc, v15, v17
	s_waitcnt vmcnt(0)
	ds_write2st64_b64 v1, v[2:3], v[4:5] offset1:4
	ds_write2st64_b64 v1, v[6:7], v[8:9] offset0:8 offset1:12
	s_waitcnt lgkmcnt(0)
	s_barrier
	s_and_saveexec_b64 s[2:3], vcc
	s_cbranch_execz .LBB1135_27
; %bb.16:
	v_lshlrev_b32_e32 v10, 3, v16
	v_cmp_gt_i64_e64 s[0:1], s[4:5], 0
	v_lshl_add_u32 v18, s9, 3, v10
	v_cndmask_b32_e64 v10, 0, 1, s[0:1]
	s_mov_b64 s[12:13], 0
	s_lshl_b64 s[18:19], s[4:5], 1
	v_cmp_ne_u32_e64 s[0:1], 1, v10
	s_branch .LBB1135_19
.LBB1135_17:                            ;   in Loop: Header=BB1135_19 Depth=1
	s_or_b64 exec, exec, s[22:23]
.LBB1135_18:                            ;   in Loop: Header=BB1135_19 Depth=1
	v_add_u32_e32 v10, 1, v19
	v_cndmask_b32_e64 v17, v17, v19, s[20:21]
	v_cndmask_b32_e64 v15, v10, v15, s[20:21]
	v_cmp_ge_u32_e32 vcc, v15, v17
	s_or_b64 s[12:13], vcc, s[12:13]
	s_andn2_b64 exec, exec, s[12:13]
	s_cbranch_execz .LBB1135_26
.LBB1135_19:                            ; =>This Loop Header: Depth=1
                                        ;     Child Loop BB1135_22 Depth 2
	v_add_u32_e32 v10, v17, v15
	v_lshrrev_b32_e32 v19, 1, v10
	s_and_b64 vcc, exec, s[0:1]
	s_mov_b64 s[20:21], 0
	s_cbranch_vccnz .LBB1135_18
; %bb.20:                               ;   in Loop: Header=BB1135_19 Depth=1
	v_not_b32_e32 v10, v19
	v_lshl_add_u32 v10, v10, 3, v18
	ds_read_b64 v[10:11], v10
	v_lshlrev_b32_e32 v20, 3, v19
	ds_read_b64 v[20:21], v20
	v_pk_mov_b32 v[12:13], s[6:7], s[6:7] op_sel:[0,1]
	s_mov_b64 s[22:23], 0
	s_waitcnt lgkmcnt(1)
	v_mul_lo_u32 v22, s18, v11
	v_mul_lo_u32 v23, s19, v10
	v_mad_u64_u32 v[10:11], s[20:21], s18, v10, v[12:13]
	v_add3_u32 v11, v23, v11, v22
	s_waitcnt lgkmcnt(0)
	v_mul_lo_u32 v21, s18, v21
	v_mul_lo_u32 v22, s19, v20
	v_mad_u64_u32 v[12:13], s[20:21], s18, v20, v[12:13]
	v_add3_u32 v13, v22, v13, v21
	s_mov_b64 s[26:27], s[4:5]
                                        ; implicit-def: $sgpr20_sgpr21
                                        ; implicit-def: $sgpr24_sgpr25
                                        ; implicit-def: $sgpr28_sgpr29
	s_branch .LBB1135_22
.LBB1135_21:                            ;   in Loop: Header=BB1135_22 Depth=2
	s_or_b64 exec, exec, s[36:37]
	s_and_b64 s[30:31], exec, s[30:31]
	s_or_b64 s[22:23], s[30:31], s[22:23]
	s_andn2_b64 s[20:21], s[20:21], exec
	s_and_b64 s[30:31], s[24:25], exec
	s_or_b64 s[20:21], s[20:21], s[30:31]
	s_andn2_b64 exec, exec, s[22:23]
	s_cbranch_execz .LBB1135_17
.LBB1135_22:                            ;   Parent Loop BB1135_19 Depth=1
                                        ; =>  This Inner Loop Header: Depth=2
	global_load_ushort v20, v[10:11], off
	global_load_ushort v21, v[12:13], off
	s_mov_b64 s[30:31], -1
	s_mov_b64 s[38:39], 0
	s_mov_b64 s[34:35], -1
	s_waitcnt vmcnt(1)
	v_lshlrev_b32_e32 v20, 16, v20
	s_waitcnt vmcnt(0)
	v_lshlrev_b32_e32 v21, 16, v21
	v_cmp_nlt_f32_e32 vcc, v20, v21
	s_and_saveexec_b64 s[36:37], vcc
; %bb.23:                               ;   in Loop: Header=BB1135_22 Depth=2
	v_cmp_ngt_f32_e32 vcc, v20, v21
	s_and_b64 s[28:29], vcc, s[28:29]
	s_orn2_b64 s[34:35], s[28:29], exec
	s_and_b64 s[38:39], vcc, exec
; %bb.24:                               ;   in Loop: Header=BB1135_22 Depth=2
	s_or_b64 exec, exec, s[36:37]
	s_andn2_b64 s[24:25], s[24:25], exec
	s_and_b64 s[28:29], s[34:35], exec
	s_or_b64 s[24:25], s[24:25], s[28:29]
                                        ; implicit-def: $sgpr28_sgpr29
	s_and_saveexec_b64 s[36:37], s[38:39]
	s_cbranch_execz .LBB1135_21
; %bb.25:                               ;   in Loop: Header=BB1135_22 Depth=2
	s_add_u32 s26, s26, -1
	v_add_co_u32_e32 v10, vcc, 2, v10
	s_addc_u32 s27, s27, -1
	v_addc_co_u32_e32 v11, vcc, 0, v11, vcc
	s_cmp_eq_u64 s[26:27], 0
	v_add_co_u32_e32 v12, vcc, 2, v12
	s_cselect_b64 s[30:31], -1, 0
	v_addc_co_u32_e32 v13, vcc, 0, v13, vcc
	s_andn2_b64 s[24:25], s[24:25], exec
	s_and_b64 s[28:29], s[34:35], exec
	s_orn2_b64 s[30:31], s[30:31], exec
	s_branch .LBB1135_21
.LBB1135_26:
	s_or_b64 exec, exec, s[12:13]
.LBB1135_27:
	s_or_b64 exec, exec, s[2:3]
	v_sub_u32_e32 v10, v16, v15
	v_add_u32_e32 v16, s9, v10
	v_cmp_ge_u32_e32 vcc, s9, v15
	v_cmp_ge_u32_e64 s[0:1], s33, v16
	s_or_b64 s[0:1], vcc, s[0:1]
	s_and_saveexec_b64 s[12:13], s[0:1]
	s_cbranch_execz .LBB1135_71
; %bb.28:
	v_cmp_le_u32_e32 vcc, s9, v15
	v_cmp_gt_u32_e64 s[0:1], s9, v15
                                        ; implicit-def: $vgpr2_vgpr3
	s_and_saveexec_b64 s[2:3], s[0:1]
	s_cbranch_execz .LBB1135_30
; %bb.29:
	v_lshlrev_b32_e32 v2, 3, v15
	ds_read_b64 v[2:3], v2
.LBB1135_30:
	s_or_b64 exec, exec, s[2:3]
	v_cmp_le_u32_e64 s[0:1], s33, v16
	v_cmp_gt_u32_e64 s[2:3], s33, v16
                                        ; implicit-def: $vgpr8_vgpr9
	s_and_saveexec_b64 s[18:19], s[2:3]
	s_cbranch_execz .LBB1135_32
; %bb.31:
	v_lshlrev_b32_e32 v4, 3, v16
	ds_read_b64 v[8:9], v4
.LBB1135_32:
	s_or_b64 exec, exec, s[18:19]
	v_cmp_lt_i64_e64 s[2:3], s[4:5], 1
	s_or_b64 s[18:19], vcc, s[0:1]
	s_or_b64 s[18:19], s[18:19], s[2:3]
	s_xor_b64 s[20:21], s[18:19], -1
	s_xor_b64 s[18:19], vcc, -1
	s_or_b64 s[0:1], s[0:1], s[18:19]
	s_and_saveexec_b64 s[18:19], s[20:21]
	s_cbranch_execz .LBB1135_40
; %bb.33:
	s_waitcnt lgkmcnt(0)
	v_mul_lo_u32 v6, v9, s4
	v_mul_lo_u32 v7, v8, s5
	v_mad_u64_u32 v[4:5], s[20:21], v8, s4, 0
	v_add3_u32 v5, v5, v7, v6
	v_lshlrev_b64 v[4:5], 1, v[4:5]
	v_mov_b32_e32 v6, s7
	v_add_co_u32_e32 v4, vcc, s6, v4
	v_addc_co_u32_e32 v5, vcc, v6, v5, vcc
	v_mul_lo_u32 v10, v3, s4
	v_mul_lo_u32 v11, v2, s5
	v_mad_u64_u32 v[6:7], s[20:21], v2, s4, 0
	v_add3_u32 v7, v7, v11, v10
	v_lshlrev_b64 v[6:7], 1, v[6:7]
	v_mov_b32_e32 v10, s7
	v_add_co_u32_e32 v6, vcc, s6, v6
	v_addc_co_u32_e32 v7, vcc, v10, v7, vcc
	s_mov_b64 s[20:21], 0
	s_mov_b64 s[26:27], s[4:5]
                                        ; implicit-def: $sgpr22_sgpr23
                                        ; implicit-def: $sgpr24_sgpr25
                                        ; implicit-def: $sgpr28_sgpr29
	s_branch .LBB1135_35
.LBB1135_34:                            ;   in Loop: Header=BB1135_35 Depth=1
	s_or_b64 exec, exec, s[34:35]
	s_and_b64 s[30:31], exec, s[36:37]
	s_or_b64 s[20:21], s[30:31], s[20:21]
	s_andn2_b64 s[22:23], s[22:23], exec
	s_and_b64 s[30:31], s[24:25], exec
	s_or_b64 s[22:23], s[22:23], s[30:31]
	s_andn2_b64 exec, exec, s[20:21]
	s_cbranch_execz .LBB1135_39
.LBB1135_35:                            ; =>This Inner Loop Header: Depth=1
	global_load_ushort v10, v[4:5], off
	global_load_ushort v11, v[6:7], off
	s_mov_b64 s[38:39], 0
	s_mov_b64 s[30:31], -1
	s_waitcnt vmcnt(1)
	v_lshlrev_b32_e32 v10, 16, v10
	s_waitcnt vmcnt(0)
	v_lshlrev_b32_e32 v11, 16, v11
	v_cmp_nlt_f32_e32 vcc, v10, v11
	s_and_saveexec_b64 s[34:35], vcc
; %bb.36:                               ;   in Loop: Header=BB1135_35 Depth=1
	v_cmp_ngt_f32_e32 vcc, v10, v11
	s_and_b64 s[28:29], vcc, s[28:29]
	s_orn2_b64 s[30:31], s[28:29], exec
	s_and_b64 s[38:39], vcc, exec
; %bb.37:                               ;   in Loop: Header=BB1135_35 Depth=1
	s_or_b64 exec, exec, s[34:35]
	s_andn2_b64 s[24:25], s[24:25], exec
	s_and_b64 s[28:29], s[30:31], exec
	s_mov_b64 s[36:37], -1
	s_or_b64 s[24:25], s[24:25], s[28:29]
                                        ; implicit-def: $sgpr28_sgpr29
	s_and_saveexec_b64 s[34:35], s[38:39]
	s_cbranch_execz .LBB1135_34
; %bb.38:                               ;   in Loop: Header=BB1135_35 Depth=1
	s_add_u32 s26, s26, -1
	v_add_co_u32_e32 v4, vcc, 2, v4
	s_addc_u32 s27, s27, -1
	v_addc_co_u32_e32 v5, vcc, 0, v5, vcc
	s_cmp_eq_u64 s[26:27], 0
	v_add_co_u32_e32 v6, vcc, 2, v6
	s_cselect_b64 s[36:37], -1, 0
	v_addc_co_u32_e32 v7, vcc, 0, v7, vcc
	s_and_b64 s[28:29], s[30:31], exec
	s_andn2_b64 s[24:25], s[24:25], exec
	s_orn2_b64 s[36:37], s[36:37], exec
	s_branch .LBB1135_34
.LBB1135_39:
	s_or_b64 exec, exec, s[20:21]
	s_xor_b64 s[20:21], s[22:23], -1
	s_andn2_b64 s[0:1], s[0:1], exec
	s_and_b64 s[20:21], s[20:21], exec
	s_or_b64 s[0:1], s[0:1], s[20:21]
.LBB1135_40:
	s_or_b64 exec, exec, s[18:19]
	v_mov_b32_e32 v5, s33
	v_mov_b32_e32 v6, s9
	v_cndmask_b32_e64 v4, v16, v15, s[0:1]
	v_cndmask_b32_e64 v5, v5, v6, s[0:1]
	v_add_u32_e32 v6, 1, v4
	v_add_u32_e32 v4, -1, v5
	v_min_u32_e32 v4, v6, v4
	v_lshlrev_b32_e32 v4, 3, v4
	ds_read_b64 v[4:5], v4
	v_cndmask_b32_e64 v19, v6, v16, s[0:1]
	v_cndmask_b32_e64 v20, v15, v6, s[0:1]
	v_cmp_gt_u32_e32 vcc, s33, v19
	s_mov_b64 s[20:21], -1
	s_waitcnt lgkmcnt(0)
	v_cndmask_b32_e64 v10, v5, v9, s[0:1]
	v_cndmask_b32_e64 v11, v4, v8, s[0:1]
	;; [unrolled: 1-line block ×4, first 2 shown]
	s_mov_b64 s[18:19], -1
	s_and_saveexec_b64 s[22:23], vcc
	s_cbranch_execz .LBB1135_50
; %bb.41:
	v_cmp_gt_u32_e64 s[18:19], s9, v20
	s_xor_b64 s[24:25], s[2:3], -1
	s_and_b64 s[26:27], s[18:19], s[24:25]
	s_and_saveexec_b64 s[24:25], s[26:27]
	s_cbranch_execz .LBB1135_49
; %bb.42:
	v_mul_lo_u32 v6, v10, s4
	v_mul_lo_u32 v7, v11, s5
	v_mad_u64_u32 v[4:5], s[26:27], v11, s4, 0
	v_add3_u32 v5, v5, v7, v6
	v_lshlrev_b64 v[4:5], 1, v[4:5]
	v_mov_b32_e32 v6, s7
	v_add_co_u32_e32 v4, vcc, s6, v4
	v_addc_co_u32_e32 v5, vcc, v6, v5, vcc
	v_mul_lo_u32 v15, v12, s4
	v_mul_lo_u32 v16, v13, s5
	v_mad_u64_u32 v[6:7], s[26:27], v13, s4, 0
	v_add3_u32 v7, v7, v16, v15
	v_lshlrev_b64 v[6:7], 1, v[6:7]
	v_mov_b32_e32 v15, s7
	v_add_co_u32_e32 v6, vcc, s6, v6
	v_addc_co_u32_e32 v7, vcc, v15, v7, vcc
	s_mov_b64 s[26:27], 0
	s_mov_b64 s[34:35], s[4:5]
                                        ; implicit-def: $sgpr28_sgpr29
                                        ; implicit-def: $sgpr30_sgpr31
                                        ; implicit-def: $sgpr36_sgpr37
	s_branch .LBB1135_44
.LBB1135_43:                            ;   in Loop: Header=BB1135_44 Depth=1
	s_or_b64 exec, exec, s[40:41]
	s_and_b64 s[38:39], exec, s[42:43]
	s_or_b64 s[26:27], s[38:39], s[26:27]
	s_andn2_b64 s[28:29], s[28:29], exec
	s_and_b64 s[38:39], s[30:31], exec
	s_or_b64 s[28:29], s[28:29], s[38:39]
	s_andn2_b64 exec, exec, s[26:27]
	s_cbranch_execz .LBB1135_48
.LBB1135_44:                            ; =>This Inner Loop Header: Depth=1
	global_load_ushort v15, v[4:5], off
	global_load_ushort v16, v[6:7], off
	s_mov_b64 s[44:45], 0
	s_mov_b64 s[38:39], -1
	s_waitcnt vmcnt(1)
	v_lshlrev_b32_e32 v15, 16, v15
	s_waitcnt vmcnt(0)
	v_lshlrev_b32_e32 v16, 16, v16
	v_cmp_nlt_f32_e32 vcc, v15, v16
	s_and_saveexec_b64 s[40:41], vcc
; %bb.45:                               ;   in Loop: Header=BB1135_44 Depth=1
	v_cmp_ngt_f32_e32 vcc, v15, v16
	s_and_b64 s[36:37], vcc, s[36:37]
	s_orn2_b64 s[38:39], s[36:37], exec
	s_and_b64 s[44:45], vcc, exec
; %bb.46:                               ;   in Loop: Header=BB1135_44 Depth=1
	s_or_b64 exec, exec, s[40:41]
	s_andn2_b64 s[30:31], s[30:31], exec
	s_and_b64 s[36:37], s[38:39], exec
	s_mov_b64 s[42:43], -1
	s_or_b64 s[30:31], s[30:31], s[36:37]
                                        ; implicit-def: $sgpr36_sgpr37
	s_and_saveexec_b64 s[40:41], s[44:45]
	s_cbranch_execz .LBB1135_43
; %bb.47:                               ;   in Loop: Header=BB1135_44 Depth=1
	s_add_u32 s34, s34, -1
	v_add_co_u32_e32 v4, vcc, 2, v4
	s_addc_u32 s35, s35, -1
	v_addc_co_u32_e32 v5, vcc, 0, v5, vcc
	s_cmp_eq_u64 s[34:35], 0
	v_add_co_u32_e32 v6, vcc, 2, v6
	s_cselect_b64 s[42:43], -1, 0
	v_addc_co_u32_e32 v7, vcc, 0, v7, vcc
	s_and_b64 s[36:37], s[38:39], exec
	s_andn2_b64 s[30:31], s[30:31], exec
	s_orn2_b64 s[42:43], s[42:43], exec
	s_branch .LBB1135_43
.LBB1135_48:
	s_or_b64 exec, exec, s[26:27]
	s_xor_b64 s[26:27], s[28:29], -1
	s_andn2_b64 s[18:19], s[18:19], exec
	s_and_b64 s[26:27], s[26:27], exec
	s_or_b64 s[18:19], s[18:19], s[26:27]
.LBB1135_49:
	s_or_b64 exec, exec, s[24:25]
	s_orn2_b64 s[18:19], s[18:19], exec
.LBB1135_50:
	s_or_b64 exec, exec, s[22:23]
	v_mov_b32_e32 v5, s33
	v_mov_b32_e32 v6, s9
	v_cndmask_b32_e64 v4, v19, v20, s[18:19]
	v_cndmask_b32_e64 v5, v5, v6, s[18:19]
	v_add_u32_e32 v6, 1, v4
	v_add_u32_e32 v4, -1, v5
	v_min_u32_e32 v4, v6, v4
	v_lshlrev_b32_e32 v4, 3, v4
	ds_read_b64 v[4:5], v4
	v_cndmask_b32_e64 v24, v6, v19, s[18:19]
	v_cndmask_b32_e64 v19, v20, v6, s[18:19]
	v_cmp_gt_u32_e32 vcc, s33, v24
	s_waitcnt lgkmcnt(0)
	v_cndmask_b32_e64 v15, v5, v10, s[18:19]
	v_cndmask_b32_e64 v16, v4, v11, s[18:19]
	;; [unrolled: 1-line block ×4, first 2 shown]
	s_and_saveexec_b64 s[22:23], vcc
	s_cbranch_execz .LBB1135_60
; %bb.51:
	v_cmp_gt_u32_e64 s[20:21], s9, v19
	s_xor_b64 s[24:25], s[2:3], -1
	s_and_b64 s[26:27], s[20:21], s[24:25]
	s_and_saveexec_b64 s[24:25], s[26:27]
	s_cbranch_execz .LBB1135_59
; %bb.52:
	v_mul_lo_u32 v6, v15, s4
	v_mul_lo_u32 v7, v16, s5
	v_mad_u64_u32 v[4:5], s[26:27], v16, s4, 0
	v_add3_u32 v5, v5, v7, v6
	v_lshlrev_b64 v[4:5], 1, v[4:5]
	v_mov_b32_e32 v6, s7
	v_add_co_u32_e32 v4, vcc, s6, v4
	v_addc_co_u32_e32 v5, vcc, v6, v5, vcc
	v_mul_lo_u32 v20, v17, s4
	v_mul_lo_u32 v21, v18, s5
	v_mad_u64_u32 v[6:7], s[26:27], v18, s4, 0
	v_add3_u32 v7, v7, v21, v20
	v_lshlrev_b64 v[6:7], 1, v[6:7]
	v_mov_b32_e32 v20, s7
	v_add_co_u32_e32 v6, vcc, s6, v6
	v_addc_co_u32_e32 v7, vcc, v20, v7, vcc
	s_mov_b64 s[26:27], 0
	s_mov_b64 s[34:35], s[4:5]
                                        ; implicit-def: $sgpr28_sgpr29
                                        ; implicit-def: $sgpr30_sgpr31
                                        ; implicit-def: $sgpr36_sgpr37
	s_branch .LBB1135_54
.LBB1135_53:                            ;   in Loop: Header=BB1135_54 Depth=1
	s_or_b64 exec, exec, s[40:41]
	s_and_b64 s[38:39], exec, s[42:43]
	s_or_b64 s[26:27], s[38:39], s[26:27]
	s_andn2_b64 s[28:29], s[28:29], exec
	s_and_b64 s[38:39], s[30:31], exec
	s_or_b64 s[28:29], s[28:29], s[38:39]
	s_andn2_b64 exec, exec, s[26:27]
	s_cbranch_execz .LBB1135_58
.LBB1135_54:                            ; =>This Inner Loop Header: Depth=1
	global_load_ushort v20, v[4:5], off
	global_load_ushort v21, v[6:7], off
	s_mov_b64 s[44:45], 0
	s_mov_b64 s[38:39], -1
	s_waitcnt vmcnt(1)
	v_lshlrev_b32_e32 v20, 16, v20
	s_waitcnt vmcnt(0)
	v_lshlrev_b32_e32 v21, 16, v21
	v_cmp_nlt_f32_e32 vcc, v20, v21
	s_and_saveexec_b64 s[40:41], vcc
; %bb.55:                               ;   in Loop: Header=BB1135_54 Depth=1
	v_cmp_ngt_f32_e32 vcc, v20, v21
	s_and_b64 s[36:37], vcc, s[36:37]
	s_orn2_b64 s[38:39], s[36:37], exec
	s_and_b64 s[44:45], vcc, exec
; %bb.56:                               ;   in Loop: Header=BB1135_54 Depth=1
	s_or_b64 exec, exec, s[40:41]
	s_andn2_b64 s[30:31], s[30:31], exec
	s_and_b64 s[36:37], s[38:39], exec
	s_mov_b64 s[42:43], -1
	s_or_b64 s[30:31], s[30:31], s[36:37]
                                        ; implicit-def: $sgpr36_sgpr37
	s_and_saveexec_b64 s[40:41], s[44:45]
	s_cbranch_execz .LBB1135_53
; %bb.57:                               ;   in Loop: Header=BB1135_54 Depth=1
	s_add_u32 s34, s34, -1
	v_add_co_u32_e32 v4, vcc, 2, v4
	s_addc_u32 s35, s35, -1
	v_addc_co_u32_e32 v5, vcc, 0, v5, vcc
	s_cmp_eq_u64 s[34:35], 0
	v_add_co_u32_e32 v6, vcc, 2, v6
	s_cselect_b64 s[42:43], -1, 0
	v_addc_co_u32_e32 v7, vcc, 0, v7, vcc
	s_and_b64 s[36:37], s[38:39], exec
	s_andn2_b64 s[30:31], s[30:31], exec
	s_orn2_b64 s[42:43], s[42:43], exec
	s_branch .LBB1135_53
.LBB1135_58:
	s_or_b64 exec, exec, s[26:27]
	s_xor_b64 s[26:27], s[28:29], -1
	s_andn2_b64 s[20:21], s[20:21], exec
	s_and_b64 s[26:27], s[26:27], exec
	s_or_b64 s[20:21], s[20:21], s[26:27]
.LBB1135_59:
	s_or_b64 exec, exec, s[24:25]
	s_orn2_b64 s[20:21], s[20:21], exec
.LBB1135_60:
	s_or_b64 exec, exec, s[22:23]
	v_mov_b32_e32 v5, s33
	v_mov_b32_e32 v6, s9
	v_cndmask_b32_e64 v4, v24, v19, s[20:21]
	v_cndmask_b32_e64 v5, v5, v6, s[20:21]
	v_add_u32_e32 v4, 1, v4
	v_add_u32_e32 v5, -1, v5
	v_min_u32_e32 v5, v4, v5
	v_lshlrev_b32_e32 v5, 3, v5
	ds_read_b64 v[6:7], v5
	v_cndmask_b32_e64 v5, v4, v24, s[20:21]
	v_cmp_gt_u32_e32 vcc, s33, v5
	s_mov_b64 s[24:25], -1
	s_waitcnt lgkmcnt(0)
	v_cndmask_b32_e64 v20, v7, v15, s[20:21]
	v_cndmask_b32_e64 v21, v6, v16, s[20:21]
	;; [unrolled: 1-line block ×4, first 2 shown]
	s_and_saveexec_b64 s[22:23], vcc
	s_cbranch_execz .LBB1135_70
; %bb.61:
	v_cndmask_b32_e64 v4, v19, v4, s[20:21]
	v_cmp_gt_u32_e64 s[24:25], s9, v4
	s_xor_b64 s[2:3], s[2:3], -1
	s_and_b64 s[26:27], s[24:25], s[2:3]
	s_and_saveexec_b64 s[2:3], s[26:27]
	s_cbranch_execz .LBB1135_69
; %bb.62:
	v_mul_lo_u32 v6, v20, s4
	v_mul_lo_u32 v7, v21, s5
	v_mad_u64_u32 v[4:5], s[26:27], v21, s4, 0
	v_add3_u32 v5, v5, v7, v6
	v_lshlrev_b64 v[4:5], 1, v[4:5]
	v_mov_b32_e32 v6, s7
	v_add_co_u32_e32 v4, vcc, s6, v4
	v_addc_co_u32_e32 v5, vcc, v6, v5, vcc
	v_mul_lo_u32 v19, v22, s4
	v_mul_lo_u32 v24, v23, s5
	v_mad_u64_u32 v[6:7], s[26:27], v23, s4, 0
	v_add3_u32 v7, v7, v24, v19
	v_lshlrev_b64 v[6:7], 1, v[6:7]
	v_mov_b32_e32 v19, s7
	v_add_co_u32_e32 v6, vcc, s6, v6
	v_addc_co_u32_e32 v7, vcc, v19, v7, vcc
	s_mov_b64 s[6:7], 0
                                        ; implicit-def: $sgpr26_sgpr27
                                        ; implicit-def: $sgpr28_sgpr29
                                        ; implicit-def: $sgpr30_sgpr31
	s_branch .LBB1135_64
.LBB1135_63:                            ;   in Loop: Header=BB1135_64 Depth=1
	s_or_b64 exec, exec, s[36:37]
	s_and_b64 s[34:35], exec, s[38:39]
	s_or_b64 s[6:7], s[34:35], s[6:7]
	s_andn2_b64 s[26:27], s[26:27], exec
	s_and_b64 s[34:35], s[28:29], exec
	s_or_b64 s[26:27], s[26:27], s[34:35]
	s_andn2_b64 exec, exec, s[6:7]
	s_cbranch_execz .LBB1135_68
.LBB1135_64:                            ; =>This Inner Loop Header: Depth=1
	global_load_ushort v19, v[4:5], off
	global_load_ushort v24, v[6:7], off
	s_mov_b64 s[40:41], 0
	s_mov_b64 s[34:35], -1
	s_waitcnt vmcnt(1)
	v_lshlrev_b32_e32 v19, 16, v19
	s_waitcnt vmcnt(0)
	v_lshlrev_b32_e32 v24, 16, v24
	v_cmp_nlt_f32_e32 vcc, v19, v24
	s_and_saveexec_b64 s[36:37], vcc
; %bb.65:                               ;   in Loop: Header=BB1135_64 Depth=1
	v_cmp_ngt_f32_e32 vcc, v19, v24
	s_and_b64 s[30:31], vcc, s[30:31]
	s_orn2_b64 s[34:35], s[30:31], exec
	s_and_b64 s[40:41], vcc, exec
; %bb.66:                               ;   in Loop: Header=BB1135_64 Depth=1
	s_or_b64 exec, exec, s[36:37]
	s_andn2_b64 s[28:29], s[28:29], exec
	s_and_b64 s[30:31], s[34:35], exec
	s_mov_b64 s[38:39], -1
	s_or_b64 s[28:29], s[28:29], s[30:31]
                                        ; implicit-def: $sgpr30_sgpr31
	s_and_saveexec_b64 s[36:37], s[40:41]
	s_cbranch_execz .LBB1135_63
; %bb.67:                               ;   in Loop: Header=BB1135_64 Depth=1
	s_add_u32 s4, s4, -1
	v_add_co_u32_e32 v4, vcc, 2, v4
	s_addc_u32 s5, s5, -1
	v_addc_co_u32_e32 v5, vcc, 0, v5, vcc
	s_cmp_eq_u64 s[4:5], 0
	v_add_co_u32_e32 v6, vcc, 2, v6
	s_cselect_b64 s[38:39], -1, 0
	v_addc_co_u32_e32 v7, vcc, 0, v7, vcc
	s_and_b64 s[30:31], s[34:35], exec
	s_andn2_b64 s[28:29], s[28:29], exec
	s_orn2_b64 s[38:39], s[38:39], exec
	s_branch .LBB1135_63
.LBB1135_68:
	s_or_b64 exec, exec, s[6:7]
	s_xor_b64 s[4:5], s[26:27], -1
	s_andn2_b64 s[6:7], s[24:25], exec
	s_and_b64 s[4:5], s[4:5], exec
	s_or_b64 s[24:25], s[6:7], s[4:5]
.LBB1135_69:
	s_or_b64 exec, exec, s[2:3]
	s_orn2_b64 s[24:25], s[24:25], exec
.LBB1135_70:
	s_or_b64 exec, exec, s[22:23]
	v_cndmask_b32_e64 v7, v15, v17, s[20:21]
	v_cndmask_b32_e64 v6, v16, v18, s[20:21]
	;; [unrolled: 1-line block ×8, first 2 shown]
.LBB1135_71:
	s_or_b64 exec, exec, s[12:13]
	v_and_b32_e32 v10, 0xf8, v0
	v_lshl_add_u32 v10, v14, 3, v10
	s_barrier
	s_barrier
	ds_write2_b64 v10, v[2:3], v[4:5] offset1:1
	ds_write2_b64 v10, v[6:7], v[8:9] offset0:2 offset1:3
	v_lshrrev_b32_e32 v2, 2, v0
	v_and_b32_e32 v2, 56, v2
	v_or_b32_e32 v12, 0x100, v0
	v_add_u32_e32 v13, v1, v2
	v_lshrrev_b32_e32 v2, 2, v12
	v_and_b32_e32 v2, 0x78, v2
	v_or_b32_e32 v11, 0x200, v0
	v_add_u32_e32 v6, v1, v2
	v_lshrrev_b32_e32 v2, 2, v11
	s_lshl_b64 s[0:1], s[16:17], 3
	v_and_b32_e32 v2, 0xb8, v2
	v_or_b32_e32 v10, 0x300, v0
	s_add_u32 s0, s14, s0
	v_add_u32_e32 v7, v1, v2
	v_lshrrev_b32_e32 v2, 2, v10
	s_addc_u32 s1, s15, s1
	v_and_b32_e32 v2, 0xf8, v2
	v_add_u32_e32 v14, v1, v2
	v_mov_b32_e32 v3, s1
	v_add_co_u32_e32 v2, vcc, s0, v1
	v_addc_co_u32_e32 v3, vcc, 0, v3, vcc
	s_and_b64 vcc, exec, s[10:11]
	s_waitcnt lgkmcnt(0)
	s_cbranch_vccz .LBB1135_73
; %bb.72:
	s_barrier
	ds_read_b64 v[8:9], v13
	ds_read_b64 v[16:17], v6 offset:2048
	ds_read_b64 v[18:19], v7 offset:4096
	;; [unrolled: 1-line block ×3, first 2 shown]
	s_waitcnt lgkmcnt(3)
	global_store_dwordx2 v[2:3], v[8:9], off
	s_waitcnt lgkmcnt(2)
	global_store_dwordx2 v[2:3], v[16:17], off offset:2048
	v_add_co_u32_e32 v8, vcc, 0x1000, v2
	v_addc_co_u32_e32 v9, vcc, 0, v3, vcc
	s_waitcnt lgkmcnt(1)
	global_store_dwordx2 v[8:9], v[18:19], off
	s_mov_b64 s[0:1], -1
	s_cbranch_execz .LBB1135_74
	s_branch .LBB1135_79
.LBB1135_73:
	s_mov_b64 s[0:1], 0
                                        ; implicit-def: $vgpr4_vgpr5
.LBB1135_74:
	s_barrier
	s_waitcnt lgkmcnt(0)
	ds_read_b64 v[8:9], v6 offset:2048
	ds_read_b64 v[6:7], v7 offset:4096
	ds_read_b64 v[4:5], v14 offset:6144
	s_sub_i32 s2, s8, s16
	v_cmp_gt_u32_e32 vcc, s2, v0
	s_and_saveexec_b64 s[0:1], vcc
	s_cbranch_execnz .LBB1135_82
; %bb.75:
	s_or_b64 exec, exec, s[0:1]
	v_cmp_gt_u32_e32 vcc, s2, v12
	s_and_saveexec_b64 s[0:1], vcc
	s_cbranch_execnz .LBB1135_83
.LBB1135_76:
	s_or_b64 exec, exec, s[0:1]
	v_cmp_gt_u32_e32 vcc, s2, v11
	s_and_saveexec_b64 s[0:1], vcc
	s_cbranch_execz .LBB1135_78
.LBB1135_77:
	v_add_co_u32_e32 v0, vcc, 0x1000, v2
	v_addc_co_u32_e32 v1, vcc, 0, v3, vcc
	s_waitcnt lgkmcnt(1)
	global_store_dwordx2 v[0:1], v[6:7], off
.LBB1135_78:
	s_or_b64 exec, exec, s[0:1]
	v_cmp_gt_u32_e64 s[0:1], s2, v10
.LBB1135_79:
	s_and_saveexec_b64 s[2:3], s[0:1]
	s_cbranch_execz .LBB1135_81
; %bb.80:
	v_add_co_u32_e32 v0, vcc, 0x1000, v2
	v_addc_co_u32_e32 v1, vcc, 0, v3, vcc
	s_waitcnt lgkmcnt(0)
	global_store_dwordx2 v[0:1], v[4:5], off offset:2048
.LBB1135_81:
	s_endpgm
.LBB1135_82:
	ds_read_b64 v[0:1], v13
	s_waitcnt lgkmcnt(0)
	global_store_dwordx2 v[2:3], v[0:1], off
	s_or_b64 exec, exec, s[0:1]
	v_cmp_gt_u32_e32 vcc, s2, v12
	s_and_saveexec_b64 s[0:1], vcc
	s_cbranch_execz .LBB1135_76
.LBB1135_83:
	s_waitcnt lgkmcnt(2)
	global_store_dwordx2 v[2:3], v[8:9], off offset:2048
	s_or_b64 exec, exec, s[0:1]
	v_cmp_gt_u32_e32 vcc, s2, v11
	s_and_saveexec_b64 s[0:1], vcc
	s_cbranch_execnz .LBB1135_77
	s_branch .LBB1135_78
	.section	.rodata,"a",@progbits
	.p2align	6, 0x0
	.amdhsa_kernel _ZN7rocprim17ROCPRIM_400000_NS6detail17trampoline_kernelINS0_14default_configENS1_38merge_sort_block_merge_config_selectorIlNS0_10empty_typeEEEZZNS1_27merge_sort_block_merge_implIS3_PlPS5_mZN2at6native12_GLOBAL__N_124unique_dim_cuda_templateIN3c108BFloat16EEESt5tupleIJNSA_6TensorESH_SH_EERKSH_lbbbEUlllE_EE10hipError_tT0_T1_T2_jT3_P12ihipStream_tbPNSt15iterator_traitsISN_E10value_typeEPNST_ISO_E10value_typeEPSP_NS1_7vsmem_tEENKUlT_SN_SO_SP_E_clIS8_S8_S9_S9_EESM_S12_SN_SO_SP_EUlS12_E0_NS1_11comp_targetILNS1_3genE4ELNS1_11target_archE910ELNS1_3gpuE8ELNS1_3repE0EEENS1_38merge_mergepath_config_static_selectorELNS0_4arch9wavefront6targetE1EEEvSO_
		.amdhsa_group_segment_fixed_size 8448
		.amdhsa_private_segment_fixed_size 0
		.amdhsa_kernarg_size 344
		.amdhsa_user_sgpr_count 6
		.amdhsa_user_sgpr_private_segment_buffer 1
		.amdhsa_user_sgpr_dispatch_ptr 0
		.amdhsa_user_sgpr_queue_ptr 0
		.amdhsa_user_sgpr_kernarg_segment_ptr 1
		.amdhsa_user_sgpr_dispatch_id 0
		.amdhsa_user_sgpr_flat_scratch_init 0
		.amdhsa_user_sgpr_kernarg_preload_length 0
		.amdhsa_user_sgpr_kernarg_preload_offset 0
		.amdhsa_user_sgpr_private_segment_size 0
		.amdhsa_uses_dynamic_stack 0
		.amdhsa_system_sgpr_private_segment_wavefront_offset 0
		.amdhsa_system_sgpr_workgroup_id_x 1
		.amdhsa_system_sgpr_workgroup_id_y 1
		.amdhsa_system_sgpr_workgroup_id_z 1
		.amdhsa_system_sgpr_workgroup_info 0
		.amdhsa_system_vgpr_workitem_id 0
		.amdhsa_next_free_vgpr 25
		.amdhsa_next_free_sgpr 46
		.amdhsa_accum_offset 28
		.amdhsa_reserve_vcc 1
		.amdhsa_reserve_flat_scratch 0
		.amdhsa_float_round_mode_32 0
		.amdhsa_float_round_mode_16_64 0
		.amdhsa_float_denorm_mode_32 3
		.amdhsa_float_denorm_mode_16_64 3
		.amdhsa_dx10_clamp 1
		.amdhsa_ieee_mode 1
		.amdhsa_fp16_overflow 0
		.amdhsa_tg_split 0
		.amdhsa_exception_fp_ieee_invalid_op 0
		.amdhsa_exception_fp_denorm_src 0
		.amdhsa_exception_fp_ieee_div_zero 0
		.amdhsa_exception_fp_ieee_overflow 0
		.amdhsa_exception_fp_ieee_underflow 0
		.amdhsa_exception_fp_ieee_inexact 0
		.amdhsa_exception_int_div_zero 0
	.end_amdhsa_kernel
	.section	.text._ZN7rocprim17ROCPRIM_400000_NS6detail17trampoline_kernelINS0_14default_configENS1_38merge_sort_block_merge_config_selectorIlNS0_10empty_typeEEEZZNS1_27merge_sort_block_merge_implIS3_PlPS5_mZN2at6native12_GLOBAL__N_124unique_dim_cuda_templateIN3c108BFloat16EEESt5tupleIJNSA_6TensorESH_SH_EERKSH_lbbbEUlllE_EE10hipError_tT0_T1_T2_jT3_P12ihipStream_tbPNSt15iterator_traitsISN_E10value_typeEPNST_ISO_E10value_typeEPSP_NS1_7vsmem_tEENKUlT_SN_SO_SP_E_clIS8_S8_S9_S9_EESM_S12_SN_SO_SP_EUlS12_E0_NS1_11comp_targetILNS1_3genE4ELNS1_11target_archE910ELNS1_3gpuE8ELNS1_3repE0EEENS1_38merge_mergepath_config_static_selectorELNS0_4arch9wavefront6targetE1EEEvSO_,"axG",@progbits,_ZN7rocprim17ROCPRIM_400000_NS6detail17trampoline_kernelINS0_14default_configENS1_38merge_sort_block_merge_config_selectorIlNS0_10empty_typeEEEZZNS1_27merge_sort_block_merge_implIS3_PlPS5_mZN2at6native12_GLOBAL__N_124unique_dim_cuda_templateIN3c108BFloat16EEESt5tupleIJNSA_6TensorESH_SH_EERKSH_lbbbEUlllE_EE10hipError_tT0_T1_T2_jT3_P12ihipStream_tbPNSt15iterator_traitsISN_E10value_typeEPNST_ISO_E10value_typeEPSP_NS1_7vsmem_tEENKUlT_SN_SO_SP_E_clIS8_S8_S9_S9_EESM_S12_SN_SO_SP_EUlS12_E0_NS1_11comp_targetILNS1_3genE4ELNS1_11target_archE910ELNS1_3gpuE8ELNS1_3repE0EEENS1_38merge_mergepath_config_static_selectorELNS0_4arch9wavefront6targetE1EEEvSO_,comdat
.Lfunc_end1135:
	.size	_ZN7rocprim17ROCPRIM_400000_NS6detail17trampoline_kernelINS0_14default_configENS1_38merge_sort_block_merge_config_selectorIlNS0_10empty_typeEEEZZNS1_27merge_sort_block_merge_implIS3_PlPS5_mZN2at6native12_GLOBAL__N_124unique_dim_cuda_templateIN3c108BFloat16EEESt5tupleIJNSA_6TensorESH_SH_EERKSH_lbbbEUlllE_EE10hipError_tT0_T1_T2_jT3_P12ihipStream_tbPNSt15iterator_traitsISN_E10value_typeEPNST_ISO_E10value_typeEPSP_NS1_7vsmem_tEENKUlT_SN_SO_SP_E_clIS8_S8_S9_S9_EESM_S12_SN_SO_SP_EUlS12_E0_NS1_11comp_targetILNS1_3genE4ELNS1_11target_archE910ELNS1_3gpuE8ELNS1_3repE0EEENS1_38merge_mergepath_config_static_selectorELNS0_4arch9wavefront6targetE1EEEvSO_, .Lfunc_end1135-_ZN7rocprim17ROCPRIM_400000_NS6detail17trampoline_kernelINS0_14default_configENS1_38merge_sort_block_merge_config_selectorIlNS0_10empty_typeEEEZZNS1_27merge_sort_block_merge_implIS3_PlPS5_mZN2at6native12_GLOBAL__N_124unique_dim_cuda_templateIN3c108BFloat16EEESt5tupleIJNSA_6TensorESH_SH_EERKSH_lbbbEUlllE_EE10hipError_tT0_T1_T2_jT3_P12ihipStream_tbPNSt15iterator_traitsISN_E10value_typeEPNST_ISO_E10value_typeEPSP_NS1_7vsmem_tEENKUlT_SN_SO_SP_E_clIS8_S8_S9_S9_EESM_S12_SN_SO_SP_EUlS12_E0_NS1_11comp_targetILNS1_3genE4ELNS1_11target_archE910ELNS1_3gpuE8ELNS1_3repE0EEENS1_38merge_mergepath_config_static_selectorELNS0_4arch9wavefront6targetE1EEEvSO_
                                        ; -- End function
	.section	.AMDGPU.csdata,"",@progbits
; Kernel info:
; codeLenInByte = 3992
; NumSgprs: 50
; NumVgprs: 25
; NumAgprs: 0
; TotalNumVgprs: 25
; ScratchSize: 0
; MemoryBound: 0
; FloatMode: 240
; IeeeMode: 1
; LDSByteSize: 8448 bytes/workgroup (compile time only)
; SGPRBlocks: 6
; VGPRBlocks: 3
; NumSGPRsForWavesPerEU: 50
; NumVGPRsForWavesPerEU: 25
; AccumOffset: 28
; Occupancy: 7
; WaveLimiterHint : 1
; COMPUTE_PGM_RSRC2:SCRATCH_EN: 0
; COMPUTE_PGM_RSRC2:USER_SGPR: 6
; COMPUTE_PGM_RSRC2:TRAP_HANDLER: 0
; COMPUTE_PGM_RSRC2:TGID_X_EN: 1
; COMPUTE_PGM_RSRC2:TGID_Y_EN: 1
; COMPUTE_PGM_RSRC2:TGID_Z_EN: 1
; COMPUTE_PGM_RSRC2:TIDIG_COMP_CNT: 0
; COMPUTE_PGM_RSRC3_GFX90A:ACCUM_OFFSET: 6
; COMPUTE_PGM_RSRC3_GFX90A:TG_SPLIT: 0
	.section	.text._ZN7rocprim17ROCPRIM_400000_NS6detail17trampoline_kernelINS0_14default_configENS1_38merge_sort_block_merge_config_selectorIlNS0_10empty_typeEEEZZNS1_27merge_sort_block_merge_implIS3_PlPS5_mZN2at6native12_GLOBAL__N_124unique_dim_cuda_templateIN3c108BFloat16EEESt5tupleIJNSA_6TensorESH_SH_EERKSH_lbbbEUlllE_EE10hipError_tT0_T1_T2_jT3_P12ihipStream_tbPNSt15iterator_traitsISN_E10value_typeEPNST_ISO_E10value_typeEPSP_NS1_7vsmem_tEENKUlT_SN_SO_SP_E_clIS8_S8_S9_S9_EESM_S12_SN_SO_SP_EUlS12_E0_NS1_11comp_targetILNS1_3genE3ELNS1_11target_archE908ELNS1_3gpuE7ELNS1_3repE0EEENS1_38merge_mergepath_config_static_selectorELNS0_4arch9wavefront6targetE1EEEvSO_,"axG",@progbits,_ZN7rocprim17ROCPRIM_400000_NS6detail17trampoline_kernelINS0_14default_configENS1_38merge_sort_block_merge_config_selectorIlNS0_10empty_typeEEEZZNS1_27merge_sort_block_merge_implIS3_PlPS5_mZN2at6native12_GLOBAL__N_124unique_dim_cuda_templateIN3c108BFloat16EEESt5tupleIJNSA_6TensorESH_SH_EERKSH_lbbbEUlllE_EE10hipError_tT0_T1_T2_jT3_P12ihipStream_tbPNSt15iterator_traitsISN_E10value_typeEPNST_ISO_E10value_typeEPSP_NS1_7vsmem_tEENKUlT_SN_SO_SP_E_clIS8_S8_S9_S9_EESM_S12_SN_SO_SP_EUlS12_E0_NS1_11comp_targetILNS1_3genE3ELNS1_11target_archE908ELNS1_3gpuE7ELNS1_3repE0EEENS1_38merge_mergepath_config_static_selectorELNS0_4arch9wavefront6targetE1EEEvSO_,comdat
	.globl	_ZN7rocprim17ROCPRIM_400000_NS6detail17trampoline_kernelINS0_14default_configENS1_38merge_sort_block_merge_config_selectorIlNS0_10empty_typeEEEZZNS1_27merge_sort_block_merge_implIS3_PlPS5_mZN2at6native12_GLOBAL__N_124unique_dim_cuda_templateIN3c108BFloat16EEESt5tupleIJNSA_6TensorESH_SH_EERKSH_lbbbEUlllE_EE10hipError_tT0_T1_T2_jT3_P12ihipStream_tbPNSt15iterator_traitsISN_E10value_typeEPNST_ISO_E10value_typeEPSP_NS1_7vsmem_tEENKUlT_SN_SO_SP_E_clIS8_S8_S9_S9_EESM_S12_SN_SO_SP_EUlS12_E0_NS1_11comp_targetILNS1_3genE3ELNS1_11target_archE908ELNS1_3gpuE7ELNS1_3repE0EEENS1_38merge_mergepath_config_static_selectorELNS0_4arch9wavefront6targetE1EEEvSO_ ; -- Begin function _ZN7rocprim17ROCPRIM_400000_NS6detail17trampoline_kernelINS0_14default_configENS1_38merge_sort_block_merge_config_selectorIlNS0_10empty_typeEEEZZNS1_27merge_sort_block_merge_implIS3_PlPS5_mZN2at6native12_GLOBAL__N_124unique_dim_cuda_templateIN3c108BFloat16EEESt5tupleIJNSA_6TensorESH_SH_EERKSH_lbbbEUlllE_EE10hipError_tT0_T1_T2_jT3_P12ihipStream_tbPNSt15iterator_traitsISN_E10value_typeEPNST_ISO_E10value_typeEPSP_NS1_7vsmem_tEENKUlT_SN_SO_SP_E_clIS8_S8_S9_S9_EESM_S12_SN_SO_SP_EUlS12_E0_NS1_11comp_targetILNS1_3genE3ELNS1_11target_archE908ELNS1_3gpuE7ELNS1_3repE0EEENS1_38merge_mergepath_config_static_selectorELNS0_4arch9wavefront6targetE1EEEvSO_
	.p2align	8
	.type	_ZN7rocprim17ROCPRIM_400000_NS6detail17trampoline_kernelINS0_14default_configENS1_38merge_sort_block_merge_config_selectorIlNS0_10empty_typeEEEZZNS1_27merge_sort_block_merge_implIS3_PlPS5_mZN2at6native12_GLOBAL__N_124unique_dim_cuda_templateIN3c108BFloat16EEESt5tupleIJNSA_6TensorESH_SH_EERKSH_lbbbEUlllE_EE10hipError_tT0_T1_T2_jT3_P12ihipStream_tbPNSt15iterator_traitsISN_E10value_typeEPNST_ISO_E10value_typeEPSP_NS1_7vsmem_tEENKUlT_SN_SO_SP_E_clIS8_S8_S9_S9_EESM_S12_SN_SO_SP_EUlS12_E0_NS1_11comp_targetILNS1_3genE3ELNS1_11target_archE908ELNS1_3gpuE7ELNS1_3repE0EEENS1_38merge_mergepath_config_static_selectorELNS0_4arch9wavefront6targetE1EEEvSO_,@function
_ZN7rocprim17ROCPRIM_400000_NS6detail17trampoline_kernelINS0_14default_configENS1_38merge_sort_block_merge_config_selectorIlNS0_10empty_typeEEEZZNS1_27merge_sort_block_merge_implIS3_PlPS5_mZN2at6native12_GLOBAL__N_124unique_dim_cuda_templateIN3c108BFloat16EEESt5tupleIJNSA_6TensorESH_SH_EERKSH_lbbbEUlllE_EE10hipError_tT0_T1_T2_jT3_P12ihipStream_tbPNSt15iterator_traitsISN_E10value_typeEPNST_ISO_E10value_typeEPSP_NS1_7vsmem_tEENKUlT_SN_SO_SP_E_clIS8_S8_S9_S9_EESM_S12_SN_SO_SP_EUlS12_E0_NS1_11comp_targetILNS1_3genE3ELNS1_11target_archE908ELNS1_3gpuE7ELNS1_3repE0EEENS1_38merge_mergepath_config_static_selectorELNS0_4arch9wavefront6targetE1EEEvSO_: ; @_ZN7rocprim17ROCPRIM_400000_NS6detail17trampoline_kernelINS0_14default_configENS1_38merge_sort_block_merge_config_selectorIlNS0_10empty_typeEEEZZNS1_27merge_sort_block_merge_implIS3_PlPS5_mZN2at6native12_GLOBAL__N_124unique_dim_cuda_templateIN3c108BFloat16EEESt5tupleIJNSA_6TensorESH_SH_EERKSH_lbbbEUlllE_EE10hipError_tT0_T1_T2_jT3_P12ihipStream_tbPNSt15iterator_traitsISN_E10value_typeEPNST_ISO_E10value_typeEPSP_NS1_7vsmem_tEENKUlT_SN_SO_SP_E_clIS8_S8_S9_S9_EESM_S12_SN_SO_SP_EUlS12_E0_NS1_11comp_targetILNS1_3genE3ELNS1_11target_archE908ELNS1_3gpuE7ELNS1_3repE0EEENS1_38merge_mergepath_config_static_selectorELNS0_4arch9wavefront6targetE1EEEvSO_
; %bb.0:
	.section	.rodata,"a",@progbits
	.p2align	6, 0x0
	.amdhsa_kernel _ZN7rocprim17ROCPRIM_400000_NS6detail17trampoline_kernelINS0_14default_configENS1_38merge_sort_block_merge_config_selectorIlNS0_10empty_typeEEEZZNS1_27merge_sort_block_merge_implIS3_PlPS5_mZN2at6native12_GLOBAL__N_124unique_dim_cuda_templateIN3c108BFloat16EEESt5tupleIJNSA_6TensorESH_SH_EERKSH_lbbbEUlllE_EE10hipError_tT0_T1_T2_jT3_P12ihipStream_tbPNSt15iterator_traitsISN_E10value_typeEPNST_ISO_E10value_typeEPSP_NS1_7vsmem_tEENKUlT_SN_SO_SP_E_clIS8_S8_S9_S9_EESM_S12_SN_SO_SP_EUlS12_E0_NS1_11comp_targetILNS1_3genE3ELNS1_11target_archE908ELNS1_3gpuE7ELNS1_3repE0EEENS1_38merge_mergepath_config_static_selectorELNS0_4arch9wavefront6targetE1EEEvSO_
		.amdhsa_group_segment_fixed_size 0
		.amdhsa_private_segment_fixed_size 0
		.amdhsa_kernarg_size 88
		.amdhsa_user_sgpr_count 6
		.amdhsa_user_sgpr_private_segment_buffer 1
		.amdhsa_user_sgpr_dispatch_ptr 0
		.amdhsa_user_sgpr_queue_ptr 0
		.amdhsa_user_sgpr_kernarg_segment_ptr 1
		.amdhsa_user_sgpr_dispatch_id 0
		.amdhsa_user_sgpr_flat_scratch_init 0
		.amdhsa_user_sgpr_kernarg_preload_length 0
		.amdhsa_user_sgpr_kernarg_preload_offset 0
		.amdhsa_user_sgpr_private_segment_size 0
		.amdhsa_uses_dynamic_stack 0
		.amdhsa_system_sgpr_private_segment_wavefront_offset 0
		.amdhsa_system_sgpr_workgroup_id_x 1
		.amdhsa_system_sgpr_workgroup_id_y 0
		.amdhsa_system_sgpr_workgroup_id_z 0
		.amdhsa_system_sgpr_workgroup_info 0
		.amdhsa_system_vgpr_workitem_id 0
		.amdhsa_next_free_vgpr 1
		.amdhsa_next_free_sgpr 0
		.amdhsa_accum_offset 4
		.amdhsa_reserve_vcc 0
		.amdhsa_reserve_flat_scratch 0
		.amdhsa_float_round_mode_32 0
		.amdhsa_float_round_mode_16_64 0
		.amdhsa_float_denorm_mode_32 3
		.amdhsa_float_denorm_mode_16_64 3
		.amdhsa_dx10_clamp 1
		.amdhsa_ieee_mode 1
		.amdhsa_fp16_overflow 0
		.amdhsa_tg_split 0
		.amdhsa_exception_fp_ieee_invalid_op 0
		.amdhsa_exception_fp_denorm_src 0
		.amdhsa_exception_fp_ieee_div_zero 0
		.amdhsa_exception_fp_ieee_overflow 0
		.amdhsa_exception_fp_ieee_underflow 0
		.amdhsa_exception_fp_ieee_inexact 0
		.amdhsa_exception_int_div_zero 0
	.end_amdhsa_kernel
	.section	.text._ZN7rocprim17ROCPRIM_400000_NS6detail17trampoline_kernelINS0_14default_configENS1_38merge_sort_block_merge_config_selectorIlNS0_10empty_typeEEEZZNS1_27merge_sort_block_merge_implIS3_PlPS5_mZN2at6native12_GLOBAL__N_124unique_dim_cuda_templateIN3c108BFloat16EEESt5tupleIJNSA_6TensorESH_SH_EERKSH_lbbbEUlllE_EE10hipError_tT0_T1_T2_jT3_P12ihipStream_tbPNSt15iterator_traitsISN_E10value_typeEPNST_ISO_E10value_typeEPSP_NS1_7vsmem_tEENKUlT_SN_SO_SP_E_clIS8_S8_S9_S9_EESM_S12_SN_SO_SP_EUlS12_E0_NS1_11comp_targetILNS1_3genE3ELNS1_11target_archE908ELNS1_3gpuE7ELNS1_3repE0EEENS1_38merge_mergepath_config_static_selectorELNS0_4arch9wavefront6targetE1EEEvSO_,"axG",@progbits,_ZN7rocprim17ROCPRIM_400000_NS6detail17trampoline_kernelINS0_14default_configENS1_38merge_sort_block_merge_config_selectorIlNS0_10empty_typeEEEZZNS1_27merge_sort_block_merge_implIS3_PlPS5_mZN2at6native12_GLOBAL__N_124unique_dim_cuda_templateIN3c108BFloat16EEESt5tupleIJNSA_6TensorESH_SH_EERKSH_lbbbEUlllE_EE10hipError_tT0_T1_T2_jT3_P12ihipStream_tbPNSt15iterator_traitsISN_E10value_typeEPNST_ISO_E10value_typeEPSP_NS1_7vsmem_tEENKUlT_SN_SO_SP_E_clIS8_S8_S9_S9_EESM_S12_SN_SO_SP_EUlS12_E0_NS1_11comp_targetILNS1_3genE3ELNS1_11target_archE908ELNS1_3gpuE7ELNS1_3repE0EEENS1_38merge_mergepath_config_static_selectorELNS0_4arch9wavefront6targetE1EEEvSO_,comdat
.Lfunc_end1136:
	.size	_ZN7rocprim17ROCPRIM_400000_NS6detail17trampoline_kernelINS0_14default_configENS1_38merge_sort_block_merge_config_selectorIlNS0_10empty_typeEEEZZNS1_27merge_sort_block_merge_implIS3_PlPS5_mZN2at6native12_GLOBAL__N_124unique_dim_cuda_templateIN3c108BFloat16EEESt5tupleIJNSA_6TensorESH_SH_EERKSH_lbbbEUlllE_EE10hipError_tT0_T1_T2_jT3_P12ihipStream_tbPNSt15iterator_traitsISN_E10value_typeEPNST_ISO_E10value_typeEPSP_NS1_7vsmem_tEENKUlT_SN_SO_SP_E_clIS8_S8_S9_S9_EESM_S12_SN_SO_SP_EUlS12_E0_NS1_11comp_targetILNS1_3genE3ELNS1_11target_archE908ELNS1_3gpuE7ELNS1_3repE0EEENS1_38merge_mergepath_config_static_selectorELNS0_4arch9wavefront6targetE1EEEvSO_, .Lfunc_end1136-_ZN7rocprim17ROCPRIM_400000_NS6detail17trampoline_kernelINS0_14default_configENS1_38merge_sort_block_merge_config_selectorIlNS0_10empty_typeEEEZZNS1_27merge_sort_block_merge_implIS3_PlPS5_mZN2at6native12_GLOBAL__N_124unique_dim_cuda_templateIN3c108BFloat16EEESt5tupleIJNSA_6TensorESH_SH_EERKSH_lbbbEUlllE_EE10hipError_tT0_T1_T2_jT3_P12ihipStream_tbPNSt15iterator_traitsISN_E10value_typeEPNST_ISO_E10value_typeEPSP_NS1_7vsmem_tEENKUlT_SN_SO_SP_E_clIS8_S8_S9_S9_EESM_S12_SN_SO_SP_EUlS12_E0_NS1_11comp_targetILNS1_3genE3ELNS1_11target_archE908ELNS1_3gpuE7ELNS1_3repE0EEENS1_38merge_mergepath_config_static_selectorELNS0_4arch9wavefront6targetE1EEEvSO_
                                        ; -- End function
	.section	.AMDGPU.csdata,"",@progbits
; Kernel info:
; codeLenInByte = 0
; NumSgprs: 4
; NumVgprs: 0
; NumAgprs: 0
; TotalNumVgprs: 0
; ScratchSize: 0
; MemoryBound: 0
; FloatMode: 240
; IeeeMode: 1
; LDSByteSize: 0 bytes/workgroup (compile time only)
; SGPRBlocks: 0
; VGPRBlocks: 0
; NumSGPRsForWavesPerEU: 4
; NumVGPRsForWavesPerEU: 1
; AccumOffset: 4
; Occupancy: 8
; WaveLimiterHint : 0
; COMPUTE_PGM_RSRC2:SCRATCH_EN: 0
; COMPUTE_PGM_RSRC2:USER_SGPR: 6
; COMPUTE_PGM_RSRC2:TRAP_HANDLER: 0
; COMPUTE_PGM_RSRC2:TGID_X_EN: 1
; COMPUTE_PGM_RSRC2:TGID_Y_EN: 0
; COMPUTE_PGM_RSRC2:TGID_Z_EN: 0
; COMPUTE_PGM_RSRC2:TIDIG_COMP_CNT: 0
; COMPUTE_PGM_RSRC3_GFX90A:ACCUM_OFFSET: 0
; COMPUTE_PGM_RSRC3_GFX90A:TG_SPLIT: 0
	.section	.text._ZN7rocprim17ROCPRIM_400000_NS6detail17trampoline_kernelINS0_14default_configENS1_38merge_sort_block_merge_config_selectorIlNS0_10empty_typeEEEZZNS1_27merge_sort_block_merge_implIS3_PlPS5_mZN2at6native12_GLOBAL__N_124unique_dim_cuda_templateIN3c108BFloat16EEESt5tupleIJNSA_6TensorESH_SH_EERKSH_lbbbEUlllE_EE10hipError_tT0_T1_T2_jT3_P12ihipStream_tbPNSt15iterator_traitsISN_E10value_typeEPNST_ISO_E10value_typeEPSP_NS1_7vsmem_tEENKUlT_SN_SO_SP_E_clIS8_S8_S9_S9_EESM_S12_SN_SO_SP_EUlS12_E0_NS1_11comp_targetILNS1_3genE2ELNS1_11target_archE906ELNS1_3gpuE6ELNS1_3repE0EEENS1_38merge_mergepath_config_static_selectorELNS0_4arch9wavefront6targetE1EEEvSO_,"axG",@progbits,_ZN7rocprim17ROCPRIM_400000_NS6detail17trampoline_kernelINS0_14default_configENS1_38merge_sort_block_merge_config_selectorIlNS0_10empty_typeEEEZZNS1_27merge_sort_block_merge_implIS3_PlPS5_mZN2at6native12_GLOBAL__N_124unique_dim_cuda_templateIN3c108BFloat16EEESt5tupleIJNSA_6TensorESH_SH_EERKSH_lbbbEUlllE_EE10hipError_tT0_T1_T2_jT3_P12ihipStream_tbPNSt15iterator_traitsISN_E10value_typeEPNST_ISO_E10value_typeEPSP_NS1_7vsmem_tEENKUlT_SN_SO_SP_E_clIS8_S8_S9_S9_EESM_S12_SN_SO_SP_EUlS12_E0_NS1_11comp_targetILNS1_3genE2ELNS1_11target_archE906ELNS1_3gpuE6ELNS1_3repE0EEENS1_38merge_mergepath_config_static_selectorELNS0_4arch9wavefront6targetE1EEEvSO_,comdat
	.globl	_ZN7rocprim17ROCPRIM_400000_NS6detail17trampoline_kernelINS0_14default_configENS1_38merge_sort_block_merge_config_selectorIlNS0_10empty_typeEEEZZNS1_27merge_sort_block_merge_implIS3_PlPS5_mZN2at6native12_GLOBAL__N_124unique_dim_cuda_templateIN3c108BFloat16EEESt5tupleIJNSA_6TensorESH_SH_EERKSH_lbbbEUlllE_EE10hipError_tT0_T1_T2_jT3_P12ihipStream_tbPNSt15iterator_traitsISN_E10value_typeEPNST_ISO_E10value_typeEPSP_NS1_7vsmem_tEENKUlT_SN_SO_SP_E_clIS8_S8_S9_S9_EESM_S12_SN_SO_SP_EUlS12_E0_NS1_11comp_targetILNS1_3genE2ELNS1_11target_archE906ELNS1_3gpuE6ELNS1_3repE0EEENS1_38merge_mergepath_config_static_selectorELNS0_4arch9wavefront6targetE1EEEvSO_ ; -- Begin function _ZN7rocprim17ROCPRIM_400000_NS6detail17trampoline_kernelINS0_14default_configENS1_38merge_sort_block_merge_config_selectorIlNS0_10empty_typeEEEZZNS1_27merge_sort_block_merge_implIS3_PlPS5_mZN2at6native12_GLOBAL__N_124unique_dim_cuda_templateIN3c108BFloat16EEESt5tupleIJNSA_6TensorESH_SH_EERKSH_lbbbEUlllE_EE10hipError_tT0_T1_T2_jT3_P12ihipStream_tbPNSt15iterator_traitsISN_E10value_typeEPNST_ISO_E10value_typeEPSP_NS1_7vsmem_tEENKUlT_SN_SO_SP_E_clIS8_S8_S9_S9_EESM_S12_SN_SO_SP_EUlS12_E0_NS1_11comp_targetILNS1_3genE2ELNS1_11target_archE906ELNS1_3gpuE6ELNS1_3repE0EEENS1_38merge_mergepath_config_static_selectorELNS0_4arch9wavefront6targetE1EEEvSO_
	.p2align	8
	.type	_ZN7rocprim17ROCPRIM_400000_NS6detail17trampoline_kernelINS0_14default_configENS1_38merge_sort_block_merge_config_selectorIlNS0_10empty_typeEEEZZNS1_27merge_sort_block_merge_implIS3_PlPS5_mZN2at6native12_GLOBAL__N_124unique_dim_cuda_templateIN3c108BFloat16EEESt5tupleIJNSA_6TensorESH_SH_EERKSH_lbbbEUlllE_EE10hipError_tT0_T1_T2_jT3_P12ihipStream_tbPNSt15iterator_traitsISN_E10value_typeEPNST_ISO_E10value_typeEPSP_NS1_7vsmem_tEENKUlT_SN_SO_SP_E_clIS8_S8_S9_S9_EESM_S12_SN_SO_SP_EUlS12_E0_NS1_11comp_targetILNS1_3genE2ELNS1_11target_archE906ELNS1_3gpuE6ELNS1_3repE0EEENS1_38merge_mergepath_config_static_selectorELNS0_4arch9wavefront6targetE1EEEvSO_,@function
_ZN7rocprim17ROCPRIM_400000_NS6detail17trampoline_kernelINS0_14default_configENS1_38merge_sort_block_merge_config_selectorIlNS0_10empty_typeEEEZZNS1_27merge_sort_block_merge_implIS3_PlPS5_mZN2at6native12_GLOBAL__N_124unique_dim_cuda_templateIN3c108BFloat16EEESt5tupleIJNSA_6TensorESH_SH_EERKSH_lbbbEUlllE_EE10hipError_tT0_T1_T2_jT3_P12ihipStream_tbPNSt15iterator_traitsISN_E10value_typeEPNST_ISO_E10value_typeEPSP_NS1_7vsmem_tEENKUlT_SN_SO_SP_E_clIS8_S8_S9_S9_EESM_S12_SN_SO_SP_EUlS12_E0_NS1_11comp_targetILNS1_3genE2ELNS1_11target_archE906ELNS1_3gpuE6ELNS1_3repE0EEENS1_38merge_mergepath_config_static_selectorELNS0_4arch9wavefront6targetE1EEEvSO_: ; @_ZN7rocprim17ROCPRIM_400000_NS6detail17trampoline_kernelINS0_14default_configENS1_38merge_sort_block_merge_config_selectorIlNS0_10empty_typeEEEZZNS1_27merge_sort_block_merge_implIS3_PlPS5_mZN2at6native12_GLOBAL__N_124unique_dim_cuda_templateIN3c108BFloat16EEESt5tupleIJNSA_6TensorESH_SH_EERKSH_lbbbEUlllE_EE10hipError_tT0_T1_T2_jT3_P12ihipStream_tbPNSt15iterator_traitsISN_E10value_typeEPNST_ISO_E10value_typeEPSP_NS1_7vsmem_tEENKUlT_SN_SO_SP_E_clIS8_S8_S9_S9_EESM_S12_SN_SO_SP_EUlS12_E0_NS1_11comp_targetILNS1_3genE2ELNS1_11target_archE906ELNS1_3gpuE6ELNS1_3repE0EEENS1_38merge_mergepath_config_static_selectorELNS0_4arch9wavefront6targetE1EEEvSO_
; %bb.0:
	.section	.rodata,"a",@progbits
	.p2align	6, 0x0
	.amdhsa_kernel _ZN7rocprim17ROCPRIM_400000_NS6detail17trampoline_kernelINS0_14default_configENS1_38merge_sort_block_merge_config_selectorIlNS0_10empty_typeEEEZZNS1_27merge_sort_block_merge_implIS3_PlPS5_mZN2at6native12_GLOBAL__N_124unique_dim_cuda_templateIN3c108BFloat16EEESt5tupleIJNSA_6TensorESH_SH_EERKSH_lbbbEUlllE_EE10hipError_tT0_T1_T2_jT3_P12ihipStream_tbPNSt15iterator_traitsISN_E10value_typeEPNST_ISO_E10value_typeEPSP_NS1_7vsmem_tEENKUlT_SN_SO_SP_E_clIS8_S8_S9_S9_EESM_S12_SN_SO_SP_EUlS12_E0_NS1_11comp_targetILNS1_3genE2ELNS1_11target_archE906ELNS1_3gpuE6ELNS1_3repE0EEENS1_38merge_mergepath_config_static_selectorELNS0_4arch9wavefront6targetE1EEEvSO_
		.amdhsa_group_segment_fixed_size 0
		.amdhsa_private_segment_fixed_size 0
		.amdhsa_kernarg_size 88
		.amdhsa_user_sgpr_count 6
		.amdhsa_user_sgpr_private_segment_buffer 1
		.amdhsa_user_sgpr_dispatch_ptr 0
		.amdhsa_user_sgpr_queue_ptr 0
		.amdhsa_user_sgpr_kernarg_segment_ptr 1
		.amdhsa_user_sgpr_dispatch_id 0
		.amdhsa_user_sgpr_flat_scratch_init 0
		.amdhsa_user_sgpr_kernarg_preload_length 0
		.amdhsa_user_sgpr_kernarg_preload_offset 0
		.amdhsa_user_sgpr_private_segment_size 0
		.amdhsa_uses_dynamic_stack 0
		.amdhsa_system_sgpr_private_segment_wavefront_offset 0
		.amdhsa_system_sgpr_workgroup_id_x 1
		.amdhsa_system_sgpr_workgroup_id_y 0
		.amdhsa_system_sgpr_workgroup_id_z 0
		.amdhsa_system_sgpr_workgroup_info 0
		.amdhsa_system_vgpr_workitem_id 0
		.amdhsa_next_free_vgpr 1
		.amdhsa_next_free_sgpr 0
		.amdhsa_accum_offset 4
		.amdhsa_reserve_vcc 0
		.amdhsa_reserve_flat_scratch 0
		.amdhsa_float_round_mode_32 0
		.amdhsa_float_round_mode_16_64 0
		.amdhsa_float_denorm_mode_32 3
		.amdhsa_float_denorm_mode_16_64 3
		.amdhsa_dx10_clamp 1
		.amdhsa_ieee_mode 1
		.amdhsa_fp16_overflow 0
		.amdhsa_tg_split 0
		.amdhsa_exception_fp_ieee_invalid_op 0
		.amdhsa_exception_fp_denorm_src 0
		.amdhsa_exception_fp_ieee_div_zero 0
		.amdhsa_exception_fp_ieee_overflow 0
		.amdhsa_exception_fp_ieee_underflow 0
		.amdhsa_exception_fp_ieee_inexact 0
		.amdhsa_exception_int_div_zero 0
	.end_amdhsa_kernel
	.section	.text._ZN7rocprim17ROCPRIM_400000_NS6detail17trampoline_kernelINS0_14default_configENS1_38merge_sort_block_merge_config_selectorIlNS0_10empty_typeEEEZZNS1_27merge_sort_block_merge_implIS3_PlPS5_mZN2at6native12_GLOBAL__N_124unique_dim_cuda_templateIN3c108BFloat16EEESt5tupleIJNSA_6TensorESH_SH_EERKSH_lbbbEUlllE_EE10hipError_tT0_T1_T2_jT3_P12ihipStream_tbPNSt15iterator_traitsISN_E10value_typeEPNST_ISO_E10value_typeEPSP_NS1_7vsmem_tEENKUlT_SN_SO_SP_E_clIS8_S8_S9_S9_EESM_S12_SN_SO_SP_EUlS12_E0_NS1_11comp_targetILNS1_3genE2ELNS1_11target_archE906ELNS1_3gpuE6ELNS1_3repE0EEENS1_38merge_mergepath_config_static_selectorELNS0_4arch9wavefront6targetE1EEEvSO_,"axG",@progbits,_ZN7rocprim17ROCPRIM_400000_NS6detail17trampoline_kernelINS0_14default_configENS1_38merge_sort_block_merge_config_selectorIlNS0_10empty_typeEEEZZNS1_27merge_sort_block_merge_implIS3_PlPS5_mZN2at6native12_GLOBAL__N_124unique_dim_cuda_templateIN3c108BFloat16EEESt5tupleIJNSA_6TensorESH_SH_EERKSH_lbbbEUlllE_EE10hipError_tT0_T1_T2_jT3_P12ihipStream_tbPNSt15iterator_traitsISN_E10value_typeEPNST_ISO_E10value_typeEPSP_NS1_7vsmem_tEENKUlT_SN_SO_SP_E_clIS8_S8_S9_S9_EESM_S12_SN_SO_SP_EUlS12_E0_NS1_11comp_targetILNS1_3genE2ELNS1_11target_archE906ELNS1_3gpuE6ELNS1_3repE0EEENS1_38merge_mergepath_config_static_selectorELNS0_4arch9wavefront6targetE1EEEvSO_,comdat
.Lfunc_end1137:
	.size	_ZN7rocprim17ROCPRIM_400000_NS6detail17trampoline_kernelINS0_14default_configENS1_38merge_sort_block_merge_config_selectorIlNS0_10empty_typeEEEZZNS1_27merge_sort_block_merge_implIS3_PlPS5_mZN2at6native12_GLOBAL__N_124unique_dim_cuda_templateIN3c108BFloat16EEESt5tupleIJNSA_6TensorESH_SH_EERKSH_lbbbEUlllE_EE10hipError_tT0_T1_T2_jT3_P12ihipStream_tbPNSt15iterator_traitsISN_E10value_typeEPNST_ISO_E10value_typeEPSP_NS1_7vsmem_tEENKUlT_SN_SO_SP_E_clIS8_S8_S9_S9_EESM_S12_SN_SO_SP_EUlS12_E0_NS1_11comp_targetILNS1_3genE2ELNS1_11target_archE906ELNS1_3gpuE6ELNS1_3repE0EEENS1_38merge_mergepath_config_static_selectorELNS0_4arch9wavefront6targetE1EEEvSO_, .Lfunc_end1137-_ZN7rocprim17ROCPRIM_400000_NS6detail17trampoline_kernelINS0_14default_configENS1_38merge_sort_block_merge_config_selectorIlNS0_10empty_typeEEEZZNS1_27merge_sort_block_merge_implIS3_PlPS5_mZN2at6native12_GLOBAL__N_124unique_dim_cuda_templateIN3c108BFloat16EEESt5tupleIJNSA_6TensorESH_SH_EERKSH_lbbbEUlllE_EE10hipError_tT0_T1_T2_jT3_P12ihipStream_tbPNSt15iterator_traitsISN_E10value_typeEPNST_ISO_E10value_typeEPSP_NS1_7vsmem_tEENKUlT_SN_SO_SP_E_clIS8_S8_S9_S9_EESM_S12_SN_SO_SP_EUlS12_E0_NS1_11comp_targetILNS1_3genE2ELNS1_11target_archE906ELNS1_3gpuE6ELNS1_3repE0EEENS1_38merge_mergepath_config_static_selectorELNS0_4arch9wavefront6targetE1EEEvSO_
                                        ; -- End function
	.section	.AMDGPU.csdata,"",@progbits
; Kernel info:
; codeLenInByte = 0
; NumSgprs: 4
; NumVgprs: 0
; NumAgprs: 0
; TotalNumVgprs: 0
; ScratchSize: 0
; MemoryBound: 0
; FloatMode: 240
; IeeeMode: 1
; LDSByteSize: 0 bytes/workgroup (compile time only)
; SGPRBlocks: 0
; VGPRBlocks: 0
; NumSGPRsForWavesPerEU: 4
; NumVGPRsForWavesPerEU: 1
; AccumOffset: 4
; Occupancy: 8
; WaveLimiterHint : 0
; COMPUTE_PGM_RSRC2:SCRATCH_EN: 0
; COMPUTE_PGM_RSRC2:USER_SGPR: 6
; COMPUTE_PGM_RSRC2:TRAP_HANDLER: 0
; COMPUTE_PGM_RSRC2:TGID_X_EN: 1
; COMPUTE_PGM_RSRC2:TGID_Y_EN: 0
; COMPUTE_PGM_RSRC2:TGID_Z_EN: 0
; COMPUTE_PGM_RSRC2:TIDIG_COMP_CNT: 0
; COMPUTE_PGM_RSRC3_GFX90A:ACCUM_OFFSET: 0
; COMPUTE_PGM_RSRC3_GFX90A:TG_SPLIT: 0
	.section	.text._ZN7rocprim17ROCPRIM_400000_NS6detail17trampoline_kernelINS0_14default_configENS1_38merge_sort_block_merge_config_selectorIlNS0_10empty_typeEEEZZNS1_27merge_sort_block_merge_implIS3_PlPS5_mZN2at6native12_GLOBAL__N_124unique_dim_cuda_templateIN3c108BFloat16EEESt5tupleIJNSA_6TensorESH_SH_EERKSH_lbbbEUlllE_EE10hipError_tT0_T1_T2_jT3_P12ihipStream_tbPNSt15iterator_traitsISN_E10value_typeEPNST_ISO_E10value_typeEPSP_NS1_7vsmem_tEENKUlT_SN_SO_SP_E_clIS8_S8_S9_S9_EESM_S12_SN_SO_SP_EUlS12_E0_NS1_11comp_targetILNS1_3genE9ELNS1_11target_archE1100ELNS1_3gpuE3ELNS1_3repE0EEENS1_38merge_mergepath_config_static_selectorELNS0_4arch9wavefront6targetE1EEEvSO_,"axG",@progbits,_ZN7rocprim17ROCPRIM_400000_NS6detail17trampoline_kernelINS0_14default_configENS1_38merge_sort_block_merge_config_selectorIlNS0_10empty_typeEEEZZNS1_27merge_sort_block_merge_implIS3_PlPS5_mZN2at6native12_GLOBAL__N_124unique_dim_cuda_templateIN3c108BFloat16EEESt5tupleIJNSA_6TensorESH_SH_EERKSH_lbbbEUlllE_EE10hipError_tT0_T1_T2_jT3_P12ihipStream_tbPNSt15iterator_traitsISN_E10value_typeEPNST_ISO_E10value_typeEPSP_NS1_7vsmem_tEENKUlT_SN_SO_SP_E_clIS8_S8_S9_S9_EESM_S12_SN_SO_SP_EUlS12_E0_NS1_11comp_targetILNS1_3genE9ELNS1_11target_archE1100ELNS1_3gpuE3ELNS1_3repE0EEENS1_38merge_mergepath_config_static_selectorELNS0_4arch9wavefront6targetE1EEEvSO_,comdat
	.globl	_ZN7rocprim17ROCPRIM_400000_NS6detail17trampoline_kernelINS0_14default_configENS1_38merge_sort_block_merge_config_selectorIlNS0_10empty_typeEEEZZNS1_27merge_sort_block_merge_implIS3_PlPS5_mZN2at6native12_GLOBAL__N_124unique_dim_cuda_templateIN3c108BFloat16EEESt5tupleIJNSA_6TensorESH_SH_EERKSH_lbbbEUlllE_EE10hipError_tT0_T1_T2_jT3_P12ihipStream_tbPNSt15iterator_traitsISN_E10value_typeEPNST_ISO_E10value_typeEPSP_NS1_7vsmem_tEENKUlT_SN_SO_SP_E_clIS8_S8_S9_S9_EESM_S12_SN_SO_SP_EUlS12_E0_NS1_11comp_targetILNS1_3genE9ELNS1_11target_archE1100ELNS1_3gpuE3ELNS1_3repE0EEENS1_38merge_mergepath_config_static_selectorELNS0_4arch9wavefront6targetE1EEEvSO_ ; -- Begin function _ZN7rocprim17ROCPRIM_400000_NS6detail17trampoline_kernelINS0_14default_configENS1_38merge_sort_block_merge_config_selectorIlNS0_10empty_typeEEEZZNS1_27merge_sort_block_merge_implIS3_PlPS5_mZN2at6native12_GLOBAL__N_124unique_dim_cuda_templateIN3c108BFloat16EEESt5tupleIJNSA_6TensorESH_SH_EERKSH_lbbbEUlllE_EE10hipError_tT0_T1_T2_jT3_P12ihipStream_tbPNSt15iterator_traitsISN_E10value_typeEPNST_ISO_E10value_typeEPSP_NS1_7vsmem_tEENKUlT_SN_SO_SP_E_clIS8_S8_S9_S9_EESM_S12_SN_SO_SP_EUlS12_E0_NS1_11comp_targetILNS1_3genE9ELNS1_11target_archE1100ELNS1_3gpuE3ELNS1_3repE0EEENS1_38merge_mergepath_config_static_selectorELNS0_4arch9wavefront6targetE1EEEvSO_
	.p2align	8
	.type	_ZN7rocprim17ROCPRIM_400000_NS6detail17trampoline_kernelINS0_14default_configENS1_38merge_sort_block_merge_config_selectorIlNS0_10empty_typeEEEZZNS1_27merge_sort_block_merge_implIS3_PlPS5_mZN2at6native12_GLOBAL__N_124unique_dim_cuda_templateIN3c108BFloat16EEESt5tupleIJNSA_6TensorESH_SH_EERKSH_lbbbEUlllE_EE10hipError_tT0_T1_T2_jT3_P12ihipStream_tbPNSt15iterator_traitsISN_E10value_typeEPNST_ISO_E10value_typeEPSP_NS1_7vsmem_tEENKUlT_SN_SO_SP_E_clIS8_S8_S9_S9_EESM_S12_SN_SO_SP_EUlS12_E0_NS1_11comp_targetILNS1_3genE9ELNS1_11target_archE1100ELNS1_3gpuE3ELNS1_3repE0EEENS1_38merge_mergepath_config_static_selectorELNS0_4arch9wavefront6targetE1EEEvSO_,@function
_ZN7rocprim17ROCPRIM_400000_NS6detail17trampoline_kernelINS0_14default_configENS1_38merge_sort_block_merge_config_selectorIlNS0_10empty_typeEEEZZNS1_27merge_sort_block_merge_implIS3_PlPS5_mZN2at6native12_GLOBAL__N_124unique_dim_cuda_templateIN3c108BFloat16EEESt5tupleIJNSA_6TensorESH_SH_EERKSH_lbbbEUlllE_EE10hipError_tT0_T1_T2_jT3_P12ihipStream_tbPNSt15iterator_traitsISN_E10value_typeEPNST_ISO_E10value_typeEPSP_NS1_7vsmem_tEENKUlT_SN_SO_SP_E_clIS8_S8_S9_S9_EESM_S12_SN_SO_SP_EUlS12_E0_NS1_11comp_targetILNS1_3genE9ELNS1_11target_archE1100ELNS1_3gpuE3ELNS1_3repE0EEENS1_38merge_mergepath_config_static_selectorELNS0_4arch9wavefront6targetE1EEEvSO_: ; @_ZN7rocprim17ROCPRIM_400000_NS6detail17trampoline_kernelINS0_14default_configENS1_38merge_sort_block_merge_config_selectorIlNS0_10empty_typeEEEZZNS1_27merge_sort_block_merge_implIS3_PlPS5_mZN2at6native12_GLOBAL__N_124unique_dim_cuda_templateIN3c108BFloat16EEESt5tupleIJNSA_6TensorESH_SH_EERKSH_lbbbEUlllE_EE10hipError_tT0_T1_T2_jT3_P12ihipStream_tbPNSt15iterator_traitsISN_E10value_typeEPNST_ISO_E10value_typeEPSP_NS1_7vsmem_tEENKUlT_SN_SO_SP_E_clIS8_S8_S9_S9_EESM_S12_SN_SO_SP_EUlS12_E0_NS1_11comp_targetILNS1_3genE9ELNS1_11target_archE1100ELNS1_3gpuE3ELNS1_3repE0EEENS1_38merge_mergepath_config_static_selectorELNS0_4arch9wavefront6targetE1EEEvSO_
; %bb.0:
	.section	.rodata,"a",@progbits
	.p2align	6, 0x0
	.amdhsa_kernel _ZN7rocprim17ROCPRIM_400000_NS6detail17trampoline_kernelINS0_14default_configENS1_38merge_sort_block_merge_config_selectorIlNS0_10empty_typeEEEZZNS1_27merge_sort_block_merge_implIS3_PlPS5_mZN2at6native12_GLOBAL__N_124unique_dim_cuda_templateIN3c108BFloat16EEESt5tupleIJNSA_6TensorESH_SH_EERKSH_lbbbEUlllE_EE10hipError_tT0_T1_T2_jT3_P12ihipStream_tbPNSt15iterator_traitsISN_E10value_typeEPNST_ISO_E10value_typeEPSP_NS1_7vsmem_tEENKUlT_SN_SO_SP_E_clIS8_S8_S9_S9_EESM_S12_SN_SO_SP_EUlS12_E0_NS1_11comp_targetILNS1_3genE9ELNS1_11target_archE1100ELNS1_3gpuE3ELNS1_3repE0EEENS1_38merge_mergepath_config_static_selectorELNS0_4arch9wavefront6targetE1EEEvSO_
		.amdhsa_group_segment_fixed_size 0
		.amdhsa_private_segment_fixed_size 0
		.amdhsa_kernarg_size 88
		.amdhsa_user_sgpr_count 6
		.amdhsa_user_sgpr_private_segment_buffer 1
		.amdhsa_user_sgpr_dispatch_ptr 0
		.amdhsa_user_sgpr_queue_ptr 0
		.amdhsa_user_sgpr_kernarg_segment_ptr 1
		.amdhsa_user_sgpr_dispatch_id 0
		.amdhsa_user_sgpr_flat_scratch_init 0
		.amdhsa_user_sgpr_kernarg_preload_length 0
		.amdhsa_user_sgpr_kernarg_preload_offset 0
		.amdhsa_user_sgpr_private_segment_size 0
		.amdhsa_uses_dynamic_stack 0
		.amdhsa_system_sgpr_private_segment_wavefront_offset 0
		.amdhsa_system_sgpr_workgroup_id_x 1
		.amdhsa_system_sgpr_workgroup_id_y 0
		.amdhsa_system_sgpr_workgroup_id_z 0
		.amdhsa_system_sgpr_workgroup_info 0
		.amdhsa_system_vgpr_workitem_id 0
		.amdhsa_next_free_vgpr 1
		.amdhsa_next_free_sgpr 0
		.amdhsa_accum_offset 4
		.amdhsa_reserve_vcc 0
		.amdhsa_reserve_flat_scratch 0
		.amdhsa_float_round_mode_32 0
		.amdhsa_float_round_mode_16_64 0
		.amdhsa_float_denorm_mode_32 3
		.amdhsa_float_denorm_mode_16_64 3
		.amdhsa_dx10_clamp 1
		.amdhsa_ieee_mode 1
		.amdhsa_fp16_overflow 0
		.amdhsa_tg_split 0
		.amdhsa_exception_fp_ieee_invalid_op 0
		.amdhsa_exception_fp_denorm_src 0
		.amdhsa_exception_fp_ieee_div_zero 0
		.amdhsa_exception_fp_ieee_overflow 0
		.amdhsa_exception_fp_ieee_underflow 0
		.amdhsa_exception_fp_ieee_inexact 0
		.amdhsa_exception_int_div_zero 0
	.end_amdhsa_kernel
	.section	.text._ZN7rocprim17ROCPRIM_400000_NS6detail17trampoline_kernelINS0_14default_configENS1_38merge_sort_block_merge_config_selectorIlNS0_10empty_typeEEEZZNS1_27merge_sort_block_merge_implIS3_PlPS5_mZN2at6native12_GLOBAL__N_124unique_dim_cuda_templateIN3c108BFloat16EEESt5tupleIJNSA_6TensorESH_SH_EERKSH_lbbbEUlllE_EE10hipError_tT0_T1_T2_jT3_P12ihipStream_tbPNSt15iterator_traitsISN_E10value_typeEPNST_ISO_E10value_typeEPSP_NS1_7vsmem_tEENKUlT_SN_SO_SP_E_clIS8_S8_S9_S9_EESM_S12_SN_SO_SP_EUlS12_E0_NS1_11comp_targetILNS1_3genE9ELNS1_11target_archE1100ELNS1_3gpuE3ELNS1_3repE0EEENS1_38merge_mergepath_config_static_selectorELNS0_4arch9wavefront6targetE1EEEvSO_,"axG",@progbits,_ZN7rocprim17ROCPRIM_400000_NS6detail17trampoline_kernelINS0_14default_configENS1_38merge_sort_block_merge_config_selectorIlNS0_10empty_typeEEEZZNS1_27merge_sort_block_merge_implIS3_PlPS5_mZN2at6native12_GLOBAL__N_124unique_dim_cuda_templateIN3c108BFloat16EEESt5tupleIJNSA_6TensorESH_SH_EERKSH_lbbbEUlllE_EE10hipError_tT0_T1_T2_jT3_P12ihipStream_tbPNSt15iterator_traitsISN_E10value_typeEPNST_ISO_E10value_typeEPSP_NS1_7vsmem_tEENKUlT_SN_SO_SP_E_clIS8_S8_S9_S9_EESM_S12_SN_SO_SP_EUlS12_E0_NS1_11comp_targetILNS1_3genE9ELNS1_11target_archE1100ELNS1_3gpuE3ELNS1_3repE0EEENS1_38merge_mergepath_config_static_selectorELNS0_4arch9wavefront6targetE1EEEvSO_,comdat
.Lfunc_end1138:
	.size	_ZN7rocprim17ROCPRIM_400000_NS6detail17trampoline_kernelINS0_14default_configENS1_38merge_sort_block_merge_config_selectorIlNS0_10empty_typeEEEZZNS1_27merge_sort_block_merge_implIS3_PlPS5_mZN2at6native12_GLOBAL__N_124unique_dim_cuda_templateIN3c108BFloat16EEESt5tupleIJNSA_6TensorESH_SH_EERKSH_lbbbEUlllE_EE10hipError_tT0_T1_T2_jT3_P12ihipStream_tbPNSt15iterator_traitsISN_E10value_typeEPNST_ISO_E10value_typeEPSP_NS1_7vsmem_tEENKUlT_SN_SO_SP_E_clIS8_S8_S9_S9_EESM_S12_SN_SO_SP_EUlS12_E0_NS1_11comp_targetILNS1_3genE9ELNS1_11target_archE1100ELNS1_3gpuE3ELNS1_3repE0EEENS1_38merge_mergepath_config_static_selectorELNS0_4arch9wavefront6targetE1EEEvSO_, .Lfunc_end1138-_ZN7rocprim17ROCPRIM_400000_NS6detail17trampoline_kernelINS0_14default_configENS1_38merge_sort_block_merge_config_selectorIlNS0_10empty_typeEEEZZNS1_27merge_sort_block_merge_implIS3_PlPS5_mZN2at6native12_GLOBAL__N_124unique_dim_cuda_templateIN3c108BFloat16EEESt5tupleIJNSA_6TensorESH_SH_EERKSH_lbbbEUlllE_EE10hipError_tT0_T1_T2_jT3_P12ihipStream_tbPNSt15iterator_traitsISN_E10value_typeEPNST_ISO_E10value_typeEPSP_NS1_7vsmem_tEENKUlT_SN_SO_SP_E_clIS8_S8_S9_S9_EESM_S12_SN_SO_SP_EUlS12_E0_NS1_11comp_targetILNS1_3genE9ELNS1_11target_archE1100ELNS1_3gpuE3ELNS1_3repE0EEENS1_38merge_mergepath_config_static_selectorELNS0_4arch9wavefront6targetE1EEEvSO_
                                        ; -- End function
	.section	.AMDGPU.csdata,"",@progbits
; Kernel info:
; codeLenInByte = 0
; NumSgprs: 4
; NumVgprs: 0
; NumAgprs: 0
; TotalNumVgprs: 0
; ScratchSize: 0
; MemoryBound: 0
; FloatMode: 240
; IeeeMode: 1
; LDSByteSize: 0 bytes/workgroup (compile time only)
; SGPRBlocks: 0
; VGPRBlocks: 0
; NumSGPRsForWavesPerEU: 4
; NumVGPRsForWavesPerEU: 1
; AccumOffset: 4
; Occupancy: 8
; WaveLimiterHint : 0
; COMPUTE_PGM_RSRC2:SCRATCH_EN: 0
; COMPUTE_PGM_RSRC2:USER_SGPR: 6
; COMPUTE_PGM_RSRC2:TRAP_HANDLER: 0
; COMPUTE_PGM_RSRC2:TGID_X_EN: 1
; COMPUTE_PGM_RSRC2:TGID_Y_EN: 0
; COMPUTE_PGM_RSRC2:TGID_Z_EN: 0
; COMPUTE_PGM_RSRC2:TIDIG_COMP_CNT: 0
; COMPUTE_PGM_RSRC3_GFX90A:ACCUM_OFFSET: 0
; COMPUTE_PGM_RSRC3_GFX90A:TG_SPLIT: 0
	.section	.text._ZN7rocprim17ROCPRIM_400000_NS6detail17trampoline_kernelINS0_14default_configENS1_38merge_sort_block_merge_config_selectorIlNS0_10empty_typeEEEZZNS1_27merge_sort_block_merge_implIS3_PlPS5_mZN2at6native12_GLOBAL__N_124unique_dim_cuda_templateIN3c108BFloat16EEESt5tupleIJNSA_6TensorESH_SH_EERKSH_lbbbEUlllE_EE10hipError_tT0_T1_T2_jT3_P12ihipStream_tbPNSt15iterator_traitsISN_E10value_typeEPNST_ISO_E10value_typeEPSP_NS1_7vsmem_tEENKUlT_SN_SO_SP_E_clIS8_S8_S9_S9_EESM_S12_SN_SO_SP_EUlS12_E0_NS1_11comp_targetILNS1_3genE8ELNS1_11target_archE1030ELNS1_3gpuE2ELNS1_3repE0EEENS1_38merge_mergepath_config_static_selectorELNS0_4arch9wavefront6targetE1EEEvSO_,"axG",@progbits,_ZN7rocprim17ROCPRIM_400000_NS6detail17trampoline_kernelINS0_14default_configENS1_38merge_sort_block_merge_config_selectorIlNS0_10empty_typeEEEZZNS1_27merge_sort_block_merge_implIS3_PlPS5_mZN2at6native12_GLOBAL__N_124unique_dim_cuda_templateIN3c108BFloat16EEESt5tupleIJNSA_6TensorESH_SH_EERKSH_lbbbEUlllE_EE10hipError_tT0_T1_T2_jT3_P12ihipStream_tbPNSt15iterator_traitsISN_E10value_typeEPNST_ISO_E10value_typeEPSP_NS1_7vsmem_tEENKUlT_SN_SO_SP_E_clIS8_S8_S9_S9_EESM_S12_SN_SO_SP_EUlS12_E0_NS1_11comp_targetILNS1_3genE8ELNS1_11target_archE1030ELNS1_3gpuE2ELNS1_3repE0EEENS1_38merge_mergepath_config_static_selectorELNS0_4arch9wavefront6targetE1EEEvSO_,comdat
	.globl	_ZN7rocprim17ROCPRIM_400000_NS6detail17trampoline_kernelINS0_14default_configENS1_38merge_sort_block_merge_config_selectorIlNS0_10empty_typeEEEZZNS1_27merge_sort_block_merge_implIS3_PlPS5_mZN2at6native12_GLOBAL__N_124unique_dim_cuda_templateIN3c108BFloat16EEESt5tupleIJNSA_6TensorESH_SH_EERKSH_lbbbEUlllE_EE10hipError_tT0_T1_T2_jT3_P12ihipStream_tbPNSt15iterator_traitsISN_E10value_typeEPNST_ISO_E10value_typeEPSP_NS1_7vsmem_tEENKUlT_SN_SO_SP_E_clIS8_S8_S9_S9_EESM_S12_SN_SO_SP_EUlS12_E0_NS1_11comp_targetILNS1_3genE8ELNS1_11target_archE1030ELNS1_3gpuE2ELNS1_3repE0EEENS1_38merge_mergepath_config_static_selectorELNS0_4arch9wavefront6targetE1EEEvSO_ ; -- Begin function _ZN7rocprim17ROCPRIM_400000_NS6detail17trampoline_kernelINS0_14default_configENS1_38merge_sort_block_merge_config_selectorIlNS0_10empty_typeEEEZZNS1_27merge_sort_block_merge_implIS3_PlPS5_mZN2at6native12_GLOBAL__N_124unique_dim_cuda_templateIN3c108BFloat16EEESt5tupleIJNSA_6TensorESH_SH_EERKSH_lbbbEUlllE_EE10hipError_tT0_T1_T2_jT3_P12ihipStream_tbPNSt15iterator_traitsISN_E10value_typeEPNST_ISO_E10value_typeEPSP_NS1_7vsmem_tEENKUlT_SN_SO_SP_E_clIS8_S8_S9_S9_EESM_S12_SN_SO_SP_EUlS12_E0_NS1_11comp_targetILNS1_3genE8ELNS1_11target_archE1030ELNS1_3gpuE2ELNS1_3repE0EEENS1_38merge_mergepath_config_static_selectorELNS0_4arch9wavefront6targetE1EEEvSO_
	.p2align	8
	.type	_ZN7rocprim17ROCPRIM_400000_NS6detail17trampoline_kernelINS0_14default_configENS1_38merge_sort_block_merge_config_selectorIlNS0_10empty_typeEEEZZNS1_27merge_sort_block_merge_implIS3_PlPS5_mZN2at6native12_GLOBAL__N_124unique_dim_cuda_templateIN3c108BFloat16EEESt5tupleIJNSA_6TensorESH_SH_EERKSH_lbbbEUlllE_EE10hipError_tT0_T1_T2_jT3_P12ihipStream_tbPNSt15iterator_traitsISN_E10value_typeEPNST_ISO_E10value_typeEPSP_NS1_7vsmem_tEENKUlT_SN_SO_SP_E_clIS8_S8_S9_S9_EESM_S12_SN_SO_SP_EUlS12_E0_NS1_11comp_targetILNS1_3genE8ELNS1_11target_archE1030ELNS1_3gpuE2ELNS1_3repE0EEENS1_38merge_mergepath_config_static_selectorELNS0_4arch9wavefront6targetE1EEEvSO_,@function
_ZN7rocprim17ROCPRIM_400000_NS6detail17trampoline_kernelINS0_14default_configENS1_38merge_sort_block_merge_config_selectorIlNS0_10empty_typeEEEZZNS1_27merge_sort_block_merge_implIS3_PlPS5_mZN2at6native12_GLOBAL__N_124unique_dim_cuda_templateIN3c108BFloat16EEESt5tupleIJNSA_6TensorESH_SH_EERKSH_lbbbEUlllE_EE10hipError_tT0_T1_T2_jT3_P12ihipStream_tbPNSt15iterator_traitsISN_E10value_typeEPNST_ISO_E10value_typeEPSP_NS1_7vsmem_tEENKUlT_SN_SO_SP_E_clIS8_S8_S9_S9_EESM_S12_SN_SO_SP_EUlS12_E0_NS1_11comp_targetILNS1_3genE8ELNS1_11target_archE1030ELNS1_3gpuE2ELNS1_3repE0EEENS1_38merge_mergepath_config_static_selectorELNS0_4arch9wavefront6targetE1EEEvSO_: ; @_ZN7rocprim17ROCPRIM_400000_NS6detail17trampoline_kernelINS0_14default_configENS1_38merge_sort_block_merge_config_selectorIlNS0_10empty_typeEEEZZNS1_27merge_sort_block_merge_implIS3_PlPS5_mZN2at6native12_GLOBAL__N_124unique_dim_cuda_templateIN3c108BFloat16EEESt5tupleIJNSA_6TensorESH_SH_EERKSH_lbbbEUlllE_EE10hipError_tT0_T1_T2_jT3_P12ihipStream_tbPNSt15iterator_traitsISN_E10value_typeEPNST_ISO_E10value_typeEPSP_NS1_7vsmem_tEENKUlT_SN_SO_SP_E_clIS8_S8_S9_S9_EESM_S12_SN_SO_SP_EUlS12_E0_NS1_11comp_targetILNS1_3genE8ELNS1_11target_archE1030ELNS1_3gpuE2ELNS1_3repE0EEENS1_38merge_mergepath_config_static_selectorELNS0_4arch9wavefront6targetE1EEEvSO_
; %bb.0:
	.section	.rodata,"a",@progbits
	.p2align	6, 0x0
	.amdhsa_kernel _ZN7rocprim17ROCPRIM_400000_NS6detail17trampoline_kernelINS0_14default_configENS1_38merge_sort_block_merge_config_selectorIlNS0_10empty_typeEEEZZNS1_27merge_sort_block_merge_implIS3_PlPS5_mZN2at6native12_GLOBAL__N_124unique_dim_cuda_templateIN3c108BFloat16EEESt5tupleIJNSA_6TensorESH_SH_EERKSH_lbbbEUlllE_EE10hipError_tT0_T1_T2_jT3_P12ihipStream_tbPNSt15iterator_traitsISN_E10value_typeEPNST_ISO_E10value_typeEPSP_NS1_7vsmem_tEENKUlT_SN_SO_SP_E_clIS8_S8_S9_S9_EESM_S12_SN_SO_SP_EUlS12_E0_NS1_11comp_targetILNS1_3genE8ELNS1_11target_archE1030ELNS1_3gpuE2ELNS1_3repE0EEENS1_38merge_mergepath_config_static_selectorELNS0_4arch9wavefront6targetE1EEEvSO_
		.amdhsa_group_segment_fixed_size 0
		.amdhsa_private_segment_fixed_size 0
		.amdhsa_kernarg_size 88
		.amdhsa_user_sgpr_count 6
		.amdhsa_user_sgpr_private_segment_buffer 1
		.amdhsa_user_sgpr_dispatch_ptr 0
		.amdhsa_user_sgpr_queue_ptr 0
		.amdhsa_user_sgpr_kernarg_segment_ptr 1
		.amdhsa_user_sgpr_dispatch_id 0
		.amdhsa_user_sgpr_flat_scratch_init 0
		.amdhsa_user_sgpr_kernarg_preload_length 0
		.amdhsa_user_sgpr_kernarg_preload_offset 0
		.amdhsa_user_sgpr_private_segment_size 0
		.amdhsa_uses_dynamic_stack 0
		.amdhsa_system_sgpr_private_segment_wavefront_offset 0
		.amdhsa_system_sgpr_workgroup_id_x 1
		.amdhsa_system_sgpr_workgroup_id_y 0
		.amdhsa_system_sgpr_workgroup_id_z 0
		.amdhsa_system_sgpr_workgroup_info 0
		.amdhsa_system_vgpr_workitem_id 0
		.amdhsa_next_free_vgpr 1
		.amdhsa_next_free_sgpr 0
		.amdhsa_accum_offset 4
		.amdhsa_reserve_vcc 0
		.amdhsa_reserve_flat_scratch 0
		.amdhsa_float_round_mode_32 0
		.amdhsa_float_round_mode_16_64 0
		.amdhsa_float_denorm_mode_32 3
		.amdhsa_float_denorm_mode_16_64 3
		.amdhsa_dx10_clamp 1
		.amdhsa_ieee_mode 1
		.amdhsa_fp16_overflow 0
		.amdhsa_tg_split 0
		.amdhsa_exception_fp_ieee_invalid_op 0
		.amdhsa_exception_fp_denorm_src 0
		.amdhsa_exception_fp_ieee_div_zero 0
		.amdhsa_exception_fp_ieee_overflow 0
		.amdhsa_exception_fp_ieee_underflow 0
		.amdhsa_exception_fp_ieee_inexact 0
		.amdhsa_exception_int_div_zero 0
	.end_amdhsa_kernel
	.section	.text._ZN7rocprim17ROCPRIM_400000_NS6detail17trampoline_kernelINS0_14default_configENS1_38merge_sort_block_merge_config_selectorIlNS0_10empty_typeEEEZZNS1_27merge_sort_block_merge_implIS3_PlPS5_mZN2at6native12_GLOBAL__N_124unique_dim_cuda_templateIN3c108BFloat16EEESt5tupleIJNSA_6TensorESH_SH_EERKSH_lbbbEUlllE_EE10hipError_tT0_T1_T2_jT3_P12ihipStream_tbPNSt15iterator_traitsISN_E10value_typeEPNST_ISO_E10value_typeEPSP_NS1_7vsmem_tEENKUlT_SN_SO_SP_E_clIS8_S8_S9_S9_EESM_S12_SN_SO_SP_EUlS12_E0_NS1_11comp_targetILNS1_3genE8ELNS1_11target_archE1030ELNS1_3gpuE2ELNS1_3repE0EEENS1_38merge_mergepath_config_static_selectorELNS0_4arch9wavefront6targetE1EEEvSO_,"axG",@progbits,_ZN7rocprim17ROCPRIM_400000_NS6detail17trampoline_kernelINS0_14default_configENS1_38merge_sort_block_merge_config_selectorIlNS0_10empty_typeEEEZZNS1_27merge_sort_block_merge_implIS3_PlPS5_mZN2at6native12_GLOBAL__N_124unique_dim_cuda_templateIN3c108BFloat16EEESt5tupleIJNSA_6TensorESH_SH_EERKSH_lbbbEUlllE_EE10hipError_tT0_T1_T2_jT3_P12ihipStream_tbPNSt15iterator_traitsISN_E10value_typeEPNST_ISO_E10value_typeEPSP_NS1_7vsmem_tEENKUlT_SN_SO_SP_E_clIS8_S8_S9_S9_EESM_S12_SN_SO_SP_EUlS12_E0_NS1_11comp_targetILNS1_3genE8ELNS1_11target_archE1030ELNS1_3gpuE2ELNS1_3repE0EEENS1_38merge_mergepath_config_static_selectorELNS0_4arch9wavefront6targetE1EEEvSO_,comdat
.Lfunc_end1139:
	.size	_ZN7rocprim17ROCPRIM_400000_NS6detail17trampoline_kernelINS0_14default_configENS1_38merge_sort_block_merge_config_selectorIlNS0_10empty_typeEEEZZNS1_27merge_sort_block_merge_implIS3_PlPS5_mZN2at6native12_GLOBAL__N_124unique_dim_cuda_templateIN3c108BFloat16EEESt5tupleIJNSA_6TensorESH_SH_EERKSH_lbbbEUlllE_EE10hipError_tT0_T1_T2_jT3_P12ihipStream_tbPNSt15iterator_traitsISN_E10value_typeEPNST_ISO_E10value_typeEPSP_NS1_7vsmem_tEENKUlT_SN_SO_SP_E_clIS8_S8_S9_S9_EESM_S12_SN_SO_SP_EUlS12_E0_NS1_11comp_targetILNS1_3genE8ELNS1_11target_archE1030ELNS1_3gpuE2ELNS1_3repE0EEENS1_38merge_mergepath_config_static_selectorELNS0_4arch9wavefront6targetE1EEEvSO_, .Lfunc_end1139-_ZN7rocprim17ROCPRIM_400000_NS6detail17trampoline_kernelINS0_14default_configENS1_38merge_sort_block_merge_config_selectorIlNS0_10empty_typeEEEZZNS1_27merge_sort_block_merge_implIS3_PlPS5_mZN2at6native12_GLOBAL__N_124unique_dim_cuda_templateIN3c108BFloat16EEESt5tupleIJNSA_6TensorESH_SH_EERKSH_lbbbEUlllE_EE10hipError_tT0_T1_T2_jT3_P12ihipStream_tbPNSt15iterator_traitsISN_E10value_typeEPNST_ISO_E10value_typeEPSP_NS1_7vsmem_tEENKUlT_SN_SO_SP_E_clIS8_S8_S9_S9_EESM_S12_SN_SO_SP_EUlS12_E0_NS1_11comp_targetILNS1_3genE8ELNS1_11target_archE1030ELNS1_3gpuE2ELNS1_3repE0EEENS1_38merge_mergepath_config_static_selectorELNS0_4arch9wavefront6targetE1EEEvSO_
                                        ; -- End function
	.section	.AMDGPU.csdata,"",@progbits
; Kernel info:
; codeLenInByte = 0
; NumSgprs: 4
; NumVgprs: 0
; NumAgprs: 0
; TotalNumVgprs: 0
; ScratchSize: 0
; MemoryBound: 0
; FloatMode: 240
; IeeeMode: 1
; LDSByteSize: 0 bytes/workgroup (compile time only)
; SGPRBlocks: 0
; VGPRBlocks: 0
; NumSGPRsForWavesPerEU: 4
; NumVGPRsForWavesPerEU: 1
; AccumOffset: 4
; Occupancy: 8
; WaveLimiterHint : 0
; COMPUTE_PGM_RSRC2:SCRATCH_EN: 0
; COMPUTE_PGM_RSRC2:USER_SGPR: 6
; COMPUTE_PGM_RSRC2:TRAP_HANDLER: 0
; COMPUTE_PGM_RSRC2:TGID_X_EN: 1
; COMPUTE_PGM_RSRC2:TGID_Y_EN: 0
; COMPUTE_PGM_RSRC2:TGID_Z_EN: 0
; COMPUTE_PGM_RSRC2:TIDIG_COMP_CNT: 0
; COMPUTE_PGM_RSRC3_GFX90A:ACCUM_OFFSET: 0
; COMPUTE_PGM_RSRC3_GFX90A:TG_SPLIT: 0
	.section	.text._ZN7rocprim17ROCPRIM_400000_NS6detail17trampoline_kernelINS0_14default_configENS1_38merge_sort_block_merge_config_selectorIlNS0_10empty_typeEEEZZNS1_27merge_sort_block_merge_implIS3_PlPS5_mZN2at6native12_GLOBAL__N_124unique_dim_cuda_templateIN3c108BFloat16EEESt5tupleIJNSA_6TensorESH_SH_EERKSH_lbbbEUlllE_EE10hipError_tT0_T1_T2_jT3_P12ihipStream_tbPNSt15iterator_traitsISN_E10value_typeEPNST_ISO_E10value_typeEPSP_NS1_7vsmem_tEENKUlT_SN_SO_SP_E_clIS8_S8_S9_S9_EESM_S12_SN_SO_SP_EUlS12_E1_NS1_11comp_targetILNS1_3genE0ELNS1_11target_archE4294967295ELNS1_3gpuE0ELNS1_3repE0EEENS1_36merge_oddeven_config_static_selectorELNS0_4arch9wavefront6targetE1EEEvSO_,"axG",@progbits,_ZN7rocprim17ROCPRIM_400000_NS6detail17trampoline_kernelINS0_14default_configENS1_38merge_sort_block_merge_config_selectorIlNS0_10empty_typeEEEZZNS1_27merge_sort_block_merge_implIS3_PlPS5_mZN2at6native12_GLOBAL__N_124unique_dim_cuda_templateIN3c108BFloat16EEESt5tupleIJNSA_6TensorESH_SH_EERKSH_lbbbEUlllE_EE10hipError_tT0_T1_T2_jT3_P12ihipStream_tbPNSt15iterator_traitsISN_E10value_typeEPNST_ISO_E10value_typeEPSP_NS1_7vsmem_tEENKUlT_SN_SO_SP_E_clIS8_S8_S9_S9_EESM_S12_SN_SO_SP_EUlS12_E1_NS1_11comp_targetILNS1_3genE0ELNS1_11target_archE4294967295ELNS1_3gpuE0ELNS1_3repE0EEENS1_36merge_oddeven_config_static_selectorELNS0_4arch9wavefront6targetE1EEEvSO_,comdat
	.globl	_ZN7rocprim17ROCPRIM_400000_NS6detail17trampoline_kernelINS0_14default_configENS1_38merge_sort_block_merge_config_selectorIlNS0_10empty_typeEEEZZNS1_27merge_sort_block_merge_implIS3_PlPS5_mZN2at6native12_GLOBAL__N_124unique_dim_cuda_templateIN3c108BFloat16EEESt5tupleIJNSA_6TensorESH_SH_EERKSH_lbbbEUlllE_EE10hipError_tT0_T1_T2_jT3_P12ihipStream_tbPNSt15iterator_traitsISN_E10value_typeEPNST_ISO_E10value_typeEPSP_NS1_7vsmem_tEENKUlT_SN_SO_SP_E_clIS8_S8_S9_S9_EESM_S12_SN_SO_SP_EUlS12_E1_NS1_11comp_targetILNS1_3genE0ELNS1_11target_archE4294967295ELNS1_3gpuE0ELNS1_3repE0EEENS1_36merge_oddeven_config_static_selectorELNS0_4arch9wavefront6targetE1EEEvSO_ ; -- Begin function _ZN7rocprim17ROCPRIM_400000_NS6detail17trampoline_kernelINS0_14default_configENS1_38merge_sort_block_merge_config_selectorIlNS0_10empty_typeEEEZZNS1_27merge_sort_block_merge_implIS3_PlPS5_mZN2at6native12_GLOBAL__N_124unique_dim_cuda_templateIN3c108BFloat16EEESt5tupleIJNSA_6TensorESH_SH_EERKSH_lbbbEUlllE_EE10hipError_tT0_T1_T2_jT3_P12ihipStream_tbPNSt15iterator_traitsISN_E10value_typeEPNST_ISO_E10value_typeEPSP_NS1_7vsmem_tEENKUlT_SN_SO_SP_E_clIS8_S8_S9_S9_EESM_S12_SN_SO_SP_EUlS12_E1_NS1_11comp_targetILNS1_3genE0ELNS1_11target_archE4294967295ELNS1_3gpuE0ELNS1_3repE0EEENS1_36merge_oddeven_config_static_selectorELNS0_4arch9wavefront6targetE1EEEvSO_
	.p2align	8
	.type	_ZN7rocprim17ROCPRIM_400000_NS6detail17trampoline_kernelINS0_14default_configENS1_38merge_sort_block_merge_config_selectorIlNS0_10empty_typeEEEZZNS1_27merge_sort_block_merge_implIS3_PlPS5_mZN2at6native12_GLOBAL__N_124unique_dim_cuda_templateIN3c108BFloat16EEESt5tupleIJNSA_6TensorESH_SH_EERKSH_lbbbEUlllE_EE10hipError_tT0_T1_T2_jT3_P12ihipStream_tbPNSt15iterator_traitsISN_E10value_typeEPNST_ISO_E10value_typeEPSP_NS1_7vsmem_tEENKUlT_SN_SO_SP_E_clIS8_S8_S9_S9_EESM_S12_SN_SO_SP_EUlS12_E1_NS1_11comp_targetILNS1_3genE0ELNS1_11target_archE4294967295ELNS1_3gpuE0ELNS1_3repE0EEENS1_36merge_oddeven_config_static_selectorELNS0_4arch9wavefront6targetE1EEEvSO_,@function
_ZN7rocprim17ROCPRIM_400000_NS6detail17trampoline_kernelINS0_14default_configENS1_38merge_sort_block_merge_config_selectorIlNS0_10empty_typeEEEZZNS1_27merge_sort_block_merge_implIS3_PlPS5_mZN2at6native12_GLOBAL__N_124unique_dim_cuda_templateIN3c108BFloat16EEESt5tupleIJNSA_6TensorESH_SH_EERKSH_lbbbEUlllE_EE10hipError_tT0_T1_T2_jT3_P12ihipStream_tbPNSt15iterator_traitsISN_E10value_typeEPNST_ISO_E10value_typeEPSP_NS1_7vsmem_tEENKUlT_SN_SO_SP_E_clIS8_S8_S9_S9_EESM_S12_SN_SO_SP_EUlS12_E1_NS1_11comp_targetILNS1_3genE0ELNS1_11target_archE4294967295ELNS1_3gpuE0ELNS1_3repE0EEENS1_36merge_oddeven_config_static_selectorELNS0_4arch9wavefront6targetE1EEEvSO_: ; @_ZN7rocprim17ROCPRIM_400000_NS6detail17trampoline_kernelINS0_14default_configENS1_38merge_sort_block_merge_config_selectorIlNS0_10empty_typeEEEZZNS1_27merge_sort_block_merge_implIS3_PlPS5_mZN2at6native12_GLOBAL__N_124unique_dim_cuda_templateIN3c108BFloat16EEESt5tupleIJNSA_6TensorESH_SH_EERKSH_lbbbEUlllE_EE10hipError_tT0_T1_T2_jT3_P12ihipStream_tbPNSt15iterator_traitsISN_E10value_typeEPNST_ISO_E10value_typeEPSP_NS1_7vsmem_tEENKUlT_SN_SO_SP_E_clIS8_S8_S9_S9_EESM_S12_SN_SO_SP_EUlS12_E1_NS1_11comp_targetILNS1_3genE0ELNS1_11target_archE4294967295ELNS1_3gpuE0ELNS1_3repE0EEENS1_36merge_oddeven_config_static_selectorELNS0_4arch9wavefront6targetE1EEEvSO_
; %bb.0:
	.section	.rodata,"a",@progbits
	.p2align	6, 0x0
	.amdhsa_kernel _ZN7rocprim17ROCPRIM_400000_NS6detail17trampoline_kernelINS0_14default_configENS1_38merge_sort_block_merge_config_selectorIlNS0_10empty_typeEEEZZNS1_27merge_sort_block_merge_implIS3_PlPS5_mZN2at6native12_GLOBAL__N_124unique_dim_cuda_templateIN3c108BFloat16EEESt5tupleIJNSA_6TensorESH_SH_EERKSH_lbbbEUlllE_EE10hipError_tT0_T1_T2_jT3_P12ihipStream_tbPNSt15iterator_traitsISN_E10value_typeEPNST_ISO_E10value_typeEPSP_NS1_7vsmem_tEENKUlT_SN_SO_SP_E_clIS8_S8_S9_S9_EESM_S12_SN_SO_SP_EUlS12_E1_NS1_11comp_targetILNS1_3genE0ELNS1_11target_archE4294967295ELNS1_3gpuE0ELNS1_3repE0EEENS1_36merge_oddeven_config_static_selectorELNS0_4arch9wavefront6targetE1EEEvSO_
		.amdhsa_group_segment_fixed_size 0
		.amdhsa_private_segment_fixed_size 0
		.amdhsa_kernarg_size 64
		.amdhsa_user_sgpr_count 6
		.amdhsa_user_sgpr_private_segment_buffer 1
		.amdhsa_user_sgpr_dispatch_ptr 0
		.amdhsa_user_sgpr_queue_ptr 0
		.amdhsa_user_sgpr_kernarg_segment_ptr 1
		.amdhsa_user_sgpr_dispatch_id 0
		.amdhsa_user_sgpr_flat_scratch_init 0
		.amdhsa_user_sgpr_kernarg_preload_length 0
		.amdhsa_user_sgpr_kernarg_preload_offset 0
		.amdhsa_user_sgpr_private_segment_size 0
		.amdhsa_uses_dynamic_stack 0
		.amdhsa_system_sgpr_private_segment_wavefront_offset 0
		.amdhsa_system_sgpr_workgroup_id_x 1
		.amdhsa_system_sgpr_workgroup_id_y 0
		.amdhsa_system_sgpr_workgroup_id_z 0
		.amdhsa_system_sgpr_workgroup_info 0
		.amdhsa_system_vgpr_workitem_id 0
		.amdhsa_next_free_vgpr 1
		.amdhsa_next_free_sgpr 0
		.amdhsa_accum_offset 4
		.amdhsa_reserve_vcc 0
		.amdhsa_reserve_flat_scratch 0
		.amdhsa_float_round_mode_32 0
		.amdhsa_float_round_mode_16_64 0
		.amdhsa_float_denorm_mode_32 3
		.amdhsa_float_denorm_mode_16_64 3
		.amdhsa_dx10_clamp 1
		.amdhsa_ieee_mode 1
		.amdhsa_fp16_overflow 0
		.amdhsa_tg_split 0
		.amdhsa_exception_fp_ieee_invalid_op 0
		.amdhsa_exception_fp_denorm_src 0
		.amdhsa_exception_fp_ieee_div_zero 0
		.amdhsa_exception_fp_ieee_overflow 0
		.amdhsa_exception_fp_ieee_underflow 0
		.amdhsa_exception_fp_ieee_inexact 0
		.amdhsa_exception_int_div_zero 0
	.end_amdhsa_kernel
	.section	.text._ZN7rocprim17ROCPRIM_400000_NS6detail17trampoline_kernelINS0_14default_configENS1_38merge_sort_block_merge_config_selectorIlNS0_10empty_typeEEEZZNS1_27merge_sort_block_merge_implIS3_PlPS5_mZN2at6native12_GLOBAL__N_124unique_dim_cuda_templateIN3c108BFloat16EEESt5tupleIJNSA_6TensorESH_SH_EERKSH_lbbbEUlllE_EE10hipError_tT0_T1_T2_jT3_P12ihipStream_tbPNSt15iterator_traitsISN_E10value_typeEPNST_ISO_E10value_typeEPSP_NS1_7vsmem_tEENKUlT_SN_SO_SP_E_clIS8_S8_S9_S9_EESM_S12_SN_SO_SP_EUlS12_E1_NS1_11comp_targetILNS1_3genE0ELNS1_11target_archE4294967295ELNS1_3gpuE0ELNS1_3repE0EEENS1_36merge_oddeven_config_static_selectorELNS0_4arch9wavefront6targetE1EEEvSO_,"axG",@progbits,_ZN7rocprim17ROCPRIM_400000_NS6detail17trampoline_kernelINS0_14default_configENS1_38merge_sort_block_merge_config_selectorIlNS0_10empty_typeEEEZZNS1_27merge_sort_block_merge_implIS3_PlPS5_mZN2at6native12_GLOBAL__N_124unique_dim_cuda_templateIN3c108BFloat16EEESt5tupleIJNSA_6TensorESH_SH_EERKSH_lbbbEUlllE_EE10hipError_tT0_T1_T2_jT3_P12ihipStream_tbPNSt15iterator_traitsISN_E10value_typeEPNST_ISO_E10value_typeEPSP_NS1_7vsmem_tEENKUlT_SN_SO_SP_E_clIS8_S8_S9_S9_EESM_S12_SN_SO_SP_EUlS12_E1_NS1_11comp_targetILNS1_3genE0ELNS1_11target_archE4294967295ELNS1_3gpuE0ELNS1_3repE0EEENS1_36merge_oddeven_config_static_selectorELNS0_4arch9wavefront6targetE1EEEvSO_,comdat
.Lfunc_end1140:
	.size	_ZN7rocprim17ROCPRIM_400000_NS6detail17trampoline_kernelINS0_14default_configENS1_38merge_sort_block_merge_config_selectorIlNS0_10empty_typeEEEZZNS1_27merge_sort_block_merge_implIS3_PlPS5_mZN2at6native12_GLOBAL__N_124unique_dim_cuda_templateIN3c108BFloat16EEESt5tupleIJNSA_6TensorESH_SH_EERKSH_lbbbEUlllE_EE10hipError_tT0_T1_T2_jT3_P12ihipStream_tbPNSt15iterator_traitsISN_E10value_typeEPNST_ISO_E10value_typeEPSP_NS1_7vsmem_tEENKUlT_SN_SO_SP_E_clIS8_S8_S9_S9_EESM_S12_SN_SO_SP_EUlS12_E1_NS1_11comp_targetILNS1_3genE0ELNS1_11target_archE4294967295ELNS1_3gpuE0ELNS1_3repE0EEENS1_36merge_oddeven_config_static_selectorELNS0_4arch9wavefront6targetE1EEEvSO_, .Lfunc_end1140-_ZN7rocprim17ROCPRIM_400000_NS6detail17trampoline_kernelINS0_14default_configENS1_38merge_sort_block_merge_config_selectorIlNS0_10empty_typeEEEZZNS1_27merge_sort_block_merge_implIS3_PlPS5_mZN2at6native12_GLOBAL__N_124unique_dim_cuda_templateIN3c108BFloat16EEESt5tupleIJNSA_6TensorESH_SH_EERKSH_lbbbEUlllE_EE10hipError_tT0_T1_T2_jT3_P12ihipStream_tbPNSt15iterator_traitsISN_E10value_typeEPNST_ISO_E10value_typeEPSP_NS1_7vsmem_tEENKUlT_SN_SO_SP_E_clIS8_S8_S9_S9_EESM_S12_SN_SO_SP_EUlS12_E1_NS1_11comp_targetILNS1_3genE0ELNS1_11target_archE4294967295ELNS1_3gpuE0ELNS1_3repE0EEENS1_36merge_oddeven_config_static_selectorELNS0_4arch9wavefront6targetE1EEEvSO_
                                        ; -- End function
	.section	.AMDGPU.csdata,"",@progbits
; Kernel info:
; codeLenInByte = 0
; NumSgprs: 4
; NumVgprs: 0
; NumAgprs: 0
; TotalNumVgprs: 0
; ScratchSize: 0
; MemoryBound: 0
; FloatMode: 240
; IeeeMode: 1
; LDSByteSize: 0 bytes/workgroup (compile time only)
; SGPRBlocks: 0
; VGPRBlocks: 0
; NumSGPRsForWavesPerEU: 4
; NumVGPRsForWavesPerEU: 1
; AccumOffset: 4
; Occupancy: 8
; WaveLimiterHint : 0
; COMPUTE_PGM_RSRC2:SCRATCH_EN: 0
; COMPUTE_PGM_RSRC2:USER_SGPR: 6
; COMPUTE_PGM_RSRC2:TRAP_HANDLER: 0
; COMPUTE_PGM_RSRC2:TGID_X_EN: 1
; COMPUTE_PGM_RSRC2:TGID_Y_EN: 0
; COMPUTE_PGM_RSRC2:TGID_Z_EN: 0
; COMPUTE_PGM_RSRC2:TIDIG_COMP_CNT: 0
; COMPUTE_PGM_RSRC3_GFX90A:ACCUM_OFFSET: 0
; COMPUTE_PGM_RSRC3_GFX90A:TG_SPLIT: 0
	.section	.text._ZN7rocprim17ROCPRIM_400000_NS6detail17trampoline_kernelINS0_14default_configENS1_38merge_sort_block_merge_config_selectorIlNS0_10empty_typeEEEZZNS1_27merge_sort_block_merge_implIS3_PlPS5_mZN2at6native12_GLOBAL__N_124unique_dim_cuda_templateIN3c108BFloat16EEESt5tupleIJNSA_6TensorESH_SH_EERKSH_lbbbEUlllE_EE10hipError_tT0_T1_T2_jT3_P12ihipStream_tbPNSt15iterator_traitsISN_E10value_typeEPNST_ISO_E10value_typeEPSP_NS1_7vsmem_tEENKUlT_SN_SO_SP_E_clIS8_S8_S9_S9_EESM_S12_SN_SO_SP_EUlS12_E1_NS1_11comp_targetILNS1_3genE10ELNS1_11target_archE1201ELNS1_3gpuE5ELNS1_3repE0EEENS1_36merge_oddeven_config_static_selectorELNS0_4arch9wavefront6targetE1EEEvSO_,"axG",@progbits,_ZN7rocprim17ROCPRIM_400000_NS6detail17trampoline_kernelINS0_14default_configENS1_38merge_sort_block_merge_config_selectorIlNS0_10empty_typeEEEZZNS1_27merge_sort_block_merge_implIS3_PlPS5_mZN2at6native12_GLOBAL__N_124unique_dim_cuda_templateIN3c108BFloat16EEESt5tupleIJNSA_6TensorESH_SH_EERKSH_lbbbEUlllE_EE10hipError_tT0_T1_T2_jT3_P12ihipStream_tbPNSt15iterator_traitsISN_E10value_typeEPNST_ISO_E10value_typeEPSP_NS1_7vsmem_tEENKUlT_SN_SO_SP_E_clIS8_S8_S9_S9_EESM_S12_SN_SO_SP_EUlS12_E1_NS1_11comp_targetILNS1_3genE10ELNS1_11target_archE1201ELNS1_3gpuE5ELNS1_3repE0EEENS1_36merge_oddeven_config_static_selectorELNS0_4arch9wavefront6targetE1EEEvSO_,comdat
	.globl	_ZN7rocprim17ROCPRIM_400000_NS6detail17trampoline_kernelINS0_14default_configENS1_38merge_sort_block_merge_config_selectorIlNS0_10empty_typeEEEZZNS1_27merge_sort_block_merge_implIS3_PlPS5_mZN2at6native12_GLOBAL__N_124unique_dim_cuda_templateIN3c108BFloat16EEESt5tupleIJNSA_6TensorESH_SH_EERKSH_lbbbEUlllE_EE10hipError_tT0_T1_T2_jT3_P12ihipStream_tbPNSt15iterator_traitsISN_E10value_typeEPNST_ISO_E10value_typeEPSP_NS1_7vsmem_tEENKUlT_SN_SO_SP_E_clIS8_S8_S9_S9_EESM_S12_SN_SO_SP_EUlS12_E1_NS1_11comp_targetILNS1_3genE10ELNS1_11target_archE1201ELNS1_3gpuE5ELNS1_3repE0EEENS1_36merge_oddeven_config_static_selectorELNS0_4arch9wavefront6targetE1EEEvSO_ ; -- Begin function _ZN7rocprim17ROCPRIM_400000_NS6detail17trampoline_kernelINS0_14default_configENS1_38merge_sort_block_merge_config_selectorIlNS0_10empty_typeEEEZZNS1_27merge_sort_block_merge_implIS3_PlPS5_mZN2at6native12_GLOBAL__N_124unique_dim_cuda_templateIN3c108BFloat16EEESt5tupleIJNSA_6TensorESH_SH_EERKSH_lbbbEUlllE_EE10hipError_tT0_T1_T2_jT3_P12ihipStream_tbPNSt15iterator_traitsISN_E10value_typeEPNST_ISO_E10value_typeEPSP_NS1_7vsmem_tEENKUlT_SN_SO_SP_E_clIS8_S8_S9_S9_EESM_S12_SN_SO_SP_EUlS12_E1_NS1_11comp_targetILNS1_3genE10ELNS1_11target_archE1201ELNS1_3gpuE5ELNS1_3repE0EEENS1_36merge_oddeven_config_static_selectorELNS0_4arch9wavefront6targetE1EEEvSO_
	.p2align	8
	.type	_ZN7rocprim17ROCPRIM_400000_NS6detail17trampoline_kernelINS0_14default_configENS1_38merge_sort_block_merge_config_selectorIlNS0_10empty_typeEEEZZNS1_27merge_sort_block_merge_implIS3_PlPS5_mZN2at6native12_GLOBAL__N_124unique_dim_cuda_templateIN3c108BFloat16EEESt5tupleIJNSA_6TensorESH_SH_EERKSH_lbbbEUlllE_EE10hipError_tT0_T1_T2_jT3_P12ihipStream_tbPNSt15iterator_traitsISN_E10value_typeEPNST_ISO_E10value_typeEPSP_NS1_7vsmem_tEENKUlT_SN_SO_SP_E_clIS8_S8_S9_S9_EESM_S12_SN_SO_SP_EUlS12_E1_NS1_11comp_targetILNS1_3genE10ELNS1_11target_archE1201ELNS1_3gpuE5ELNS1_3repE0EEENS1_36merge_oddeven_config_static_selectorELNS0_4arch9wavefront6targetE1EEEvSO_,@function
_ZN7rocprim17ROCPRIM_400000_NS6detail17trampoline_kernelINS0_14default_configENS1_38merge_sort_block_merge_config_selectorIlNS0_10empty_typeEEEZZNS1_27merge_sort_block_merge_implIS3_PlPS5_mZN2at6native12_GLOBAL__N_124unique_dim_cuda_templateIN3c108BFloat16EEESt5tupleIJNSA_6TensorESH_SH_EERKSH_lbbbEUlllE_EE10hipError_tT0_T1_T2_jT3_P12ihipStream_tbPNSt15iterator_traitsISN_E10value_typeEPNST_ISO_E10value_typeEPSP_NS1_7vsmem_tEENKUlT_SN_SO_SP_E_clIS8_S8_S9_S9_EESM_S12_SN_SO_SP_EUlS12_E1_NS1_11comp_targetILNS1_3genE10ELNS1_11target_archE1201ELNS1_3gpuE5ELNS1_3repE0EEENS1_36merge_oddeven_config_static_selectorELNS0_4arch9wavefront6targetE1EEEvSO_: ; @_ZN7rocprim17ROCPRIM_400000_NS6detail17trampoline_kernelINS0_14default_configENS1_38merge_sort_block_merge_config_selectorIlNS0_10empty_typeEEEZZNS1_27merge_sort_block_merge_implIS3_PlPS5_mZN2at6native12_GLOBAL__N_124unique_dim_cuda_templateIN3c108BFloat16EEESt5tupleIJNSA_6TensorESH_SH_EERKSH_lbbbEUlllE_EE10hipError_tT0_T1_T2_jT3_P12ihipStream_tbPNSt15iterator_traitsISN_E10value_typeEPNST_ISO_E10value_typeEPSP_NS1_7vsmem_tEENKUlT_SN_SO_SP_E_clIS8_S8_S9_S9_EESM_S12_SN_SO_SP_EUlS12_E1_NS1_11comp_targetILNS1_3genE10ELNS1_11target_archE1201ELNS1_3gpuE5ELNS1_3repE0EEENS1_36merge_oddeven_config_static_selectorELNS0_4arch9wavefront6targetE1EEEvSO_
; %bb.0:
	.section	.rodata,"a",@progbits
	.p2align	6, 0x0
	.amdhsa_kernel _ZN7rocprim17ROCPRIM_400000_NS6detail17trampoline_kernelINS0_14default_configENS1_38merge_sort_block_merge_config_selectorIlNS0_10empty_typeEEEZZNS1_27merge_sort_block_merge_implIS3_PlPS5_mZN2at6native12_GLOBAL__N_124unique_dim_cuda_templateIN3c108BFloat16EEESt5tupleIJNSA_6TensorESH_SH_EERKSH_lbbbEUlllE_EE10hipError_tT0_T1_T2_jT3_P12ihipStream_tbPNSt15iterator_traitsISN_E10value_typeEPNST_ISO_E10value_typeEPSP_NS1_7vsmem_tEENKUlT_SN_SO_SP_E_clIS8_S8_S9_S9_EESM_S12_SN_SO_SP_EUlS12_E1_NS1_11comp_targetILNS1_3genE10ELNS1_11target_archE1201ELNS1_3gpuE5ELNS1_3repE0EEENS1_36merge_oddeven_config_static_selectorELNS0_4arch9wavefront6targetE1EEEvSO_
		.amdhsa_group_segment_fixed_size 0
		.amdhsa_private_segment_fixed_size 0
		.amdhsa_kernarg_size 64
		.amdhsa_user_sgpr_count 6
		.amdhsa_user_sgpr_private_segment_buffer 1
		.amdhsa_user_sgpr_dispatch_ptr 0
		.amdhsa_user_sgpr_queue_ptr 0
		.amdhsa_user_sgpr_kernarg_segment_ptr 1
		.amdhsa_user_sgpr_dispatch_id 0
		.amdhsa_user_sgpr_flat_scratch_init 0
		.amdhsa_user_sgpr_kernarg_preload_length 0
		.amdhsa_user_sgpr_kernarg_preload_offset 0
		.amdhsa_user_sgpr_private_segment_size 0
		.amdhsa_uses_dynamic_stack 0
		.amdhsa_system_sgpr_private_segment_wavefront_offset 0
		.amdhsa_system_sgpr_workgroup_id_x 1
		.amdhsa_system_sgpr_workgroup_id_y 0
		.amdhsa_system_sgpr_workgroup_id_z 0
		.amdhsa_system_sgpr_workgroup_info 0
		.amdhsa_system_vgpr_workitem_id 0
		.amdhsa_next_free_vgpr 1
		.amdhsa_next_free_sgpr 0
		.amdhsa_accum_offset 4
		.amdhsa_reserve_vcc 0
		.amdhsa_reserve_flat_scratch 0
		.amdhsa_float_round_mode_32 0
		.amdhsa_float_round_mode_16_64 0
		.amdhsa_float_denorm_mode_32 3
		.amdhsa_float_denorm_mode_16_64 3
		.amdhsa_dx10_clamp 1
		.amdhsa_ieee_mode 1
		.amdhsa_fp16_overflow 0
		.amdhsa_tg_split 0
		.amdhsa_exception_fp_ieee_invalid_op 0
		.amdhsa_exception_fp_denorm_src 0
		.amdhsa_exception_fp_ieee_div_zero 0
		.amdhsa_exception_fp_ieee_overflow 0
		.amdhsa_exception_fp_ieee_underflow 0
		.amdhsa_exception_fp_ieee_inexact 0
		.amdhsa_exception_int_div_zero 0
	.end_amdhsa_kernel
	.section	.text._ZN7rocprim17ROCPRIM_400000_NS6detail17trampoline_kernelINS0_14default_configENS1_38merge_sort_block_merge_config_selectorIlNS0_10empty_typeEEEZZNS1_27merge_sort_block_merge_implIS3_PlPS5_mZN2at6native12_GLOBAL__N_124unique_dim_cuda_templateIN3c108BFloat16EEESt5tupleIJNSA_6TensorESH_SH_EERKSH_lbbbEUlllE_EE10hipError_tT0_T1_T2_jT3_P12ihipStream_tbPNSt15iterator_traitsISN_E10value_typeEPNST_ISO_E10value_typeEPSP_NS1_7vsmem_tEENKUlT_SN_SO_SP_E_clIS8_S8_S9_S9_EESM_S12_SN_SO_SP_EUlS12_E1_NS1_11comp_targetILNS1_3genE10ELNS1_11target_archE1201ELNS1_3gpuE5ELNS1_3repE0EEENS1_36merge_oddeven_config_static_selectorELNS0_4arch9wavefront6targetE1EEEvSO_,"axG",@progbits,_ZN7rocprim17ROCPRIM_400000_NS6detail17trampoline_kernelINS0_14default_configENS1_38merge_sort_block_merge_config_selectorIlNS0_10empty_typeEEEZZNS1_27merge_sort_block_merge_implIS3_PlPS5_mZN2at6native12_GLOBAL__N_124unique_dim_cuda_templateIN3c108BFloat16EEESt5tupleIJNSA_6TensorESH_SH_EERKSH_lbbbEUlllE_EE10hipError_tT0_T1_T2_jT3_P12ihipStream_tbPNSt15iterator_traitsISN_E10value_typeEPNST_ISO_E10value_typeEPSP_NS1_7vsmem_tEENKUlT_SN_SO_SP_E_clIS8_S8_S9_S9_EESM_S12_SN_SO_SP_EUlS12_E1_NS1_11comp_targetILNS1_3genE10ELNS1_11target_archE1201ELNS1_3gpuE5ELNS1_3repE0EEENS1_36merge_oddeven_config_static_selectorELNS0_4arch9wavefront6targetE1EEEvSO_,comdat
.Lfunc_end1141:
	.size	_ZN7rocprim17ROCPRIM_400000_NS6detail17trampoline_kernelINS0_14default_configENS1_38merge_sort_block_merge_config_selectorIlNS0_10empty_typeEEEZZNS1_27merge_sort_block_merge_implIS3_PlPS5_mZN2at6native12_GLOBAL__N_124unique_dim_cuda_templateIN3c108BFloat16EEESt5tupleIJNSA_6TensorESH_SH_EERKSH_lbbbEUlllE_EE10hipError_tT0_T1_T2_jT3_P12ihipStream_tbPNSt15iterator_traitsISN_E10value_typeEPNST_ISO_E10value_typeEPSP_NS1_7vsmem_tEENKUlT_SN_SO_SP_E_clIS8_S8_S9_S9_EESM_S12_SN_SO_SP_EUlS12_E1_NS1_11comp_targetILNS1_3genE10ELNS1_11target_archE1201ELNS1_3gpuE5ELNS1_3repE0EEENS1_36merge_oddeven_config_static_selectorELNS0_4arch9wavefront6targetE1EEEvSO_, .Lfunc_end1141-_ZN7rocprim17ROCPRIM_400000_NS6detail17trampoline_kernelINS0_14default_configENS1_38merge_sort_block_merge_config_selectorIlNS0_10empty_typeEEEZZNS1_27merge_sort_block_merge_implIS3_PlPS5_mZN2at6native12_GLOBAL__N_124unique_dim_cuda_templateIN3c108BFloat16EEESt5tupleIJNSA_6TensorESH_SH_EERKSH_lbbbEUlllE_EE10hipError_tT0_T1_T2_jT3_P12ihipStream_tbPNSt15iterator_traitsISN_E10value_typeEPNST_ISO_E10value_typeEPSP_NS1_7vsmem_tEENKUlT_SN_SO_SP_E_clIS8_S8_S9_S9_EESM_S12_SN_SO_SP_EUlS12_E1_NS1_11comp_targetILNS1_3genE10ELNS1_11target_archE1201ELNS1_3gpuE5ELNS1_3repE0EEENS1_36merge_oddeven_config_static_selectorELNS0_4arch9wavefront6targetE1EEEvSO_
                                        ; -- End function
	.section	.AMDGPU.csdata,"",@progbits
; Kernel info:
; codeLenInByte = 0
; NumSgprs: 4
; NumVgprs: 0
; NumAgprs: 0
; TotalNumVgprs: 0
; ScratchSize: 0
; MemoryBound: 0
; FloatMode: 240
; IeeeMode: 1
; LDSByteSize: 0 bytes/workgroup (compile time only)
; SGPRBlocks: 0
; VGPRBlocks: 0
; NumSGPRsForWavesPerEU: 4
; NumVGPRsForWavesPerEU: 1
; AccumOffset: 4
; Occupancy: 8
; WaveLimiterHint : 0
; COMPUTE_PGM_RSRC2:SCRATCH_EN: 0
; COMPUTE_PGM_RSRC2:USER_SGPR: 6
; COMPUTE_PGM_RSRC2:TRAP_HANDLER: 0
; COMPUTE_PGM_RSRC2:TGID_X_EN: 1
; COMPUTE_PGM_RSRC2:TGID_Y_EN: 0
; COMPUTE_PGM_RSRC2:TGID_Z_EN: 0
; COMPUTE_PGM_RSRC2:TIDIG_COMP_CNT: 0
; COMPUTE_PGM_RSRC3_GFX90A:ACCUM_OFFSET: 0
; COMPUTE_PGM_RSRC3_GFX90A:TG_SPLIT: 0
	.section	.text._ZN7rocprim17ROCPRIM_400000_NS6detail17trampoline_kernelINS0_14default_configENS1_38merge_sort_block_merge_config_selectorIlNS0_10empty_typeEEEZZNS1_27merge_sort_block_merge_implIS3_PlPS5_mZN2at6native12_GLOBAL__N_124unique_dim_cuda_templateIN3c108BFloat16EEESt5tupleIJNSA_6TensorESH_SH_EERKSH_lbbbEUlllE_EE10hipError_tT0_T1_T2_jT3_P12ihipStream_tbPNSt15iterator_traitsISN_E10value_typeEPNST_ISO_E10value_typeEPSP_NS1_7vsmem_tEENKUlT_SN_SO_SP_E_clIS8_S8_S9_S9_EESM_S12_SN_SO_SP_EUlS12_E1_NS1_11comp_targetILNS1_3genE5ELNS1_11target_archE942ELNS1_3gpuE9ELNS1_3repE0EEENS1_36merge_oddeven_config_static_selectorELNS0_4arch9wavefront6targetE1EEEvSO_,"axG",@progbits,_ZN7rocprim17ROCPRIM_400000_NS6detail17trampoline_kernelINS0_14default_configENS1_38merge_sort_block_merge_config_selectorIlNS0_10empty_typeEEEZZNS1_27merge_sort_block_merge_implIS3_PlPS5_mZN2at6native12_GLOBAL__N_124unique_dim_cuda_templateIN3c108BFloat16EEESt5tupleIJNSA_6TensorESH_SH_EERKSH_lbbbEUlllE_EE10hipError_tT0_T1_T2_jT3_P12ihipStream_tbPNSt15iterator_traitsISN_E10value_typeEPNST_ISO_E10value_typeEPSP_NS1_7vsmem_tEENKUlT_SN_SO_SP_E_clIS8_S8_S9_S9_EESM_S12_SN_SO_SP_EUlS12_E1_NS1_11comp_targetILNS1_3genE5ELNS1_11target_archE942ELNS1_3gpuE9ELNS1_3repE0EEENS1_36merge_oddeven_config_static_selectorELNS0_4arch9wavefront6targetE1EEEvSO_,comdat
	.globl	_ZN7rocprim17ROCPRIM_400000_NS6detail17trampoline_kernelINS0_14default_configENS1_38merge_sort_block_merge_config_selectorIlNS0_10empty_typeEEEZZNS1_27merge_sort_block_merge_implIS3_PlPS5_mZN2at6native12_GLOBAL__N_124unique_dim_cuda_templateIN3c108BFloat16EEESt5tupleIJNSA_6TensorESH_SH_EERKSH_lbbbEUlllE_EE10hipError_tT0_T1_T2_jT3_P12ihipStream_tbPNSt15iterator_traitsISN_E10value_typeEPNST_ISO_E10value_typeEPSP_NS1_7vsmem_tEENKUlT_SN_SO_SP_E_clIS8_S8_S9_S9_EESM_S12_SN_SO_SP_EUlS12_E1_NS1_11comp_targetILNS1_3genE5ELNS1_11target_archE942ELNS1_3gpuE9ELNS1_3repE0EEENS1_36merge_oddeven_config_static_selectorELNS0_4arch9wavefront6targetE1EEEvSO_ ; -- Begin function _ZN7rocprim17ROCPRIM_400000_NS6detail17trampoline_kernelINS0_14default_configENS1_38merge_sort_block_merge_config_selectorIlNS0_10empty_typeEEEZZNS1_27merge_sort_block_merge_implIS3_PlPS5_mZN2at6native12_GLOBAL__N_124unique_dim_cuda_templateIN3c108BFloat16EEESt5tupleIJNSA_6TensorESH_SH_EERKSH_lbbbEUlllE_EE10hipError_tT0_T1_T2_jT3_P12ihipStream_tbPNSt15iterator_traitsISN_E10value_typeEPNST_ISO_E10value_typeEPSP_NS1_7vsmem_tEENKUlT_SN_SO_SP_E_clIS8_S8_S9_S9_EESM_S12_SN_SO_SP_EUlS12_E1_NS1_11comp_targetILNS1_3genE5ELNS1_11target_archE942ELNS1_3gpuE9ELNS1_3repE0EEENS1_36merge_oddeven_config_static_selectorELNS0_4arch9wavefront6targetE1EEEvSO_
	.p2align	8
	.type	_ZN7rocprim17ROCPRIM_400000_NS6detail17trampoline_kernelINS0_14default_configENS1_38merge_sort_block_merge_config_selectorIlNS0_10empty_typeEEEZZNS1_27merge_sort_block_merge_implIS3_PlPS5_mZN2at6native12_GLOBAL__N_124unique_dim_cuda_templateIN3c108BFloat16EEESt5tupleIJNSA_6TensorESH_SH_EERKSH_lbbbEUlllE_EE10hipError_tT0_T1_T2_jT3_P12ihipStream_tbPNSt15iterator_traitsISN_E10value_typeEPNST_ISO_E10value_typeEPSP_NS1_7vsmem_tEENKUlT_SN_SO_SP_E_clIS8_S8_S9_S9_EESM_S12_SN_SO_SP_EUlS12_E1_NS1_11comp_targetILNS1_3genE5ELNS1_11target_archE942ELNS1_3gpuE9ELNS1_3repE0EEENS1_36merge_oddeven_config_static_selectorELNS0_4arch9wavefront6targetE1EEEvSO_,@function
_ZN7rocprim17ROCPRIM_400000_NS6detail17trampoline_kernelINS0_14default_configENS1_38merge_sort_block_merge_config_selectorIlNS0_10empty_typeEEEZZNS1_27merge_sort_block_merge_implIS3_PlPS5_mZN2at6native12_GLOBAL__N_124unique_dim_cuda_templateIN3c108BFloat16EEESt5tupleIJNSA_6TensorESH_SH_EERKSH_lbbbEUlllE_EE10hipError_tT0_T1_T2_jT3_P12ihipStream_tbPNSt15iterator_traitsISN_E10value_typeEPNST_ISO_E10value_typeEPSP_NS1_7vsmem_tEENKUlT_SN_SO_SP_E_clIS8_S8_S9_S9_EESM_S12_SN_SO_SP_EUlS12_E1_NS1_11comp_targetILNS1_3genE5ELNS1_11target_archE942ELNS1_3gpuE9ELNS1_3repE0EEENS1_36merge_oddeven_config_static_selectorELNS0_4arch9wavefront6targetE1EEEvSO_: ; @_ZN7rocprim17ROCPRIM_400000_NS6detail17trampoline_kernelINS0_14default_configENS1_38merge_sort_block_merge_config_selectorIlNS0_10empty_typeEEEZZNS1_27merge_sort_block_merge_implIS3_PlPS5_mZN2at6native12_GLOBAL__N_124unique_dim_cuda_templateIN3c108BFloat16EEESt5tupleIJNSA_6TensorESH_SH_EERKSH_lbbbEUlllE_EE10hipError_tT0_T1_T2_jT3_P12ihipStream_tbPNSt15iterator_traitsISN_E10value_typeEPNST_ISO_E10value_typeEPSP_NS1_7vsmem_tEENKUlT_SN_SO_SP_E_clIS8_S8_S9_S9_EESM_S12_SN_SO_SP_EUlS12_E1_NS1_11comp_targetILNS1_3genE5ELNS1_11target_archE942ELNS1_3gpuE9ELNS1_3repE0EEENS1_36merge_oddeven_config_static_selectorELNS0_4arch9wavefront6targetE1EEEvSO_
; %bb.0:
	.section	.rodata,"a",@progbits
	.p2align	6, 0x0
	.amdhsa_kernel _ZN7rocprim17ROCPRIM_400000_NS6detail17trampoline_kernelINS0_14default_configENS1_38merge_sort_block_merge_config_selectorIlNS0_10empty_typeEEEZZNS1_27merge_sort_block_merge_implIS3_PlPS5_mZN2at6native12_GLOBAL__N_124unique_dim_cuda_templateIN3c108BFloat16EEESt5tupleIJNSA_6TensorESH_SH_EERKSH_lbbbEUlllE_EE10hipError_tT0_T1_T2_jT3_P12ihipStream_tbPNSt15iterator_traitsISN_E10value_typeEPNST_ISO_E10value_typeEPSP_NS1_7vsmem_tEENKUlT_SN_SO_SP_E_clIS8_S8_S9_S9_EESM_S12_SN_SO_SP_EUlS12_E1_NS1_11comp_targetILNS1_3genE5ELNS1_11target_archE942ELNS1_3gpuE9ELNS1_3repE0EEENS1_36merge_oddeven_config_static_selectorELNS0_4arch9wavefront6targetE1EEEvSO_
		.amdhsa_group_segment_fixed_size 0
		.amdhsa_private_segment_fixed_size 0
		.amdhsa_kernarg_size 64
		.amdhsa_user_sgpr_count 6
		.amdhsa_user_sgpr_private_segment_buffer 1
		.amdhsa_user_sgpr_dispatch_ptr 0
		.amdhsa_user_sgpr_queue_ptr 0
		.amdhsa_user_sgpr_kernarg_segment_ptr 1
		.amdhsa_user_sgpr_dispatch_id 0
		.amdhsa_user_sgpr_flat_scratch_init 0
		.amdhsa_user_sgpr_kernarg_preload_length 0
		.amdhsa_user_sgpr_kernarg_preload_offset 0
		.amdhsa_user_sgpr_private_segment_size 0
		.amdhsa_uses_dynamic_stack 0
		.amdhsa_system_sgpr_private_segment_wavefront_offset 0
		.amdhsa_system_sgpr_workgroup_id_x 1
		.amdhsa_system_sgpr_workgroup_id_y 0
		.amdhsa_system_sgpr_workgroup_id_z 0
		.amdhsa_system_sgpr_workgroup_info 0
		.amdhsa_system_vgpr_workitem_id 0
		.amdhsa_next_free_vgpr 1
		.amdhsa_next_free_sgpr 0
		.amdhsa_accum_offset 4
		.amdhsa_reserve_vcc 0
		.amdhsa_reserve_flat_scratch 0
		.amdhsa_float_round_mode_32 0
		.amdhsa_float_round_mode_16_64 0
		.amdhsa_float_denorm_mode_32 3
		.amdhsa_float_denorm_mode_16_64 3
		.amdhsa_dx10_clamp 1
		.amdhsa_ieee_mode 1
		.amdhsa_fp16_overflow 0
		.amdhsa_tg_split 0
		.amdhsa_exception_fp_ieee_invalid_op 0
		.amdhsa_exception_fp_denorm_src 0
		.amdhsa_exception_fp_ieee_div_zero 0
		.amdhsa_exception_fp_ieee_overflow 0
		.amdhsa_exception_fp_ieee_underflow 0
		.amdhsa_exception_fp_ieee_inexact 0
		.amdhsa_exception_int_div_zero 0
	.end_amdhsa_kernel
	.section	.text._ZN7rocprim17ROCPRIM_400000_NS6detail17trampoline_kernelINS0_14default_configENS1_38merge_sort_block_merge_config_selectorIlNS0_10empty_typeEEEZZNS1_27merge_sort_block_merge_implIS3_PlPS5_mZN2at6native12_GLOBAL__N_124unique_dim_cuda_templateIN3c108BFloat16EEESt5tupleIJNSA_6TensorESH_SH_EERKSH_lbbbEUlllE_EE10hipError_tT0_T1_T2_jT3_P12ihipStream_tbPNSt15iterator_traitsISN_E10value_typeEPNST_ISO_E10value_typeEPSP_NS1_7vsmem_tEENKUlT_SN_SO_SP_E_clIS8_S8_S9_S9_EESM_S12_SN_SO_SP_EUlS12_E1_NS1_11comp_targetILNS1_3genE5ELNS1_11target_archE942ELNS1_3gpuE9ELNS1_3repE0EEENS1_36merge_oddeven_config_static_selectorELNS0_4arch9wavefront6targetE1EEEvSO_,"axG",@progbits,_ZN7rocprim17ROCPRIM_400000_NS6detail17trampoline_kernelINS0_14default_configENS1_38merge_sort_block_merge_config_selectorIlNS0_10empty_typeEEEZZNS1_27merge_sort_block_merge_implIS3_PlPS5_mZN2at6native12_GLOBAL__N_124unique_dim_cuda_templateIN3c108BFloat16EEESt5tupleIJNSA_6TensorESH_SH_EERKSH_lbbbEUlllE_EE10hipError_tT0_T1_T2_jT3_P12ihipStream_tbPNSt15iterator_traitsISN_E10value_typeEPNST_ISO_E10value_typeEPSP_NS1_7vsmem_tEENKUlT_SN_SO_SP_E_clIS8_S8_S9_S9_EESM_S12_SN_SO_SP_EUlS12_E1_NS1_11comp_targetILNS1_3genE5ELNS1_11target_archE942ELNS1_3gpuE9ELNS1_3repE0EEENS1_36merge_oddeven_config_static_selectorELNS0_4arch9wavefront6targetE1EEEvSO_,comdat
.Lfunc_end1142:
	.size	_ZN7rocprim17ROCPRIM_400000_NS6detail17trampoline_kernelINS0_14default_configENS1_38merge_sort_block_merge_config_selectorIlNS0_10empty_typeEEEZZNS1_27merge_sort_block_merge_implIS3_PlPS5_mZN2at6native12_GLOBAL__N_124unique_dim_cuda_templateIN3c108BFloat16EEESt5tupleIJNSA_6TensorESH_SH_EERKSH_lbbbEUlllE_EE10hipError_tT0_T1_T2_jT3_P12ihipStream_tbPNSt15iterator_traitsISN_E10value_typeEPNST_ISO_E10value_typeEPSP_NS1_7vsmem_tEENKUlT_SN_SO_SP_E_clIS8_S8_S9_S9_EESM_S12_SN_SO_SP_EUlS12_E1_NS1_11comp_targetILNS1_3genE5ELNS1_11target_archE942ELNS1_3gpuE9ELNS1_3repE0EEENS1_36merge_oddeven_config_static_selectorELNS0_4arch9wavefront6targetE1EEEvSO_, .Lfunc_end1142-_ZN7rocprim17ROCPRIM_400000_NS6detail17trampoline_kernelINS0_14default_configENS1_38merge_sort_block_merge_config_selectorIlNS0_10empty_typeEEEZZNS1_27merge_sort_block_merge_implIS3_PlPS5_mZN2at6native12_GLOBAL__N_124unique_dim_cuda_templateIN3c108BFloat16EEESt5tupleIJNSA_6TensorESH_SH_EERKSH_lbbbEUlllE_EE10hipError_tT0_T1_T2_jT3_P12ihipStream_tbPNSt15iterator_traitsISN_E10value_typeEPNST_ISO_E10value_typeEPSP_NS1_7vsmem_tEENKUlT_SN_SO_SP_E_clIS8_S8_S9_S9_EESM_S12_SN_SO_SP_EUlS12_E1_NS1_11comp_targetILNS1_3genE5ELNS1_11target_archE942ELNS1_3gpuE9ELNS1_3repE0EEENS1_36merge_oddeven_config_static_selectorELNS0_4arch9wavefront6targetE1EEEvSO_
                                        ; -- End function
	.section	.AMDGPU.csdata,"",@progbits
; Kernel info:
; codeLenInByte = 0
; NumSgprs: 4
; NumVgprs: 0
; NumAgprs: 0
; TotalNumVgprs: 0
; ScratchSize: 0
; MemoryBound: 0
; FloatMode: 240
; IeeeMode: 1
; LDSByteSize: 0 bytes/workgroup (compile time only)
; SGPRBlocks: 0
; VGPRBlocks: 0
; NumSGPRsForWavesPerEU: 4
; NumVGPRsForWavesPerEU: 1
; AccumOffset: 4
; Occupancy: 8
; WaveLimiterHint : 0
; COMPUTE_PGM_RSRC2:SCRATCH_EN: 0
; COMPUTE_PGM_RSRC2:USER_SGPR: 6
; COMPUTE_PGM_RSRC2:TRAP_HANDLER: 0
; COMPUTE_PGM_RSRC2:TGID_X_EN: 1
; COMPUTE_PGM_RSRC2:TGID_Y_EN: 0
; COMPUTE_PGM_RSRC2:TGID_Z_EN: 0
; COMPUTE_PGM_RSRC2:TIDIG_COMP_CNT: 0
; COMPUTE_PGM_RSRC3_GFX90A:ACCUM_OFFSET: 0
; COMPUTE_PGM_RSRC3_GFX90A:TG_SPLIT: 0
	.section	.text._ZN7rocprim17ROCPRIM_400000_NS6detail17trampoline_kernelINS0_14default_configENS1_38merge_sort_block_merge_config_selectorIlNS0_10empty_typeEEEZZNS1_27merge_sort_block_merge_implIS3_PlPS5_mZN2at6native12_GLOBAL__N_124unique_dim_cuda_templateIN3c108BFloat16EEESt5tupleIJNSA_6TensorESH_SH_EERKSH_lbbbEUlllE_EE10hipError_tT0_T1_T2_jT3_P12ihipStream_tbPNSt15iterator_traitsISN_E10value_typeEPNST_ISO_E10value_typeEPSP_NS1_7vsmem_tEENKUlT_SN_SO_SP_E_clIS8_S8_S9_S9_EESM_S12_SN_SO_SP_EUlS12_E1_NS1_11comp_targetILNS1_3genE4ELNS1_11target_archE910ELNS1_3gpuE8ELNS1_3repE0EEENS1_36merge_oddeven_config_static_selectorELNS0_4arch9wavefront6targetE1EEEvSO_,"axG",@progbits,_ZN7rocprim17ROCPRIM_400000_NS6detail17trampoline_kernelINS0_14default_configENS1_38merge_sort_block_merge_config_selectorIlNS0_10empty_typeEEEZZNS1_27merge_sort_block_merge_implIS3_PlPS5_mZN2at6native12_GLOBAL__N_124unique_dim_cuda_templateIN3c108BFloat16EEESt5tupleIJNSA_6TensorESH_SH_EERKSH_lbbbEUlllE_EE10hipError_tT0_T1_T2_jT3_P12ihipStream_tbPNSt15iterator_traitsISN_E10value_typeEPNST_ISO_E10value_typeEPSP_NS1_7vsmem_tEENKUlT_SN_SO_SP_E_clIS8_S8_S9_S9_EESM_S12_SN_SO_SP_EUlS12_E1_NS1_11comp_targetILNS1_3genE4ELNS1_11target_archE910ELNS1_3gpuE8ELNS1_3repE0EEENS1_36merge_oddeven_config_static_selectorELNS0_4arch9wavefront6targetE1EEEvSO_,comdat
	.globl	_ZN7rocprim17ROCPRIM_400000_NS6detail17trampoline_kernelINS0_14default_configENS1_38merge_sort_block_merge_config_selectorIlNS0_10empty_typeEEEZZNS1_27merge_sort_block_merge_implIS3_PlPS5_mZN2at6native12_GLOBAL__N_124unique_dim_cuda_templateIN3c108BFloat16EEESt5tupleIJNSA_6TensorESH_SH_EERKSH_lbbbEUlllE_EE10hipError_tT0_T1_T2_jT3_P12ihipStream_tbPNSt15iterator_traitsISN_E10value_typeEPNST_ISO_E10value_typeEPSP_NS1_7vsmem_tEENKUlT_SN_SO_SP_E_clIS8_S8_S9_S9_EESM_S12_SN_SO_SP_EUlS12_E1_NS1_11comp_targetILNS1_3genE4ELNS1_11target_archE910ELNS1_3gpuE8ELNS1_3repE0EEENS1_36merge_oddeven_config_static_selectorELNS0_4arch9wavefront6targetE1EEEvSO_ ; -- Begin function _ZN7rocprim17ROCPRIM_400000_NS6detail17trampoline_kernelINS0_14default_configENS1_38merge_sort_block_merge_config_selectorIlNS0_10empty_typeEEEZZNS1_27merge_sort_block_merge_implIS3_PlPS5_mZN2at6native12_GLOBAL__N_124unique_dim_cuda_templateIN3c108BFloat16EEESt5tupleIJNSA_6TensorESH_SH_EERKSH_lbbbEUlllE_EE10hipError_tT0_T1_T2_jT3_P12ihipStream_tbPNSt15iterator_traitsISN_E10value_typeEPNST_ISO_E10value_typeEPSP_NS1_7vsmem_tEENKUlT_SN_SO_SP_E_clIS8_S8_S9_S9_EESM_S12_SN_SO_SP_EUlS12_E1_NS1_11comp_targetILNS1_3genE4ELNS1_11target_archE910ELNS1_3gpuE8ELNS1_3repE0EEENS1_36merge_oddeven_config_static_selectorELNS0_4arch9wavefront6targetE1EEEvSO_
	.p2align	8
	.type	_ZN7rocprim17ROCPRIM_400000_NS6detail17trampoline_kernelINS0_14default_configENS1_38merge_sort_block_merge_config_selectorIlNS0_10empty_typeEEEZZNS1_27merge_sort_block_merge_implIS3_PlPS5_mZN2at6native12_GLOBAL__N_124unique_dim_cuda_templateIN3c108BFloat16EEESt5tupleIJNSA_6TensorESH_SH_EERKSH_lbbbEUlllE_EE10hipError_tT0_T1_T2_jT3_P12ihipStream_tbPNSt15iterator_traitsISN_E10value_typeEPNST_ISO_E10value_typeEPSP_NS1_7vsmem_tEENKUlT_SN_SO_SP_E_clIS8_S8_S9_S9_EESM_S12_SN_SO_SP_EUlS12_E1_NS1_11comp_targetILNS1_3genE4ELNS1_11target_archE910ELNS1_3gpuE8ELNS1_3repE0EEENS1_36merge_oddeven_config_static_selectorELNS0_4arch9wavefront6targetE1EEEvSO_,@function
_ZN7rocprim17ROCPRIM_400000_NS6detail17trampoline_kernelINS0_14default_configENS1_38merge_sort_block_merge_config_selectorIlNS0_10empty_typeEEEZZNS1_27merge_sort_block_merge_implIS3_PlPS5_mZN2at6native12_GLOBAL__N_124unique_dim_cuda_templateIN3c108BFloat16EEESt5tupleIJNSA_6TensorESH_SH_EERKSH_lbbbEUlllE_EE10hipError_tT0_T1_T2_jT3_P12ihipStream_tbPNSt15iterator_traitsISN_E10value_typeEPNST_ISO_E10value_typeEPSP_NS1_7vsmem_tEENKUlT_SN_SO_SP_E_clIS8_S8_S9_S9_EESM_S12_SN_SO_SP_EUlS12_E1_NS1_11comp_targetILNS1_3genE4ELNS1_11target_archE910ELNS1_3gpuE8ELNS1_3repE0EEENS1_36merge_oddeven_config_static_selectorELNS0_4arch9wavefront6targetE1EEEvSO_: ; @_ZN7rocprim17ROCPRIM_400000_NS6detail17trampoline_kernelINS0_14default_configENS1_38merge_sort_block_merge_config_selectorIlNS0_10empty_typeEEEZZNS1_27merge_sort_block_merge_implIS3_PlPS5_mZN2at6native12_GLOBAL__N_124unique_dim_cuda_templateIN3c108BFloat16EEESt5tupleIJNSA_6TensorESH_SH_EERKSH_lbbbEUlllE_EE10hipError_tT0_T1_T2_jT3_P12ihipStream_tbPNSt15iterator_traitsISN_E10value_typeEPNST_ISO_E10value_typeEPSP_NS1_7vsmem_tEENKUlT_SN_SO_SP_E_clIS8_S8_S9_S9_EESM_S12_SN_SO_SP_EUlS12_E1_NS1_11comp_targetILNS1_3genE4ELNS1_11target_archE910ELNS1_3gpuE8ELNS1_3repE0EEENS1_36merge_oddeven_config_static_selectorELNS0_4arch9wavefront6targetE1EEEvSO_
; %bb.0:
	s_load_dword s18, s[4:5], 0x20
	s_waitcnt lgkmcnt(0)
	s_lshr_b32 s0, s18, 8
	s_cmp_lg_u32 s6, s0
	s_cselect_b64 s[14:15], -1, 0
	s_cmp_eq_u32 s6, s0
	s_cselect_b64 s[2:3], -1, 0
	s_lshl_b32 s16, s6, 8
	s_sub_i32 s0, s18, s16
	v_cmp_gt_u32_e64 s[0:1], s0, v0
	s_or_b64 s[8:9], s[14:15], s[0:1]
	s_and_saveexec_b64 s[10:11], s[8:9]
	s_cbranch_execz .LBB1143_62
; %bb.1:
	s_load_dwordx4 s[8:11], s[4:5], 0x0
	s_load_dword s19, s[4:5], 0x28
	s_mov_b32 s17, 0
	s_lshl_b64 s[12:13], s[16:17], 3
	v_lshlrev_b32_e32 v1, 3, v0
	s_waitcnt lgkmcnt(0)
	s_add_u32 s12, s8, s12
	s_addc_u32 s13, s9, s13
	global_load_dwordx2 v[2:3], v1, s[12:13]
	s_lshr_b32 s7, s19, 8
	s_sub_i32 s12, 0, s7
	s_and_b32 s6, s6, s12
	s_and_b32 s7, s6, s7
	s_cmp_lg_u32 s7, 0
	s_cselect_b64 s[12:13], -1, 0
	s_lshl_b32 s17, s6, 8
	s_sub_i32 s6, 0, s19
	s_cmp_eq_u32 s7, 0
	s_cselect_b32 s33, s19, s6
	s_add_i32 s33, s33, s17
	s_cmp_lt_u32 s33, s18
	s_cbranch_scc1 .LBB1143_3
; %bb.2:
	v_add_u32_e32 v4, s16, v0
	v_cmp_gt_u32_e32 vcc, s18, v4
	s_or_b64 s[14:15], vcc, s[14:15]
	s_and_b64 s[14:15], s[14:15], exec
	s_cbranch_execz .LBB1143_4
	s_branch .LBB1143_60
.LBB1143_3:
	s_mov_b64 s[14:15], 0
                                        ; implicit-def: $vgpr4
.LBB1143_4:
	s_load_dwordx4 s[4:7], s[4:5], 0x30
	s_min_u32 s42, s33, s18
	s_add_i32 s19, s42, s19
	s_min_u32 s43, s19, s18
	s_min_u32 s18, s17, s42
	v_add_u32_e32 v0, s16, v0
	s_add_i32 s17, s17, s42
	v_subrev_u32_e32 v0, s17, v0
	v_add_u32_e32 v12, s18, v0
	s_and_b64 vcc, exec, s[2:3]
	s_cbranch_vccz .LBB1143_30
; %bb.5:
                                        ; implicit-def: $vgpr4
	s_and_saveexec_b64 s[16:17], s[0:1]
	s_cbranch_execz .LBB1143_33
; %bb.6:
	s_cmp_ge_u32 s33, s43
	v_mov_b32_e32 v13, s42
	s_cbranch_scc1 .LBB1143_32
; %bb.7:
	s_waitcnt vmcnt(0) lgkmcnt(0)
	v_mul_lo_u32 v4, v3, s4
	v_mul_lo_u32 v5, v2, s5
	v_mad_u64_u32 v[0:1], s[0:1], v2, s4, 0
	v_add3_u32 v1, v1, v5, v4
	v_lshlrev_b64 v[0:1], 1, v[0:1]
	v_mov_b32_e32 v4, s7
	v_add_co_u32_e32 v0, vcc, s6, v0
	v_addc_co_u32_e32 v1, vcc, v4, v1, vcc
	v_cndmask_b32_e64 v4, 0, 1, s[12:13]
	v_cmp_gt_i64_e64 s[2:3], s[4:5], 0
	v_cmp_ne_u32_e64 s[0:1], 1, v4
	v_cndmask_b32_e64 v4, 0, 1, s[2:3]
	s_mov_b64 s[18:19], 0
	s_lshl_b64 s[20:21], s[4:5], 1
	v_mov_b32_e32 v14, s43
	v_mov_b32_e32 v13, s42
	;; [unrolled: 1-line block ×4, first 2 shown]
	v_cmp_ne_u32_e64 s[2:3], 1, v4
	s_branch .LBB1143_10
.LBB1143_8:                             ;   in Loop: Header=BB1143_10 Depth=1
	s_or_b64 exec, exec, s[24:25]
.LBB1143_9:                             ;   in Loop: Header=BB1143_10 Depth=1
	s_waitcnt vmcnt(0)
	v_add_u32_e32 v6, 1, v4
	v_cndmask_b32_e64 v14, v4, v14, s[22:23]
	v_cndmask_b32_e64 v13, v13, v6, s[22:23]
	v_cmp_ge_u32_e32 vcc, v13, v14
	s_or_b64 s[18:19], vcc, s[18:19]
	s_andn2_b64 exec, exec, s[18:19]
	s_cbranch_execz .LBB1143_31
.LBB1143_10:                            ; =>This Loop Header: Depth=1
                                        ;     Child Loop BB1143_14 Depth 2
                                        ;     Child Loop BB1143_25 Depth 2
	v_add_u32_e32 v4, v13, v14
	v_lshrrev_b32_e32 v4, 1, v4
	v_lshlrev_b64 v[6:7], 3, v[4:5]
	v_add_co_u32_e32 v6, vcc, s8, v6
	v_addc_co_u32_e32 v7, vcc, v15, v7, vcc
	global_load_dwordx2 v[6:7], v[6:7], off
	s_and_b64 vcc, exec, s[0:1]
	s_mov_b64 s[24:25], -1
                                        ; implicit-def: $sgpr22_sgpr23
	s_cbranch_vccnz .LBB1143_21
; %bb.11:                               ;   in Loop: Header=BB1143_10 Depth=1
	s_and_b64 vcc, exec, s[2:3]
	s_cbranch_vccnz .LBB1143_19
; %bb.12:                               ;   in Loop: Header=BB1143_10 Depth=1
	v_pk_mov_b32 v[8:9], s[6:7], s[6:7] op_sel:[0,1]
	s_waitcnt vmcnt(0)
	v_mad_u64_u32 v[8:9], s[22:23], s20, v6, v[8:9]
	v_mul_lo_u32 v10, s20, v7
	v_mul_lo_u32 v11, s21, v6
	v_add3_u32 v9, v11, v9, v10
	s_mov_b64 s[24:25], 0
	s_mov_b64 s[28:29], s[4:5]
	v_pk_mov_b32 v[10:11], v[0:1], v[0:1] op_sel:[0,1]
                                        ; implicit-def: $sgpr22_sgpr23
                                        ; implicit-def: $sgpr26_sgpr27
                                        ; implicit-def: $sgpr30_sgpr31
	s_branch .LBB1143_14
.LBB1143_13:                            ;   in Loop: Header=BB1143_14 Depth=2
	s_or_b64 exec, exec, s[38:39]
	s_and_b64 s[34:35], exec, s[34:35]
	s_or_b64 s[24:25], s[34:35], s[24:25]
	s_andn2_b64 s[22:23], s[22:23], exec
	s_and_b64 s[34:35], s[26:27], exec
	s_or_b64 s[22:23], s[22:23], s[34:35]
	s_andn2_b64 exec, exec, s[24:25]
	s_cbranch_execz .LBB1143_18
.LBB1143_14:                            ;   Parent Loop BB1143_10 Depth=1
                                        ; =>  This Inner Loop Header: Depth=2
	global_load_ushort v16, v[10:11], off
	global_load_ushort v17, v[8:9], off
	s_mov_b64 s[34:35], -1
	s_mov_b64 s[40:41], 0
	s_mov_b64 s[36:37], -1
	s_waitcnt vmcnt(1)
	v_lshlrev_b32_e32 v16, 16, v16
	s_waitcnt vmcnt(0)
	v_lshlrev_b32_e32 v17, 16, v17
	v_cmp_nlt_f32_e32 vcc, v16, v17
	s_and_saveexec_b64 s[38:39], vcc
; %bb.15:                               ;   in Loop: Header=BB1143_14 Depth=2
	v_cmp_ngt_f32_e32 vcc, v16, v17
	s_and_b64 s[30:31], vcc, s[30:31]
	s_orn2_b64 s[36:37], s[30:31], exec
	s_and_b64 s[40:41], vcc, exec
; %bb.16:                               ;   in Loop: Header=BB1143_14 Depth=2
	s_or_b64 exec, exec, s[38:39]
	s_andn2_b64 s[26:27], s[26:27], exec
	s_and_b64 s[30:31], s[36:37], exec
	s_or_b64 s[26:27], s[26:27], s[30:31]
                                        ; implicit-def: $sgpr30_sgpr31
	s_and_saveexec_b64 s[38:39], s[40:41]
	s_cbranch_execz .LBB1143_13
; %bb.17:                               ;   in Loop: Header=BB1143_14 Depth=2
	s_add_u32 s28, s28, -1
	v_add_co_u32_e32 v10, vcc, 2, v10
	s_addc_u32 s29, s29, -1
	v_addc_co_u32_e32 v11, vcc, 0, v11, vcc
	s_cmp_eq_u64 s[28:29], 0
	v_add_co_u32_e32 v8, vcc, 2, v8
	s_cselect_b64 s[34:35], -1, 0
	v_addc_co_u32_e32 v9, vcc, 0, v9, vcc
	s_andn2_b64 s[26:27], s[26:27], exec
	s_and_b64 s[30:31], s[36:37], exec
	s_orn2_b64 s[34:35], s[34:35], exec
	s_branch .LBB1143_13
.LBB1143_18:                            ;   in Loop: Header=BB1143_10 Depth=1
	s_or_b64 exec, exec, s[24:25]
	s_branch .LBB1143_20
.LBB1143_19:                            ;   in Loop: Header=BB1143_10 Depth=1
	s_mov_b64 s[22:23], 0
.LBB1143_20:                            ;   in Loop: Header=BB1143_10 Depth=1
	s_xor_b64 s[22:23], s[22:23], -1
	s_mov_b64 s[24:25], 0
.LBB1143_21:                            ;   in Loop: Header=BB1143_10 Depth=1
	s_and_b64 vcc, exec, s[24:25]
	s_cbranch_vccz .LBB1143_9
; %bb.22:                               ;   in Loop: Header=BB1143_10 Depth=1
	s_and_b64 vcc, exec, s[2:3]
	s_cbranch_vccnz .LBB1143_29
; %bb.23:                               ;   in Loop: Header=BB1143_10 Depth=1
	v_pk_mov_b32 v[8:9], s[6:7], s[6:7] op_sel:[0,1]
	s_waitcnt vmcnt(0)
	v_mad_u64_u32 v[8:9], s[22:23], s20, v6, v[8:9]
	v_mul_lo_u32 v7, s20, v7
	v_mul_lo_u32 v6, s21, v6
	v_add3_u32 v9, v6, v9, v7
	s_mov_b64 s[24:25], 0
	s_mov_b64 s[28:29], s[4:5]
	v_pk_mov_b32 v[6:7], v[0:1], v[0:1] op_sel:[0,1]
                                        ; implicit-def: $sgpr22_sgpr23
                                        ; implicit-def: $sgpr26_sgpr27
                                        ; implicit-def: $sgpr30_sgpr31
	s_branch .LBB1143_25
.LBB1143_24:                            ;   in Loop: Header=BB1143_25 Depth=2
	s_or_b64 exec, exec, s[38:39]
	s_and_b64 s[34:35], exec, s[34:35]
	s_or_b64 s[24:25], s[34:35], s[24:25]
	s_andn2_b64 s[22:23], s[22:23], exec
	s_and_b64 s[34:35], s[26:27], exec
	s_or_b64 s[22:23], s[22:23], s[34:35]
	s_andn2_b64 exec, exec, s[24:25]
	s_cbranch_execz .LBB1143_8
.LBB1143_25:                            ;   Parent Loop BB1143_10 Depth=1
                                        ; =>  This Inner Loop Header: Depth=2
	global_load_ushort v10, v[8:9], off
	global_load_ushort v11, v[6:7], off
	s_mov_b64 s[34:35], -1
	s_mov_b64 s[40:41], 0
	s_mov_b64 s[36:37], -1
	s_waitcnt vmcnt(1)
	v_lshlrev_b32_e32 v10, 16, v10
	s_waitcnt vmcnt(0)
	v_lshlrev_b32_e32 v11, 16, v11
	v_cmp_nlt_f32_e32 vcc, v10, v11
	s_and_saveexec_b64 s[38:39], vcc
; %bb.26:                               ;   in Loop: Header=BB1143_25 Depth=2
	v_cmp_ngt_f32_e32 vcc, v10, v11
	s_and_b64 s[30:31], vcc, s[30:31]
	s_orn2_b64 s[36:37], s[30:31], exec
	s_and_b64 s[40:41], vcc, exec
; %bb.27:                               ;   in Loop: Header=BB1143_25 Depth=2
	s_or_b64 exec, exec, s[38:39]
	s_andn2_b64 s[26:27], s[26:27], exec
	s_and_b64 s[30:31], s[36:37], exec
	s_or_b64 s[26:27], s[26:27], s[30:31]
                                        ; implicit-def: $sgpr30_sgpr31
	s_and_saveexec_b64 s[38:39], s[40:41]
	s_cbranch_execz .LBB1143_24
; %bb.28:                               ;   in Loop: Header=BB1143_25 Depth=2
	s_add_u32 s28, s28, -1
	v_add_co_u32_e32 v8, vcc, 2, v8
	s_addc_u32 s29, s29, -1
	v_addc_co_u32_e32 v9, vcc, 0, v9, vcc
	s_cmp_eq_u64 s[28:29], 0
	v_add_co_u32_e32 v6, vcc, 2, v6
	s_cselect_b64 s[34:35], -1, 0
	v_addc_co_u32_e32 v7, vcc, 0, v7, vcc
	s_andn2_b64 s[26:27], s[26:27], exec
	s_and_b64 s[30:31], s[36:37], exec
	s_orn2_b64 s[34:35], s[34:35], exec
	s_branch .LBB1143_24
.LBB1143_29:                            ;   in Loop: Header=BB1143_10 Depth=1
	s_mov_b64 s[22:23], 0
	s_branch .LBB1143_9
.LBB1143_30:
                                        ; implicit-def: $vgpr4
	s_cbranch_execnz .LBB1143_34
	s_branch .LBB1143_60
.LBB1143_31:
	s_or_b64 exec, exec, s[18:19]
.LBB1143_32:
	v_add_u32_e32 v4, v13, v12
	s_or_b64 s[14:15], s[14:15], exec
.LBB1143_33:
	s_or_b64 exec, exec, s[16:17]
	s_branch .LBB1143_60
.LBB1143_34:
	s_cmp_ge_u32 s33, s43
	v_mov_b32_e32 v13, s42
	s_cbranch_scc1 .LBB1143_59
; %bb.35:
	s_waitcnt vmcnt(0) lgkmcnt(0)
	v_mul_lo_u32 v4, v3, s4
	v_mul_lo_u32 v5, v2, s5
	v_mad_u64_u32 v[0:1], s[0:1], v2, s4, 0
	v_add3_u32 v1, v1, v5, v4
	v_lshlrev_b64 v[0:1], 1, v[0:1]
	v_mov_b32_e32 v4, s7
	v_add_co_u32_e32 v0, vcc, s6, v0
	v_addc_co_u32_e32 v1, vcc, v4, v1, vcc
	v_cndmask_b32_e64 v4, 0, 1, s[12:13]
	v_cmp_gt_i64_e64 s[2:3], s[4:5], 0
	v_cmp_ne_u32_e64 s[0:1], 1, v4
	v_cndmask_b32_e64 v4, 0, 1, s[2:3]
	s_mov_b64 s[14:15], 0
	s_lshl_b64 s[16:17], s[4:5], 1
	v_mov_b32_e32 v14, s43
	v_mov_b32_e32 v13, s42
	;; [unrolled: 1-line block ×4, first 2 shown]
	v_cmp_ne_u32_e64 s[2:3], 1, v4
	s_branch .LBB1143_38
.LBB1143_36:                            ;   in Loop: Header=BB1143_38 Depth=1
	s_or_b64 exec, exec, s[18:19]
.LBB1143_37:                            ;   in Loop: Header=BB1143_38 Depth=1
	s_waitcnt vmcnt(0)
	v_add_u32_e32 v6, 1, v4
	v_cndmask_b32_e64 v14, v4, v14, s[12:13]
	v_cndmask_b32_e64 v13, v13, v6, s[12:13]
	v_cmp_ge_u32_e32 vcc, v13, v14
	s_or_b64 s[14:15], vcc, s[14:15]
	s_andn2_b64 exec, exec, s[14:15]
	s_cbranch_execz .LBB1143_58
.LBB1143_38:                            ; =>This Loop Header: Depth=1
                                        ;     Child Loop BB1143_42 Depth 2
                                        ;     Child Loop BB1143_53 Depth 2
	v_add_u32_e32 v4, v13, v14
	v_lshrrev_b32_e32 v4, 1, v4
	v_lshlrev_b64 v[6:7], 3, v[4:5]
	v_add_co_u32_e32 v6, vcc, s8, v6
	v_addc_co_u32_e32 v7, vcc, v15, v7, vcc
	global_load_dwordx2 v[6:7], v[6:7], off
	s_and_b64 vcc, exec, s[0:1]
	s_mov_b64 s[18:19], -1
                                        ; implicit-def: $sgpr12_sgpr13
	s_cbranch_vccnz .LBB1143_49
; %bb.39:                               ;   in Loop: Header=BB1143_38 Depth=1
	s_and_b64 vcc, exec, s[2:3]
	s_cbranch_vccnz .LBB1143_47
; %bb.40:                               ;   in Loop: Header=BB1143_38 Depth=1
	v_pk_mov_b32 v[8:9], s[6:7], s[6:7] op_sel:[0,1]
	s_waitcnt vmcnt(0)
	v_mad_u64_u32 v[8:9], s[12:13], s16, v6, v[8:9]
	v_mul_lo_u32 v10, s16, v7
	v_mul_lo_u32 v11, s17, v6
	v_add3_u32 v9, v11, v9, v10
	s_mov_b64 s[18:19], 0
	s_mov_b64 s[22:23], s[4:5]
	v_pk_mov_b32 v[10:11], v[0:1], v[0:1] op_sel:[0,1]
                                        ; implicit-def: $sgpr12_sgpr13
                                        ; implicit-def: $sgpr20_sgpr21
                                        ; implicit-def: $sgpr24_sgpr25
	s_branch .LBB1143_42
.LBB1143_41:                            ;   in Loop: Header=BB1143_42 Depth=2
	s_or_b64 exec, exec, s[30:31]
	s_and_b64 s[26:27], exec, s[26:27]
	s_or_b64 s[18:19], s[26:27], s[18:19]
	s_andn2_b64 s[12:13], s[12:13], exec
	s_and_b64 s[26:27], s[20:21], exec
	s_or_b64 s[12:13], s[12:13], s[26:27]
	s_andn2_b64 exec, exec, s[18:19]
	s_cbranch_execz .LBB1143_46
.LBB1143_42:                            ;   Parent Loop BB1143_38 Depth=1
                                        ; =>  This Inner Loop Header: Depth=2
	global_load_ushort v16, v[10:11], off
	global_load_ushort v17, v[8:9], off
	s_mov_b64 s[26:27], -1
	s_mov_b64 s[34:35], 0
	s_mov_b64 s[28:29], -1
	s_waitcnt vmcnt(1)
	v_lshlrev_b32_e32 v16, 16, v16
	s_waitcnt vmcnt(0)
	v_lshlrev_b32_e32 v17, 16, v17
	v_cmp_nlt_f32_e32 vcc, v16, v17
	s_and_saveexec_b64 s[30:31], vcc
; %bb.43:                               ;   in Loop: Header=BB1143_42 Depth=2
	v_cmp_ngt_f32_e32 vcc, v16, v17
	s_and_b64 s[24:25], vcc, s[24:25]
	s_orn2_b64 s[28:29], s[24:25], exec
	s_and_b64 s[34:35], vcc, exec
; %bb.44:                               ;   in Loop: Header=BB1143_42 Depth=2
	s_or_b64 exec, exec, s[30:31]
	s_andn2_b64 s[20:21], s[20:21], exec
	s_and_b64 s[24:25], s[28:29], exec
	s_or_b64 s[20:21], s[20:21], s[24:25]
                                        ; implicit-def: $sgpr24_sgpr25
	s_and_saveexec_b64 s[30:31], s[34:35]
	s_cbranch_execz .LBB1143_41
; %bb.45:                               ;   in Loop: Header=BB1143_42 Depth=2
	s_add_u32 s22, s22, -1
	v_add_co_u32_e32 v10, vcc, 2, v10
	s_addc_u32 s23, s23, -1
	v_addc_co_u32_e32 v11, vcc, 0, v11, vcc
	s_cmp_eq_u64 s[22:23], 0
	v_add_co_u32_e32 v8, vcc, 2, v8
	s_cselect_b64 s[26:27], -1, 0
	v_addc_co_u32_e32 v9, vcc, 0, v9, vcc
	s_andn2_b64 s[20:21], s[20:21], exec
	s_and_b64 s[24:25], s[28:29], exec
	s_orn2_b64 s[26:27], s[26:27], exec
	s_branch .LBB1143_41
.LBB1143_46:                            ;   in Loop: Header=BB1143_38 Depth=1
	s_or_b64 exec, exec, s[18:19]
	s_branch .LBB1143_48
.LBB1143_47:                            ;   in Loop: Header=BB1143_38 Depth=1
	s_mov_b64 s[12:13], 0
.LBB1143_48:                            ;   in Loop: Header=BB1143_38 Depth=1
	s_xor_b64 s[12:13], s[12:13], -1
	s_mov_b64 s[18:19], 0
.LBB1143_49:                            ;   in Loop: Header=BB1143_38 Depth=1
	s_and_b64 vcc, exec, s[18:19]
	s_cbranch_vccz .LBB1143_37
; %bb.50:                               ;   in Loop: Header=BB1143_38 Depth=1
	s_and_b64 vcc, exec, s[2:3]
	s_cbranch_vccnz .LBB1143_57
; %bb.51:                               ;   in Loop: Header=BB1143_38 Depth=1
	v_pk_mov_b32 v[8:9], s[6:7], s[6:7] op_sel:[0,1]
	s_waitcnt vmcnt(0)
	v_mad_u64_u32 v[8:9], s[12:13], s16, v6, v[8:9]
	v_mul_lo_u32 v7, s16, v7
	v_mul_lo_u32 v6, s17, v6
	v_add3_u32 v9, v6, v9, v7
	s_mov_b64 s[18:19], 0
	s_mov_b64 s[22:23], s[4:5]
	v_pk_mov_b32 v[6:7], v[0:1], v[0:1] op_sel:[0,1]
                                        ; implicit-def: $sgpr12_sgpr13
                                        ; implicit-def: $sgpr20_sgpr21
                                        ; implicit-def: $sgpr24_sgpr25
	s_branch .LBB1143_53
.LBB1143_52:                            ;   in Loop: Header=BB1143_53 Depth=2
	s_or_b64 exec, exec, s[30:31]
	s_and_b64 s[26:27], exec, s[26:27]
	s_or_b64 s[18:19], s[26:27], s[18:19]
	s_andn2_b64 s[12:13], s[12:13], exec
	s_and_b64 s[26:27], s[20:21], exec
	s_or_b64 s[12:13], s[12:13], s[26:27]
	s_andn2_b64 exec, exec, s[18:19]
	s_cbranch_execz .LBB1143_36
.LBB1143_53:                            ;   Parent Loop BB1143_38 Depth=1
                                        ; =>  This Inner Loop Header: Depth=2
	global_load_ushort v10, v[8:9], off
	global_load_ushort v11, v[6:7], off
	s_mov_b64 s[26:27], -1
	s_mov_b64 s[34:35], 0
	s_mov_b64 s[28:29], -1
	s_waitcnt vmcnt(1)
	v_lshlrev_b32_e32 v10, 16, v10
	s_waitcnt vmcnt(0)
	v_lshlrev_b32_e32 v11, 16, v11
	v_cmp_nlt_f32_e32 vcc, v10, v11
	s_and_saveexec_b64 s[30:31], vcc
; %bb.54:                               ;   in Loop: Header=BB1143_53 Depth=2
	v_cmp_ngt_f32_e32 vcc, v10, v11
	s_and_b64 s[24:25], vcc, s[24:25]
	s_orn2_b64 s[28:29], s[24:25], exec
	s_and_b64 s[34:35], vcc, exec
; %bb.55:                               ;   in Loop: Header=BB1143_53 Depth=2
	s_or_b64 exec, exec, s[30:31]
	s_andn2_b64 s[20:21], s[20:21], exec
	s_and_b64 s[24:25], s[28:29], exec
	s_or_b64 s[20:21], s[20:21], s[24:25]
                                        ; implicit-def: $sgpr24_sgpr25
	s_and_saveexec_b64 s[30:31], s[34:35]
	s_cbranch_execz .LBB1143_52
; %bb.56:                               ;   in Loop: Header=BB1143_53 Depth=2
	s_add_u32 s22, s22, -1
	v_add_co_u32_e32 v8, vcc, 2, v8
	s_addc_u32 s23, s23, -1
	v_addc_co_u32_e32 v9, vcc, 0, v9, vcc
	s_cmp_eq_u64 s[22:23], 0
	v_add_co_u32_e32 v6, vcc, 2, v6
	s_cselect_b64 s[26:27], -1, 0
	v_addc_co_u32_e32 v7, vcc, 0, v7, vcc
	s_andn2_b64 s[20:21], s[20:21], exec
	s_and_b64 s[24:25], s[28:29], exec
	s_orn2_b64 s[26:27], s[26:27], exec
	s_branch .LBB1143_52
.LBB1143_57:                            ;   in Loop: Header=BB1143_38 Depth=1
	s_mov_b64 s[12:13], 0
	s_branch .LBB1143_37
.LBB1143_58:
	s_or_b64 exec, exec, s[14:15]
.LBB1143_59:
	v_add_u32_e32 v4, v13, v12
	s_mov_b64 s[14:15], -1
.LBB1143_60:
	s_and_b64 exec, exec, s[14:15]
	s_cbranch_execz .LBB1143_62
; %bb.61:
	v_mov_b32_e32 v5, 0
	v_lshlrev_b64 v[0:1], 3, v[4:5]
	v_mov_b32_e32 v4, s11
	v_add_co_u32_e32 v0, vcc, s10, v0
	v_addc_co_u32_e32 v1, vcc, v4, v1, vcc
	s_waitcnt vmcnt(0)
	global_store_dwordx2 v[0:1], v[2:3], off
.LBB1143_62:
	s_endpgm
	.section	.rodata,"a",@progbits
	.p2align	6, 0x0
	.amdhsa_kernel _ZN7rocprim17ROCPRIM_400000_NS6detail17trampoline_kernelINS0_14default_configENS1_38merge_sort_block_merge_config_selectorIlNS0_10empty_typeEEEZZNS1_27merge_sort_block_merge_implIS3_PlPS5_mZN2at6native12_GLOBAL__N_124unique_dim_cuda_templateIN3c108BFloat16EEESt5tupleIJNSA_6TensorESH_SH_EERKSH_lbbbEUlllE_EE10hipError_tT0_T1_T2_jT3_P12ihipStream_tbPNSt15iterator_traitsISN_E10value_typeEPNST_ISO_E10value_typeEPSP_NS1_7vsmem_tEENKUlT_SN_SO_SP_E_clIS8_S8_S9_S9_EESM_S12_SN_SO_SP_EUlS12_E1_NS1_11comp_targetILNS1_3genE4ELNS1_11target_archE910ELNS1_3gpuE8ELNS1_3repE0EEENS1_36merge_oddeven_config_static_selectorELNS0_4arch9wavefront6targetE1EEEvSO_
		.amdhsa_group_segment_fixed_size 0
		.amdhsa_private_segment_fixed_size 0
		.amdhsa_kernarg_size 64
		.amdhsa_user_sgpr_count 6
		.amdhsa_user_sgpr_private_segment_buffer 1
		.amdhsa_user_sgpr_dispatch_ptr 0
		.amdhsa_user_sgpr_queue_ptr 0
		.amdhsa_user_sgpr_kernarg_segment_ptr 1
		.amdhsa_user_sgpr_dispatch_id 0
		.amdhsa_user_sgpr_flat_scratch_init 0
		.amdhsa_user_sgpr_kernarg_preload_length 0
		.amdhsa_user_sgpr_kernarg_preload_offset 0
		.amdhsa_user_sgpr_private_segment_size 0
		.amdhsa_uses_dynamic_stack 0
		.amdhsa_system_sgpr_private_segment_wavefront_offset 0
		.amdhsa_system_sgpr_workgroup_id_x 1
		.amdhsa_system_sgpr_workgroup_id_y 0
		.amdhsa_system_sgpr_workgroup_id_z 0
		.amdhsa_system_sgpr_workgroup_info 0
		.amdhsa_system_vgpr_workitem_id 0
		.amdhsa_next_free_vgpr 18
		.amdhsa_next_free_sgpr 44
		.amdhsa_accum_offset 20
		.amdhsa_reserve_vcc 1
		.amdhsa_reserve_flat_scratch 0
		.amdhsa_float_round_mode_32 0
		.amdhsa_float_round_mode_16_64 0
		.amdhsa_float_denorm_mode_32 3
		.amdhsa_float_denorm_mode_16_64 3
		.amdhsa_dx10_clamp 1
		.amdhsa_ieee_mode 1
		.amdhsa_fp16_overflow 0
		.amdhsa_tg_split 0
		.amdhsa_exception_fp_ieee_invalid_op 0
		.amdhsa_exception_fp_denorm_src 0
		.amdhsa_exception_fp_ieee_div_zero 0
		.amdhsa_exception_fp_ieee_overflow 0
		.amdhsa_exception_fp_ieee_underflow 0
		.amdhsa_exception_fp_ieee_inexact 0
		.amdhsa_exception_int_div_zero 0
	.end_amdhsa_kernel
	.section	.text._ZN7rocprim17ROCPRIM_400000_NS6detail17trampoline_kernelINS0_14default_configENS1_38merge_sort_block_merge_config_selectorIlNS0_10empty_typeEEEZZNS1_27merge_sort_block_merge_implIS3_PlPS5_mZN2at6native12_GLOBAL__N_124unique_dim_cuda_templateIN3c108BFloat16EEESt5tupleIJNSA_6TensorESH_SH_EERKSH_lbbbEUlllE_EE10hipError_tT0_T1_T2_jT3_P12ihipStream_tbPNSt15iterator_traitsISN_E10value_typeEPNST_ISO_E10value_typeEPSP_NS1_7vsmem_tEENKUlT_SN_SO_SP_E_clIS8_S8_S9_S9_EESM_S12_SN_SO_SP_EUlS12_E1_NS1_11comp_targetILNS1_3genE4ELNS1_11target_archE910ELNS1_3gpuE8ELNS1_3repE0EEENS1_36merge_oddeven_config_static_selectorELNS0_4arch9wavefront6targetE1EEEvSO_,"axG",@progbits,_ZN7rocprim17ROCPRIM_400000_NS6detail17trampoline_kernelINS0_14default_configENS1_38merge_sort_block_merge_config_selectorIlNS0_10empty_typeEEEZZNS1_27merge_sort_block_merge_implIS3_PlPS5_mZN2at6native12_GLOBAL__N_124unique_dim_cuda_templateIN3c108BFloat16EEESt5tupleIJNSA_6TensorESH_SH_EERKSH_lbbbEUlllE_EE10hipError_tT0_T1_T2_jT3_P12ihipStream_tbPNSt15iterator_traitsISN_E10value_typeEPNST_ISO_E10value_typeEPSP_NS1_7vsmem_tEENKUlT_SN_SO_SP_E_clIS8_S8_S9_S9_EESM_S12_SN_SO_SP_EUlS12_E1_NS1_11comp_targetILNS1_3genE4ELNS1_11target_archE910ELNS1_3gpuE8ELNS1_3repE0EEENS1_36merge_oddeven_config_static_selectorELNS0_4arch9wavefront6targetE1EEEvSO_,comdat
.Lfunc_end1143:
	.size	_ZN7rocprim17ROCPRIM_400000_NS6detail17trampoline_kernelINS0_14default_configENS1_38merge_sort_block_merge_config_selectorIlNS0_10empty_typeEEEZZNS1_27merge_sort_block_merge_implIS3_PlPS5_mZN2at6native12_GLOBAL__N_124unique_dim_cuda_templateIN3c108BFloat16EEESt5tupleIJNSA_6TensorESH_SH_EERKSH_lbbbEUlllE_EE10hipError_tT0_T1_T2_jT3_P12ihipStream_tbPNSt15iterator_traitsISN_E10value_typeEPNST_ISO_E10value_typeEPSP_NS1_7vsmem_tEENKUlT_SN_SO_SP_E_clIS8_S8_S9_S9_EESM_S12_SN_SO_SP_EUlS12_E1_NS1_11comp_targetILNS1_3genE4ELNS1_11target_archE910ELNS1_3gpuE8ELNS1_3repE0EEENS1_36merge_oddeven_config_static_selectorELNS0_4arch9wavefront6targetE1EEEvSO_, .Lfunc_end1143-_ZN7rocprim17ROCPRIM_400000_NS6detail17trampoline_kernelINS0_14default_configENS1_38merge_sort_block_merge_config_selectorIlNS0_10empty_typeEEEZZNS1_27merge_sort_block_merge_implIS3_PlPS5_mZN2at6native12_GLOBAL__N_124unique_dim_cuda_templateIN3c108BFloat16EEESt5tupleIJNSA_6TensorESH_SH_EERKSH_lbbbEUlllE_EE10hipError_tT0_T1_T2_jT3_P12ihipStream_tbPNSt15iterator_traitsISN_E10value_typeEPNST_ISO_E10value_typeEPSP_NS1_7vsmem_tEENKUlT_SN_SO_SP_E_clIS8_S8_S9_S9_EESM_S12_SN_SO_SP_EUlS12_E1_NS1_11comp_targetILNS1_3genE4ELNS1_11target_archE910ELNS1_3gpuE8ELNS1_3repE0EEENS1_36merge_oddeven_config_static_selectorELNS0_4arch9wavefront6targetE1EEEvSO_
                                        ; -- End function
	.section	.AMDGPU.csdata,"",@progbits
; Kernel info:
; codeLenInByte = 1828
; NumSgprs: 48
; NumVgprs: 18
; NumAgprs: 0
; TotalNumVgprs: 18
; ScratchSize: 0
; MemoryBound: 0
; FloatMode: 240
; IeeeMode: 1
; LDSByteSize: 0 bytes/workgroup (compile time only)
; SGPRBlocks: 5
; VGPRBlocks: 2
; NumSGPRsForWavesPerEU: 48
; NumVGPRsForWavesPerEU: 18
; AccumOffset: 20
; Occupancy: 8
; WaveLimiterHint : 0
; COMPUTE_PGM_RSRC2:SCRATCH_EN: 0
; COMPUTE_PGM_RSRC2:USER_SGPR: 6
; COMPUTE_PGM_RSRC2:TRAP_HANDLER: 0
; COMPUTE_PGM_RSRC2:TGID_X_EN: 1
; COMPUTE_PGM_RSRC2:TGID_Y_EN: 0
; COMPUTE_PGM_RSRC2:TGID_Z_EN: 0
; COMPUTE_PGM_RSRC2:TIDIG_COMP_CNT: 0
; COMPUTE_PGM_RSRC3_GFX90A:ACCUM_OFFSET: 4
; COMPUTE_PGM_RSRC3_GFX90A:TG_SPLIT: 0
	.section	.text._ZN7rocprim17ROCPRIM_400000_NS6detail17trampoline_kernelINS0_14default_configENS1_38merge_sort_block_merge_config_selectorIlNS0_10empty_typeEEEZZNS1_27merge_sort_block_merge_implIS3_PlPS5_mZN2at6native12_GLOBAL__N_124unique_dim_cuda_templateIN3c108BFloat16EEESt5tupleIJNSA_6TensorESH_SH_EERKSH_lbbbEUlllE_EE10hipError_tT0_T1_T2_jT3_P12ihipStream_tbPNSt15iterator_traitsISN_E10value_typeEPNST_ISO_E10value_typeEPSP_NS1_7vsmem_tEENKUlT_SN_SO_SP_E_clIS8_S8_S9_S9_EESM_S12_SN_SO_SP_EUlS12_E1_NS1_11comp_targetILNS1_3genE3ELNS1_11target_archE908ELNS1_3gpuE7ELNS1_3repE0EEENS1_36merge_oddeven_config_static_selectorELNS0_4arch9wavefront6targetE1EEEvSO_,"axG",@progbits,_ZN7rocprim17ROCPRIM_400000_NS6detail17trampoline_kernelINS0_14default_configENS1_38merge_sort_block_merge_config_selectorIlNS0_10empty_typeEEEZZNS1_27merge_sort_block_merge_implIS3_PlPS5_mZN2at6native12_GLOBAL__N_124unique_dim_cuda_templateIN3c108BFloat16EEESt5tupleIJNSA_6TensorESH_SH_EERKSH_lbbbEUlllE_EE10hipError_tT0_T1_T2_jT3_P12ihipStream_tbPNSt15iterator_traitsISN_E10value_typeEPNST_ISO_E10value_typeEPSP_NS1_7vsmem_tEENKUlT_SN_SO_SP_E_clIS8_S8_S9_S9_EESM_S12_SN_SO_SP_EUlS12_E1_NS1_11comp_targetILNS1_3genE3ELNS1_11target_archE908ELNS1_3gpuE7ELNS1_3repE0EEENS1_36merge_oddeven_config_static_selectorELNS0_4arch9wavefront6targetE1EEEvSO_,comdat
	.globl	_ZN7rocprim17ROCPRIM_400000_NS6detail17trampoline_kernelINS0_14default_configENS1_38merge_sort_block_merge_config_selectorIlNS0_10empty_typeEEEZZNS1_27merge_sort_block_merge_implIS3_PlPS5_mZN2at6native12_GLOBAL__N_124unique_dim_cuda_templateIN3c108BFloat16EEESt5tupleIJNSA_6TensorESH_SH_EERKSH_lbbbEUlllE_EE10hipError_tT0_T1_T2_jT3_P12ihipStream_tbPNSt15iterator_traitsISN_E10value_typeEPNST_ISO_E10value_typeEPSP_NS1_7vsmem_tEENKUlT_SN_SO_SP_E_clIS8_S8_S9_S9_EESM_S12_SN_SO_SP_EUlS12_E1_NS1_11comp_targetILNS1_3genE3ELNS1_11target_archE908ELNS1_3gpuE7ELNS1_3repE0EEENS1_36merge_oddeven_config_static_selectorELNS0_4arch9wavefront6targetE1EEEvSO_ ; -- Begin function _ZN7rocprim17ROCPRIM_400000_NS6detail17trampoline_kernelINS0_14default_configENS1_38merge_sort_block_merge_config_selectorIlNS0_10empty_typeEEEZZNS1_27merge_sort_block_merge_implIS3_PlPS5_mZN2at6native12_GLOBAL__N_124unique_dim_cuda_templateIN3c108BFloat16EEESt5tupleIJNSA_6TensorESH_SH_EERKSH_lbbbEUlllE_EE10hipError_tT0_T1_T2_jT3_P12ihipStream_tbPNSt15iterator_traitsISN_E10value_typeEPNST_ISO_E10value_typeEPSP_NS1_7vsmem_tEENKUlT_SN_SO_SP_E_clIS8_S8_S9_S9_EESM_S12_SN_SO_SP_EUlS12_E1_NS1_11comp_targetILNS1_3genE3ELNS1_11target_archE908ELNS1_3gpuE7ELNS1_3repE0EEENS1_36merge_oddeven_config_static_selectorELNS0_4arch9wavefront6targetE1EEEvSO_
	.p2align	8
	.type	_ZN7rocprim17ROCPRIM_400000_NS6detail17trampoline_kernelINS0_14default_configENS1_38merge_sort_block_merge_config_selectorIlNS0_10empty_typeEEEZZNS1_27merge_sort_block_merge_implIS3_PlPS5_mZN2at6native12_GLOBAL__N_124unique_dim_cuda_templateIN3c108BFloat16EEESt5tupleIJNSA_6TensorESH_SH_EERKSH_lbbbEUlllE_EE10hipError_tT0_T1_T2_jT3_P12ihipStream_tbPNSt15iterator_traitsISN_E10value_typeEPNST_ISO_E10value_typeEPSP_NS1_7vsmem_tEENKUlT_SN_SO_SP_E_clIS8_S8_S9_S9_EESM_S12_SN_SO_SP_EUlS12_E1_NS1_11comp_targetILNS1_3genE3ELNS1_11target_archE908ELNS1_3gpuE7ELNS1_3repE0EEENS1_36merge_oddeven_config_static_selectorELNS0_4arch9wavefront6targetE1EEEvSO_,@function
_ZN7rocprim17ROCPRIM_400000_NS6detail17trampoline_kernelINS0_14default_configENS1_38merge_sort_block_merge_config_selectorIlNS0_10empty_typeEEEZZNS1_27merge_sort_block_merge_implIS3_PlPS5_mZN2at6native12_GLOBAL__N_124unique_dim_cuda_templateIN3c108BFloat16EEESt5tupleIJNSA_6TensorESH_SH_EERKSH_lbbbEUlllE_EE10hipError_tT0_T1_T2_jT3_P12ihipStream_tbPNSt15iterator_traitsISN_E10value_typeEPNST_ISO_E10value_typeEPSP_NS1_7vsmem_tEENKUlT_SN_SO_SP_E_clIS8_S8_S9_S9_EESM_S12_SN_SO_SP_EUlS12_E1_NS1_11comp_targetILNS1_3genE3ELNS1_11target_archE908ELNS1_3gpuE7ELNS1_3repE0EEENS1_36merge_oddeven_config_static_selectorELNS0_4arch9wavefront6targetE1EEEvSO_: ; @_ZN7rocprim17ROCPRIM_400000_NS6detail17trampoline_kernelINS0_14default_configENS1_38merge_sort_block_merge_config_selectorIlNS0_10empty_typeEEEZZNS1_27merge_sort_block_merge_implIS3_PlPS5_mZN2at6native12_GLOBAL__N_124unique_dim_cuda_templateIN3c108BFloat16EEESt5tupleIJNSA_6TensorESH_SH_EERKSH_lbbbEUlllE_EE10hipError_tT0_T1_T2_jT3_P12ihipStream_tbPNSt15iterator_traitsISN_E10value_typeEPNST_ISO_E10value_typeEPSP_NS1_7vsmem_tEENKUlT_SN_SO_SP_E_clIS8_S8_S9_S9_EESM_S12_SN_SO_SP_EUlS12_E1_NS1_11comp_targetILNS1_3genE3ELNS1_11target_archE908ELNS1_3gpuE7ELNS1_3repE0EEENS1_36merge_oddeven_config_static_selectorELNS0_4arch9wavefront6targetE1EEEvSO_
; %bb.0:
	.section	.rodata,"a",@progbits
	.p2align	6, 0x0
	.amdhsa_kernel _ZN7rocprim17ROCPRIM_400000_NS6detail17trampoline_kernelINS0_14default_configENS1_38merge_sort_block_merge_config_selectorIlNS0_10empty_typeEEEZZNS1_27merge_sort_block_merge_implIS3_PlPS5_mZN2at6native12_GLOBAL__N_124unique_dim_cuda_templateIN3c108BFloat16EEESt5tupleIJNSA_6TensorESH_SH_EERKSH_lbbbEUlllE_EE10hipError_tT0_T1_T2_jT3_P12ihipStream_tbPNSt15iterator_traitsISN_E10value_typeEPNST_ISO_E10value_typeEPSP_NS1_7vsmem_tEENKUlT_SN_SO_SP_E_clIS8_S8_S9_S9_EESM_S12_SN_SO_SP_EUlS12_E1_NS1_11comp_targetILNS1_3genE3ELNS1_11target_archE908ELNS1_3gpuE7ELNS1_3repE0EEENS1_36merge_oddeven_config_static_selectorELNS0_4arch9wavefront6targetE1EEEvSO_
		.amdhsa_group_segment_fixed_size 0
		.amdhsa_private_segment_fixed_size 0
		.amdhsa_kernarg_size 64
		.amdhsa_user_sgpr_count 6
		.amdhsa_user_sgpr_private_segment_buffer 1
		.amdhsa_user_sgpr_dispatch_ptr 0
		.amdhsa_user_sgpr_queue_ptr 0
		.amdhsa_user_sgpr_kernarg_segment_ptr 1
		.amdhsa_user_sgpr_dispatch_id 0
		.amdhsa_user_sgpr_flat_scratch_init 0
		.amdhsa_user_sgpr_kernarg_preload_length 0
		.amdhsa_user_sgpr_kernarg_preload_offset 0
		.amdhsa_user_sgpr_private_segment_size 0
		.amdhsa_uses_dynamic_stack 0
		.amdhsa_system_sgpr_private_segment_wavefront_offset 0
		.amdhsa_system_sgpr_workgroup_id_x 1
		.amdhsa_system_sgpr_workgroup_id_y 0
		.amdhsa_system_sgpr_workgroup_id_z 0
		.amdhsa_system_sgpr_workgroup_info 0
		.amdhsa_system_vgpr_workitem_id 0
		.amdhsa_next_free_vgpr 1
		.amdhsa_next_free_sgpr 0
		.amdhsa_accum_offset 4
		.amdhsa_reserve_vcc 0
		.amdhsa_reserve_flat_scratch 0
		.amdhsa_float_round_mode_32 0
		.amdhsa_float_round_mode_16_64 0
		.amdhsa_float_denorm_mode_32 3
		.amdhsa_float_denorm_mode_16_64 3
		.amdhsa_dx10_clamp 1
		.amdhsa_ieee_mode 1
		.amdhsa_fp16_overflow 0
		.amdhsa_tg_split 0
		.amdhsa_exception_fp_ieee_invalid_op 0
		.amdhsa_exception_fp_denorm_src 0
		.amdhsa_exception_fp_ieee_div_zero 0
		.amdhsa_exception_fp_ieee_overflow 0
		.amdhsa_exception_fp_ieee_underflow 0
		.amdhsa_exception_fp_ieee_inexact 0
		.amdhsa_exception_int_div_zero 0
	.end_amdhsa_kernel
	.section	.text._ZN7rocprim17ROCPRIM_400000_NS6detail17trampoline_kernelINS0_14default_configENS1_38merge_sort_block_merge_config_selectorIlNS0_10empty_typeEEEZZNS1_27merge_sort_block_merge_implIS3_PlPS5_mZN2at6native12_GLOBAL__N_124unique_dim_cuda_templateIN3c108BFloat16EEESt5tupleIJNSA_6TensorESH_SH_EERKSH_lbbbEUlllE_EE10hipError_tT0_T1_T2_jT3_P12ihipStream_tbPNSt15iterator_traitsISN_E10value_typeEPNST_ISO_E10value_typeEPSP_NS1_7vsmem_tEENKUlT_SN_SO_SP_E_clIS8_S8_S9_S9_EESM_S12_SN_SO_SP_EUlS12_E1_NS1_11comp_targetILNS1_3genE3ELNS1_11target_archE908ELNS1_3gpuE7ELNS1_3repE0EEENS1_36merge_oddeven_config_static_selectorELNS0_4arch9wavefront6targetE1EEEvSO_,"axG",@progbits,_ZN7rocprim17ROCPRIM_400000_NS6detail17trampoline_kernelINS0_14default_configENS1_38merge_sort_block_merge_config_selectorIlNS0_10empty_typeEEEZZNS1_27merge_sort_block_merge_implIS3_PlPS5_mZN2at6native12_GLOBAL__N_124unique_dim_cuda_templateIN3c108BFloat16EEESt5tupleIJNSA_6TensorESH_SH_EERKSH_lbbbEUlllE_EE10hipError_tT0_T1_T2_jT3_P12ihipStream_tbPNSt15iterator_traitsISN_E10value_typeEPNST_ISO_E10value_typeEPSP_NS1_7vsmem_tEENKUlT_SN_SO_SP_E_clIS8_S8_S9_S9_EESM_S12_SN_SO_SP_EUlS12_E1_NS1_11comp_targetILNS1_3genE3ELNS1_11target_archE908ELNS1_3gpuE7ELNS1_3repE0EEENS1_36merge_oddeven_config_static_selectorELNS0_4arch9wavefront6targetE1EEEvSO_,comdat
.Lfunc_end1144:
	.size	_ZN7rocprim17ROCPRIM_400000_NS6detail17trampoline_kernelINS0_14default_configENS1_38merge_sort_block_merge_config_selectorIlNS0_10empty_typeEEEZZNS1_27merge_sort_block_merge_implIS3_PlPS5_mZN2at6native12_GLOBAL__N_124unique_dim_cuda_templateIN3c108BFloat16EEESt5tupleIJNSA_6TensorESH_SH_EERKSH_lbbbEUlllE_EE10hipError_tT0_T1_T2_jT3_P12ihipStream_tbPNSt15iterator_traitsISN_E10value_typeEPNST_ISO_E10value_typeEPSP_NS1_7vsmem_tEENKUlT_SN_SO_SP_E_clIS8_S8_S9_S9_EESM_S12_SN_SO_SP_EUlS12_E1_NS1_11comp_targetILNS1_3genE3ELNS1_11target_archE908ELNS1_3gpuE7ELNS1_3repE0EEENS1_36merge_oddeven_config_static_selectorELNS0_4arch9wavefront6targetE1EEEvSO_, .Lfunc_end1144-_ZN7rocprim17ROCPRIM_400000_NS6detail17trampoline_kernelINS0_14default_configENS1_38merge_sort_block_merge_config_selectorIlNS0_10empty_typeEEEZZNS1_27merge_sort_block_merge_implIS3_PlPS5_mZN2at6native12_GLOBAL__N_124unique_dim_cuda_templateIN3c108BFloat16EEESt5tupleIJNSA_6TensorESH_SH_EERKSH_lbbbEUlllE_EE10hipError_tT0_T1_T2_jT3_P12ihipStream_tbPNSt15iterator_traitsISN_E10value_typeEPNST_ISO_E10value_typeEPSP_NS1_7vsmem_tEENKUlT_SN_SO_SP_E_clIS8_S8_S9_S9_EESM_S12_SN_SO_SP_EUlS12_E1_NS1_11comp_targetILNS1_3genE3ELNS1_11target_archE908ELNS1_3gpuE7ELNS1_3repE0EEENS1_36merge_oddeven_config_static_selectorELNS0_4arch9wavefront6targetE1EEEvSO_
                                        ; -- End function
	.section	.AMDGPU.csdata,"",@progbits
; Kernel info:
; codeLenInByte = 0
; NumSgprs: 4
; NumVgprs: 0
; NumAgprs: 0
; TotalNumVgprs: 0
; ScratchSize: 0
; MemoryBound: 0
; FloatMode: 240
; IeeeMode: 1
; LDSByteSize: 0 bytes/workgroup (compile time only)
; SGPRBlocks: 0
; VGPRBlocks: 0
; NumSGPRsForWavesPerEU: 4
; NumVGPRsForWavesPerEU: 1
; AccumOffset: 4
; Occupancy: 8
; WaveLimiterHint : 0
; COMPUTE_PGM_RSRC2:SCRATCH_EN: 0
; COMPUTE_PGM_RSRC2:USER_SGPR: 6
; COMPUTE_PGM_RSRC2:TRAP_HANDLER: 0
; COMPUTE_PGM_RSRC2:TGID_X_EN: 1
; COMPUTE_PGM_RSRC2:TGID_Y_EN: 0
; COMPUTE_PGM_RSRC2:TGID_Z_EN: 0
; COMPUTE_PGM_RSRC2:TIDIG_COMP_CNT: 0
; COMPUTE_PGM_RSRC3_GFX90A:ACCUM_OFFSET: 0
; COMPUTE_PGM_RSRC3_GFX90A:TG_SPLIT: 0
	.section	.text._ZN7rocprim17ROCPRIM_400000_NS6detail17trampoline_kernelINS0_14default_configENS1_38merge_sort_block_merge_config_selectorIlNS0_10empty_typeEEEZZNS1_27merge_sort_block_merge_implIS3_PlPS5_mZN2at6native12_GLOBAL__N_124unique_dim_cuda_templateIN3c108BFloat16EEESt5tupleIJNSA_6TensorESH_SH_EERKSH_lbbbEUlllE_EE10hipError_tT0_T1_T2_jT3_P12ihipStream_tbPNSt15iterator_traitsISN_E10value_typeEPNST_ISO_E10value_typeEPSP_NS1_7vsmem_tEENKUlT_SN_SO_SP_E_clIS8_S8_S9_S9_EESM_S12_SN_SO_SP_EUlS12_E1_NS1_11comp_targetILNS1_3genE2ELNS1_11target_archE906ELNS1_3gpuE6ELNS1_3repE0EEENS1_36merge_oddeven_config_static_selectorELNS0_4arch9wavefront6targetE1EEEvSO_,"axG",@progbits,_ZN7rocprim17ROCPRIM_400000_NS6detail17trampoline_kernelINS0_14default_configENS1_38merge_sort_block_merge_config_selectorIlNS0_10empty_typeEEEZZNS1_27merge_sort_block_merge_implIS3_PlPS5_mZN2at6native12_GLOBAL__N_124unique_dim_cuda_templateIN3c108BFloat16EEESt5tupleIJNSA_6TensorESH_SH_EERKSH_lbbbEUlllE_EE10hipError_tT0_T1_T2_jT3_P12ihipStream_tbPNSt15iterator_traitsISN_E10value_typeEPNST_ISO_E10value_typeEPSP_NS1_7vsmem_tEENKUlT_SN_SO_SP_E_clIS8_S8_S9_S9_EESM_S12_SN_SO_SP_EUlS12_E1_NS1_11comp_targetILNS1_3genE2ELNS1_11target_archE906ELNS1_3gpuE6ELNS1_3repE0EEENS1_36merge_oddeven_config_static_selectorELNS0_4arch9wavefront6targetE1EEEvSO_,comdat
	.globl	_ZN7rocprim17ROCPRIM_400000_NS6detail17trampoline_kernelINS0_14default_configENS1_38merge_sort_block_merge_config_selectorIlNS0_10empty_typeEEEZZNS1_27merge_sort_block_merge_implIS3_PlPS5_mZN2at6native12_GLOBAL__N_124unique_dim_cuda_templateIN3c108BFloat16EEESt5tupleIJNSA_6TensorESH_SH_EERKSH_lbbbEUlllE_EE10hipError_tT0_T1_T2_jT3_P12ihipStream_tbPNSt15iterator_traitsISN_E10value_typeEPNST_ISO_E10value_typeEPSP_NS1_7vsmem_tEENKUlT_SN_SO_SP_E_clIS8_S8_S9_S9_EESM_S12_SN_SO_SP_EUlS12_E1_NS1_11comp_targetILNS1_3genE2ELNS1_11target_archE906ELNS1_3gpuE6ELNS1_3repE0EEENS1_36merge_oddeven_config_static_selectorELNS0_4arch9wavefront6targetE1EEEvSO_ ; -- Begin function _ZN7rocprim17ROCPRIM_400000_NS6detail17trampoline_kernelINS0_14default_configENS1_38merge_sort_block_merge_config_selectorIlNS0_10empty_typeEEEZZNS1_27merge_sort_block_merge_implIS3_PlPS5_mZN2at6native12_GLOBAL__N_124unique_dim_cuda_templateIN3c108BFloat16EEESt5tupleIJNSA_6TensorESH_SH_EERKSH_lbbbEUlllE_EE10hipError_tT0_T1_T2_jT3_P12ihipStream_tbPNSt15iterator_traitsISN_E10value_typeEPNST_ISO_E10value_typeEPSP_NS1_7vsmem_tEENKUlT_SN_SO_SP_E_clIS8_S8_S9_S9_EESM_S12_SN_SO_SP_EUlS12_E1_NS1_11comp_targetILNS1_3genE2ELNS1_11target_archE906ELNS1_3gpuE6ELNS1_3repE0EEENS1_36merge_oddeven_config_static_selectorELNS0_4arch9wavefront6targetE1EEEvSO_
	.p2align	8
	.type	_ZN7rocprim17ROCPRIM_400000_NS6detail17trampoline_kernelINS0_14default_configENS1_38merge_sort_block_merge_config_selectorIlNS0_10empty_typeEEEZZNS1_27merge_sort_block_merge_implIS3_PlPS5_mZN2at6native12_GLOBAL__N_124unique_dim_cuda_templateIN3c108BFloat16EEESt5tupleIJNSA_6TensorESH_SH_EERKSH_lbbbEUlllE_EE10hipError_tT0_T1_T2_jT3_P12ihipStream_tbPNSt15iterator_traitsISN_E10value_typeEPNST_ISO_E10value_typeEPSP_NS1_7vsmem_tEENKUlT_SN_SO_SP_E_clIS8_S8_S9_S9_EESM_S12_SN_SO_SP_EUlS12_E1_NS1_11comp_targetILNS1_3genE2ELNS1_11target_archE906ELNS1_3gpuE6ELNS1_3repE0EEENS1_36merge_oddeven_config_static_selectorELNS0_4arch9wavefront6targetE1EEEvSO_,@function
_ZN7rocprim17ROCPRIM_400000_NS6detail17trampoline_kernelINS0_14default_configENS1_38merge_sort_block_merge_config_selectorIlNS0_10empty_typeEEEZZNS1_27merge_sort_block_merge_implIS3_PlPS5_mZN2at6native12_GLOBAL__N_124unique_dim_cuda_templateIN3c108BFloat16EEESt5tupleIJNSA_6TensorESH_SH_EERKSH_lbbbEUlllE_EE10hipError_tT0_T1_T2_jT3_P12ihipStream_tbPNSt15iterator_traitsISN_E10value_typeEPNST_ISO_E10value_typeEPSP_NS1_7vsmem_tEENKUlT_SN_SO_SP_E_clIS8_S8_S9_S9_EESM_S12_SN_SO_SP_EUlS12_E1_NS1_11comp_targetILNS1_3genE2ELNS1_11target_archE906ELNS1_3gpuE6ELNS1_3repE0EEENS1_36merge_oddeven_config_static_selectorELNS0_4arch9wavefront6targetE1EEEvSO_: ; @_ZN7rocprim17ROCPRIM_400000_NS6detail17trampoline_kernelINS0_14default_configENS1_38merge_sort_block_merge_config_selectorIlNS0_10empty_typeEEEZZNS1_27merge_sort_block_merge_implIS3_PlPS5_mZN2at6native12_GLOBAL__N_124unique_dim_cuda_templateIN3c108BFloat16EEESt5tupleIJNSA_6TensorESH_SH_EERKSH_lbbbEUlllE_EE10hipError_tT0_T1_T2_jT3_P12ihipStream_tbPNSt15iterator_traitsISN_E10value_typeEPNST_ISO_E10value_typeEPSP_NS1_7vsmem_tEENKUlT_SN_SO_SP_E_clIS8_S8_S9_S9_EESM_S12_SN_SO_SP_EUlS12_E1_NS1_11comp_targetILNS1_3genE2ELNS1_11target_archE906ELNS1_3gpuE6ELNS1_3repE0EEENS1_36merge_oddeven_config_static_selectorELNS0_4arch9wavefront6targetE1EEEvSO_
; %bb.0:
	.section	.rodata,"a",@progbits
	.p2align	6, 0x0
	.amdhsa_kernel _ZN7rocprim17ROCPRIM_400000_NS6detail17trampoline_kernelINS0_14default_configENS1_38merge_sort_block_merge_config_selectorIlNS0_10empty_typeEEEZZNS1_27merge_sort_block_merge_implIS3_PlPS5_mZN2at6native12_GLOBAL__N_124unique_dim_cuda_templateIN3c108BFloat16EEESt5tupleIJNSA_6TensorESH_SH_EERKSH_lbbbEUlllE_EE10hipError_tT0_T1_T2_jT3_P12ihipStream_tbPNSt15iterator_traitsISN_E10value_typeEPNST_ISO_E10value_typeEPSP_NS1_7vsmem_tEENKUlT_SN_SO_SP_E_clIS8_S8_S9_S9_EESM_S12_SN_SO_SP_EUlS12_E1_NS1_11comp_targetILNS1_3genE2ELNS1_11target_archE906ELNS1_3gpuE6ELNS1_3repE0EEENS1_36merge_oddeven_config_static_selectorELNS0_4arch9wavefront6targetE1EEEvSO_
		.amdhsa_group_segment_fixed_size 0
		.amdhsa_private_segment_fixed_size 0
		.amdhsa_kernarg_size 64
		.amdhsa_user_sgpr_count 6
		.amdhsa_user_sgpr_private_segment_buffer 1
		.amdhsa_user_sgpr_dispatch_ptr 0
		.amdhsa_user_sgpr_queue_ptr 0
		.amdhsa_user_sgpr_kernarg_segment_ptr 1
		.amdhsa_user_sgpr_dispatch_id 0
		.amdhsa_user_sgpr_flat_scratch_init 0
		.amdhsa_user_sgpr_kernarg_preload_length 0
		.amdhsa_user_sgpr_kernarg_preload_offset 0
		.amdhsa_user_sgpr_private_segment_size 0
		.amdhsa_uses_dynamic_stack 0
		.amdhsa_system_sgpr_private_segment_wavefront_offset 0
		.amdhsa_system_sgpr_workgroup_id_x 1
		.amdhsa_system_sgpr_workgroup_id_y 0
		.amdhsa_system_sgpr_workgroup_id_z 0
		.amdhsa_system_sgpr_workgroup_info 0
		.amdhsa_system_vgpr_workitem_id 0
		.amdhsa_next_free_vgpr 1
		.amdhsa_next_free_sgpr 0
		.amdhsa_accum_offset 4
		.amdhsa_reserve_vcc 0
		.amdhsa_reserve_flat_scratch 0
		.amdhsa_float_round_mode_32 0
		.amdhsa_float_round_mode_16_64 0
		.amdhsa_float_denorm_mode_32 3
		.amdhsa_float_denorm_mode_16_64 3
		.amdhsa_dx10_clamp 1
		.amdhsa_ieee_mode 1
		.amdhsa_fp16_overflow 0
		.amdhsa_tg_split 0
		.amdhsa_exception_fp_ieee_invalid_op 0
		.amdhsa_exception_fp_denorm_src 0
		.amdhsa_exception_fp_ieee_div_zero 0
		.amdhsa_exception_fp_ieee_overflow 0
		.amdhsa_exception_fp_ieee_underflow 0
		.amdhsa_exception_fp_ieee_inexact 0
		.amdhsa_exception_int_div_zero 0
	.end_amdhsa_kernel
	.section	.text._ZN7rocprim17ROCPRIM_400000_NS6detail17trampoline_kernelINS0_14default_configENS1_38merge_sort_block_merge_config_selectorIlNS0_10empty_typeEEEZZNS1_27merge_sort_block_merge_implIS3_PlPS5_mZN2at6native12_GLOBAL__N_124unique_dim_cuda_templateIN3c108BFloat16EEESt5tupleIJNSA_6TensorESH_SH_EERKSH_lbbbEUlllE_EE10hipError_tT0_T1_T2_jT3_P12ihipStream_tbPNSt15iterator_traitsISN_E10value_typeEPNST_ISO_E10value_typeEPSP_NS1_7vsmem_tEENKUlT_SN_SO_SP_E_clIS8_S8_S9_S9_EESM_S12_SN_SO_SP_EUlS12_E1_NS1_11comp_targetILNS1_3genE2ELNS1_11target_archE906ELNS1_3gpuE6ELNS1_3repE0EEENS1_36merge_oddeven_config_static_selectorELNS0_4arch9wavefront6targetE1EEEvSO_,"axG",@progbits,_ZN7rocprim17ROCPRIM_400000_NS6detail17trampoline_kernelINS0_14default_configENS1_38merge_sort_block_merge_config_selectorIlNS0_10empty_typeEEEZZNS1_27merge_sort_block_merge_implIS3_PlPS5_mZN2at6native12_GLOBAL__N_124unique_dim_cuda_templateIN3c108BFloat16EEESt5tupleIJNSA_6TensorESH_SH_EERKSH_lbbbEUlllE_EE10hipError_tT0_T1_T2_jT3_P12ihipStream_tbPNSt15iterator_traitsISN_E10value_typeEPNST_ISO_E10value_typeEPSP_NS1_7vsmem_tEENKUlT_SN_SO_SP_E_clIS8_S8_S9_S9_EESM_S12_SN_SO_SP_EUlS12_E1_NS1_11comp_targetILNS1_3genE2ELNS1_11target_archE906ELNS1_3gpuE6ELNS1_3repE0EEENS1_36merge_oddeven_config_static_selectorELNS0_4arch9wavefront6targetE1EEEvSO_,comdat
.Lfunc_end1145:
	.size	_ZN7rocprim17ROCPRIM_400000_NS6detail17trampoline_kernelINS0_14default_configENS1_38merge_sort_block_merge_config_selectorIlNS0_10empty_typeEEEZZNS1_27merge_sort_block_merge_implIS3_PlPS5_mZN2at6native12_GLOBAL__N_124unique_dim_cuda_templateIN3c108BFloat16EEESt5tupleIJNSA_6TensorESH_SH_EERKSH_lbbbEUlllE_EE10hipError_tT0_T1_T2_jT3_P12ihipStream_tbPNSt15iterator_traitsISN_E10value_typeEPNST_ISO_E10value_typeEPSP_NS1_7vsmem_tEENKUlT_SN_SO_SP_E_clIS8_S8_S9_S9_EESM_S12_SN_SO_SP_EUlS12_E1_NS1_11comp_targetILNS1_3genE2ELNS1_11target_archE906ELNS1_3gpuE6ELNS1_3repE0EEENS1_36merge_oddeven_config_static_selectorELNS0_4arch9wavefront6targetE1EEEvSO_, .Lfunc_end1145-_ZN7rocprim17ROCPRIM_400000_NS6detail17trampoline_kernelINS0_14default_configENS1_38merge_sort_block_merge_config_selectorIlNS0_10empty_typeEEEZZNS1_27merge_sort_block_merge_implIS3_PlPS5_mZN2at6native12_GLOBAL__N_124unique_dim_cuda_templateIN3c108BFloat16EEESt5tupleIJNSA_6TensorESH_SH_EERKSH_lbbbEUlllE_EE10hipError_tT0_T1_T2_jT3_P12ihipStream_tbPNSt15iterator_traitsISN_E10value_typeEPNST_ISO_E10value_typeEPSP_NS1_7vsmem_tEENKUlT_SN_SO_SP_E_clIS8_S8_S9_S9_EESM_S12_SN_SO_SP_EUlS12_E1_NS1_11comp_targetILNS1_3genE2ELNS1_11target_archE906ELNS1_3gpuE6ELNS1_3repE0EEENS1_36merge_oddeven_config_static_selectorELNS0_4arch9wavefront6targetE1EEEvSO_
                                        ; -- End function
	.section	.AMDGPU.csdata,"",@progbits
; Kernel info:
; codeLenInByte = 0
; NumSgprs: 4
; NumVgprs: 0
; NumAgprs: 0
; TotalNumVgprs: 0
; ScratchSize: 0
; MemoryBound: 0
; FloatMode: 240
; IeeeMode: 1
; LDSByteSize: 0 bytes/workgroup (compile time only)
; SGPRBlocks: 0
; VGPRBlocks: 0
; NumSGPRsForWavesPerEU: 4
; NumVGPRsForWavesPerEU: 1
; AccumOffset: 4
; Occupancy: 8
; WaveLimiterHint : 0
; COMPUTE_PGM_RSRC2:SCRATCH_EN: 0
; COMPUTE_PGM_RSRC2:USER_SGPR: 6
; COMPUTE_PGM_RSRC2:TRAP_HANDLER: 0
; COMPUTE_PGM_RSRC2:TGID_X_EN: 1
; COMPUTE_PGM_RSRC2:TGID_Y_EN: 0
; COMPUTE_PGM_RSRC2:TGID_Z_EN: 0
; COMPUTE_PGM_RSRC2:TIDIG_COMP_CNT: 0
; COMPUTE_PGM_RSRC3_GFX90A:ACCUM_OFFSET: 0
; COMPUTE_PGM_RSRC3_GFX90A:TG_SPLIT: 0
	.section	.text._ZN7rocprim17ROCPRIM_400000_NS6detail17trampoline_kernelINS0_14default_configENS1_38merge_sort_block_merge_config_selectorIlNS0_10empty_typeEEEZZNS1_27merge_sort_block_merge_implIS3_PlPS5_mZN2at6native12_GLOBAL__N_124unique_dim_cuda_templateIN3c108BFloat16EEESt5tupleIJNSA_6TensorESH_SH_EERKSH_lbbbEUlllE_EE10hipError_tT0_T1_T2_jT3_P12ihipStream_tbPNSt15iterator_traitsISN_E10value_typeEPNST_ISO_E10value_typeEPSP_NS1_7vsmem_tEENKUlT_SN_SO_SP_E_clIS8_S8_S9_S9_EESM_S12_SN_SO_SP_EUlS12_E1_NS1_11comp_targetILNS1_3genE9ELNS1_11target_archE1100ELNS1_3gpuE3ELNS1_3repE0EEENS1_36merge_oddeven_config_static_selectorELNS0_4arch9wavefront6targetE1EEEvSO_,"axG",@progbits,_ZN7rocprim17ROCPRIM_400000_NS6detail17trampoline_kernelINS0_14default_configENS1_38merge_sort_block_merge_config_selectorIlNS0_10empty_typeEEEZZNS1_27merge_sort_block_merge_implIS3_PlPS5_mZN2at6native12_GLOBAL__N_124unique_dim_cuda_templateIN3c108BFloat16EEESt5tupleIJNSA_6TensorESH_SH_EERKSH_lbbbEUlllE_EE10hipError_tT0_T1_T2_jT3_P12ihipStream_tbPNSt15iterator_traitsISN_E10value_typeEPNST_ISO_E10value_typeEPSP_NS1_7vsmem_tEENKUlT_SN_SO_SP_E_clIS8_S8_S9_S9_EESM_S12_SN_SO_SP_EUlS12_E1_NS1_11comp_targetILNS1_3genE9ELNS1_11target_archE1100ELNS1_3gpuE3ELNS1_3repE0EEENS1_36merge_oddeven_config_static_selectorELNS0_4arch9wavefront6targetE1EEEvSO_,comdat
	.globl	_ZN7rocprim17ROCPRIM_400000_NS6detail17trampoline_kernelINS0_14default_configENS1_38merge_sort_block_merge_config_selectorIlNS0_10empty_typeEEEZZNS1_27merge_sort_block_merge_implIS3_PlPS5_mZN2at6native12_GLOBAL__N_124unique_dim_cuda_templateIN3c108BFloat16EEESt5tupleIJNSA_6TensorESH_SH_EERKSH_lbbbEUlllE_EE10hipError_tT0_T1_T2_jT3_P12ihipStream_tbPNSt15iterator_traitsISN_E10value_typeEPNST_ISO_E10value_typeEPSP_NS1_7vsmem_tEENKUlT_SN_SO_SP_E_clIS8_S8_S9_S9_EESM_S12_SN_SO_SP_EUlS12_E1_NS1_11comp_targetILNS1_3genE9ELNS1_11target_archE1100ELNS1_3gpuE3ELNS1_3repE0EEENS1_36merge_oddeven_config_static_selectorELNS0_4arch9wavefront6targetE1EEEvSO_ ; -- Begin function _ZN7rocprim17ROCPRIM_400000_NS6detail17trampoline_kernelINS0_14default_configENS1_38merge_sort_block_merge_config_selectorIlNS0_10empty_typeEEEZZNS1_27merge_sort_block_merge_implIS3_PlPS5_mZN2at6native12_GLOBAL__N_124unique_dim_cuda_templateIN3c108BFloat16EEESt5tupleIJNSA_6TensorESH_SH_EERKSH_lbbbEUlllE_EE10hipError_tT0_T1_T2_jT3_P12ihipStream_tbPNSt15iterator_traitsISN_E10value_typeEPNST_ISO_E10value_typeEPSP_NS1_7vsmem_tEENKUlT_SN_SO_SP_E_clIS8_S8_S9_S9_EESM_S12_SN_SO_SP_EUlS12_E1_NS1_11comp_targetILNS1_3genE9ELNS1_11target_archE1100ELNS1_3gpuE3ELNS1_3repE0EEENS1_36merge_oddeven_config_static_selectorELNS0_4arch9wavefront6targetE1EEEvSO_
	.p2align	8
	.type	_ZN7rocprim17ROCPRIM_400000_NS6detail17trampoline_kernelINS0_14default_configENS1_38merge_sort_block_merge_config_selectorIlNS0_10empty_typeEEEZZNS1_27merge_sort_block_merge_implIS3_PlPS5_mZN2at6native12_GLOBAL__N_124unique_dim_cuda_templateIN3c108BFloat16EEESt5tupleIJNSA_6TensorESH_SH_EERKSH_lbbbEUlllE_EE10hipError_tT0_T1_T2_jT3_P12ihipStream_tbPNSt15iterator_traitsISN_E10value_typeEPNST_ISO_E10value_typeEPSP_NS1_7vsmem_tEENKUlT_SN_SO_SP_E_clIS8_S8_S9_S9_EESM_S12_SN_SO_SP_EUlS12_E1_NS1_11comp_targetILNS1_3genE9ELNS1_11target_archE1100ELNS1_3gpuE3ELNS1_3repE0EEENS1_36merge_oddeven_config_static_selectorELNS0_4arch9wavefront6targetE1EEEvSO_,@function
_ZN7rocprim17ROCPRIM_400000_NS6detail17trampoline_kernelINS0_14default_configENS1_38merge_sort_block_merge_config_selectorIlNS0_10empty_typeEEEZZNS1_27merge_sort_block_merge_implIS3_PlPS5_mZN2at6native12_GLOBAL__N_124unique_dim_cuda_templateIN3c108BFloat16EEESt5tupleIJNSA_6TensorESH_SH_EERKSH_lbbbEUlllE_EE10hipError_tT0_T1_T2_jT3_P12ihipStream_tbPNSt15iterator_traitsISN_E10value_typeEPNST_ISO_E10value_typeEPSP_NS1_7vsmem_tEENKUlT_SN_SO_SP_E_clIS8_S8_S9_S9_EESM_S12_SN_SO_SP_EUlS12_E1_NS1_11comp_targetILNS1_3genE9ELNS1_11target_archE1100ELNS1_3gpuE3ELNS1_3repE0EEENS1_36merge_oddeven_config_static_selectorELNS0_4arch9wavefront6targetE1EEEvSO_: ; @_ZN7rocprim17ROCPRIM_400000_NS6detail17trampoline_kernelINS0_14default_configENS1_38merge_sort_block_merge_config_selectorIlNS0_10empty_typeEEEZZNS1_27merge_sort_block_merge_implIS3_PlPS5_mZN2at6native12_GLOBAL__N_124unique_dim_cuda_templateIN3c108BFloat16EEESt5tupleIJNSA_6TensorESH_SH_EERKSH_lbbbEUlllE_EE10hipError_tT0_T1_T2_jT3_P12ihipStream_tbPNSt15iterator_traitsISN_E10value_typeEPNST_ISO_E10value_typeEPSP_NS1_7vsmem_tEENKUlT_SN_SO_SP_E_clIS8_S8_S9_S9_EESM_S12_SN_SO_SP_EUlS12_E1_NS1_11comp_targetILNS1_3genE9ELNS1_11target_archE1100ELNS1_3gpuE3ELNS1_3repE0EEENS1_36merge_oddeven_config_static_selectorELNS0_4arch9wavefront6targetE1EEEvSO_
; %bb.0:
	.section	.rodata,"a",@progbits
	.p2align	6, 0x0
	.amdhsa_kernel _ZN7rocprim17ROCPRIM_400000_NS6detail17trampoline_kernelINS0_14default_configENS1_38merge_sort_block_merge_config_selectorIlNS0_10empty_typeEEEZZNS1_27merge_sort_block_merge_implIS3_PlPS5_mZN2at6native12_GLOBAL__N_124unique_dim_cuda_templateIN3c108BFloat16EEESt5tupleIJNSA_6TensorESH_SH_EERKSH_lbbbEUlllE_EE10hipError_tT0_T1_T2_jT3_P12ihipStream_tbPNSt15iterator_traitsISN_E10value_typeEPNST_ISO_E10value_typeEPSP_NS1_7vsmem_tEENKUlT_SN_SO_SP_E_clIS8_S8_S9_S9_EESM_S12_SN_SO_SP_EUlS12_E1_NS1_11comp_targetILNS1_3genE9ELNS1_11target_archE1100ELNS1_3gpuE3ELNS1_3repE0EEENS1_36merge_oddeven_config_static_selectorELNS0_4arch9wavefront6targetE1EEEvSO_
		.amdhsa_group_segment_fixed_size 0
		.amdhsa_private_segment_fixed_size 0
		.amdhsa_kernarg_size 64
		.amdhsa_user_sgpr_count 6
		.amdhsa_user_sgpr_private_segment_buffer 1
		.amdhsa_user_sgpr_dispatch_ptr 0
		.amdhsa_user_sgpr_queue_ptr 0
		.amdhsa_user_sgpr_kernarg_segment_ptr 1
		.amdhsa_user_sgpr_dispatch_id 0
		.amdhsa_user_sgpr_flat_scratch_init 0
		.amdhsa_user_sgpr_kernarg_preload_length 0
		.amdhsa_user_sgpr_kernarg_preload_offset 0
		.amdhsa_user_sgpr_private_segment_size 0
		.amdhsa_uses_dynamic_stack 0
		.amdhsa_system_sgpr_private_segment_wavefront_offset 0
		.amdhsa_system_sgpr_workgroup_id_x 1
		.amdhsa_system_sgpr_workgroup_id_y 0
		.amdhsa_system_sgpr_workgroup_id_z 0
		.amdhsa_system_sgpr_workgroup_info 0
		.amdhsa_system_vgpr_workitem_id 0
		.amdhsa_next_free_vgpr 1
		.amdhsa_next_free_sgpr 0
		.amdhsa_accum_offset 4
		.amdhsa_reserve_vcc 0
		.amdhsa_reserve_flat_scratch 0
		.amdhsa_float_round_mode_32 0
		.amdhsa_float_round_mode_16_64 0
		.amdhsa_float_denorm_mode_32 3
		.amdhsa_float_denorm_mode_16_64 3
		.amdhsa_dx10_clamp 1
		.amdhsa_ieee_mode 1
		.amdhsa_fp16_overflow 0
		.amdhsa_tg_split 0
		.amdhsa_exception_fp_ieee_invalid_op 0
		.amdhsa_exception_fp_denorm_src 0
		.amdhsa_exception_fp_ieee_div_zero 0
		.amdhsa_exception_fp_ieee_overflow 0
		.amdhsa_exception_fp_ieee_underflow 0
		.amdhsa_exception_fp_ieee_inexact 0
		.amdhsa_exception_int_div_zero 0
	.end_amdhsa_kernel
	.section	.text._ZN7rocprim17ROCPRIM_400000_NS6detail17trampoline_kernelINS0_14default_configENS1_38merge_sort_block_merge_config_selectorIlNS0_10empty_typeEEEZZNS1_27merge_sort_block_merge_implIS3_PlPS5_mZN2at6native12_GLOBAL__N_124unique_dim_cuda_templateIN3c108BFloat16EEESt5tupleIJNSA_6TensorESH_SH_EERKSH_lbbbEUlllE_EE10hipError_tT0_T1_T2_jT3_P12ihipStream_tbPNSt15iterator_traitsISN_E10value_typeEPNST_ISO_E10value_typeEPSP_NS1_7vsmem_tEENKUlT_SN_SO_SP_E_clIS8_S8_S9_S9_EESM_S12_SN_SO_SP_EUlS12_E1_NS1_11comp_targetILNS1_3genE9ELNS1_11target_archE1100ELNS1_3gpuE3ELNS1_3repE0EEENS1_36merge_oddeven_config_static_selectorELNS0_4arch9wavefront6targetE1EEEvSO_,"axG",@progbits,_ZN7rocprim17ROCPRIM_400000_NS6detail17trampoline_kernelINS0_14default_configENS1_38merge_sort_block_merge_config_selectorIlNS0_10empty_typeEEEZZNS1_27merge_sort_block_merge_implIS3_PlPS5_mZN2at6native12_GLOBAL__N_124unique_dim_cuda_templateIN3c108BFloat16EEESt5tupleIJNSA_6TensorESH_SH_EERKSH_lbbbEUlllE_EE10hipError_tT0_T1_T2_jT3_P12ihipStream_tbPNSt15iterator_traitsISN_E10value_typeEPNST_ISO_E10value_typeEPSP_NS1_7vsmem_tEENKUlT_SN_SO_SP_E_clIS8_S8_S9_S9_EESM_S12_SN_SO_SP_EUlS12_E1_NS1_11comp_targetILNS1_3genE9ELNS1_11target_archE1100ELNS1_3gpuE3ELNS1_3repE0EEENS1_36merge_oddeven_config_static_selectorELNS0_4arch9wavefront6targetE1EEEvSO_,comdat
.Lfunc_end1146:
	.size	_ZN7rocprim17ROCPRIM_400000_NS6detail17trampoline_kernelINS0_14default_configENS1_38merge_sort_block_merge_config_selectorIlNS0_10empty_typeEEEZZNS1_27merge_sort_block_merge_implIS3_PlPS5_mZN2at6native12_GLOBAL__N_124unique_dim_cuda_templateIN3c108BFloat16EEESt5tupleIJNSA_6TensorESH_SH_EERKSH_lbbbEUlllE_EE10hipError_tT0_T1_T2_jT3_P12ihipStream_tbPNSt15iterator_traitsISN_E10value_typeEPNST_ISO_E10value_typeEPSP_NS1_7vsmem_tEENKUlT_SN_SO_SP_E_clIS8_S8_S9_S9_EESM_S12_SN_SO_SP_EUlS12_E1_NS1_11comp_targetILNS1_3genE9ELNS1_11target_archE1100ELNS1_3gpuE3ELNS1_3repE0EEENS1_36merge_oddeven_config_static_selectorELNS0_4arch9wavefront6targetE1EEEvSO_, .Lfunc_end1146-_ZN7rocprim17ROCPRIM_400000_NS6detail17trampoline_kernelINS0_14default_configENS1_38merge_sort_block_merge_config_selectorIlNS0_10empty_typeEEEZZNS1_27merge_sort_block_merge_implIS3_PlPS5_mZN2at6native12_GLOBAL__N_124unique_dim_cuda_templateIN3c108BFloat16EEESt5tupleIJNSA_6TensorESH_SH_EERKSH_lbbbEUlllE_EE10hipError_tT0_T1_T2_jT3_P12ihipStream_tbPNSt15iterator_traitsISN_E10value_typeEPNST_ISO_E10value_typeEPSP_NS1_7vsmem_tEENKUlT_SN_SO_SP_E_clIS8_S8_S9_S9_EESM_S12_SN_SO_SP_EUlS12_E1_NS1_11comp_targetILNS1_3genE9ELNS1_11target_archE1100ELNS1_3gpuE3ELNS1_3repE0EEENS1_36merge_oddeven_config_static_selectorELNS0_4arch9wavefront6targetE1EEEvSO_
                                        ; -- End function
	.section	.AMDGPU.csdata,"",@progbits
; Kernel info:
; codeLenInByte = 0
; NumSgprs: 4
; NumVgprs: 0
; NumAgprs: 0
; TotalNumVgprs: 0
; ScratchSize: 0
; MemoryBound: 0
; FloatMode: 240
; IeeeMode: 1
; LDSByteSize: 0 bytes/workgroup (compile time only)
; SGPRBlocks: 0
; VGPRBlocks: 0
; NumSGPRsForWavesPerEU: 4
; NumVGPRsForWavesPerEU: 1
; AccumOffset: 4
; Occupancy: 8
; WaveLimiterHint : 0
; COMPUTE_PGM_RSRC2:SCRATCH_EN: 0
; COMPUTE_PGM_RSRC2:USER_SGPR: 6
; COMPUTE_PGM_RSRC2:TRAP_HANDLER: 0
; COMPUTE_PGM_RSRC2:TGID_X_EN: 1
; COMPUTE_PGM_RSRC2:TGID_Y_EN: 0
; COMPUTE_PGM_RSRC2:TGID_Z_EN: 0
; COMPUTE_PGM_RSRC2:TIDIG_COMP_CNT: 0
; COMPUTE_PGM_RSRC3_GFX90A:ACCUM_OFFSET: 0
; COMPUTE_PGM_RSRC3_GFX90A:TG_SPLIT: 0
	.section	.text._ZN7rocprim17ROCPRIM_400000_NS6detail17trampoline_kernelINS0_14default_configENS1_38merge_sort_block_merge_config_selectorIlNS0_10empty_typeEEEZZNS1_27merge_sort_block_merge_implIS3_PlPS5_mZN2at6native12_GLOBAL__N_124unique_dim_cuda_templateIN3c108BFloat16EEESt5tupleIJNSA_6TensorESH_SH_EERKSH_lbbbEUlllE_EE10hipError_tT0_T1_T2_jT3_P12ihipStream_tbPNSt15iterator_traitsISN_E10value_typeEPNST_ISO_E10value_typeEPSP_NS1_7vsmem_tEENKUlT_SN_SO_SP_E_clIS8_S8_S9_S9_EESM_S12_SN_SO_SP_EUlS12_E1_NS1_11comp_targetILNS1_3genE8ELNS1_11target_archE1030ELNS1_3gpuE2ELNS1_3repE0EEENS1_36merge_oddeven_config_static_selectorELNS0_4arch9wavefront6targetE1EEEvSO_,"axG",@progbits,_ZN7rocprim17ROCPRIM_400000_NS6detail17trampoline_kernelINS0_14default_configENS1_38merge_sort_block_merge_config_selectorIlNS0_10empty_typeEEEZZNS1_27merge_sort_block_merge_implIS3_PlPS5_mZN2at6native12_GLOBAL__N_124unique_dim_cuda_templateIN3c108BFloat16EEESt5tupleIJNSA_6TensorESH_SH_EERKSH_lbbbEUlllE_EE10hipError_tT0_T1_T2_jT3_P12ihipStream_tbPNSt15iterator_traitsISN_E10value_typeEPNST_ISO_E10value_typeEPSP_NS1_7vsmem_tEENKUlT_SN_SO_SP_E_clIS8_S8_S9_S9_EESM_S12_SN_SO_SP_EUlS12_E1_NS1_11comp_targetILNS1_3genE8ELNS1_11target_archE1030ELNS1_3gpuE2ELNS1_3repE0EEENS1_36merge_oddeven_config_static_selectorELNS0_4arch9wavefront6targetE1EEEvSO_,comdat
	.globl	_ZN7rocprim17ROCPRIM_400000_NS6detail17trampoline_kernelINS0_14default_configENS1_38merge_sort_block_merge_config_selectorIlNS0_10empty_typeEEEZZNS1_27merge_sort_block_merge_implIS3_PlPS5_mZN2at6native12_GLOBAL__N_124unique_dim_cuda_templateIN3c108BFloat16EEESt5tupleIJNSA_6TensorESH_SH_EERKSH_lbbbEUlllE_EE10hipError_tT0_T1_T2_jT3_P12ihipStream_tbPNSt15iterator_traitsISN_E10value_typeEPNST_ISO_E10value_typeEPSP_NS1_7vsmem_tEENKUlT_SN_SO_SP_E_clIS8_S8_S9_S9_EESM_S12_SN_SO_SP_EUlS12_E1_NS1_11comp_targetILNS1_3genE8ELNS1_11target_archE1030ELNS1_3gpuE2ELNS1_3repE0EEENS1_36merge_oddeven_config_static_selectorELNS0_4arch9wavefront6targetE1EEEvSO_ ; -- Begin function _ZN7rocprim17ROCPRIM_400000_NS6detail17trampoline_kernelINS0_14default_configENS1_38merge_sort_block_merge_config_selectorIlNS0_10empty_typeEEEZZNS1_27merge_sort_block_merge_implIS3_PlPS5_mZN2at6native12_GLOBAL__N_124unique_dim_cuda_templateIN3c108BFloat16EEESt5tupleIJNSA_6TensorESH_SH_EERKSH_lbbbEUlllE_EE10hipError_tT0_T1_T2_jT3_P12ihipStream_tbPNSt15iterator_traitsISN_E10value_typeEPNST_ISO_E10value_typeEPSP_NS1_7vsmem_tEENKUlT_SN_SO_SP_E_clIS8_S8_S9_S9_EESM_S12_SN_SO_SP_EUlS12_E1_NS1_11comp_targetILNS1_3genE8ELNS1_11target_archE1030ELNS1_3gpuE2ELNS1_3repE0EEENS1_36merge_oddeven_config_static_selectorELNS0_4arch9wavefront6targetE1EEEvSO_
	.p2align	8
	.type	_ZN7rocprim17ROCPRIM_400000_NS6detail17trampoline_kernelINS0_14default_configENS1_38merge_sort_block_merge_config_selectorIlNS0_10empty_typeEEEZZNS1_27merge_sort_block_merge_implIS3_PlPS5_mZN2at6native12_GLOBAL__N_124unique_dim_cuda_templateIN3c108BFloat16EEESt5tupleIJNSA_6TensorESH_SH_EERKSH_lbbbEUlllE_EE10hipError_tT0_T1_T2_jT3_P12ihipStream_tbPNSt15iterator_traitsISN_E10value_typeEPNST_ISO_E10value_typeEPSP_NS1_7vsmem_tEENKUlT_SN_SO_SP_E_clIS8_S8_S9_S9_EESM_S12_SN_SO_SP_EUlS12_E1_NS1_11comp_targetILNS1_3genE8ELNS1_11target_archE1030ELNS1_3gpuE2ELNS1_3repE0EEENS1_36merge_oddeven_config_static_selectorELNS0_4arch9wavefront6targetE1EEEvSO_,@function
_ZN7rocprim17ROCPRIM_400000_NS6detail17trampoline_kernelINS0_14default_configENS1_38merge_sort_block_merge_config_selectorIlNS0_10empty_typeEEEZZNS1_27merge_sort_block_merge_implIS3_PlPS5_mZN2at6native12_GLOBAL__N_124unique_dim_cuda_templateIN3c108BFloat16EEESt5tupleIJNSA_6TensorESH_SH_EERKSH_lbbbEUlllE_EE10hipError_tT0_T1_T2_jT3_P12ihipStream_tbPNSt15iterator_traitsISN_E10value_typeEPNST_ISO_E10value_typeEPSP_NS1_7vsmem_tEENKUlT_SN_SO_SP_E_clIS8_S8_S9_S9_EESM_S12_SN_SO_SP_EUlS12_E1_NS1_11comp_targetILNS1_3genE8ELNS1_11target_archE1030ELNS1_3gpuE2ELNS1_3repE0EEENS1_36merge_oddeven_config_static_selectorELNS0_4arch9wavefront6targetE1EEEvSO_: ; @_ZN7rocprim17ROCPRIM_400000_NS6detail17trampoline_kernelINS0_14default_configENS1_38merge_sort_block_merge_config_selectorIlNS0_10empty_typeEEEZZNS1_27merge_sort_block_merge_implIS3_PlPS5_mZN2at6native12_GLOBAL__N_124unique_dim_cuda_templateIN3c108BFloat16EEESt5tupleIJNSA_6TensorESH_SH_EERKSH_lbbbEUlllE_EE10hipError_tT0_T1_T2_jT3_P12ihipStream_tbPNSt15iterator_traitsISN_E10value_typeEPNST_ISO_E10value_typeEPSP_NS1_7vsmem_tEENKUlT_SN_SO_SP_E_clIS8_S8_S9_S9_EESM_S12_SN_SO_SP_EUlS12_E1_NS1_11comp_targetILNS1_3genE8ELNS1_11target_archE1030ELNS1_3gpuE2ELNS1_3repE0EEENS1_36merge_oddeven_config_static_selectorELNS0_4arch9wavefront6targetE1EEEvSO_
; %bb.0:
	.section	.rodata,"a",@progbits
	.p2align	6, 0x0
	.amdhsa_kernel _ZN7rocprim17ROCPRIM_400000_NS6detail17trampoline_kernelINS0_14default_configENS1_38merge_sort_block_merge_config_selectorIlNS0_10empty_typeEEEZZNS1_27merge_sort_block_merge_implIS3_PlPS5_mZN2at6native12_GLOBAL__N_124unique_dim_cuda_templateIN3c108BFloat16EEESt5tupleIJNSA_6TensorESH_SH_EERKSH_lbbbEUlllE_EE10hipError_tT0_T1_T2_jT3_P12ihipStream_tbPNSt15iterator_traitsISN_E10value_typeEPNST_ISO_E10value_typeEPSP_NS1_7vsmem_tEENKUlT_SN_SO_SP_E_clIS8_S8_S9_S9_EESM_S12_SN_SO_SP_EUlS12_E1_NS1_11comp_targetILNS1_3genE8ELNS1_11target_archE1030ELNS1_3gpuE2ELNS1_3repE0EEENS1_36merge_oddeven_config_static_selectorELNS0_4arch9wavefront6targetE1EEEvSO_
		.amdhsa_group_segment_fixed_size 0
		.amdhsa_private_segment_fixed_size 0
		.amdhsa_kernarg_size 64
		.amdhsa_user_sgpr_count 6
		.amdhsa_user_sgpr_private_segment_buffer 1
		.amdhsa_user_sgpr_dispatch_ptr 0
		.amdhsa_user_sgpr_queue_ptr 0
		.amdhsa_user_sgpr_kernarg_segment_ptr 1
		.amdhsa_user_sgpr_dispatch_id 0
		.amdhsa_user_sgpr_flat_scratch_init 0
		.amdhsa_user_sgpr_kernarg_preload_length 0
		.amdhsa_user_sgpr_kernarg_preload_offset 0
		.amdhsa_user_sgpr_private_segment_size 0
		.amdhsa_uses_dynamic_stack 0
		.amdhsa_system_sgpr_private_segment_wavefront_offset 0
		.amdhsa_system_sgpr_workgroup_id_x 1
		.amdhsa_system_sgpr_workgroup_id_y 0
		.amdhsa_system_sgpr_workgroup_id_z 0
		.amdhsa_system_sgpr_workgroup_info 0
		.amdhsa_system_vgpr_workitem_id 0
		.amdhsa_next_free_vgpr 1
		.amdhsa_next_free_sgpr 0
		.amdhsa_accum_offset 4
		.amdhsa_reserve_vcc 0
		.amdhsa_reserve_flat_scratch 0
		.amdhsa_float_round_mode_32 0
		.amdhsa_float_round_mode_16_64 0
		.amdhsa_float_denorm_mode_32 3
		.amdhsa_float_denorm_mode_16_64 3
		.amdhsa_dx10_clamp 1
		.amdhsa_ieee_mode 1
		.amdhsa_fp16_overflow 0
		.amdhsa_tg_split 0
		.amdhsa_exception_fp_ieee_invalid_op 0
		.amdhsa_exception_fp_denorm_src 0
		.amdhsa_exception_fp_ieee_div_zero 0
		.amdhsa_exception_fp_ieee_overflow 0
		.amdhsa_exception_fp_ieee_underflow 0
		.amdhsa_exception_fp_ieee_inexact 0
		.amdhsa_exception_int_div_zero 0
	.end_amdhsa_kernel
	.section	.text._ZN7rocprim17ROCPRIM_400000_NS6detail17trampoline_kernelINS0_14default_configENS1_38merge_sort_block_merge_config_selectorIlNS0_10empty_typeEEEZZNS1_27merge_sort_block_merge_implIS3_PlPS5_mZN2at6native12_GLOBAL__N_124unique_dim_cuda_templateIN3c108BFloat16EEESt5tupleIJNSA_6TensorESH_SH_EERKSH_lbbbEUlllE_EE10hipError_tT0_T1_T2_jT3_P12ihipStream_tbPNSt15iterator_traitsISN_E10value_typeEPNST_ISO_E10value_typeEPSP_NS1_7vsmem_tEENKUlT_SN_SO_SP_E_clIS8_S8_S9_S9_EESM_S12_SN_SO_SP_EUlS12_E1_NS1_11comp_targetILNS1_3genE8ELNS1_11target_archE1030ELNS1_3gpuE2ELNS1_3repE0EEENS1_36merge_oddeven_config_static_selectorELNS0_4arch9wavefront6targetE1EEEvSO_,"axG",@progbits,_ZN7rocprim17ROCPRIM_400000_NS6detail17trampoline_kernelINS0_14default_configENS1_38merge_sort_block_merge_config_selectorIlNS0_10empty_typeEEEZZNS1_27merge_sort_block_merge_implIS3_PlPS5_mZN2at6native12_GLOBAL__N_124unique_dim_cuda_templateIN3c108BFloat16EEESt5tupleIJNSA_6TensorESH_SH_EERKSH_lbbbEUlllE_EE10hipError_tT0_T1_T2_jT3_P12ihipStream_tbPNSt15iterator_traitsISN_E10value_typeEPNST_ISO_E10value_typeEPSP_NS1_7vsmem_tEENKUlT_SN_SO_SP_E_clIS8_S8_S9_S9_EESM_S12_SN_SO_SP_EUlS12_E1_NS1_11comp_targetILNS1_3genE8ELNS1_11target_archE1030ELNS1_3gpuE2ELNS1_3repE0EEENS1_36merge_oddeven_config_static_selectorELNS0_4arch9wavefront6targetE1EEEvSO_,comdat
.Lfunc_end1147:
	.size	_ZN7rocprim17ROCPRIM_400000_NS6detail17trampoline_kernelINS0_14default_configENS1_38merge_sort_block_merge_config_selectorIlNS0_10empty_typeEEEZZNS1_27merge_sort_block_merge_implIS3_PlPS5_mZN2at6native12_GLOBAL__N_124unique_dim_cuda_templateIN3c108BFloat16EEESt5tupleIJNSA_6TensorESH_SH_EERKSH_lbbbEUlllE_EE10hipError_tT0_T1_T2_jT3_P12ihipStream_tbPNSt15iterator_traitsISN_E10value_typeEPNST_ISO_E10value_typeEPSP_NS1_7vsmem_tEENKUlT_SN_SO_SP_E_clIS8_S8_S9_S9_EESM_S12_SN_SO_SP_EUlS12_E1_NS1_11comp_targetILNS1_3genE8ELNS1_11target_archE1030ELNS1_3gpuE2ELNS1_3repE0EEENS1_36merge_oddeven_config_static_selectorELNS0_4arch9wavefront6targetE1EEEvSO_, .Lfunc_end1147-_ZN7rocprim17ROCPRIM_400000_NS6detail17trampoline_kernelINS0_14default_configENS1_38merge_sort_block_merge_config_selectorIlNS0_10empty_typeEEEZZNS1_27merge_sort_block_merge_implIS3_PlPS5_mZN2at6native12_GLOBAL__N_124unique_dim_cuda_templateIN3c108BFloat16EEESt5tupleIJNSA_6TensorESH_SH_EERKSH_lbbbEUlllE_EE10hipError_tT0_T1_T2_jT3_P12ihipStream_tbPNSt15iterator_traitsISN_E10value_typeEPNST_ISO_E10value_typeEPSP_NS1_7vsmem_tEENKUlT_SN_SO_SP_E_clIS8_S8_S9_S9_EESM_S12_SN_SO_SP_EUlS12_E1_NS1_11comp_targetILNS1_3genE8ELNS1_11target_archE1030ELNS1_3gpuE2ELNS1_3repE0EEENS1_36merge_oddeven_config_static_selectorELNS0_4arch9wavefront6targetE1EEEvSO_
                                        ; -- End function
	.section	.AMDGPU.csdata,"",@progbits
; Kernel info:
; codeLenInByte = 0
; NumSgprs: 4
; NumVgprs: 0
; NumAgprs: 0
; TotalNumVgprs: 0
; ScratchSize: 0
; MemoryBound: 0
; FloatMode: 240
; IeeeMode: 1
; LDSByteSize: 0 bytes/workgroup (compile time only)
; SGPRBlocks: 0
; VGPRBlocks: 0
; NumSGPRsForWavesPerEU: 4
; NumVGPRsForWavesPerEU: 1
; AccumOffset: 4
; Occupancy: 8
; WaveLimiterHint : 0
; COMPUTE_PGM_RSRC2:SCRATCH_EN: 0
; COMPUTE_PGM_RSRC2:USER_SGPR: 6
; COMPUTE_PGM_RSRC2:TRAP_HANDLER: 0
; COMPUTE_PGM_RSRC2:TGID_X_EN: 1
; COMPUTE_PGM_RSRC2:TGID_Y_EN: 0
; COMPUTE_PGM_RSRC2:TGID_Z_EN: 0
; COMPUTE_PGM_RSRC2:TIDIG_COMP_CNT: 0
; COMPUTE_PGM_RSRC3_GFX90A:ACCUM_OFFSET: 0
; COMPUTE_PGM_RSRC3_GFX90A:TG_SPLIT: 0
	.section	.text._ZN7rocprim17ROCPRIM_400000_NS6detail17trampoline_kernelINS0_14default_configENS1_35adjacent_difference_config_selectorILb0ElEEZNS1_24adjacent_difference_implIS3_Lb0ELb0EPlS7_ZN2at6native12_GLOBAL__N_124unique_dim_cuda_templateIN3c108BFloat16EEESt5tupleIJNS8_6TensorESF_SF_EERKSF_lbbbEUlllE1_EE10hipError_tPvRmT2_T3_mT4_P12ihipStream_tbEUlT_E_NS1_11comp_targetILNS1_3genE0ELNS1_11target_archE4294967295ELNS1_3gpuE0ELNS1_3repE0EEENS1_30default_config_static_selectorELNS0_4arch9wavefront6targetE1EEEvT1_,"axG",@progbits,_ZN7rocprim17ROCPRIM_400000_NS6detail17trampoline_kernelINS0_14default_configENS1_35adjacent_difference_config_selectorILb0ElEEZNS1_24adjacent_difference_implIS3_Lb0ELb0EPlS7_ZN2at6native12_GLOBAL__N_124unique_dim_cuda_templateIN3c108BFloat16EEESt5tupleIJNS8_6TensorESF_SF_EERKSF_lbbbEUlllE1_EE10hipError_tPvRmT2_T3_mT4_P12ihipStream_tbEUlT_E_NS1_11comp_targetILNS1_3genE0ELNS1_11target_archE4294967295ELNS1_3gpuE0ELNS1_3repE0EEENS1_30default_config_static_selectorELNS0_4arch9wavefront6targetE1EEEvT1_,comdat
	.globl	_ZN7rocprim17ROCPRIM_400000_NS6detail17trampoline_kernelINS0_14default_configENS1_35adjacent_difference_config_selectorILb0ElEEZNS1_24adjacent_difference_implIS3_Lb0ELb0EPlS7_ZN2at6native12_GLOBAL__N_124unique_dim_cuda_templateIN3c108BFloat16EEESt5tupleIJNS8_6TensorESF_SF_EERKSF_lbbbEUlllE1_EE10hipError_tPvRmT2_T3_mT4_P12ihipStream_tbEUlT_E_NS1_11comp_targetILNS1_3genE0ELNS1_11target_archE4294967295ELNS1_3gpuE0ELNS1_3repE0EEENS1_30default_config_static_selectorELNS0_4arch9wavefront6targetE1EEEvT1_ ; -- Begin function _ZN7rocprim17ROCPRIM_400000_NS6detail17trampoline_kernelINS0_14default_configENS1_35adjacent_difference_config_selectorILb0ElEEZNS1_24adjacent_difference_implIS3_Lb0ELb0EPlS7_ZN2at6native12_GLOBAL__N_124unique_dim_cuda_templateIN3c108BFloat16EEESt5tupleIJNS8_6TensorESF_SF_EERKSF_lbbbEUlllE1_EE10hipError_tPvRmT2_T3_mT4_P12ihipStream_tbEUlT_E_NS1_11comp_targetILNS1_3genE0ELNS1_11target_archE4294967295ELNS1_3gpuE0ELNS1_3repE0EEENS1_30default_config_static_selectorELNS0_4arch9wavefront6targetE1EEEvT1_
	.p2align	8
	.type	_ZN7rocprim17ROCPRIM_400000_NS6detail17trampoline_kernelINS0_14default_configENS1_35adjacent_difference_config_selectorILb0ElEEZNS1_24adjacent_difference_implIS3_Lb0ELb0EPlS7_ZN2at6native12_GLOBAL__N_124unique_dim_cuda_templateIN3c108BFloat16EEESt5tupleIJNS8_6TensorESF_SF_EERKSF_lbbbEUlllE1_EE10hipError_tPvRmT2_T3_mT4_P12ihipStream_tbEUlT_E_NS1_11comp_targetILNS1_3genE0ELNS1_11target_archE4294967295ELNS1_3gpuE0ELNS1_3repE0EEENS1_30default_config_static_selectorELNS0_4arch9wavefront6targetE1EEEvT1_,@function
_ZN7rocprim17ROCPRIM_400000_NS6detail17trampoline_kernelINS0_14default_configENS1_35adjacent_difference_config_selectorILb0ElEEZNS1_24adjacent_difference_implIS3_Lb0ELb0EPlS7_ZN2at6native12_GLOBAL__N_124unique_dim_cuda_templateIN3c108BFloat16EEESt5tupleIJNS8_6TensorESF_SF_EERKSF_lbbbEUlllE1_EE10hipError_tPvRmT2_T3_mT4_P12ihipStream_tbEUlT_E_NS1_11comp_targetILNS1_3genE0ELNS1_11target_archE4294967295ELNS1_3gpuE0ELNS1_3repE0EEENS1_30default_config_static_selectorELNS0_4arch9wavefront6targetE1EEEvT1_: ; @_ZN7rocprim17ROCPRIM_400000_NS6detail17trampoline_kernelINS0_14default_configENS1_35adjacent_difference_config_selectorILb0ElEEZNS1_24adjacent_difference_implIS3_Lb0ELb0EPlS7_ZN2at6native12_GLOBAL__N_124unique_dim_cuda_templateIN3c108BFloat16EEESt5tupleIJNS8_6TensorESF_SF_EERKSF_lbbbEUlllE1_EE10hipError_tPvRmT2_T3_mT4_P12ihipStream_tbEUlT_E_NS1_11comp_targetILNS1_3genE0ELNS1_11target_archE4294967295ELNS1_3gpuE0ELNS1_3repE0EEENS1_30default_config_static_selectorELNS0_4arch9wavefront6targetE1EEEvT1_
; %bb.0:
	.section	.rodata,"a",@progbits
	.p2align	6, 0x0
	.amdhsa_kernel _ZN7rocprim17ROCPRIM_400000_NS6detail17trampoline_kernelINS0_14default_configENS1_35adjacent_difference_config_selectorILb0ElEEZNS1_24adjacent_difference_implIS3_Lb0ELb0EPlS7_ZN2at6native12_GLOBAL__N_124unique_dim_cuda_templateIN3c108BFloat16EEESt5tupleIJNS8_6TensorESF_SF_EERKSF_lbbbEUlllE1_EE10hipError_tPvRmT2_T3_mT4_P12ihipStream_tbEUlT_E_NS1_11comp_targetILNS1_3genE0ELNS1_11target_archE4294967295ELNS1_3gpuE0ELNS1_3repE0EEENS1_30default_config_static_selectorELNS0_4arch9wavefront6targetE1EEEvT1_
		.amdhsa_group_segment_fixed_size 0
		.amdhsa_private_segment_fixed_size 0
		.amdhsa_kernarg_size 64
		.amdhsa_user_sgpr_count 6
		.amdhsa_user_sgpr_private_segment_buffer 1
		.amdhsa_user_sgpr_dispatch_ptr 0
		.amdhsa_user_sgpr_queue_ptr 0
		.amdhsa_user_sgpr_kernarg_segment_ptr 1
		.amdhsa_user_sgpr_dispatch_id 0
		.amdhsa_user_sgpr_flat_scratch_init 0
		.amdhsa_user_sgpr_kernarg_preload_length 0
		.amdhsa_user_sgpr_kernarg_preload_offset 0
		.amdhsa_user_sgpr_private_segment_size 0
		.amdhsa_uses_dynamic_stack 0
		.amdhsa_system_sgpr_private_segment_wavefront_offset 0
		.amdhsa_system_sgpr_workgroup_id_x 1
		.amdhsa_system_sgpr_workgroup_id_y 0
		.amdhsa_system_sgpr_workgroup_id_z 0
		.amdhsa_system_sgpr_workgroup_info 0
		.amdhsa_system_vgpr_workitem_id 0
		.amdhsa_next_free_vgpr 1
		.amdhsa_next_free_sgpr 0
		.amdhsa_accum_offset 4
		.amdhsa_reserve_vcc 0
		.amdhsa_reserve_flat_scratch 0
		.amdhsa_float_round_mode_32 0
		.amdhsa_float_round_mode_16_64 0
		.amdhsa_float_denorm_mode_32 3
		.amdhsa_float_denorm_mode_16_64 3
		.amdhsa_dx10_clamp 1
		.amdhsa_ieee_mode 1
		.amdhsa_fp16_overflow 0
		.amdhsa_tg_split 0
		.amdhsa_exception_fp_ieee_invalid_op 0
		.amdhsa_exception_fp_denorm_src 0
		.amdhsa_exception_fp_ieee_div_zero 0
		.amdhsa_exception_fp_ieee_overflow 0
		.amdhsa_exception_fp_ieee_underflow 0
		.amdhsa_exception_fp_ieee_inexact 0
		.amdhsa_exception_int_div_zero 0
	.end_amdhsa_kernel
	.section	.text._ZN7rocprim17ROCPRIM_400000_NS6detail17trampoline_kernelINS0_14default_configENS1_35adjacent_difference_config_selectorILb0ElEEZNS1_24adjacent_difference_implIS3_Lb0ELb0EPlS7_ZN2at6native12_GLOBAL__N_124unique_dim_cuda_templateIN3c108BFloat16EEESt5tupleIJNS8_6TensorESF_SF_EERKSF_lbbbEUlllE1_EE10hipError_tPvRmT2_T3_mT4_P12ihipStream_tbEUlT_E_NS1_11comp_targetILNS1_3genE0ELNS1_11target_archE4294967295ELNS1_3gpuE0ELNS1_3repE0EEENS1_30default_config_static_selectorELNS0_4arch9wavefront6targetE1EEEvT1_,"axG",@progbits,_ZN7rocprim17ROCPRIM_400000_NS6detail17trampoline_kernelINS0_14default_configENS1_35adjacent_difference_config_selectorILb0ElEEZNS1_24adjacent_difference_implIS3_Lb0ELb0EPlS7_ZN2at6native12_GLOBAL__N_124unique_dim_cuda_templateIN3c108BFloat16EEESt5tupleIJNS8_6TensorESF_SF_EERKSF_lbbbEUlllE1_EE10hipError_tPvRmT2_T3_mT4_P12ihipStream_tbEUlT_E_NS1_11comp_targetILNS1_3genE0ELNS1_11target_archE4294967295ELNS1_3gpuE0ELNS1_3repE0EEENS1_30default_config_static_selectorELNS0_4arch9wavefront6targetE1EEEvT1_,comdat
.Lfunc_end1148:
	.size	_ZN7rocprim17ROCPRIM_400000_NS6detail17trampoline_kernelINS0_14default_configENS1_35adjacent_difference_config_selectorILb0ElEEZNS1_24adjacent_difference_implIS3_Lb0ELb0EPlS7_ZN2at6native12_GLOBAL__N_124unique_dim_cuda_templateIN3c108BFloat16EEESt5tupleIJNS8_6TensorESF_SF_EERKSF_lbbbEUlllE1_EE10hipError_tPvRmT2_T3_mT4_P12ihipStream_tbEUlT_E_NS1_11comp_targetILNS1_3genE0ELNS1_11target_archE4294967295ELNS1_3gpuE0ELNS1_3repE0EEENS1_30default_config_static_selectorELNS0_4arch9wavefront6targetE1EEEvT1_, .Lfunc_end1148-_ZN7rocprim17ROCPRIM_400000_NS6detail17trampoline_kernelINS0_14default_configENS1_35adjacent_difference_config_selectorILb0ElEEZNS1_24adjacent_difference_implIS3_Lb0ELb0EPlS7_ZN2at6native12_GLOBAL__N_124unique_dim_cuda_templateIN3c108BFloat16EEESt5tupleIJNS8_6TensorESF_SF_EERKSF_lbbbEUlllE1_EE10hipError_tPvRmT2_T3_mT4_P12ihipStream_tbEUlT_E_NS1_11comp_targetILNS1_3genE0ELNS1_11target_archE4294967295ELNS1_3gpuE0ELNS1_3repE0EEENS1_30default_config_static_selectorELNS0_4arch9wavefront6targetE1EEEvT1_
                                        ; -- End function
	.section	.AMDGPU.csdata,"",@progbits
; Kernel info:
; codeLenInByte = 0
; NumSgprs: 4
; NumVgprs: 0
; NumAgprs: 0
; TotalNumVgprs: 0
; ScratchSize: 0
; MemoryBound: 0
; FloatMode: 240
; IeeeMode: 1
; LDSByteSize: 0 bytes/workgroup (compile time only)
; SGPRBlocks: 0
; VGPRBlocks: 0
; NumSGPRsForWavesPerEU: 4
; NumVGPRsForWavesPerEU: 1
; AccumOffset: 4
; Occupancy: 8
; WaveLimiterHint : 0
; COMPUTE_PGM_RSRC2:SCRATCH_EN: 0
; COMPUTE_PGM_RSRC2:USER_SGPR: 6
; COMPUTE_PGM_RSRC2:TRAP_HANDLER: 0
; COMPUTE_PGM_RSRC2:TGID_X_EN: 1
; COMPUTE_PGM_RSRC2:TGID_Y_EN: 0
; COMPUTE_PGM_RSRC2:TGID_Z_EN: 0
; COMPUTE_PGM_RSRC2:TIDIG_COMP_CNT: 0
; COMPUTE_PGM_RSRC3_GFX90A:ACCUM_OFFSET: 0
; COMPUTE_PGM_RSRC3_GFX90A:TG_SPLIT: 0
	.section	.text._ZN7rocprim17ROCPRIM_400000_NS6detail17trampoline_kernelINS0_14default_configENS1_35adjacent_difference_config_selectorILb0ElEEZNS1_24adjacent_difference_implIS3_Lb0ELb0EPlS7_ZN2at6native12_GLOBAL__N_124unique_dim_cuda_templateIN3c108BFloat16EEESt5tupleIJNS8_6TensorESF_SF_EERKSF_lbbbEUlllE1_EE10hipError_tPvRmT2_T3_mT4_P12ihipStream_tbEUlT_E_NS1_11comp_targetILNS1_3genE10ELNS1_11target_archE1201ELNS1_3gpuE5ELNS1_3repE0EEENS1_30default_config_static_selectorELNS0_4arch9wavefront6targetE1EEEvT1_,"axG",@progbits,_ZN7rocprim17ROCPRIM_400000_NS6detail17trampoline_kernelINS0_14default_configENS1_35adjacent_difference_config_selectorILb0ElEEZNS1_24adjacent_difference_implIS3_Lb0ELb0EPlS7_ZN2at6native12_GLOBAL__N_124unique_dim_cuda_templateIN3c108BFloat16EEESt5tupleIJNS8_6TensorESF_SF_EERKSF_lbbbEUlllE1_EE10hipError_tPvRmT2_T3_mT4_P12ihipStream_tbEUlT_E_NS1_11comp_targetILNS1_3genE10ELNS1_11target_archE1201ELNS1_3gpuE5ELNS1_3repE0EEENS1_30default_config_static_selectorELNS0_4arch9wavefront6targetE1EEEvT1_,comdat
	.globl	_ZN7rocprim17ROCPRIM_400000_NS6detail17trampoline_kernelINS0_14default_configENS1_35adjacent_difference_config_selectorILb0ElEEZNS1_24adjacent_difference_implIS3_Lb0ELb0EPlS7_ZN2at6native12_GLOBAL__N_124unique_dim_cuda_templateIN3c108BFloat16EEESt5tupleIJNS8_6TensorESF_SF_EERKSF_lbbbEUlllE1_EE10hipError_tPvRmT2_T3_mT4_P12ihipStream_tbEUlT_E_NS1_11comp_targetILNS1_3genE10ELNS1_11target_archE1201ELNS1_3gpuE5ELNS1_3repE0EEENS1_30default_config_static_selectorELNS0_4arch9wavefront6targetE1EEEvT1_ ; -- Begin function _ZN7rocprim17ROCPRIM_400000_NS6detail17trampoline_kernelINS0_14default_configENS1_35adjacent_difference_config_selectorILb0ElEEZNS1_24adjacent_difference_implIS3_Lb0ELb0EPlS7_ZN2at6native12_GLOBAL__N_124unique_dim_cuda_templateIN3c108BFloat16EEESt5tupleIJNS8_6TensorESF_SF_EERKSF_lbbbEUlllE1_EE10hipError_tPvRmT2_T3_mT4_P12ihipStream_tbEUlT_E_NS1_11comp_targetILNS1_3genE10ELNS1_11target_archE1201ELNS1_3gpuE5ELNS1_3repE0EEENS1_30default_config_static_selectorELNS0_4arch9wavefront6targetE1EEEvT1_
	.p2align	8
	.type	_ZN7rocprim17ROCPRIM_400000_NS6detail17trampoline_kernelINS0_14default_configENS1_35adjacent_difference_config_selectorILb0ElEEZNS1_24adjacent_difference_implIS3_Lb0ELb0EPlS7_ZN2at6native12_GLOBAL__N_124unique_dim_cuda_templateIN3c108BFloat16EEESt5tupleIJNS8_6TensorESF_SF_EERKSF_lbbbEUlllE1_EE10hipError_tPvRmT2_T3_mT4_P12ihipStream_tbEUlT_E_NS1_11comp_targetILNS1_3genE10ELNS1_11target_archE1201ELNS1_3gpuE5ELNS1_3repE0EEENS1_30default_config_static_selectorELNS0_4arch9wavefront6targetE1EEEvT1_,@function
_ZN7rocprim17ROCPRIM_400000_NS6detail17trampoline_kernelINS0_14default_configENS1_35adjacent_difference_config_selectorILb0ElEEZNS1_24adjacent_difference_implIS3_Lb0ELb0EPlS7_ZN2at6native12_GLOBAL__N_124unique_dim_cuda_templateIN3c108BFloat16EEESt5tupleIJNS8_6TensorESF_SF_EERKSF_lbbbEUlllE1_EE10hipError_tPvRmT2_T3_mT4_P12ihipStream_tbEUlT_E_NS1_11comp_targetILNS1_3genE10ELNS1_11target_archE1201ELNS1_3gpuE5ELNS1_3repE0EEENS1_30default_config_static_selectorELNS0_4arch9wavefront6targetE1EEEvT1_: ; @_ZN7rocprim17ROCPRIM_400000_NS6detail17trampoline_kernelINS0_14default_configENS1_35adjacent_difference_config_selectorILb0ElEEZNS1_24adjacent_difference_implIS3_Lb0ELb0EPlS7_ZN2at6native12_GLOBAL__N_124unique_dim_cuda_templateIN3c108BFloat16EEESt5tupleIJNS8_6TensorESF_SF_EERKSF_lbbbEUlllE1_EE10hipError_tPvRmT2_T3_mT4_P12ihipStream_tbEUlT_E_NS1_11comp_targetILNS1_3genE10ELNS1_11target_archE1201ELNS1_3gpuE5ELNS1_3repE0EEENS1_30default_config_static_selectorELNS0_4arch9wavefront6targetE1EEEvT1_
; %bb.0:
	.section	.rodata,"a",@progbits
	.p2align	6, 0x0
	.amdhsa_kernel _ZN7rocprim17ROCPRIM_400000_NS6detail17trampoline_kernelINS0_14default_configENS1_35adjacent_difference_config_selectorILb0ElEEZNS1_24adjacent_difference_implIS3_Lb0ELb0EPlS7_ZN2at6native12_GLOBAL__N_124unique_dim_cuda_templateIN3c108BFloat16EEESt5tupleIJNS8_6TensorESF_SF_EERKSF_lbbbEUlllE1_EE10hipError_tPvRmT2_T3_mT4_P12ihipStream_tbEUlT_E_NS1_11comp_targetILNS1_3genE10ELNS1_11target_archE1201ELNS1_3gpuE5ELNS1_3repE0EEENS1_30default_config_static_selectorELNS0_4arch9wavefront6targetE1EEEvT1_
		.amdhsa_group_segment_fixed_size 0
		.amdhsa_private_segment_fixed_size 0
		.amdhsa_kernarg_size 64
		.amdhsa_user_sgpr_count 6
		.amdhsa_user_sgpr_private_segment_buffer 1
		.amdhsa_user_sgpr_dispatch_ptr 0
		.amdhsa_user_sgpr_queue_ptr 0
		.amdhsa_user_sgpr_kernarg_segment_ptr 1
		.amdhsa_user_sgpr_dispatch_id 0
		.amdhsa_user_sgpr_flat_scratch_init 0
		.amdhsa_user_sgpr_kernarg_preload_length 0
		.amdhsa_user_sgpr_kernarg_preload_offset 0
		.amdhsa_user_sgpr_private_segment_size 0
		.amdhsa_uses_dynamic_stack 0
		.amdhsa_system_sgpr_private_segment_wavefront_offset 0
		.amdhsa_system_sgpr_workgroup_id_x 1
		.amdhsa_system_sgpr_workgroup_id_y 0
		.amdhsa_system_sgpr_workgroup_id_z 0
		.amdhsa_system_sgpr_workgroup_info 0
		.amdhsa_system_vgpr_workitem_id 0
		.amdhsa_next_free_vgpr 1
		.amdhsa_next_free_sgpr 0
		.amdhsa_accum_offset 4
		.amdhsa_reserve_vcc 0
		.amdhsa_reserve_flat_scratch 0
		.amdhsa_float_round_mode_32 0
		.amdhsa_float_round_mode_16_64 0
		.amdhsa_float_denorm_mode_32 3
		.amdhsa_float_denorm_mode_16_64 3
		.amdhsa_dx10_clamp 1
		.amdhsa_ieee_mode 1
		.amdhsa_fp16_overflow 0
		.amdhsa_tg_split 0
		.amdhsa_exception_fp_ieee_invalid_op 0
		.amdhsa_exception_fp_denorm_src 0
		.amdhsa_exception_fp_ieee_div_zero 0
		.amdhsa_exception_fp_ieee_overflow 0
		.amdhsa_exception_fp_ieee_underflow 0
		.amdhsa_exception_fp_ieee_inexact 0
		.amdhsa_exception_int_div_zero 0
	.end_amdhsa_kernel
	.section	.text._ZN7rocprim17ROCPRIM_400000_NS6detail17trampoline_kernelINS0_14default_configENS1_35adjacent_difference_config_selectorILb0ElEEZNS1_24adjacent_difference_implIS3_Lb0ELb0EPlS7_ZN2at6native12_GLOBAL__N_124unique_dim_cuda_templateIN3c108BFloat16EEESt5tupleIJNS8_6TensorESF_SF_EERKSF_lbbbEUlllE1_EE10hipError_tPvRmT2_T3_mT4_P12ihipStream_tbEUlT_E_NS1_11comp_targetILNS1_3genE10ELNS1_11target_archE1201ELNS1_3gpuE5ELNS1_3repE0EEENS1_30default_config_static_selectorELNS0_4arch9wavefront6targetE1EEEvT1_,"axG",@progbits,_ZN7rocprim17ROCPRIM_400000_NS6detail17trampoline_kernelINS0_14default_configENS1_35adjacent_difference_config_selectorILb0ElEEZNS1_24adjacent_difference_implIS3_Lb0ELb0EPlS7_ZN2at6native12_GLOBAL__N_124unique_dim_cuda_templateIN3c108BFloat16EEESt5tupleIJNS8_6TensorESF_SF_EERKSF_lbbbEUlllE1_EE10hipError_tPvRmT2_T3_mT4_P12ihipStream_tbEUlT_E_NS1_11comp_targetILNS1_3genE10ELNS1_11target_archE1201ELNS1_3gpuE5ELNS1_3repE0EEENS1_30default_config_static_selectorELNS0_4arch9wavefront6targetE1EEEvT1_,comdat
.Lfunc_end1149:
	.size	_ZN7rocprim17ROCPRIM_400000_NS6detail17trampoline_kernelINS0_14default_configENS1_35adjacent_difference_config_selectorILb0ElEEZNS1_24adjacent_difference_implIS3_Lb0ELb0EPlS7_ZN2at6native12_GLOBAL__N_124unique_dim_cuda_templateIN3c108BFloat16EEESt5tupleIJNS8_6TensorESF_SF_EERKSF_lbbbEUlllE1_EE10hipError_tPvRmT2_T3_mT4_P12ihipStream_tbEUlT_E_NS1_11comp_targetILNS1_3genE10ELNS1_11target_archE1201ELNS1_3gpuE5ELNS1_3repE0EEENS1_30default_config_static_selectorELNS0_4arch9wavefront6targetE1EEEvT1_, .Lfunc_end1149-_ZN7rocprim17ROCPRIM_400000_NS6detail17trampoline_kernelINS0_14default_configENS1_35adjacent_difference_config_selectorILb0ElEEZNS1_24adjacent_difference_implIS3_Lb0ELb0EPlS7_ZN2at6native12_GLOBAL__N_124unique_dim_cuda_templateIN3c108BFloat16EEESt5tupleIJNS8_6TensorESF_SF_EERKSF_lbbbEUlllE1_EE10hipError_tPvRmT2_T3_mT4_P12ihipStream_tbEUlT_E_NS1_11comp_targetILNS1_3genE10ELNS1_11target_archE1201ELNS1_3gpuE5ELNS1_3repE0EEENS1_30default_config_static_selectorELNS0_4arch9wavefront6targetE1EEEvT1_
                                        ; -- End function
	.section	.AMDGPU.csdata,"",@progbits
; Kernel info:
; codeLenInByte = 0
; NumSgprs: 4
; NumVgprs: 0
; NumAgprs: 0
; TotalNumVgprs: 0
; ScratchSize: 0
; MemoryBound: 0
; FloatMode: 240
; IeeeMode: 1
; LDSByteSize: 0 bytes/workgroup (compile time only)
; SGPRBlocks: 0
; VGPRBlocks: 0
; NumSGPRsForWavesPerEU: 4
; NumVGPRsForWavesPerEU: 1
; AccumOffset: 4
; Occupancy: 8
; WaveLimiterHint : 0
; COMPUTE_PGM_RSRC2:SCRATCH_EN: 0
; COMPUTE_PGM_RSRC2:USER_SGPR: 6
; COMPUTE_PGM_RSRC2:TRAP_HANDLER: 0
; COMPUTE_PGM_RSRC2:TGID_X_EN: 1
; COMPUTE_PGM_RSRC2:TGID_Y_EN: 0
; COMPUTE_PGM_RSRC2:TGID_Z_EN: 0
; COMPUTE_PGM_RSRC2:TIDIG_COMP_CNT: 0
; COMPUTE_PGM_RSRC3_GFX90A:ACCUM_OFFSET: 0
; COMPUTE_PGM_RSRC3_GFX90A:TG_SPLIT: 0
	.section	.text._ZN7rocprim17ROCPRIM_400000_NS6detail17trampoline_kernelINS0_14default_configENS1_35adjacent_difference_config_selectorILb0ElEEZNS1_24adjacent_difference_implIS3_Lb0ELb0EPlS7_ZN2at6native12_GLOBAL__N_124unique_dim_cuda_templateIN3c108BFloat16EEESt5tupleIJNS8_6TensorESF_SF_EERKSF_lbbbEUlllE1_EE10hipError_tPvRmT2_T3_mT4_P12ihipStream_tbEUlT_E_NS1_11comp_targetILNS1_3genE5ELNS1_11target_archE942ELNS1_3gpuE9ELNS1_3repE0EEENS1_30default_config_static_selectorELNS0_4arch9wavefront6targetE1EEEvT1_,"axG",@progbits,_ZN7rocprim17ROCPRIM_400000_NS6detail17trampoline_kernelINS0_14default_configENS1_35adjacent_difference_config_selectorILb0ElEEZNS1_24adjacent_difference_implIS3_Lb0ELb0EPlS7_ZN2at6native12_GLOBAL__N_124unique_dim_cuda_templateIN3c108BFloat16EEESt5tupleIJNS8_6TensorESF_SF_EERKSF_lbbbEUlllE1_EE10hipError_tPvRmT2_T3_mT4_P12ihipStream_tbEUlT_E_NS1_11comp_targetILNS1_3genE5ELNS1_11target_archE942ELNS1_3gpuE9ELNS1_3repE0EEENS1_30default_config_static_selectorELNS0_4arch9wavefront6targetE1EEEvT1_,comdat
	.globl	_ZN7rocprim17ROCPRIM_400000_NS6detail17trampoline_kernelINS0_14default_configENS1_35adjacent_difference_config_selectorILb0ElEEZNS1_24adjacent_difference_implIS3_Lb0ELb0EPlS7_ZN2at6native12_GLOBAL__N_124unique_dim_cuda_templateIN3c108BFloat16EEESt5tupleIJNS8_6TensorESF_SF_EERKSF_lbbbEUlllE1_EE10hipError_tPvRmT2_T3_mT4_P12ihipStream_tbEUlT_E_NS1_11comp_targetILNS1_3genE5ELNS1_11target_archE942ELNS1_3gpuE9ELNS1_3repE0EEENS1_30default_config_static_selectorELNS0_4arch9wavefront6targetE1EEEvT1_ ; -- Begin function _ZN7rocprim17ROCPRIM_400000_NS6detail17trampoline_kernelINS0_14default_configENS1_35adjacent_difference_config_selectorILb0ElEEZNS1_24adjacent_difference_implIS3_Lb0ELb0EPlS7_ZN2at6native12_GLOBAL__N_124unique_dim_cuda_templateIN3c108BFloat16EEESt5tupleIJNS8_6TensorESF_SF_EERKSF_lbbbEUlllE1_EE10hipError_tPvRmT2_T3_mT4_P12ihipStream_tbEUlT_E_NS1_11comp_targetILNS1_3genE5ELNS1_11target_archE942ELNS1_3gpuE9ELNS1_3repE0EEENS1_30default_config_static_selectorELNS0_4arch9wavefront6targetE1EEEvT1_
	.p2align	8
	.type	_ZN7rocprim17ROCPRIM_400000_NS6detail17trampoline_kernelINS0_14default_configENS1_35adjacent_difference_config_selectorILb0ElEEZNS1_24adjacent_difference_implIS3_Lb0ELb0EPlS7_ZN2at6native12_GLOBAL__N_124unique_dim_cuda_templateIN3c108BFloat16EEESt5tupleIJNS8_6TensorESF_SF_EERKSF_lbbbEUlllE1_EE10hipError_tPvRmT2_T3_mT4_P12ihipStream_tbEUlT_E_NS1_11comp_targetILNS1_3genE5ELNS1_11target_archE942ELNS1_3gpuE9ELNS1_3repE0EEENS1_30default_config_static_selectorELNS0_4arch9wavefront6targetE1EEEvT1_,@function
_ZN7rocprim17ROCPRIM_400000_NS6detail17trampoline_kernelINS0_14default_configENS1_35adjacent_difference_config_selectorILb0ElEEZNS1_24adjacent_difference_implIS3_Lb0ELb0EPlS7_ZN2at6native12_GLOBAL__N_124unique_dim_cuda_templateIN3c108BFloat16EEESt5tupleIJNS8_6TensorESF_SF_EERKSF_lbbbEUlllE1_EE10hipError_tPvRmT2_T3_mT4_P12ihipStream_tbEUlT_E_NS1_11comp_targetILNS1_3genE5ELNS1_11target_archE942ELNS1_3gpuE9ELNS1_3repE0EEENS1_30default_config_static_selectorELNS0_4arch9wavefront6targetE1EEEvT1_: ; @_ZN7rocprim17ROCPRIM_400000_NS6detail17trampoline_kernelINS0_14default_configENS1_35adjacent_difference_config_selectorILb0ElEEZNS1_24adjacent_difference_implIS3_Lb0ELb0EPlS7_ZN2at6native12_GLOBAL__N_124unique_dim_cuda_templateIN3c108BFloat16EEESt5tupleIJNS8_6TensorESF_SF_EERKSF_lbbbEUlllE1_EE10hipError_tPvRmT2_T3_mT4_P12ihipStream_tbEUlT_E_NS1_11comp_targetILNS1_3genE5ELNS1_11target_archE942ELNS1_3gpuE9ELNS1_3repE0EEENS1_30default_config_static_selectorELNS0_4arch9wavefront6targetE1EEEvT1_
; %bb.0:
	.section	.rodata,"a",@progbits
	.p2align	6, 0x0
	.amdhsa_kernel _ZN7rocprim17ROCPRIM_400000_NS6detail17trampoline_kernelINS0_14default_configENS1_35adjacent_difference_config_selectorILb0ElEEZNS1_24adjacent_difference_implIS3_Lb0ELb0EPlS7_ZN2at6native12_GLOBAL__N_124unique_dim_cuda_templateIN3c108BFloat16EEESt5tupleIJNS8_6TensorESF_SF_EERKSF_lbbbEUlllE1_EE10hipError_tPvRmT2_T3_mT4_P12ihipStream_tbEUlT_E_NS1_11comp_targetILNS1_3genE5ELNS1_11target_archE942ELNS1_3gpuE9ELNS1_3repE0EEENS1_30default_config_static_selectorELNS0_4arch9wavefront6targetE1EEEvT1_
		.amdhsa_group_segment_fixed_size 0
		.amdhsa_private_segment_fixed_size 0
		.amdhsa_kernarg_size 64
		.amdhsa_user_sgpr_count 6
		.amdhsa_user_sgpr_private_segment_buffer 1
		.amdhsa_user_sgpr_dispatch_ptr 0
		.amdhsa_user_sgpr_queue_ptr 0
		.amdhsa_user_sgpr_kernarg_segment_ptr 1
		.amdhsa_user_sgpr_dispatch_id 0
		.amdhsa_user_sgpr_flat_scratch_init 0
		.amdhsa_user_sgpr_kernarg_preload_length 0
		.amdhsa_user_sgpr_kernarg_preload_offset 0
		.amdhsa_user_sgpr_private_segment_size 0
		.amdhsa_uses_dynamic_stack 0
		.amdhsa_system_sgpr_private_segment_wavefront_offset 0
		.amdhsa_system_sgpr_workgroup_id_x 1
		.amdhsa_system_sgpr_workgroup_id_y 0
		.amdhsa_system_sgpr_workgroup_id_z 0
		.amdhsa_system_sgpr_workgroup_info 0
		.amdhsa_system_vgpr_workitem_id 0
		.amdhsa_next_free_vgpr 1
		.amdhsa_next_free_sgpr 0
		.amdhsa_accum_offset 4
		.amdhsa_reserve_vcc 0
		.amdhsa_reserve_flat_scratch 0
		.amdhsa_float_round_mode_32 0
		.amdhsa_float_round_mode_16_64 0
		.amdhsa_float_denorm_mode_32 3
		.amdhsa_float_denorm_mode_16_64 3
		.amdhsa_dx10_clamp 1
		.amdhsa_ieee_mode 1
		.amdhsa_fp16_overflow 0
		.amdhsa_tg_split 0
		.amdhsa_exception_fp_ieee_invalid_op 0
		.amdhsa_exception_fp_denorm_src 0
		.amdhsa_exception_fp_ieee_div_zero 0
		.amdhsa_exception_fp_ieee_overflow 0
		.amdhsa_exception_fp_ieee_underflow 0
		.amdhsa_exception_fp_ieee_inexact 0
		.amdhsa_exception_int_div_zero 0
	.end_amdhsa_kernel
	.section	.text._ZN7rocprim17ROCPRIM_400000_NS6detail17trampoline_kernelINS0_14default_configENS1_35adjacent_difference_config_selectorILb0ElEEZNS1_24adjacent_difference_implIS3_Lb0ELb0EPlS7_ZN2at6native12_GLOBAL__N_124unique_dim_cuda_templateIN3c108BFloat16EEESt5tupleIJNS8_6TensorESF_SF_EERKSF_lbbbEUlllE1_EE10hipError_tPvRmT2_T3_mT4_P12ihipStream_tbEUlT_E_NS1_11comp_targetILNS1_3genE5ELNS1_11target_archE942ELNS1_3gpuE9ELNS1_3repE0EEENS1_30default_config_static_selectorELNS0_4arch9wavefront6targetE1EEEvT1_,"axG",@progbits,_ZN7rocprim17ROCPRIM_400000_NS6detail17trampoline_kernelINS0_14default_configENS1_35adjacent_difference_config_selectorILb0ElEEZNS1_24adjacent_difference_implIS3_Lb0ELb0EPlS7_ZN2at6native12_GLOBAL__N_124unique_dim_cuda_templateIN3c108BFloat16EEESt5tupleIJNS8_6TensorESF_SF_EERKSF_lbbbEUlllE1_EE10hipError_tPvRmT2_T3_mT4_P12ihipStream_tbEUlT_E_NS1_11comp_targetILNS1_3genE5ELNS1_11target_archE942ELNS1_3gpuE9ELNS1_3repE0EEENS1_30default_config_static_selectorELNS0_4arch9wavefront6targetE1EEEvT1_,comdat
.Lfunc_end1150:
	.size	_ZN7rocprim17ROCPRIM_400000_NS6detail17trampoline_kernelINS0_14default_configENS1_35adjacent_difference_config_selectorILb0ElEEZNS1_24adjacent_difference_implIS3_Lb0ELb0EPlS7_ZN2at6native12_GLOBAL__N_124unique_dim_cuda_templateIN3c108BFloat16EEESt5tupleIJNS8_6TensorESF_SF_EERKSF_lbbbEUlllE1_EE10hipError_tPvRmT2_T3_mT4_P12ihipStream_tbEUlT_E_NS1_11comp_targetILNS1_3genE5ELNS1_11target_archE942ELNS1_3gpuE9ELNS1_3repE0EEENS1_30default_config_static_selectorELNS0_4arch9wavefront6targetE1EEEvT1_, .Lfunc_end1150-_ZN7rocprim17ROCPRIM_400000_NS6detail17trampoline_kernelINS0_14default_configENS1_35adjacent_difference_config_selectorILb0ElEEZNS1_24adjacent_difference_implIS3_Lb0ELb0EPlS7_ZN2at6native12_GLOBAL__N_124unique_dim_cuda_templateIN3c108BFloat16EEESt5tupleIJNS8_6TensorESF_SF_EERKSF_lbbbEUlllE1_EE10hipError_tPvRmT2_T3_mT4_P12ihipStream_tbEUlT_E_NS1_11comp_targetILNS1_3genE5ELNS1_11target_archE942ELNS1_3gpuE9ELNS1_3repE0EEENS1_30default_config_static_selectorELNS0_4arch9wavefront6targetE1EEEvT1_
                                        ; -- End function
	.section	.AMDGPU.csdata,"",@progbits
; Kernel info:
; codeLenInByte = 0
; NumSgprs: 4
; NumVgprs: 0
; NumAgprs: 0
; TotalNumVgprs: 0
; ScratchSize: 0
; MemoryBound: 0
; FloatMode: 240
; IeeeMode: 1
; LDSByteSize: 0 bytes/workgroup (compile time only)
; SGPRBlocks: 0
; VGPRBlocks: 0
; NumSGPRsForWavesPerEU: 4
; NumVGPRsForWavesPerEU: 1
; AccumOffset: 4
; Occupancy: 8
; WaveLimiterHint : 0
; COMPUTE_PGM_RSRC2:SCRATCH_EN: 0
; COMPUTE_PGM_RSRC2:USER_SGPR: 6
; COMPUTE_PGM_RSRC2:TRAP_HANDLER: 0
; COMPUTE_PGM_RSRC2:TGID_X_EN: 1
; COMPUTE_PGM_RSRC2:TGID_Y_EN: 0
; COMPUTE_PGM_RSRC2:TGID_Z_EN: 0
; COMPUTE_PGM_RSRC2:TIDIG_COMP_CNT: 0
; COMPUTE_PGM_RSRC3_GFX90A:ACCUM_OFFSET: 0
; COMPUTE_PGM_RSRC3_GFX90A:TG_SPLIT: 0
	.section	.text._ZN7rocprim17ROCPRIM_400000_NS6detail17trampoline_kernelINS0_14default_configENS1_35adjacent_difference_config_selectorILb0ElEEZNS1_24adjacent_difference_implIS3_Lb0ELb0EPlS7_ZN2at6native12_GLOBAL__N_124unique_dim_cuda_templateIN3c108BFloat16EEESt5tupleIJNS8_6TensorESF_SF_EERKSF_lbbbEUlllE1_EE10hipError_tPvRmT2_T3_mT4_P12ihipStream_tbEUlT_E_NS1_11comp_targetILNS1_3genE4ELNS1_11target_archE910ELNS1_3gpuE8ELNS1_3repE0EEENS1_30default_config_static_selectorELNS0_4arch9wavefront6targetE1EEEvT1_,"axG",@progbits,_ZN7rocprim17ROCPRIM_400000_NS6detail17trampoline_kernelINS0_14default_configENS1_35adjacent_difference_config_selectorILb0ElEEZNS1_24adjacent_difference_implIS3_Lb0ELb0EPlS7_ZN2at6native12_GLOBAL__N_124unique_dim_cuda_templateIN3c108BFloat16EEESt5tupleIJNS8_6TensorESF_SF_EERKSF_lbbbEUlllE1_EE10hipError_tPvRmT2_T3_mT4_P12ihipStream_tbEUlT_E_NS1_11comp_targetILNS1_3genE4ELNS1_11target_archE910ELNS1_3gpuE8ELNS1_3repE0EEENS1_30default_config_static_selectorELNS0_4arch9wavefront6targetE1EEEvT1_,comdat
	.globl	_ZN7rocprim17ROCPRIM_400000_NS6detail17trampoline_kernelINS0_14default_configENS1_35adjacent_difference_config_selectorILb0ElEEZNS1_24adjacent_difference_implIS3_Lb0ELb0EPlS7_ZN2at6native12_GLOBAL__N_124unique_dim_cuda_templateIN3c108BFloat16EEESt5tupleIJNS8_6TensorESF_SF_EERKSF_lbbbEUlllE1_EE10hipError_tPvRmT2_T3_mT4_P12ihipStream_tbEUlT_E_NS1_11comp_targetILNS1_3genE4ELNS1_11target_archE910ELNS1_3gpuE8ELNS1_3repE0EEENS1_30default_config_static_selectorELNS0_4arch9wavefront6targetE1EEEvT1_ ; -- Begin function _ZN7rocprim17ROCPRIM_400000_NS6detail17trampoline_kernelINS0_14default_configENS1_35adjacent_difference_config_selectorILb0ElEEZNS1_24adjacent_difference_implIS3_Lb0ELb0EPlS7_ZN2at6native12_GLOBAL__N_124unique_dim_cuda_templateIN3c108BFloat16EEESt5tupleIJNS8_6TensorESF_SF_EERKSF_lbbbEUlllE1_EE10hipError_tPvRmT2_T3_mT4_P12ihipStream_tbEUlT_E_NS1_11comp_targetILNS1_3genE4ELNS1_11target_archE910ELNS1_3gpuE8ELNS1_3repE0EEENS1_30default_config_static_selectorELNS0_4arch9wavefront6targetE1EEEvT1_
	.p2align	8
	.type	_ZN7rocprim17ROCPRIM_400000_NS6detail17trampoline_kernelINS0_14default_configENS1_35adjacent_difference_config_selectorILb0ElEEZNS1_24adjacent_difference_implIS3_Lb0ELb0EPlS7_ZN2at6native12_GLOBAL__N_124unique_dim_cuda_templateIN3c108BFloat16EEESt5tupleIJNS8_6TensorESF_SF_EERKSF_lbbbEUlllE1_EE10hipError_tPvRmT2_T3_mT4_P12ihipStream_tbEUlT_E_NS1_11comp_targetILNS1_3genE4ELNS1_11target_archE910ELNS1_3gpuE8ELNS1_3repE0EEENS1_30default_config_static_selectorELNS0_4arch9wavefront6targetE1EEEvT1_,@function
_ZN7rocprim17ROCPRIM_400000_NS6detail17trampoline_kernelINS0_14default_configENS1_35adjacent_difference_config_selectorILb0ElEEZNS1_24adjacent_difference_implIS3_Lb0ELb0EPlS7_ZN2at6native12_GLOBAL__N_124unique_dim_cuda_templateIN3c108BFloat16EEESt5tupleIJNS8_6TensorESF_SF_EERKSF_lbbbEUlllE1_EE10hipError_tPvRmT2_T3_mT4_P12ihipStream_tbEUlT_E_NS1_11comp_targetILNS1_3genE4ELNS1_11target_archE910ELNS1_3gpuE8ELNS1_3repE0EEENS1_30default_config_static_selectorELNS0_4arch9wavefront6targetE1EEEvT1_: ; @_ZN7rocprim17ROCPRIM_400000_NS6detail17trampoline_kernelINS0_14default_configENS1_35adjacent_difference_config_selectorILb0ElEEZNS1_24adjacent_difference_implIS3_Lb0ELb0EPlS7_ZN2at6native12_GLOBAL__N_124unique_dim_cuda_templateIN3c108BFloat16EEESt5tupleIJNS8_6TensorESF_SF_EERKSF_lbbbEUlllE1_EE10hipError_tPvRmT2_T3_mT4_P12ihipStream_tbEUlT_E_NS1_11comp_targetILNS1_3genE4ELNS1_11target_archE910ELNS1_3gpuE8ELNS1_3repE0EEENS1_30default_config_static_selectorELNS0_4arch9wavefront6targetE1EEEvT1_
; %bb.0:
	s_load_dwordx8 s[8:15], s[4:5], 0x0
	s_load_dwordx4 s[16:19], s[4:5], 0x20
	s_load_dwordx2 s[0:1], s[4:5], 0x38
	s_waitcnt lgkmcnt(0)
	s_lshl_b64 s[10:11], s[10:11], 3
	s_add_u32 s24, s8, s10
	s_addc_u32 s25, s9, s11
	s_mov_b32 s9, 0
	s_lshl_b32 s8, s6, 9
	s_lshr_b64 s[2:3], s[14:15], 9
	s_and_b32 s4, s14, 0x1ff
	s_mov_b32 s5, s9
	s_cmp_lg_u64 s[4:5], 0
	s_cselect_b64 s[4:5], -1, 0
	v_cndmask_b32_e64 v1, 0, 1, s[4:5]
	v_readfirstlane_b32 s4, v1
	s_add_u32 s22, s2, s4
	s_addc_u32 s23, s3, 0
	s_add_u32 s26, s0, s6
	s_addc_u32 s27, s1, 0
	s_add_u32 s6, s22, -1
	s_addc_u32 s7, s23, -1
	v_pk_mov_b32 v[2:3], s[6:7], s[6:7] op_sel:[0,1]
	v_cmp_ge_u64_e64 s[0:1], s[26:27], v[2:3]
	s_mov_b64 s[2:3], -1
	s_and_b64 vcc, exec, s[0:1]
	s_cbranch_vccz .LBB1151_6
; %bb.1:
	s_lshl_b32 s2, s6, 9
	s_sub_i32 s15, s14, s2
	s_lshl_b64 s[2:3], s[8:9], 3
	s_add_u32 s2, s24, s2
	s_addc_u32 s3, s25, s3
	v_cmp_gt_u32_e32 vcc, s15, v0
                                        ; implicit-def: $vgpr2_vgpr3_vgpr4_vgpr5
	s_and_saveexec_b64 s[4:5], vcc
	s_cbranch_execz .LBB1151_3
; %bb.2:
	v_lshlrev_b32_e32 v1, 3, v0
	global_load_dwordx2 v[2:3], v1, s[2:3]
.LBB1151_3:
	s_or_b64 exec, exec, s[4:5]
	v_or_b32_e32 v1, 0x100, v0
	v_cmp_gt_u32_e32 vcc, s15, v1
	s_and_saveexec_b64 s[4:5], vcc
	s_cbranch_execz .LBB1151_5
; %bb.4:
	v_lshlrev_b32_e32 v4, 3, v0
	global_load_dwordx2 v[4:5], v4, s[2:3] offset:2048
.LBB1151_5:
	s_or_b64 exec, exec, s[4:5]
	v_lshrrev_b32_e32 v6, 2, v0
	v_lshrrev_b32_e32 v1, 2, v1
	v_and_b32_e32 v6, 56, v6
	v_lshlrev_b32_e32 v7, 3, v0
	v_and_b32_e32 v1, 0x78, v1
	v_add_u32_e32 v6, v6, v7
	v_add_u32_e32 v1, v1, v7
	s_mov_b64 s[2:3], 0
	s_waitcnt vmcnt(0)
	ds_write_b64 v6, v[2:3]
	ds_write_b64 v1, v[4:5] offset:2048
	s_waitcnt lgkmcnt(0)
	s_barrier
.LBB1151_6:
	s_and_b64 vcc, exec, s[2:3]
	v_lshlrev_b32_e32 v1, 3, v0
	s_cbranch_vccz .LBB1151_8
; %bb.7:
	s_lshl_b64 s[2:3], s[8:9], 3
	s_add_u32 s2, s24, s2
	s_addc_u32 s3, s25, s3
	global_load_dwordx2 v[2:3], v1, s[2:3]
	global_load_dwordx2 v[4:5], v1, s[2:3] offset:2048
	v_lshrrev_b32_e32 v6, 2, v0
	v_or_b32_e32 v7, 0x100, v0
	v_and_b32_e32 v6, 56, v6
	v_lshrrev_b32_e32 v7, 2, v7
	v_add_u32_e32 v6, v6, v1
	v_and_b32_e32 v7, 0x78, v7
	v_add_u32_e32 v7, v7, v1
	s_waitcnt vmcnt(1)
	ds_write_b64 v6, v[2:3]
	s_waitcnt vmcnt(0)
	ds_write_b64 v7, v[4:5] offset:2048
	s_waitcnt lgkmcnt(0)
	s_barrier
.LBB1151_8:
	v_lshlrev_b32_e32 v2, 1, v0
	v_lshrrev_b32_e32 v3, 4, v0
	v_add_lshl_u32 v2, v3, v2, 3
	ds_read2_b64 v[2:5], v2 offset1:1
	s_cmp_eq_u64 s[26:27], 0
	s_mov_b64 s[20:21], 0
	s_waitcnt lgkmcnt(0)
	s_barrier
	s_cbranch_scc1 .LBB1151_17
; %bb.9:
	s_lshl_b64 s[2:3], s[8:9], 3
	s_add_u32 s2, s24, s2
	s_addc_u32 s3, s25, s3
	s_add_u32 s2, s2, -8
	s_addc_u32 s3, s3, -1
	s_load_dwordx2 s[24:25], s[2:3], 0x0
	s_cmp_lg_u64 s[26:27], s[6:7]
	s_cbranch_scc0 .LBB1151_18
; %bb.10:
	v_cmp_lt_i64_e64 s[2:3], s[16:17], 1
	v_pk_mov_b32 v[8:9], 0, 0
	v_cmp_gt_i64_e64 s[20:21], s[16:17], 0
	s_and_b64 vcc, exec, s[2:3]
	ds_write_b64 v1, v[4:5]
	s_cbranch_vccnz .LBB1151_21
; %bb.11:
	v_mul_lo_u32 v8, v5, s16
	v_mul_lo_u32 v9, v4, s17
	v_mad_u64_u32 v[6:7], s[2:3], v4, s16, 0
	v_add3_u32 v7, v7, v9, v8
	v_mul_lo_u32 v10, v3, s16
	v_mul_lo_u32 v11, v2, s17
	v_mad_u64_u32 v[8:9], s[2:3], v2, s16, 0
	v_add3_u32 v9, v9, v11, v10
	v_lshlrev_b64 v[10:11], 1, v[6:7]
	v_mov_b32_e32 v6, s19
	v_add_co_u32_e32 v12, vcc, s18, v10
	v_addc_co_u32_e64 v13, s[2:3], v6, v11, vcc
	v_lshlrev_b64 v[6:7], 1, v[8:9]
	v_mov_b32_e32 v8, s19
	v_add_co_u32_e64 v14, s[2:3], s18, v6
	v_addc_co_u32_e64 v15, s[4:5], v8, v7, s[2:3]
	global_load_ushort v6, v[14:15], off
	global_load_ushort v8, v[12:13], off
	s_waitcnt vmcnt(1)
	v_lshlrev_b32_e32 v6, 16, v6
	s_waitcnt vmcnt(0)
	v_lshlrev_b32_e32 v8, 16, v8
	v_cmp_eq_f32_e64 s[4:5], v8, v6
	v_mov_b32_e32 v8, 1
	v_mov_b32_e32 v9, 0
	s_and_saveexec_b64 s[28:29], s[4:5]
	s_cbranch_execz .LBB1151_20
; %bb.12:
	v_mov_b32_e32 v6, s19
	v_addc_co_u32_e64 v7, s[2:3], v7, v6, s[2:3]
	v_add_co_u32_e64 v6, s[2:3], 2, v14
	v_mov_b32_e32 v8, s19
	v_addc_co_u32_e64 v7, s[2:3], 0, v7, s[2:3]
	v_addc_co_u32_e32 v9, vcc, v11, v8, vcc
	v_add_co_u32_e32 v8, vcc, 2, v12
	s_add_u32 s2, s16, -1
	v_addc_co_u32_e32 v9, vcc, 0, v9, vcc
	s_addc_u32 s3, s17, -1
	s_mov_b64 s[4:5], 0
	s_mov_b64 s[34:35], 0
                                        ; implicit-def: $sgpr30_sgpr31
	s_branch .LBB1151_15
.LBB1151_13:                            ;   in Loop: Header=BB1151_15 Depth=1
	global_load_ushort v10, v[6:7], off
	global_load_ushort v11, v[8:9], off
	v_add_co_u32_e32 v6, vcc, 2, v6
	v_addc_co_u32_e32 v7, vcc, 0, v7, vcc
	v_add_co_u32_e32 v8, vcc, 2, v8
	v_addc_co_u32_e32 v9, vcc, 0, v9, vcc
	s_add_u32 s34, s34, 1
	s_addc_u32 s35, s35, 0
	s_andn2_b64 s[30:31], s[30:31], exec
	s_waitcnt vmcnt(1)
	v_lshlrev_b32_e32 v10, 16, v10
	s_waitcnt vmcnt(0)
	v_lshlrev_b32_e32 v11, 16, v11
	v_cmp_neq_f32_e32 vcc, v11, v10
	s_and_b64 s[36:37], vcc, exec
	s_or_b64 s[30:31], s[30:31], s[36:37]
.LBB1151_14:                            ;   in Loop: Header=BB1151_15 Depth=1
	s_and_b64 s[36:37], exec, s[30:31]
	s_or_b64 s[4:5], s[36:37], s[4:5]
	v_pk_mov_b32 v[10:11], s[34:35], s[34:35] op_sel:[0,1]
	s_andn2_b64 exec, exec, s[4:5]
	s_cbranch_execz .LBB1151_19
.LBB1151_15:                            ; =>This Inner Loop Header: Depth=1
	s_or_b64 s[30:31], s[30:31], exec
	s_cmp_eq_u64 s[2:3], s[34:35]
	s_cbranch_scc0 .LBB1151_13
; %bb.16:                               ;   in Loop: Header=BB1151_15 Depth=1
                                        ; implicit-def: $vgpr6_vgpr7
                                        ; implicit-def: $vgpr8_vgpr9
	s_mov_b64 s[34:35], s[16:17]
	s_branch .LBB1151_14
.LBB1151_17:
                                        ; implicit-def: $sgpr28_sgpr29
                                        ; implicit-def: $vgpr8_vgpr9
	s_cbranch_execnz .LBB1151_60
	s_branch .LBB1151_108
.LBB1151_18:
                                        ; implicit-def: $sgpr28_sgpr29
                                        ; implicit-def: $vgpr8_vgpr9
	s_cbranch_execnz .LBB1151_33
	s_branch .LBB1151_59
.LBB1151_19:
	s_or_b64 exec, exec, s[4:5]
	v_cmp_gt_i64_e32 vcc, s[16:17], v[10:11]
	s_mov_b32 s2, 0
	v_cndmask_b32_e64 v8, 0, 1, vcc
	v_mov_b32_e32 v9, s2
.LBB1151_20:
	s_or_b64 exec, exec, s[28:29]
.LBB1151_21:
	v_cmp_ne_u32_e32 vcc, 0, v0
	s_waitcnt lgkmcnt(0)
	v_pk_mov_b32 v[6:7], s[24:25], s[24:25] op_sel:[0,1]
	s_barrier
	s_and_saveexec_b64 s[2:3], vcc
	s_cbranch_execz .LBB1151_23
; %bb.22:
	v_add_u32_e32 v6, -8, v1
	ds_read_b64 v[6:7], v6
.LBB1151_23:
	s_or_b64 exec, exec, s[2:3]
	s_mov_b64 s[30:31], 0
	s_andn2_b64 vcc, exec, s[20:21]
	s_mov_b64 s[28:29], 0
	s_cbranch_vccnz .LBB1151_32
; %bb.24:
	v_mul_lo_u32 v12, v3, s16
	v_mul_lo_u32 v13, v2, s17
	v_mad_u64_u32 v[10:11], s[2:3], v2, s16, 0
	v_add3_u32 v11, v11, v13, v12
	s_waitcnt lgkmcnt(0)
	v_mul_lo_u32 v12, v7, s16
	v_mul_lo_u32 v13, v6, s17
	v_mad_u64_u32 v[6:7], s[2:3], v6, s16, 0
	v_lshlrev_b64 v[10:11], 1, v[10:11]
	v_add3_u32 v7, v7, v13, v12
	v_mov_b32_e32 v13, s19
	v_add_co_u32_e32 v12, vcc, s18, v10
	v_addc_co_u32_e64 v13, s[2:3], v13, v11, vcc
	v_lshlrev_b64 v[6:7], 1, v[6:7]
	v_mov_b32_e32 v10, s19
	v_add_co_u32_e64 v14, s[2:3], s18, v6
	v_addc_co_u32_e64 v15, s[4:5], v10, v7, s[2:3]
	global_load_ushort v6, v[14:15], off
	global_load_ushort v10, v[12:13], off
	s_mov_b64 s[28:29], -1
	s_waitcnt vmcnt(1)
	v_lshlrev_b32_e32 v6, 16, v6
	s_waitcnt vmcnt(0)
	v_lshlrev_b32_e32 v10, 16, v10
	v_cmp_eq_f32_e64 s[4:5], v10, v6
	s_and_saveexec_b64 s[20:21], s[4:5]
	s_cbranch_execz .LBB1151_31
; %bb.25:
	v_mov_b32_e32 v6, s19
	v_addc_co_u32_e64 v7, s[2:3], v7, v6, s[2:3]
	v_add_co_u32_e64 v6, s[2:3], 2, v14
	v_mov_b32_e32 v10, s19
	v_addc_co_u32_e64 v7, s[2:3], 0, v7, s[2:3]
	v_addc_co_u32_e32 v11, vcc, v11, v10, vcc
	v_add_co_u32_e32 v10, vcc, 2, v12
	s_add_u32 s2, s16, -1
	v_addc_co_u32_e32 v11, vcc, 0, v11, vcc
	s_addc_u32 s3, s17, -1
	s_mov_b64 s[4:5], 0
	s_mov_b64 s[34:35], 0
                                        ; implicit-def: $sgpr28_sgpr29
	s_branch .LBB1151_28
.LBB1151_26:                            ;   in Loop: Header=BB1151_28 Depth=1
	global_load_ushort v12, v[6:7], off
	global_load_ushort v13, v[10:11], off
	v_add_co_u32_e32 v6, vcc, 2, v6
	v_addc_co_u32_e32 v7, vcc, 0, v7, vcc
	v_add_co_u32_e32 v10, vcc, 2, v10
	v_addc_co_u32_e32 v11, vcc, 0, v11, vcc
	s_add_u32 s34, s34, 1
	s_addc_u32 s35, s35, 0
	s_andn2_b64 s[28:29], s[28:29], exec
	s_waitcnt vmcnt(1)
	v_lshlrev_b32_e32 v12, 16, v12
	s_waitcnt vmcnt(0)
	v_lshlrev_b32_e32 v13, 16, v13
	v_cmp_neq_f32_e32 vcc, v13, v12
	s_and_b64 s[36:37], vcc, exec
	s_or_b64 s[28:29], s[28:29], s[36:37]
.LBB1151_27:                            ;   in Loop: Header=BB1151_28 Depth=1
	s_and_b64 s[36:37], exec, s[28:29]
	s_or_b64 s[4:5], s[36:37], s[4:5]
	v_pk_mov_b32 v[12:13], s[34:35], s[34:35] op_sel:[0,1]
	s_andn2_b64 exec, exec, s[4:5]
	s_cbranch_execz .LBB1151_30
.LBB1151_28:                            ; =>This Inner Loop Header: Depth=1
	s_or_b64 s[28:29], s[28:29], exec
	s_cmp_eq_u64 s[2:3], s[34:35]
	s_cbranch_scc0 .LBB1151_26
; %bb.29:                               ;   in Loop: Header=BB1151_28 Depth=1
                                        ; implicit-def: $vgpr6_vgpr7
                                        ; implicit-def: $vgpr10_vgpr11
	s_mov_b64 s[34:35], s[16:17]
	s_branch .LBB1151_27
.LBB1151_30:
	s_or_b64 exec, exec, s[4:5]
	v_cmp_gt_i64_e32 vcc, s[16:17], v[12:13]
	s_orn2_b64 s[28:29], vcc, exec
.LBB1151_31:
	s_or_b64 exec, exec, s[20:21]
.LBB1151_32:
	s_mov_b64 s[20:21], -1
	s_and_b64 vcc, exec, s[30:31]
	s_cbranch_vccz .LBB1151_59
.LBB1151_33:
	s_lshl_b32 s2, s26, 9
	v_lshlrev_b32_e32 v16, 1, v0
	s_sub_i32 s7, s14, s2
	s_waitcnt lgkmcnt(0)
	v_or_b32_e32 v6, 1, v16
	v_cmp_gt_u32_e32 vcc, s7, v6
	v_pk_mov_b32 v[8:9], v[4:5], v[4:5] op_sel:[0,1]
	ds_write_b64 v1, v[4:5]
	v_pk_mov_b32 v[6:7], v[2:3], v[2:3] op_sel:[0,1]
	s_and_saveexec_b64 s[26:27], vcc
	s_cbranch_execz .LBB1151_44
; %bb.34:
	v_cmp_lt_i64_e64 s[2:3], s[16:17], 1
	s_and_b64 vcc, exec, s[2:3]
	s_cbranch_vccnz .LBB1151_41
; %bb.35:
	v_mul_lo_u32 v8, v5, s16
	v_mul_lo_u32 v9, v4, s17
	v_mad_u64_u32 v[6:7], s[2:3], v4, s16, 0
	v_add3_u32 v7, v7, v9, v8
	v_mul_lo_u32 v10, v3, s16
	v_mul_lo_u32 v11, v2, s17
	v_mad_u64_u32 v[8:9], s[2:3], v2, s16, 0
	v_add3_u32 v9, v9, v11, v10
	v_lshlrev_b64 v[10:11], 1, v[6:7]
	v_mov_b32_e32 v6, s19
	v_add_co_u32_e32 v12, vcc, s18, v10
	v_addc_co_u32_e64 v13, s[2:3], v6, v11, vcc
	v_lshlrev_b64 v[6:7], 1, v[8:9]
	v_mov_b32_e32 v8, s19
	v_add_co_u32_e64 v14, s[2:3], s18, v6
	v_addc_co_u32_e64 v15, s[4:5], v8, v7, s[2:3]
	global_load_ushort v6, v[14:15], off
	global_load_ushort v8, v[12:13], off
	s_waitcnt vmcnt(1)
	v_lshlrev_b32_e32 v6, 16, v6
	s_waitcnt vmcnt(0)
	v_lshlrev_b32_e32 v8, 16, v8
	v_cmp_eq_f32_e64 s[4:5], v8, v6
	v_mov_b32_e32 v8, 1
	v_mov_b32_e32 v9, 0
	s_and_saveexec_b64 s[28:29], s[4:5]
	s_cbranch_execz .LBB1151_43
; %bb.36:
	v_mov_b32_e32 v6, s19
	v_addc_co_u32_e64 v7, s[2:3], v7, v6, s[2:3]
	v_add_co_u32_e64 v6, s[2:3], 2, v14
	v_mov_b32_e32 v8, s19
	v_addc_co_u32_e64 v7, s[2:3], 0, v7, s[2:3]
	v_addc_co_u32_e32 v9, vcc, v11, v8, vcc
	v_add_co_u32_e32 v8, vcc, 2, v12
	s_add_u32 s2, s16, -1
	v_addc_co_u32_e32 v9, vcc, 0, v9, vcc
	s_addc_u32 s3, s17, -1
	s_mov_b64 s[4:5], 0
	s_mov_b64 s[34:35], 0
                                        ; implicit-def: $sgpr30_sgpr31
	s_branch .LBB1151_39
.LBB1151_37:                            ;   in Loop: Header=BB1151_39 Depth=1
	global_load_ushort v10, v[6:7], off
	global_load_ushort v11, v[8:9], off
	v_add_co_u32_e32 v6, vcc, 2, v6
	v_addc_co_u32_e32 v7, vcc, 0, v7, vcc
	v_add_co_u32_e32 v8, vcc, 2, v8
	v_addc_co_u32_e32 v9, vcc, 0, v9, vcc
	s_add_u32 s34, s34, 1
	s_addc_u32 s35, s35, 0
	s_andn2_b64 s[30:31], s[30:31], exec
	s_waitcnt vmcnt(1)
	v_lshlrev_b32_e32 v10, 16, v10
	s_waitcnt vmcnt(0)
	v_lshlrev_b32_e32 v11, 16, v11
	v_cmp_neq_f32_e32 vcc, v11, v10
	s_and_b64 s[36:37], vcc, exec
	s_or_b64 s[30:31], s[30:31], s[36:37]
.LBB1151_38:                            ;   in Loop: Header=BB1151_39 Depth=1
	s_and_b64 s[36:37], exec, s[30:31]
	s_or_b64 s[4:5], s[36:37], s[4:5]
	v_pk_mov_b32 v[10:11], s[34:35], s[34:35] op_sel:[0,1]
	s_andn2_b64 exec, exec, s[4:5]
	s_cbranch_execz .LBB1151_42
.LBB1151_39:                            ; =>This Inner Loop Header: Depth=1
	s_or_b64 s[30:31], s[30:31], exec
	s_cmp_eq_u64 s[2:3], s[34:35]
	s_cbranch_scc0 .LBB1151_37
; %bb.40:                               ;   in Loop: Header=BB1151_39 Depth=1
                                        ; implicit-def: $vgpr6_vgpr7
                                        ; implicit-def: $vgpr8_vgpr9
	s_mov_b64 s[34:35], s[16:17]
	s_branch .LBB1151_38
.LBB1151_41:
	v_pk_mov_b32 v[8:9], 0, 0
	s_branch .LBB1151_44
.LBB1151_42:
	s_or_b64 exec, exec, s[4:5]
	v_cmp_gt_i64_e32 vcc, s[16:17], v[10:11]
	s_mov_b32 s2, 0
	v_cndmask_b32_e64 v8, 0, 1, vcc
	v_mov_b32_e32 v9, s2
.LBB1151_43:
	s_or_b64 exec, exec, s[28:29]
.LBB1151_44:
	s_or_b64 exec, exec, s[26:27]
	v_cmp_ne_u32_e32 vcc, 0, v0
	v_pk_mov_b32 v[6:7], s[24:25], s[24:25] op_sel:[0,1]
	s_waitcnt lgkmcnt(0)
	s_barrier
	s_and_saveexec_b64 s[2:3], vcc
	s_cbranch_execz .LBB1151_46
; %bb.45:
	v_add_u32_e32 v6, -8, v1
	ds_read_b64 v[6:7], v6
.LBB1151_46:
	s_or_b64 exec, exec, s[2:3]
	v_cmp_gt_u32_e32 vcc, s7, v16
                                        ; implicit-def: $sgpr28_sgpr29
	s_and_saveexec_b64 s[24:25], vcc
	s_cbranch_execz .LBB1151_58
; %bb.47:
	v_cmp_lt_i64_e64 s[2:3], s[16:17], 1
	s_and_b64 vcc, exec, s[2:3]
	s_cbranch_vccnz .LBB1151_54
; %bb.48:
	v_mul_lo_u32 v12, v3, s16
	v_mul_lo_u32 v13, v2, s17
	v_mad_u64_u32 v[10:11], s[2:3], v2, s16, 0
	v_add3_u32 v11, v11, v13, v12
	s_waitcnt lgkmcnt(0)
	v_mul_lo_u32 v12, v7, s16
	v_mul_lo_u32 v13, v6, s17
	v_mad_u64_u32 v[6:7], s[2:3], v6, s16, 0
	v_lshlrev_b64 v[10:11], 1, v[10:11]
	v_add3_u32 v7, v7, v13, v12
	v_mov_b32_e32 v13, s19
	v_add_co_u32_e32 v12, vcc, s18, v10
	v_addc_co_u32_e64 v13, s[2:3], v13, v11, vcc
	v_lshlrev_b64 v[6:7], 1, v[6:7]
	v_mov_b32_e32 v10, s19
	v_add_co_u32_e64 v14, s[2:3], s18, v6
	v_addc_co_u32_e64 v15, s[4:5], v10, v7, s[2:3]
	global_load_ushort v6, v[14:15], off
	global_load_ushort v10, v[12:13], off
	s_mov_b64 s[28:29], -1
	s_waitcnt vmcnt(1)
	v_lshlrev_b32_e32 v6, 16, v6
	s_waitcnt vmcnt(0)
	v_lshlrev_b32_e32 v10, 16, v10
	v_cmp_eq_f32_e64 s[4:5], v10, v6
	s_and_saveexec_b64 s[26:27], s[4:5]
	s_cbranch_execz .LBB1151_56
; %bb.49:
	v_mov_b32_e32 v6, s19
	v_addc_co_u32_e64 v7, s[2:3], v7, v6, s[2:3]
	v_add_co_u32_e64 v6, s[2:3], 2, v14
	v_mov_b32_e32 v10, s19
	v_addc_co_u32_e64 v7, s[2:3], 0, v7, s[2:3]
	v_addc_co_u32_e32 v11, vcc, v11, v10, vcc
	v_add_co_u32_e32 v10, vcc, 2, v12
	s_add_u32 s2, s16, -1
	v_addc_co_u32_e32 v11, vcc, 0, v11, vcc
	s_addc_u32 s3, s17, -1
	s_mov_b64 s[4:5], 0
	s_mov_b64 s[30:31], 0
                                        ; implicit-def: $sgpr28_sgpr29
	s_branch .LBB1151_52
.LBB1151_50:                            ;   in Loop: Header=BB1151_52 Depth=1
	global_load_ushort v12, v[6:7], off
	global_load_ushort v13, v[10:11], off
	v_add_co_u32_e32 v6, vcc, 2, v6
	v_addc_co_u32_e32 v7, vcc, 0, v7, vcc
	v_add_co_u32_e32 v10, vcc, 2, v10
	v_addc_co_u32_e32 v11, vcc, 0, v11, vcc
	s_add_u32 s30, s30, 1
	s_addc_u32 s31, s31, 0
	s_andn2_b64 s[28:29], s[28:29], exec
	s_waitcnt vmcnt(1)
	v_lshlrev_b32_e32 v12, 16, v12
	s_waitcnt vmcnt(0)
	v_lshlrev_b32_e32 v13, 16, v13
	v_cmp_neq_f32_e32 vcc, v13, v12
	s_and_b64 s[34:35], vcc, exec
	s_or_b64 s[28:29], s[28:29], s[34:35]
.LBB1151_51:                            ;   in Loop: Header=BB1151_52 Depth=1
	s_and_b64 s[34:35], exec, s[28:29]
	s_or_b64 s[4:5], s[34:35], s[4:5]
	v_pk_mov_b32 v[12:13], s[30:31], s[30:31] op_sel:[0,1]
	s_andn2_b64 exec, exec, s[4:5]
	s_cbranch_execz .LBB1151_55
.LBB1151_52:                            ; =>This Inner Loop Header: Depth=1
	s_or_b64 s[28:29], s[28:29], exec
	s_cmp_eq_u64 s[2:3], s[30:31]
	s_cbranch_scc0 .LBB1151_50
; %bb.53:                               ;   in Loop: Header=BB1151_52 Depth=1
                                        ; implicit-def: $vgpr6_vgpr7
                                        ; implicit-def: $vgpr10_vgpr11
	s_mov_b64 s[30:31], s[16:17]
	s_branch .LBB1151_51
.LBB1151_54:
	s_mov_b64 s[28:29], 0
	s_branch .LBB1151_57
.LBB1151_55:
	s_or_b64 exec, exec, s[4:5]
	v_cmp_gt_i64_e32 vcc, s[16:17], v[12:13]
	s_orn2_b64 s[28:29], vcc, exec
.LBB1151_56:
	s_or_b64 exec, exec, s[26:27]
.LBB1151_57:
	s_and_b64 s[28:29], s[28:29], exec
	s_or_b64 s[20:21], s[20:21], exec
.LBB1151_58:
	s_or_b64 exec, exec, s[24:25]
.LBB1151_59:
	s_branch .LBB1151_108
.LBB1151_60:
	s_cmp_lg_u64 s[22:23], 1
	s_cbranch_scc0 .LBB1151_68
; %bb.61:
	v_cmp_lt_i64_e64 s[2:3], s[16:17], 1
	v_pk_mov_b32 v[8:9], 0, 0
	s_waitcnt lgkmcnt(0)
	v_cmp_gt_i64_e64 s[24:25], s[16:17], 0
	s_and_b64 vcc, exec, s[2:3]
	ds_write_b64 v1, v[4:5]
	s_cbranch_vccnz .LBB1151_71
; %bb.62:
	v_mul_lo_u32 v8, v5, s16
	v_mul_lo_u32 v9, v4, s17
	v_mad_u64_u32 v[6:7], s[2:3], v4, s16, 0
	v_add3_u32 v7, v7, v9, v8
	v_mul_lo_u32 v10, v3, s16
	v_mul_lo_u32 v11, v2, s17
	v_mad_u64_u32 v[8:9], s[2:3], v2, s16, 0
	v_add3_u32 v9, v9, v11, v10
	v_lshlrev_b64 v[10:11], 1, v[6:7]
	v_mov_b32_e32 v6, s19
	v_add_co_u32_e32 v12, vcc, s18, v10
	v_addc_co_u32_e64 v13, s[2:3], v6, v11, vcc
	v_lshlrev_b64 v[6:7], 1, v[8:9]
	v_mov_b32_e32 v8, s19
	v_add_co_u32_e64 v14, s[2:3], s18, v6
	v_addc_co_u32_e64 v15, s[4:5], v8, v7, s[2:3]
	global_load_ushort v6, v[14:15], off
	global_load_ushort v8, v[12:13], off
	s_waitcnt vmcnt(1)
	v_lshlrev_b32_e32 v6, 16, v6
	s_waitcnt vmcnt(0)
	v_lshlrev_b32_e32 v8, 16, v8
	v_cmp_eq_f32_e64 s[4:5], v8, v6
	v_mov_b32_e32 v8, 1
	v_mov_b32_e32 v9, 0
	s_and_saveexec_b64 s[22:23], s[4:5]
	s_cbranch_execz .LBB1151_70
; %bb.63:
	v_mov_b32_e32 v6, s19
	v_addc_co_u32_e64 v7, s[2:3], v7, v6, s[2:3]
	v_add_co_u32_e64 v6, s[2:3], 2, v14
	v_mov_b32_e32 v8, s19
	v_addc_co_u32_e64 v7, s[2:3], 0, v7, s[2:3]
	v_addc_co_u32_e32 v9, vcc, v11, v8, vcc
	v_add_co_u32_e32 v8, vcc, 2, v12
	s_add_u32 s2, s16, -1
	v_addc_co_u32_e32 v9, vcc, 0, v9, vcc
	s_addc_u32 s3, s17, -1
	s_mov_b64 s[4:5], 0
	s_mov_b64 s[28:29], 0
                                        ; implicit-def: $sgpr26_sgpr27
	s_branch .LBB1151_66
.LBB1151_64:                            ;   in Loop: Header=BB1151_66 Depth=1
	global_load_ushort v10, v[6:7], off
	global_load_ushort v11, v[8:9], off
	v_add_co_u32_e32 v6, vcc, 2, v6
	v_addc_co_u32_e32 v7, vcc, 0, v7, vcc
	v_add_co_u32_e32 v8, vcc, 2, v8
	v_addc_co_u32_e32 v9, vcc, 0, v9, vcc
	s_add_u32 s28, s28, 1
	s_addc_u32 s29, s29, 0
	s_andn2_b64 s[26:27], s[26:27], exec
	s_waitcnt vmcnt(1)
	v_lshlrev_b32_e32 v10, 16, v10
	s_waitcnt vmcnt(0)
	v_lshlrev_b32_e32 v11, 16, v11
	v_cmp_neq_f32_e32 vcc, v11, v10
	s_and_b64 s[30:31], vcc, exec
	s_or_b64 s[26:27], s[26:27], s[30:31]
.LBB1151_65:                            ;   in Loop: Header=BB1151_66 Depth=1
	s_and_b64 s[30:31], exec, s[26:27]
	s_or_b64 s[4:5], s[30:31], s[4:5]
	v_pk_mov_b32 v[10:11], s[28:29], s[28:29] op_sel:[0,1]
	s_andn2_b64 exec, exec, s[4:5]
	s_cbranch_execz .LBB1151_69
.LBB1151_66:                            ; =>This Inner Loop Header: Depth=1
	s_or_b64 s[26:27], s[26:27], exec
	s_cmp_eq_u64 s[2:3], s[28:29]
	s_cbranch_scc0 .LBB1151_64
; %bb.67:                               ;   in Loop: Header=BB1151_66 Depth=1
                                        ; implicit-def: $vgpr6_vgpr7
                                        ; implicit-def: $vgpr8_vgpr9
	s_mov_b64 s[28:29], s[16:17]
	s_branch .LBB1151_65
.LBB1151_68:
                                        ; implicit-def: $sgpr28_sgpr29
                                        ; implicit-def: $vgpr8_vgpr9
	s_cbranch_execnz .LBB1151_84
	s_branch .LBB1151_108
.LBB1151_69:
	s_or_b64 exec, exec, s[4:5]
	v_cmp_gt_i64_e32 vcc, s[16:17], v[10:11]
	s_mov_b32 s2, 0
	v_cndmask_b32_e64 v8, 0, 1, vcc
	v_mov_b32_e32 v9, s2
.LBB1151_70:
	s_or_b64 exec, exec, s[22:23]
.LBB1151_71:
	v_cmp_ne_u32_e32 vcc, 0, v0
	s_waitcnt lgkmcnt(0)
	s_barrier
	s_waitcnt lgkmcnt(0)
                                        ; implicit-def: $sgpr28_sgpr29
	s_and_saveexec_b64 s[22:23], vcc
	s_cbranch_execz .LBB1151_83
; %bb.72:
	s_andn2_b64 vcc, exec, s[24:25]
	s_cbranch_vccnz .LBB1151_79
; %bb.73:
	v_add_u32_e32 v6, -8, v1
	ds_read_b64 v[6:7], v6
	v_mul_lo_u32 v12, v3, s16
	v_mul_lo_u32 v13, v2, s17
	v_mad_u64_u32 v[10:11], s[2:3], v2, s16, 0
	v_add3_u32 v11, v11, v13, v12
	s_waitcnt lgkmcnt(0)
	v_mul_lo_u32 v12, v7, s16
	v_mul_lo_u32 v13, v6, s17
	v_mad_u64_u32 v[6:7], s[2:3], v6, s16, 0
	v_lshlrev_b64 v[10:11], 1, v[10:11]
	v_add3_u32 v7, v7, v13, v12
	v_mov_b32_e32 v13, s19
	v_add_co_u32_e32 v12, vcc, s18, v10
	v_addc_co_u32_e64 v13, s[2:3], v13, v11, vcc
	v_lshlrev_b64 v[6:7], 1, v[6:7]
	v_mov_b32_e32 v10, s19
	v_add_co_u32_e64 v14, s[2:3], s18, v6
	v_addc_co_u32_e64 v15, s[4:5], v10, v7, s[2:3]
	global_load_ushort v6, v[12:13], off
	global_load_ushort v10, v[14:15], off
	s_mov_b64 s[26:27], -1
	s_waitcnt vmcnt(1)
	v_lshlrev_b32_e32 v6, 16, v6
	s_waitcnt vmcnt(0)
	v_lshlrev_b32_e32 v10, 16, v10
	v_cmp_eq_f32_e64 s[4:5], v6, v10
	s_and_saveexec_b64 s[24:25], s[4:5]
	s_cbranch_execz .LBB1151_81
; %bb.74:
	v_mov_b32_e32 v6, s19
	v_addc_co_u32_e64 v7, s[2:3], v7, v6, s[2:3]
	v_add_co_u32_e64 v6, s[2:3], 2, v14
	v_mov_b32_e32 v10, s19
	v_addc_co_u32_e64 v7, s[2:3], 0, v7, s[2:3]
	v_addc_co_u32_e32 v11, vcc, v11, v10, vcc
	v_add_co_u32_e32 v10, vcc, 2, v12
	s_add_u32 s2, s16, -1
	v_addc_co_u32_e32 v11, vcc, 0, v11, vcc
	s_addc_u32 s3, s17, -1
	s_mov_b64 s[4:5], 0
	s_mov_b64 s[28:29], 0
                                        ; implicit-def: $sgpr26_sgpr27
	s_branch .LBB1151_77
.LBB1151_75:                            ;   in Loop: Header=BB1151_77 Depth=1
	global_load_ushort v12, v[6:7], off
	global_load_ushort v13, v[10:11], off
	v_add_co_u32_e32 v6, vcc, 2, v6
	v_addc_co_u32_e32 v7, vcc, 0, v7, vcc
	v_add_co_u32_e32 v10, vcc, 2, v10
	v_addc_co_u32_e32 v11, vcc, 0, v11, vcc
	s_add_u32 s28, s28, 1
	s_addc_u32 s29, s29, 0
	s_andn2_b64 s[26:27], s[26:27], exec
	s_waitcnt vmcnt(1)
	v_lshlrev_b32_e32 v12, 16, v12
	s_waitcnt vmcnt(0)
	v_lshlrev_b32_e32 v13, 16, v13
	v_cmp_neq_f32_e32 vcc, v13, v12
	s_and_b64 s[30:31], vcc, exec
	s_or_b64 s[26:27], s[26:27], s[30:31]
.LBB1151_76:                            ;   in Loop: Header=BB1151_77 Depth=1
	s_and_b64 s[30:31], exec, s[26:27]
	s_or_b64 s[4:5], s[30:31], s[4:5]
	v_pk_mov_b32 v[12:13], s[28:29], s[28:29] op_sel:[0,1]
	s_andn2_b64 exec, exec, s[4:5]
	s_cbranch_execz .LBB1151_80
.LBB1151_77:                            ; =>This Inner Loop Header: Depth=1
	s_or_b64 s[26:27], s[26:27], exec
	s_cmp_eq_u64 s[2:3], s[28:29]
	s_cbranch_scc0 .LBB1151_75
; %bb.78:                               ;   in Loop: Header=BB1151_77 Depth=1
                                        ; implicit-def: $vgpr6_vgpr7
                                        ; implicit-def: $vgpr10_vgpr11
	s_mov_b64 s[28:29], s[16:17]
	s_branch .LBB1151_76
.LBB1151_79:
	s_mov_b64 s[26:27], 0
	s_branch .LBB1151_82
.LBB1151_80:
	s_or_b64 exec, exec, s[4:5]
	v_cmp_gt_i64_e32 vcc, s[16:17], v[12:13]
	s_orn2_b64 s[26:27], vcc, exec
.LBB1151_81:
	s_or_b64 exec, exec, s[24:25]
.LBB1151_82:
	s_and_b64 s[28:29], s[26:27], exec
	s_or_b64 s[20:21], s[20:21], exec
.LBB1151_83:
	s_or_b64 exec, exec, s[22:23]
	s_branch .LBB1151_108
.LBB1151_84:
	v_lshlrev_b32_e32 v14, 1, v0
	s_waitcnt lgkmcnt(0)
	v_or_b32_e32 v6, 1, v14
	v_cmp_gt_u32_e32 vcc, s14, v6
	v_cmp_lt_i64_e64 s[22:23], s[16:17], 1
	v_pk_mov_b32 v[8:9], v[4:5], v[4:5] op_sel:[0,1]
	ds_write_b64 v1, v[4:5]
	v_pk_mov_b32 v[6:7], v[2:3], v[2:3] op_sel:[0,1]
	s_and_saveexec_b64 s[24:25], vcc
	s_cbranch_execz .LBB1151_95
; %bb.85:
	s_and_b64 vcc, exec, s[22:23]
	s_cbranch_vccnz .LBB1151_92
; %bb.86:
	v_mul_lo_u32 v6, v5, s16
	v_mul_lo_u32 v7, v4, s17
	v_mad_u64_u32 v[4:5], s[2:3], v4, s16, 0
	v_add3_u32 v5, v5, v7, v6
	v_mul_lo_u32 v6, v3, s16
	v_mul_lo_u32 v7, v2, s17
	v_mad_u64_u32 v[8:9], s[2:3], v2, s16, 0
	v_add3_u32 v9, v9, v7, v6
	v_lshlrev_b64 v[6:7], 1, v[4:5]
	v_mov_b32_e32 v4, s19
	v_add_co_u32_e32 v10, vcc, s18, v6
	v_addc_co_u32_e64 v11, s[2:3], v4, v7, vcc
	v_lshlrev_b64 v[4:5], 1, v[8:9]
	v_mov_b32_e32 v6, s19
	v_add_co_u32_e64 v12, s[2:3], s18, v4
	v_addc_co_u32_e64 v13, s[4:5], v6, v5, s[2:3]
	global_load_ushort v4, v[12:13], off
	global_load_ushort v6, v[10:11], off
	v_mov_b32_e32 v8, 1
	v_mov_b32_e32 v9, 0
	s_waitcnt vmcnt(1)
	v_lshlrev_b32_e32 v4, 16, v4
	s_waitcnt vmcnt(0)
	v_lshlrev_b32_e32 v6, 16, v6
	v_cmp_eq_f32_e64 s[4:5], v6, v4
	s_and_saveexec_b64 s[26:27], s[4:5]
	s_cbranch_execz .LBB1151_94
; %bb.87:
	v_mov_b32_e32 v4, s19
	v_addc_co_u32_e64 v5, s[2:3], v5, v4, s[2:3]
	v_add_co_u32_e64 v4, s[2:3], 2, v12
	v_mov_b32_e32 v6, s19
	v_addc_co_u32_e64 v5, s[2:3], 0, v5, s[2:3]
	v_addc_co_u32_e32 v7, vcc, v7, v6, vcc
	v_add_co_u32_e32 v6, vcc, 2, v10
	s_add_u32 s2, s16, -1
	v_addc_co_u32_e32 v7, vcc, 0, v7, vcc
	s_addc_u32 s3, s17, -1
	s_mov_b64 s[4:5], 0
	s_mov_b64 s[30:31], 0
                                        ; implicit-def: $sgpr28_sgpr29
	s_branch .LBB1151_90
.LBB1151_88:                            ;   in Loop: Header=BB1151_90 Depth=1
	global_load_ushort v8, v[4:5], off
	global_load_ushort v9, v[6:7], off
	v_add_co_u32_e32 v4, vcc, 2, v4
	v_addc_co_u32_e32 v5, vcc, 0, v5, vcc
	v_add_co_u32_e32 v6, vcc, 2, v6
	v_addc_co_u32_e32 v7, vcc, 0, v7, vcc
	s_add_u32 s30, s30, 1
	s_addc_u32 s31, s31, 0
	s_andn2_b64 s[28:29], s[28:29], exec
	s_waitcnt vmcnt(1)
	v_lshlrev_b32_e32 v8, 16, v8
	s_waitcnt vmcnt(0)
	v_lshlrev_b32_e32 v9, 16, v9
	v_cmp_neq_f32_e32 vcc, v9, v8
	s_and_b64 s[34:35], vcc, exec
	s_or_b64 s[28:29], s[28:29], s[34:35]
.LBB1151_89:                            ;   in Loop: Header=BB1151_90 Depth=1
	s_and_b64 s[34:35], exec, s[28:29]
	s_or_b64 s[4:5], s[34:35], s[4:5]
	v_pk_mov_b32 v[8:9], s[30:31], s[30:31] op_sel:[0,1]
	s_andn2_b64 exec, exec, s[4:5]
	s_cbranch_execz .LBB1151_93
.LBB1151_90:                            ; =>This Inner Loop Header: Depth=1
	s_or_b64 s[28:29], s[28:29], exec
	s_cmp_eq_u64 s[2:3], s[30:31]
	s_cbranch_scc0 .LBB1151_88
; %bb.91:                               ;   in Loop: Header=BB1151_90 Depth=1
                                        ; implicit-def: $vgpr4_vgpr5
                                        ; implicit-def: $vgpr6_vgpr7
	s_mov_b64 s[30:31], s[16:17]
	s_branch .LBB1151_89
.LBB1151_92:
	v_pk_mov_b32 v[8:9], 0, 0
	s_branch .LBB1151_95
.LBB1151_93:
	s_or_b64 exec, exec, s[4:5]
	v_cmp_gt_i64_e32 vcc, s[16:17], v[8:9]
	s_mov_b32 s2, 0
	v_cndmask_b32_e64 v8, 0, 1, vcc
	v_mov_b32_e32 v9, s2
.LBB1151_94:
	s_or_b64 exec, exec, s[26:27]
.LBB1151_95:
	s_or_b64 exec, exec, s[24:25]
	v_cmp_ne_u32_e32 vcc, 0, v0
	v_cmp_gt_u32_e64 s[2:3], s14, v14
	s_and_b64 s[2:3], vcc, s[2:3]
	s_waitcnt lgkmcnt(0)
	s_barrier
	s_waitcnt lgkmcnt(0)
                                        ; implicit-def: $sgpr28_sgpr29
	s_and_saveexec_b64 s[24:25], s[2:3]
	s_cbranch_execz .LBB1151_107
; %bb.96:
	s_and_b64 vcc, exec, s[22:23]
	s_cbranch_vccnz .LBB1151_103
; %bb.97:
	v_mul_lo_u32 v6, v3, s16
	v_add_u32_e32 v3, -8, v1
	ds_read_b64 v[4:5], v3
	v_mul_lo_u32 v7, v2, s17
	v_mad_u64_u32 v[2:3], s[2:3], v2, s16, 0
	v_add3_u32 v3, v3, v7, v6
	s_waitcnt lgkmcnt(0)
	v_mul_lo_u32 v5, v5, s16
	v_mul_lo_u32 v6, v4, s17
	v_mad_u64_u32 v[10:11], s[2:3], v4, s16, 0
	v_add3_u32 v11, v11, v6, v5
	v_lshlrev_b64 v[4:5], 1, v[2:3]
	v_mov_b32_e32 v2, s19
	v_add_co_u32_e32 v6, vcc, s18, v4
	v_addc_co_u32_e64 v7, s[2:3], v2, v5, vcc
	v_lshlrev_b64 v[2:3], 1, v[10:11]
	v_mov_b32_e32 v4, s19
	v_add_co_u32_e64 v10, s[2:3], s18, v2
	v_addc_co_u32_e64 v11, s[4:5], v4, v3, s[2:3]
	global_load_ushort v2, v[6:7], off
	global_load_ushort v4, v[10:11], off
	s_mov_b64 s[26:27], -1
	s_waitcnt vmcnt(1)
	v_lshlrev_b32_e32 v2, 16, v2
	s_waitcnt vmcnt(0)
	v_lshlrev_b32_e32 v4, 16, v4
	v_cmp_eq_f32_e64 s[4:5], v2, v4
	s_and_saveexec_b64 s[22:23], s[4:5]
	s_cbranch_execz .LBB1151_105
; %bb.98:
	v_mov_b32_e32 v2, s19
	v_addc_co_u32_e64 v3, s[2:3], v3, v2, s[2:3]
	v_add_co_u32_e64 v2, s[2:3], 2, v10
	v_mov_b32_e32 v4, s19
	v_addc_co_u32_e64 v3, s[2:3], 0, v3, s[2:3]
	v_addc_co_u32_e32 v5, vcc, v5, v4, vcc
	v_add_co_u32_e32 v4, vcc, 2, v6
	s_add_u32 s2, s16, -1
	v_addc_co_u32_e32 v5, vcc, 0, v5, vcc
	s_addc_u32 s3, s17, -1
	s_mov_b64 s[4:5], 0
	s_mov_b64 s[26:27], 0
                                        ; implicit-def: $sgpr18_sgpr19
	s_branch .LBB1151_101
.LBB1151_99:                            ;   in Loop: Header=BB1151_101 Depth=1
	global_load_ushort v6, v[2:3], off
	global_load_ushort v7, v[4:5], off
	v_add_co_u32_e32 v2, vcc, 2, v2
	v_addc_co_u32_e32 v3, vcc, 0, v3, vcc
	v_add_co_u32_e32 v4, vcc, 2, v4
	v_addc_co_u32_e32 v5, vcc, 0, v5, vcc
	s_add_u32 s26, s26, 1
	s_addc_u32 s27, s27, 0
	s_andn2_b64 s[18:19], s[18:19], exec
	s_waitcnt vmcnt(1)
	v_lshlrev_b32_e32 v6, 16, v6
	s_waitcnt vmcnt(0)
	v_lshlrev_b32_e32 v7, 16, v7
	v_cmp_neq_f32_e32 vcc, v7, v6
	s_and_b64 s[28:29], vcc, exec
	s_or_b64 s[18:19], s[18:19], s[28:29]
.LBB1151_100:                           ;   in Loop: Header=BB1151_101 Depth=1
	s_and_b64 s[28:29], exec, s[18:19]
	s_or_b64 s[4:5], s[28:29], s[4:5]
	v_pk_mov_b32 v[6:7], s[26:27], s[26:27] op_sel:[0,1]
	s_andn2_b64 exec, exec, s[4:5]
	s_cbranch_execz .LBB1151_104
.LBB1151_101:                           ; =>This Inner Loop Header: Depth=1
	s_or_b64 s[18:19], s[18:19], exec
	s_cmp_eq_u64 s[2:3], s[26:27]
	s_cbranch_scc0 .LBB1151_99
; %bb.102:                              ;   in Loop: Header=BB1151_101 Depth=1
                                        ; implicit-def: $vgpr2_vgpr3
                                        ; implicit-def: $vgpr4_vgpr5
	s_mov_b64 s[26:27], s[16:17]
	s_branch .LBB1151_100
.LBB1151_103:
	s_mov_b64 s[26:27], 0
	s_branch .LBB1151_106
.LBB1151_104:
	s_or_b64 exec, exec, s[4:5]
	v_cmp_gt_i64_e32 vcc, s[16:17], v[6:7]
	s_orn2_b64 s[26:27], vcc, exec
.LBB1151_105:
	s_or_b64 exec, exec, s[22:23]
.LBB1151_106:
	s_and_b64 s[28:29], s[26:27], exec
	s_or_b64 s[20:21], s[20:21], exec
                                        ; implicit-def: $vgpr2_vgpr3
.LBB1151_107:
	s_or_b64 exec, exec, s[24:25]
.LBB1151_108:
	s_and_saveexec_b64 s[2:3], s[20:21]
; %bb.109:
	s_mov_b32 s4, 0
	v_cndmask_b32_e64 v2, 0, 1, s[28:29]
	v_mov_b32_e32 v3, s4
; %bb.110:
	s_or_b64 exec, exec, s[2:3]
	s_add_u32 s4, s12, s10
	s_addc_u32 s5, s13, s11
	s_and_b64 vcc, exec, s[0:1]
	v_lshrrev_b32_e32 v10, 1, v0
	s_waitcnt lgkmcnt(0)
	s_barrier
	s_cbranch_vccz .LBB1151_114
; %bb.111:
	v_and_b32_e32 v4, 0x78, v10
	v_lshl_add_u32 v6, v0, 4, v4
	v_mov_b32_e32 v4, v8
	v_mov_b32_e32 v5, v9
	v_or_b32_e32 v11, 0x100, v0
	s_lshl_b32 s0, s6, 9
	s_mov_b32 s9, 0
	ds_write2_b64 v6, v[2:3], v[4:5] offset1:1
	v_lshrrev_b32_e32 v4, 5, v11
	s_sub_i32 s2, s14, s0
	s_lshl_b64 s[0:1], s[8:9], 3
	v_add_lshl_u32 v4, v4, v0, 3
	s_add_u32 s0, s4, s0
	s_waitcnt lgkmcnt(0)
	s_barrier
	ds_read_b64 v[4:5], v4 offset:2048
	s_addc_u32 s1, s5, s1
	v_mov_b32_e32 v7, s1
	v_add_co_u32_e32 v6, vcc, s0, v1
	v_addc_co_u32_e32 v7, vcc, 0, v7, vcc
	v_cmp_gt_u32_e32 vcc, s2, v0
	s_and_saveexec_b64 s[0:1], vcc
	s_cbranch_execz .LBB1151_113
; %bb.112:
	v_lshrrev_b32_e32 v12, 5, v0
	v_add_lshl_u32 v12, v12, v0, 3
	ds_read_b64 v[12:13], v12
	s_waitcnt lgkmcnt(0)
	global_store_dwordx2 v[6:7], v[12:13], off
.LBB1151_113:
	s_or_b64 exec, exec, s[0:1]
	v_cmp_gt_u32_e64 s[0:1], s2, v11
	s_branch .LBB1151_116
.LBB1151_114:
	s_mov_b64 s[0:1], 0
                                        ; implicit-def: $vgpr4_vgpr5
                                        ; implicit-def: $vgpr6_vgpr7
	s_cbranch_execz .LBB1151_116
; %bb.115:
	s_waitcnt lgkmcnt(0)
	v_and_b32_e32 v4, 0x78, v10
	v_lshl_add_u32 v6, v0, 4, v4
	v_mov_b32_e32 v4, v8
	v_mov_b32_e32 v5, v9
	s_mov_b32 s9, 0
	ds_write2_b64 v6, v[2:3], v[4:5] offset1:1
	v_lshrrev_b32_e32 v2, 5, v0
	v_or_b32_e32 v3, 0x100, v0
	s_lshl_b64 s[2:3], s[8:9], 3
	v_add_lshl_u32 v2, v2, v0, 3
	v_lshrrev_b32_e32 v3, 5, v3
	s_add_u32 s2, s4, s2
	s_waitcnt lgkmcnt(0)
	s_barrier
	v_add_lshl_u32 v0, v3, v0, 3
	ds_read_b64 v[2:3], v2
	ds_read_b64 v[4:5], v0 offset:2048
	s_addc_u32 s3, s5, s3
	v_mov_b32_e32 v0, s3
	v_add_co_u32_e32 v6, vcc, s2, v1
	v_addc_co_u32_e32 v7, vcc, 0, v0, vcc
	s_or_b64 s[0:1], s[0:1], exec
	s_waitcnt lgkmcnt(1)
	global_store_dwordx2 v1, v[2:3], s[2:3]
.LBB1151_116:
	s_and_saveexec_b64 s[2:3], s[0:1]
	s_cbranch_execnz .LBB1151_118
; %bb.117:
	s_endpgm
.LBB1151_118:
	s_waitcnt lgkmcnt(0)
	global_store_dwordx2 v[6:7], v[4:5], off offset:2048
	s_endpgm
	.section	.rodata,"a",@progbits
	.p2align	6, 0x0
	.amdhsa_kernel _ZN7rocprim17ROCPRIM_400000_NS6detail17trampoline_kernelINS0_14default_configENS1_35adjacent_difference_config_selectorILb0ElEEZNS1_24adjacent_difference_implIS3_Lb0ELb0EPlS7_ZN2at6native12_GLOBAL__N_124unique_dim_cuda_templateIN3c108BFloat16EEESt5tupleIJNS8_6TensorESF_SF_EERKSF_lbbbEUlllE1_EE10hipError_tPvRmT2_T3_mT4_P12ihipStream_tbEUlT_E_NS1_11comp_targetILNS1_3genE4ELNS1_11target_archE910ELNS1_3gpuE8ELNS1_3repE0EEENS1_30default_config_static_selectorELNS0_4arch9wavefront6targetE1EEEvT1_
		.amdhsa_group_segment_fixed_size 4224
		.amdhsa_private_segment_fixed_size 0
		.amdhsa_kernarg_size 64
		.amdhsa_user_sgpr_count 6
		.amdhsa_user_sgpr_private_segment_buffer 1
		.amdhsa_user_sgpr_dispatch_ptr 0
		.amdhsa_user_sgpr_queue_ptr 0
		.amdhsa_user_sgpr_kernarg_segment_ptr 1
		.amdhsa_user_sgpr_dispatch_id 0
		.amdhsa_user_sgpr_flat_scratch_init 0
		.amdhsa_user_sgpr_kernarg_preload_length 0
		.amdhsa_user_sgpr_kernarg_preload_offset 0
		.amdhsa_user_sgpr_private_segment_size 0
		.amdhsa_uses_dynamic_stack 0
		.amdhsa_system_sgpr_private_segment_wavefront_offset 0
		.amdhsa_system_sgpr_workgroup_id_x 1
		.amdhsa_system_sgpr_workgroup_id_y 0
		.amdhsa_system_sgpr_workgroup_id_z 0
		.amdhsa_system_sgpr_workgroup_info 0
		.amdhsa_system_vgpr_workitem_id 0
		.amdhsa_next_free_vgpr 17
		.amdhsa_next_free_sgpr 38
		.amdhsa_accum_offset 20
		.amdhsa_reserve_vcc 1
		.amdhsa_reserve_flat_scratch 0
		.amdhsa_float_round_mode_32 0
		.amdhsa_float_round_mode_16_64 0
		.amdhsa_float_denorm_mode_32 3
		.amdhsa_float_denorm_mode_16_64 3
		.amdhsa_dx10_clamp 1
		.amdhsa_ieee_mode 1
		.amdhsa_fp16_overflow 0
		.amdhsa_tg_split 0
		.amdhsa_exception_fp_ieee_invalid_op 0
		.amdhsa_exception_fp_denorm_src 0
		.amdhsa_exception_fp_ieee_div_zero 0
		.amdhsa_exception_fp_ieee_overflow 0
		.amdhsa_exception_fp_ieee_underflow 0
		.amdhsa_exception_fp_ieee_inexact 0
		.amdhsa_exception_int_div_zero 0
	.end_amdhsa_kernel
	.section	.text._ZN7rocprim17ROCPRIM_400000_NS6detail17trampoline_kernelINS0_14default_configENS1_35adjacent_difference_config_selectorILb0ElEEZNS1_24adjacent_difference_implIS3_Lb0ELb0EPlS7_ZN2at6native12_GLOBAL__N_124unique_dim_cuda_templateIN3c108BFloat16EEESt5tupleIJNS8_6TensorESF_SF_EERKSF_lbbbEUlllE1_EE10hipError_tPvRmT2_T3_mT4_P12ihipStream_tbEUlT_E_NS1_11comp_targetILNS1_3genE4ELNS1_11target_archE910ELNS1_3gpuE8ELNS1_3repE0EEENS1_30default_config_static_selectorELNS0_4arch9wavefront6targetE1EEEvT1_,"axG",@progbits,_ZN7rocprim17ROCPRIM_400000_NS6detail17trampoline_kernelINS0_14default_configENS1_35adjacent_difference_config_selectorILb0ElEEZNS1_24adjacent_difference_implIS3_Lb0ELb0EPlS7_ZN2at6native12_GLOBAL__N_124unique_dim_cuda_templateIN3c108BFloat16EEESt5tupleIJNS8_6TensorESF_SF_EERKSF_lbbbEUlllE1_EE10hipError_tPvRmT2_T3_mT4_P12ihipStream_tbEUlT_E_NS1_11comp_targetILNS1_3genE4ELNS1_11target_archE910ELNS1_3gpuE8ELNS1_3repE0EEENS1_30default_config_static_selectorELNS0_4arch9wavefront6targetE1EEEvT1_,comdat
.Lfunc_end1151:
	.size	_ZN7rocprim17ROCPRIM_400000_NS6detail17trampoline_kernelINS0_14default_configENS1_35adjacent_difference_config_selectorILb0ElEEZNS1_24adjacent_difference_implIS3_Lb0ELb0EPlS7_ZN2at6native12_GLOBAL__N_124unique_dim_cuda_templateIN3c108BFloat16EEESt5tupleIJNS8_6TensorESF_SF_EERKSF_lbbbEUlllE1_EE10hipError_tPvRmT2_T3_mT4_P12ihipStream_tbEUlT_E_NS1_11comp_targetILNS1_3genE4ELNS1_11target_archE910ELNS1_3gpuE8ELNS1_3repE0EEENS1_30default_config_static_selectorELNS0_4arch9wavefront6targetE1EEEvT1_, .Lfunc_end1151-_ZN7rocprim17ROCPRIM_400000_NS6detail17trampoline_kernelINS0_14default_configENS1_35adjacent_difference_config_selectorILb0ElEEZNS1_24adjacent_difference_implIS3_Lb0ELb0EPlS7_ZN2at6native12_GLOBAL__N_124unique_dim_cuda_templateIN3c108BFloat16EEESt5tupleIJNS8_6TensorESF_SF_EERKSF_lbbbEUlllE1_EE10hipError_tPvRmT2_T3_mT4_P12ihipStream_tbEUlT_E_NS1_11comp_targetILNS1_3genE4ELNS1_11target_archE910ELNS1_3gpuE8ELNS1_3repE0EEENS1_30default_config_static_selectorELNS0_4arch9wavefront6targetE1EEEvT1_
                                        ; -- End function
	.section	.AMDGPU.csdata,"",@progbits
; Kernel info:
; codeLenInByte = 4448
; NumSgprs: 42
; NumVgprs: 17
; NumAgprs: 0
; TotalNumVgprs: 17
; ScratchSize: 0
; MemoryBound: 0
; FloatMode: 240
; IeeeMode: 1
; LDSByteSize: 4224 bytes/workgroup (compile time only)
; SGPRBlocks: 5
; VGPRBlocks: 2
; NumSGPRsForWavesPerEU: 42
; NumVGPRsForWavesPerEU: 17
; AccumOffset: 20
; Occupancy: 8
; WaveLimiterHint : 1
; COMPUTE_PGM_RSRC2:SCRATCH_EN: 0
; COMPUTE_PGM_RSRC2:USER_SGPR: 6
; COMPUTE_PGM_RSRC2:TRAP_HANDLER: 0
; COMPUTE_PGM_RSRC2:TGID_X_EN: 1
; COMPUTE_PGM_RSRC2:TGID_Y_EN: 0
; COMPUTE_PGM_RSRC2:TGID_Z_EN: 0
; COMPUTE_PGM_RSRC2:TIDIG_COMP_CNT: 0
; COMPUTE_PGM_RSRC3_GFX90A:ACCUM_OFFSET: 4
; COMPUTE_PGM_RSRC3_GFX90A:TG_SPLIT: 0
	.section	.text._ZN7rocprim17ROCPRIM_400000_NS6detail17trampoline_kernelINS0_14default_configENS1_35adjacent_difference_config_selectorILb0ElEEZNS1_24adjacent_difference_implIS3_Lb0ELb0EPlS7_ZN2at6native12_GLOBAL__N_124unique_dim_cuda_templateIN3c108BFloat16EEESt5tupleIJNS8_6TensorESF_SF_EERKSF_lbbbEUlllE1_EE10hipError_tPvRmT2_T3_mT4_P12ihipStream_tbEUlT_E_NS1_11comp_targetILNS1_3genE3ELNS1_11target_archE908ELNS1_3gpuE7ELNS1_3repE0EEENS1_30default_config_static_selectorELNS0_4arch9wavefront6targetE1EEEvT1_,"axG",@progbits,_ZN7rocprim17ROCPRIM_400000_NS6detail17trampoline_kernelINS0_14default_configENS1_35adjacent_difference_config_selectorILb0ElEEZNS1_24adjacent_difference_implIS3_Lb0ELb0EPlS7_ZN2at6native12_GLOBAL__N_124unique_dim_cuda_templateIN3c108BFloat16EEESt5tupleIJNS8_6TensorESF_SF_EERKSF_lbbbEUlllE1_EE10hipError_tPvRmT2_T3_mT4_P12ihipStream_tbEUlT_E_NS1_11comp_targetILNS1_3genE3ELNS1_11target_archE908ELNS1_3gpuE7ELNS1_3repE0EEENS1_30default_config_static_selectorELNS0_4arch9wavefront6targetE1EEEvT1_,comdat
	.globl	_ZN7rocprim17ROCPRIM_400000_NS6detail17trampoline_kernelINS0_14default_configENS1_35adjacent_difference_config_selectorILb0ElEEZNS1_24adjacent_difference_implIS3_Lb0ELb0EPlS7_ZN2at6native12_GLOBAL__N_124unique_dim_cuda_templateIN3c108BFloat16EEESt5tupleIJNS8_6TensorESF_SF_EERKSF_lbbbEUlllE1_EE10hipError_tPvRmT2_T3_mT4_P12ihipStream_tbEUlT_E_NS1_11comp_targetILNS1_3genE3ELNS1_11target_archE908ELNS1_3gpuE7ELNS1_3repE0EEENS1_30default_config_static_selectorELNS0_4arch9wavefront6targetE1EEEvT1_ ; -- Begin function _ZN7rocprim17ROCPRIM_400000_NS6detail17trampoline_kernelINS0_14default_configENS1_35adjacent_difference_config_selectorILb0ElEEZNS1_24adjacent_difference_implIS3_Lb0ELb0EPlS7_ZN2at6native12_GLOBAL__N_124unique_dim_cuda_templateIN3c108BFloat16EEESt5tupleIJNS8_6TensorESF_SF_EERKSF_lbbbEUlllE1_EE10hipError_tPvRmT2_T3_mT4_P12ihipStream_tbEUlT_E_NS1_11comp_targetILNS1_3genE3ELNS1_11target_archE908ELNS1_3gpuE7ELNS1_3repE0EEENS1_30default_config_static_selectorELNS0_4arch9wavefront6targetE1EEEvT1_
	.p2align	8
	.type	_ZN7rocprim17ROCPRIM_400000_NS6detail17trampoline_kernelINS0_14default_configENS1_35adjacent_difference_config_selectorILb0ElEEZNS1_24adjacent_difference_implIS3_Lb0ELb0EPlS7_ZN2at6native12_GLOBAL__N_124unique_dim_cuda_templateIN3c108BFloat16EEESt5tupleIJNS8_6TensorESF_SF_EERKSF_lbbbEUlllE1_EE10hipError_tPvRmT2_T3_mT4_P12ihipStream_tbEUlT_E_NS1_11comp_targetILNS1_3genE3ELNS1_11target_archE908ELNS1_3gpuE7ELNS1_3repE0EEENS1_30default_config_static_selectorELNS0_4arch9wavefront6targetE1EEEvT1_,@function
_ZN7rocprim17ROCPRIM_400000_NS6detail17trampoline_kernelINS0_14default_configENS1_35adjacent_difference_config_selectorILb0ElEEZNS1_24adjacent_difference_implIS3_Lb0ELb0EPlS7_ZN2at6native12_GLOBAL__N_124unique_dim_cuda_templateIN3c108BFloat16EEESt5tupleIJNS8_6TensorESF_SF_EERKSF_lbbbEUlllE1_EE10hipError_tPvRmT2_T3_mT4_P12ihipStream_tbEUlT_E_NS1_11comp_targetILNS1_3genE3ELNS1_11target_archE908ELNS1_3gpuE7ELNS1_3repE0EEENS1_30default_config_static_selectorELNS0_4arch9wavefront6targetE1EEEvT1_: ; @_ZN7rocprim17ROCPRIM_400000_NS6detail17trampoline_kernelINS0_14default_configENS1_35adjacent_difference_config_selectorILb0ElEEZNS1_24adjacent_difference_implIS3_Lb0ELb0EPlS7_ZN2at6native12_GLOBAL__N_124unique_dim_cuda_templateIN3c108BFloat16EEESt5tupleIJNS8_6TensorESF_SF_EERKSF_lbbbEUlllE1_EE10hipError_tPvRmT2_T3_mT4_P12ihipStream_tbEUlT_E_NS1_11comp_targetILNS1_3genE3ELNS1_11target_archE908ELNS1_3gpuE7ELNS1_3repE0EEENS1_30default_config_static_selectorELNS0_4arch9wavefront6targetE1EEEvT1_
; %bb.0:
	.section	.rodata,"a",@progbits
	.p2align	6, 0x0
	.amdhsa_kernel _ZN7rocprim17ROCPRIM_400000_NS6detail17trampoline_kernelINS0_14default_configENS1_35adjacent_difference_config_selectorILb0ElEEZNS1_24adjacent_difference_implIS3_Lb0ELb0EPlS7_ZN2at6native12_GLOBAL__N_124unique_dim_cuda_templateIN3c108BFloat16EEESt5tupleIJNS8_6TensorESF_SF_EERKSF_lbbbEUlllE1_EE10hipError_tPvRmT2_T3_mT4_P12ihipStream_tbEUlT_E_NS1_11comp_targetILNS1_3genE3ELNS1_11target_archE908ELNS1_3gpuE7ELNS1_3repE0EEENS1_30default_config_static_selectorELNS0_4arch9wavefront6targetE1EEEvT1_
		.amdhsa_group_segment_fixed_size 0
		.amdhsa_private_segment_fixed_size 0
		.amdhsa_kernarg_size 64
		.amdhsa_user_sgpr_count 6
		.amdhsa_user_sgpr_private_segment_buffer 1
		.amdhsa_user_sgpr_dispatch_ptr 0
		.amdhsa_user_sgpr_queue_ptr 0
		.amdhsa_user_sgpr_kernarg_segment_ptr 1
		.amdhsa_user_sgpr_dispatch_id 0
		.amdhsa_user_sgpr_flat_scratch_init 0
		.amdhsa_user_sgpr_kernarg_preload_length 0
		.amdhsa_user_sgpr_kernarg_preload_offset 0
		.amdhsa_user_sgpr_private_segment_size 0
		.amdhsa_uses_dynamic_stack 0
		.amdhsa_system_sgpr_private_segment_wavefront_offset 0
		.amdhsa_system_sgpr_workgroup_id_x 1
		.amdhsa_system_sgpr_workgroup_id_y 0
		.amdhsa_system_sgpr_workgroup_id_z 0
		.amdhsa_system_sgpr_workgroup_info 0
		.amdhsa_system_vgpr_workitem_id 0
		.amdhsa_next_free_vgpr 1
		.amdhsa_next_free_sgpr 0
		.amdhsa_accum_offset 4
		.amdhsa_reserve_vcc 0
		.amdhsa_reserve_flat_scratch 0
		.amdhsa_float_round_mode_32 0
		.amdhsa_float_round_mode_16_64 0
		.amdhsa_float_denorm_mode_32 3
		.amdhsa_float_denorm_mode_16_64 3
		.amdhsa_dx10_clamp 1
		.amdhsa_ieee_mode 1
		.amdhsa_fp16_overflow 0
		.amdhsa_tg_split 0
		.amdhsa_exception_fp_ieee_invalid_op 0
		.amdhsa_exception_fp_denorm_src 0
		.amdhsa_exception_fp_ieee_div_zero 0
		.amdhsa_exception_fp_ieee_overflow 0
		.amdhsa_exception_fp_ieee_underflow 0
		.amdhsa_exception_fp_ieee_inexact 0
		.amdhsa_exception_int_div_zero 0
	.end_amdhsa_kernel
	.section	.text._ZN7rocprim17ROCPRIM_400000_NS6detail17trampoline_kernelINS0_14default_configENS1_35adjacent_difference_config_selectorILb0ElEEZNS1_24adjacent_difference_implIS3_Lb0ELb0EPlS7_ZN2at6native12_GLOBAL__N_124unique_dim_cuda_templateIN3c108BFloat16EEESt5tupleIJNS8_6TensorESF_SF_EERKSF_lbbbEUlllE1_EE10hipError_tPvRmT2_T3_mT4_P12ihipStream_tbEUlT_E_NS1_11comp_targetILNS1_3genE3ELNS1_11target_archE908ELNS1_3gpuE7ELNS1_3repE0EEENS1_30default_config_static_selectorELNS0_4arch9wavefront6targetE1EEEvT1_,"axG",@progbits,_ZN7rocprim17ROCPRIM_400000_NS6detail17trampoline_kernelINS0_14default_configENS1_35adjacent_difference_config_selectorILb0ElEEZNS1_24adjacent_difference_implIS3_Lb0ELb0EPlS7_ZN2at6native12_GLOBAL__N_124unique_dim_cuda_templateIN3c108BFloat16EEESt5tupleIJNS8_6TensorESF_SF_EERKSF_lbbbEUlllE1_EE10hipError_tPvRmT2_T3_mT4_P12ihipStream_tbEUlT_E_NS1_11comp_targetILNS1_3genE3ELNS1_11target_archE908ELNS1_3gpuE7ELNS1_3repE0EEENS1_30default_config_static_selectorELNS0_4arch9wavefront6targetE1EEEvT1_,comdat
.Lfunc_end1152:
	.size	_ZN7rocprim17ROCPRIM_400000_NS6detail17trampoline_kernelINS0_14default_configENS1_35adjacent_difference_config_selectorILb0ElEEZNS1_24adjacent_difference_implIS3_Lb0ELb0EPlS7_ZN2at6native12_GLOBAL__N_124unique_dim_cuda_templateIN3c108BFloat16EEESt5tupleIJNS8_6TensorESF_SF_EERKSF_lbbbEUlllE1_EE10hipError_tPvRmT2_T3_mT4_P12ihipStream_tbEUlT_E_NS1_11comp_targetILNS1_3genE3ELNS1_11target_archE908ELNS1_3gpuE7ELNS1_3repE0EEENS1_30default_config_static_selectorELNS0_4arch9wavefront6targetE1EEEvT1_, .Lfunc_end1152-_ZN7rocprim17ROCPRIM_400000_NS6detail17trampoline_kernelINS0_14default_configENS1_35adjacent_difference_config_selectorILb0ElEEZNS1_24adjacent_difference_implIS3_Lb0ELb0EPlS7_ZN2at6native12_GLOBAL__N_124unique_dim_cuda_templateIN3c108BFloat16EEESt5tupleIJNS8_6TensorESF_SF_EERKSF_lbbbEUlllE1_EE10hipError_tPvRmT2_T3_mT4_P12ihipStream_tbEUlT_E_NS1_11comp_targetILNS1_3genE3ELNS1_11target_archE908ELNS1_3gpuE7ELNS1_3repE0EEENS1_30default_config_static_selectorELNS0_4arch9wavefront6targetE1EEEvT1_
                                        ; -- End function
	.section	.AMDGPU.csdata,"",@progbits
; Kernel info:
; codeLenInByte = 0
; NumSgprs: 4
; NumVgprs: 0
; NumAgprs: 0
; TotalNumVgprs: 0
; ScratchSize: 0
; MemoryBound: 0
; FloatMode: 240
; IeeeMode: 1
; LDSByteSize: 0 bytes/workgroup (compile time only)
; SGPRBlocks: 0
; VGPRBlocks: 0
; NumSGPRsForWavesPerEU: 4
; NumVGPRsForWavesPerEU: 1
; AccumOffset: 4
; Occupancy: 8
; WaveLimiterHint : 0
; COMPUTE_PGM_RSRC2:SCRATCH_EN: 0
; COMPUTE_PGM_RSRC2:USER_SGPR: 6
; COMPUTE_PGM_RSRC2:TRAP_HANDLER: 0
; COMPUTE_PGM_RSRC2:TGID_X_EN: 1
; COMPUTE_PGM_RSRC2:TGID_Y_EN: 0
; COMPUTE_PGM_RSRC2:TGID_Z_EN: 0
; COMPUTE_PGM_RSRC2:TIDIG_COMP_CNT: 0
; COMPUTE_PGM_RSRC3_GFX90A:ACCUM_OFFSET: 0
; COMPUTE_PGM_RSRC3_GFX90A:TG_SPLIT: 0
	.section	.text._ZN7rocprim17ROCPRIM_400000_NS6detail17trampoline_kernelINS0_14default_configENS1_35adjacent_difference_config_selectorILb0ElEEZNS1_24adjacent_difference_implIS3_Lb0ELb0EPlS7_ZN2at6native12_GLOBAL__N_124unique_dim_cuda_templateIN3c108BFloat16EEESt5tupleIJNS8_6TensorESF_SF_EERKSF_lbbbEUlllE1_EE10hipError_tPvRmT2_T3_mT4_P12ihipStream_tbEUlT_E_NS1_11comp_targetILNS1_3genE2ELNS1_11target_archE906ELNS1_3gpuE6ELNS1_3repE0EEENS1_30default_config_static_selectorELNS0_4arch9wavefront6targetE1EEEvT1_,"axG",@progbits,_ZN7rocprim17ROCPRIM_400000_NS6detail17trampoline_kernelINS0_14default_configENS1_35adjacent_difference_config_selectorILb0ElEEZNS1_24adjacent_difference_implIS3_Lb0ELb0EPlS7_ZN2at6native12_GLOBAL__N_124unique_dim_cuda_templateIN3c108BFloat16EEESt5tupleIJNS8_6TensorESF_SF_EERKSF_lbbbEUlllE1_EE10hipError_tPvRmT2_T3_mT4_P12ihipStream_tbEUlT_E_NS1_11comp_targetILNS1_3genE2ELNS1_11target_archE906ELNS1_3gpuE6ELNS1_3repE0EEENS1_30default_config_static_selectorELNS0_4arch9wavefront6targetE1EEEvT1_,comdat
	.globl	_ZN7rocprim17ROCPRIM_400000_NS6detail17trampoline_kernelINS0_14default_configENS1_35adjacent_difference_config_selectorILb0ElEEZNS1_24adjacent_difference_implIS3_Lb0ELb0EPlS7_ZN2at6native12_GLOBAL__N_124unique_dim_cuda_templateIN3c108BFloat16EEESt5tupleIJNS8_6TensorESF_SF_EERKSF_lbbbEUlllE1_EE10hipError_tPvRmT2_T3_mT4_P12ihipStream_tbEUlT_E_NS1_11comp_targetILNS1_3genE2ELNS1_11target_archE906ELNS1_3gpuE6ELNS1_3repE0EEENS1_30default_config_static_selectorELNS0_4arch9wavefront6targetE1EEEvT1_ ; -- Begin function _ZN7rocprim17ROCPRIM_400000_NS6detail17trampoline_kernelINS0_14default_configENS1_35adjacent_difference_config_selectorILb0ElEEZNS1_24adjacent_difference_implIS3_Lb0ELb0EPlS7_ZN2at6native12_GLOBAL__N_124unique_dim_cuda_templateIN3c108BFloat16EEESt5tupleIJNS8_6TensorESF_SF_EERKSF_lbbbEUlllE1_EE10hipError_tPvRmT2_T3_mT4_P12ihipStream_tbEUlT_E_NS1_11comp_targetILNS1_3genE2ELNS1_11target_archE906ELNS1_3gpuE6ELNS1_3repE0EEENS1_30default_config_static_selectorELNS0_4arch9wavefront6targetE1EEEvT1_
	.p2align	8
	.type	_ZN7rocprim17ROCPRIM_400000_NS6detail17trampoline_kernelINS0_14default_configENS1_35adjacent_difference_config_selectorILb0ElEEZNS1_24adjacent_difference_implIS3_Lb0ELb0EPlS7_ZN2at6native12_GLOBAL__N_124unique_dim_cuda_templateIN3c108BFloat16EEESt5tupleIJNS8_6TensorESF_SF_EERKSF_lbbbEUlllE1_EE10hipError_tPvRmT2_T3_mT4_P12ihipStream_tbEUlT_E_NS1_11comp_targetILNS1_3genE2ELNS1_11target_archE906ELNS1_3gpuE6ELNS1_3repE0EEENS1_30default_config_static_selectorELNS0_4arch9wavefront6targetE1EEEvT1_,@function
_ZN7rocprim17ROCPRIM_400000_NS6detail17trampoline_kernelINS0_14default_configENS1_35adjacent_difference_config_selectorILb0ElEEZNS1_24adjacent_difference_implIS3_Lb0ELb0EPlS7_ZN2at6native12_GLOBAL__N_124unique_dim_cuda_templateIN3c108BFloat16EEESt5tupleIJNS8_6TensorESF_SF_EERKSF_lbbbEUlllE1_EE10hipError_tPvRmT2_T3_mT4_P12ihipStream_tbEUlT_E_NS1_11comp_targetILNS1_3genE2ELNS1_11target_archE906ELNS1_3gpuE6ELNS1_3repE0EEENS1_30default_config_static_selectorELNS0_4arch9wavefront6targetE1EEEvT1_: ; @_ZN7rocprim17ROCPRIM_400000_NS6detail17trampoline_kernelINS0_14default_configENS1_35adjacent_difference_config_selectorILb0ElEEZNS1_24adjacent_difference_implIS3_Lb0ELb0EPlS7_ZN2at6native12_GLOBAL__N_124unique_dim_cuda_templateIN3c108BFloat16EEESt5tupleIJNS8_6TensorESF_SF_EERKSF_lbbbEUlllE1_EE10hipError_tPvRmT2_T3_mT4_P12ihipStream_tbEUlT_E_NS1_11comp_targetILNS1_3genE2ELNS1_11target_archE906ELNS1_3gpuE6ELNS1_3repE0EEENS1_30default_config_static_selectorELNS0_4arch9wavefront6targetE1EEEvT1_
; %bb.0:
	.section	.rodata,"a",@progbits
	.p2align	6, 0x0
	.amdhsa_kernel _ZN7rocprim17ROCPRIM_400000_NS6detail17trampoline_kernelINS0_14default_configENS1_35adjacent_difference_config_selectorILb0ElEEZNS1_24adjacent_difference_implIS3_Lb0ELb0EPlS7_ZN2at6native12_GLOBAL__N_124unique_dim_cuda_templateIN3c108BFloat16EEESt5tupleIJNS8_6TensorESF_SF_EERKSF_lbbbEUlllE1_EE10hipError_tPvRmT2_T3_mT4_P12ihipStream_tbEUlT_E_NS1_11comp_targetILNS1_3genE2ELNS1_11target_archE906ELNS1_3gpuE6ELNS1_3repE0EEENS1_30default_config_static_selectorELNS0_4arch9wavefront6targetE1EEEvT1_
		.amdhsa_group_segment_fixed_size 0
		.amdhsa_private_segment_fixed_size 0
		.amdhsa_kernarg_size 64
		.amdhsa_user_sgpr_count 6
		.amdhsa_user_sgpr_private_segment_buffer 1
		.amdhsa_user_sgpr_dispatch_ptr 0
		.amdhsa_user_sgpr_queue_ptr 0
		.amdhsa_user_sgpr_kernarg_segment_ptr 1
		.amdhsa_user_sgpr_dispatch_id 0
		.amdhsa_user_sgpr_flat_scratch_init 0
		.amdhsa_user_sgpr_kernarg_preload_length 0
		.amdhsa_user_sgpr_kernarg_preload_offset 0
		.amdhsa_user_sgpr_private_segment_size 0
		.amdhsa_uses_dynamic_stack 0
		.amdhsa_system_sgpr_private_segment_wavefront_offset 0
		.amdhsa_system_sgpr_workgroup_id_x 1
		.amdhsa_system_sgpr_workgroup_id_y 0
		.amdhsa_system_sgpr_workgroup_id_z 0
		.amdhsa_system_sgpr_workgroup_info 0
		.amdhsa_system_vgpr_workitem_id 0
		.amdhsa_next_free_vgpr 1
		.amdhsa_next_free_sgpr 0
		.amdhsa_accum_offset 4
		.amdhsa_reserve_vcc 0
		.amdhsa_reserve_flat_scratch 0
		.amdhsa_float_round_mode_32 0
		.amdhsa_float_round_mode_16_64 0
		.amdhsa_float_denorm_mode_32 3
		.amdhsa_float_denorm_mode_16_64 3
		.amdhsa_dx10_clamp 1
		.amdhsa_ieee_mode 1
		.amdhsa_fp16_overflow 0
		.amdhsa_tg_split 0
		.amdhsa_exception_fp_ieee_invalid_op 0
		.amdhsa_exception_fp_denorm_src 0
		.amdhsa_exception_fp_ieee_div_zero 0
		.amdhsa_exception_fp_ieee_overflow 0
		.amdhsa_exception_fp_ieee_underflow 0
		.amdhsa_exception_fp_ieee_inexact 0
		.amdhsa_exception_int_div_zero 0
	.end_amdhsa_kernel
	.section	.text._ZN7rocprim17ROCPRIM_400000_NS6detail17trampoline_kernelINS0_14default_configENS1_35adjacent_difference_config_selectorILb0ElEEZNS1_24adjacent_difference_implIS3_Lb0ELb0EPlS7_ZN2at6native12_GLOBAL__N_124unique_dim_cuda_templateIN3c108BFloat16EEESt5tupleIJNS8_6TensorESF_SF_EERKSF_lbbbEUlllE1_EE10hipError_tPvRmT2_T3_mT4_P12ihipStream_tbEUlT_E_NS1_11comp_targetILNS1_3genE2ELNS1_11target_archE906ELNS1_3gpuE6ELNS1_3repE0EEENS1_30default_config_static_selectorELNS0_4arch9wavefront6targetE1EEEvT1_,"axG",@progbits,_ZN7rocprim17ROCPRIM_400000_NS6detail17trampoline_kernelINS0_14default_configENS1_35adjacent_difference_config_selectorILb0ElEEZNS1_24adjacent_difference_implIS3_Lb0ELb0EPlS7_ZN2at6native12_GLOBAL__N_124unique_dim_cuda_templateIN3c108BFloat16EEESt5tupleIJNS8_6TensorESF_SF_EERKSF_lbbbEUlllE1_EE10hipError_tPvRmT2_T3_mT4_P12ihipStream_tbEUlT_E_NS1_11comp_targetILNS1_3genE2ELNS1_11target_archE906ELNS1_3gpuE6ELNS1_3repE0EEENS1_30default_config_static_selectorELNS0_4arch9wavefront6targetE1EEEvT1_,comdat
.Lfunc_end1153:
	.size	_ZN7rocprim17ROCPRIM_400000_NS6detail17trampoline_kernelINS0_14default_configENS1_35adjacent_difference_config_selectorILb0ElEEZNS1_24adjacent_difference_implIS3_Lb0ELb0EPlS7_ZN2at6native12_GLOBAL__N_124unique_dim_cuda_templateIN3c108BFloat16EEESt5tupleIJNS8_6TensorESF_SF_EERKSF_lbbbEUlllE1_EE10hipError_tPvRmT2_T3_mT4_P12ihipStream_tbEUlT_E_NS1_11comp_targetILNS1_3genE2ELNS1_11target_archE906ELNS1_3gpuE6ELNS1_3repE0EEENS1_30default_config_static_selectorELNS0_4arch9wavefront6targetE1EEEvT1_, .Lfunc_end1153-_ZN7rocprim17ROCPRIM_400000_NS6detail17trampoline_kernelINS0_14default_configENS1_35adjacent_difference_config_selectorILb0ElEEZNS1_24adjacent_difference_implIS3_Lb0ELb0EPlS7_ZN2at6native12_GLOBAL__N_124unique_dim_cuda_templateIN3c108BFloat16EEESt5tupleIJNS8_6TensorESF_SF_EERKSF_lbbbEUlllE1_EE10hipError_tPvRmT2_T3_mT4_P12ihipStream_tbEUlT_E_NS1_11comp_targetILNS1_3genE2ELNS1_11target_archE906ELNS1_3gpuE6ELNS1_3repE0EEENS1_30default_config_static_selectorELNS0_4arch9wavefront6targetE1EEEvT1_
                                        ; -- End function
	.section	.AMDGPU.csdata,"",@progbits
; Kernel info:
; codeLenInByte = 0
; NumSgprs: 4
; NumVgprs: 0
; NumAgprs: 0
; TotalNumVgprs: 0
; ScratchSize: 0
; MemoryBound: 0
; FloatMode: 240
; IeeeMode: 1
; LDSByteSize: 0 bytes/workgroup (compile time only)
; SGPRBlocks: 0
; VGPRBlocks: 0
; NumSGPRsForWavesPerEU: 4
; NumVGPRsForWavesPerEU: 1
; AccumOffset: 4
; Occupancy: 8
; WaveLimiterHint : 0
; COMPUTE_PGM_RSRC2:SCRATCH_EN: 0
; COMPUTE_PGM_RSRC2:USER_SGPR: 6
; COMPUTE_PGM_RSRC2:TRAP_HANDLER: 0
; COMPUTE_PGM_RSRC2:TGID_X_EN: 1
; COMPUTE_PGM_RSRC2:TGID_Y_EN: 0
; COMPUTE_PGM_RSRC2:TGID_Z_EN: 0
; COMPUTE_PGM_RSRC2:TIDIG_COMP_CNT: 0
; COMPUTE_PGM_RSRC3_GFX90A:ACCUM_OFFSET: 0
; COMPUTE_PGM_RSRC3_GFX90A:TG_SPLIT: 0
	.section	.text._ZN7rocprim17ROCPRIM_400000_NS6detail17trampoline_kernelINS0_14default_configENS1_35adjacent_difference_config_selectorILb0ElEEZNS1_24adjacent_difference_implIS3_Lb0ELb0EPlS7_ZN2at6native12_GLOBAL__N_124unique_dim_cuda_templateIN3c108BFloat16EEESt5tupleIJNS8_6TensorESF_SF_EERKSF_lbbbEUlllE1_EE10hipError_tPvRmT2_T3_mT4_P12ihipStream_tbEUlT_E_NS1_11comp_targetILNS1_3genE9ELNS1_11target_archE1100ELNS1_3gpuE3ELNS1_3repE0EEENS1_30default_config_static_selectorELNS0_4arch9wavefront6targetE1EEEvT1_,"axG",@progbits,_ZN7rocprim17ROCPRIM_400000_NS6detail17trampoline_kernelINS0_14default_configENS1_35adjacent_difference_config_selectorILb0ElEEZNS1_24adjacent_difference_implIS3_Lb0ELb0EPlS7_ZN2at6native12_GLOBAL__N_124unique_dim_cuda_templateIN3c108BFloat16EEESt5tupleIJNS8_6TensorESF_SF_EERKSF_lbbbEUlllE1_EE10hipError_tPvRmT2_T3_mT4_P12ihipStream_tbEUlT_E_NS1_11comp_targetILNS1_3genE9ELNS1_11target_archE1100ELNS1_3gpuE3ELNS1_3repE0EEENS1_30default_config_static_selectorELNS0_4arch9wavefront6targetE1EEEvT1_,comdat
	.globl	_ZN7rocprim17ROCPRIM_400000_NS6detail17trampoline_kernelINS0_14default_configENS1_35adjacent_difference_config_selectorILb0ElEEZNS1_24adjacent_difference_implIS3_Lb0ELb0EPlS7_ZN2at6native12_GLOBAL__N_124unique_dim_cuda_templateIN3c108BFloat16EEESt5tupleIJNS8_6TensorESF_SF_EERKSF_lbbbEUlllE1_EE10hipError_tPvRmT2_T3_mT4_P12ihipStream_tbEUlT_E_NS1_11comp_targetILNS1_3genE9ELNS1_11target_archE1100ELNS1_3gpuE3ELNS1_3repE0EEENS1_30default_config_static_selectorELNS0_4arch9wavefront6targetE1EEEvT1_ ; -- Begin function _ZN7rocprim17ROCPRIM_400000_NS6detail17trampoline_kernelINS0_14default_configENS1_35adjacent_difference_config_selectorILb0ElEEZNS1_24adjacent_difference_implIS3_Lb0ELb0EPlS7_ZN2at6native12_GLOBAL__N_124unique_dim_cuda_templateIN3c108BFloat16EEESt5tupleIJNS8_6TensorESF_SF_EERKSF_lbbbEUlllE1_EE10hipError_tPvRmT2_T3_mT4_P12ihipStream_tbEUlT_E_NS1_11comp_targetILNS1_3genE9ELNS1_11target_archE1100ELNS1_3gpuE3ELNS1_3repE0EEENS1_30default_config_static_selectorELNS0_4arch9wavefront6targetE1EEEvT1_
	.p2align	8
	.type	_ZN7rocprim17ROCPRIM_400000_NS6detail17trampoline_kernelINS0_14default_configENS1_35adjacent_difference_config_selectorILb0ElEEZNS1_24adjacent_difference_implIS3_Lb0ELb0EPlS7_ZN2at6native12_GLOBAL__N_124unique_dim_cuda_templateIN3c108BFloat16EEESt5tupleIJNS8_6TensorESF_SF_EERKSF_lbbbEUlllE1_EE10hipError_tPvRmT2_T3_mT4_P12ihipStream_tbEUlT_E_NS1_11comp_targetILNS1_3genE9ELNS1_11target_archE1100ELNS1_3gpuE3ELNS1_3repE0EEENS1_30default_config_static_selectorELNS0_4arch9wavefront6targetE1EEEvT1_,@function
_ZN7rocprim17ROCPRIM_400000_NS6detail17trampoline_kernelINS0_14default_configENS1_35adjacent_difference_config_selectorILb0ElEEZNS1_24adjacent_difference_implIS3_Lb0ELb0EPlS7_ZN2at6native12_GLOBAL__N_124unique_dim_cuda_templateIN3c108BFloat16EEESt5tupleIJNS8_6TensorESF_SF_EERKSF_lbbbEUlllE1_EE10hipError_tPvRmT2_T3_mT4_P12ihipStream_tbEUlT_E_NS1_11comp_targetILNS1_3genE9ELNS1_11target_archE1100ELNS1_3gpuE3ELNS1_3repE0EEENS1_30default_config_static_selectorELNS0_4arch9wavefront6targetE1EEEvT1_: ; @_ZN7rocprim17ROCPRIM_400000_NS6detail17trampoline_kernelINS0_14default_configENS1_35adjacent_difference_config_selectorILb0ElEEZNS1_24adjacent_difference_implIS3_Lb0ELb0EPlS7_ZN2at6native12_GLOBAL__N_124unique_dim_cuda_templateIN3c108BFloat16EEESt5tupleIJNS8_6TensorESF_SF_EERKSF_lbbbEUlllE1_EE10hipError_tPvRmT2_T3_mT4_P12ihipStream_tbEUlT_E_NS1_11comp_targetILNS1_3genE9ELNS1_11target_archE1100ELNS1_3gpuE3ELNS1_3repE0EEENS1_30default_config_static_selectorELNS0_4arch9wavefront6targetE1EEEvT1_
; %bb.0:
	.section	.rodata,"a",@progbits
	.p2align	6, 0x0
	.amdhsa_kernel _ZN7rocprim17ROCPRIM_400000_NS6detail17trampoline_kernelINS0_14default_configENS1_35adjacent_difference_config_selectorILb0ElEEZNS1_24adjacent_difference_implIS3_Lb0ELb0EPlS7_ZN2at6native12_GLOBAL__N_124unique_dim_cuda_templateIN3c108BFloat16EEESt5tupleIJNS8_6TensorESF_SF_EERKSF_lbbbEUlllE1_EE10hipError_tPvRmT2_T3_mT4_P12ihipStream_tbEUlT_E_NS1_11comp_targetILNS1_3genE9ELNS1_11target_archE1100ELNS1_3gpuE3ELNS1_3repE0EEENS1_30default_config_static_selectorELNS0_4arch9wavefront6targetE1EEEvT1_
		.amdhsa_group_segment_fixed_size 0
		.amdhsa_private_segment_fixed_size 0
		.amdhsa_kernarg_size 64
		.amdhsa_user_sgpr_count 6
		.amdhsa_user_sgpr_private_segment_buffer 1
		.amdhsa_user_sgpr_dispatch_ptr 0
		.amdhsa_user_sgpr_queue_ptr 0
		.amdhsa_user_sgpr_kernarg_segment_ptr 1
		.amdhsa_user_sgpr_dispatch_id 0
		.amdhsa_user_sgpr_flat_scratch_init 0
		.amdhsa_user_sgpr_kernarg_preload_length 0
		.amdhsa_user_sgpr_kernarg_preload_offset 0
		.amdhsa_user_sgpr_private_segment_size 0
		.amdhsa_uses_dynamic_stack 0
		.amdhsa_system_sgpr_private_segment_wavefront_offset 0
		.amdhsa_system_sgpr_workgroup_id_x 1
		.amdhsa_system_sgpr_workgroup_id_y 0
		.amdhsa_system_sgpr_workgroup_id_z 0
		.amdhsa_system_sgpr_workgroup_info 0
		.amdhsa_system_vgpr_workitem_id 0
		.amdhsa_next_free_vgpr 1
		.amdhsa_next_free_sgpr 0
		.amdhsa_accum_offset 4
		.amdhsa_reserve_vcc 0
		.amdhsa_reserve_flat_scratch 0
		.amdhsa_float_round_mode_32 0
		.amdhsa_float_round_mode_16_64 0
		.amdhsa_float_denorm_mode_32 3
		.amdhsa_float_denorm_mode_16_64 3
		.amdhsa_dx10_clamp 1
		.amdhsa_ieee_mode 1
		.amdhsa_fp16_overflow 0
		.amdhsa_tg_split 0
		.amdhsa_exception_fp_ieee_invalid_op 0
		.amdhsa_exception_fp_denorm_src 0
		.amdhsa_exception_fp_ieee_div_zero 0
		.amdhsa_exception_fp_ieee_overflow 0
		.amdhsa_exception_fp_ieee_underflow 0
		.amdhsa_exception_fp_ieee_inexact 0
		.amdhsa_exception_int_div_zero 0
	.end_amdhsa_kernel
	.section	.text._ZN7rocprim17ROCPRIM_400000_NS6detail17trampoline_kernelINS0_14default_configENS1_35adjacent_difference_config_selectorILb0ElEEZNS1_24adjacent_difference_implIS3_Lb0ELb0EPlS7_ZN2at6native12_GLOBAL__N_124unique_dim_cuda_templateIN3c108BFloat16EEESt5tupleIJNS8_6TensorESF_SF_EERKSF_lbbbEUlllE1_EE10hipError_tPvRmT2_T3_mT4_P12ihipStream_tbEUlT_E_NS1_11comp_targetILNS1_3genE9ELNS1_11target_archE1100ELNS1_3gpuE3ELNS1_3repE0EEENS1_30default_config_static_selectorELNS0_4arch9wavefront6targetE1EEEvT1_,"axG",@progbits,_ZN7rocprim17ROCPRIM_400000_NS6detail17trampoline_kernelINS0_14default_configENS1_35adjacent_difference_config_selectorILb0ElEEZNS1_24adjacent_difference_implIS3_Lb0ELb0EPlS7_ZN2at6native12_GLOBAL__N_124unique_dim_cuda_templateIN3c108BFloat16EEESt5tupleIJNS8_6TensorESF_SF_EERKSF_lbbbEUlllE1_EE10hipError_tPvRmT2_T3_mT4_P12ihipStream_tbEUlT_E_NS1_11comp_targetILNS1_3genE9ELNS1_11target_archE1100ELNS1_3gpuE3ELNS1_3repE0EEENS1_30default_config_static_selectorELNS0_4arch9wavefront6targetE1EEEvT1_,comdat
.Lfunc_end1154:
	.size	_ZN7rocprim17ROCPRIM_400000_NS6detail17trampoline_kernelINS0_14default_configENS1_35adjacent_difference_config_selectorILb0ElEEZNS1_24adjacent_difference_implIS3_Lb0ELb0EPlS7_ZN2at6native12_GLOBAL__N_124unique_dim_cuda_templateIN3c108BFloat16EEESt5tupleIJNS8_6TensorESF_SF_EERKSF_lbbbEUlllE1_EE10hipError_tPvRmT2_T3_mT4_P12ihipStream_tbEUlT_E_NS1_11comp_targetILNS1_3genE9ELNS1_11target_archE1100ELNS1_3gpuE3ELNS1_3repE0EEENS1_30default_config_static_selectorELNS0_4arch9wavefront6targetE1EEEvT1_, .Lfunc_end1154-_ZN7rocprim17ROCPRIM_400000_NS6detail17trampoline_kernelINS0_14default_configENS1_35adjacent_difference_config_selectorILb0ElEEZNS1_24adjacent_difference_implIS3_Lb0ELb0EPlS7_ZN2at6native12_GLOBAL__N_124unique_dim_cuda_templateIN3c108BFloat16EEESt5tupleIJNS8_6TensorESF_SF_EERKSF_lbbbEUlllE1_EE10hipError_tPvRmT2_T3_mT4_P12ihipStream_tbEUlT_E_NS1_11comp_targetILNS1_3genE9ELNS1_11target_archE1100ELNS1_3gpuE3ELNS1_3repE0EEENS1_30default_config_static_selectorELNS0_4arch9wavefront6targetE1EEEvT1_
                                        ; -- End function
	.section	.AMDGPU.csdata,"",@progbits
; Kernel info:
; codeLenInByte = 0
; NumSgprs: 4
; NumVgprs: 0
; NumAgprs: 0
; TotalNumVgprs: 0
; ScratchSize: 0
; MemoryBound: 0
; FloatMode: 240
; IeeeMode: 1
; LDSByteSize: 0 bytes/workgroup (compile time only)
; SGPRBlocks: 0
; VGPRBlocks: 0
; NumSGPRsForWavesPerEU: 4
; NumVGPRsForWavesPerEU: 1
; AccumOffset: 4
; Occupancy: 8
; WaveLimiterHint : 0
; COMPUTE_PGM_RSRC2:SCRATCH_EN: 0
; COMPUTE_PGM_RSRC2:USER_SGPR: 6
; COMPUTE_PGM_RSRC2:TRAP_HANDLER: 0
; COMPUTE_PGM_RSRC2:TGID_X_EN: 1
; COMPUTE_PGM_RSRC2:TGID_Y_EN: 0
; COMPUTE_PGM_RSRC2:TGID_Z_EN: 0
; COMPUTE_PGM_RSRC2:TIDIG_COMP_CNT: 0
; COMPUTE_PGM_RSRC3_GFX90A:ACCUM_OFFSET: 0
; COMPUTE_PGM_RSRC3_GFX90A:TG_SPLIT: 0
	.section	.text._ZN7rocprim17ROCPRIM_400000_NS6detail17trampoline_kernelINS0_14default_configENS1_35adjacent_difference_config_selectorILb0ElEEZNS1_24adjacent_difference_implIS3_Lb0ELb0EPlS7_ZN2at6native12_GLOBAL__N_124unique_dim_cuda_templateIN3c108BFloat16EEESt5tupleIJNS8_6TensorESF_SF_EERKSF_lbbbEUlllE1_EE10hipError_tPvRmT2_T3_mT4_P12ihipStream_tbEUlT_E_NS1_11comp_targetILNS1_3genE8ELNS1_11target_archE1030ELNS1_3gpuE2ELNS1_3repE0EEENS1_30default_config_static_selectorELNS0_4arch9wavefront6targetE1EEEvT1_,"axG",@progbits,_ZN7rocprim17ROCPRIM_400000_NS6detail17trampoline_kernelINS0_14default_configENS1_35adjacent_difference_config_selectorILb0ElEEZNS1_24adjacent_difference_implIS3_Lb0ELb0EPlS7_ZN2at6native12_GLOBAL__N_124unique_dim_cuda_templateIN3c108BFloat16EEESt5tupleIJNS8_6TensorESF_SF_EERKSF_lbbbEUlllE1_EE10hipError_tPvRmT2_T3_mT4_P12ihipStream_tbEUlT_E_NS1_11comp_targetILNS1_3genE8ELNS1_11target_archE1030ELNS1_3gpuE2ELNS1_3repE0EEENS1_30default_config_static_selectorELNS0_4arch9wavefront6targetE1EEEvT1_,comdat
	.globl	_ZN7rocprim17ROCPRIM_400000_NS6detail17trampoline_kernelINS0_14default_configENS1_35adjacent_difference_config_selectorILb0ElEEZNS1_24adjacent_difference_implIS3_Lb0ELb0EPlS7_ZN2at6native12_GLOBAL__N_124unique_dim_cuda_templateIN3c108BFloat16EEESt5tupleIJNS8_6TensorESF_SF_EERKSF_lbbbEUlllE1_EE10hipError_tPvRmT2_T3_mT4_P12ihipStream_tbEUlT_E_NS1_11comp_targetILNS1_3genE8ELNS1_11target_archE1030ELNS1_3gpuE2ELNS1_3repE0EEENS1_30default_config_static_selectorELNS0_4arch9wavefront6targetE1EEEvT1_ ; -- Begin function _ZN7rocprim17ROCPRIM_400000_NS6detail17trampoline_kernelINS0_14default_configENS1_35adjacent_difference_config_selectorILb0ElEEZNS1_24adjacent_difference_implIS3_Lb0ELb0EPlS7_ZN2at6native12_GLOBAL__N_124unique_dim_cuda_templateIN3c108BFloat16EEESt5tupleIJNS8_6TensorESF_SF_EERKSF_lbbbEUlllE1_EE10hipError_tPvRmT2_T3_mT4_P12ihipStream_tbEUlT_E_NS1_11comp_targetILNS1_3genE8ELNS1_11target_archE1030ELNS1_3gpuE2ELNS1_3repE0EEENS1_30default_config_static_selectorELNS0_4arch9wavefront6targetE1EEEvT1_
	.p2align	8
	.type	_ZN7rocprim17ROCPRIM_400000_NS6detail17trampoline_kernelINS0_14default_configENS1_35adjacent_difference_config_selectorILb0ElEEZNS1_24adjacent_difference_implIS3_Lb0ELb0EPlS7_ZN2at6native12_GLOBAL__N_124unique_dim_cuda_templateIN3c108BFloat16EEESt5tupleIJNS8_6TensorESF_SF_EERKSF_lbbbEUlllE1_EE10hipError_tPvRmT2_T3_mT4_P12ihipStream_tbEUlT_E_NS1_11comp_targetILNS1_3genE8ELNS1_11target_archE1030ELNS1_3gpuE2ELNS1_3repE0EEENS1_30default_config_static_selectorELNS0_4arch9wavefront6targetE1EEEvT1_,@function
_ZN7rocprim17ROCPRIM_400000_NS6detail17trampoline_kernelINS0_14default_configENS1_35adjacent_difference_config_selectorILb0ElEEZNS1_24adjacent_difference_implIS3_Lb0ELb0EPlS7_ZN2at6native12_GLOBAL__N_124unique_dim_cuda_templateIN3c108BFloat16EEESt5tupleIJNS8_6TensorESF_SF_EERKSF_lbbbEUlllE1_EE10hipError_tPvRmT2_T3_mT4_P12ihipStream_tbEUlT_E_NS1_11comp_targetILNS1_3genE8ELNS1_11target_archE1030ELNS1_3gpuE2ELNS1_3repE0EEENS1_30default_config_static_selectorELNS0_4arch9wavefront6targetE1EEEvT1_: ; @_ZN7rocprim17ROCPRIM_400000_NS6detail17trampoline_kernelINS0_14default_configENS1_35adjacent_difference_config_selectorILb0ElEEZNS1_24adjacent_difference_implIS3_Lb0ELb0EPlS7_ZN2at6native12_GLOBAL__N_124unique_dim_cuda_templateIN3c108BFloat16EEESt5tupleIJNS8_6TensorESF_SF_EERKSF_lbbbEUlllE1_EE10hipError_tPvRmT2_T3_mT4_P12ihipStream_tbEUlT_E_NS1_11comp_targetILNS1_3genE8ELNS1_11target_archE1030ELNS1_3gpuE2ELNS1_3repE0EEENS1_30default_config_static_selectorELNS0_4arch9wavefront6targetE1EEEvT1_
; %bb.0:
	.section	.rodata,"a",@progbits
	.p2align	6, 0x0
	.amdhsa_kernel _ZN7rocprim17ROCPRIM_400000_NS6detail17trampoline_kernelINS0_14default_configENS1_35adjacent_difference_config_selectorILb0ElEEZNS1_24adjacent_difference_implIS3_Lb0ELb0EPlS7_ZN2at6native12_GLOBAL__N_124unique_dim_cuda_templateIN3c108BFloat16EEESt5tupleIJNS8_6TensorESF_SF_EERKSF_lbbbEUlllE1_EE10hipError_tPvRmT2_T3_mT4_P12ihipStream_tbEUlT_E_NS1_11comp_targetILNS1_3genE8ELNS1_11target_archE1030ELNS1_3gpuE2ELNS1_3repE0EEENS1_30default_config_static_selectorELNS0_4arch9wavefront6targetE1EEEvT1_
		.amdhsa_group_segment_fixed_size 0
		.amdhsa_private_segment_fixed_size 0
		.amdhsa_kernarg_size 64
		.amdhsa_user_sgpr_count 6
		.amdhsa_user_sgpr_private_segment_buffer 1
		.amdhsa_user_sgpr_dispatch_ptr 0
		.amdhsa_user_sgpr_queue_ptr 0
		.amdhsa_user_sgpr_kernarg_segment_ptr 1
		.amdhsa_user_sgpr_dispatch_id 0
		.amdhsa_user_sgpr_flat_scratch_init 0
		.amdhsa_user_sgpr_kernarg_preload_length 0
		.amdhsa_user_sgpr_kernarg_preload_offset 0
		.amdhsa_user_sgpr_private_segment_size 0
		.amdhsa_uses_dynamic_stack 0
		.amdhsa_system_sgpr_private_segment_wavefront_offset 0
		.amdhsa_system_sgpr_workgroup_id_x 1
		.amdhsa_system_sgpr_workgroup_id_y 0
		.amdhsa_system_sgpr_workgroup_id_z 0
		.amdhsa_system_sgpr_workgroup_info 0
		.amdhsa_system_vgpr_workitem_id 0
		.amdhsa_next_free_vgpr 1
		.amdhsa_next_free_sgpr 0
		.amdhsa_accum_offset 4
		.amdhsa_reserve_vcc 0
		.amdhsa_reserve_flat_scratch 0
		.amdhsa_float_round_mode_32 0
		.amdhsa_float_round_mode_16_64 0
		.amdhsa_float_denorm_mode_32 3
		.amdhsa_float_denorm_mode_16_64 3
		.amdhsa_dx10_clamp 1
		.amdhsa_ieee_mode 1
		.amdhsa_fp16_overflow 0
		.amdhsa_tg_split 0
		.amdhsa_exception_fp_ieee_invalid_op 0
		.amdhsa_exception_fp_denorm_src 0
		.amdhsa_exception_fp_ieee_div_zero 0
		.amdhsa_exception_fp_ieee_overflow 0
		.amdhsa_exception_fp_ieee_underflow 0
		.amdhsa_exception_fp_ieee_inexact 0
		.amdhsa_exception_int_div_zero 0
	.end_amdhsa_kernel
	.section	.text._ZN7rocprim17ROCPRIM_400000_NS6detail17trampoline_kernelINS0_14default_configENS1_35adjacent_difference_config_selectorILb0ElEEZNS1_24adjacent_difference_implIS3_Lb0ELb0EPlS7_ZN2at6native12_GLOBAL__N_124unique_dim_cuda_templateIN3c108BFloat16EEESt5tupleIJNS8_6TensorESF_SF_EERKSF_lbbbEUlllE1_EE10hipError_tPvRmT2_T3_mT4_P12ihipStream_tbEUlT_E_NS1_11comp_targetILNS1_3genE8ELNS1_11target_archE1030ELNS1_3gpuE2ELNS1_3repE0EEENS1_30default_config_static_selectorELNS0_4arch9wavefront6targetE1EEEvT1_,"axG",@progbits,_ZN7rocprim17ROCPRIM_400000_NS6detail17trampoline_kernelINS0_14default_configENS1_35adjacent_difference_config_selectorILb0ElEEZNS1_24adjacent_difference_implIS3_Lb0ELb0EPlS7_ZN2at6native12_GLOBAL__N_124unique_dim_cuda_templateIN3c108BFloat16EEESt5tupleIJNS8_6TensorESF_SF_EERKSF_lbbbEUlllE1_EE10hipError_tPvRmT2_T3_mT4_P12ihipStream_tbEUlT_E_NS1_11comp_targetILNS1_3genE8ELNS1_11target_archE1030ELNS1_3gpuE2ELNS1_3repE0EEENS1_30default_config_static_selectorELNS0_4arch9wavefront6targetE1EEEvT1_,comdat
.Lfunc_end1155:
	.size	_ZN7rocprim17ROCPRIM_400000_NS6detail17trampoline_kernelINS0_14default_configENS1_35adjacent_difference_config_selectorILb0ElEEZNS1_24adjacent_difference_implIS3_Lb0ELb0EPlS7_ZN2at6native12_GLOBAL__N_124unique_dim_cuda_templateIN3c108BFloat16EEESt5tupleIJNS8_6TensorESF_SF_EERKSF_lbbbEUlllE1_EE10hipError_tPvRmT2_T3_mT4_P12ihipStream_tbEUlT_E_NS1_11comp_targetILNS1_3genE8ELNS1_11target_archE1030ELNS1_3gpuE2ELNS1_3repE0EEENS1_30default_config_static_selectorELNS0_4arch9wavefront6targetE1EEEvT1_, .Lfunc_end1155-_ZN7rocprim17ROCPRIM_400000_NS6detail17trampoline_kernelINS0_14default_configENS1_35adjacent_difference_config_selectorILb0ElEEZNS1_24adjacent_difference_implIS3_Lb0ELb0EPlS7_ZN2at6native12_GLOBAL__N_124unique_dim_cuda_templateIN3c108BFloat16EEESt5tupleIJNS8_6TensorESF_SF_EERKSF_lbbbEUlllE1_EE10hipError_tPvRmT2_T3_mT4_P12ihipStream_tbEUlT_E_NS1_11comp_targetILNS1_3genE8ELNS1_11target_archE1030ELNS1_3gpuE2ELNS1_3repE0EEENS1_30default_config_static_selectorELNS0_4arch9wavefront6targetE1EEEvT1_
                                        ; -- End function
	.section	.AMDGPU.csdata,"",@progbits
; Kernel info:
; codeLenInByte = 0
; NumSgprs: 4
; NumVgprs: 0
; NumAgprs: 0
; TotalNumVgprs: 0
; ScratchSize: 0
; MemoryBound: 0
; FloatMode: 240
; IeeeMode: 1
; LDSByteSize: 0 bytes/workgroup (compile time only)
; SGPRBlocks: 0
; VGPRBlocks: 0
; NumSGPRsForWavesPerEU: 4
; NumVGPRsForWavesPerEU: 1
; AccumOffset: 4
; Occupancy: 8
; WaveLimiterHint : 0
; COMPUTE_PGM_RSRC2:SCRATCH_EN: 0
; COMPUTE_PGM_RSRC2:USER_SGPR: 6
; COMPUTE_PGM_RSRC2:TRAP_HANDLER: 0
; COMPUTE_PGM_RSRC2:TGID_X_EN: 1
; COMPUTE_PGM_RSRC2:TGID_Y_EN: 0
; COMPUTE_PGM_RSRC2:TGID_Z_EN: 0
; COMPUTE_PGM_RSRC2:TIDIG_COMP_CNT: 0
; COMPUTE_PGM_RSRC3_GFX90A:ACCUM_OFFSET: 0
; COMPUTE_PGM_RSRC3_GFX90A:TG_SPLIT: 0
	.section	.text._ZN7rocprim17ROCPRIM_400000_NS6detail17trampoline_kernelINS0_14default_configENS1_25transform_config_selectorIlLb0EEEZNS1_14transform_implILb0ES3_S5_NS0_18transform_iteratorINS0_17counting_iteratorImlEEZNS1_24adjacent_difference_implIS3_Lb1ELb0EPlSB_ZN2at6native12_GLOBAL__N_124unique_dim_cuda_templateIN3c108BFloat16EEESt5tupleIJNSC_6TensorESJ_SJ_EERKSJ_lbbbEUlllE1_EE10hipError_tPvRmT2_T3_mT4_P12ihipStream_tbEUlmE_lEESB_NS0_8identityIvEEEESO_SR_SS_mST_SV_bEUlT_E_NS1_11comp_targetILNS1_3genE0ELNS1_11target_archE4294967295ELNS1_3gpuE0ELNS1_3repE0EEENS1_30default_config_static_selectorELNS0_4arch9wavefront6targetE1EEEvT1_,"axG",@progbits,_ZN7rocprim17ROCPRIM_400000_NS6detail17trampoline_kernelINS0_14default_configENS1_25transform_config_selectorIlLb0EEEZNS1_14transform_implILb0ES3_S5_NS0_18transform_iteratorINS0_17counting_iteratorImlEEZNS1_24adjacent_difference_implIS3_Lb1ELb0EPlSB_ZN2at6native12_GLOBAL__N_124unique_dim_cuda_templateIN3c108BFloat16EEESt5tupleIJNSC_6TensorESJ_SJ_EERKSJ_lbbbEUlllE1_EE10hipError_tPvRmT2_T3_mT4_P12ihipStream_tbEUlmE_lEESB_NS0_8identityIvEEEESO_SR_SS_mST_SV_bEUlT_E_NS1_11comp_targetILNS1_3genE0ELNS1_11target_archE4294967295ELNS1_3gpuE0ELNS1_3repE0EEENS1_30default_config_static_selectorELNS0_4arch9wavefront6targetE1EEEvT1_,comdat
	.globl	_ZN7rocprim17ROCPRIM_400000_NS6detail17trampoline_kernelINS0_14default_configENS1_25transform_config_selectorIlLb0EEEZNS1_14transform_implILb0ES3_S5_NS0_18transform_iteratorINS0_17counting_iteratorImlEEZNS1_24adjacent_difference_implIS3_Lb1ELb0EPlSB_ZN2at6native12_GLOBAL__N_124unique_dim_cuda_templateIN3c108BFloat16EEESt5tupleIJNSC_6TensorESJ_SJ_EERKSJ_lbbbEUlllE1_EE10hipError_tPvRmT2_T3_mT4_P12ihipStream_tbEUlmE_lEESB_NS0_8identityIvEEEESO_SR_SS_mST_SV_bEUlT_E_NS1_11comp_targetILNS1_3genE0ELNS1_11target_archE4294967295ELNS1_3gpuE0ELNS1_3repE0EEENS1_30default_config_static_selectorELNS0_4arch9wavefront6targetE1EEEvT1_ ; -- Begin function _ZN7rocprim17ROCPRIM_400000_NS6detail17trampoline_kernelINS0_14default_configENS1_25transform_config_selectorIlLb0EEEZNS1_14transform_implILb0ES3_S5_NS0_18transform_iteratorINS0_17counting_iteratorImlEEZNS1_24adjacent_difference_implIS3_Lb1ELb0EPlSB_ZN2at6native12_GLOBAL__N_124unique_dim_cuda_templateIN3c108BFloat16EEESt5tupleIJNSC_6TensorESJ_SJ_EERKSJ_lbbbEUlllE1_EE10hipError_tPvRmT2_T3_mT4_P12ihipStream_tbEUlmE_lEESB_NS0_8identityIvEEEESO_SR_SS_mST_SV_bEUlT_E_NS1_11comp_targetILNS1_3genE0ELNS1_11target_archE4294967295ELNS1_3gpuE0ELNS1_3repE0EEENS1_30default_config_static_selectorELNS0_4arch9wavefront6targetE1EEEvT1_
	.p2align	8
	.type	_ZN7rocprim17ROCPRIM_400000_NS6detail17trampoline_kernelINS0_14default_configENS1_25transform_config_selectorIlLb0EEEZNS1_14transform_implILb0ES3_S5_NS0_18transform_iteratorINS0_17counting_iteratorImlEEZNS1_24adjacent_difference_implIS3_Lb1ELb0EPlSB_ZN2at6native12_GLOBAL__N_124unique_dim_cuda_templateIN3c108BFloat16EEESt5tupleIJNSC_6TensorESJ_SJ_EERKSJ_lbbbEUlllE1_EE10hipError_tPvRmT2_T3_mT4_P12ihipStream_tbEUlmE_lEESB_NS0_8identityIvEEEESO_SR_SS_mST_SV_bEUlT_E_NS1_11comp_targetILNS1_3genE0ELNS1_11target_archE4294967295ELNS1_3gpuE0ELNS1_3repE0EEENS1_30default_config_static_selectorELNS0_4arch9wavefront6targetE1EEEvT1_,@function
_ZN7rocprim17ROCPRIM_400000_NS6detail17trampoline_kernelINS0_14default_configENS1_25transform_config_selectorIlLb0EEEZNS1_14transform_implILb0ES3_S5_NS0_18transform_iteratorINS0_17counting_iteratorImlEEZNS1_24adjacent_difference_implIS3_Lb1ELb0EPlSB_ZN2at6native12_GLOBAL__N_124unique_dim_cuda_templateIN3c108BFloat16EEESt5tupleIJNSC_6TensorESJ_SJ_EERKSJ_lbbbEUlllE1_EE10hipError_tPvRmT2_T3_mT4_P12ihipStream_tbEUlmE_lEESB_NS0_8identityIvEEEESO_SR_SS_mST_SV_bEUlT_E_NS1_11comp_targetILNS1_3genE0ELNS1_11target_archE4294967295ELNS1_3gpuE0ELNS1_3repE0EEENS1_30default_config_static_selectorELNS0_4arch9wavefront6targetE1EEEvT1_: ; @_ZN7rocprim17ROCPRIM_400000_NS6detail17trampoline_kernelINS0_14default_configENS1_25transform_config_selectorIlLb0EEEZNS1_14transform_implILb0ES3_S5_NS0_18transform_iteratorINS0_17counting_iteratorImlEEZNS1_24adjacent_difference_implIS3_Lb1ELb0EPlSB_ZN2at6native12_GLOBAL__N_124unique_dim_cuda_templateIN3c108BFloat16EEESt5tupleIJNSC_6TensorESJ_SJ_EERKSJ_lbbbEUlllE1_EE10hipError_tPvRmT2_T3_mT4_P12ihipStream_tbEUlmE_lEESB_NS0_8identityIvEEEESO_SR_SS_mST_SV_bEUlT_E_NS1_11comp_targetILNS1_3genE0ELNS1_11target_archE4294967295ELNS1_3gpuE0ELNS1_3repE0EEENS1_30default_config_static_selectorELNS0_4arch9wavefront6targetE1EEEvT1_
; %bb.0:
	.section	.rodata,"a",@progbits
	.p2align	6, 0x0
	.amdhsa_kernel _ZN7rocprim17ROCPRIM_400000_NS6detail17trampoline_kernelINS0_14default_configENS1_25transform_config_selectorIlLb0EEEZNS1_14transform_implILb0ES3_S5_NS0_18transform_iteratorINS0_17counting_iteratorImlEEZNS1_24adjacent_difference_implIS3_Lb1ELb0EPlSB_ZN2at6native12_GLOBAL__N_124unique_dim_cuda_templateIN3c108BFloat16EEESt5tupleIJNSC_6TensorESJ_SJ_EERKSJ_lbbbEUlllE1_EE10hipError_tPvRmT2_T3_mT4_P12ihipStream_tbEUlmE_lEESB_NS0_8identityIvEEEESO_SR_SS_mST_SV_bEUlT_E_NS1_11comp_targetILNS1_3genE0ELNS1_11target_archE4294967295ELNS1_3gpuE0ELNS1_3repE0EEENS1_30default_config_static_selectorELNS0_4arch9wavefront6targetE1EEEvT1_
		.amdhsa_group_segment_fixed_size 0
		.amdhsa_private_segment_fixed_size 0
		.amdhsa_kernarg_size 56
		.amdhsa_user_sgpr_count 6
		.amdhsa_user_sgpr_private_segment_buffer 1
		.amdhsa_user_sgpr_dispatch_ptr 0
		.amdhsa_user_sgpr_queue_ptr 0
		.amdhsa_user_sgpr_kernarg_segment_ptr 1
		.amdhsa_user_sgpr_dispatch_id 0
		.amdhsa_user_sgpr_flat_scratch_init 0
		.amdhsa_user_sgpr_kernarg_preload_length 0
		.amdhsa_user_sgpr_kernarg_preload_offset 0
		.amdhsa_user_sgpr_private_segment_size 0
		.amdhsa_uses_dynamic_stack 0
		.amdhsa_system_sgpr_private_segment_wavefront_offset 0
		.amdhsa_system_sgpr_workgroup_id_x 1
		.amdhsa_system_sgpr_workgroup_id_y 0
		.amdhsa_system_sgpr_workgroup_id_z 0
		.amdhsa_system_sgpr_workgroup_info 0
		.amdhsa_system_vgpr_workitem_id 0
		.amdhsa_next_free_vgpr 1
		.amdhsa_next_free_sgpr 0
		.amdhsa_accum_offset 4
		.amdhsa_reserve_vcc 0
		.amdhsa_reserve_flat_scratch 0
		.amdhsa_float_round_mode_32 0
		.amdhsa_float_round_mode_16_64 0
		.amdhsa_float_denorm_mode_32 3
		.amdhsa_float_denorm_mode_16_64 3
		.amdhsa_dx10_clamp 1
		.amdhsa_ieee_mode 1
		.amdhsa_fp16_overflow 0
		.amdhsa_tg_split 0
		.amdhsa_exception_fp_ieee_invalid_op 0
		.amdhsa_exception_fp_denorm_src 0
		.amdhsa_exception_fp_ieee_div_zero 0
		.amdhsa_exception_fp_ieee_overflow 0
		.amdhsa_exception_fp_ieee_underflow 0
		.amdhsa_exception_fp_ieee_inexact 0
		.amdhsa_exception_int_div_zero 0
	.end_amdhsa_kernel
	.section	.text._ZN7rocprim17ROCPRIM_400000_NS6detail17trampoline_kernelINS0_14default_configENS1_25transform_config_selectorIlLb0EEEZNS1_14transform_implILb0ES3_S5_NS0_18transform_iteratorINS0_17counting_iteratorImlEEZNS1_24adjacent_difference_implIS3_Lb1ELb0EPlSB_ZN2at6native12_GLOBAL__N_124unique_dim_cuda_templateIN3c108BFloat16EEESt5tupleIJNSC_6TensorESJ_SJ_EERKSJ_lbbbEUlllE1_EE10hipError_tPvRmT2_T3_mT4_P12ihipStream_tbEUlmE_lEESB_NS0_8identityIvEEEESO_SR_SS_mST_SV_bEUlT_E_NS1_11comp_targetILNS1_3genE0ELNS1_11target_archE4294967295ELNS1_3gpuE0ELNS1_3repE0EEENS1_30default_config_static_selectorELNS0_4arch9wavefront6targetE1EEEvT1_,"axG",@progbits,_ZN7rocprim17ROCPRIM_400000_NS6detail17trampoline_kernelINS0_14default_configENS1_25transform_config_selectorIlLb0EEEZNS1_14transform_implILb0ES3_S5_NS0_18transform_iteratorINS0_17counting_iteratorImlEEZNS1_24adjacent_difference_implIS3_Lb1ELb0EPlSB_ZN2at6native12_GLOBAL__N_124unique_dim_cuda_templateIN3c108BFloat16EEESt5tupleIJNSC_6TensorESJ_SJ_EERKSJ_lbbbEUlllE1_EE10hipError_tPvRmT2_T3_mT4_P12ihipStream_tbEUlmE_lEESB_NS0_8identityIvEEEESO_SR_SS_mST_SV_bEUlT_E_NS1_11comp_targetILNS1_3genE0ELNS1_11target_archE4294967295ELNS1_3gpuE0ELNS1_3repE0EEENS1_30default_config_static_selectorELNS0_4arch9wavefront6targetE1EEEvT1_,comdat
.Lfunc_end1156:
	.size	_ZN7rocprim17ROCPRIM_400000_NS6detail17trampoline_kernelINS0_14default_configENS1_25transform_config_selectorIlLb0EEEZNS1_14transform_implILb0ES3_S5_NS0_18transform_iteratorINS0_17counting_iteratorImlEEZNS1_24adjacent_difference_implIS3_Lb1ELb0EPlSB_ZN2at6native12_GLOBAL__N_124unique_dim_cuda_templateIN3c108BFloat16EEESt5tupleIJNSC_6TensorESJ_SJ_EERKSJ_lbbbEUlllE1_EE10hipError_tPvRmT2_T3_mT4_P12ihipStream_tbEUlmE_lEESB_NS0_8identityIvEEEESO_SR_SS_mST_SV_bEUlT_E_NS1_11comp_targetILNS1_3genE0ELNS1_11target_archE4294967295ELNS1_3gpuE0ELNS1_3repE0EEENS1_30default_config_static_selectorELNS0_4arch9wavefront6targetE1EEEvT1_, .Lfunc_end1156-_ZN7rocprim17ROCPRIM_400000_NS6detail17trampoline_kernelINS0_14default_configENS1_25transform_config_selectorIlLb0EEEZNS1_14transform_implILb0ES3_S5_NS0_18transform_iteratorINS0_17counting_iteratorImlEEZNS1_24adjacent_difference_implIS3_Lb1ELb0EPlSB_ZN2at6native12_GLOBAL__N_124unique_dim_cuda_templateIN3c108BFloat16EEESt5tupleIJNSC_6TensorESJ_SJ_EERKSJ_lbbbEUlllE1_EE10hipError_tPvRmT2_T3_mT4_P12ihipStream_tbEUlmE_lEESB_NS0_8identityIvEEEESO_SR_SS_mST_SV_bEUlT_E_NS1_11comp_targetILNS1_3genE0ELNS1_11target_archE4294967295ELNS1_3gpuE0ELNS1_3repE0EEENS1_30default_config_static_selectorELNS0_4arch9wavefront6targetE1EEEvT1_
                                        ; -- End function
	.section	.AMDGPU.csdata,"",@progbits
; Kernel info:
; codeLenInByte = 0
; NumSgprs: 4
; NumVgprs: 0
; NumAgprs: 0
; TotalNumVgprs: 0
; ScratchSize: 0
; MemoryBound: 0
; FloatMode: 240
; IeeeMode: 1
; LDSByteSize: 0 bytes/workgroup (compile time only)
; SGPRBlocks: 0
; VGPRBlocks: 0
; NumSGPRsForWavesPerEU: 4
; NumVGPRsForWavesPerEU: 1
; AccumOffset: 4
; Occupancy: 8
; WaveLimiterHint : 0
; COMPUTE_PGM_RSRC2:SCRATCH_EN: 0
; COMPUTE_PGM_RSRC2:USER_SGPR: 6
; COMPUTE_PGM_RSRC2:TRAP_HANDLER: 0
; COMPUTE_PGM_RSRC2:TGID_X_EN: 1
; COMPUTE_PGM_RSRC2:TGID_Y_EN: 0
; COMPUTE_PGM_RSRC2:TGID_Z_EN: 0
; COMPUTE_PGM_RSRC2:TIDIG_COMP_CNT: 0
; COMPUTE_PGM_RSRC3_GFX90A:ACCUM_OFFSET: 0
; COMPUTE_PGM_RSRC3_GFX90A:TG_SPLIT: 0
	.section	.text._ZN7rocprim17ROCPRIM_400000_NS6detail17trampoline_kernelINS0_14default_configENS1_25transform_config_selectorIlLb0EEEZNS1_14transform_implILb0ES3_S5_NS0_18transform_iteratorINS0_17counting_iteratorImlEEZNS1_24adjacent_difference_implIS3_Lb1ELb0EPlSB_ZN2at6native12_GLOBAL__N_124unique_dim_cuda_templateIN3c108BFloat16EEESt5tupleIJNSC_6TensorESJ_SJ_EERKSJ_lbbbEUlllE1_EE10hipError_tPvRmT2_T3_mT4_P12ihipStream_tbEUlmE_lEESB_NS0_8identityIvEEEESO_SR_SS_mST_SV_bEUlT_E_NS1_11comp_targetILNS1_3genE5ELNS1_11target_archE942ELNS1_3gpuE9ELNS1_3repE0EEENS1_30default_config_static_selectorELNS0_4arch9wavefront6targetE1EEEvT1_,"axG",@progbits,_ZN7rocprim17ROCPRIM_400000_NS6detail17trampoline_kernelINS0_14default_configENS1_25transform_config_selectorIlLb0EEEZNS1_14transform_implILb0ES3_S5_NS0_18transform_iteratorINS0_17counting_iteratorImlEEZNS1_24adjacent_difference_implIS3_Lb1ELb0EPlSB_ZN2at6native12_GLOBAL__N_124unique_dim_cuda_templateIN3c108BFloat16EEESt5tupleIJNSC_6TensorESJ_SJ_EERKSJ_lbbbEUlllE1_EE10hipError_tPvRmT2_T3_mT4_P12ihipStream_tbEUlmE_lEESB_NS0_8identityIvEEEESO_SR_SS_mST_SV_bEUlT_E_NS1_11comp_targetILNS1_3genE5ELNS1_11target_archE942ELNS1_3gpuE9ELNS1_3repE0EEENS1_30default_config_static_selectorELNS0_4arch9wavefront6targetE1EEEvT1_,comdat
	.globl	_ZN7rocprim17ROCPRIM_400000_NS6detail17trampoline_kernelINS0_14default_configENS1_25transform_config_selectorIlLb0EEEZNS1_14transform_implILb0ES3_S5_NS0_18transform_iteratorINS0_17counting_iteratorImlEEZNS1_24adjacent_difference_implIS3_Lb1ELb0EPlSB_ZN2at6native12_GLOBAL__N_124unique_dim_cuda_templateIN3c108BFloat16EEESt5tupleIJNSC_6TensorESJ_SJ_EERKSJ_lbbbEUlllE1_EE10hipError_tPvRmT2_T3_mT4_P12ihipStream_tbEUlmE_lEESB_NS0_8identityIvEEEESO_SR_SS_mST_SV_bEUlT_E_NS1_11comp_targetILNS1_3genE5ELNS1_11target_archE942ELNS1_3gpuE9ELNS1_3repE0EEENS1_30default_config_static_selectorELNS0_4arch9wavefront6targetE1EEEvT1_ ; -- Begin function _ZN7rocprim17ROCPRIM_400000_NS6detail17trampoline_kernelINS0_14default_configENS1_25transform_config_selectorIlLb0EEEZNS1_14transform_implILb0ES3_S5_NS0_18transform_iteratorINS0_17counting_iteratorImlEEZNS1_24adjacent_difference_implIS3_Lb1ELb0EPlSB_ZN2at6native12_GLOBAL__N_124unique_dim_cuda_templateIN3c108BFloat16EEESt5tupleIJNSC_6TensorESJ_SJ_EERKSJ_lbbbEUlllE1_EE10hipError_tPvRmT2_T3_mT4_P12ihipStream_tbEUlmE_lEESB_NS0_8identityIvEEEESO_SR_SS_mST_SV_bEUlT_E_NS1_11comp_targetILNS1_3genE5ELNS1_11target_archE942ELNS1_3gpuE9ELNS1_3repE0EEENS1_30default_config_static_selectorELNS0_4arch9wavefront6targetE1EEEvT1_
	.p2align	8
	.type	_ZN7rocprim17ROCPRIM_400000_NS6detail17trampoline_kernelINS0_14default_configENS1_25transform_config_selectorIlLb0EEEZNS1_14transform_implILb0ES3_S5_NS0_18transform_iteratorINS0_17counting_iteratorImlEEZNS1_24adjacent_difference_implIS3_Lb1ELb0EPlSB_ZN2at6native12_GLOBAL__N_124unique_dim_cuda_templateIN3c108BFloat16EEESt5tupleIJNSC_6TensorESJ_SJ_EERKSJ_lbbbEUlllE1_EE10hipError_tPvRmT2_T3_mT4_P12ihipStream_tbEUlmE_lEESB_NS0_8identityIvEEEESO_SR_SS_mST_SV_bEUlT_E_NS1_11comp_targetILNS1_3genE5ELNS1_11target_archE942ELNS1_3gpuE9ELNS1_3repE0EEENS1_30default_config_static_selectorELNS0_4arch9wavefront6targetE1EEEvT1_,@function
_ZN7rocprim17ROCPRIM_400000_NS6detail17trampoline_kernelINS0_14default_configENS1_25transform_config_selectorIlLb0EEEZNS1_14transform_implILb0ES3_S5_NS0_18transform_iteratorINS0_17counting_iteratorImlEEZNS1_24adjacent_difference_implIS3_Lb1ELb0EPlSB_ZN2at6native12_GLOBAL__N_124unique_dim_cuda_templateIN3c108BFloat16EEESt5tupleIJNSC_6TensorESJ_SJ_EERKSJ_lbbbEUlllE1_EE10hipError_tPvRmT2_T3_mT4_P12ihipStream_tbEUlmE_lEESB_NS0_8identityIvEEEESO_SR_SS_mST_SV_bEUlT_E_NS1_11comp_targetILNS1_3genE5ELNS1_11target_archE942ELNS1_3gpuE9ELNS1_3repE0EEENS1_30default_config_static_selectorELNS0_4arch9wavefront6targetE1EEEvT1_: ; @_ZN7rocprim17ROCPRIM_400000_NS6detail17trampoline_kernelINS0_14default_configENS1_25transform_config_selectorIlLb0EEEZNS1_14transform_implILb0ES3_S5_NS0_18transform_iteratorINS0_17counting_iteratorImlEEZNS1_24adjacent_difference_implIS3_Lb1ELb0EPlSB_ZN2at6native12_GLOBAL__N_124unique_dim_cuda_templateIN3c108BFloat16EEESt5tupleIJNSC_6TensorESJ_SJ_EERKSJ_lbbbEUlllE1_EE10hipError_tPvRmT2_T3_mT4_P12ihipStream_tbEUlmE_lEESB_NS0_8identityIvEEEESO_SR_SS_mST_SV_bEUlT_E_NS1_11comp_targetILNS1_3genE5ELNS1_11target_archE942ELNS1_3gpuE9ELNS1_3repE0EEENS1_30default_config_static_selectorELNS0_4arch9wavefront6targetE1EEEvT1_
; %bb.0:
	.section	.rodata,"a",@progbits
	.p2align	6, 0x0
	.amdhsa_kernel _ZN7rocprim17ROCPRIM_400000_NS6detail17trampoline_kernelINS0_14default_configENS1_25transform_config_selectorIlLb0EEEZNS1_14transform_implILb0ES3_S5_NS0_18transform_iteratorINS0_17counting_iteratorImlEEZNS1_24adjacent_difference_implIS3_Lb1ELb0EPlSB_ZN2at6native12_GLOBAL__N_124unique_dim_cuda_templateIN3c108BFloat16EEESt5tupleIJNSC_6TensorESJ_SJ_EERKSJ_lbbbEUlllE1_EE10hipError_tPvRmT2_T3_mT4_P12ihipStream_tbEUlmE_lEESB_NS0_8identityIvEEEESO_SR_SS_mST_SV_bEUlT_E_NS1_11comp_targetILNS1_3genE5ELNS1_11target_archE942ELNS1_3gpuE9ELNS1_3repE0EEENS1_30default_config_static_selectorELNS0_4arch9wavefront6targetE1EEEvT1_
		.amdhsa_group_segment_fixed_size 0
		.amdhsa_private_segment_fixed_size 0
		.amdhsa_kernarg_size 56
		.amdhsa_user_sgpr_count 6
		.amdhsa_user_sgpr_private_segment_buffer 1
		.amdhsa_user_sgpr_dispatch_ptr 0
		.amdhsa_user_sgpr_queue_ptr 0
		.amdhsa_user_sgpr_kernarg_segment_ptr 1
		.amdhsa_user_sgpr_dispatch_id 0
		.amdhsa_user_sgpr_flat_scratch_init 0
		.amdhsa_user_sgpr_kernarg_preload_length 0
		.amdhsa_user_sgpr_kernarg_preload_offset 0
		.amdhsa_user_sgpr_private_segment_size 0
		.amdhsa_uses_dynamic_stack 0
		.amdhsa_system_sgpr_private_segment_wavefront_offset 0
		.amdhsa_system_sgpr_workgroup_id_x 1
		.amdhsa_system_sgpr_workgroup_id_y 0
		.amdhsa_system_sgpr_workgroup_id_z 0
		.amdhsa_system_sgpr_workgroup_info 0
		.amdhsa_system_vgpr_workitem_id 0
		.amdhsa_next_free_vgpr 1
		.amdhsa_next_free_sgpr 0
		.amdhsa_accum_offset 4
		.amdhsa_reserve_vcc 0
		.amdhsa_reserve_flat_scratch 0
		.amdhsa_float_round_mode_32 0
		.amdhsa_float_round_mode_16_64 0
		.amdhsa_float_denorm_mode_32 3
		.amdhsa_float_denorm_mode_16_64 3
		.amdhsa_dx10_clamp 1
		.amdhsa_ieee_mode 1
		.amdhsa_fp16_overflow 0
		.amdhsa_tg_split 0
		.amdhsa_exception_fp_ieee_invalid_op 0
		.amdhsa_exception_fp_denorm_src 0
		.amdhsa_exception_fp_ieee_div_zero 0
		.amdhsa_exception_fp_ieee_overflow 0
		.amdhsa_exception_fp_ieee_underflow 0
		.amdhsa_exception_fp_ieee_inexact 0
		.amdhsa_exception_int_div_zero 0
	.end_amdhsa_kernel
	.section	.text._ZN7rocprim17ROCPRIM_400000_NS6detail17trampoline_kernelINS0_14default_configENS1_25transform_config_selectorIlLb0EEEZNS1_14transform_implILb0ES3_S5_NS0_18transform_iteratorINS0_17counting_iteratorImlEEZNS1_24adjacent_difference_implIS3_Lb1ELb0EPlSB_ZN2at6native12_GLOBAL__N_124unique_dim_cuda_templateIN3c108BFloat16EEESt5tupleIJNSC_6TensorESJ_SJ_EERKSJ_lbbbEUlllE1_EE10hipError_tPvRmT2_T3_mT4_P12ihipStream_tbEUlmE_lEESB_NS0_8identityIvEEEESO_SR_SS_mST_SV_bEUlT_E_NS1_11comp_targetILNS1_3genE5ELNS1_11target_archE942ELNS1_3gpuE9ELNS1_3repE0EEENS1_30default_config_static_selectorELNS0_4arch9wavefront6targetE1EEEvT1_,"axG",@progbits,_ZN7rocprim17ROCPRIM_400000_NS6detail17trampoline_kernelINS0_14default_configENS1_25transform_config_selectorIlLb0EEEZNS1_14transform_implILb0ES3_S5_NS0_18transform_iteratorINS0_17counting_iteratorImlEEZNS1_24adjacent_difference_implIS3_Lb1ELb0EPlSB_ZN2at6native12_GLOBAL__N_124unique_dim_cuda_templateIN3c108BFloat16EEESt5tupleIJNSC_6TensorESJ_SJ_EERKSJ_lbbbEUlllE1_EE10hipError_tPvRmT2_T3_mT4_P12ihipStream_tbEUlmE_lEESB_NS0_8identityIvEEEESO_SR_SS_mST_SV_bEUlT_E_NS1_11comp_targetILNS1_3genE5ELNS1_11target_archE942ELNS1_3gpuE9ELNS1_3repE0EEENS1_30default_config_static_selectorELNS0_4arch9wavefront6targetE1EEEvT1_,comdat
.Lfunc_end1157:
	.size	_ZN7rocprim17ROCPRIM_400000_NS6detail17trampoline_kernelINS0_14default_configENS1_25transform_config_selectorIlLb0EEEZNS1_14transform_implILb0ES3_S5_NS0_18transform_iteratorINS0_17counting_iteratorImlEEZNS1_24adjacent_difference_implIS3_Lb1ELb0EPlSB_ZN2at6native12_GLOBAL__N_124unique_dim_cuda_templateIN3c108BFloat16EEESt5tupleIJNSC_6TensorESJ_SJ_EERKSJ_lbbbEUlllE1_EE10hipError_tPvRmT2_T3_mT4_P12ihipStream_tbEUlmE_lEESB_NS0_8identityIvEEEESO_SR_SS_mST_SV_bEUlT_E_NS1_11comp_targetILNS1_3genE5ELNS1_11target_archE942ELNS1_3gpuE9ELNS1_3repE0EEENS1_30default_config_static_selectorELNS0_4arch9wavefront6targetE1EEEvT1_, .Lfunc_end1157-_ZN7rocprim17ROCPRIM_400000_NS6detail17trampoline_kernelINS0_14default_configENS1_25transform_config_selectorIlLb0EEEZNS1_14transform_implILb0ES3_S5_NS0_18transform_iteratorINS0_17counting_iteratorImlEEZNS1_24adjacent_difference_implIS3_Lb1ELb0EPlSB_ZN2at6native12_GLOBAL__N_124unique_dim_cuda_templateIN3c108BFloat16EEESt5tupleIJNSC_6TensorESJ_SJ_EERKSJ_lbbbEUlllE1_EE10hipError_tPvRmT2_T3_mT4_P12ihipStream_tbEUlmE_lEESB_NS0_8identityIvEEEESO_SR_SS_mST_SV_bEUlT_E_NS1_11comp_targetILNS1_3genE5ELNS1_11target_archE942ELNS1_3gpuE9ELNS1_3repE0EEENS1_30default_config_static_selectorELNS0_4arch9wavefront6targetE1EEEvT1_
                                        ; -- End function
	.section	.AMDGPU.csdata,"",@progbits
; Kernel info:
; codeLenInByte = 0
; NumSgprs: 4
; NumVgprs: 0
; NumAgprs: 0
; TotalNumVgprs: 0
; ScratchSize: 0
; MemoryBound: 0
; FloatMode: 240
; IeeeMode: 1
; LDSByteSize: 0 bytes/workgroup (compile time only)
; SGPRBlocks: 0
; VGPRBlocks: 0
; NumSGPRsForWavesPerEU: 4
; NumVGPRsForWavesPerEU: 1
; AccumOffset: 4
; Occupancy: 8
; WaveLimiterHint : 0
; COMPUTE_PGM_RSRC2:SCRATCH_EN: 0
; COMPUTE_PGM_RSRC2:USER_SGPR: 6
; COMPUTE_PGM_RSRC2:TRAP_HANDLER: 0
; COMPUTE_PGM_RSRC2:TGID_X_EN: 1
; COMPUTE_PGM_RSRC2:TGID_Y_EN: 0
; COMPUTE_PGM_RSRC2:TGID_Z_EN: 0
; COMPUTE_PGM_RSRC2:TIDIG_COMP_CNT: 0
; COMPUTE_PGM_RSRC3_GFX90A:ACCUM_OFFSET: 0
; COMPUTE_PGM_RSRC3_GFX90A:TG_SPLIT: 0
	.section	.text._ZN7rocprim17ROCPRIM_400000_NS6detail17trampoline_kernelINS0_14default_configENS1_25transform_config_selectorIlLb0EEEZNS1_14transform_implILb0ES3_S5_NS0_18transform_iteratorINS0_17counting_iteratorImlEEZNS1_24adjacent_difference_implIS3_Lb1ELb0EPlSB_ZN2at6native12_GLOBAL__N_124unique_dim_cuda_templateIN3c108BFloat16EEESt5tupleIJNSC_6TensorESJ_SJ_EERKSJ_lbbbEUlllE1_EE10hipError_tPvRmT2_T3_mT4_P12ihipStream_tbEUlmE_lEESB_NS0_8identityIvEEEESO_SR_SS_mST_SV_bEUlT_E_NS1_11comp_targetILNS1_3genE4ELNS1_11target_archE910ELNS1_3gpuE8ELNS1_3repE0EEENS1_30default_config_static_selectorELNS0_4arch9wavefront6targetE1EEEvT1_,"axG",@progbits,_ZN7rocprim17ROCPRIM_400000_NS6detail17trampoline_kernelINS0_14default_configENS1_25transform_config_selectorIlLb0EEEZNS1_14transform_implILb0ES3_S5_NS0_18transform_iteratorINS0_17counting_iteratorImlEEZNS1_24adjacent_difference_implIS3_Lb1ELb0EPlSB_ZN2at6native12_GLOBAL__N_124unique_dim_cuda_templateIN3c108BFloat16EEESt5tupleIJNSC_6TensorESJ_SJ_EERKSJ_lbbbEUlllE1_EE10hipError_tPvRmT2_T3_mT4_P12ihipStream_tbEUlmE_lEESB_NS0_8identityIvEEEESO_SR_SS_mST_SV_bEUlT_E_NS1_11comp_targetILNS1_3genE4ELNS1_11target_archE910ELNS1_3gpuE8ELNS1_3repE0EEENS1_30default_config_static_selectorELNS0_4arch9wavefront6targetE1EEEvT1_,comdat
	.globl	_ZN7rocprim17ROCPRIM_400000_NS6detail17trampoline_kernelINS0_14default_configENS1_25transform_config_selectorIlLb0EEEZNS1_14transform_implILb0ES3_S5_NS0_18transform_iteratorINS0_17counting_iteratorImlEEZNS1_24adjacent_difference_implIS3_Lb1ELb0EPlSB_ZN2at6native12_GLOBAL__N_124unique_dim_cuda_templateIN3c108BFloat16EEESt5tupleIJNSC_6TensorESJ_SJ_EERKSJ_lbbbEUlllE1_EE10hipError_tPvRmT2_T3_mT4_P12ihipStream_tbEUlmE_lEESB_NS0_8identityIvEEEESO_SR_SS_mST_SV_bEUlT_E_NS1_11comp_targetILNS1_3genE4ELNS1_11target_archE910ELNS1_3gpuE8ELNS1_3repE0EEENS1_30default_config_static_selectorELNS0_4arch9wavefront6targetE1EEEvT1_ ; -- Begin function _ZN7rocprim17ROCPRIM_400000_NS6detail17trampoline_kernelINS0_14default_configENS1_25transform_config_selectorIlLb0EEEZNS1_14transform_implILb0ES3_S5_NS0_18transform_iteratorINS0_17counting_iteratorImlEEZNS1_24adjacent_difference_implIS3_Lb1ELb0EPlSB_ZN2at6native12_GLOBAL__N_124unique_dim_cuda_templateIN3c108BFloat16EEESt5tupleIJNSC_6TensorESJ_SJ_EERKSJ_lbbbEUlllE1_EE10hipError_tPvRmT2_T3_mT4_P12ihipStream_tbEUlmE_lEESB_NS0_8identityIvEEEESO_SR_SS_mST_SV_bEUlT_E_NS1_11comp_targetILNS1_3genE4ELNS1_11target_archE910ELNS1_3gpuE8ELNS1_3repE0EEENS1_30default_config_static_selectorELNS0_4arch9wavefront6targetE1EEEvT1_
	.p2align	8
	.type	_ZN7rocprim17ROCPRIM_400000_NS6detail17trampoline_kernelINS0_14default_configENS1_25transform_config_selectorIlLb0EEEZNS1_14transform_implILb0ES3_S5_NS0_18transform_iteratorINS0_17counting_iteratorImlEEZNS1_24adjacent_difference_implIS3_Lb1ELb0EPlSB_ZN2at6native12_GLOBAL__N_124unique_dim_cuda_templateIN3c108BFloat16EEESt5tupleIJNSC_6TensorESJ_SJ_EERKSJ_lbbbEUlllE1_EE10hipError_tPvRmT2_T3_mT4_P12ihipStream_tbEUlmE_lEESB_NS0_8identityIvEEEESO_SR_SS_mST_SV_bEUlT_E_NS1_11comp_targetILNS1_3genE4ELNS1_11target_archE910ELNS1_3gpuE8ELNS1_3repE0EEENS1_30default_config_static_selectorELNS0_4arch9wavefront6targetE1EEEvT1_,@function
_ZN7rocprim17ROCPRIM_400000_NS6detail17trampoline_kernelINS0_14default_configENS1_25transform_config_selectorIlLb0EEEZNS1_14transform_implILb0ES3_S5_NS0_18transform_iteratorINS0_17counting_iteratorImlEEZNS1_24adjacent_difference_implIS3_Lb1ELb0EPlSB_ZN2at6native12_GLOBAL__N_124unique_dim_cuda_templateIN3c108BFloat16EEESt5tupleIJNSC_6TensorESJ_SJ_EERKSJ_lbbbEUlllE1_EE10hipError_tPvRmT2_T3_mT4_P12ihipStream_tbEUlmE_lEESB_NS0_8identityIvEEEESO_SR_SS_mST_SV_bEUlT_E_NS1_11comp_targetILNS1_3genE4ELNS1_11target_archE910ELNS1_3gpuE8ELNS1_3repE0EEENS1_30default_config_static_selectorELNS0_4arch9wavefront6targetE1EEEvT1_: ; @_ZN7rocprim17ROCPRIM_400000_NS6detail17trampoline_kernelINS0_14default_configENS1_25transform_config_selectorIlLb0EEEZNS1_14transform_implILb0ES3_S5_NS0_18transform_iteratorINS0_17counting_iteratorImlEEZNS1_24adjacent_difference_implIS3_Lb1ELb0EPlSB_ZN2at6native12_GLOBAL__N_124unique_dim_cuda_templateIN3c108BFloat16EEESt5tupleIJNSC_6TensorESJ_SJ_EERKSJ_lbbbEUlllE1_EE10hipError_tPvRmT2_T3_mT4_P12ihipStream_tbEUlmE_lEESB_NS0_8identityIvEEEESO_SR_SS_mST_SV_bEUlT_E_NS1_11comp_targetILNS1_3genE4ELNS1_11target_archE910ELNS1_3gpuE8ELNS1_3repE0EEENS1_30default_config_static_selectorELNS0_4arch9wavefront6targetE1EEEvT1_
; %bb.0:
	s_load_dwordx4 s[0:3], s[4:5], 0x18
	s_load_dwordx2 s[14:15], s[4:5], 0x28
	s_load_dwordx4 s[8:11], s[4:5], 0x0
	s_load_dword s12, s[4:5], 0x10
	s_waitcnt lgkmcnt(0)
	s_load_dword s3, s[4:5], 0x38
                                        ; kill: killed $sgpr4_sgpr5
	s_lshl_b64 s[4:5], s[0:1], 3
	s_add_u32 s14, s14, s4
	s_addc_u32 s15, s15, s5
	s_lshl_b32 s4, s6, 9
	s_waitcnt lgkmcnt(0)
	s_add_i32 s3, s3, -1
	s_add_u32 s7, s8, s4
	s_addc_u32 s8, s9, 0
	s_add_u32 s16, s7, s0
	s_addc_u32 s17, s8, s1
	s_mov_b32 s5, 0
	s_cmp_lg_u32 s6, s3
	v_lshlrev_b32_e32 v1, 3, v0
	s_cbranch_scc0 .LBB1158_2
; %bb.1:
	v_mov_b32_e32 v2, s17
	v_add_co_u32_e32 v3, vcc, s16, v0
	v_addc_co_u32_e32 v5, vcc, 0, v2, vcc
	v_mad_u64_u32 v[2:3], s[0:1], v3, s12, 0
	v_mov_b32_e32 v4, v3
	v_mad_u64_u32 v[4:5], s[0:1], v5, s12, v[4:5]
	v_mov_b32_e32 v3, v4
	v_lshlrev_b64 v[2:3], 3, v[2:3]
	s_mov_b32 s13, s5
	v_mov_b32_e32 v4, s11
	v_add_co_u32_e32 v2, vcc, s10, v2
	v_addc_co_u32_e32 v3, vcc, v4, v3, vcc
	s_lshl_b64 s[0:1], s[12:13], 11
	global_load_dwordx2 v[8:9], v[2:3], off
	v_mov_b32_e32 v4, s1
	v_add_co_u32_e32 v2, vcc, s0, v2
	v_addc_co_u32_e32 v3, vcc, v3, v4, vcc
	global_load_dwordx2 v[4:5], v[2:3], off
	s_lshl_b64 s[6:7], s[4:5], 3
	s_add_u32 s6, s14, s6
	s_addc_u32 s7, s15, s7
	v_mov_b32_e32 v2, s7
	v_add_co_u32_e32 v6, vcc, s6, v1
	v_addc_co_u32_e32 v7, vcc, 0, v2, vcc
	s_waitcnt vmcnt(1)
	global_store_dwordx2 v1, v[8:9], s[6:7]
	s_mov_b64 s[6:7], -1
	s_cbranch_execz .LBB1158_3
	s_branch .LBB1158_12
.LBB1158_2:
	s_mov_b64 s[6:7], 0
                                        ; implicit-def: $vgpr4_vgpr5
                                        ; implicit-def: $vgpr6_vgpr7
.LBB1158_3:
	s_sub_i32 s8, s2, s4
	v_cmp_gt_u32_e32 vcc, s8, v0
                                        ; implicit-def: $vgpr2_vgpr3_vgpr4_vgpr5
	s_and_saveexec_b64 s[2:3], vcc
	s_cbranch_execz .LBB1158_5
; %bb.4:
	v_mov_b32_e32 v2, s17
	v_add_co_u32_e64 v3, s[0:1], s16, v0
	s_waitcnt vmcnt(1)
	v_addc_co_u32_e64 v5, s[0:1], 0, v2, s[0:1]
	v_mad_u64_u32 v[2:3], s[0:1], v3, s12, 0
	v_mov_b32_e32 v4, v3
	v_mad_u64_u32 v[4:5], s[0:1], v5, s12, v[4:5]
	v_mov_b32_e32 v3, v4
	v_lshlrev_b64 v[2:3], 3, v[2:3]
	v_mov_b32_e32 v4, s11
	v_add_co_u32_e64 v2, s[0:1], s10, v2
	v_addc_co_u32_e64 v3, s[0:1], v4, v3, s[0:1]
	global_load_dwordx2 v[2:3], v[2:3], off
.LBB1158_5:
	s_or_b64 exec, exec, s[2:3]
	v_or_b32_e32 v0, 0x100, v0
	v_cmp_gt_u32_e64 s[0:1], s8, v0
	s_and_saveexec_b64 s[8:9], s[0:1]
	s_cbranch_execz .LBB1158_7
; %bb.6:
	s_waitcnt vmcnt(1)
	v_mov_b32_e32 v4, s17
	v_add_co_u32_e64 v0, s[2:3], s16, v0
	v_addc_co_u32_e64 v6, s[2:3], 0, v4, s[2:3]
	v_mad_u64_u32 v[4:5], s[2:3], v0, s12, 0
	v_mov_b32_e32 v0, v5
	v_mad_u64_u32 v[6:7], s[2:3], v6, s12, v[0:1]
	v_mov_b32_e32 v5, v6
	v_lshlrev_b64 v[4:5], 3, v[4:5]
	v_mov_b32_e32 v0, s11
	v_add_co_u32_e64 v4, s[2:3], s10, v4
	v_addc_co_u32_e64 v5, s[2:3], v0, v5, s[2:3]
	global_load_dwordx2 v[4:5], v[4:5], off
.LBB1158_7:
	s_or_b64 exec, exec, s[8:9]
	s_lshl_b64 s[2:3], s[4:5], 3
	s_add_u32 s2, s14, s2
	s_addc_u32 s3, s15, s3
	v_mov_b32_e32 v0, s3
	v_add_co_u32_e64 v6, s[2:3], s2, v1
	v_addc_co_u32_e64 v7, s[2:3], 0, v0, s[2:3]
	s_and_saveexec_b64 s[2:3], vcc
	s_cbranch_execz .LBB1158_9
; %bb.8:
	s_waitcnt vmcnt(0)
	global_store_dwordx2 v[6:7], v[2:3], off
.LBB1158_9:
	s_or_b64 exec, exec, s[2:3]
	s_and_saveexec_b64 s[2:3], s[0:1]
; %bb.10:
	s_or_b64 s[6:7], s[6:7], exec
; %bb.11:
	s_or_b64 exec, exec, s[2:3]
.LBB1158_12:
	s_and_saveexec_b64 s[0:1], s[6:7]
	s_cbranch_execnz .LBB1158_14
; %bb.13:
	s_endpgm
.LBB1158_14:
	s_waitcnt vmcnt(0)
	global_store_dwordx2 v[6:7], v[4:5], off offset:2048
	s_endpgm
	.section	.rodata,"a",@progbits
	.p2align	6, 0x0
	.amdhsa_kernel _ZN7rocprim17ROCPRIM_400000_NS6detail17trampoline_kernelINS0_14default_configENS1_25transform_config_selectorIlLb0EEEZNS1_14transform_implILb0ES3_S5_NS0_18transform_iteratorINS0_17counting_iteratorImlEEZNS1_24adjacent_difference_implIS3_Lb1ELb0EPlSB_ZN2at6native12_GLOBAL__N_124unique_dim_cuda_templateIN3c108BFloat16EEESt5tupleIJNSC_6TensorESJ_SJ_EERKSJ_lbbbEUlllE1_EE10hipError_tPvRmT2_T3_mT4_P12ihipStream_tbEUlmE_lEESB_NS0_8identityIvEEEESO_SR_SS_mST_SV_bEUlT_E_NS1_11comp_targetILNS1_3genE4ELNS1_11target_archE910ELNS1_3gpuE8ELNS1_3repE0EEENS1_30default_config_static_selectorELNS0_4arch9wavefront6targetE1EEEvT1_
		.amdhsa_group_segment_fixed_size 0
		.amdhsa_private_segment_fixed_size 0
		.amdhsa_kernarg_size 312
		.amdhsa_user_sgpr_count 6
		.amdhsa_user_sgpr_private_segment_buffer 1
		.amdhsa_user_sgpr_dispatch_ptr 0
		.amdhsa_user_sgpr_queue_ptr 0
		.amdhsa_user_sgpr_kernarg_segment_ptr 1
		.amdhsa_user_sgpr_dispatch_id 0
		.amdhsa_user_sgpr_flat_scratch_init 0
		.amdhsa_user_sgpr_kernarg_preload_length 0
		.amdhsa_user_sgpr_kernarg_preload_offset 0
		.amdhsa_user_sgpr_private_segment_size 0
		.amdhsa_uses_dynamic_stack 0
		.amdhsa_system_sgpr_private_segment_wavefront_offset 0
		.amdhsa_system_sgpr_workgroup_id_x 1
		.amdhsa_system_sgpr_workgroup_id_y 0
		.amdhsa_system_sgpr_workgroup_id_z 0
		.amdhsa_system_sgpr_workgroup_info 0
		.amdhsa_system_vgpr_workitem_id 0
		.amdhsa_next_free_vgpr 10
		.amdhsa_next_free_sgpr 18
		.amdhsa_accum_offset 12
		.amdhsa_reserve_vcc 1
		.amdhsa_reserve_flat_scratch 0
		.amdhsa_float_round_mode_32 0
		.amdhsa_float_round_mode_16_64 0
		.amdhsa_float_denorm_mode_32 3
		.amdhsa_float_denorm_mode_16_64 3
		.amdhsa_dx10_clamp 1
		.amdhsa_ieee_mode 1
		.amdhsa_fp16_overflow 0
		.amdhsa_tg_split 0
		.amdhsa_exception_fp_ieee_invalid_op 0
		.amdhsa_exception_fp_denorm_src 0
		.amdhsa_exception_fp_ieee_div_zero 0
		.amdhsa_exception_fp_ieee_overflow 0
		.amdhsa_exception_fp_ieee_underflow 0
		.amdhsa_exception_fp_ieee_inexact 0
		.amdhsa_exception_int_div_zero 0
	.end_amdhsa_kernel
	.section	.text._ZN7rocprim17ROCPRIM_400000_NS6detail17trampoline_kernelINS0_14default_configENS1_25transform_config_selectorIlLb0EEEZNS1_14transform_implILb0ES3_S5_NS0_18transform_iteratorINS0_17counting_iteratorImlEEZNS1_24adjacent_difference_implIS3_Lb1ELb0EPlSB_ZN2at6native12_GLOBAL__N_124unique_dim_cuda_templateIN3c108BFloat16EEESt5tupleIJNSC_6TensorESJ_SJ_EERKSJ_lbbbEUlllE1_EE10hipError_tPvRmT2_T3_mT4_P12ihipStream_tbEUlmE_lEESB_NS0_8identityIvEEEESO_SR_SS_mST_SV_bEUlT_E_NS1_11comp_targetILNS1_3genE4ELNS1_11target_archE910ELNS1_3gpuE8ELNS1_3repE0EEENS1_30default_config_static_selectorELNS0_4arch9wavefront6targetE1EEEvT1_,"axG",@progbits,_ZN7rocprim17ROCPRIM_400000_NS6detail17trampoline_kernelINS0_14default_configENS1_25transform_config_selectorIlLb0EEEZNS1_14transform_implILb0ES3_S5_NS0_18transform_iteratorINS0_17counting_iteratorImlEEZNS1_24adjacent_difference_implIS3_Lb1ELb0EPlSB_ZN2at6native12_GLOBAL__N_124unique_dim_cuda_templateIN3c108BFloat16EEESt5tupleIJNSC_6TensorESJ_SJ_EERKSJ_lbbbEUlllE1_EE10hipError_tPvRmT2_T3_mT4_P12ihipStream_tbEUlmE_lEESB_NS0_8identityIvEEEESO_SR_SS_mST_SV_bEUlT_E_NS1_11comp_targetILNS1_3genE4ELNS1_11target_archE910ELNS1_3gpuE8ELNS1_3repE0EEENS1_30default_config_static_selectorELNS0_4arch9wavefront6targetE1EEEvT1_,comdat
.Lfunc_end1158:
	.size	_ZN7rocprim17ROCPRIM_400000_NS6detail17trampoline_kernelINS0_14default_configENS1_25transform_config_selectorIlLb0EEEZNS1_14transform_implILb0ES3_S5_NS0_18transform_iteratorINS0_17counting_iteratorImlEEZNS1_24adjacent_difference_implIS3_Lb1ELb0EPlSB_ZN2at6native12_GLOBAL__N_124unique_dim_cuda_templateIN3c108BFloat16EEESt5tupleIJNSC_6TensorESJ_SJ_EERKSJ_lbbbEUlllE1_EE10hipError_tPvRmT2_T3_mT4_P12ihipStream_tbEUlmE_lEESB_NS0_8identityIvEEEESO_SR_SS_mST_SV_bEUlT_E_NS1_11comp_targetILNS1_3genE4ELNS1_11target_archE910ELNS1_3gpuE8ELNS1_3repE0EEENS1_30default_config_static_selectorELNS0_4arch9wavefront6targetE1EEEvT1_, .Lfunc_end1158-_ZN7rocprim17ROCPRIM_400000_NS6detail17trampoline_kernelINS0_14default_configENS1_25transform_config_selectorIlLb0EEEZNS1_14transform_implILb0ES3_S5_NS0_18transform_iteratorINS0_17counting_iteratorImlEEZNS1_24adjacent_difference_implIS3_Lb1ELb0EPlSB_ZN2at6native12_GLOBAL__N_124unique_dim_cuda_templateIN3c108BFloat16EEESt5tupleIJNSC_6TensorESJ_SJ_EERKSJ_lbbbEUlllE1_EE10hipError_tPvRmT2_T3_mT4_P12ihipStream_tbEUlmE_lEESB_NS0_8identityIvEEEESO_SR_SS_mST_SV_bEUlT_E_NS1_11comp_targetILNS1_3genE4ELNS1_11target_archE910ELNS1_3gpuE8ELNS1_3repE0EEENS1_30default_config_static_selectorELNS0_4arch9wavefront6targetE1EEEvT1_
                                        ; -- End function
	.section	.AMDGPU.csdata,"",@progbits
; Kernel info:
; codeLenInByte = 556
; NumSgprs: 22
; NumVgprs: 10
; NumAgprs: 0
; TotalNumVgprs: 10
; ScratchSize: 0
; MemoryBound: 0
; FloatMode: 240
; IeeeMode: 1
; LDSByteSize: 0 bytes/workgroup (compile time only)
; SGPRBlocks: 2
; VGPRBlocks: 1
; NumSGPRsForWavesPerEU: 22
; NumVGPRsForWavesPerEU: 10
; AccumOffset: 12
; Occupancy: 8
; WaveLimiterHint : 0
; COMPUTE_PGM_RSRC2:SCRATCH_EN: 0
; COMPUTE_PGM_RSRC2:USER_SGPR: 6
; COMPUTE_PGM_RSRC2:TRAP_HANDLER: 0
; COMPUTE_PGM_RSRC2:TGID_X_EN: 1
; COMPUTE_PGM_RSRC2:TGID_Y_EN: 0
; COMPUTE_PGM_RSRC2:TGID_Z_EN: 0
; COMPUTE_PGM_RSRC2:TIDIG_COMP_CNT: 0
; COMPUTE_PGM_RSRC3_GFX90A:ACCUM_OFFSET: 2
; COMPUTE_PGM_RSRC3_GFX90A:TG_SPLIT: 0
	.section	.text._ZN7rocprim17ROCPRIM_400000_NS6detail17trampoline_kernelINS0_14default_configENS1_25transform_config_selectorIlLb0EEEZNS1_14transform_implILb0ES3_S5_NS0_18transform_iteratorINS0_17counting_iteratorImlEEZNS1_24adjacent_difference_implIS3_Lb1ELb0EPlSB_ZN2at6native12_GLOBAL__N_124unique_dim_cuda_templateIN3c108BFloat16EEESt5tupleIJNSC_6TensorESJ_SJ_EERKSJ_lbbbEUlllE1_EE10hipError_tPvRmT2_T3_mT4_P12ihipStream_tbEUlmE_lEESB_NS0_8identityIvEEEESO_SR_SS_mST_SV_bEUlT_E_NS1_11comp_targetILNS1_3genE3ELNS1_11target_archE908ELNS1_3gpuE7ELNS1_3repE0EEENS1_30default_config_static_selectorELNS0_4arch9wavefront6targetE1EEEvT1_,"axG",@progbits,_ZN7rocprim17ROCPRIM_400000_NS6detail17trampoline_kernelINS0_14default_configENS1_25transform_config_selectorIlLb0EEEZNS1_14transform_implILb0ES3_S5_NS0_18transform_iteratorINS0_17counting_iteratorImlEEZNS1_24adjacent_difference_implIS3_Lb1ELb0EPlSB_ZN2at6native12_GLOBAL__N_124unique_dim_cuda_templateIN3c108BFloat16EEESt5tupleIJNSC_6TensorESJ_SJ_EERKSJ_lbbbEUlllE1_EE10hipError_tPvRmT2_T3_mT4_P12ihipStream_tbEUlmE_lEESB_NS0_8identityIvEEEESO_SR_SS_mST_SV_bEUlT_E_NS1_11comp_targetILNS1_3genE3ELNS1_11target_archE908ELNS1_3gpuE7ELNS1_3repE0EEENS1_30default_config_static_selectorELNS0_4arch9wavefront6targetE1EEEvT1_,comdat
	.globl	_ZN7rocprim17ROCPRIM_400000_NS6detail17trampoline_kernelINS0_14default_configENS1_25transform_config_selectorIlLb0EEEZNS1_14transform_implILb0ES3_S5_NS0_18transform_iteratorINS0_17counting_iteratorImlEEZNS1_24adjacent_difference_implIS3_Lb1ELb0EPlSB_ZN2at6native12_GLOBAL__N_124unique_dim_cuda_templateIN3c108BFloat16EEESt5tupleIJNSC_6TensorESJ_SJ_EERKSJ_lbbbEUlllE1_EE10hipError_tPvRmT2_T3_mT4_P12ihipStream_tbEUlmE_lEESB_NS0_8identityIvEEEESO_SR_SS_mST_SV_bEUlT_E_NS1_11comp_targetILNS1_3genE3ELNS1_11target_archE908ELNS1_3gpuE7ELNS1_3repE0EEENS1_30default_config_static_selectorELNS0_4arch9wavefront6targetE1EEEvT1_ ; -- Begin function _ZN7rocprim17ROCPRIM_400000_NS6detail17trampoline_kernelINS0_14default_configENS1_25transform_config_selectorIlLb0EEEZNS1_14transform_implILb0ES3_S5_NS0_18transform_iteratorINS0_17counting_iteratorImlEEZNS1_24adjacent_difference_implIS3_Lb1ELb0EPlSB_ZN2at6native12_GLOBAL__N_124unique_dim_cuda_templateIN3c108BFloat16EEESt5tupleIJNSC_6TensorESJ_SJ_EERKSJ_lbbbEUlllE1_EE10hipError_tPvRmT2_T3_mT4_P12ihipStream_tbEUlmE_lEESB_NS0_8identityIvEEEESO_SR_SS_mST_SV_bEUlT_E_NS1_11comp_targetILNS1_3genE3ELNS1_11target_archE908ELNS1_3gpuE7ELNS1_3repE0EEENS1_30default_config_static_selectorELNS0_4arch9wavefront6targetE1EEEvT1_
	.p2align	8
	.type	_ZN7rocprim17ROCPRIM_400000_NS6detail17trampoline_kernelINS0_14default_configENS1_25transform_config_selectorIlLb0EEEZNS1_14transform_implILb0ES3_S5_NS0_18transform_iteratorINS0_17counting_iteratorImlEEZNS1_24adjacent_difference_implIS3_Lb1ELb0EPlSB_ZN2at6native12_GLOBAL__N_124unique_dim_cuda_templateIN3c108BFloat16EEESt5tupleIJNSC_6TensorESJ_SJ_EERKSJ_lbbbEUlllE1_EE10hipError_tPvRmT2_T3_mT4_P12ihipStream_tbEUlmE_lEESB_NS0_8identityIvEEEESO_SR_SS_mST_SV_bEUlT_E_NS1_11comp_targetILNS1_3genE3ELNS1_11target_archE908ELNS1_3gpuE7ELNS1_3repE0EEENS1_30default_config_static_selectorELNS0_4arch9wavefront6targetE1EEEvT1_,@function
_ZN7rocprim17ROCPRIM_400000_NS6detail17trampoline_kernelINS0_14default_configENS1_25transform_config_selectorIlLb0EEEZNS1_14transform_implILb0ES3_S5_NS0_18transform_iteratorINS0_17counting_iteratorImlEEZNS1_24adjacent_difference_implIS3_Lb1ELb0EPlSB_ZN2at6native12_GLOBAL__N_124unique_dim_cuda_templateIN3c108BFloat16EEESt5tupleIJNSC_6TensorESJ_SJ_EERKSJ_lbbbEUlllE1_EE10hipError_tPvRmT2_T3_mT4_P12ihipStream_tbEUlmE_lEESB_NS0_8identityIvEEEESO_SR_SS_mST_SV_bEUlT_E_NS1_11comp_targetILNS1_3genE3ELNS1_11target_archE908ELNS1_3gpuE7ELNS1_3repE0EEENS1_30default_config_static_selectorELNS0_4arch9wavefront6targetE1EEEvT1_: ; @_ZN7rocprim17ROCPRIM_400000_NS6detail17trampoline_kernelINS0_14default_configENS1_25transform_config_selectorIlLb0EEEZNS1_14transform_implILb0ES3_S5_NS0_18transform_iteratorINS0_17counting_iteratorImlEEZNS1_24adjacent_difference_implIS3_Lb1ELb0EPlSB_ZN2at6native12_GLOBAL__N_124unique_dim_cuda_templateIN3c108BFloat16EEESt5tupleIJNSC_6TensorESJ_SJ_EERKSJ_lbbbEUlllE1_EE10hipError_tPvRmT2_T3_mT4_P12ihipStream_tbEUlmE_lEESB_NS0_8identityIvEEEESO_SR_SS_mST_SV_bEUlT_E_NS1_11comp_targetILNS1_3genE3ELNS1_11target_archE908ELNS1_3gpuE7ELNS1_3repE0EEENS1_30default_config_static_selectorELNS0_4arch9wavefront6targetE1EEEvT1_
; %bb.0:
	.section	.rodata,"a",@progbits
	.p2align	6, 0x0
	.amdhsa_kernel _ZN7rocprim17ROCPRIM_400000_NS6detail17trampoline_kernelINS0_14default_configENS1_25transform_config_selectorIlLb0EEEZNS1_14transform_implILb0ES3_S5_NS0_18transform_iteratorINS0_17counting_iteratorImlEEZNS1_24adjacent_difference_implIS3_Lb1ELb0EPlSB_ZN2at6native12_GLOBAL__N_124unique_dim_cuda_templateIN3c108BFloat16EEESt5tupleIJNSC_6TensorESJ_SJ_EERKSJ_lbbbEUlllE1_EE10hipError_tPvRmT2_T3_mT4_P12ihipStream_tbEUlmE_lEESB_NS0_8identityIvEEEESO_SR_SS_mST_SV_bEUlT_E_NS1_11comp_targetILNS1_3genE3ELNS1_11target_archE908ELNS1_3gpuE7ELNS1_3repE0EEENS1_30default_config_static_selectorELNS0_4arch9wavefront6targetE1EEEvT1_
		.amdhsa_group_segment_fixed_size 0
		.amdhsa_private_segment_fixed_size 0
		.amdhsa_kernarg_size 56
		.amdhsa_user_sgpr_count 6
		.amdhsa_user_sgpr_private_segment_buffer 1
		.amdhsa_user_sgpr_dispatch_ptr 0
		.amdhsa_user_sgpr_queue_ptr 0
		.amdhsa_user_sgpr_kernarg_segment_ptr 1
		.amdhsa_user_sgpr_dispatch_id 0
		.amdhsa_user_sgpr_flat_scratch_init 0
		.amdhsa_user_sgpr_kernarg_preload_length 0
		.amdhsa_user_sgpr_kernarg_preload_offset 0
		.amdhsa_user_sgpr_private_segment_size 0
		.amdhsa_uses_dynamic_stack 0
		.amdhsa_system_sgpr_private_segment_wavefront_offset 0
		.amdhsa_system_sgpr_workgroup_id_x 1
		.amdhsa_system_sgpr_workgroup_id_y 0
		.amdhsa_system_sgpr_workgroup_id_z 0
		.amdhsa_system_sgpr_workgroup_info 0
		.amdhsa_system_vgpr_workitem_id 0
		.amdhsa_next_free_vgpr 1
		.amdhsa_next_free_sgpr 0
		.amdhsa_accum_offset 4
		.amdhsa_reserve_vcc 0
		.amdhsa_reserve_flat_scratch 0
		.amdhsa_float_round_mode_32 0
		.amdhsa_float_round_mode_16_64 0
		.amdhsa_float_denorm_mode_32 3
		.amdhsa_float_denorm_mode_16_64 3
		.amdhsa_dx10_clamp 1
		.amdhsa_ieee_mode 1
		.amdhsa_fp16_overflow 0
		.amdhsa_tg_split 0
		.amdhsa_exception_fp_ieee_invalid_op 0
		.amdhsa_exception_fp_denorm_src 0
		.amdhsa_exception_fp_ieee_div_zero 0
		.amdhsa_exception_fp_ieee_overflow 0
		.amdhsa_exception_fp_ieee_underflow 0
		.amdhsa_exception_fp_ieee_inexact 0
		.amdhsa_exception_int_div_zero 0
	.end_amdhsa_kernel
	.section	.text._ZN7rocprim17ROCPRIM_400000_NS6detail17trampoline_kernelINS0_14default_configENS1_25transform_config_selectorIlLb0EEEZNS1_14transform_implILb0ES3_S5_NS0_18transform_iteratorINS0_17counting_iteratorImlEEZNS1_24adjacent_difference_implIS3_Lb1ELb0EPlSB_ZN2at6native12_GLOBAL__N_124unique_dim_cuda_templateIN3c108BFloat16EEESt5tupleIJNSC_6TensorESJ_SJ_EERKSJ_lbbbEUlllE1_EE10hipError_tPvRmT2_T3_mT4_P12ihipStream_tbEUlmE_lEESB_NS0_8identityIvEEEESO_SR_SS_mST_SV_bEUlT_E_NS1_11comp_targetILNS1_3genE3ELNS1_11target_archE908ELNS1_3gpuE7ELNS1_3repE0EEENS1_30default_config_static_selectorELNS0_4arch9wavefront6targetE1EEEvT1_,"axG",@progbits,_ZN7rocprim17ROCPRIM_400000_NS6detail17trampoline_kernelINS0_14default_configENS1_25transform_config_selectorIlLb0EEEZNS1_14transform_implILb0ES3_S5_NS0_18transform_iteratorINS0_17counting_iteratorImlEEZNS1_24adjacent_difference_implIS3_Lb1ELb0EPlSB_ZN2at6native12_GLOBAL__N_124unique_dim_cuda_templateIN3c108BFloat16EEESt5tupleIJNSC_6TensorESJ_SJ_EERKSJ_lbbbEUlllE1_EE10hipError_tPvRmT2_T3_mT4_P12ihipStream_tbEUlmE_lEESB_NS0_8identityIvEEEESO_SR_SS_mST_SV_bEUlT_E_NS1_11comp_targetILNS1_3genE3ELNS1_11target_archE908ELNS1_3gpuE7ELNS1_3repE0EEENS1_30default_config_static_selectorELNS0_4arch9wavefront6targetE1EEEvT1_,comdat
.Lfunc_end1159:
	.size	_ZN7rocprim17ROCPRIM_400000_NS6detail17trampoline_kernelINS0_14default_configENS1_25transform_config_selectorIlLb0EEEZNS1_14transform_implILb0ES3_S5_NS0_18transform_iteratorINS0_17counting_iteratorImlEEZNS1_24adjacent_difference_implIS3_Lb1ELb0EPlSB_ZN2at6native12_GLOBAL__N_124unique_dim_cuda_templateIN3c108BFloat16EEESt5tupleIJNSC_6TensorESJ_SJ_EERKSJ_lbbbEUlllE1_EE10hipError_tPvRmT2_T3_mT4_P12ihipStream_tbEUlmE_lEESB_NS0_8identityIvEEEESO_SR_SS_mST_SV_bEUlT_E_NS1_11comp_targetILNS1_3genE3ELNS1_11target_archE908ELNS1_3gpuE7ELNS1_3repE0EEENS1_30default_config_static_selectorELNS0_4arch9wavefront6targetE1EEEvT1_, .Lfunc_end1159-_ZN7rocprim17ROCPRIM_400000_NS6detail17trampoline_kernelINS0_14default_configENS1_25transform_config_selectorIlLb0EEEZNS1_14transform_implILb0ES3_S5_NS0_18transform_iteratorINS0_17counting_iteratorImlEEZNS1_24adjacent_difference_implIS3_Lb1ELb0EPlSB_ZN2at6native12_GLOBAL__N_124unique_dim_cuda_templateIN3c108BFloat16EEESt5tupleIJNSC_6TensorESJ_SJ_EERKSJ_lbbbEUlllE1_EE10hipError_tPvRmT2_T3_mT4_P12ihipStream_tbEUlmE_lEESB_NS0_8identityIvEEEESO_SR_SS_mST_SV_bEUlT_E_NS1_11comp_targetILNS1_3genE3ELNS1_11target_archE908ELNS1_3gpuE7ELNS1_3repE0EEENS1_30default_config_static_selectorELNS0_4arch9wavefront6targetE1EEEvT1_
                                        ; -- End function
	.section	.AMDGPU.csdata,"",@progbits
; Kernel info:
; codeLenInByte = 0
; NumSgprs: 4
; NumVgprs: 0
; NumAgprs: 0
; TotalNumVgprs: 0
; ScratchSize: 0
; MemoryBound: 0
; FloatMode: 240
; IeeeMode: 1
; LDSByteSize: 0 bytes/workgroup (compile time only)
; SGPRBlocks: 0
; VGPRBlocks: 0
; NumSGPRsForWavesPerEU: 4
; NumVGPRsForWavesPerEU: 1
; AccumOffset: 4
; Occupancy: 8
; WaveLimiterHint : 0
; COMPUTE_PGM_RSRC2:SCRATCH_EN: 0
; COMPUTE_PGM_RSRC2:USER_SGPR: 6
; COMPUTE_PGM_RSRC2:TRAP_HANDLER: 0
; COMPUTE_PGM_RSRC2:TGID_X_EN: 1
; COMPUTE_PGM_RSRC2:TGID_Y_EN: 0
; COMPUTE_PGM_RSRC2:TGID_Z_EN: 0
; COMPUTE_PGM_RSRC2:TIDIG_COMP_CNT: 0
; COMPUTE_PGM_RSRC3_GFX90A:ACCUM_OFFSET: 0
; COMPUTE_PGM_RSRC3_GFX90A:TG_SPLIT: 0
	.section	.text._ZN7rocprim17ROCPRIM_400000_NS6detail17trampoline_kernelINS0_14default_configENS1_25transform_config_selectorIlLb0EEEZNS1_14transform_implILb0ES3_S5_NS0_18transform_iteratorINS0_17counting_iteratorImlEEZNS1_24adjacent_difference_implIS3_Lb1ELb0EPlSB_ZN2at6native12_GLOBAL__N_124unique_dim_cuda_templateIN3c108BFloat16EEESt5tupleIJNSC_6TensorESJ_SJ_EERKSJ_lbbbEUlllE1_EE10hipError_tPvRmT2_T3_mT4_P12ihipStream_tbEUlmE_lEESB_NS0_8identityIvEEEESO_SR_SS_mST_SV_bEUlT_E_NS1_11comp_targetILNS1_3genE2ELNS1_11target_archE906ELNS1_3gpuE6ELNS1_3repE0EEENS1_30default_config_static_selectorELNS0_4arch9wavefront6targetE1EEEvT1_,"axG",@progbits,_ZN7rocprim17ROCPRIM_400000_NS6detail17trampoline_kernelINS0_14default_configENS1_25transform_config_selectorIlLb0EEEZNS1_14transform_implILb0ES3_S5_NS0_18transform_iteratorINS0_17counting_iteratorImlEEZNS1_24adjacent_difference_implIS3_Lb1ELb0EPlSB_ZN2at6native12_GLOBAL__N_124unique_dim_cuda_templateIN3c108BFloat16EEESt5tupleIJNSC_6TensorESJ_SJ_EERKSJ_lbbbEUlllE1_EE10hipError_tPvRmT2_T3_mT4_P12ihipStream_tbEUlmE_lEESB_NS0_8identityIvEEEESO_SR_SS_mST_SV_bEUlT_E_NS1_11comp_targetILNS1_3genE2ELNS1_11target_archE906ELNS1_3gpuE6ELNS1_3repE0EEENS1_30default_config_static_selectorELNS0_4arch9wavefront6targetE1EEEvT1_,comdat
	.globl	_ZN7rocprim17ROCPRIM_400000_NS6detail17trampoline_kernelINS0_14default_configENS1_25transform_config_selectorIlLb0EEEZNS1_14transform_implILb0ES3_S5_NS0_18transform_iteratorINS0_17counting_iteratorImlEEZNS1_24adjacent_difference_implIS3_Lb1ELb0EPlSB_ZN2at6native12_GLOBAL__N_124unique_dim_cuda_templateIN3c108BFloat16EEESt5tupleIJNSC_6TensorESJ_SJ_EERKSJ_lbbbEUlllE1_EE10hipError_tPvRmT2_T3_mT4_P12ihipStream_tbEUlmE_lEESB_NS0_8identityIvEEEESO_SR_SS_mST_SV_bEUlT_E_NS1_11comp_targetILNS1_3genE2ELNS1_11target_archE906ELNS1_3gpuE6ELNS1_3repE0EEENS1_30default_config_static_selectorELNS0_4arch9wavefront6targetE1EEEvT1_ ; -- Begin function _ZN7rocprim17ROCPRIM_400000_NS6detail17trampoline_kernelINS0_14default_configENS1_25transform_config_selectorIlLb0EEEZNS1_14transform_implILb0ES3_S5_NS0_18transform_iteratorINS0_17counting_iteratorImlEEZNS1_24adjacent_difference_implIS3_Lb1ELb0EPlSB_ZN2at6native12_GLOBAL__N_124unique_dim_cuda_templateIN3c108BFloat16EEESt5tupleIJNSC_6TensorESJ_SJ_EERKSJ_lbbbEUlllE1_EE10hipError_tPvRmT2_T3_mT4_P12ihipStream_tbEUlmE_lEESB_NS0_8identityIvEEEESO_SR_SS_mST_SV_bEUlT_E_NS1_11comp_targetILNS1_3genE2ELNS1_11target_archE906ELNS1_3gpuE6ELNS1_3repE0EEENS1_30default_config_static_selectorELNS0_4arch9wavefront6targetE1EEEvT1_
	.p2align	8
	.type	_ZN7rocprim17ROCPRIM_400000_NS6detail17trampoline_kernelINS0_14default_configENS1_25transform_config_selectorIlLb0EEEZNS1_14transform_implILb0ES3_S5_NS0_18transform_iteratorINS0_17counting_iteratorImlEEZNS1_24adjacent_difference_implIS3_Lb1ELb0EPlSB_ZN2at6native12_GLOBAL__N_124unique_dim_cuda_templateIN3c108BFloat16EEESt5tupleIJNSC_6TensorESJ_SJ_EERKSJ_lbbbEUlllE1_EE10hipError_tPvRmT2_T3_mT4_P12ihipStream_tbEUlmE_lEESB_NS0_8identityIvEEEESO_SR_SS_mST_SV_bEUlT_E_NS1_11comp_targetILNS1_3genE2ELNS1_11target_archE906ELNS1_3gpuE6ELNS1_3repE0EEENS1_30default_config_static_selectorELNS0_4arch9wavefront6targetE1EEEvT1_,@function
_ZN7rocprim17ROCPRIM_400000_NS6detail17trampoline_kernelINS0_14default_configENS1_25transform_config_selectorIlLb0EEEZNS1_14transform_implILb0ES3_S5_NS0_18transform_iteratorINS0_17counting_iteratorImlEEZNS1_24adjacent_difference_implIS3_Lb1ELb0EPlSB_ZN2at6native12_GLOBAL__N_124unique_dim_cuda_templateIN3c108BFloat16EEESt5tupleIJNSC_6TensorESJ_SJ_EERKSJ_lbbbEUlllE1_EE10hipError_tPvRmT2_T3_mT4_P12ihipStream_tbEUlmE_lEESB_NS0_8identityIvEEEESO_SR_SS_mST_SV_bEUlT_E_NS1_11comp_targetILNS1_3genE2ELNS1_11target_archE906ELNS1_3gpuE6ELNS1_3repE0EEENS1_30default_config_static_selectorELNS0_4arch9wavefront6targetE1EEEvT1_: ; @_ZN7rocprim17ROCPRIM_400000_NS6detail17trampoline_kernelINS0_14default_configENS1_25transform_config_selectorIlLb0EEEZNS1_14transform_implILb0ES3_S5_NS0_18transform_iteratorINS0_17counting_iteratorImlEEZNS1_24adjacent_difference_implIS3_Lb1ELb0EPlSB_ZN2at6native12_GLOBAL__N_124unique_dim_cuda_templateIN3c108BFloat16EEESt5tupleIJNSC_6TensorESJ_SJ_EERKSJ_lbbbEUlllE1_EE10hipError_tPvRmT2_T3_mT4_P12ihipStream_tbEUlmE_lEESB_NS0_8identityIvEEEESO_SR_SS_mST_SV_bEUlT_E_NS1_11comp_targetILNS1_3genE2ELNS1_11target_archE906ELNS1_3gpuE6ELNS1_3repE0EEENS1_30default_config_static_selectorELNS0_4arch9wavefront6targetE1EEEvT1_
; %bb.0:
	.section	.rodata,"a",@progbits
	.p2align	6, 0x0
	.amdhsa_kernel _ZN7rocprim17ROCPRIM_400000_NS6detail17trampoline_kernelINS0_14default_configENS1_25transform_config_selectorIlLb0EEEZNS1_14transform_implILb0ES3_S5_NS0_18transform_iteratorINS0_17counting_iteratorImlEEZNS1_24adjacent_difference_implIS3_Lb1ELb0EPlSB_ZN2at6native12_GLOBAL__N_124unique_dim_cuda_templateIN3c108BFloat16EEESt5tupleIJNSC_6TensorESJ_SJ_EERKSJ_lbbbEUlllE1_EE10hipError_tPvRmT2_T3_mT4_P12ihipStream_tbEUlmE_lEESB_NS0_8identityIvEEEESO_SR_SS_mST_SV_bEUlT_E_NS1_11comp_targetILNS1_3genE2ELNS1_11target_archE906ELNS1_3gpuE6ELNS1_3repE0EEENS1_30default_config_static_selectorELNS0_4arch9wavefront6targetE1EEEvT1_
		.amdhsa_group_segment_fixed_size 0
		.amdhsa_private_segment_fixed_size 0
		.amdhsa_kernarg_size 56
		.amdhsa_user_sgpr_count 6
		.amdhsa_user_sgpr_private_segment_buffer 1
		.amdhsa_user_sgpr_dispatch_ptr 0
		.amdhsa_user_sgpr_queue_ptr 0
		.amdhsa_user_sgpr_kernarg_segment_ptr 1
		.amdhsa_user_sgpr_dispatch_id 0
		.amdhsa_user_sgpr_flat_scratch_init 0
		.amdhsa_user_sgpr_kernarg_preload_length 0
		.amdhsa_user_sgpr_kernarg_preload_offset 0
		.amdhsa_user_sgpr_private_segment_size 0
		.amdhsa_uses_dynamic_stack 0
		.amdhsa_system_sgpr_private_segment_wavefront_offset 0
		.amdhsa_system_sgpr_workgroup_id_x 1
		.amdhsa_system_sgpr_workgroup_id_y 0
		.amdhsa_system_sgpr_workgroup_id_z 0
		.amdhsa_system_sgpr_workgroup_info 0
		.amdhsa_system_vgpr_workitem_id 0
		.amdhsa_next_free_vgpr 1
		.amdhsa_next_free_sgpr 0
		.amdhsa_accum_offset 4
		.amdhsa_reserve_vcc 0
		.amdhsa_reserve_flat_scratch 0
		.amdhsa_float_round_mode_32 0
		.amdhsa_float_round_mode_16_64 0
		.amdhsa_float_denorm_mode_32 3
		.amdhsa_float_denorm_mode_16_64 3
		.amdhsa_dx10_clamp 1
		.amdhsa_ieee_mode 1
		.amdhsa_fp16_overflow 0
		.amdhsa_tg_split 0
		.amdhsa_exception_fp_ieee_invalid_op 0
		.amdhsa_exception_fp_denorm_src 0
		.amdhsa_exception_fp_ieee_div_zero 0
		.amdhsa_exception_fp_ieee_overflow 0
		.amdhsa_exception_fp_ieee_underflow 0
		.amdhsa_exception_fp_ieee_inexact 0
		.amdhsa_exception_int_div_zero 0
	.end_amdhsa_kernel
	.section	.text._ZN7rocprim17ROCPRIM_400000_NS6detail17trampoline_kernelINS0_14default_configENS1_25transform_config_selectorIlLb0EEEZNS1_14transform_implILb0ES3_S5_NS0_18transform_iteratorINS0_17counting_iteratorImlEEZNS1_24adjacent_difference_implIS3_Lb1ELb0EPlSB_ZN2at6native12_GLOBAL__N_124unique_dim_cuda_templateIN3c108BFloat16EEESt5tupleIJNSC_6TensorESJ_SJ_EERKSJ_lbbbEUlllE1_EE10hipError_tPvRmT2_T3_mT4_P12ihipStream_tbEUlmE_lEESB_NS0_8identityIvEEEESO_SR_SS_mST_SV_bEUlT_E_NS1_11comp_targetILNS1_3genE2ELNS1_11target_archE906ELNS1_3gpuE6ELNS1_3repE0EEENS1_30default_config_static_selectorELNS0_4arch9wavefront6targetE1EEEvT1_,"axG",@progbits,_ZN7rocprim17ROCPRIM_400000_NS6detail17trampoline_kernelINS0_14default_configENS1_25transform_config_selectorIlLb0EEEZNS1_14transform_implILb0ES3_S5_NS0_18transform_iteratorINS0_17counting_iteratorImlEEZNS1_24adjacent_difference_implIS3_Lb1ELb0EPlSB_ZN2at6native12_GLOBAL__N_124unique_dim_cuda_templateIN3c108BFloat16EEESt5tupleIJNSC_6TensorESJ_SJ_EERKSJ_lbbbEUlllE1_EE10hipError_tPvRmT2_T3_mT4_P12ihipStream_tbEUlmE_lEESB_NS0_8identityIvEEEESO_SR_SS_mST_SV_bEUlT_E_NS1_11comp_targetILNS1_3genE2ELNS1_11target_archE906ELNS1_3gpuE6ELNS1_3repE0EEENS1_30default_config_static_selectorELNS0_4arch9wavefront6targetE1EEEvT1_,comdat
.Lfunc_end1160:
	.size	_ZN7rocprim17ROCPRIM_400000_NS6detail17trampoline_kernelINS0_14default_configENS1_25transform_config_selectorIlLb0EEEZNS1_14transform_implILb0ES3_S5_NS0_18transform_iteratorINS0_17counting_iteratorImlEEZNS1_24adjacent_difference_implIS3_Lb1ELb0EPlSB_ZN2at6native12_GLOBAL__N_124unique_dim_cuda_templateIN3c108BFloat16EEESt5tupleIJNSC_6TensorESJ_SJ_EERKSJ_lbbbEUlllE1_EE10hipError_tPvRmT2_T3_mT4_P12ihipStream_tbEUlmE_lEESB_NS0_8identityIvEEEESO_SR_SS_mST_SV_bEUlT_E_NS1_11comp_targetILNS1_3genE2ELNS1_11target_archE906ELNS1_3gpuE6ELNS1_3repE0EEENS1_30default_config_static_selectorELNS0_4arch9wavefront6targetE1EEEvT1_, .Lfunc_end1160-_ZN7rocprim17ROCPRIM_400000_NS6detail17trampoline_kernelINS0_14default_configENS1_25transform_config_selectorIlLb0EEEZNS1_14transform_implILb0ES3_S5_NS0_18transform_iteratorINS0_17counting_iteratorImlEEZNS1_24adjacent_difference_implIS3_Lb1ELb0EPlSB_ZN2at6native12_GLOBAL__N_124unique_dim_cuda_templateIN3c108BFloat16EEESt5tupleIJNSC_6TensorESJ_SJ_EERKSJ_lbbbEUlllE1_EE10hipError_tPvRmT2_T3_mT4_P12ihipStream_tbEUlmE_lEESB_NS0_8identityIvEEEESO_SR_SS_mST_SV_bEUlT_E_NS1_11comp_targetILNS1_3genE2ELNS1_11target_archE906ELNS1_3gpuE6ELNS1_3repE0EEENS1_30default_config_static_selectorELNS0_4arch9wavefront6targetE1EEEvT1_
                                        ; -- End function
	.section	.AMDGPU.csdata,"",@progbits
; Kernel info:
; codeLenInByte = 0
; NumSgprs: 4
; NumVgprs: 0
; NumAgprs: 0
; TotalNumVgprs: 0
; ScratchSize: 0
; MemoryBound: 0
; FloatMode: 240
; IeeeMode: 1
; LDSByteSize: 0 bytes/workgroup (compile time only)
; SGPRBlocks: 0
; VGPRBlocks: 0
; NumSGPRsForWavesPerEU: 4
; NumVGPRsForWavesPerEU: 1
; AccumOffset: 4
; Occupancy: 8
; WaveLimiterHint : 0
; COMPUTE_PGM_RSRC2:SCRATCH_EN: 0
; COMPUTE_PGM_RSRC2:USER_SGPR: 6
; COMPUTE_PGM_RSRC2:TRAP_HANDLER: 0
; COMPUTE_PGM_RSRC2:TGID_X_EN: 1
; COMPUTE_PGM_RSRC2:TGID_Y_EN: 0
; COMPUTE_PGM_RSRC2:TGID_Z_EN: 0
; COMPUTE_PGM_RSRC2:TIDIG_COMP_CNT: 0
; COMPUTE_PGM_RSRC3_GFX90A:ACCUM_OFFSET: 0
; COMPUTE_PGM_RSRC3_GFX90A:TG_SPLIT: 0
	.section	.text._ZN7rocprim17ROCPRIM_400000_NS6detail17trampoline_kernelINS0_14default_configENS1_25transform_config_selectorIlLb0EEEZNS1_14transform_implILb0ES3_S5_NS0_18transform_iteratorINS0_17counting_iteratorImlEEZNS1_24adjacent_difference_implIS3_Lb1ELb0EPlSB_ZN2at6native12_GLOBAL__N_124unique_dim_cuda_templateIN3c108BFloat16EEESt5tupleIJNSC_6TensorESJ_SJ_EERKSJ_lbbbEUlllE1_EE10hipError_tPvRmT2_T3_mT4_P12ihipStream_tbEUlmE_lEESB_NS0_8identityIvEEEESO_SR_SS_mST_SV_bEUlT_E_NS1_11comp_targetILNS1_3genE10ELNS1_11target_archE1201ELNS1_3gpuE5ELNS1_3repE0EEENS1_30default_config_static_selectorELNS0_4arch9wavefront6targetE1EEEvT1_,"axG",@progbits,_ZN7rocprim17ROCPRIM_400000_NS6detail17trampoline_kernelINS0_14default_configENS1_25transform_config_selectorIlLb0EEEZNS1_14transform_implILb0ES3_S5_NS0_18transform_iteratorINS0_17counting_iteratorImlEEZNS1_24adjacent_difference_implIS3_Lb1ELb0EPlSB_ZN2at6native12_GLOBAL__N_124unique_dim_cuda_templateIN3c108BFloat16EEESt5tupleIJNSC_6TensorESJ_SJ_EERKSJ_lbbbEUlllE1_EE10hipError_tPvRmT2_T3_mT4_P12ihipStream_tbEUlmE_lEESB_NS0_8identityIvEEEESO_SR_SS_mST_SV_bEUlT_E_NS1_11comp_targetILNS1_3genE10ELNS1_11target_archE1201ELNS1_3gpuE5ELNS1_3repE0EEENS1_30default_config_static_selectorELNS0_4arch9wavefront6targetE1EEEvT1_,comdat
	.globl	_ZN7rocprim17ROCPRIM_400000_NS6detail17trampoline_kernelINS0_14default_configENS1_25transform_config_selectorIlLb0EEEZNS1_14transform_implILb0ES3_S5_NS0_18transform_iteratorINS0_17counting_iteratorImlEEZNS1_24adjacent_difference_implIS3_Lb1ELb0EPlSB_ZN2at6native12_GLOBAL__N_124unique_dim_cuda_templateIN3c108BFloat16EEESt5tupleIJNSC_6TensorESJ_SJ_EERKSJ_lbbbEUlllE1_EE10hipError_tPvRmT2_T3_mT4_P12ihipStream_tbEUlmE_lEESB_NS0_8identityIvEEEESO_SR_SS_mST_SV_bEUlT_E_NS1_11comp_targetILNS1_3genE10ELNS1_11target_archE1201ELNS1_3gpuE5ELNS1_3repE0EEENS1_30default_config_static_selectorELNS0_4arch9wavefront6targetE1EEEvT1_ ; -- Begin function _ZN7rocprim17ROCPRIM_400000_NS6detail17trampoline_kernelINS0_14default_configENS1_25transform_config_selectorIlLb0EEEZNS1_14transform_implILb0ES3_S5_NS0_18transform_iteratorINS0_17counting_iteratorImlEEZNS1_24adjacent_difference_implIS3_Lb1ELb0EPlSB_ZN2at6native12_GLOBAL__N_124unique_dim_cuda_templateIN3c108BFloat16EEESt5tupleIJNSC_6TensorESJ_SJ_EERKSJ_lbbbEUlllE1_EE10hipError_tPvRmT2_T3_mT4_P12ihipStream_tbEUlmE_lEESB_NS0_8identityIvEEEESO_SR_SS_mST_SV_bEUlT_E_NS1_11comp_targetILNS1_3genE10ELNS1_11target_archE1201ELNS1_3gpuE5ELNS1_3repE0EEENS1_30default_config_static_selectorELNS0_4arch9wavefront6targetE1EEEvT1_
	.p2align	8
	.type	_ZN7rocprim17ROCPRIM_400000_NS6detail17trampoline_kernelINS0_14default_configENS1_25transform_config_selectorIlLb0EEEZNS1_14transform_implILb0ES3_S5_NS0_18transform_iteratorINS0_17counting_iteratorImlEEZNS1_24adjacent_difference_implIS3_Lb1ELb0EPlSB_ZN2at6native12_GLOBAL__N_124unique_dim_cuda_templateIN3c108BFloat16EEESt5tupleIJNSC_6TensorESJ_SJ_EERKSJ_lbbbEUlllE1_EE10hipError_tPvRmT2_T3_mT4_P12ihipStream_tbEUlmE_lEESB_NS0_8identityIvEEEESO_SR_SS_mST_SV_bEUlT_E_NS1_11comp_targetILNS1_3genE10ELNS1_11target_archE1201ELNS1_3gpuE5ELNS1_3repE0EEENS1_30default_config_static_selectorELNS0_4arch9wavefront6targetE1EEEvT1_,@function
_ZN7rocprim17ROCPRIM_400000_NS6detail17trampoline_kernelINS0_14default_configENS1_25transform_config_selectorIlLb0EEEZNS1_14transform_implILb0ES3_S5_NS0_18transform_iteratorINS0_17counting_iteratorImlEEZNS1_24adjacent_difference_implIS3_Lb1ELb0EPlSB_ZN2at6native12_GLOBAL__N_124unique_dim_cuda_templateIN3c108BFloat16EEESt5tupleIJNSC_6TensorESJ_SJ_EERKSJ_lbbbEUlllE1_EE10hipError_tPvRmT2_T3_mT4_P12ihipStream_tbEUlmE_lEESB_NS0_8identityIvEEEESO_SR_SS_mST_SV_bEUlT_E_NS1_11comp_targetILNS1_3genE10ELNS1_11target_archE1201ELNS1_3gpuE5ELNS1_3repE0EEENS1_30default_config_static_selectorELNS0_4arch9wavefront6targetE1EEEvT1_: ; @_ZN7rocprim17ROCPRIM_400000_NS6detail17trampoline_kernelINS0_14default_configENS1_25transform_config_selectorIlLb0EEEZNS1_14transform_implILb0ES3_S5_NS0_18transform_iteratorINS0_17counting_iteratorImlEEZNS1_24adjacent_difference_implIS3_Lb1ELb0EPlSB_ZN2at6native12_GLOBAL__N_124unique_dim_cuda_templateIN3c108BFloat16EEESt5tupleIJNSC_6TensorESJ_SJ_EERKSJ_lbbbEUlllE1_EE10hipError_tPvRmT2_T3_mT4_P12ihipStream_tbEUlmE_lEESB_NS0_8identityIvEEEESO_SR_SS_mST_SV_bEUlT_E_NS1_11comp_targetILNS1_3genE10ELNS1_11target_archE1201ELNS1_3gpuE5ELNS1_3repE0EEENS1_30default_config_static_selectorELNS0_4arch9wavefront6targetE1EEEvT1_
; %bb.0:
	.section	.rodata,"a",@progbits
	.p2align	6, 0x0
	.amdhsa_kernel _ZN7rocprim17ROCPRIM_400000_NS6detail17trampoline_kernelINS0_14default_configENS1_25transform_config_selectorIlLb0EEEZNS1_14transform_implILb0ES3_S5_NS0_18transform_iteratorINS0_17counting_iteratorImlEEZNS1_24adjacent_difference_implIS3_Lb1ELb0EPlSB_ZN2at6native12_GLOBAL__N_124unique_dim_cuda_templateIN3c108BFloat16EEESt5tupleIJNSC_6TensorESJ_SJ_EERKSJ_lbbbEUlllE1_EE10hipError_tPvRmT2_T3_mT4_P12ihipStream_tbEUlmE_lEESB_NS0_8identityIvEEEESO_SR_SS_mST_SV_bEUlT_E_NS1_11comp_targetILNS1_3genE10ELNS1_11target_archE1201ELNS1_3gpuE5ELNS1_3repE0EEENS1_30default_config_static_selectorELNS0_4arch9wavefront6targetE1EEEvT1_
		.amdhsa_group_segment_fixed_size 0
		.amdhsa_private_segment_fixed_size 0
		.amdhsa_kernarg_size 56
		.amdhsa_user_sgpr_count 6
		.amdhsa_user_sgpr_private_segment_buffer 1
		.amdhsa_user_sgpr_dispatch_ptr 0
		.amdhsa_user_sgpr_queue_ptr 0
		.amdhsa_user_sgpr_kernarg_segment_ptr 1
		.amdhsa_user_sgpr_dispatch_id 0
		.amdhsa_user_sgpr_flat_scratch_init 0
		.amdhsa_user_sgpr_kernarg_preload_length 0
		.amdhsa_user_sgpr_kernarg_preload_offset 0
		.amdhsa_user_sgpr_private_segment_size 0
		.amdhsa_uses_dynamic_stack 0
		.amdhsa_system_sgpr_private_segment_wavefront_offset 0
		.amdhsa_system_sgpr_workgroup_id_x 1
		.amdhsa_system_sgpr_workgroup_id_y 0
		.amdhsa_system_sgpr_workgroup_id_z 0
		.amdhsa_system_sgpr_workgroup_info 0
		.amdhsa_system_vgpr_workitem_id 0
		.amdhsa_next_free_vgpr 1
		.amdhsa_next_free_sgpr 0
		.amdhsa_accum_offset 4
		.amdhsa_reserve_vcc 0
		.amdhsa_reserve_flat_scratch 0
		.amdhsa_float_round_mode_32 0
		.amdhsa_float_round_mode_16_64 0
		.amdhsa_float_denorm_mode_32 3
		.amdhsa_float_denorm_mode_16_64 3
		.amdhsa_dx10_clamp 1
		.amdhsa_ieee_mode 1
		.amdhsa_fp16_overflow 0
		.amdhsa_tg_split 0
		.amdhsa_exception_fp_ieee_invalid_op 0
		.amdhsa_exception_fp_denorm_src 0
		.amdhsa_exception_fp_ieee_div_zero 0
		.amdhsa_exception_fp_ieee_overflow 0
		.amdhsa_exception_fp_ieee_underflow 0
		.amdhsa_exception_fp_ieee_inexact 0
		.amdhsa_exception_int_div_zero 0
	.end_amdhsa_kernel
	.section	.text._ZN7rocprim17ROCPRIM_400000_NS6detail17trampoline_kernelINS0_14default_configENS1_25transform_config_selectorIlLb0EEEZNS1_14transform_implILb0ES3_S5_NS0_18transform_iteratorINS0_17counting_iteratorImlEEZNS1_24adjacent_difference_implIS3_Lb1ELb0EPlSB_ZN2at6native12_GLOBAL__N_124unique_dim_cuda_templateIN3c108BFloat16EEESt5tupleIJNSC_6TensorESJ_SJ_EERKSJ_lbbbEUlllE1_EE10hipError_tPvRmT2_T3_mT4_P12ihipStream_tbEUlmE_lEESB_NS0_8identityIvEEEESO_SR_SS_mST_SV_bEUlT_E_NS1_11comp_targetILNS1_3genE10ELNS1_11target_archE1201ELNS1_3gpuE5ELNS1_3repE0EEENS1_30default_config_static_selectorELNS0_4arch9wavefront6targetE1EEEvT1_,"axG",@progbits,_ZN7rocprim17ROCPRIM_400000_NS6detail17trampoline_kernelINS0_14default_configENS1_25transform_config_selectorIlLb0EEEZNS1_14transform_implILb0ES3_S5_NS0_18transform_iteratorINS0_17counting_iteratorImlEEZNS1_24adjacent_difference_implIS3_Lb1ELb0EPlSB_ZN2at6native12_GLOBAL__N_124unique_dim_cuda_templateIN3c108BFloat16EEESt5tupleIJNSC_6TensorESJ_SJ_EERKSJ_lbbbEUlllE1_EE10hipError_tPvRmT2_T3_mT4_P12ihipStream_tbEUlmE_lEESB_NS0_8identityIvEEEESO_SR_SS_mST_SV_bEUlT_E_NS1_11comp_targetILNS1_3genE10ELNS1_11target_archE1201ELNS1_3gpuE5ELNS1_3repE0EEENS1_30default_config_static_selectorELNS0_4arch9wavefront6targetE1EEEvT1_,comdat
.Lfunc_end1161:
	.size	_ZN7rocprim17ROCPRIM_400000_NS6detail17trampoline_kernelINS0_14default_configENS1_25transform_config_selectorIlLb0EEEZNS1_14transform_implILb0ES3_S5_NS0_18transform_iteratorINS0_17counting_iteratorImlEEZNS1_24adjacent_difference_implIS3_Lb1ELb0EPlSB_ZN2at6native12_GLOBAL__N_124unique_dim_cuda_templateIN3c108BFloat16EEESt5tupleIJNSC_6TensorESJ_SJ_EERKSJ_lbbbEUlllE1_EE10hipError_tPvRmT2_T3_mT4_P12ihipStream_tbEUlmE_lEESB_NS0_8identityIvEEEESO_SR_SS_mST_SV_bEUlT_E_NS1_11comp_targetILNS1_3genE10ELNS1_11target_archE1201ELNS1_3gpuE5ELNS1_3repE0EEENS1_30default_config_static_selectorELNS0_4arch9wavefront6targetE1EEEvT1_, .Lfunc_end1161-_ZN7rocprim17ROCPRIM_400000_NS6detail17trampoline_kernelINS0_14default_configENS1_25transform_config_selectorIlLb0EEEZNS1_14transform_implILb0ES3_S5_NS0_18transform_iteratorINS0_17counting_iteratorImlEEZNS1_24adjacent_difference_implIS3_Lb1ELb0EPlSB_ZN2at6native12_GLOBAL__N_124unique_dim_cuda_templateIN3c108BFloat16EEESt5tupleIJNSC_6TensorESJ_SJ_EERKSJ_lbbbEUlllE1_EE10hipError_tPvRmT2_T3_mT4_P12ihipStream_tbEUlmE_lEESB_NS0_8identityIvEEEESO_SR_SS_mST_SV_bEUlT_E_NS1_11comp_targetILNS1_3genE10ELNS1_11target_archE1201ELNS1_3gpuE5ELNS1_3repE0EEENS1_30default_config_static_selectorELNS0_4arch9wavefront6targetE1EEEvT1_
                                        ; -- End function
	.section	.AMDGPU.csdata,"",@progbits
; Kernel info:
; codeLenInByte = 0
; NumSgprs: 4
; NumVgprs: 0
; NumAgprs: 0
; TotalNumVgprs: 0
; ScratchSize: 0
; MemoryBound: 0
; FloatMode: 240
; IeeeMode: 1
; LDSByteSize: 0 bytes/workgroup (compile time only)
; SGPRBlocks: 0
; VGPRBlocks: 0
; NumSGPRsForWavesPerEU: 4
; NumVGPRsForWavesPerEU: 1
; AccumOffset: 4
; Occupancy: 8
; WaveLimiterHint : 0
; COMPUTE_PGM_RSRC2:SCRATCH_EN: 0
; COMPUTE_PGM_RSRC2:USER_SGPR: 6
; COMPUTE_PGM_RSRC2:TRAP_HANDLER: 0
; COMPUTE_PGM_RSRC2:TGID_X_EN: 1
; COMPUTE_PGM_RSRC2:TGID_Y_EN: 0
; COMPUTE_PGM_RSRC2:TGID_Z_EN: 0
; COMPUTE_PGM_RSRC2:TIDIG_COMP_CNT: 0
; COMPUTE_PGM_RSRC3_GFX90A:ACCUM_OFFSET: 0
; COMPUTE_PGM_RSRC3_GFX90A:TG_SPLIT: 0
	.section	.text._ZN7rocprim17ROCPRIM_400000_NS6detail17trampoline_kernelINS0_14default_configENS1_25transform_config_selectorIlLb0EEEZNS1_14transform_implILb0ES3_S5_NS0_18transform_iteratorINS0_17counting_iteratorImlEEZNS1_24adjacent_difference_implIS3_Lb1ELb0EPlSB_ZN2at6native12_GLOBAL__N_124unique_dim_cuda_templateIN3c108BFloat16EEESt5tupleIJNSC_6TensorESJ_SJ_EERKSJ_lbbbEUlllE1_EE10hipError_tPvRmT2_T3_mT4_P12ihipStream_tbEUlmE_lEESB_NS0_8identityIvEEEESO_SR_SS_mST_SV_bEUlT_E_NS1_11comp_targetILNS1_3genE10ELNS1_11target_archE1200ELNS1_3gpuE4ELNS1_3repE0EEENS1_30default_config_static_selectorELNS0_4arch9wavefront6targetE1EEEvT1_,"axG",@progbits,_ZN7rocprim17ROCPRIM_400000_NS6detail17trampoline_kernelINS0_14default_configENS1_25transform_config_selectorIlLb0EEEZNS1_14transform_implILb0ES3_S5_NS0_18transform_iteratorINS0_17counting_iteratorImlEEZNS1_24adjacent_difference_implIS3_Lb1ELb0EPlSB_ZN2at6native12_GLOBAL__N_124unique_dim_cuda_templateIN3c108BFloat16EEESt5tupleIJNSC_6TensorESJ_SJ_EERKSJ_lbbbEUlllE1_EE10hipError_tPvRmT2_T3_mT4_P12ihipStream_tbEUlmE_lEESB_NS0_8identityIvEEEESO_SR_SS_mST_SV_bEUlT_E_NS1_11comp_targetILNS1_3genE10ELNS1_11target_archE1200ELNS1_3gpuE4ELNS1_3repE0EEENS1_30default_config_static_selectorELNS0_4arch9wavefront6targetE1EEEvT1_,comdat
	.globl	_ZN7rocprim17ROCPRIM_400000_NS6detail17trampoline_kernelINS0_14default_configENS1_25transform_config_selectorIlLb0EEEZNS1_14transform_implILb0ES3_S5_NS0_18transform_iteratorINS0_17counting_iteratorImlEEZNS1_24adjacent_difference_implIS3_Lb1ELb0EPlSB_ZN2at6native12_GLOBAL__N_124unique_dim_cuda_templateIN3c108BFloat16EEESt5tupleIJNSC_6TensorESJ_SJ_EERKSJ_lbbbEUlllE1_EE10hipError_tPvRmT2_T3_mT4_P12ihipStream_tbEUlmE_lEESB_NS0_8identityIvEEEESO_SR_SS_mST_SV_bEUlT_E_NS1_11comp_targetILNS1_3genE10ELNS1_11target_archE1200ELNS1_3gpuE4ELNS1_3repE0EEENS1_30default_config_static_selectorELNS0_4arch9wavefront6targetE1EEEvT1_ ; -- Begin function _ZN7rocprim17ROCPRIM_400000_NS6detail17trampoline_kernelINS0_14default_configENS1_25transform_config_selectorIlLb0EEEZNS1_14transform_implILb0ES3_S5_NS0_18transform_iteratorINS0_17counting_iteratorImlEEZNS1_24adjacent_difference_implIS3_Lb1ELb0EPlSB_ZN2at6native12_GLOBAL__N_124unique_dim_cuda_templateIN3c108BFloat16EEESt5tupleIJNSC_6TensorESJ_SJ_EERKSJ_lbbbEUlllE1_EE10hipError_tPvRmT2_T3_mT4_P12ihipStream_tbEUlmE_lEESB_NS0_8identityIvEEEESO_SR_SS_mST_SV_bEUlT_E_NS1_11comp_targetILNS1_3genE10ELNS1_11target_archE1200ELNS1_3gpuE4ELNS1_3repE0EEENS1_30default_config_static_selectorELNS0_4arch9wavefront6targetE1EEEvT1_
	.p2align	8
	.type	_ZN7rocprim17ROCPRIM_400000_NS6detail17trampoline_kernelINS0_14default_configENS1_25transform_config_selectorIlLb0EEEZNS1_14transform_implILb0ES3_S5_NS0_18transform_iteratorINS0_17counting_iteratorImlEEZNS1_24adjacent_difference_implIS3_Lb1ELb0EPlSB_ZN2at6native12_GLOBAL__N_124unique_dim_cuda_templateIN3c108BFloat16EEESt5tupleIJNSC_6TensorESJ_SJ_EERKSJ_lbbbEUlllE1_EE10hipError_tPvRmT2_T3_mT4_P12ihipStream_tbEUlmE_lEESB_NS0_8identityIvEEEESO_SR_SS_mST_SV_bEUlT_E_NS1_11comp_targetILNS1_3genE10ELNS1_11target_archE1200ELNS1_3gpuE4ELNS1_3repE0EEENS1_30default_config_static_selectorELNS0_4arch9wavefront6targetE1EEEvT1_,@function
_ZN7rocprim17ROCPRIM_400000_NS6detail17trampoline_kernelINS0_14default_configENS1_25transform_config_selectorIlLb0EEEZNS1_14transform_implILb0ES3_S5_NS0_18transform_iteratorINS0_17counting_iteratorImlEEZNS1_24adjacent_difference_implIS3_Lb1ELb0EPlSB_ZN2at6native12_GLOBAL__N_124unique_dim_cuda_templateIN3c108BFloat16EEESt5tupleIJNSC_6TensorESJ_SJ_EERKSJ_lbbbEUlllE1_EE10hipError_tPvRmT2_T3_mT4_P12ihipStream_tbEUlmE_lEESB_NS0_8identityIvEEEESO_SR_SS_mST_SV_bEUlT_E_NS1_11comp_targetILNS1_3genE10ELNS1_11target_archE1200ELNS1_3gpuE4ELNS1_3repE0EEENS1_30default_config_static_selectorELNS0_4arch9wavefront6targetE1EEEvT1_: ; @_ZN7rocprim17ROCPRIM_400000_NS6detail17trampoline_kernelINS0_14default_configENS1_25transform_config_selectorIlLb0EEEZNS1_14transform_implILb0ES3_S5_NS0_18transform_iteratorINS0_17counting_iteratorImlEEZNS1_24adjacent_difference_implIS3_Lb1ELb0EPlSB_ZN2at6native12_GLOBAL__N_124unique_dim_cuda_templateIN3c108BFloat16EEESt5tupleIJNSC_6TensorESJ_SJ_EERKSJ_lbbbEUlllE1_EE10hipError_tPvRmT2_T3_mT4_P12ihipStream_tbEUlmE_lEESB_NS0_8identityIvEEEESO_SR_SS_mST_SV_bEUlT_E_NS1_11comp_targetILNS1_3genE10ELNS1_11target_archE1200ELNS1_3gpuE4ELNS1_3repE0EEENS1_30default_config_static_selectorELNS0_4arch9wavefront6targetE1EEEvT1_
; %bb.0:
	.section	.rodata,"a",@progbits
	.p2align	6, 0x0
	.amdhsa_kernel _ZN7rocprim17ROCPRIM_400000_NS6detail17trampoline_kernelINS0_14default_configENS1_25transform_config_selectorIlLb0EEEZNS1_14transform_implILb0ES3_S5_NS0_18transform_iteratorINS0_17counting_iteratorImlEEZNS1_24adjacent_difference_implIS3_Lb1ELb0EPlSB_ZN2at6native12_GLOBAL__N_124unique_dim_cuda_templateIN3c108BFloat16EEESt5tupleIJNSC_6TensorESJ_SJ_EERKSJ_lbbbEUlllE1_EE10hipError_tPvRmT2_T3_mT4_P12ihipStream_tbEUlmE_lEESB_NS0_8identityIvEEEESO_SR_SS_mST_SV_bEUlT_E_NS1_11comp_targetILNS1_3genE10ELNS1_11target_archE1200ELNS1_3gpuE4ELNS1_3repE0EEENS1_30default_config_static_selectorELNS0_4arch9wavefront6targetE1EEEvT1_
		.amdhsa_group_segment_fixed_size 0
		.amdhsa_private_segment_fixed_size 0
		.amdhsa_kernarg_size 56
		.amdhsa_user_sgpr_count 6
		.amdhsa_user_sgpr_private_segment_buffer 1
		.amdhsa_user_sgpr_dispatch_ptr 0
		.amdhsa_user_sgpr_queue_ptr 0
		.amdhsa_user_sgpr_kernarg_segment_ptr 1
		.amdhsa_user_sgpr_dispatch_id 0
		.amdhsa_user_sgpr_flat_scratch_init 0
		.amdhsa_user_sgpr_kernarg_preload_length 0
		.amdhsa_user_sgpr_kernarg_preload_offset 0
		.amdhsa_user_sgpr_private_segment_size 0
		.amdhsa_uses_dynamic_stack 0
		.amdhsa_system_sgpr_private_segment_wavefront_offset 0
		.amdhsa_system_sgpr_workgroup_id_x 1
		.amdhsa_system_sgpr_workgroup_id_y 0
		.amdhsa_system_sgpr_workgroup_id_z 0
		.amdhsa_system_sgpr_workgroup_info 0
		.amdhsa_system_vgpr_workitem_id 0
		.amdhsa_next_free_vgpr 1
		.amdhsa_next_free_sgpr 0
		.amdhsa_accum_offset 4
		.amdhsa_reserve_vcc 0
		.amdhsa_reserve_flat_scratch 0
		.amdhsa_float_round_mode_32 0
		.amdhsa_float_round_mode_16_64 0
		.amdhsa_float_denorm_mode_32 3
		.amdhsa_float_denorm_mode_16_64 3
		.amdhsa_dx10_clamp 1
		.amdhsa_ieee_mode 1
		.amdhsa_fp16_overflow 0
		.amdhsa_tg_split 0
		.amdhsa_exception_fp_ieee_invalid_op 0
		.amdhsa_exception_fp_denorm_src 0
		.amdhsa_exception_fp_ieee_div_zero 0
		.amdhsa_exception_fp_ieee_overflow 0
		.amdhsa_exception_fp_ieee_underflow 0
		.amdhsa_exception_fp_ieee_inexact 0
		.amdhsa_exception_int_div_zero 0
	.end_amdhsa_kernel
	.section	.text._ZN7rocprim17ROCPRIM_400000_NS6detail17trampoline_kernelINS0_14default_configENS1_25transform_config_selectorIlLb0EEEZNS1_14transform_implILb0ES3_S5_NS0_18transform_iteratorINS0_17counting_iteratorImlEEZNS1_24adjacent_difference_implIS3_Lb1ELb0EPlSB_ZN2at6native12_GLOBAL__N_124unique_dim_cuda_templateIN3c108BFloat16EEESt5tupleIJNSC_6TensorESJ_SJ_EERKSJ_lbbbEUlllE1_EE10hipError_tPvRmT2_T3_mT4_P12ihipStream_tbEUlmE_lEESB_NS0_8identityIvEEEESO_SR_SS_mST_SV_bEUlT_E_NS1_11comp_targetILNS1_3genE10ELNS1_11target_archE1200ELNS1_3gpuE4ELNS1_3repE0EEENS1_30default_config_static_selectorELNS0_4arch9wavefront6targetE1EEEvT1_,"axG",@progbits,_ZN7rocprim17ROCPRIM_400000_NS6detail17trampoline_kernelINS0_14default_configENS1_25transform_config_selectorIlLb0EEEZNS1_14transform_implILb0ES3_S5_NS0_18transform_iteratorINS0_17counting_iteratorImlEEZNS1_24adjacent_difference_implIS3_Lb1ELb0EPlSB_ZN2at6native12_GLOBAL__N_124unique_dim_cuda_templateIN3c108BFloat16EEESt5tupleIJNSC_6TensorESJ_SJ_EERKSJ_lbbbEUlllE1_EE10hipError_tPvRmT2_T3_mT4_P12ihipStream_tbEUlmE_lEESB_NS0_8identityIvEEEESO_SR_SS_mST_SV_bEUlT_E_NS1_11comp_targetILNS1_3genE10ELNS1_11target_archE1200ELNS1_3gpuE4ELNS1_3repE0EEENS1_30default_config_static_selectorELNS0_4arch9wavefront6targetE1EEEvT1_,comdat
.Lfunc_end1162:
	.size	_ZN7rocprim17ROCPRIM_400000_NS6detail17trampoline_kernelINS0_14default_configENS1_25transform_config_selectorIlLb0EEEZNS1_14transform_implILb0ES3_S5_NS0_18transform_iteratorINS0_17counting_iteratorImlEEZNS1_24adjacent_difference_implIS3_Lb1ELb0EPlSB_ZN2at6native12_GLOBAL__N_124unique_dim_cuda_templateIN3c108BFloat16EEESt5tupleIJNSC_6TensorESJ_SJ_EERKSJ_lbbbEUlllE1_EE10hipError_tPvRmT2_T3_mT4_P12ihipStream_tbEUlmE_lEESB_NS0_8identityIvEEEESO_SR_SS_mST_SV_bEUlT_E_NS1_11comp_targetILNS1_3genE10ELNS1_11target_archE1200ELNS1_3gpuE4ELNS1_3repE0EEENS1_30default_config_static_selectorELNS0_4arch9wavefront6targetE1EEEvT1_, .Lfunc_end1162-_ZN7rocprim17ROCPRIM_400000_NS6detail17trampoline_kernelINS0_14default_configENS1_25transform_config_selectorIlLb0EEEZNS1_14transform_implILb0ES3_S5_NS0_18transform_iteratorINS0_17counting_iteratorImlEEZNS1_24adjacent_difference_implIS3_Lb1ELb0EPlSB_ZN2at6native12_GLOBAL__N_124unique_dim_cuda_templateIN3c108BFloat16EEESt5tupleIJNSC_6TensorESJ_SJ_EERKSJ_lbbbEUlllE1_EE10hipError_tPvRmT2_T3_mT4_P12ihipStream_tbEUlmE_lEESB_NS0_8identityIvEEEESO_SR_SS_mST_SV_bEUlT_E_NS1_11comp_targetILNS1_3genE10ELNS1_11target_archE1200ELNS1_3gpuE4ELNS1_3repE0EEENS1_30default_config_static_selectorELNS0_4arch9wavefront6targetE1EEEvT1_
                                        ; -- End function
	.section	.AMDGPU.csdata,"",@progbits
; Kernel info:
; codeLenInByte = 0
; NumSgprs: 4
; NumVgprs: 0
; NumAgprs: 0
; TotalNumVgprs: 0
; ScratchSize: 0
; MemoryBound: 0
; FloatMode: 240
; IeeeMode: 1
; LDSByteSize: 0 bytes/workgroup (compile time only)
; SGPRBlocks: 0
; VGPRBlocks: 0
; NumSGPRsForWavesPerEU: 4
; NumVGPRsForWavesPerEU: 1
; AccumOffset: 4
; Occupancy: 8
; WaveLimiterHint : 0
; COMPUTE_PGM_RSRC2:SCRATCH_EN: 0
; COMPUTE_PGM_RSRC2:USER_SGPR: 6
; COMPUTE_PGM_RSRC2:TRAP_HANDLER: 0
; COMPUTE_PGM_RSRC2:TGID_X_EN: 1
; COMPUTE_PGM_RSRC2:TGID_Y_EN: 0
; COMPUTE_PGM_RSRC2:TGID_Z_EN: 0
; COMPUTE_PGM_RSRC2:TIDIG_COMP_CNT: 0
; COMPUTE_PGM_RSRC3_GFX90A:ACCUM_OFFSET: 0
; COMPUTE_PGM_RSRC3_GFX90A:TG_SPLIT: 0
	.section	.text._ZN7rocprim17ROCPRIM_400000_NS6detail17trampoline_kernelINS0_14default_configENS1_25transform_config_selectorIlLb0EEEZNS1_14transform_implILb0ES3_S5_NS0_18transform_iteratorINS0_17counting_iteratorImlEEZNS1_24adjacent_difference_implIS3_Lb1ELb0EPlSB_ZN2at6native12_GLOBAL__N_124unique_dim_cuda_templateIN3c108BFloat16EEESt5tupleIJNSC_6TensorESJ_SJ_EERKSJ_lbbbEUlllE1_EE10hipError_tPvRmT2_T3_mT4_P12ihipStream_tbEUlmE_lEESB_NS0_8identityIvEEEESO_SR_SS_mST_SV_bEUlT_E_NS1_11comp_targetILNS1_3genE9ELNS1_11target_archE1100ELNS1_3gpuE3ELNS1_3repE0EEENS1_30default_config_static_selectorELNS0_4arch9wavefront6targetE1EEEvT1_,"axG",@progbits,_ZN7rocprim17ROCPRIM_400000_NS6detail17trampoline_kernelINS0_14default_configENS1_25transform_config_selectorIlLb0EEEZNS1_14transform_implILb0ES3_S5_NS0_18transform_iteratorINS0_17counting_iteratorImlEEZNS1_24adjacent_difference_implIS3_Lb1ELb0EPlSB_ZN2at6native12_GLOBAL__N_124unique_dim_cuda_templateIN3c108BFloat16EEESt5tupleIJNSC_6TensorESJ_SJ_EERKSJ_lbbbEUlllE1_EE10hipError_tPvRmT2_T3_mT4_P12ihipStream_tbEUlmE_lEESB_NS0_8identityIvEEEESO_SR_SS_mST_SV_bEUlT_E_NS1_11comp_targetILNS1_3genE9ELNS1_11target_archE1100ELNS1_3gpuE3ELNS1_3repE0EEENS1_30default_config_static_selectorELNS0_4arch9wavefront6targetE1EEEvT1_,comdat
	.globl	_ZN7rocprim17ROCPRIM_400000_NS6detail17trampoline_kernelINS0_14default_configENS1_25transform_config_selectorIlLb0EEEZNS1_14transform_implILb0ES3_S5_NS0_18transform_iteratorINS0_17counting_iteratorImlEEZNS1_24adjacent_difference_implIS3_Lb1ELb0EPlSB_ZN2at6native12_GLOBAL__N_124unique_dim_cuda_templateIN3c108BFloat16EEESt5tupleIJNSC_6TensorESJ_SJ_EERKSJ_lbbbEUlllE1_EE10hipError_tPvRmT2_T3_mT4_P12ihipStream_tbEUlmE_lEESB_NS0_8identityIvEEEESO_SR_SS_mST_SV_bEUlT_E_NS1_11comp_targetILNS1_3genE9ELNS1_11target_archE1100ELNS1_3gpuE3ELNS1_3repE0EEENS1_30default_config_static_selectorELNS0_4arch9wavefront6targetE1EEEvT1_ ; -- Begin function _ZN7rocprim17ROCPRIM_400000_NS6detail17trampoline_kernelINS0_14default_configENS1_25transform_config_selectorIlLb0EEEZNS1_14transform_implILb0ES3_S5_NS0_18transform_iteratorINS0_17counting_iteratorImlEEZNS1_24adjacent_difference_implIS3_Lb1ELb0EPlSB_ZN2at6native12_GLOBAL__N_124unique_dim_cuda_templateIN3c108BFloat16EEESt5tupleIJNSC_6TensorESJ_SJ_EERKSJ_lbbbEUlllE1_EE10hipError_tPvRmT2_T3_mT4_P12ihipStream_tbEUlmE_lEESB_NS0_8identityIvEEEESO_SR_SS_mST_SV_bEUlT_E_NS1_11comp_targetILNS1_3genE9ELNS1_11target_archE1100ELNS1_3gpuE3ELNS1_3repE0EEENS1_30default_config_static_selectorELNS0_4arch9wavefront6targetE1EEEvT1_
	.p2align	8
	.type	_ZN7rocprim17ROCPRIM_400000_NS6detail17trampoline_kernelINS0_14default_configENS1_25transform_config_selectorIlLb0EEEZNS1_14transform_implILb0ES3_S5_NS0_18transform_iteratorINS0_17counting_iteratorImlEEZNS1_24adjacent_difference_implIS3_Lb1ELb0EPlSB_ZN2at6native12_GLOBAL__N_124unique_dim_cuda_templateIN3c108BFloat16EEESt5tupleIJNSC_6TensorESJ_SJ_EERKSJ_lbbbEUlllE1_EE10hipError_tPvRmT2_T3_mT4_P12ihipStream_tbEUlmE_lEESB_NS0_8identityIvEEEESO_SR_SS_mST_SV_bEUlT_E_NS1_11comp_targetILNS1_3genE9ELNS1_11target_archE1100ELNS1_3gpuE3ELNS1_3repE0EEENS1_30default_config_static_selectorELNS0_4arch9wavefront6targetE1EEEvT1_,@function
_ZN7rocprim17ROCPRIM_400000_NS6detail17trampoline_kernelINS0_14default_configENS1_25transform_config_selectorIlLb0EEEZNS1_14transform_implILb0ES3_S5_NS0_18transform_iteratorINS0_17counting_iteratorImlEEZNS1_24adjacent_difference_implIS3_Lb1ELb0EPlSB_ZN2at6native12_GLOBAL__N_124unique_dim_cuda_templateIN3c108BFloat16EEESt5tupleIJNSC_6TensorESJ_SJ_EERKSJ_lbbbEUlllE1_EE10hipError_tPvRmT2_T3_mT4_P12ihipStream_tbEUlmE_lEESB_NS0_8identityIvEEEESO_SR_SS_mST_SV_bEUlT_E_NS1_11comp_targetILNS1_3genE9ELNS1_11target_archE1100ELNS1_3gpuE3ELNS1_3repE0EEENS1_30default_config_static_selectorELNS0_4arch9wavefront6targetE1EEEvT1_: ; @_ZN7rocprim17ROCPRIM_400000_NS6detail17trampoline_kernelINS0_14default_configENS1_25transform_config_selectorIlLb0EEEZNS1_14transform_implILb0ES3_S5_NS0_18transform_iteratorINS0_17counting_iteratorImlEEZNS1_24adjacent_difference_implIS3_Lb1ELb0EPlSB_ZN2at6native12_GLOBAL__N_124unique_dim_cuda_templateIN3c108BFloat16EEESt5tupleIJNSC_6TensorESJ_SJ_EERKSJ_lbbbEUlllE1_EE10hipError_tPvRmT2_T3_mT4_P12ihipStream_tbEUlmE_lEESB_NS0_8identityIvEEEESO_SR_SS_mST_SV_bEUlT_E_NS1_11comp_targetILNS1_3genE9ELNS1_11target_archE1100ELNS1_3gpuE3ELNS1_3repE0EEENS1_30default_config_static_selectorELNS0_4arch9wavefront6targetE1EEEvT1_
; %bb.0:
	.section	.rodata,"a",@progbits
	.p2align	6, 0x0
	.amdhsa_kernel _ZN7rocprim17ROCPRIM_400000_NS6detail17trampoline_kernelINS0_14default_configENS1_25transform_config_selectorIlLb0EEEZNS1_14transform_implILb0ES3_S5_NS0_18transform_iteratorINS0_17counting_iteratorImlEEZNS1_24adjacent_difference_implIS3_Lb1ELb0EPlSB_ZN2at6native12_GLOBAL__N_124unique_dim_cuda_templateIN3c108BFloat16EEESt5tupleIJNSC_6TensorESJ_SJ_EERKSJ_lbbbEUlllE1_EE10hipError_tPvRmT2_T3_mT4_P12ihipStream_tbEUlmE_lEESB_NS0_8identityIvEEEESO_SR_SS_mST_SV_bEUlT_E_NS1_11comp_targetILNS1_3genE9ELNS1_11target_archE1100ELNS1_3gpuE3ELNS1_3repE0EEENS1_30default_config_static_selectorELNS0_4arch9wavefront6targetE1EEEvT1_
		.amdhsa_group_segment_fixed_size 0
		.amdhsa_private_segment_fixed_size 0
		.amdhsa_kernarg_size 56
		.amdhsa_user_sgpr_count 6
		.amdhsa_user_sgpr_private_segment_buffer 1
		.amdhsa_user_sgpr_dispatch_ptr 0
		.amdhsa_user_sgpr_queue_ptr 0
		.amdhsa_user_sgpr_kernarg_segment_ptr 1
		.amdhsa_user_sgpr_dispatch_id 0
		.amdhsa_user_sgpr_flat_scratch_init 0
		.amdhsa_user_sgpr_kernarg_preload_length 0
		.amdhsa_user_sgpr_kernarg_preload_offset 0
		.amdhsa_user_sgpr_private_segment_size 0
		.amdhsa_uses_dynamic_stack 0
		.amdhsa_system_sgpr_private_segment_wavefront_offset 0
		.amdhsa_system_sgpr_workgroup_id_x 1
		.amdhsa_system_sgpr_workgroup_id_y 0
		.amdhsa_system_sgpr_workgroup_id_z 0
		.amdhsa_system_sgpr_workgroup_info 0
		.amdhsa_system_vgpr_workitem_id 0
		.amdhsa_next_free_vgpr 1
		.amdhsa_next_free_sgpr 0
		.amdhsa_accum_offset 4
		.amdhsa_reserve_vcc 0
		.amdhsa_reserve_flat_scratch 0
		.amdhsa_float_round_mode_32 0
		.amdhsa_float_round_mode_16_64 0
		.amdhsa_float_denorm_mode_32 3
		.amdhsa_float_denorm_mode_16_64 3
		.amdhsa_dx10_clamp 1
		.amdhsa_ieee_mode 1
		.amdhsa_fp16_overflow 0
		.amdhsa_tg_split 0
		.amdhsa_exception_fp_ieee_invalid_op 0
		.amdhsa_exception_fp_denorm_src 0
		.amdhsa_exception_fp_ieee_div_zero 0
		.amdhsa_exception_fp_ieee_overflow 0
		.amdhsa_exception_fp_ieee_underflow 0
		.amdhsa_exception_fp_ieee_inexact 0
		.amdhsa_exception_int_div_zero 0
	.end_amdhsa_kernel
	.section	.text._ZN7rocprim17ROCPRIM_400000_NS6detail17trampoline_kernelINS0_14default_configENS1_25transform_config_selectorIlLb0EEEZNS1_14transform_implILb0ES3_S5_NS0_18transform_iteratorINS0_17counting_iteratorImlEEZNS1_24adjacent_difference_implIS3_Lb1ELb0EPlSB_ZN2at6native12_GLOBAL__N_124unique_dim_cuda_templateIN3c108BFloat16EEESt5tupleIJNSC_6TensorESJ_SJ_EERKSJ_lbbbEUlllE1_EE10hipError_tPvRmT2_T3_mT4_P12ihipStream_tbEUlmE_lEESB_NS0_8identityIvEEEESO_SR_SS_mST_SV_bEUlT_E_NS1_11comp_targetILNS1_3genE9ELNS1_11target_archE1100ELNS1_3gpuE3ELNS1_3repE0EEENS1_30default_config_static_selectorELNS0_4arch9wavefront6targetE1EEEvT1_,"axG",@progbits,_ZN7rocprim17ROCPRIM_400000_NS6detail17trampoline_kernelINS0_14default_configENS1_25transform_config_selectorIlLb0EEEZNS1_14transform_implILb0ES3_S5_NS0_18transform_iteratorINS0_17counting_iteratorImlEEZNS1_24adjacent_difference_implIS3_Lb1ELb0EPlSB_ZN2at6native12_GLOBAL__N_124unique_dim_cuda_templateIN3c108BFloat16EEESt5tupleIJNSC_6TensorESJ_SJ_EERKSJ_lbbbEUlllE1_EE10hipError_tPvRmT2_T3_mT4_P12ihipStream_tbEUlmE_lEESB_NS0_8identityIvEEEESO_SR_SS_mST_SV_bEUlT_E_NS1_11comp_targetILNS1_3genE9ELNS1_11target_archE1100ELNS1_3gpuE3ELNS1_3repE0EEENS1_30default_config_static_selectorELNS0_4arch9wavefront6targetE1EEEvT1_,comdat
.Lfunc_end1163:
	.size	_ZN7rocprim17ROCPRIM_400000_NS6detail17trampoline_kernelINS0_14default_configENS1_25transform_config_selectorIlLb0EEEZNS1_14transform_implILb0ES3_S5_NS0_18transform_iteratorINS0_17counting_iteratorImlEEZNS1_24adjacent_difference_implIS3_Lb1ELb0EPlSB_ZN2at6native12_GLOBAL__N_124unique_dim_cuda_templateIN3c108BFloat16EEESt5tupleIJNSC_6TensorESJ_SJ_EERKSJ_lbbbEUlllE1_EE10hipError_tPvRmT2_T3_mT4_P12ihipStream_tbEUlmE_lEESB_NS0_8identityIvEEEESO_SR_SS_mST_SV_bEUlT_E_NS1_11comp_targetILNS1_3genE9ELNS1_11target_archE1100ELNS1_3gpuE3ELNS1_3repE0EEENS1_30default_config_static_selectorELNS0_4arch9wavefront6targetE1EEEvT1_, .Lfunc_end1163-_ZN7rocprim17ROCPRIM_400000_NS6detail17trampoline_kernelINS0_14default_configENS1_25transform_config_selectorIlLb0EEEZNS1_14transform_implILb0ES3_S5_NS0_18transform_iteratorINS0_17counting_iteratorImlEEZNS1_24adjacent_difference_implIS3_Lb1ELb0EPlSB_ZN2at6native12_GLOBAL__N_124unique_dim_cuda_templateIN3c108BFloat16EEESt5tupleIJNSC_6TensorESJ_SJ_EERKSJ_lbbbEUlllE1_EE10hipError_tPvRmT2_T3_mT4_P12ihipStream_tbEUlmE_lEESB_NS0_8identityIvEEEESO_SR_SS_mST_SV_bEUlT_E_NS1_11comp_targetILNS1_3genE9ELNS1_11target_archE1100ELNS1_3gpuE3ELNS1_3repE0EEENS1_30default_config_static_selectorELNS0_4arch9wavefront6targetE1EEEvT1_
                                        ; -- End function
	.section	.AMDGPU.csdata,"",@progbits
; Kernel info:
; codeLenInByte = 0
; NumSgprs: 4
; NumVgprs: 0
; NumAgprs: 0
; TotalNumVgprs: 0
; ScratchSize: 0
; MemoryBound: 0
; FloatMode: 240
; IeeeMode: 1
; LDSByteSize: 0 bytes/workgroup (compile time only)
; SGPRBlocks: 0
; VGPRBlocks: 0
; NumSGPRsForWavesPerEU: 4
; NumVGPRsForWavesPerEU: 1
; AccumOffset: 4
; Occupancy: 8
; WaveLimiterHint : 0
; COMPUTE_PGM_RSRC2:SCRATCH_EN: 0
; COMPUTE_PGM_RSRC2:USER_SGPR: 6
; COMPUTE_PGM_RSRC2:TRAP_HANDLER: 0
; COMPUTE_PGM_RSRC2:TGID_X_EN: 1
; COMPUTE_PGM_RSRC2:TGID_Y_EN: 0
; COMPUTE_PGM_RSRC2:TGID_Z_EN: 0
; COMPUTE_PGM_RSRC2:TIDIG_COMP_CNT: 0
; COMPUTE_PGM_RSRC3_GFX90A:ACCUM_OFFSET: 0
; COMPUTE_PGM_RSRC3_GFX90A:TG_SPLIT: 0
	.section	.text._ZN7rocprim17ROCPRIM_400000_NS6detail17trampoline_kernelINS0_14default_configENS1_25transform_config_selectorIlLb0EEEZNS1_14transform_implILb0ES3_S5_NS0_18transform_iteratorINS0_17counting_iteratorImlEEZNS1_24adjacent_difference_implIS3_Lb1ELb0EPlSB_ZN2at6native12_GLOBAL__N_124unique_dim_cuda_templateIN3c108BFloat16EEESt5tupleIJNSC_6TensorESJ_SJ_EERKSJ_lbbbEUlllE1_EE10hipError_tPvRmT2_T3_mT4_P12ihipStream_tbEUlmE_lEESB_NS0_8identityIvEEEESO_SR_SS_mST_SV_bEUlT_E_NS1_11comp_targetILNS1_3genE8ELNS1_11target_archE1030ELNS1_3gpuE2ELNS1_3repE0EEENS1_30default_config_static_selectorELNS0_4arch9wavefront6targetE1EEEvT1_,"axG",@progbits,_ZN7rocprim17ROCPRIM_400000_NS6detail17trampoline_kernelINS0_14default_configENS1_25transform_config_selectorIlLb0EEEZNS1_14transform_implILb0ES3_S5_NS0_18transform_iteratorINS0_17counting_iteratorImlEEZNS1_24adjacent_difference_implIS3_Lb1ELb0EPlSB_ZN2at6native12_GLOBAL__N_124unique_dim_cuda_templateIN3c108BFloat16EEESt5tupleIJNSC_6TensorESJ_SJ_EERKSJ_lbbbEUlllE1_EE10hipError_tPvRmT2_T3_mT4_P12ihipStream_tbEUlmE_lEESB_NS0_8identityIvEEEESO_SR_SS_mST_SV_bEUlT_E_NS1_11comp_targetILNS1_3genE8ELNS1_11target_archE1030ELNS1_3gpuE2ELNS1_3repE0EEENS1_30default_config_static_selectorELNS0_4arch9wavefront6targetE1EEEvT1_,comdat
	.globl	_ZN7rocprim17ROCPRIM_400000_NS6detail17trampoline_kernelINS0_14default_configENS1_25transform_config_selectorIlLb0EEEZNS1_14transform_implILb0ES3_S5_NS0_18transform_iteratorINS0_17counting_iteratorImlEEZNS1_24adjacent_difference_implIS3_Lb1ELb0EPlSB_ZN2at6native12_GLOBAL__N_124unique_dim_cuda_templateIN3c108BFloat16EEESt5tupleIJNSC_6TensorESJ_SJ_EERKSJ_lbbbEUlllE1_EE10hipError_tPvRmT2_T3_mT4_P12ihipStream_tbEUlmE_lEESB_NS0_8identityIvEEEESO_SR_SS_mST_SV_bEUlT_E_NS1_11comp_targetILNS1_3genE8ELNS1_11target_archE1030ELNS1_3gpuE2ELNS1_3repE0EEENS1_30default_config_static_selectorELNS0_4arch9wavefront6targetE1EEEvT1_ ; -- Begin function _ZN7rocprim17ROCPRIM_400000_NS6detail17trampoline_kernelINS0_14default_configENS1_25transform_config_selectorIlLb0EEEZNS1_14transform_implILb0ES3_S5_NS0_18transform_iteratorINS0_17counting_iteratorImlEEZNS1_24adjacent_difference_implIS3_Lb1ELb0EPlSB_ZN2at6native12_GLOBAL__N_124unique_dim_cuda_templateIN3c108BFloat16EEESt5tupleIJNSC_6TensorESJ_SJ_EERKSJ_lbbbEUlllE1_EE10hipError_tPvRmT2_T3_mT4_P12ihipStream_tbEUlmE_lEESB_NS0_8identityIvEEEESO_SR_SS_mST_SV_bEUlT_E_NS1_11comp_targetILNS1_3genE8ELNS1_11target_archE1030ELNS1_3gpuE2ELNS1_3repE0EEENS1_30default_config_static_selectorELNS0_4arch9wavefront6targetE1EEEvT1_
	.p2align	8
	.type	_ZN7rocprim17ROCPRIM_400000_NS6detail17trampoline_kernelINS0_14default_configENS1_25transform_config_selectorIlLb0EEEZNS1_14transform_implILb0ES3_S5_NS0_18transform_iteratorINS0_17counting_iteratorImlEEZNS1_24adjacent_difference_implIS3_Lb1ELb0EPlSB_ZN2at6native12_GLOBAL__N_124unique_dim_cuda_templateIN3c108BFloat16EEESt5tupleIJNSC_6TensorESJ_SJ_EERKSJ_lbbbEUlllE1_EE10hipError_tPvRmT2_T3_mT4_P12ihipStream_tbEUlmE_lEESB_NS0_8identityIvEEEESO_SR_SS_mST_SV_bEUlT_E_NS1_11comp_targetILNS1_3genE8ELNS1_11target_archE1030ELNS1_3gpuE2ELNS1_3repE0EEENS1_30default_config_static_selectorELNS0_4arch9wavefront6targetE1EEEvT1_,@function
_ZN7rocprim17ROCPRIM_400000_NS6detail17trampoline_kernelINS0_14default_configENS1_25transform_config_selectorIlLb0EEEZNS1_14transform_implILb0ES3_S5_NS0_18transform_iteratorINS0_17counting_iteratorImlEEZNS1_24adjacent_difference_implIS3_Lb1ELb0EPlSB_ZN2at6native12_GLOBAL__N_124unique_dim_cuda_templateIN3c108BFloat16EEESt5tupleIJNSC_6TensorESJ_SJ_EERKSJ_lbbbEUlllE1_EE10hipError_tPvRmT2_T3_mT4_P12ihipStream_tbEUlmE_lEESB_NS0_8identityIvEEEESO_SR_SS_mST_SV_bEUlT_E_NS1_11comp_targetILNS1_3genE8ELNS1_11target_archE1030ELNS1_3gpuE2ELNS1_3repE0EEENS1_30default_config_static_selectorELNS0_4arch9wavefront6targetE1EEEvT1_: ; @_ZN7rocprim17ROCPRIM_400000_NS6detail17trampoline_kernelINS0_14default_configENS1_25transform_config_selectorIlLb0EEEZNS1_14transform_implILb0ES3_S5_NS0_18transform_iteratorINS0_17counting_iteratorImlEEZNS1_24adjacent_difference_implIS3_Lb1ELb0EPlSB_ZN2at6native12_GLOBAL__N_124unique_dim_cuda_templateIN3c108BFloat16EEESt5tupleIJNSC_6TensorESJ_SJ_EERKSJ_lbbbEUlllE1_EE10hipError_tPvRmT2_T3_mT4_P12ihipStream_tbEUlmE_lEESB_NS0_8identityIvEEEESO_SR_SS_mST_SV_bEUlT_E_NS1_11comp_targetILNS1_3genE8ELNS1_11target_archE1030ELNS1_3gpuE2ELNS1_3repE0EEENS1_30default_config_static_selectorELNS0_4arch9wavefront6targetE1EEEvT1_
; %bb.0:
	.section	.rodata,"a",@progbits
	.p2align	6, 0x0
	.amdhsa_kernel _ZN7rocprim17ROCPRIM_400000_NS6detail17trampoline_kernelINS0_14default_configENS1_25transform_config_selectorIlLb0EEEZNS1_14transform_implILb0ES3_S5_NS0_18transform_iteratorINS0_17counting_iteratorImlEEZNS1_24adjacent_difference_implIS3_Lb1ELb0EPlSB_ZN2at6native12_GLOBAL__N_124unique_dim_cuda_templateIN3c108BFloat16EEESt5tupleIJNSC_6TensorESJ_SJ_EERKSJ_lbbbEUlllE1_EE10hipError_tPvRmT2_T3_mT4_P12ihipStream_tbEUlmE_lEESB_NS0_8identityIvEEEESO_SR_SS_mST_SV_bEUlT_E_NS1_11comp_targetILNS1_3genE8ELNS1_11target_archE1030ELNS1_3gpuE2ELNS1_3repE0EEENS1_30default_config_static_selectorELNS0_4arch9wavefront6targetE1EEEvT1_
		.amdhsa_group_segment_fixed_size 0
		.amdhsa_private_segment_fixed_size 0
		.amdhsa_kernarg_size 56
		.amdhsa_user_sgpr_count 6
		.amdhsa_user_sgpr_private_segment_buffer 1
		.amdhsa_user_sgpr_dispatch_ptr 0
		.amdhsa_user_sgpr_queue_ptr 0
		.amdhsa_user_sgpr_kernarg_segment_ptr 1
		.amdhsa_user_sgpr_dispatch_id 0
		.amdhsa_user_sgpr_flat_scratch_init 0
		.amdhsa_user_sgpr_kernarg_preload_length 0
		.amdhsa_user_sgpr_kernarg_preload_offset 0
		.amdhsa_user_sgpr_private_segment_size 0
		.amdhsa_uses_dynamic_stack 0
		.amdhsa_system_sgpr_private_segment_wavefront_offset 0
		.amdhsa_system_sgpr_workgroup_id_x 1
		.amdhsa_system_sgpr_workgroup_id_y 0
		.amdhsa_system_sgpr_workgroup_id_z 0
		.amdhsa_system_sgpr_workgroup_info 0
		.amdhsa_system_vgpr_workitem_id 0
		.amdhsa_next_free_vgpr 1
		.amdhsa_next_free_sgpr 0
		.amdhsa_accum_offset 4
		.amdhsa_reserve_vcc 0
		.amdhsa_reserve_flat_scratch 0
		.amdhsa_float_round_mode_32 0
		.amdhsa_float_round_mode_16_64 0
		.amdhsa_float_denorm_mode_32 3
		.amdhsa_float_denorm_mode_16_64 3
		.amdhsa_dx10_clamp 1
		.amdhsa_ieee_mode 1
		.amdhsa_fp16_overflow 0
		.amdhsa_tg_split 0
		.amdhsa_exception_fp_ieee_invalid_op 0
		.amdhsa_exception_fp_denorm_src 0
		.amdhsa_exception_fp_ieee_div_zero 0
		.amdhsa_exception_fp_ieee_overflow 0
		.amdhsa_exception_fp_ieee_underflow 0
		.amdhsa_exception_fp_ieee_inexact 0
		.amdhsa_exception_int_div_zero 0
	.end_amdhsa_kernel
	.section	.text._ZN7rocprim17ROCPRIM_400000_NS6detail17trampoline_kernelINS0_14default_configENS1_25transform_config_selectorIlLb0EEEZNS1_14transform_implILb0ES3_S5_NS0_18transform_iteratorINS0_17counting_iteratorImlEEZNS1_24adjacent_difference_implIS3_Lb1ELb0EPlSB_ZN2at6native12_GLOBAL__N_124unique_dim_cuda_templateIN3c108BFloat16EEESt5tupleIJNSC_6TensorESJ_SJ_EERKSJ_lbbbEUlllE1_EE10hipError_tPvRmT2_T3_mT4_P12ihipStream_tbEUlmE_lEESB_NS0_8identityIvEEEESO_SR_SS_mST_SV_bEUlT_E_NS1_11comp_targetILNS1_3genE8ELNS1_11target_archE1030ELNS1_3gpuE2ELNS1_3repE0EEENS1_30default_config_static_selectorELNS0_4arch9wavefront6targetE1EEEvT1_,"axG",@progbits,_ZN7rocprim17ROCPRIM_400000_NS6detail17trampoline_kernelINS0_14default_configENS1_25transform_config_selectorIlLb0EEEZNS1_14transform_implILb0ES3_S5_NS0_18transform_iteratorINS0_17counting_iteratorImlEEZNS1_24adjacent_difference_implIS3_Lb1ELb0EPlSB_ZN2at6native12_GLOBAL__N_124unique_dim_cuda_templateIN3c108BFloat16EEESt5tupleIJNSC_6TensorESJ_SJ_EERKSJ_lbbbEUlllE1_EE10hipError_tPvRmT2_T3_mT4_P12ihipStream_tbEUlmE_lEESB_NS0_8identityIvEEEESO_SR_SS_mST_SV_bEUlT_E_NS1_11comp_targetILNS1_3genE8ELNS1_11target_archE1030ELNS1_3gpuE2ELNS1_3repE0EEENS1_30default_config_static_selectorELNS0_4arch9wavefront6targetE1EEEvT1_,comdat
.Lfunc_end1164:
	.size	_ZN7rocprim17ROCPRIM_400000_NS6detail17trampoline_kernelINS0_14default_configENS1_25transform_config_selectorIlLb0EEEZNS1_14transform_implILb0ES3_S5_NS0_18transform_iteratorINS0_17counting_iteratorImlEEZNS1_24adjacent_difference_implIS3_Lb1ELb0EPlSB_ZN2at6native12_GLOBAL__N_124unique_dim_cuda_templateIN3c108BFloat16EEESt5tupleIJNSC_6TensorESJ_SJ_EERKSJ_lbbbEUlllE1_EE10hipError_tPvRmT2_T3_mT4_P12ihipStream_tbEUlmE_lEESB_NS0_8identityIvEEEESO_SR_SS_mST_SV_bEUlT_E_NS1_11comp_targetILNS1_3genE8ELNS1_11target_archE1030ELNS1_3gpuE2ELNS1_3repE0EEENS1_30default_config_static_selectorELNS0_4arch9wavefront6targetE1EEEvT1_, .Lfunc_end1164-_ZN7rocprim17ROCPRIM_400000_NS6detail17trampoline_kernelINS0_14default_configENS1_25transform_config_selectorIlLb0EEEZNS1_14transform_implILb0ES3_S5_NS0_18transform_iteratorINS0_17counting_iteratorImlEEZNS1_24adjacent_difference_implIS3_Lb1ELb0EPlSB_ZN2at6native12_GLOBAL__N_124unique_dim_cuda_templateIN3c108BFloat16EEESt5tupleIJNSC_6TensorESJ_SJ_EERKSJ_lbbbEUlllE1_EE10hipError_tPvRmT2_T3_mT4_P12ihipStream_tbEUlmE_lEESB_NS0_8identityIvEEEESO_SR_SS_mST_SV_bEUlT_E_NS1_11comp_targetILNS1_3genE8ELNS1_11target_archE1030ELNS1_3gpuE2ELNS1_3repE0EEENS1_30default_config_static_selectorELNS0_4arch9wavefront6targetE1EEEvT1_
                                        ; -- End function
	.section	.AMDGPU.csdata,"",@progbits
; Kernel info:
; codeLenInByte = 0
; NumSgprs: 4
; NumVgprs: 0
; NumAgprs: 0
; TotalNumVgprs: 0
; ScratchSize: 0
; MemoryBound: 0
; FloatMode: 240
; IeeeMode: 1
; LDSByteSize: 0 bytes/workgroup (compile time only)
; SGPRBlocks: 0
; VGPRBlocks: 0
; NumSGPRsForWavesPerEU: 4
; NumVGPRsForWavesPerEU: 1
; AccumOffset: 4
; Occupancy: 8
; WaveLimiterHint : 0
; COMPUTE_PGM_RSRC2:SCRATCH_EN: 0
; COMPUTE_PGM_RSRC2:USER_SGPR: 6
; COMPUTE_PGM_RSRC2:TRAP_HANDLER: 0
; COMPUTE_PGM_RSRC2:TGID_X_EN: 1
; COMPUTE_PGM_RSRC2:TGID_Y_EN: 0
; COMPUTE_PGM_RSRC2:TGID_Z_EN: 0
; COMPUTE_PGM_RSRC2:TIDIG_COMP_CNT: 0
; COMPUTE_PGM_RSRC3_GFX90A:ACCUM_OFFSET: 0
; COMPUTE_PGM_RSRC3_GFX90A:TG_SPLIT: 0
	.section	.text._ZN7rocprim17ROCPRIM_400000_NS6detail17trampoline_kernelINS0_14default_configENS1_35adjacent_difference_config_selectorILb1ElEEZNS1_24adjacent_difference_implIS3_Lb1ELb0EPlS7_ZN2at6native12_GLOBAL__N_124unique_dim_cuda_templateIN3c108BFloat16EEESt5tupleIJNS8_6TensorESF_SF_EERKSF_lbbbEUlllE1_EE10hipError_tPvRmT2_T3_mT4_P12ihipStream_tbEUlT_E_NS1_11comp_targetILNS1_3genE0ELNS1_11target_archE4294967295ELNS1_3gpuE0ELNS1_3repE0EEENS1_30default_config_static_selectorELNS0_4arch9wavefront6targetE1EEEvT1_,"axG",@progbits,_ZN7rocprim17ROCPRIM_400000_NS6detail17trampoline_kernelINS0_14default_configENS1_35adjacent_difference_config_selectorILb1ElEEZNS1_24adjacent_difference_implIS3_Lb1ELb0EPlS7_ZN2at6native12_GLOBAL__N_124unique_dim_cuda_templateIN3c108BFloat16EEESt5tupleIJNS8_6TensorESF_SF_EERKSF_lbbbEUlllE1_EE10hipError_tPvRmT2_T3_mT4_P12ihipStream_tbEUlT_E_NS1_11comp_targetILNS1_3genE0ELNS1_11target_archE4294967295ELNS1_3gpuE0ELNS1_3repE0EEENS1_30default_config_static_selectorELNS0_4arch9wavefront6targetE1EEEvT1_,comdat
	.globl	_ZN7rocprim17ROCPRIM_400000_NS6detail17trampoline_kernelINS0_14default_configENS1_35adjacent_difference_config_selectorILb1ElEEZNS1_24adjacent_difference_implIS3_Lb1ELb0EPlS7_ZN2at6native12_GLOBAL__N_124unique_dim_cuda_templateIN3c108BFloat16EEESt5tupleIJNS8_6TensorESF_SF_EERKSF_lbbbEUlllE1_EE10hipError_tPvRmT2_T3_mT4_P12ihipStream_tbEUlT_E_NS1_11comp_targetILNS1_3genE0ELNS1_11target_archE4294967295ELNS1_3gpuE0ELNS1_3repE0EEENS1_30default_config_static_selectorELNS0_4arch9wavefront6targetE1EEEvT1_ ; -- Begin function _ZN7rocprim17ROCPRIM_400000_NS6detail17trampoline_kernelINS0_14default_configENS1_35adjacent_difference_config_selectorILb1ElEEZNS1_24adjacent_difference_implIS3_Lb1ELb0EPlS7_ZN2at6native12_GLOBAL__N_124unique_dim_cuda_templateIN3c108BFloat16EEESt5tupleIJNS8_6TensorESF_SF_EERKSF_lbbbEUlllE1_EE10hipError_tPvRmT2_T3_mT4_P12ihipStream_tbEUlT_E_NS1_11comp_targetILNS1_3genE0ELNS1_11target_archE4294967295ELNS1_3gpuE0ELNS1_3repE0EEENS1_30default_config_static_selectorELNS0_4arch9wavefront6targetE1EEEvT1_
	.p2align	8
	.type	_ZN7rocprim17ROCPRIM_400000_NS6detail17trampoline_kernelINS0_14default_configENS1_35adjacent_difference_config_selectorILb1ElEEZNS1_24adjacent_difference_implIS3_Lb1ELb0EPlS7_ZN2at6native12_GLOBAL__N_124unique_dim_cuda_templateIN3c108BFloat16EEESt5tupleIJNS8_6TensorESF_SF_EERKSF_lbbbEUlllE1_EE10hipError_tPvRmT2_T3_mT4_P12ihipStream_tbEUlT_E_NS1_11comp_targetILNS1_3genE0ELNS1_11target_archE4294967295ELNS1_3gpuE0ELNS1_3repE0EEENS1_30default_config_static_selectorELNS0_4arch9wavefront6targetE1EEEvT1_,@function
_ZN7rocprim17ROCPRIM_400000_NS6detail17trampoline_kernelINS0_14default_configENS1_35adjacent_difference_config_selectorILb1ElEEZNS1_24adjacent_difference_implIS3_Lb1ELb0EPlS7_ZN2at6native12_GLOBAL__N_124unique_dim_cuda_templateIN3c108BFloat16EEESt5tupleIJNS8_6TensorESF_SF_EERKSF_lbbbEUlllE1_EE10hipError_tPvRmT2_T3_mT4_P12ihipStream_tbEUlT_E_NS1_11comp_targetILNS1_3genE0ELNS1_11target_archE4294967295ELNS1_3gpuE0ELNS1_3repE0EEENS1_30default_config_static_selectorELNS0_4arch9wavefront6targetE1EEEvT1_: ; @_ZN7rocprim17ROCPRIM_400000_NS6detail17trampoline_kernelINS0_14default_configENS1_35adjacent_difference_config_selectorILb1ElEEZNS1_24adjacent_difference_implIS3_Lb1ELb0EPlS7_ZN2at6native12_GLOBAL__N_124unique_dim_cuda_templateIN3c108BFloat16EEESt5tupleIJNS8_6TensorESF_SF_EERKSF_lbbbEUlllE1_EE10hipError_tPvRmT2_T3_mT4_P12ihipStream_tbEUlT_E_NS1_11comp_targetILNS1_3genE0ELNS1_11target_archE4294967295ELNS1_3gpuE0ELNS1_3repE0EEENS1_30default_config_static_selectorELNS0_4arch9wavefront6targetE1EEEvT1_
; %bb.0:
	.section	.rodata,"a",@progbits
	.p2align	6, 0x0
	.amdhsa_kernel _ZN7rocprim17ROCPRIM_400000_NS6detail17trampoline_kernelINS0_14default_configENS1_35adjacent_difference_config_selectorILb1ElEEZNS1_24adjacent_difference_implIS3_Lb1ELb0EPlS7_ZN2at6native12_GLOBAL__N_124unique_dim_cuda_templateIN3c108BFloat16EEESt5tupleIJNS8_6TensorESF_SF_EERKSF_lbbbEUlllE1_EE10hipError_tPvRmT2_T3_mT4_P12ihipStream_tbEUlT_E_NS1_11comp_targetILNS1_3genE0ELNS1_11target_archE4294967295ELNS1_3gpuE0ELNS1_3repE0EEENS1_30default_config_static_selectorELNS0_4arch9wavefront6targetE1EEEvT1_
		.amdhsa_group_segment_fixed_size 0
		.amdhsa_private_segment_fixed_size 0
		.amdhsa_kernarg_size 64
		.amdhsa_user_sgpr_count 6
		.amdhsa_user_sgpr_private_segment_buffer 1
		.amdhsa_user_sgpr_dispatch_ptr 0
		.amdhsa_user_sgpr_queue_ptr 0
		.amdhsa_user_sgpr_kernarg_segment_ptr 1
		.amdhsa_user_sgpr_dispatch_id 0
		.amdhsa_user_sgpr_flat_scratch_init 0
		.amdhsa_user_sgpr_kernarg_preload_length 0
		.amdhsa_user_sgpr_kernarg_preload_offset 0
		.amdhsa_user_sgpr_private_segment_size 0
		.amdhsa_uses_dynamic_stack 0
		.amdhsa_system_sgpr_private_segment_wavefront_offset 0
		.amdhsa_system_sgpr_workgroup_id_x 1
		.amdhsa_system_sgpr_workgroup_id_y 0
		.amdhsa_system_sgpr_workgroup_id_z 0
		.amdhsa_system_sgpr_workgroup_info 0
		.amdhsa_system_vgpr_workitem_id 0
		.amdhsa_next_free_vgpr 1
		.amdhsa_next_free_sgpr 0
		.amdhsa_accum_offset 4
		.amdhsa_reserve_vcc 0
		.amdhsa_reserve_flat_scratch 0
		.amdhsa_float_round_mode_32 0
		.amdhsa_float_round_mode_16_64 0
		.amdhsa_float_denorm_mode_32 3
		.amdhsa_float_denorm_mode_16_64 3
		.amdhsa_dx10_clamp 1
		.amdhsa_ieee_mode 1
		.amdhsa_fp16_overflow 0
		.amdhsa_tg_split 0
		.amdhsa_exception_fp_ieee_invalid_op 0
		.amdhsa_exception_fp_denorm_src 0
		.amdhsa_exception_fp_ieee_div_zero 0
		.amdhsa_exception_fp_ieee_overflow 0
		.amdhsa_exception_fp_ieee_underflow 0
		.amdhsa_exception_fp_ieee_inexact 0
		.amdhsa_exception_int_div_zero 0
	.end_amdhsa_kernel
	.section	.text._ZN7rocprim17ROCPRIM_400000_NS6detail17trampoline_kernelINS0_14default_configENS1_35adjacent_difference_config_selectorILb1ElEEZNS1_24adjacent_difference_implIS3_Lb1ELb0EPlS7_ZN2at6native12_GLOBAL__N_124unique_dim_cuda_templateIN3c108BFloat16EEESt5tupleIJNS8_6TensorESF_SF_EERKSF_lbbbEUlllE1_EE10hipError_tPvRmT2_T3_mT4_P12ihipStream_tbEUlT_E_NS1_11comp_targetILNS1_3genE0ELNS1_11target_archE4294967295ELNS1_3gpuE0ELNS1_3repE0EEENS1_30default_config_static_selectorELNS0_4arch9wavefront6targetE1EEEvT1_,"axG",@progbits,_ZN7rocprim17ROCPRIM_400000_NS6detail17trampoline_kernelINS0_14default_configENS1_35adjacent_difference_config_selectorILb1ElEEZNS1_24adjacent_difference_implIS3_Lb1ELb0EPlS7_ZN2at6native12_GLOBAL__N_124unique_dim_cuda_templateIN3c108BFloat16EEESt5tupleIJNS8_6TensorESF_SF_EERKSF_lbbbEUlllE1_EE10hipError_tPvRmT2_T3_mT4_P12ihipStream_tbEUlT_E_NS1_11comp_targetILNS1_3genE0ELNS1_11target_archE4294967295ELNS1_3gpuE0ELNS1_3repE0EEENS1_30default_config_static_selectorELNS0_4arch9wavefront6targetE1EEEvT1_,comdat
.Lfunc_end1165:
	.size	_ZN7rocprim17ROCPRIM_400000_NS6detail17trampoline_kernelINS0_14default_configENS1_35adjacent_difference_config_selectorILb1ElEEZNS1_24adjacent_difference_implIS3_Lb1ELb0EPlS7_ZN2at6native12_GLOBAL__N_124unique_dim_cuda_templateIN3c108BFloat16EEESt5tupleIJNS8_6TensorESF_SF_EERKSF_lbbbEUlllE1_EE10hipError_tPvRmT2_T3_mT4_P12ihipStream_tbEUlT_E_NS1_11comp_targetILNS1_3genE0ELNS1_11target_archE4294967295ELNS1_3gpuE0ELNS1_3repE0EEENS1_30default_config_static_selectorELNS0_4arch9wavefront6targetE1EEEvT1_, .Lfunc_end1165-_ZN7rocprim17ROCPRIM_400000_NS6detail17trampoline_kernelINS0_14default_configENS1_35adjacent_difference_config_selectorILb1ElEEZNS1_24adjacent_difference_implIS3_Lb1ELb0EPlS7_ZN2at6native12_GLOBAL__N_124unique_dim_cuda_templateIN3c108BFloat16EEESt5tupleIJNS8_6TensorESF_SF_EERKSF_lbbbEUlllE1_EE10hipError_tPvRmT2_T3_mT4_P12ihipStream_tbEUlT_E_NS1_11comp_targetILNS1_3genE0ELNS1_11target_archE4294967295ELNS1_3gpuE0ELNS1_3repE0EEENS1_30default_config_static_selectorELNS0_4arch9wavefront6targetE1EEEvT1_
                                        ; -- End function
	.section	.AMDGPU.csdata,"",@progbits
; Kernel info:
; codeLenInByte = 0
; NumSgprs: 4
; NumVgprs: 0
; NumAgprs: 0
; TotalNumVgprs: 0
; ScratchSize: 0
; MemoryBound: 0
; FloatMode: 240
; IeeeMode: 1
; LDSByteSize: 0 bytes/workgroup (compile time only)
; SGPRBlocks: 0
; VGPRBlocks: 0
; NumSGPRsForWavesPerEU: 4
; NumVGPRsForWavesPerEU: 1
; AccumOffset: 4
; Occupancy: 8
; WaveLimiterHint : 0
; COMPUTE_PGM_RSRC2:SCRATCH_EN: 0
; COMPUTE_PGM_RSRC2:USER_SGPR: 6
; COMPUTE_PGM_RSRC2:TRAP_HANDLER: 0
; COMPUTE_PGM_RSRC2:TGID_X_EN: 1
; COMPUTE_PGM_RSRC2:TGID_Y_EN: 0
; COMPUTE_PGM_RSRC2:TGID_Z_EN: 0
; COMPUTE_PGM_RSRC2:TIDIG_COMP_CNT: 0
; COMPUTE_PGM_RSRC3_GFX90A:ACCUM_OFFSET: 0
; COMPUTE_PGM_RSRC3_GFX90A:TG_SPLIT: 0
	.section	.text._ZN7rocprim17ROCPRIM_400000_NS6detail17trampoline_kernelINS0_14default_configENS1_35adjacent_difference_config_selectorILb1ElEEZNS1_24adjacent_difference_implIS3_Lb1ELb0EPlS7_ZN2at6native12_GLOBAL__N_124unique_dim_cuda_templateIN3c108BFloat16EEESt5tupleIJNS8_6TensorESF_SF_EERKSF_lbbbEUlllE1_EE10hipError_tPvRmT2_T3_mT4_P12ihipStream_tbEUlT_E_NS1_11comp_targetILNS1_3genE10ELNS1_11target_archE1201ELNS1_3gpuE5ELNS1_3repE0EEENS1_30default_config_static_selectorELNS0_4arch9wavefront6targetE1EEEvT1_,"axG",@progbits,_ZN7rocprim17ROCPRIM_400000_NS6detail17trampoline_kernelINS0_14default_configENS1_35adjacent_difference_config_selectorILb1ElEEZNS1_24adjacent_difference_implIS3_Lb1ELb0EPlS7_ZN2at6native12_GLOBAL__N_124unique_dim_cuda_templateIN3c108BFloat16EEESt5tupleIJNS8_6TensorESF_SF_EERKSF_lbbbEUlllE1_EE10hipError_tPvRmT2_T3_mT4_P12ihipStream_tbEUlT_E_NS1_11comp_targetILNS1_3genE10ELNS1_11target_archE1201ELNS1_3gpuE5ELNS1_3repE0EEENS1_30default_config_static_selectorELNS0_4arch9wavefront6targetE1EEEvT1_,comdat
	.globl	_ZN7rocprim17ROCPRIM_400000_NS6detail17trampoline_kernelINS0_14default_configENS1_35adjacent_difference_config_selectorILb1ElEEZNS1_24adjacent_difference_implIS3_Lb1ELb0EPlS7_ZN2at6native12_GLOBAL__N_124unique_dim_cuda_templateIN3c108BFloat16EEESt5tupleIJNS8_6TensorESF_SF_EERKSF_lbbbEUlllE1_EE10hipError_tPvRmT2_T3_mT4_P12ihipStream_tbEUlT_E_NS1_11comp_targetILNS1_3genE10ELNS1_11target_archE1201ELNS1_3gpuE5ELNS1_3repE0EEENS1_30default_config_static_selectorELNS0_4arch9wavefront6targetE1EEEvT1_ ; -- Begin function _ZN7rocprim17ROCPRIM_400000_NS6detail17trampoline_kernelINS0_14default_configENS1_35adjacent_difference_config_selectorILb1ElEEZNS1_24adjacent_difference_implIS3_Lb1ELb0EPlS7_ZN2at6native12_GLOBAL__N_124unique_dim_cuda_templateIN3c108BFloat16EEESt5tupleIJNS8_6TensorESF_SF_EERKSF_lbbbEUlllE1_EE10hipError_tPvRmT2_T3_mT4_P12ihipStream_tbEUlT_E_NS1_11comp_targetILNS1_3genE10ELNS1_11target_archE1201ELNS1_3gpuE5ELNS1_3repE0EEENS1_30default_config_static_selectorELNS0_4arch9wavefront6targetE1EEEvT1_
	.p2align	8
	.type	_ZN7rocprim17ROCPRIM_400000_NS6detail17trampoline_kernelINS0_14default_configENS1_35adjacent_difference_config_selectorILb1ElEEZNS1_24adjacent_difference_implIS3_Lb1ELb0EPlS7_ZN2at6native12_GLOBAL__N_124unique_dim_cuda_templateIN3c108BFloat16EEESt5tupleIJNS8_6TensorESF_SF_EERKSF_lbbbEUlllE1_EE10hipError_tPvRmT2_T3_mT4_P12ihipStream_tbEUlT_E_NS1_11comp_targetILNS1_3genE10ELNS1_11target_archE1201ELNS1_3gpuE5ELNS1_3repE0EEENS1_30default_config_static_selectorELNS0_4arch9wavefront6targetE1EEEvT1_,@function
_ZN7rocprim17ROCPRIM_400000_NS6detail17trampoline_kernelINS0_14default_configENS1_35adjacent_difference_config_selectorILb1ElEEZNS1_24adjacent_difference_implIS3_Lb1ELb0EPlS7_ZN2at6native12_GLOBAL__N_124unique_dim_cuda_templateIN3c108BFloat16EEESt5tupleIJNS8_6TensorESF_SF_EERKSF_lbbbEUlllE1_EE10hipError_tPvRmT2_T3_mT4_P12ihipStream_tbEUlT_E_NS1_11comp_targetILNS1_3genE10ELNS1_11target_archE1201ELNS1_3gpuE5ELNS1_3repE0EEENS1_30default_config_static_selectorELNS0_4arch9wavefront6targetE1EEEvT1_: ; @_ZN7rocprim17ROCPRIM_400000_NS6detail17trampoline_kernelINS0_14default_configENS1_35adjacent_difference_config_selectorILb1ElEEZNS1_24adjacent_difference_implIS3_Lb1ELb0EPlS7_ZN2at6native12_GLOBAL__N_124unique_dim_cuda_templateIN3c108BFloat16EEESt5tupleIJNS8_6TensorESF_SF_EERKSF_lbbbEUlllE1_EE10hipError_tPvRmT2_T3_mT4_P12ihipStream_tbEUlT_E_NS1_11comp_targetILNS1_3genE10ELNS1_11target_archE1201ELNS1_3gpuE5ELNS1_3repE0EEENS1_30default_config_static_selectorELNS0_4arch9wavefront6targetE1EEEvT1_
; %bb.0:
	.section	.rodata,"a",@progbits
	.p2align	6, 0x0
	.amdhsa_kernel _ZN7rocprim17ROCPRIM_400000_NS6detail17trampoline_kernelINS0_14default_configENS1_35adjacent_difference_config_selectorILb1ElEEZNS1_24adjacent_difference_implIS3_Lb1ELb0EPlS7_ZN2at6native12_GLOBAL__N_124unique_dim_cuda_templateIN3c108BFloat16EEESt5tupleIJNS8_6TensorESF_SF_EERKSF_lbbbEUlllE1_EE10hipError_tPvRmT2_T3_mT4_P12ihipStream_tbEUlT_E_NS1_11comp_targetILNS1_3genE10ELNS1_11target_archE1201ELNS1_3gpuE5ELNS1_3repE0EEENS1_30default_config_static_selectorELNS0_4arch9wavefront6targetE1EEEvT1_
		.amdhsa_group_segment_fixed_size 0
		.amdhsa_private_segment_fixed_size 0
		.amdhsa_kernarg_size 64
		.amdhsa_user_sgpr_count 6
		.amdhsa_user_sgpr_private_segment_buffer 1
		.amdhsa_user_sgpr_dispatch_ptr 0
		.amdhsa_user_sgpr_queue_ptr 0
		.amdhsa_user_sgpr_kernarg_segment_ptr 1
		.amdhsa_user_sgpr_dispatch_id 0
		.amdhsa_user_sgpr_flat_scratch_init 0
		.amdhsa_user_sgpr_kernarg_preload_length 0
		.amdhsa_user_sgpr_kernarg_preload_offset 0
		.amdhsa_user_sgpr_private_segment_size 0
		.amdhsa_uses_dynamic_stack 0
		.amdhsa_system_sgpr_private_segment_wavefront_offset 0
		.amdhsa_system_sgpr_workgroup_id_x 1
		.amdhsa_system_sgpr_workgroup_id_y 0
		.amdhsa_system_sgpr_workgroup_id_z 0
		.amdhsa_system_sgpr_workgroup_info 0
		.amdhsa_system_vgpr_workitem_id 0
		.amdhsa_next_free_vgpr 1
		.amdhsa_next_free_sgpr 0
		.amdhsa_accum_offset 4
		.amdhsa_reserve_vcc 0
		.amdhsa_reserve_flat_scratch 0
		.amdhsa_float_round_mode_32 0
		.amdhsa_float_round_mode_16_64 0
		.amdhsa_float_denorm_mode_32 3
		.amdhsa_float_denorm_mode_16_64 3
		.amdhsa_dx10_clamp 1
		.amdhsa_ieee_mode 1
		.amdhsa_fp16_overflow 0
		.amdhsa_tg_split 0
		.amdhsa_exception_fp_ieee_invalid_op 0
		.amdhsa_exception_fp_denorm_src 0
		.amdhsa_exception_fp_ieee_div_zero 0
		.amdhsa_exception_fp_ieee_overflow 0
		.amdhsa_exception_fp_ieee_underflow 0
		.amdhsa_exception_fp_ieee_inexact 0
		.amdhsa_exception_int_div_zero 0
	.end_amdhsa_kernel
	.section	.text._ZN7rocprim17ROCPRIM_400000_NS6detail17trampoline_kernelINS0_14default_configENS1_35adjacent_difference_config_selectorILb1ElEEZNS1_24adjacent_difference_implIS3_Lb1ELb0EPlS7_ZN2at6native12_GLOBAL__N_124unique_dim_cuda_templateIN3c108BFloat16EEESt5tupleIJNS8_6TensorESF_SF_EERKSF_lbbbEUlllE1_EE10hipError_tPvRmT2_T3_mT4_P12ihipStream_tbEUlT_E_NS1_11comp_targetILNS1_3genE10ELNS1_11target_archE1201ELNS1_3gpuE5ELNS1_3repE0EEENS1_30default_config_static_selectorELNS0_4arch9wavefront6targetE1EEEvT1_,"axG",@progbits,_ZN7rocprim17ROCPRIM_400000_NS6detail17trampoline_kernelINS0_14default_configENS1_35adjacent_difference_config_selectorILb1ElEEZNS1_24adjacent_difference_implIS3_Lb1ELb0EPlS7_ZN2at6native12_GLOBAL__N_124unique_dim_cuda_templateIN3c108BFloat16EEESt5tupleIJNS8_6TensorESF_SF_EERKSF_lbbbEUlllE1_EE10hipError_tPvRmT2_T3_mT4_P12ihipStream_tbEUlT_E_NS1_11comp_targetILNS1_3genE10ELNS1_11target_archE1201ELNS1_3gpuE5ELNS1_3repE0EEENS1_30default_config_static_selectorELNS0_4arch9wavefront6targetE1EEEvT1_,comdat
.Lfunc_end1166:
	.size	_ZN7rocprim17ROCPRIM_400000_NS6detail17trampoline_kernelINS0_14default_configENS1_35adjacent_difference_config_selectorILb1ElEEZNS1_24adjacent_difference_implIS3_Lb1ELb0EPlS7_ZN2at6native12_GLOBAL__N_124unique_dim_cuda_templateIN3c108BFloat16EEESt5tupleIJNS8_6TensorESF_SF_EERKSF_lbbbEUlllE1_EE10hipError_tPvRmT2_T3_mT4_P12ihipStream_tbEUlT_E_NS1_11comp_targetILNS1_3genE10ELNS1_11target_archE1201ELNS1_3gpuE5ELNS1_3repE0EEENS1_30default_config_static_selectorELNS0_4arch9wavefront6targetE1EEEvT1_, .Lfunc_end1166-_ZN7rocprim17ROCPRIM_400000_NS6detail17trampoline_kernelINS0_14default_configENS1_35adjacent_difference_config_selectorILb1ElEEZNS1_24adjacent_difference_implIS3_Lb1ELb0EPlS7_ZN2at6native12_GLOBAL__N_124unique_dim_cuda_templateIN3c108BFloat16EEESt5tupleIJNS8_6TensorESF_SF_EERKSF_lbbbEUlllE1_EE10hipError_tPvRmT2_T3_mT4_P12ihipStream_tbEUlT_E_NS1_11comp_targetILNS1_3genE10ELNS1_11target_archE1201ELNS1_3gpuE5ELNS1_3repE0EEENS1_30default_config_static_selectorELNS0_4arch9wavefront6targetE1EEEvT1_
                                        ; -- End function
	.section	.AMDGPU.csdata,"",@progbits
; Kernel info:
; codeLenInByte = 0
; NumSgprs: 4
; NumVgprs: 0
; NumAgprs: 0
; TotalNumVgprs: 0
; ScratchSize: 0
; MemoryBound: 0
; FloatMode: 240
; IeeeMode: 1
; LDSByteSize: 0 bytes/workgroup (compile time only)
; SGPRBlocks: 0
; VGPRBlocks: 0
; NumSGPRsForWavesPerEU: 4
; NumVGPRsForWavesPerEU: 1
; AccumOffset: 4
; Occupancy: 8
; WaveLimiterHint : 0
; COMPUTE_PGM_RSRC2:SCRATCH_EN: 0
; COMPUTE_PGM_RSRC2:USER_SGPR: 6
; COMPUTE_PGM_RSRC2:TRAP_HANDLER: 0
; COMPUTE_PGM_RSRC2:TGID_X_EN: 1
; COMPUTE_PGM_RSRC2:TGID_Y_EN: 0
; COMPUTE_PGM_RSRC2:TGID_Z_EN: 0
; COMPUTE_PGM_RSRC2:TIDIG_COMP_CNT: 0
; COMPUTE_PGM_RSRC3_GFX90A:ACCUM_OFFSET: 0
; COMPUTE_PGM_RSRC3_GFX90A:TG_SPLIT: 0
	.section	.text._ZN7rocprim17ROCPRIM_400000_NS6detail17trampoline_kernelINS0_14default_configENS1_35adjacent_difference_config_selectorILb1ElEEZNS1_24adjacent_difference_implIS3_Lb1ELb0EPlS7_ZN2at6native12_GLOBAL__N_124unique_dim_cuda_templateIN3c108BFloat16EEESt5tupleIJNS8_6TensorESF_SF_EERKSF_lbbbEUlllE1_EE10hipError_tPvRmT2_T3_mT4_P12ihipStream_tbEUlT_E_NS1_11comp_targetILNS1_3genE5ELNS1_11target_archE942ELNS1_3gpuE9ELNS1_3repE0EEENS1_30default_config_static_selectorELNS0_4arch9wavefront6targetE1EEEvT1_,"axG",@progbits,_ZN7rocprim17ROCPRIM_400000_NS6detail17trampoline_kernelINS0_14default_configENS1_35adjacent_difference_config_selectorILb1ElEEZNS1_24adjacent_difference_implIS3_Lb1ELb0EPlS7_ZN2at6native12_GLOBAL__N_124unique_dim_cuda_templateIN3c108BFloat16EEESt5tupleIJNS8_6TensorESF_SF_EERKSF_lbbbEUlllE1_EE10hipError_tPvRmT2_T3_mT4_P12ihipStream_tbEUlT_E_NS1_11comp_targetILNS1_3genE5ELNS1_11target_archE942ELNS1_3gpuE9ELNS1_3repE0EEENS1_30default_config_static_selectorELNS0_4arch9wavefront6targetE1EEEvT1_,comdat
	.globl	_ZN7rocprim17ROCPRIM_400000_NS6detail17trampoline_kernelINS0_14default_configENS1_35adjacent_difference_config_selectorILb1ElEEZNS1_24adjacent_difference_implIS3_Lb1ELb0EPlS7_ZN2at6native12_GLOBAL__N_124unique_dim_cuda_templateIN3c108BFloat16EEESt5tupleIJNS8_6TensorESF_SF_EERKSF_lbbbEUlllE1_EE10hipError_tPvRmT2_T3_mT4_P12ihipStream_tbEUlT_E_NS1_11comp_targetILNS1_3genE5ELNS1_11target_archE942ELNS1_3gpuE9ELNS1_3repE0EEENS1_30default_config_static_selectorELNS0_4arch9wavefront6targetE1EEEvT1_ ; -- Begin function _ZN7rocprim17ROCPRIM_400000_NS6detail17trampoline_kernelINS0_14default_configENS1_35adjacent_difference_config_selectorILb1ElEEZNS1_24adjacent_difference_implIS3_Lb1ELb0EPlS7_ZN2at6native12_GLOBAL__N_124unique_dim_cuda_templateIN3c108BFloat16EEESt5tupleIJNS8_6TensorESF_SF_EERKSF_lbbbEUlllE1_EE10hipError_tPvRmT2_T3_mT4_P12ihipStream_tbEUlT_E_NS1_11comp_targetILNS1_3genE5ELNS1_11target_archE942ELNS1_3gpuE9ELNS1_3repE0EEENS1_30default_config_static_selectorELNS0_4arch9wavefront6targetE1EEEvT1_
	.p2align	8
	.type	_ZN7rocprim17ROCPRIM_400000_NS6detail17trampoline_kernelINS0_14default_configENS1_35adjacent_difference_config_selectorILb1ElEEZNS1_24adjacent_difference_implIS3_Lb1ELb0EPlS7_ZN2at6native12_GLOBAL__N_124unique_dim_cuda_templateIN3c108BFloat16EEESt5tupleIJNS8_6TensorESF_SF_EERKSF_lbbbEUlllE1_EE10hipError_tPvRmT2_T3_mT4_P12ihipStream_tbEUlT_E_NS1_11comp_targetILNS1_3genE5ELNS1_11target_archE942ELNS1_3gpuE9ELNS1_3repE0EEENS1_30default_config_static_selectorELNS0_4arch9wavefront6targetE1EEEvT1_,@function
_ZN7rocprim17ROCPRIM_400000_NS6detail17trampoline_kernelINS0_14default_configENS1_35adjacent_difference_config_selectorILb1ElEEZNS1_24adjacent_difference_implIS3_Lb1ELb0EPlS7_ZN2at6native12_GLOBAL__N_124unique_dim_cuda_templateIN3c108BFloat16EEESt5tupleIJNS8_6TensorESF_SF_EERKSF_lbbbEUlllE1_EE10hipError_tPvRmT2_T3_mT4_P12ihipStream_tbEUlT_E_NS1_11comp_targetILNS1_3genE5ELNS1_11target_archE942ELNS1_3gpuE9ELNS1_3repE0EEENS1_30default_config_static_selectorELNS0_4arch9wavefront6targetE1EEEvT1_: ; @_ZN7rocprim17ROCPRIM_400000_NS6detail17trampoline_kernelINS0_14default_configENS1_35adjacent_difference_config_selectorILb1ElEEZNS1_24adjacent_difference_implIS3_Lb1ELb0EPlS7_ZN2at6native12_GLOBAL__N_124unique_dim_cuda_templateIN3c108BFloat16EEESt5tupleIJNS8_6TensorESF_SF_EERKSF_lbbbEUlllE1_EE10hipError_tPvRmT2_T3_mT4_P12ihipStream_tbEUlT_E_NS1_11comp_targetILNS1_3genE5ELNS1_11target_archE942ELNS1_3gpuE9ELNS1_3repE0EEENS1_30default_config_static_selectorELNS0_4arch9wavefront6targetE1EEEvT1_
; %bb.0:
	.section	.rodata,"a",@progbits
	.p2align	6, 0x0
	.amdhsa_kernel _ZN7rocprim17ROCPRIM_400000_NS6detail17trampoline_kernelINS0_14default_configENS1_35adjacent_difference_config_selectorILb1ElEEZNS1_24adjacent_difference_implIS3_Lb1ELb0EPlS7_ZN2at6native12_GLOBAL__N_124unique_dim_cuda_templateIN3c108BFloat16EEESt5tupleIJNS8_6TensorESF_SF_EERKSF_lbbbEUlllE1_EE10hipError_tPvRmT2_T3_mT4_P12ihipStream_tbEUlT_E_NS1_11comp_targetILNS1_3genE5ELNS1_11target_archE942ELNS1_3gpuE9ELNS1_3repE0EEENS1_30default_config_static_selectorELNS0_4arch9wavefront6targetE1EEEvT1_
		.amdhsa_group_segment_fixed_size 0
		.amdhsa_private_segment_fixed_size 0
		.amdhsa_kernarg_size 64
		.amdhsa_user_sgpr_count 6
		.amdhsa_user_sgpr_private_segment_buffer 1
		.amdhsa_user_sgpr_dispatch_ptr 0
		.amdhsa_user_sgpr_queue_ptr 0
		.amdhsa_user_sgpr_kernarg_segment_ptr 1
		.amdhsa_user_sgpr_dispatch_id 0
		.amdhsa_user_sgpr_flat_scratch_init 0
		.amdhsa_user_sgpr_kernarg_preload_length 0
		.amdhsa_user_sgpr_kernarg_preload_offset 0
		.amdhsa_user_sgpr_private_segment_size 0
		.amdhsa_uses_dynamic_stack 0
		.amdhsa_system_sgpr_private_segment_wavefront_offset 0
		.amdhsa_system_sgpr_workgroup_id_x 1
		.amdhsa_system_sgpr_workgroup_id_y 0
		.amdhsa_system_sgpr_workgroup_id_z 0
		.amdhsa_system_sgpr_workgroup_info 0
		.amdhsa_system_vgpr_workitem_id 0
		.amdhsa_next_free_vgpr 1
		.amdhsa_next_free_sgpr 0
		.amdhsa_accum_offset 4
		.amdhsa_reserve_vcc 0
		.amdhsa_reserve_flat_scratch 0
		.amdhsa_float_round_mode_32 0
		.amdhsa_float_round_mode_16_64 0
		.amdhsa_float_denorm_mode_32 3
		.amdhsa_float_denorm_mode_16_64 3
		.amdhsa_dx10_clamp 1
		.amdhsa_ieee_mode 1
		.amdhsa_fp16_overflow 0
		.amdhsa_tg_split 0
		.amdhsa_exception_fp_ieee_invalid_op 0
		.amdhsa_exception_fp_denorm_src 0
		.amdhsa_exception_fp_ieee_div_zero 0
		.amdhsa_exception_fp_ieee_overflow 0
		.amdhsa_exception_fp_ieee_underflow 0
		.amdhsa_exception_fp_ieee_inexact 0
		.amdhsa_exception_int_div_zero 0
	.end_amdhsa_kernel
	.section	.text._ZN7rocprim17ROCPRIM_400000_NS6detail17trampoline_kernelINS0_14default_configENS1_35adjacent_difference_config_selectorILb1ElEEZNS1_24adjacent_difference_implIS3_Lb1ELb0EPlS7_ZN2at6native12_GLOBAL__N_124unique_dim_cuda_templateIN3c108BFloat16EEESt5tupleIJNS8_6TensorESF_SF_EERKSF_lbbbEUlllE1_EE10hipError_tPvRmT2_T3_mT4_P12ihipStream_tbEUlT_E_NS1_11comp_targetILNS1_3genE5ELNS1_11target_archE942ELNS1_3gpuE9ELNS1_3repE0EEENS1_30default_config_static_selectorELNS0_4arch9wavefront6targetE1EEEvT1_,"axG",@progbits,_ZN7rocprim17ROCPRIM_400000_NS6detail17trampoline_kernelINS0_14default_configENS1_35adjacent_difference_config_selectorILb1ElEEZNS1_24adjacent_difference_implIS3_Lb1ELb0EPlS7_ZN2at6native12_GLOBAL__N_124unique_dim_cuda_templateIN3c108BFloat16EEESt5tupleIJNS8_6TensorESF_SF_EERKSF_lbbbEUlllE1_EE10hipError_tPvRmT2_T3_mT4_P12ihipStream_tbEUlT_E_NS1_11comp_targetILNS1_3genE5ELNS1_11target_archE942ELNS1_3gpuE9ELNS1_3repE0EEENS1_30default_config_static_selectorELNS0_4arch9wavefront6targetE1EEEvT1_,comdat
.Lfunc_end1167:
	.size	_ZN7rocprim17ROCPRIM_400000_NS6detail17trampoline_kernelINS0_14default_configENS1_35adjacent_difference_config_selectorILb1ElEEZNS1_24adjacent_difference_implIS3_Lb1ELb0EPlS7_ZN2at6native12_GLOBAL__N_124unique_dim_cuda_templateIN3c108BFloat16EEESt5tupleIJNS8_6TensorESF_SF_EERKSF_lbbbEUlllE1_EE10hipError_tPvRmT2_T3_mT4_P12ihipStream_tbEUlT_E_NS1_11comp_targetILNS1_3genE5ELNS1_11target_archE942ELNS1_3gpuE9ELNS1_3repE0EEENS1_30default_config_static_selectorELNS0_4arch9wavefront6targetE1EEEvT1_, .Lfunc_end1167-_ZN7rocprim17ROCPRIM_400000_NS6detail17trampoline_kernelINS0_14default_configENS1_35adjacent_difference_config_selectorILb1ElEEZNS1_24adjacent_difference_implIS3_Lb1ELb0EPlS7_ZN2at6native12_GLOBAL__N_124unique_dim_cuda_templateIN3c108BFloat16EEESt5tupleIJNS8_6TensorESF_SF_EERKSF_lbbbEUlllE1_EE10hipError_tPvRmT2_T3_mT4_P12ihipStream_tbEUlT_E_NS1_11comp_targetILNS1_3genE5ELNS1_11target_archE942ELNS1_3gpuE9ELNS1_3repE0EEENS1_30default_config_static_selectorELNS0_4arch9wavefront6targetE1EEEvT1_
                                        ; -- End function
	.section	.AMDGPU.csdata,"",@progbits
; Kernel info:
; codeLenInByte = 0
; NumSgprs: 4
; NumVgprs: 0
; NumAgprs: 0
; TotalNumVgprs: 0
; ScratchSize: 0
; MemoryBound: 0
; FloatMode: 240
; IeeeMode: 1
; LDSByteSize: 0 bytes/workgroup (compile time only)
; SGPRBlocks: 0
; VGPRBlocks: 0
; NumSGPRsForWavesPerEU: 4
; NumVGPRsForWavesPerEU: 1
; AccumOffset: 4
; Occupancy: 8
; WaveLimiterHint : 0
; COMPUTE_PGM_RSRC2:SCRATCH_EN: 0
; COMPUTE_PGM_RSRC2:USER_SGPR: 6
; COMPUTE_PGM_RSRC2:TRAP_HANDLER: 0
; COMPUTE_PGM_RSRC2:TGID_X_EN: 1
; COMPUTE_PGM_RSRC2:TGID_Y_EN: 0
; COMPUTE_PGM_RSRC2:TGID_Z_EN: 0
; COMPUTE_PGM_RSRC2:TIDIG_COMP_CNT: 0
; COMPUTE_PGM_RSRC3_GFX90A:ACCUM_OFFSET: 0
; COMPUTE_PGM_RSRC3_GFX90A:TG_SPLIT: 0
	.section	.text._ZN7rocprim17ROCPRIM_400000_NS6detail17trampoline_kernelINS0_14default_configENS1_35adjacent_difference_config_selectorILb1ElEEZNS1_24adjacent_difference_implIS3_Lb1ELb0EPlS7_ZN2at6native12_GLOBAL__N_124unique_dim_cuda_templateIN3c108BFloat16EEESt5tupleIJNS8_6TensorESF_SF_EERKSF_lbbbEUlllE1_EE10hipError_tPvRmT2_T3_mT4_P12ihipStream_tbEUlT_E_NS1_11comp_targetILNS1_3genE4ELNS1_11target_archE910ELNS1_3gpuE8ELNS1_3repE0EEENS1_30default_config_static_selectorELNS0_4arch9wavefront6targetE1EEEvT1_,"axG",@progbits,_ZN7rocprim17ROCPRIM_400000_NS6detail17trampoline_kernelINS0_14default_configENS1_35adjacent_difference_config_selectorILb1ElEEZNS1_24adjacent_difference_implIS3_Lb1ELb0EPlS7_ZN2at6native12_GLOBAL__N_124unique_dim_cuda_templateIN3c108BFloat16EEESt5tupleIJNS8_6TensorESF_SF_EERKSF_lbbbEUlllE1_EE10hipError_tPvRmT2_T3_mT4_P12ihipStream_tbEUlT_E_NS1_11comp_targetILNS1_3genE4ELNS1_11target_archE910ELNS1_3gpuE8ELNS1_3repE0EEENS1_30default_config_static_selectorELNS0_4arch9wavefront6targetE1EEEvT1_,comdat
	.globl	_ZN7rocprim17ROCPRIM_400000_NS6detail17trampoline_kernelINS0_14default_configENS1_35adjacent_difference_config_selectorILb1ElEEZNS1_24adjacent_difference_implIS3_Lb1ELb0EPlS7_ZN2at6native12_GLOBAL__N_124unique_dim_cuda_templateIN3c108BFloat16EEESt5tupleIJNS8_6TensorESF_SF_EERKSF_lbbbEUlllE1_EE10hipError_tPvRmT2_T3_mT4_P12ihipStream_tbEUlT_E_NS1_11comp_targetILNS1_3genE4ELNS1_11target_archE910ELNS1_3gpuE8ELNS1_3repE0EEENS1_30default_config_static_selectorELNS0_4arch9wavefront6targetE1EEEvT1_ ; -- Begin function _ZN7rocprim17ROCPRIM_400000_NS6detail17trampoline_kernelINS0_14default_configENS1_35adjacent_difference_config_selectorILb1ElEEZNS1_24adjacent_difference_implIS3_Lb1ELb0EPlS7_ZN2at6native12_GLOBAL__N_124unique_dim_cuda_templateIN3c108BFloat16EEESt5tupleIJNS8_6TensorESF_SF_EERKSF_lbbbEUlllE1_EE10hipError_tPvRmT2_T3_mT4_P12ihipStream_tbEUlT_E_NS1_11comp_targetILNS1_3genE4ELNS1_11target_archE910ELNS1_3gpuE8ELNS1_3repE0EEENS1_30default_config_static_selectorELNS0_4arch9wavefront6targetE1EEEvT1_
	.p2align	8
	.type	_ZN7rocprim17ROCPRIM_400000_NS6detail17trampoline_kernelINS0_14default_configENS1_35adjacent_difference_config_selectorILb1ElEEZNS1_24adjacent_difference_implIS3_Lb1ELb0EPlS7_ZN2at6native12_GLOBAL__N_124unique_dim_cuda_templateIN3c108BFloat16EEESt5tupleIJNS8_6TensorESF_SF_EERKSF_lbbbEUlllE1_EE10hipError_tPvRmT2_T3_mT4_P12ihipStream_tbEUlT_E_NS1_11comp_targetILNS1_3genE4ELNS1_11target_archE910ELNS1_3gpuE8ELNS1_3repE0EEENS1_30default_config_static_selectorELNS0_4arch9wavefront6targetE1EEEvT1_,@function
_ZN7rocprim17ROCPRIM_400000_NS6detail17trampoline_kernelINS0_14default_configENS1_35adjacent_difference_config_selectorILb1ElEEZNS1_24adjacent_difference_implIS3_Lb1ELb0EPlS7_ZN2at6native12_GLOBAL__N_124unique_dim_cuda_templateIN3c108BFloat16EEESt5tupleIJNS8_6TensorESF_SF_EERKSF_lbbbEUlllE1_EE10hipError_tPvRmT2_T3_mT4_P12ihipStream_tbEUlT_E_NS1_11comp_targetILNS1_3genE4ELNS1_11target_archE910ELNS1_3gpuE8ELNS1_3repE0EEENS1_30default_config_static_selectorELNS0_4arch9wavefront6targetE1EEEvT1_: ; @_ZN7rocprim17ROCPRIM_400000_NS6detail17trampoline_kernelINS0_14default_configENS1_35adjacent_difference_config_selectorILb1ElEEZNS1_24adjacent_difference_implIS3_Lb1ELb0EPlS7_ZN2at6native12_GLOBAL__N_124unique_dim_cuda_templateIN3c108BFloat16EEESt5tupleIJNS8_6TensorESF_SF_EERKSF_lbbbEUlllE1_EE10hipError_tPvRmT2_T3_mT4_P12ihipStream_tbEUlT_E_NS1_11comp_targetILNS1_3genE4ELNS1_11target_archE910ELNS1_3gpuE8ELNS1_3repE0EEENS1_30default_config_static_selectorELNS0_4arch9wavefront6targetE1EEEvT1_
; %bb.0:
	s_load_dwordx16 s[8:23], s[4:5], 0x0
	s_mov_b32 s3, 0
	s_waitcnt lgkmcnt(0)
	s_lshl_b64 s[10:11], s[10:11], 3
	s_add_u32 s30, s8, s10
	s_addc_u32 s31, s9, s11
	s_lshl_b32 s8, s6, 10
	s_lshr_b64 s[0:1], s[14:15], 10
	s_and_b32 s2, s14, 0x3ff
	s_cmp_lg_u64 s[2:3], 0
	s_cselect_b64 s[4:5], -1, 0
	v_cndmask_b32_e64 v1, 0, 1, s[4:5]
	v_readfirstlane_b32 s2, v1
	s_add_u32 s26, s0, s2
	s_addc_u32 s27, s1, 0
	s_add_u32 s28, s22, s6
	s_addc_u32 s29, s23, 0
	s_mov_b32 s2, s6
	s_add_u32 s6, s26, -1
	s_addc_u32 s7, s27, -1
	v_pk_mov_b32 v[2:3], s[6:7], s[6:7] op_sel:[0,1]
	v_cmp_ge_u64_e64 s[0:1], s[28:29], v[2:3]
	s_mov_b64 s[4:5], -1
	s_and_b64 vcc, exec, s[0:1]
	s_cbranch_vccz .LBB1168_6
; %bb.1:
	s_lshl_b32 s4, s6, 10
	s_mov_b32 s9, s3
	s_sub_i32 s15, s14, s4
	s_lshl_b64 s[4:5], s[8:9], 3
	s_add_u32 s4, s30, s4
	s_addc_u32 s5, s31, s5
	v_cmp_gt_u32_e32 vcc, s15, v0
                                        ; implicit-def: $vgpr2_vgpr3_vgpr4_vgpr5
	s_and_saveexec_b64 s[24:25], vcc
	s_cbranch_execz .LBB1168_3
; %bb.2:
	v_lshlrev_b32_e32 v1, 3, v0
	global_load_dwordx2 v[2:3], v1, s[4:5]
.LBB1168_3:
	s_or_b64 exec, exec, s[24:25]
	v_or_b32_e32 v1, 0x200, v0
	v_cmp_gt_u32_e32 vcc, s15, v1
	s_and_saveexec_b64 s[24:25], vcc
	s_cbranch_execz .LBB1168_5
; %bb.4:
	v_lshlrev_b32_e32 v4, 3, v1
	global_load_dwordx2 v[4:5], v4, s[4:5]
.LBB1168_5:
	s_or_b64 exec, exec, s[24:25]
	v_lshrrev_b32_e32 v6, 2, v0
	v_lshrrev_b32_e32 v1, 2, v1
	v_and_b32_e32 v6, 0x78, v6
	v_lshlrev_b32_e32 v7, 3, v0
	v_and_b32_e32 v1, 0xf8, v1
	v_add_u32_e32 v6, v6, v7
	v_add_u32_e32 v1, v1, v7
	s_mov_b64 s[4:5], 0
	s_waitcnt vmcnt(0)
	ds_write_b64 v6, v[2:3]
	ds_write_b64 v1, v[4:5] offset:4096
	s_waitcnt lgkmcnt(0)
	s_barrier
.LBB1168_6:
	s_and_b64 vcc, exec, s[4:5]
	v_lshlrev_b32_e32 v1, 3, v0
	s_cbranch_vccz .LBB1168_8
; %bb.7:
	s_mov_b32 s9, 0
	s_lshl_b64 s[4:5], s[8:9], 3
	s_add_u32 s4, s30, s4
	s_addc_u32 s5, s31, s5
	v_mov_b32_e32 v2, s5
	v_add_co_u32_e32 v3, vcc, s4, v1
	v_addc_co_u32_e32 v4, vcc, 0, v2, vcc
	v_add_co_u32_e32 v2, vcc, 0x1000, v3
	v_addc_co_u32_e32 v3, vcc, 0, v4, vcc
	global_load_dwordx2 v[4:5], v1, s[4:5]
	global_load_dwordx2 v[6:7], v[2:3], off
	v_lshrrev_b32_e32 v2, 2, v0
	v_or_b32_e32 v3, 0x200, v0
	v_and_b32_e32 v2, 0x78, v2
	v_lshrrev_b32_e32 v3, 2, v3
	v_add_u32_e32 v2, v2, v1
	v_and_b32_e32 v3, 0xf8, v3
	v_add_u32_e32 v3, v3, v1
	s_waitcnt vmcnt(1)
	ds_write_b64 v2, v[4:5]
	s_waitcnt vmcnt(0)
	ds_write_b64 v3, v[6:7] offset:4096
	s_waitcnt lgkmcnt(0)
	s_barrier
.LBB1168_8:
	v_lshlrev_b32_e32 v2, 1, v0
	v_lshrrev_b32_e32 v3, 4, v0
	v_add_lshl_u32 v2, v3, v2, 3
	ds_read2_b64 v[2:5], v2 offset1:1
	s_cmp_eq_u64 s[28:29], 0
	s_mov_b64 s[24:25], 0
	s_waitcnt lgkmcnt(0)
	s_barrier
	s_cbranch_scc1 .LBB1168_17
; %bb.9:
	s_lshl_b64 s[4:5], s[22:23], 3
	s_add_u32 s4, s20, s4
	s_addc_u32 s5, s21, s5
	s_lshl_b64 s[2:3], s[2:3], 3
	s_add_u32 s2, s4, s2
	s_addc_u32 s3, s5, s3
	s_add_u32 s2, s2, -8
	s_addc_u32 s3, s3, -1
	s_load_dwordx2 s[20:21], s[2:3], 0x0
	s_cmp_lg_u64 s[28:29], s[6:7]
	s_cbranch_scc0 .LBB1168_18
; %bb.10:
	v_cmp_lt_i64_e64 s[2:3], s[16:17], 1
	v_pk_mov_b32 v[8:9], 0, 0
	v_cmp_gt_i64_e64 s[22:23], s[16:17], 0
	s_and_b64 vcc, exec, s[2:3]
	ds_write_b64 v1, v[4:5]
	s_cbranch_vccnz .LBB1168_21
; %bb.11:
	v_mul_lo_u32 v8, v5, s16
	v_mul_lo_u32 v9, v4, s17
	v_mad_u64_u32 v[6:7], s[2:3], v4, s16, 0
	v_add3_u32 v7, v7, v9, v8
	v_mul_lo_u32 v10, v3, s16
	v_mul_lo_u32 v11, v2, s17
	v_mad_u64_u32 v[8:9], s[2:3], v2, s16, 0
	v_add3_u32 v9, v9, v11, v10
	v_lshlrev_b64 v[10:11], 1, v[6:7]
	v_mov_b32_e32 v6, s19
	v_add_co_u32_e32 v12, vcc, s18, v10
	v_addc_co_u32_e64 v13, s[2:3], v6, v11, vcc
	v_lshlrev_b64 v[6:7], 1, v[8:9]
	v_mov_b32_e32 v8, s19
	v_add_co_u32_e64 v14, s[2:3], s18, v6
	v_addc_co_u32_e64 v15, s[4:5], v8, v7, s[2:3]
	global_load_ushort v6, v[14:15], off
	global_load_ushort v8, v[12:13], off
	s_waitcnt vmcnt(1)
	v_lshlrev_b32_e32 v6, 16, v6
	s_waitcnt vmcnt(0)
	v_lshlrev_b32_e32 v8, 16, v8
	v_cmp_eq_f32_e64 s[4:5], v8, v6
	v_mov_b32_e32 v8, 1
	v_mov_b32_e32 v9, 0
	s_and_saveexec_b64 s[24:25], s[4:5]
	s_cbranch_execz .LBB1168_20
; %bb.12:
	v_mov_b32_e32 v6, s19
	v_addc_co_u32_e64 v7, s[2:3], v7, v6, s[2:3]
	v_add_co_u32_e64 v6, s[2:3], 2, v14
	v_mov_b32_e32 v8, s19
	v_addc_co_u32_e64 v7, s[2:3], 0, v7, s[2:3]
	v_addc_co_u32_e32 v9, vcc, v11, v8, vcc
	v_add_co_u32_e32 v8, vcc, 2, v12
	s_add_u32 s2, s16, -1
	v_addc_co_u32_e32 v9, vcc, 0, v9, vcc
	s_addc_u32 s3, s17, -1
	s_mov_b64 s[4:5], 0
	s_mov_b64 s[34:35], 0
                                        ; implicit-def: $sgpr30_sgpr31
	s_branch .LBB1168_15
.LBB1168_13:                            ;   in Loop: Header=BB1168_15 Depth=1
	global_load_ushort v10, v[6:7], off
	global_load_ushort v11, v[8:9], off
	v_add_co_u32_e32 v6, vcc, 2, v6
	v_addc_co_u32_e32 v7, vcc, 0, v7, vcc
	v_add_co_u32_e32 v8, vcc, 2, v8
	v_addc_co_u32_e32 v9, vcc, 0, v9, vcc
	s_add_u32 s34, s34, 1
	s_addc_u32 s35, s35, 0
	s_andn2_b64 s[30:31], s[30:31], exec
	s_waitcnt vmcnt(1)
	v_lshlrev_b32_e32 v10, 16, v10
	s_waitcnt vmcnt(0)
	v_lshlrev_b32_e32 v11, 16, v11
	v_cmp_neq_f32_e32 vcc, v11, v10
	s_and_b64 s[36:37], vcc, exec
	s_or_b64 s[30:31], s[30:31], s[36:37]
.LBB1168_14:                            ;   in Loop: Header=BB1168_15 Depth=1
	s_and_b64 s[36:37], exec, s[30:31]
	s_or_b64 s[4:5], s[36:37], s[4:5]
	v_pk_mov_b32 v[10:11], s[34:35], s[34:35] op_sel:[0,1]
	s_andn2_b64 exec, exec, s[4:5]
	s_cbranch_execz .LBB1168_19
.LBB1168_15:                            ; =>This Inner Loop Header: Depth=1
	s_or_b64 s[30:31], s[30:31], exec
	s_cmp_eq_u64 s[2:3], s[34:35]
	s_cbranch_scc0 .LBB1168_13
; %bb.16:                               ;   in Loop: Header=BB1168_15 Depth=1
                                        ; implicit-def: $vgpr6_vgpr7
                                        ; implicit-def: $vgpr8_vgpr9
	s_mov_b64 s[34:35], s[16:17]
	s_branch .LBB1168_14
.LBB1168_17:
                                        ; implicit-def: $sgpr22_sgpr23
                                        ; implicit-def: $vgpr8_vgpr9
	s_cbranch_execnz .LBB1168_60
	s_branch .LBB1168_108
.LBB1168_18:
                                        ; implicit-def: $sgpr22_sgpr23
                                        ; implicit-def: $vgpr8_vgpr9
	s_cbranch_execnz .LBB1168_33
	s_branch .LBB1168_59
.LBB1168_19:
	s_or_b64 exec, exec, s[4:5]
	v_cmp_gt_i64_e32 vcc, s[16:17], v[10:11]
	s_mov_b32 s2, 0
	v_cndmask_b32_e64 v8, 0, 1, vcc
	v_mov_b32_e32 v9, s2
.LBB1168_20:
	s_or_b64 exec, exec, s[24:25]
.LBB1168_21:
	v_cmp_ne_u32_e32 vcc, 0, v0
	s_waitcnt lgkmcnt(0)
	v_pk_mov_b32 v[6:7], s[20:21], s[20:21] op_sel:[0,1]
	s_barrier
	s_and_saveexec_b64 s[2:3], vcc
	s_cbranch_execz .LBB1168_23
; %bb.22:
	v_add_u32_e32 v6, -8, v1
	ds_read_b64 v[6:7], v6
.LBB1168_23:
	s_or_b64 exec, exec, s[2:3]
	s_mov_b64 s[30:31], 0
	s_andn2_b64 vcc, exec, s[22:23]
	s_mov_b64 s[22:23], 0
	s_cbranch_vccnz .LBB1168_32
; %bb.24:
	v_mul_lo_u32 v12, v3, s16
	v_mul_lo_u32 v13, v2, s17
	v_mad_u64_u32 v[10:11], s[2:3], v2, s16, 0
	v_add3_u32 v11, v11, v13, v12
	s_waitcnt lgkmcnt(0)
	v_mul_lo_u32 v12, v7, s16
	v_mul_lo_u32 v13, v6, s17
	v_mad_u64_u32 v[6:7], s[2:3], v6, s16, 0
	v_lshlrev_b64 v[10:11], 1, v[10:11]
	v_add3_u32 v7, v7, v13, v12
	v_mov_b32_e32 v13, s19
	v_add_co_u32_e32 v12, vcc, s18, v10
	v_addc_co_u32_e64 v13, s[2:3], v13, v11, vcc
	v_lshlrev_b64 v[6:7], 1, v[6:7]
	v_mov_b32_e32 v10, s19
	v_add_co_u32_e64 v14, s[2:3], s18, v6
	v_addc_co_u32_e64 v15, s[4:5], v10, v7, s[2:3]
	global_load_ushort v6, v[14:15], off
	global_load_ushort v10, v[12:13], off
	s_mov_b64 s[22:23], -1
	s_waitcnt vmcnt(1)
	v_lshlrev_b32_e32 v6, 16, v6
	s_waitcnt vmcnt(0)
	v_lshlrev_b32_e32 v10, 16, v10
	v_cmp_eq_f32_e64 s[4:5], v10, v6
	s_and_saveexec_b64 s[24:25], s[4:5]
	s_cbranch_execz .LBB1168_31
; %bb.25:
	v_mov_b32_e32 v6, s19
	v_addc_co_u32_e64 v7, s[2:3], v7, v6, s[2:3]
	v_add_co_u32_e64 v6, s[2:3], 2, v14
	v_mov_b32_e32 v10, s19
	v_addc_co_u32_e64 v7, s[2:3], 0, v7, s[2:3]
	v_addc_co_u32_e32 v11, vcc, v11, v10, vcc
	v_add_co_u32_e32 v10, vcc, 2, v12
	s_add_u32 s2, s16, -1
	v_addc_co_u32_e32 v11, vcc, 0, v11, vcc
	s_addc_u32 s3, s17, -1
	s_mov_b64 s[4:5], 0
	s_mov_b64 s[34:35], 0
                                        ; implicit-def: $sgpr22_sgpr23
	s_branch .LBB1168_28
.LBB1168_26:                            ;   in Loop: Header=BB1168_28 Depth=1
	global_load_ushort v12, v[6:7], off
	global_load_ushort v13, v[10:11], off
	v_add_co_u32_e32 v6, vcc, 2, v6
	v_addc_co_u32_e32 v7, vcc, 0, v7, vcc
	v_add_co_u32_e32 v10, vcc, 2, v10
	v_addc_co_u32_e32 v11, vcc, 0, v11, vcc
	s_add_u32 s34, s34, 1
	s_addc_u32 s35, s35, 0
	s_andn2_b64 s[22:23], s[22:23], exec
	s_waitcnt vmcnt(1)
	v_lshlrev_b32_e32 v12, 16, v12
	s_waitcnt vmcnt(0)
	v_lshlrev_b32_e32 v13, 16, v13
	v_cmp_neq_f32_e32 vcc, v13, v12
	s_and_b64 s[36:37], vcc, exec
	s_or_b64 s[22:23], s[22:23], s[36:37]
.LBB1168_27:                            ;   in Loop: Header=BB1168_28 Depth=1
	s_and_b64 s[36:37], exec, s[22:23]
	s_or_b64 s[4:5], s[36:37], s[4:5]
	v_pk_mov_b32 v[12:13], s[34:35], s[34:35] op_sel:[0,1]
	s_andn2_b64 exec, exec, s[4:5]
	s_cbranch_execz .LBB1168_30
.LBB1168_28:                            ; =>This Inner Loop Header: Depth=1
	s_or_b64 s[22:23], s[22:23], exec
	s_cmp_eq_u64 s[2:3], s[34:35]
	s_cbranch_scc0 .LBB1168_26
; %bb.29:                               ;   in Loop: Header=BB1168_28 Depth=1
                                        ; implicit-def: $vgpr6_vgpr7
                                        ; implicit-def: $vgpr10_vgpr11
	s_mov_b64 s[34:35], s[16:17]
	s_branch .LBB1168_27
.LBB1168_30:
	s_or_b64 exec, exec, s[4:5]
	v_cmp_gt_i64_e32 vcc, s[16:17], v[12:13]
	s_orn2_b64 s[22:23], vcc, exec
.LBB1168_31:
	s_or_b64 exec, exec, s[24:25]
.LBB1168_32:
	s_mov_b64 s[24:25], -1
	s_and_b64 vcc, exec, s[30:31]
	s_cbranch_vccz .LBB1168_59
.LBB1168_33:
	s_lshl_b32 s2, s28, 10
	v_lshlrev_b32_e32 v16, 1, v0
	s_sub_i32 s7, s14, s2
	s_waitcnt lgkmcnt(0)
	v_or_b32_e32 v6, 1, v16
	v_cmp_gt_u32_e32 vcc, s7, v6
	v_pk_mov_b32 v[8:9], v[4:5], v[4:5] op_sel:[0,1]
	ds_write_b64 v1, v[4:5]
	v_pk_mov_b32 v[6:7], v[2:3], v[2:3] op_sel:[0,1]
	s_and_saveexec_b64 s[22:23], vcc
	s_cbranch_execz .LBB1168_44
; %bb.34:
	v_cmp_lt_i64_e64 s[2:3], s[16:17], 1
	s_and_b64 vcc, exec, s[2:3]
	s_cbranch_vccnz .LBB1168_41
; %bb.35:
	v_mul_lo_u32 v8, v5, s16
	v_mul_lo_u32 v9, v4, s17
	v_mad_u64_u32 v[6:7], s[2:3], v4, s16, 0
	v_add3_u32 v7, v7, v9, v8
	v_mul_lo_u32 v10, v3, s16
	v_mul_lo_u32 v11, v2, s17
	v_mad_u64_u32 v[8:9], s[2:3], v2, s16, 0
	v_add3_u32 v9, v9, v11, v10
	v_lshlrev_b64 v[10:11], 1, v[6:7]
	v_mov_b32_e32 v6, s19
	v_add_co_u32_e32 v12, vcc, s18, v10
	v_addc_co_u32_e64 v13, s[2:3], v6, v11, vcc
	v_lshlrev_b64 v[6:7], 1, v[8:9]
	v_mov_b32_e32 v8, s19
	v_add_co_u32_e64 v14, s[2:3], s18, v6
	v_addc_co_u32_e64 v15, s[4:5], v8, v7, s[2:3]
	global_load_ushort v6, v[14:15], off
	global_load_ushort v8, v[12:13], off
	s_waitcnt vmcnt(1)
	v_lshlrev_b32_e32 v6, 16, v6
	s_waitcnt vmcnt(0)
	v_lshlrev_b32_e32 v8, 16, v8
	v_cmp_eq_f32_e64 s[4:5], v8, v6
	v_mov_b32_e32 v8, 1
	v_mov_b32_e32 v9, 0
	s_and_saveexec_b64 s[28:29], s[4:5]
	s_cbranch_execz .LBB1168_43
; %bb.36:
	v_mov_b32_e32 v6, s19
	v_addc_co_u32_e64 v7, s[2:3], v7, v6, s[2:3]
	v_add_co_u32_e64 v6, s[2:3], 2, v14
	v_mov_b32_e32 v8, s19
	v_addc_co_u32_e64 v7, s[2:3], 0, v7, s[2:3]
	v_addc_co_u32_e32 v9, vcc, v11, v8, vcc
	v_add_co_u32_e32 v8, vcc, 2, v12
	s_add_u32 s2, s16, -1
	v_addc_co_u32_e32 v9, vcc, 0, v9, vcc
	s_addc_u32 s3, s17, -1
	s_mov_b64 s[4:5], 0
	s_mov_b64 s[34:35], 0
                                        ; implicit-def: $sgpr30_sgpr31
	s_branch .LBB1168_39
.LBB1168_37:                            ;   in Loop: Header=BB1168_39 Depth=1
	global_load_ushort v10, v[6:7], off
	global_load_ushort v11, v[8:9], off
	v_add_co_u32_e32 v6, vcc, 2, v6
	v_addc_co_u32_e32 v7, vcc, 0, v7, vcc
	v_add_co_u32_e32 v8, vcc, 2, v8
	v_addc_co_u32_e32 v9, vcc, 0, v9, vcc
	s_add_u32 s34, s34, 1
	s_addc_u32 s35, s35, 0
	s_andn2_b64 s[30:31], s[30:31], exec
	s_waitcnt vmcnt(1)
	v_lshlrev_b32_e32 v10, 16, v10
	s_waitcnt vmcnt(0)
	v_lshlrev_b32_e32 v11, 16, v11
	v_cmp_neq_f32_e32 vcc, v11, v10
	s_and_b64 s[36:37], vcc, exec
	s_or_b64 s[30:31], s[30:31], s[36:37]
.LBB1168_38:                            ;   in Loop: Header=BB1168_39 Depth=1
	s_and_b64 s[36:37], exec, s[30:31]
	s_or_b64 s[4:5], s[36:37], s[4:5]
	v_pk_mov_b32 v[10:11], s[34:35], s[34:35] op_sel:[0,1]
	s_andn2_b64 exec, exec, s[4:5]
	s_cbranch_execz .LBB1168_42
.LBB1168_39:                            ; =>This Inner Loop Header: Depth=1
	s_or_b64 s[30:31], s[30:31], exec
	s_cmp_eq_u64 s[2:3], s[34:35]
	s_cbranch_scc0 .LBB1168_37
; %bb.40:                               ;   in Loop: Header=BB1168_39 Depth=1
                                        ; implicit-def: $vgpr6_vgpr7
                                        ; implicit-def: $vgpr8_vgpr9
	s_mov_b64 s[34:35], s[16:17]
	s_branch .LBB1168_38
.LBB1168_41:
	v_pk_mov_b32 v[8:9], 0, 0
	s_branch .LBB1168_44
.LBB1168_42:
	s_or_b64 exec, exec, s[4:5]
	v_cmp_gt_i64_e32 vcc, s[16:17], v[10:11]
	s_mov_b32 s2, 0
	v_cndmask_b32_e64 v8, 0, 1, vcc
	v_mov_b32_e32 v9, s2
.LBB1168_43:
	s_or_b64 exec, exec, s[28:29]
.LBB1168_44:
	s_or_b64 exec, exec, s[22:23]
	v_cmp_ne_u32_e32 vcc, 0, v0
	v_pk_mov_b32 v[6:7], s[20:21], s[20:21] op_sel:[0,1]
	s_waitcnt lgkmcnt(0)
	s_barrier
	s_and_saveexec_b64 s[2:3], vcc
	s_cbranch_execz .LBB1168_46
; %bb.45:
	v_add_u32_e32 v6, -8, v1
	ds_read_b64 v[6:7], v6
.LBB1168_46:
	s_or_b64 exec, exec, s[2:3]
	v_cmp_gt_u32_e32 vcc, s7, v16
                                        ; implicit-def: $sgpr22_sgpr23
	s_and_saveexec_b64 s[20:21], vcc
	s_cbranch_execz .LBB1168_58
; %bb.47:
	v_cmp_lt_i64_e64 s[2:3], s[16:17], 1
	s_and_b64 vcc, exec, s[2:3]
	s_cbranch_vccnz .LBB1168_54
; %bb.48:
	v_mul_lo_u32 v12, v3, s16
	v_mul_lo_u32 v13, v2, s17
	v_mad_u64_u32 v[10:11], s[2:3], v2, s16, 0
	v_add3_u32 v11, v11, v13, v12
	s_waitcnt lgkmcnt(0)
	v_mul_lo_u32 v12, v7, s16
	v_mul_lo_u32 v13, v6, s17
	v_mad_u64_u32 v[6:7], s[2:3], v6, s16, 0
	v_lshlrev_b64 v[10:11], 1, v[10:11]
	v_add3_u32 v7, v7, v13, v12
	v_mov_b32_e32 v13, s19
	v_add_co_u32_e32 v12, vcc, s18, v10
	v_addc_co_u32_e64 v13, s[2:3], v13, v11, vcc
	v_lshlrev_b64 v[6:7], 1, v[6:7]
	v_mov_b32_e32 v10, s19
	v_add_co_u32_e64 v14, s[2:3], s18, v6
	v_addc_co_u32_e64 v15, s[4:5], v10, v7, s[2:3]
	global_load_ushort v6, v[14:15], off
	global_load_ushort v10, v[12:13], off
	s_mov_b64 s[28:29], -1
	s_waitcnt vmcnt(1)
	v_lshlrev_b32_e32 v6, 16, v6
	s_waitcnt vmcnt(0)
	v_lshlrev_b32_e32 v10, 16, v10
	v_cmp_eq_f32_e64 s[4:5], v10, v6
	s_and_saveexec_b64 s[22:23], s[4:5]
	s_cbranch_execz .LBB1168_56
; %bb.49:
	v_mov_b32_e32 v6, s19
	v_addc_co_u32_e64 v7, s[2:3], v7, v6, s[2:3]
	v_add_co_u32_e64 v6, s[2:3], 2, v14
	v_mov_b32_e32 v10, s19
	v_addc_co_u32_e64 v7, s[2:3], 0, v7, s[2:3]
	v_addc_co_u32_e32 v11, vcc, v11, v10, vcc
	v_add_co_u32_e32 v10, vcc, 2, v12
	s_add_u32 s2, s16, -1
	v_addc_co_u32_e32 v11, vcc, 0, v11, vcc
	s_addc_u32 s3, s17, -1
	s_mov_b64 s[4:5], 0
	s_mov_b64 s[30:31], 0
                                        ; implicit-def: $sgpr28_sgpr29
	s_branch .LBB1168_52
.LBB1168_50:                            ;   in Loop: Header=BB1168_52 Depth=1
	global_load_ushort v12, v[6:7], off
	global_load_ushort v13, v[10:11], off
	v_add_co_u32_e32 v6, vcc, 2, v6
	v_addc_co_u32_e32 v7, vcc, 0, v7, vcc
	v_add_co_u32_e32 v10, vcc, 2, v10
	v_addc_co_u32_e32 v11, vcc, 0, v11, vcc
	s_add_u32 s30, s30, 1
	s_addc_u32 s31, s31, 0
	s_andn2_b64 s[28:29], s[28:29], exec
	s_waitcnt vmcnt(1)
	v_lshlrev_b32_e32 v12, 16, v12
	s_waitcnt vmcnt(0)
	v_lshlrev_b32_e32 v13, 16, v13
	v_cmp_neq_f32_e32 vcc, v13, v12
	s_and_b64 s[34:35], vcc, exec
	s_or_b64 s[28:29], s[28:29], s[34:35]
.LBB1168_51:                            ;   in Loop: Header=BB1168_52 Depth=1
	s_and_b64 s[34:35], exec, s[28:29]
	s_or_b64 s[4:5], s[34:35], s[4:5]
	v_pk_mov_b32 v[12:13], s[30:31], s[30:31] op_sel:[0,1]
	s_andn2_b64 exec, exec, s[4:5]
	s_cbranch_execz .LBB1168_55
.LBB1168_52:                            ; =>This Inner Loop Header: Depth=1
	s_or_b64 s[28:29], s[28:29], exec
	s_cmp_eq_u64 s[2:3], s[30:31]
	s_cbranch_scc0 .LBB1168_50
; %bb.53:                               ;   in Loop: Header=BB1168_52 Depth=1
                                        ; implicit-def: $vgpr6_vgpr7
                                        ; implicit-def: $vgpr10_vgpr11
	s_mov_b64 s[30:31], s[16:17]
	s_branch .LBB1168_51
.LBB1168_54:
	s_mov_b64 s[28:29], 0
	s_branch .LBB1168_57
.LBB1168_55:
	s_or_b64 exec, exec, s[4:5]
	v_cmp_gt_i64_e32 vcc, s[16:17], v[12:13]
	s_orn2_b64 s[28:29], vcc, exec
.LBB1168_56:
	s_or_b64 exec, exec, s[22:23]
.LBB1168_57:
	s_and_b64 s[22:23], s[28:29], exec
	s_or_b64 s[24:25], s[24:25], exec
.LBB1168_58:
	s_or_b64 exec, exec, s[20:21]
.LBB1168_59:
	s_branch .LBB1168_108
.LBB1168_60:
	s_cmp_lg_u64 s[26:27], 1
	s_cbranch_scc0 .LBB1168_68
; %bb.61:
	v_cmp_lt_i64_e64 s[2:3], s[16:17], 1
	v_pk_mov_b32 v[8:9], 0, 0
	v_cmp_gt_i64_e64 s[26:27], s[16:17], 0
	s_and_b64 vcc, exec, s[2:3]
	ds_write_b64 v1, v[4:5]
	s_cbranch_vccnz .LBB1168_71
; %bb.62:
	v_mul_lo_u32 v8, v5, s16
	v_mul_lo_u32 v9, v4, s17
	s_waitcnt lgkmcnt(0)
	v_mad_u64_u32 v[6:7], s[2:3], v4, s16, 0
	v_add3_u32 v7, v7, v9, v8
	v_mul_lo_u32 v10, v3, s16
	v_mul_lo_u32 v11, v2, s17
	v_mad_u64_u32 v[8:9], s[2:3], v2, s16, 0
	v_add3_u32 v9, v9, v11, v10
	v_lshlrev_b64 v[10:11], 1, v[6:7]
	v_mov_b32_e32 v6, s19
	v_add_co_u32_e32 v12, vcc, s18, v10
	v_addc_co_u32_e64 v13, s[2:3], v6, v11, vcc
	v_lshlrev_b64 v[6:7], 1, v[8:9]
	v_mov_b32_e32 v8, s19
	v_add_co_u32_e64 v14, s[2:3], s18, v6
	v_addc_co_u32_e64 v15, s[4:5], v8, v7, s[2:3]
	global_load_ushort v6, v[14:15], off
	global_load_ushort v8, v[12:13], off
	s_waitcnt vmcnt(1)
	v_lshlrev_b32_e32 v6, 16, v6
	s_waitcnt vmcnt(0)
	v_lshlrev_b32_e32 v8, 16, v8
	v_cmp_eq_f32_e64 s[4:5], v8, v6
	v_mov_b32_e32 v8, 1
	v_mov_b32_e32 v9, 0
	s_and_saveexec_b64 s[20:21], s[4:5]
	s_cbranch_execz .LBB1168_70
; %bb.63:
	v_mov_b32_e32 v6, s19
	v_addc_co_u32_e64 v7, s[2:3], v7, v6, s[2:3]
	v_add_co_u32_e64 v6, s[2:3], 2, v14
	v_mov_b32_e32 v8, s19
	v_addc_co_u32_e64 v7, s[2:3], 0, v7, s[2:3]
	v_addc_co_u32_e32 v9, vcc, v11, v8, vcc
	v_add_co_u32_e32 v8, vcc, 2, v12
	s_add_u32 s2, s16, -1
	v_addc_co_u32_e32 v9, vcc, 0, v9, vcc
	s_addc_u32 s3, s17, -1
	s_mov_b64 s[4:5], 0
	s_mov_b64 s[28:29], 0
                                        ; implicit-def: $sgpr22_sgpr23
	s_branch .LBB1168_66
.LBB1168_64:                            ;   in Loop: Header=BB1168_66 Depth=1
	global_load_ushort v10, v[6:7], off
	global_load_ushort v11, v[8:9], off
	v_add_co_u32_e32 v6, vcc, 2, v6
	v_addc_co_u32_e32 v7, vcc, 0, v7, vcc
	v_add_co_u32_e32 v8, vcc, 2, v8
	v_addc_co_u32_e32 v9, vcc, 0, v9, vcc
	s_add_u32 s28, s28, 1
	s_addc_u32 s29, s29, 0
	s_andn2_b64 s[22:23], s[22:23], exec
	s_waitcnt vmcnt(1)
	v_lshlrev_b32_e32 v10, 16, v10
	s_waitcnt vmcnt(0)
	v_lshlrev_b32_e32 v11, 16, v11
	v_cmp_neq_f32_e32 vcc, v11, v10
	s_and_b64 s[30:31], vcc, exec
	s_or_b64 s[22:23], s[22:23], s[30:31]
.LBB1168_65:                            ;   in Loop: Header=BB1168_66 Depth=1
	s_and_b64 s[30:31], exec, s[22:23]
	s_or_b64 s[4:5], s[30:31], s[4:5]
	v_pk_mov_b32 v[10:11], s[28:29], s[28:29] op_sel:[0,1]
	s_andn2_b64 exec, exec, s[4:5]
	s_cbranch_execz .LBB1168_69
.LBB1168_66:                            ; =>This Inner Loop Header: Depth=1
	s_or_b64 s[22:23], s[22:23], exec
	s_cmp_eq_u64 s[2:3], s[28:29]
	s_cbranch_scc0 .LBB1168_64
; %bb.67:                               ;   in Loop: Header=BB1168_66 Depth=1
                                        ; implicit-def: $vgpr6_vgpr7
                                        ; implicit-def: $vgpr8_vgpr9
	s_mov_b64 s[28:29], s[16:17]
	s_branch .LBB1168_65
.LBB1168_68:
                                        ; implicit-def: $sgpr22_sgpr23
                                        ; implicit-def: $vgpr8_vgpr9
	s_cbranch_execnz .LBB1168_84
	s_branch .LBB1168_108
.LBB1168_69:
	s_or_b64 exec, exec, s[4:5]
	v_cmp_gt_i64_e32 vcc, s[16:17], v[10:11]
	s_mov_b32 s2, 0
	v_cndmask_b32_e64 v8, 0, 1, vcc
	v_mov_b32_e32 v9, s2
.LBB1168_70:
	s_or_b64 exec, exec, s[20:21]
.LBB1168_71:
	v_cmp_ne_u32_e32 vcc, 0, v0
	s_waitcnt lgkmcnt(0)
	s_barrier
	s_waitcnt lgkmcnt(0)
                                        ; implicit-def: $sgpr22_sgpr23
	s_and_saveexec_b64 s[20:21], vcc
	s_cbranch_execz .LBB1168_83
; %bb.72:
	s_andn2_b64 vcc, exec, s[26:27]
	s_cbranch_vccnz .LBB1168_79
; %bb.73:
	v_add_u32_e32 v6, -8, v1
	ds_read_b64 v[6:7], v6
	v_mul_lo_u32 v12, v3, s16
	v_mul_lo_u32 v13, v2, s17
	v_mad_u64_u32 v[10:11], s[2:3], v2, s16, 0
	v_add3_u32 v11, v11, v13, v12
	s_waitcnt lgkmcnt(0)
	v_mul_lo_u32 v12, v7, s16
	v_mul_lo_u32 v13, v6, s17
	v_mad_u64_u32 v[6:7], s[2:3], v6, s16, 0
	v_lshlrev_b64 v[10:11], 1, v[10:11]
	v_add3_u32 v7, v7, v13, v12
	v_mov_b32_e32 v13, s19
	v_add_co_u32_e32 v12, vcc, s18, v10
	v_addc_co_u32_e64 v13, s[2:3], v13, v11, vcc
	v_lshlrev_b64 v[6:7], 1, v[6:7]
	v_mov_b32_e32 v10, s19
	v_add_co_u32_e64 v14, s[2:3], s18, v6
	v_addc_co_u32_e64 v15, s[4:5], v10, v7, s[2:3]
	global_load_ushort v6, v[12:13], off
	global_load_ushort v10, v[14:15], off
	s_mov_b64 s[26:27], -1
	s_waitcnt vmcnt(1)
	v_lshlrev_b32_e32 v6, 16, v6
	s_waitcnt vmcnt(0)
	v_lshlrev_b32_e32 v10, 16, v10
	v_cmp_eq_f32_e64 s[4:5], v6, v10
	s_and_saveexec_b64 s[22:23], s[4:5]
	s_cbranch_execz .LBB1168_81
; %bb.74:
	v_mov_b32_e32 v6, s19
	v_addc_co_u32_e64 v7, s[2:3], v7, v6, s[2:3]
	v_add_co_u32_e64 v6, s[2:3], 2, v14
	v_mov_b32_e32 v10, s19
	v_addc_co_u32_e64 v7, s[2:3], 0, v7, s[2:3]
	v_addc_co_u32_e32 v11, vcc, v11, v10, vcc
	v_add_co_u32_e32 v10, vcc, 2, v12
	s_add_u32 s2, s16, -1
	v_addc_co_u32_e32 v11, vcc, 0, v11, vcc
	s_addc_u32 s3, s17, -1
	s_mov_b64 s[4:5], 0
	s_mov_b64 s[28:29], 0
                                        ; implicit-def: $sgpr26_sgpr27
	s_branch .LBB1168_77
.LBB1168_75:                            ;   in Loop: Header=BB1168_77 Depth=1
	global_load_ushort v12, v[6:7], off
	global_load_ushort v13, v[10:11], off
	v_add_co_u32_e32 v6, vcc, 2, v6
	v_addc_co_u32_e32 v7, vcc, 0, v7, vcc
	v_add_co_u32_e32 v10, vcc, 2, v10
	v_addc_co_u32_e32 v11, vcc, 0, v11, vcc
	s_add_u32 s28, s28, 1
	s_addc_u32 s29, s29, 0
	s_andn2_b64 s[26:27], s[26:27], exec
	s_waitcnt vmcnt(1)
	v_lshlrev_b32_e32 v12, 16, v12
	s_waitcnt vmcnt(0)
	v_lshlrev_b32_e32 v13, 16, v13
	v_cmp_neq_f32_e32 vcc, v13, v12
	s_and_b64 s[30:31], vcc, exec
	s_or_b64 s[26:27], s[26:27], s[30:31]
.LBB1168_76:                            ;   in Loop: Header=BB1168_77 Depth=1
	s_and_b64 s[30:31], exec, s[26:27]
	s_or_b64 s[4:5], s[30:31], s[4:5]
	v_pk_mov_b32 v[12:13], s[28:29], s[28:29] op_sel:[0,1]
	s_andn2_b64 exec, exec, s[4:5]
	s_cbranch_execz .LBB1168_80
.LBB1168_77:                            ; =>This Inner Loop Header: Depth=1
	s_or_b64 s[26:27], s[26:27], exec
	s_cmp_eq_u64 s[2:3], s[28:29]
	s_cbranch_scc0 .LBB1168_75
; %bb.78:                               ;   in Loop: Header=BB1168_77 Depth=1
                                        ; implicit-def: $vgpr6_vgpr7
                                        ; implicit-def: $vgpr10_vgpr11
	s_mov_b64 s[28:29], s[16:17]
	s_branch .LBB1168_76
.LBB1168_79:
	s_mov_b64 s[26:27], 0
	s_branch .LBB1168_82
.LBB1168_80:
	s_or_b64 exec, exec, s[4:5]
	v_cmp_gt_i64_e32 vcc, s[16:17], v[12:13]
	s_orn2_b64 s[26:27], vcc, exec
.LBB1168_81:
	s_or_b64 exec, exec, s[22:23]
.LBB1168_82:
	s_and_b64 s[22:23], s[26:27], exec
	s_or_b64 s[24:25], s[24:25], exec
.LBB1168_83:
	s_or_b64 exec, exec, s[20:21]
	s_branch .LBB1168_108
.LBB1168_84:
	v_lshlrev_b32_e32 v14, 1, v0
	s_waitcnt lgkmcnt(0)
	v_or_b32_e32 v6, 1, v14
	v_cmp_gt_u32_e32 vcc, s14, v6
	v_cmp_lt_i64_e64 s[20:21], s[16:17], 1
	v_pk_mov_b32 v[8:9], v[4:5], v[4:5] op_sel:[0,1]
	ds_write_b64 v1, v[4:5]
	v_pk_mov_b32 v[6:7], v[2:3], v[2:3] op_sel:[0,1]
	s_and_saveexec_b64 s[22:23], vcc
	s_cbranch_execz .LBB1168_95
; %bb.85:
	s_and_b64 vcc, exec, s[20:21]
	s_cbranch_vccnz .LBB1168_92
; %bb.86:
	v_mul_lo_u32 v6, v5, s16
	v_mul_lo_u32 v7, v4, s17
	v_mad_u64_u32 v[4:5], s[2:3], v4, s16, 0
	v_add3_u32 v5, v5, v7, v6
	v_mul_lo_u32 v6, v3, s16
	v_mul_lo_u32 v7, v2, s17
	v_mad_u64_u32 v[8:9], s[2:3], v2, s16, 0
	v_add3_u32 v9, v9, v7, v6
	v_lshlrev_b64 v[6:7], 1, v[4:5]
	v_mov_b32_e32 v4, s19
	v_add_co_u32_e32 v10, vcc, s18, v6
	v_addc_co_u32_e64 v11, s[2:3], v4, v7, vcc
	v_lshlrev_b64 v[4:5], 1, v[8:9]
	v_mov_b32_e32 v6, s19
	v_add_co_u32_e64 v12, s[2:3], s18, v4
	v_addc_co_u32_e64 v13, s[4:5], v6, v5, s[2:3]
	global_load_ushort v4, v[12:13], off
	global_load_ushort v6, v[10:11], off
	v_mov_b32_e32 v8, 1
	v_mov_b32_e32 v9, 0
	s_waitcnt vmcnt(1)
	v_lshlrev_b32_e32 v4, 16, v4
	s_waitcnt vmcnt(0)
	v_lshlrev_b32_e32 v6, 16, v6
	v_cmp_eq_f32_e64 s[4:5], v6, v4
	s_and_saveexec_b64 s[26:27], s[4:5]
	s_cbranch_execz .LBB1168_94
; %bb.87:
	v_mov_b32_e32 v4, s19
	v_addc_co_u32_e64 v5, s[2:3], v5, v4, s[2:3]
	v_add_co_u32_e64 v4, s[2:3], 2, v12
	v_mov_b32_e32 v6, s19
	v_addc_co_u32_e64 v5, s[2:3], 0, v5, s[2:3]
	v_addc_co_u32_e32 v7, vcc, v7, v6, vcc
	v_add_co_u32_e32 v6, vcc, 2, v10
	s_add_u32 s2, s16, -1
	v_addc_co_u32_e32 v7, vcc, 0, v7, vcc
	s_addc_u32 s3, s17, -1
	s_mov_b64 s[4:5], 0
	s_mov_b64 s[30:31], 0
                                        ; implicit-def: $sgpr28_sgpr29
	s_branch .LBB1168_90
.LBB1168_88:                            ;   in Loop: Header=BB1168_90 Depth=1
	global_load_ushort v8, v[4:5], off
	global_load_ushort v9, v[6:7], off
	v_add_co_u32_e32 v4, vcc, 2, v4
	v_addc_co_u32_e32 v5, vcc, 0, v5, vcc
	v_add_co_u32_e32 v6, vcc, 2, v6
	v_addc_co_u32_e32 v7, vcc, 0, v7, vcc
	s_add_u32 s30, s30, 1
	s_addc_u32 s31, s31, 0
	s_andn2_b64 s[28:29], s[28:29], exec
	s_waitcnt vmcnt(1)
	v_lshlrev_b32_e32 v8, 16, v8
	s_waitcnt vmcnt(0)
	v_lshlrev_b32_e32 v9, 16, v9
	v_cmp_neq_f32_e32 vcc, v9, v8
	s_and_b64 s[34:35], vcc, exec
	s_or_b64 s[28:29], s[28:29], s[34:35]
.LBB1168_89:                            ;   in Loop: Header=BB1168_90 Depth=1
	s_and_b64 s[34:35], exec, s[28:29]
	s_or_b64 s[4:5], s[34:35], s[4:5]
	v_pk_mov_b32 v[8:9], s[30:31], s[30:31] op_sel:[0,1]
	s_andn2_b64 exec, exec, s[4:5]
	s_cbranch_execz .LBB1168_93
.LBB1168_90:                            ; =>This Inner Loop Header: Depth=1
	s_or_b64 s[28:29], s[28:29], exec
	s_cmp_eq_u64 s[2:3], s[30:31]
	s_cbranch_scc0 .LBB1168_88
; %bb.91:                               ;   in Loop: Header=BB1168_90 Depth=1
                                        ; implicit-def: $vgpr4_vgpr5
                                        ; implicit-def: $vgpr6_vgpr7
	s_mov_b64 s[30:31], s[16:17]
	s_branch .LBB1168_89
.LBB1168_92:
	v_pk_mov_b32 v[8:9], 0, 0
	s_branch .LBB1168_95
.LBB1168_93:
	s_or_b64 exec, exec, s[4:5]
	v_cmp_gt_i64_e32 vcc, s[16:17], v[8:9]
	s_mov_b32 s2, 0
	v_cndmask_b32_e64 v8, 0, 1, vcc
	v_mov_b32_e32 v9, s2
.LBB1168_94:
	s_or_b64 exec, exec, s[26:27]
.LBB1168_95:
	s_or_b64 exec, exec, s[22:23]
	v_cmp_ne_u32_e32 vcc, 0, v0
	v_cmp_gt_u32_e64 s[2:3], s14, v14
	s_and_b64 s[2:3], vcc, s[2:3]
	s_waitcnt lgkmcnt(0)
	s_barrier
	s_waitcnt lgkmcnt(0)
                                        ; implicit-def: $sgpr22_sgpr23
	s_and_saveexec_b64 s[26:27], s[2:3]
	s_cbranch_execz .LBB1168_107
; %bb.96:
	s_and_b64 vcc, exec, s[20:21]
	s_cbranch_vccnz .LBB1168_103
; %bb.97:
	v_mul_lo_u32 v6, v3, s16
	v_add_u32_e32 v3, -8, v1
	ds_read_b64 v[4:5], v3
	v_mul_lo_u32 v7, v2, s17
	v_mad_u64_u32 v[2:3], s[2:3], v2, s16, 0
	v_add3_u32 v3, v3, v7, v6
	s_waitcnt lgkmcnt(0)
	v_mul_lo_u32 v5, v5, s16
	v_mul_lo_u32 v6, v4, s17
	v_mad_u64_u32 v[10:11], s[2:3], v4, s16, 0
	v_add3_u32 v11, v11, v6, v5
	v_lshlrev_b64 v[4:5], 1, v[2:3]
	v_mov_b32_e32 v2, s19
	v_add_co_u32_e32 v6, vcc, s18, v4
	v_addc_co_u32_e64 v7, s[2:3], v2, v5, vcc
	v_lshlrev_b64 v[2:3], 1, v[10:11]
	v_mov_b32_e32 v4, s19
	v_add_co_u32_e64 v10, s[2:3], s18, v2
	v_addc_co_u32_e64 v11, s[4:5], v4, v3, s[2:3]
	global_load_ushort v2, v[6:7], off
	global_load_ushort v4, v[10:11], off
	s_mov_b64 s[22:23], -1
	s_waitcnt vmcnt(1)
	v_lshlrev_b32_e32 v2, 16, v2
	s_waitcnt vmcnt(0)
	v_lshlrev_b32_e32 v4, 16, v4
	v_cmp_eq_f32_e64 s[4:5], v2, v4
	s_and_saveexec_b64 s[20:21], s[4:5]
	s_cbranch_execz .LBB1168_105
; %bb.98:
	v_mov_b32_e32 v2, s19
	v_addc_co_u32_e64 v3, s[2:3], v3, v2, s[2:3]
	v_add_co_u32_e64 v2, s[2:3], 2, v10
	v_mov_b32_e32 v4, s19
	v_addc_co_u32_e64 v3, s[2:3], 0, v3, s[2:3]
	v_addc_co_u32_e32 v5, vcc, v5, v4, vcc
	v_add_co_u32_e32 v4, vcc, 2, v6
	s_add_u32 s2, s16, -1
	v_addc_co_u32_e32 v5, vcc, 0, v5, vcc
	s_addc_u32 s3, s17, -1
	s_mov_b64 s[4:5], 0
	s_mov_b64 s[22:23], 0
                                        ; implicit-def: $sgpr18_sgpr19
	s_branch .LBB1168_101
.LBB1168_99:                            ;   in Loop: Header=BB1168_101 Depth=1
	global_load_ushort v6, v[2:3], off
	global_load_ushort v7, v[4:5], off
	v_add_co_u32_e32 v2, vcc, 2, v2
	v_addc_co_u32_e32 v3, vcc, 0, v3, vcc
	v_add_co_u32_e32 v4, vcc, 2, v4
	v_addc_co_u32_e32 v5, vcc, 0, v5, vcc
	s_add_u32 s22, s22, 1
	s_addc_u32 s23, s23, 0
	s_andn2_b64 s[18:19], s[18:19], exec
	s_waitcnt vmcnt(1)
	v_lshlrev_b32_e32 v6, 16, v6
	s_waitcnt vmcnt(0)
	v_lshlrev_b32_e32 v7, 16, v7
	v_cmp_neq_f32_e32 vcc, v7, v6
	s_and_b64 s[28:29], vcc, exec
	s_or_b64 s[18:19], s[18:19], s[28:29]
.LBB1168_100:                           ;   in Loop: Header=BB1168_101 Depth=1
	s_and_b64 s[28:29], exec, s[18:19]
	s_or_b64 s[4:5], s[28:29], s[4:5]
	v_pk_mov_b32 v[6:7], s[22:23], s[22:23] op_sel:[0,1]
	s_andn2_b64 exec, exec, s[4:5]
	s_cbranch_execz .LBB1168_104
.LBB1168_101:                           ; =>This Inner Loop Header: Depth=1
	s_or_b64 s[18:19], s[18:19], exec
	s_cmp_eq_u64 s[2:3], s[22:23]
	s_cbranch_scc0 .LBB1168_99
; %bb.102:                              ;   in Loop: Header=BB1168_101 Depth=1
                                        ; implicit-def: $vgpr2_vgpr3
                                        ; implicit-def: $vgpr4_vgpr5
	s_mov_b64 s[22:23], s[16:17]
	s_branch .LBB1168_100
.LBB1168_103:
	s_mov_b64 s[22:23], 0
	s_branch .LBB1168_106
.LBB1168_104:
	s_or_b64 exec, exec, s[4:5]
	v_cmp_gt_i64_e32 vcc, s[16:17], v[6:7]
	s_orn2_b64 s[22:23], vcc, exec
.LBB1168_105:
	s_or_b64 exec, exec, s[20:21]
.LBB1168_106:
	s_and_b64 s[22:23], s[22:23], exec
	s_or_b64 s[24:25], s[24:25], exec
                                        ; implicit-def: $vgpr2_vgpr3
.LBB1168_107:
	s_or_b64 exec, exec, s[26:27]
.LBB1168_108:
	s_and_saveexec_b64 s[2:3], s[24:25]
; %bb.109:
	s_mov_b32 s4, 0
	v_cndmask_b32_e64 v2, 0, 1, s[22:23]
	v_mov_b32_e32 v3, s4
; %bb.110:
	s_or_b64 exec, exec, s[2:3]
	s_add_u32 s4, s12, s10
	s_addc_u32 s5, s13, s11
	s_and_b64 vcc, exec, s[0:1]
	v_lshrrev_b32_e32 v10, 1, v0
	s_waitcnt lgkmcnt(0)
	s_barrier
	s_cbranch_vccz .LBB1168_114
; %bb.111:
	v_and_b32_e32 v4, 0xf8, v10
	v_lshl_add_u32 v6, v0, 4, v4
	v_mov_b32_e32 v4, v8
	v_mov_b32_e32 v5, v9
	v_or_b32_e32 v11, 0x200, v0
	s_lshl_b32 s0, s6, 10
	s_mov_b32 s9, 0
	ds_write2_b64 v6, v[2:3], v[4:5] offset1:1
	v_lshrrev_b32_e32 v4, 5, v11
	s_sub_i32 s2, s14, s0
	s_lshl_b64 s[0:1], s[8:9], 3
	v_add_lshl_u32 v4, v4, v0, 3
	s_add_u32 s0, s4, s0
	s_waitcnt lgkmcnt(0)
	s_barrier
	ds_read_b64 v[4:5], v4 offset:4096
	s_addc_u32 s1, s5, s1
	v_mov_b32_e32 v7, s1
	v_add_co_u32_e32 v6, vcc, s0, v1
	v_addc_co_u32_e32 v7, vcc, 0, v7, vcc
	v_cmp_gt_u32_e32 vcc, s2, v0
	s_and_saveexec_b64 s[0:1], vcc
	s_cbranch_execz .LBB1168_113
; %bb.112:
	v_lshrrev_b32_e32 v12, 5, v0
	v_add_lshl_u32 v12, v12, v0, 3
	ds_read_b64 v[12:13], v12
	s_waitcnt lgkmcnt(0)
	global_store_dwordx2 v[6:7], v[12:13], off
.LBB1168_113:
	s_or_b64 exec, exec, s[0:1]
	v_cmp_gt_u32_e64 s[0:1], s2, v11
	s_branch .LBB1168_116
.LBB1168_114:
	s_mov_b64 s[0:1], 0
                                        ; implicit-def: $vgpr4_vgpr5
                                        ; implicit-def: $vgpr6_vgpr7
	s_cbranch_execz .LBB1168_116
; %bb.115:
	s_waitcnt lgkmcnt(0)
	v_and_b32_e32 v4, 0xf8, v10
	v_lshl_add_u32 v6, v0, 4, v4
	v_mov_b32_e32 v4, v8
	v_mov_b32_e32 v5, v9
	s_mov_b32 s9, 0
	ds_write2_b64 v6, v[2:3], v[4:5] offset1:1
	v_lshrrev_b32_e32 v2, 5, v0
	v_or_b32_e32 v3, 0x200, v0
	s_lshl_b64 s[2:3], s[8:9], 3
	v_add_lshl_u32 v2, v2, v0, 3
	v_lshrrev_b32_e32 v3, 5, v3
	s_add_u32 s2, s4, s2
	s_waitcnt lgkmcnt(0)
	s_barrier
	v_add_lshl_u32 v0, v3, v0, 3
	ds_read_b64 v[2:3], v2
	ds_read_b64 v[4:5], v0 offset:4096
	s_addc_u32 s3, s5, s3
	v_mov_b32_e32 v0, s3
	v_add_co_u32_e32 v6, vcc, s2, v1
	v_addc_co_u32_e32 v7, vcc, 0, v0, vcc
	s_or_b64 s[0:1], s[0:1], exec
	s_waitcnt lgkmcnt(1)
	global_store_dwordx2 v1, v[2:3], s[2:3]
.LBB1168_116:
	s_and_saveexec_b64 s[2:3], s[0:1]
	s_cbranch_execnz .LBB1168_118
; %bb.117:
	s_endpgm
.LBB1168_118:
	v_add_co_u32_e32 v0, vcc, 0x1000, v6
	v_addc_co_u32_e32 v1, vcc, 0, v7, vcc
	s_waitcnt lgkmcnt(0)
	global_store_dwordx2 v[0:1], v[4:5], off
	s_endpgm
	.section	.rodata,"a",@progbits
	.p2align	6, 0x0
	.amdhsa_kernel _ZN7rocprim17ROCPRIM_400000_NS6detail17trampoline_kernelINS0_14default_configENS1_35adjacent_difference_config_selectorILb1ElEEZNS1_24adjacent_difference_implIS3_Lb1ELb0EPlS7_ZN2at6native12_GLOBAL__N_124unique_dim_cuda_templateIN3c108BFloat16EEESt5tupleIJNS8_6TensorESF_SF_EERKSF_lbbbEUlllE1_EE10hipError_tPvRmT2_T3_mT4_P12ihipStream_tbEUlT_E_NS1_11comp_targetILNS1_3genE4ELNS1_11target_archE910ELNS1_3gpuE8ELNS1_3repE0EEENS1_30default_config_static_selectorELNS0_4arch9wavefront6targetE1EEEvT1_
		.amdhsa_group_segment_fixed_size 8448
		.amdhsa_private_segment_fixed_size 0
		.amdhsa_kernarg_size 64
		.amdhsa_user_sgpr_count 6
		.amdhsa_user_sgpr_private_segment_buffer 1
		.amdhsa_user_sgpr_dispatch_ptr 0
		.amdhsa_user_sgpr_queue_ptr 0
		.amdhsa_user_sgpr_kernarg_segment_ptr 1
		.amdhsa_user_sgpr_dispatch_id 0
		.amdhsa_user_sgpr_flat_scratch_init 0
		.amdhsa_user_sgpr_kernarg_preload_length 0
		.amdhsa_user_sgpr_kernarg_preload_offset 0
		.amdhsa_user_sgpr_private_segment_size 0
		.amdhsa_uses_dynamic_stack 0
		.amdhsa_system_sgpr_private_segment_wavefront_offset 0
		.amdhsa_system_sgpr_workgroup_id_x 1
		.amdhsa_system_sgpr_workgroup_id_y 0
		.amdhsa_system_sgpr_workgroup_id_z 0
		.amdhsa_system_sgpr_workgroup_info 0
		.amdhsa_system_vgpr_workitem_id 0
		.amdhsa_next_free_vgpr 17
		.amdhsa_next_free_sgpr 38
		.amdhsa_accum_offset 20
		.amdhsa_reserve_vcc 1
		.amdhsa_reserve_flat_scratch 0
		.amdhsa_float_round_mode_32 0
		.amdhsa_float_round_mode_16_64 0
		.amdhsa_float_denorm_mode_32 3
		.amdhsa_float_denorm_mode_16_64 3
		.amdhsa_dx10_clamp 1
		.amdhsa_ieee_mode 1
		.amdhsa_fp16_overflow 0
		.amdhsa_tg_split 0
		.amdhsa_exception_fp_ieee_invalid_op 0
		.amdhsa_exception_fp_denorm_src 0
		.amdhsa_exception_fp_ieee_div_zero 0
		.amdhsa_exception_fp_ieee_overflow 0
		.amdhsa_exception_fp_ieee_underflow 0
		.amdhsa_exception_fp_ieee_inexact 0
		.amdhsa_exception_int_div_zero 0
	.end_amdhsa_kernel
	.section	.text._ZN7rocprim17ROCPRIM_400000_NS6detail17trampoline_kernelINS0_14default_configENS1_35adjacent_difference_config_selectorILb1ElEEZNS1_24adjacent_difference_implIS3_Lb1ELb0EPlS7_ZN2at6native12_GLOBAL__N_124unique_dim_cuda_templateIN3c108BFloat16EEESt5tupleIJNS8_6TensorESF_SF_EERKSF_lbbbEUlllE1_EE10hipError_tPvRmT2_T3_mT4_P12ihipStream_tbEUlT_E_NS1_11comp_targetILNS1_3genE4ELNS1_11target_archE910ELNS1_3gpuE8ELNS1_3repE0EEENS1_30default_config_static_selectorELNS0_4arch9wavefront6targetE1EEEvT1_,"axG",@progbits,_ZN7rocprim17ROCPRIM_400000_NS6detail17trampoline_kernelINS0_14default_configENS1_35adjacent_difference_config_selectorILb1ElEEZNS1_24adjacent_difference_implIS3_Lb1ELb0EPlS7_ZN2at6native12_GLOBAL__N_124unique_dim_cuda_templateIN3c108BFloat16EEESt5tupleIJNS8_6TensorESF_SF_EERKSF_lbbbEUlllE1_EE10hipError_tPvRmT2_T3_mT4_P12ihipStream_tbEUlT_E_NS1_11comp_targetILNS1_3genE4ELNS1_11target_archE910ELNS1_3gpuE8ELNS1_3repE0EEENS1_30default_config_static_selectorELNS0_4arch9wavefront6targetE1EEEvT1_,comdat
.Lfunc_end1168:
	.size	_ZN7rocprim17ROCPRIM_400000_NS6detail17trampoline_kernelINS0_14default_configENS1_35adjacent_difference_config_selectorILb1ElEEZNS1_24adjacent_difference_implIS3_Lb1ELb0EPlS7_ZN2at6native12_GLOBAL__N_124unique_dim_cuda_templateIN3c108BFloat16EEESt5tupleIJNS8_6TensorESF_SF_EERKSF_lbbbEUlllE1_EE10hipError_tPvRmT2_T3_mT4_P12ihipStream_tbEUlT_E_NS1_11comp_targetILNS1_3genE4ELNS1_11target_archE910ELNS1_3gpuE8ELNS1_3repE0EEENS1_30default_config_static_selectorELNS0_4arch9wavefront6targetE1EEEvT1_, .Lfunc_end1168-_ZN7rocprim17ROCPRIM_400000_NS6detail17trampoline_kernelINS0_14default_configENS1_35adjacent_difference_config_selectorILb1ElEEZNS1_24adjacent_difference_implIS3_Lb1ELb0EPlS7_ZN2at6native12_GLOBAL__N_124unique_dim_cuda_templateIN3c108BFloat16EEESt5tupleIJNS8_6TensorESF_SF_EERKSF_lbbbEUlllE1_EE10hipError_tPvRmT2_T3_mT4_P12ihipStream_tbEUlT_E_NS1_11comp_targetILNS1_3genE4ELNS1_11target_archE910ELNS1_3gpuE8ELNS1_3repE0EEENS1_30default_config_static_selectorELNS0_4arch9wavefront6targetE1EEEvT1_
                                        ; -- End function
	.section	.AMDGPU.csdata,"",@progbits
; Kernel info:
; codeLenInByte = 4496
; NumSgprs: 42
; NumVgprs: 17
; NumAgprs: 0
; TotalNumVgprs: 17
; ScratchSize: 0
; MemoryBound: 0
; FloatMode: 240
; IeeeMode: 1
; LDSByteSize: 8448 bytes/workgroup (compile time only)
; SGPRBlocks: 5
; VGPRBlocks: 2
; NumSGPRsForWavesPerEU: 42
; NumVGPRsForWavesPerEU: 17
; AccumOffset: 20
; Occupancy: 8
; WaveLimiterHint : 1
; COMPUTE_PGM_RSRC2:SCRATCH_EN: 0
; COMPUTE_PGM_RSRC2:USER_SGPR: 6
; COMPUTE_PGM_RSRC2:TRAP_HANDLER: 0
; COMPUTE_PGM_RSRC2:TGID_X_EN: 1
; COMPUTE_PGM_RSRC2:TGID_Y_EN: 0
; COMPUTE_PGM_RSRC2:TGID_Z_EN: 0
; COMPUTE_PGM_RSRC2:TIDIG_COMP_CNT: 0
; COMPUTE_PGM_RSRC3_GFX90A:ACCUM_OFFSET: 4
; COMPUTE_PGM_RSRC3_GFX90A:TG_SPLIT: 0
	.section	.text._ZN7rocprim17ROCPRIM_400000_NS6detail17trampoline_kernelINS0_14default_configENS1_35adjacent_difference_config_selectorILb1ElEEZNS1_24adjacent_difference_implIS3_Lb1ELb0EPlS7_ZN2at6native12_GLOBAL__N_124unique_dim_cuda_templateIN3c108BFloat16EEESt5tupleIJNS8_6TensorESF_SF_EERKSF_lbbbEUlllE1_EE10hipError_tPvRmT2_T3_mT4_P12ihipStream_tbEUlT_E_NS1_11comp_targetILNS1_3genE3ELNS1_11target_archE908ELNS1_3gpuE7ELNS1_3repE0EEENS1_30default_config_static_selectorELNS0_4arch9wavefront6targetE1EEEvT1_,"axG",@progbits,_ZN7rocprim17ROCPRIM_400000_NS6detail17trampoline_kernelINS0_14default_configENS1_35adjacent_difference_config_selectorILb1ElEEZNS1_24adjacent_difference_implIS3_Lb1ELb0EPlS7_ZN2at6native12_GLOBAL__N_124unique_dim_cuda_templateIN3c108BFloat16EEESt5tupleIJNS8_6TensorESF_SF_EERKSF_lbbbEUlllE1_EE10hipError_tPvRmT2_T3_mT4_P12ihipStream_tbEUlT_E_NS1_11comp_targetILNS1_3genE3ELNS1_11target_archE908ELNS1_3gpuE7ELNS1_3repE0EEENS1_30default_config_static_selectorELNS0_4arch9wavefront6targetE1EEEvT1_,comdat
	.globl	_ZN7rocprim17ROCPRIM_400000_NS6detail17trampoline_kernelINS0_14default_configENS1_35adjacent_difference_config_selectorILb1ElEEZNS1_24adjacent_difference_implIS3_Lb1ELb0EPlS7_ZN2at6native12_GLOBAL__N_124unique_dim_cuda_templateIN3c108BFloat16EEESt5tupleIJNS8_6TensorESF_SF_EERKSF_lbbbEUlllE1_EE10hipError_tPvRmT2_T3_mT4_P12ihipStream_tbEUlT_E_NS1_11comp_targetILNS1_3genE3ELNS1_11target_archE908ELNS1_3gpuE7ELNS1_3repE0EEENS1_30default_config_static_selectorELNS0_4arch9wavefront6targetE1EEEvT1_ ; -- Begin function _ZN7rocprim17ROCPRIM_400000_NS6detail17trampoline_kernelINS0_14default_configENS1_35adjacent_difference_config_selectorILb1ElEEZNS1_24adjacent_difference_implIS3_Lb1ELb0EPlS7_ZN2at6native12_GLOBAL__N_124unique_dim_cuda_templateIN3c108BFloat16EEESt5tupleIJNS8_6TensorESF_SF_EERKSF_lbbbEUlllE1_EE10hipError_tPvRmT2_T3_mT4_P12ihipStream_tbEUlT_E_NS1_11comp_targetILNS1_3genE3ELNS1_11target_archE908ELNS1_3gpuE7ELNS1_3repE0EEENS1_30default_config_static_selectorELNS0_4arch9wavefront6targetE1EEEvT1_
	.p2align	8
	.type	_ZN7rocprim17ROCPRIM_400000_NS6detail17trampoline_kernelINS0_14default_configENS1_35adjacent_difference_config_selectorILb1ElEEZNS1_24adjacent_difference_implIS3_Lb1ELb0EPlS7_ZN2at6native12_GLOBAL__N_124unique_dim_cuda_templateIN3c108BFloat16EEESt5tupleIJNS8_6TensorESF_SF_EERKSF_lbbbEUlllE1_EE10hipError_tPvRmT2_T3_mT4_P12ihipStream_tbEUlT_E_NS1_11comp_targetILNS1_3genE3ELNS1_11target_archE908ELNS1_3gpuE7ELNS1_3repE0EEENS1_30default_config_static_selectorELNS0_4arch9wavefront6targetE1EEEvT1_,@function
_ZN7rocprim17ROCPRIM_400000_NS6detail17trampoline_kernelINS0_14default_configENS1_35adjacent_difference_config_selectorILb1ElEEZNS1_24adjacent_difference_implIS3_Lb1ELb0EPlS7_ZN2at6native12_GLOBAL__N_124unique_dim_cuda_templateIN3c108BFloat16EEESt5tupleIJNS8_6TensorESF_SF_EERKSF_lbbbEUlllE1_EE10hipError_tPvRmT2_T3_mT4_P12ihipStream_tbEUlT_E_NS1_11comp_targetILNS1_3genE3ELNS1_11target_archE908ELNS1_3gpuE7ELNS1_3repE0EEENS1_30default_config_static_selectorELNS0_4arch9wavefront6targetE1EEEvT1_: ; @_ZN7rocprim17ROCPRIM_400000_NS6detail17trampoline_kernelINS0_14default_configENS1_35adjacent_difference_config_selectorILb1ElEEZNS1_24adjacent_difference_implIS3_Lb1ELb0EPlS7_ZN2at6native12_GLOBAL__N_124unique_dim_cuda_templateIN3c108BFloat16EEESt5tupleIJNS8_6TensorESF_SF_EERKSF_lbbbEUlllE1_EE10hipError_tPvRmT2_T3_mT4_P12ihipStream_tbEUlT_E_NS1_11comp_targetILNS1_3genE3ELNS1_11target_archE908ELNS1_3gpuE7ELNS1_3repE0EEENS1_30default_config_static_selectorELNS0_4arch9wavefront6targetE1EEEvT1_
; %bb.0:
	.section	.rodata,"a",@progbits
	.p2align	6, 0x0
	.amdhsa_kernel _ZN7rocprim17ROCPRIM_400000_NS6detail17trampoline_kernelINS0_14default_configENS1_35adjacent_difference_config_selectorILb1ElEEZNS1_24adjacent_difference_implIS3_Lb1ELb0EPlS7_ZN2at6native12_GLOBAL__N_124unique_dim_cuda_templateIN3c108BFloat16EEESt5tupleIJNS8_6TensorESF_SF_EERKSF_lbbbEUlllE1_EE10hipError_tPvRmT2_T3_mT4_P12ihipStream_tbEUlT_E_NS1_11comp_targetILNS1_3genE3ELNS1_11target_archE908ELNS1_3gpuE7ELNS1_3repE0EEENS1_30default_config_static_selectorELNS0_4arch9wavefront6targetE1EEEvT1_
		.amdhsa_group_segment_fixed_size 0
		.amdhsa_private_segment_fixed_size 0
		.amdhsa_kernarg_size 64
		.amdhsa_user_sgpr_count 6
		.amdhsa_user_sgpr_private_segment_buffer 1
		.amdhsa_user_sgpr_dispatch_ptr 0
		.amdhsa_user_sgpr_queue_ptr 0
		.amdhsa_user_sgpr_kernarg_segment_ptr 1
		.amdhsa_user_sgpr_dispatch_id 0
		.amdhsa_user_sgpr_flat_scratch_init 0
		.amdhsa_user_sgpr_kernarg_preload_length 0
		.amdhsa_user_sgpr_kernarg_preload_offset 0
		.amdhsa_user_sgpr_private_segment_size 0
		.amdhsa_uses_dynamic_stack 0
		.amdhsa_system_sgpr_private_segment_wavefront_offset 0
		.amdhsa_system_sgpr_workgroup_id_x 1
		.amdhsa_system_sgpr_workgroup_id_y 0
		.amdhsa_system_sgpr_workgroup_id_z 0
		.amdhsa_system_sgpr_workgroup_info 0
		.amdhsa_system_vgpr_workitem_id 0
		.amdhsa_next_free_vgpr 1
		.amdhsa_next_free_sgpr 0
		.amdhsa_accum_offset 4
		.amdhsa_reserve_vcc 0
		.amdhsa_reserve_flat_scratch 0
		.amdhsa_float_round_mode_32 0
		.amdhsa_float_round_mode_16_64 0
		.amdhsa_float_denorm_mode_32 3
		.amdhsa_float_denorm_mode_16_64 3
		.amdhsa_dx10_clamp 1
		.amdhsa_ieee_mode 1
		.amdhsa_fp16_overflow 0
		.amdhsa_tg_split 0
		.amdhsa_exception_fp_ieee_invalid_op 0
		.amdhsa_exception_fp_denorm_src 0
		.amdhsa_exception_fp_ieee_div_zero 0
		.amdhsa_exception_fp_ieee_overflow 0
		.amdhsa_exception_fp_ieee_underflow 0
		.amdhsa_exception_fp_ieee_inexact 0
		.amdhsa_exception_int_div_zero 0
	.end_amdhsa_kernel
	.section	.text._ZN7rocprim17ROCPRIM_400000_NS6detail17trampoline_kernelINS0_14default_configENS1_35adjacent_difference_config_selectorILb1ElEEZNS1_24adjacent_difference_implIS3_Lb1ELb0EPlS7_ZN2at6native12_GLOBAL__N_124unique_dim_cuda_templateIN3c108BFloat16EEESt5tupleIJNS8_6TensorESF_SF_EERKSF_lbbbEUlllE1_EE10hipError_tPvRmT2_T3_mT4_P12ihipStream_tbEUlT_E_NS1_11comp_targetILNS1_3genE3ELNS1_11target_archE908ELNS1_3gpuE7ELNS1_3repE0EEENS1_30default_config_static_selectorELNS0_4arch9wavefront6targetE1EEEvT1_,"axG",@progbits,_ZN7rocprim17ROCPRIM_400000_NS6detail17trampoline_kernelINS0_14default_configENS1_35adjacent_difference_config_selectorILb1ElEEZNS1_24adjacent_difference_implIS3_Lb1ELb0EPlS7_ZN2at6native12_GLOBAL__N_124unique_dim_cuda_templateIN3c108BFloat16EEESt5tupleIJNS8_6TensorESF_SF_EERKSF_lbbbEUlllE1_EE10hipError_tPvRmT2_T3_mT4_P12ihipStream_tbEUlT_E_NS1_11comp_targetILNS1_3genE3ELNS1_11target_archE908ELNS1_3gpuE7ELNS1_3repE0EEENS1_30default_config_static_selectorELNS0_4arch9wavefront6targetE1EEEvT1_,comdat
.Lfunc_end1169:
	.size	_ZN7rocprim17ROCPRIM_400000_NS6detail17trampoline_kernelINS0_14default_configENS1_35adjacent_difference_config_selectorILb1ElEEZNS1_24adjacent_difference_implIS3_Lb1ELb0EPlS7_ZN2at6native12_GLOBAL__N_124unique_dim_cuda_templateIN3c108BFloat16EEESt5tupleIJNS8_6TensorESF_SF_EERKSF_lbbbEUlllE1_EE10hipError_tPvRmT2_T3_mT4_P12ihipStream_tbEUlT_E_NS1_11comp_targetILNS1_3genE3ELNS1_11target_archE908ELNS1_3gpuE7ELNS1_3repE0EEENS1_30default_config_static_selectorELNS0_4arch9wavefront6targetE1EEEvT1_, .Lfunc_end1169-_ZN7rocprim17ROCPRIM_400000_NS6detail17trampoline_kernelINS0_14default_configENS1_35adjacent_difference_config_selectorILb1ElEEZNS1_24adjacent_difference_implIS3_Lb1ELb0EPlS7_ZN2at6native12_GLOBAL__N_124unique_dim_cuda_templateIN3c108BFloat16EEESt5tupleIJNS8_6TensorESF_SF_EERKSF_lbbbEUlllE1_EE10hipError_tPvRmT2_T3_mT4_P12ihipStream_tbEUlT_E_NS1_11comp_targetILNS1_3genE3ELNS1_11target_archE908ELNS1_3gpuE7ELNS1_3repE0EEENS1_30default_config_static_selectorELNS0_4arch9wavefront6targetE1EEEvT1_
                                        ; -- End function
	.section	.AMDGPU.csdata,"",@progbits
; Kernel info:
; codeLenInByte = 0
; NumSgprs: 4
; NumVgprs: 0
; NumAgprs: 0
; TotalNumVgprs: 0
; ScratchSize: 0
; MemoryBound: 0
; FloatMode: 240
; IeeeMode: 1
; LDSByteSize: 0 bytes/workgroup (compile time only)
; SGPRBlocks: 0
; VGPRBlocks: 0
; NumSGPRsForWavesPerEU: 4
; NumVGPRsForWavesPerEU: 1
; AccumOffset: 4
; Occupancy: 8
; WaveLimiterHint : 0
; COMPUTE_PGM_RSRC2:SCRATCH_EN: 0
; COMPUTE_PGM_RSRC2:USER_SGPR: 6
; COMPUTE_PGM_RSRC2:TRAP_HANDLER: 0
; COMPUTE_PGM_RSRC2:TGID_X_EN: 1
; COMPUTE_PGM_RSRC2:TGID_Y_EN: 0
; COMPUTE_PGM_RSRC2:TGID_Z_EN: 0
; COMPUTE_PGM_RSRC2:TIDIG_COMP_CNT: 0
; COMPUTE_PGM_RSRC3_GFX90A:ACCUM_OFFSET: 0
; COMPUTE_PGM_RSRC3_GFX90A:TG_SPLIT: 0
	.section	.text._ZN7rocprim17ROCPRIM_400000_NS6detail17trampoline_kernelINS0_14default_configENS1_35adjacent_difference_config_selectorILb1ElEEZNS1_24adjacent_difference_implIS3_Lb1ELb0EPlS7_ZN2at6native12_GLOBAL__N_124unique_dim_cuda_templateIN3c108BFloat16EEESt5tupleIJNS8_6TensorESF_SF_EERKSF_lbbbEUlllE1_EE10hipError_tPvRmT2_T3_mT4_P12ihipStream_tbEUlT_E_NS1_11comp_targetILNS1_3genE2ELNS1_11target_archE906ELNS1_3gpuE6ELNS1_3repE0EEENS1_30default_config_static_selectorELNS0_4arch9wavefront6targetE1EEEvT1_,"axG",@progbits,_ZN7rocprim17ROCPRIM_400000_NS6detail17trampoline_kernelINS0_14default_configENS1_35adjacent_difference_config_selectorILb1ElEEZNS1_24adjacent_difference_implIS3_Lb1ELb0EPlS7_ZN2at6native12_GLOBAL__N_124unique_dim_cuda_templateIN3c108BFloat16EEESt5tupleIJNS8_6TensorESF_SF_EERKSF_lbbbEUlllE1_EE10hipError_tPvRmT2_T3_mT4_P12ihipStream_tbEUlT_E_NS1_11comp_targetILNS1_3genE2ELNS1_11target_archE906ELNS1_3gpuE6ELNS1_3repE0EEENS1_30default_config_static_selectorELNS0_4arch9wavefront6targetE1EEEvT1_,comdat
	.globl	_ZN7rocprim17ROCPRIM_400000_NS6detail17trampoline_kernelINS0_14default_configENS1_35adjacent_difference_config_selectorILb1ElEEZNS1_24adjacent_difference_implIS3_Lb1ELb0EPlS7_ZN2at6native12_GLOBAL__N_124unique_dim_cuda_templateIN3c108BFloat16EEESt5tupleIJNS8_6TensorESF_SF_EERKSF_lbbbEUlllE1_EE10hipError_tPvRmT2_T3_mT4_P12ihipStream_tbEUlT_E_NS1_11comp_targetILNS1_3genE2ELNS1_11target_archE906ELNS1_3gpuE6ELNS1_3repE0EEENS1_30default_config_static_selectorELNS0_4arch9wavefront6targetE1EEEvT1_ ; -- Begin function _ZN7rocprim17ROCPRIM_400000_NS6detail17trampoline_kernelINS0_14default_configENS1_35adjacent_difference_config_selectorILb1ElEEZNS1_24adjacent_difference_implIS3_Lb1ELb0EPlS7_ZN2at6native12_GLOBAL__N_124unique_dim_cuda_templateIN3c108BFloat16EEESt5tupleIJNS8_6TensorESF_SF_EERKSF_lbbbEUlllE1_EE10hipError_tPvRmT2_T3_mT4_P12ihipStream_tbEUlT_E_NS1_11comp_targetILNS1_3genE2ELNS1_11target_archE906ELNS1_3gpuE6ELNS1_3repE0EEENS1_30default_config_static_selectorELNS0_4arch9wavefront6targetE1EEEvT1_
	.p2align	8
	.type	_ZN7rocprim17ROCPRIM_400000_NS6detail17trampoline_kernelINS0_14default_configENS1_35adjacent_difference_config_selectorILb1ElEEZNS1_24adjacent_difference_implIS3_Lb1ELb0EPlS7_ZN2at6native12_GLOBAL__N_124unique_dim_cuda_templateIN3c108BFloat16EEESt5tupleIJNS8_6TensorESF_SF_EERKSF_lbbbEUlllE1_EE10hipError_tPvRmT2_T3_mT4_P12ihipStream_tbEUlT_E_NS1_11comp_targetILNS1_3genE2ELNS1_11target_archE906ELNS1_3gpuE6ELNS1_3repE0EEENS1_30default_config_static_selectorELNS0_4arch9wavefront6targetE1EEEvT1_,@function
_ZN7rocprim17ROCPRIM_400000_NS6detail17trampoline_kernelINS0_14default_configENS1_35adjacent_difference_config_selectorILb1ElEEZNS1_24adjacent_difference_implIS3_Lb1ELb0EPlS7_ZN2at6native12_GLOBAL__N_124unique_dim_cuda_templateIN3c108BFloat16EEESt5tupleIJNS8_6TensorESF_SF_EERKSF_lbbbEUlllE1_EE10hipError_tPvRmT2_T3_mT4_P12ihipStream_tbEUlT_E_NS1_11comp_targetILNS1_3genE2ELNS1_11target_archE906ELNS1_3gpuE6ELNS1_3repE0EEENS1_30default_config_static_selectorELNS0_4arch9wavefront6targetE1EEEvT1_: ; @_ZN7rocprim17ROCPRIM_400000_NS6detail17trampoline_kernelINS0_14default_configENS1_35adjacent_difference_config_selectorILb1ElEEZNS1_24adjacent_difference_implIS3_Lb1ELb0EPlS7_ZN2at6native12_GLOBAL__N_124unique_dim_cuda_templateIN3c108BFloat16EEESt5tupleIJNS8_6TensorESF_SF_EERKSF_lbbbEUlllE1_EE10hipError_tPvRmT2_T3_mT4_P12ihipStream_tbEUlT_E_NS1_11comp_targetILNS1_3genE2ELNS1_11target_archE906ELNS1_3gpuE6ELNS1_3repE0EEENS1_30default_config_static_selectorELNS0_4arch9wavefront6targetE1EEEvT1_
; %bb.0:
	.section	.rodata,"a",@progbits
	.p2align	6, 0x0
	.amdhsa_kernel _ZN7rocprim17ROCPRIM_400000_NS6detail17trampoline_kernelINS0_14default_configENS1_35adjacent_difference_config_selectorILb1ElEEZNS1_24adjacent_difference_implIS3_Lb1ELb0EPlS7_ZN2at6native12_GLOBAL__N_124unique_dim_cuda_templateIN3c108BFloat16EEESt5tupleIJNS8_6TensorESF_SF_EERKSF_lbbbEUlllE1_EE10hipError_tPvRmT2_T3_mT4_P12ihipStream_tbEUlT_E_NS1_11comp_targetILNS1_3genE2ELNS1_11target_archE906ELNS1_3gpuE6ELNS1_3repE0EEENS1_30default_config_static_selectorELNS0_4arch9wavefront6targetE1EEEvT1_
		.amdhsa_group_segment_fixed_size 0
		.amdhsa_private_segment_fixed_size 0
		.amdhsa_kernarg_size 64
		.amdhsa_user_sgpr_count 6
		.amdhsa_user_sgpr_private_segment_buffer 1
		.amdhsa_user_sgpr_dispatch_ptr 0
		.amdhsa_user_sgpr_queue_ptr 0
		.amdhsa_user_sgpr_kernarg_segment_ptr 1
		.amdhsa_user_sgpr_dispatch_id 0
		.amdhsa_user_sgpr_flat_scratch_init 0
		.amdhsa_user_sgpr_kernarg_preload_length 0
		.amdhsa_user_sgpr_kernarg_preload_offset 0
		.amdhsa_user_sgpr_private_segment_size 0
		.amdhsa_uses_dynamic_stack 0
		.amdhsa_system_sgpr_private_segment_wavefront_offset 0
		.amdhsa_system_sgpr_workgroup_id_x 1
		.amdhsa_system_sgpr_workgroup_id_y 0
		.amdhsa_system_sgpr_workgroup_id_z 0
		.amdhsa_system_sgpr_workgroup_info 0
		.amdhsa_system_vgpr_workitem_id 0
		.amdhsa_next_free_vgpr 1
		.amdhsa_next_free_sgpr 0
		.amdhsa_accum_offset 4
		.amdhsa_reserve_vcc 0
		.amdhsa_reserve_flat_scratch 0
		.amdhsa_float_round_mode_32 0
		.amdhsa_float_round_mode_16_64 0
		.amdhsa_float_denorm_mode_32 3
		.amdhsa_float_denorm_mode_16_64 3
		.amdhsa_dx10_clamp 1
		.amdhsa_ieee_mode 1
		.amdhsa_fp16_overflow 0
		.amdhsa_tg_split 0
		.amdhsa_exception_fp_ieee_invalid_op 0
		.amdhsa_exception_fp_denorm_src 0
		.amdhsa_exception_fp_ieee_div_zero 0
		.amdhsa_exception_fp_ieee_overflow 0
		.amdhsa_exception_fp_ieee_underflow 0
		.amdhsa_exception_fp_ieee_inexact 0
		.amdhsa_exception_int_div_zero 0
	.end_amdhsa_kernel
	.section	.text._ZN7rocprim17ROCPRIM_400000_NS6detail17trampoline_kernelINS0_14default_configENS1_35adjacent_difference_config_selectorILb1ElEEZNS1_24adjacent_difference_implIS3_Lb1ELb0EPlS7_ZN2at6native12_GLOBAL__N_124unique_dim_cuda_templateIN3c108BFloat16EEESt5tupleIJNS8_6TensorESF_SF_EERKSF_lbbbEUlllE1_EE10hipError_tPvRmT2_T3_mT4_P12ihipStream_tbEUlT_E_NS1_11comp_targetILNS1_3genE2ELNS1_11target_archE906ELNS1_3gpuE6ELNS1_3repE0EEENS1_30default_config_static_selectorELNS0_4arch9wavefront6targetE1EEEvT1_,"axG",@progbits,_ZN7rocprim17ROCPRIM_400000_NS6detail17trampoline_kernelINS0_14default_configENS1_35adjacent_difference_config_selectorILb1ElEEZNS1_24adjacent_difference_implIS3_Lb1ELb0EPlS7_ZN2at6native12_GLOBAL__N_124unique_dim_cuda_templateIN3c108BFloat16EEESt5tupleIJNS8_6TensorESF_SF_EERKSF_lbbbEUlllE1_EE10hipError_tPvRmT2_T3_mT4_P12ihipStream_tbEUlT_E_NS1_11comp_targetILNS1_3genE2ELNS1_11target_archE906ELNS1_3gpuE6ELNS1_3repE0EEENS1_30default_config_static_selectorELNS0_4arch9wavefront6targetE1EEEvT1_,comdat
.Lfunc_end1170:
	.size	_ZN7rocprim17ROCPRIM_400000_NS6detail17trampoline_kernelINS0_14default_configENS1_35adjacent_difference_config_selectorILb1ElEEZNS1_24adjacent_difference_implIS3_Lb1ELb0EPlS7_ZN2at6native12_GLOBAL__N_124unique_dim_cuda_templateIN3c108BFloat16EEESt5tupleIJNS8_6TensorESF_SF_EERKSF_lbbbEUlllE1_EE10hipError_tPvRmT2_T3_mT4_P12ihipStream_tbEUlT_E_NS1_11comp_targetILNS1_3genE2ELNS1_11target_archE906ELNS1_3gpuE6ELNS1_3repE0EEENS1_30default_config_static_selectorELNS0_4arch9wavefront6targetE1EEEvT1_, .Lfunc_end1170-_ZN7rocprim17ROCPRIM_400000_NS6detail17trampoline_kernelINS0_14default_configENS1_35adjacent_difference_config_selectorILb1ElEEZNS1_24adjacent_difference_implIS3_Lb1ELb0EPlS7_ZN2at6native12_GLOBAL__N_124unique_dim_cuda_templateIN3c108BFloat16EEESt5tupleIJNS8_6TensorESF_SF_EERKSF_lbbbEUlllE1_EE10hipError_tPvRmT2_T3_mT4_P12ihipStream_tbEUlT_E_NS1_11comp_targetILNS1_3genE2ELNS1_11target_archE906ELNS1_3gpuE6ELNS1_3repE0EEENS1_30default_config_static_selectorELNS0_4arch9wavefront6targetE1EEEvT1_
                                        ; -- End function
	.section	.AMDGPU.csdata,"",@progbits
; Kernel info:
; codeLenInByte = 0
; NumSgprs: 4
; NumVgprs: 0
; NumAgprs: 0
; TotalNumVgprs: 0
; ScratchSize: 0
; MemoryBound: 0
; FloatMode: 240
; IeeeMode: 1
; LDSByteSize: 0 bytes/workgroup (compile time only)
; SGPRBlocks: 0
; VGPRBlocks: 0
; NumSGPRsForWavesPerEU: 4
; NumVGPRsForWavesPerEU: 1
; AccumOffset: 4
; Occupancy: 8
; WaveLimiterHint : 0
; COMPUTE_PGM_RSRC2:SCRATCH_EN: 0
; COMPUTE_PGM_RSRC2:USER_SGPR: 6
; COMPUTE_PGM_RSRC2:TRAP_HANDLER: 0
; COMPUTE_PGM_RSRC2:TGID_X_EN: 1
; COMPUTE_PGM_RSRC2:TGID_Y_EN: 0
; COMPUTE_PGM_RSRC2:TGID_Z_EN: 0
; COMPUTE_PGM_RSRC2:TIDIG_COMP_CNT: 0
; COMPUTE_PGM_RSRC3_GFX90A:ACCUM_OFFSET: 0
; COMPUTE_PGM_RSRC3_GFX90A:TG_SPLIT: 0
	.section	.text._ZN7rocprim17ROCPRIM_400000_NS6detail17trampoline_kernelINS0_14default_configENS1_35adjacent_difference_config_selectorILb1ElEEZNS1_24adjacent_difference_implIS3_Lb1ELb0EPlS7_ZN2at6native12_GLOBAL__N_124unique_dim_cuda_templateIN3c108BFloat16EEESt5tupleIJNS8_6TensorESF_SF_EERKSF_lbbbEUlllE1_EE10hipError_tPvRmT2_T3_mT4_P12ihipStream_tbEUlT_E_NS1_11comp_targetILNS1_3genE9ELNS1_11target_archE1100ELNS1_3gpuE3ELNS1_3repE0EEENS1_30default_config_static_selectorELNS0_4arch9wavefront6targetE1EEEvT1_,"axG",@progbits,_ZN7rocprim17ROCPRIM_400000_NS6detail17trampoline_kernelINS0_14default_configENS1_35adjacent_difference_config_selectorILb1ElEEZNS1_24adjacent_difference_implIS3_Lb1ELb0EPlS7_ZN2at6native12_GLOBAL__N_124unique_dim_cuda_templateIN3c108BFloat16EEESt5tupleIJNS8_6TensorESF_SF_EERKSF_lbbbEUlllE1_EE10hipError_tPvRmT2_T3_mT4_P12ihipStream_tbEUlT_E_NS1_11comp_targetILNS1_3genE9ELNS1_11target_archE1100ELNS1_3gpuE3ELNS1_3repE0EEENS1_30default_config_static_selectorELNS0_4arch9wavefront6targetE1EEEvT1_,comdat
	.globl	_ZN7rocprim17ROCPRIM_400000_NS6detail17trampoline_kernelINS0_14default_configENS1_35adjacent_difference_config_selectorILb1ElEEZNS1_24adjacent_difference_implIS3_Lb1ELb0EPlS7_ZN2at6native12_GLOBAL__N_124unique_dim_cuda_templateIN3c108BFloat16EEESt5tupleIJNS8_6TensorESF_SF_EERKSF_lbbbEUlllE1_EE10hipError_tPvRmT2_T3_mT4_P12ihipStream_tbEUlT_E_NS1_11comp_targetILNS1_3genE9ELNS1_11target_archE1100ELNS1_3gpuE3ELNS1_3repE0EEENS1_30default_config_static_selectorELNS0_4arch9wavefront6targetE1EEEvT1_ ; -- Begin function _ZN7rocprim17ROCPRIM_400000_NS6detail17trampoline_kernelINS0_14default_configENS1_35adjacent_difference_config_selectorILb1ElEEZNS1_24adjacent_difference_implIS3_Lb1ELb0EPlS7_ZN2at6native12_GLOBAL__N_124unique_dim_cuda_templateIN3c108BFloat16EEESt5tupleIJNS8_6TensorESF_SF_EERKSF_lbbbEUlllE1_EE10hipError_tPvRmT2_T3_mT4_P12ihipStream_tbEUlT_E_NS1_11comp_targetILNS1_3genE9ELNS1_11target_archE1100ELNS1_3gpuE3ELNS1_3repE0EEENS1_30default_config_static_selectorELNS0_4arch9wavefront6targetE1EEEvT1_
	.p2align	8
	.type	_ZN7rocprim17ROCPRIM_400000_NS6detail17trampoline_kernelINS0_14default_configENS1_35adjacent_difference_config_selectorILb1ElEEZNS1_24adjacent_difference_implIS3_Lb1ELb0EPlS7_ZN2at6native12_GLOBAL__N_124unique_dim_cuda_templateIN3c108BFloat16EEESt5tupleIJNS8_6TensorESF_SF_EERKSF_lbbbEUlllE1_EE10hipError_tPvRmT2_T3_mT4_P12ihipStream_tbEUlT_E_NS1_11comp_targetILNS1_3genE9ELNS1_11target_archE1100ELNS1_3gpuE3ELNS1_3repE0EEENS1_30default_config_static_selectorELNS0_4arch9wavefront6targetE1EEEvT1_,@function
_ZN7rocprim17ROCPRIM_400000_NS6detail17trampoline_kernelINS0_14default_configENS1_35adjacent_difference_config_selectorILb1ElEEZNS1_24adjacent_difference_implIS3_Lb1ELb0EPlS7_ZN2at6native12_GLOBAL__N_124unique_dim_cuda_templateIN3c108BFloat16EEESt5tupleIJNS8_6TensorESF_SF_EERKSF_lbbbEUlllE1_EE10hipError_tPvRmT2_T3_mT4_P12ihipStream_tbEUlT_E_NS1_11comp_targetILNS1_3genE9ELNS1_11target_archE1100ELNS1_3gpuE3ELNS1_3repE0EEENS1_30default_config_static_selectorELNS0_4arch9wavefront6targetE1EEEvT1_: ; @_ZN7rocprim17ROCPRIM_400000_NS6detail17trampoline_kernelINS0_14default_configENS1_35adjacent_difference_config_selectorILb1ElEEZNS1_24adjacent_difference_implIS3_Lb1ELb0EPlS7_ZN2at6native12_GLOBAL__N_124unique_dim_cuda_templateIN3c108BFloat16EEESt5tupleIJNS8_6TensorESF_SF_EERKSF_lbbbEUlllE1_EE10hipError_tPvRmT2_T3_mT4_P12ihipStream_tbEUlT_E_NS1_11comp_targetILNS1_3genE9ELNS1_11target_archE1100ELNS1_3gpuE3ELNS1_3repE0EEENS1_30default_config_static_selectorELNS0_4arch9wavefront6targetE1EEEvT1_
; %bb.0:
	.section	.rodata,"a",@progbits
	.p2align	6, 0x0
	.amdhsa_kernel _ZN7rocprim17ROCPRIM_400000_NS6detail17trampoline_kernelINS0_14default_configENS1_35adjacent_difference_config_selectorILb1ElEEZNS1_24adjacent_difference_implIS3_Lb1ELb0EPlS7_ZN2at6native12_GLOBAL__N_124unique_dim_cuda_templateIN3c108BFloat16EEESt5tupleIJNS8_6TensorESF_SF_EERKSF_lbbbEUlllE1_EE10hipError_tPvRmT2_T3_mT4_P12ihipStream_tbEUlT_E_NS1_11comp_targetILNS1_3genE9ELNS1_11target_archE1100ELNS1_3gpuE3ELNS1_3repE0EEENS1_30default_config_static_selectorELNS0_4arch9wavefront6targetE1EEEvT1_
		.amdhsa_group_segment_fixed_size 0
		.amdhsa_private_segment_fixed_size 0
		.amdhsa_kernarg_size 64
		.amdhsa_user_sgpr_count 6
		.amdhsa_user_sgpr_private_segment_buffer 1
		.amdhsa_user_sgpr_dispatch_ptr 0
		.amdhsa_user_sgpr_queue_ptr 0
		.amdhsa_user_sgpr_kernarg_segment_ptr 1
		.amdhsa_user_sgpr_dispatch_id 0
		.amdhsa_user_sgpr_flat_scratch_init 0
		.amdhsa_user_sgpr_kernarg_preload_length 0
		.amdhsa_user_sgpr_kernarg_preload_offset 0
		.amdhsa_user_sgpr_private_segment_size 0
		.amdhsa_uses_dynamic_stack 0
		.amdhsa_system_sgpr_private_segment_wavefront_offset 0
		.amdhsa_system_sgpr_workgroup_id_x 1
		.amdhsa_system_sgpr_workgroup_id_y 0
		.amdhsa_system_sgpr_workgroup_id_z 0
		.amdhsa_system_sgpr_workgroup_info 0
		.amdhsa_system_vgpr_workitem_id 0
		.amdhsa_next_free_vgpr 1
		.amdhsa_next_free_sgpr 0
		.amdhsa_accum_offset 4
		.amdhsa_reserve_vcc 0
		.amdhsa_reserve_flat_scratch 0
		.amdhsa_float_round_mode_32 0
		.amdhsa_float_round_mode_16_64 0
		.amdhsa_float_denorm_mode_32 3
		.amdhsa_float_denorm_mode_16_64 3
		.amdhsa_dx10_clamp 1
		.amdhsa_ieee_mode 1
		.amdhsa_fp16_overflow 0
		.amdhsa_tg_split 0
		.amdhsa_exception_fp_ieee_invalid_op 0
		.amdhsa_exception_fp_denorm_src 0
		.amdhsa_exception_fp_ieee_div_zero 0
		.amdhsa_exception_fp_ieee_overflow 0
		.amdhsa_exception_fp_ieee_underflow 0
		.amdhsa_exception_fp_ieee_inexact 0
		.amdhsa_exception_int_div_zero 0
	.end_amdhsa_kernel
	.section	.text._ZN7rocprim17ROCPRIM_400000_NS6detail17trampoline_kernelINS0_14default_configENS1_35adjacent_difference_config_selectorILb1ElEEZNS1_24adjacent_difference_implIS3_Lb1ELb0EPlS7_ZN2at6native12_GLOBAL__N_124unique_dim_cuda_templateIN3c108BFloat16EEESt5tupleIJNS8_6TensorESF_SF_EERKSF_lbbbEUlllE1_EE10hipError_tPvRmT2_T3_mT4_P12ihipStream_tbEUlT_E_NS1_11comp_targetILNS1_3genE9ELNS1_11target_archE1100ELNS1_3gpuE3ELNS1_3repE0EEENS1_30default_config_static_selectorELNS0_4arch9wavefront6targetE1EEEvT1_,"axG",@progbits,_ZN7rocprim17ROCPRIM_400000_NS6detail17trampoline_kernelINS0_14default_configENS1_35adjacent_difference_config_selectorILb1ElEEZNS1_24adjacent_difference_implIS3_Lb1ELb0EPlS7_ZN2at6native12_GLOBAL__N_124unique_dim_cuda_templateIN3c108BFloat16EEESt5tupleIJNS8_6TensorESF_SF_EERKSF_lbbbEUlllE1_EE10hipError_tPvRmT2_T3_mT4_P12ihipStream_tbEUlT_E_NS1_11comp_targetILNS1_3genE9ELNS1_11target_archE1100ELNS1_3gpuE3ELNS1_3repE0EEENS1_30default_config_static_selectorELNS0_4arch9wavefront6targetE1EEEvT1_,comdat
.Lfunc_end1171:
	.size	_ZN7rocprim17ROCPRIM_400000_NS6detail17trampoline_kernelINS0_14default_configENS1_35adjacent_difference_config_selectorILb1ElEEZNS1_24adjacent_difference_implIS3_Lb1ELb0EPlS7_ZN2at6native12_GLOBAL__N_124unique_dim_cuda_templateIN3c108BFloat16EEESt5tupleIJNS8_6TensorESF_SF_EERKSF_lbbbEUlllE1_EE10hipError_tPvRmT2_T3_mT4_P12ihipStream_tbEUlT_E_NS1_11comp_targetILNS1_3genE9ELNS1_11target_archE1100ELNS1_3gpuE3ELNS1_3repE0EEENS1_30default_config_static_selectorELNS0_4arch9wavefront6targetE1EEEvT1_, .Lfunc_end1171-_ZN7rocprim17ROCPRIM_400000_NS6detail17trampoline_kernelINS0_14default_configENS1_35adjacent_difference_config_selectorILb1ElEEZNS1_24adjacent_difference_implIS3_Lb1ELb0EPlS7_ZN2at6native12_GLOBAL__N_124unique_dim_cuda_templateIN3c108BFloat16EEESt5tupleIJNS8_6TensorESF_SF_EERKSF_lbbbEUlllE1_EE10hipError_tPvRmT2_T3_mT4_P12ihipStream_tbEUlT_E_NS1_11comp_targetILNS1_3genE9ELNS1_11target_archE1100ELNS1_3gpuE3ELNS1_3repE0EEENS1_30default_config_static_selectorELNS0_4arch9wavefront6targetE1EEEvT1_
                                        ; -- End function
	.section	.AMDGPU.csdata,"",@progbits
; Kernel info:
; codeLenInByte = 0
; NumSgprs: 4
; NumVgprs: 0
; NumAgprs: 0
; TotalNumVgprs: 0
; ScratchSize: 0
; MemoryBound: 0
; FloatMode: 240
; IeeeMode: 1
; LDSByteSize: 0 bytes/workgroup (compile time only)
; SGPRBlocks: 0
; VGPRBlocks: 0
; NumSGPRsForWavesPerEU: 4
; NumVGPRsForWavesPerEU: 1
; AccumOffset: 4
; Occupancy: 8
; WaveLimiterHint : 0
; COMPUTE_PGM_RSRC2:SCRATCH_EN: 0
; COMPUTE_PGM_RSRC2:USER_SGPR: 6
; COMPUTE_PGM_RSRC2:TRAP_HANDLER: 0
; COMPUTE_PGM_RSRC2:TGID_X_EN: 1
; COMPUTE_PGM_RSRC2:TGID_Y_EN: 0
; COMPUTE_PGM_RSRC2:TGID_Z_EN: 0
; COMPUTE_PGM_RSRC2:TIDIG_COMP_CNT: 0
; COMPUTE_PGM_RSRC3_GFX90A:ACCUM_OFFSET: 0
; COMPUTE_PGM_RSRC3_GFX90A:TG_SPLIT: 0
	.section	.text._ZN7rocprim17ROCPRIM_400000_NS6detail17trampoline_kernelINS0_14default_configENS1_35adjacent_difference_config_selectorILb1ElEEZNS1_24adjacent_difference_implIS3_Lb1ELb0EPlS7_ZN2at6native12_GLOBAL__N_124unique_dim_cuda_templateIN3c108BFloat16EEESt5tupleIJNS8_6TensorESF_SF_EERKSF_lbbbEUlllE1_EE10hipError_tPvRmT2_T3_mT4_P12ihipStream_tbEUlT_E_NS1_11comp_targetILNS1_3genE8ELNS1_11target_archE1030ELNS1_3gpuE2ELNS1_3repE0EEENS1_30default_config_static_selectorELNS0_4arch9wavefront6targetE1EEEvT1_,"axG",@progbits,_ZN7rocprim17ROCPRIM_400000_NS6detail17trampoline_kernelINS0_14default_configENS1_35adjacent_difference_config_selectorILb1ElEEZNS1_24adjacent_difference_implIS3_Lb1ELb0EPlS7_ZN2at6native12_GLOBAL__N_124unique_dim_cuda_templateIN3c108BFloat16EEESt5tupleIJNS8_6TensorESF_SF_EERKSF_lbbbEUlllE1_EE10hipError_tPvRmT2_T3_mT4_P12ihipStream_tbEUlT_E_NS1_11comp_targetILNS1_3genE8ELNS1_11target_archE1030ELNS1_3gpuE2ELNS1_3repE0EEENS1_30default_config_static_selectorELNS0_4arch9wavefront6targetE1EEEvT1_,comdat
	.globl	_ZN7rocprim17ROCPRIM_400000_NS6detail17trampoline_kernelINS0_14default_configENS1_35adjacent_difference_config_selectorILb1ElEEZNS1_24adjacent_difference_implIS3_Lb1ELb0EPlS7_ZN2at6native12_GLOBAL__N_124unique_dim_cuda_templateIN3c108BFloat16EEESt5tupleIJNS8_6TensorESF_SF_EERKSF_lbbbEUlllE1_EE10hipError_tPvRmT2_T3_mT4_P12ihipStream_tbEUlT_E_NS1_11comp_targetILNS1_3genE8ELNS1_11target_archE1030ELNS1_3gpuE2ELNS1_3repE0EEENS1_30default_config_static_selectorELNS0_4arch9wavefront6targetE1EEEvT1_ ; -- Begin function _ZN7rocprim17ROCPRIM_400000_NS6detail17trampoline_kernelINS0_14default_configENS1_35adjacent_difference_config_selectorILb1ElEEZNS1_24adjacent_difference_implIS3_Lb1ELb0EPlS7_ZN2at6native12_GLOBAL__N_124unique_dim_cuda_templateIN3c108BFloat16EEESt5tupleIJNS8_6TensorESF_SF_EERKSF_lbbbEUlllE1_EE10hipError_tPvRmT2_T3_mT4_P12ihipStream_tbEUlT_E_NS1_11comp_targetILNS1_3genE8ELNS1_11target_archE1030ELNS1_3gpuE2ELNS1_3repE0EEENS1_30default_config_static_selectorELNS0_4arch9wavefront6targetE1EEEvT1_
	.p2align	8
	.type	_ZN7rocprim17ROCPRIM_400000_NS6detail17trampoline_kernelINS0_14default_configENS1_35adjacent_difference_config_selectorILb1ElEEZNS1_24adjacent_difference_implIS3_Lb1ELb0EPlS7_ZN2at6native12_GLOBAL__N_124unique_dim_cuda_templateIN3c108BFloat16EEESt5tupleIJNS8_6TensorESF_SF_EERKSF_lbbbEUlllE1_EE10hipError_tPvRmT2_T3_mT4_P12ihipStream_tbEUlT_E_NS1_11comp_targetILNS1_3genE8ELNS1_11target_archE1030ELNS1_3gpuE2ELNS1_3repE0EEENS1_30default_config_static_selectorELNS0_4arch9wavefront6targetE1EEEvT1_,@function
_ZN7rocprim17ROCPRIM_400000_NS6detail17trampoline_kernelINS0_14default_configENS1_35adjacent_difference_config_selectorILb1ElEEZNS1_24adjacent_difference_implIS3_Lb1ELb0EPlS7_ZN2at6native12_GLOBAL__N_124unique_dim_cuda_templateIN3c108BFloat16EEESt5tupleIJNS8_6TensorESF_SF_EERKSF_lbbbEUlllE1_EE10hipError_tPvRmT2_T3_mT4_P12ihipStream_tbEUlT_E_NS1_11comp_targetILNS1_3genE8ELNS1_11target_archE1030ELNS1_3gpuE2ELNS1_3repE0EEENS1_30default_config_static_selectorELNS0_4arch9wavefront6targetE1EEEvT1_: ; @_ZN7rocprim17ROCPRIM_400000_NS6detail17trampoline_kernelINS0_14default_configENS1_35adjacent_difference_config_selectorILb1ElEEZNS1_24adjacent_difference_implIS3_Lb1ELb0EPlS7_ZN2at6native12_GLOBAL__N_124unique_dim_cuda_templateIN3c108BFloat16EEESt5tupleIJNS8_6TensorESF_SF_EERKSF_lbbbEUlllE1_EE10hipError_tPvRmT2_T3_mT4_P12ihipStream_tbEUlT_E_NS1_11comp_targetILNS1_3genE8ELNS1_11target_archE1030ELNS1_3gpuE2ELNS1_3repE0EEENS1_30default_config_static_selectorELNS0_4arch9wavefront6targetE1EEEvT1_
; %bb.0:
	.section	.rodata,"a",@progbits
	.p2align	6, 0x0
	.amdhsa_kernel _ZN7rocprim17ROCPRIM_400000_NS6detail17trampoline_kernelINS0_14default_configENS1_35adjacent_difference_config_selectorILb1ElEEZNS1_24adjacent_difference_implIS3_Lb1ELb0EPlS7_ZN2at6native12_GLOBAL__N_124unique_dim_cuda_templateIN3c108BFloat16EEESt5tupleIJNS8_6TensorESF_SF_EERKSF_lbbbEUlllE1_EE10hipError_tPvRmT2_T3_mT4_P12ihipStream_tbEUlT_E_NS1_11comp_targetILNS1_3genE8ELNS1_11target_archE1030ELNS1_3gpuE2ELNS1_3repE0EEENS1_30default_config_static_selectorELNS0_4arch9wavefront6targetE1EEEvT1_
		.amdhsa_group_segment_fixed_size 0
		.amdhsa_private_segment_fixed_size 0
		.amdhsa_kernarg_size 64
		.amdhsa_user_sgpr_count 6
		.amdhsa_user_sgpr_private_segment_buffer 1
		.amdhsa_user_sgpr_dispatch_ptr 0
		.amdhsa_user_sgpr_queue_ptr 0
		.amdhsa_user_sgpr_kernarg_segment_ptr 1
		.amdhsa_user_sgpr_dispatch_id 0
		.amdhsa_user_sgpr_flat_scratch_init 0
		.amdhsa_user_sgpr_kernarg_preload_length 0
		.amdhsa_user_sgpr_kernarg_preload_offset 0
		.amdhsa_user_sgpr_private_segment_size 0
		.amdhsa_uses_dynamic_stack 0
		.amdhsa_system_sgpr_private_segment_wavefront_offset 0
		.amdhsa_system_sgpr_workgroup_id_x 1
		.amdhsa_system_sgpr_workgroup_id_y 0
		.amdhsa_system_sgpr_workgroup_id_z 0
		.amdhsa_system_sgpr_workgroup_info 0
		.amdhsa_system_vgpr_workitem_id 0
		.amdhsa_next_free_vgpr 1
		.amdhsa_next_free_sgpr 0
		.amdhsa_accum_offset 4
		.amdhsa_reserve_vcc 0
		.amdhsa_reserve_flat_scratch 0
		.amdhsa_float_round_mode_32 0
		.amdhsa_float_round_mode_16_64 0
		.amdhsa_float_denorm_mode_32 3
		.amdhsa_float_denorm_mode_16_64 3
		.amdhsa_dx10_clamp 1
		.amdhsa_ieee_mode 1
		.amdhsa_fp16_overflow 0
		.amdhsa_tg_split 0
		.amdhsa_exception_fp_ieee_invalid_op 0
		.amdhsa_exception_fp_denorm_src 0
		.amdhsa_exception_fp_ieee_div_zero 0
		.amdhsa_exception_fp_ieee_overflow 0
		.amdhsa_exception_fp_ieee_underflow 0
		.amdhsa_exception_fp_ieee_inexact 0
		.amdhsa_exception_int_div_zero 0
	.end_amdhsa_kernel
	.section	.text._ZN7rocprim17ROCPRIM_400000_NS6detail17trampoline_kernelINS0_14default_configENS1_35adjacent_difference_config_selectorILb1ElEEZNS1_24adjacent_difference_implIS3_Lb1ELb0EPlS7_ZN2at6native12_GLOBAL__N_124unique_dim_cuda_templateIN3c108BFloat16EEESt5tupleIJNS8_6TensorESF_SF_EERKSF_lbbbEUlllE1_EE10hipError_tPvRmT2_T3_mT4_P12ihipStream_tbEUlT_E_NS1_11comp_targetILNS1_3genE8ELNS1_11target_archE1030ELNS1_3gpuE2ELNS1_3repE0EEENS1_30default_config_static_selectorELNS0_4arch9wavefront6targetE1EEEvT1_,"axG",@progbits,_ZN7rocprim17ROCPRIM_400000_NS6detail17trampoline_kernelINS0_14default_configENS1_35adjacent_difference_config_selectorILb1ElEEZNS1_24adjacent_difference_implIS3_Lb1ELb0EPlS7_ZN2at6native12_GLOBAL__N_124unique_dim_cuda_templateIN3c108BFloat16EEESt5tupleIJNS8_6TensorESF_SF_EERKSF_lbbbEUlllE1_EE10hipError_tPvRmT2_T3_mT4_P12ihipStream_tbEUlT_E_NS1_11comp_targetILNS1_3genE8ELNS1_11target_archE1030ELNS1_3gpuE2ELNS1_3repE0EEENS1_30default_config_static_selectorELNS0_4arch9wavefront6targetE1EEEvT1_,comdat
.Lfunc_end1172:
	.size	_ZN7rocprim17ROCPRIM_400000_NS6detail17trampoline_kernelINS0_14default_configENS1_35adjacent_difference_config_selectorILb1ElEEZNS1_24adjacent_difference_implIS3_Lb1ELb0EPlS7_ZN2at6native12_GLOBAL__N_124unique_dim_cuda_templateIN3c108BFloat16EEESt5tupleIJNS8_6TensorESF_SF_EERKSF_lbbbEUlllE1_EE10hipError_tPvRmT2_T3_mT4_P12ihipStream_tbEUlT_E_NS1_11comp_targetILNS1_3genE8ELNS1_11target_archE1030ELNS1_3gpuE2ELNS1_3repE0EEENS1_30default_config_static_selectorELNS0_4arch9wavefront6targetE1EEEvT1_, .Lfunc_end1172-_ZN7rocprim17ROCPRIM_400000_NS6detail17trampoline_kernelINS0_14default_configENS1_35adjacent_difference_config_selectorILb1ElEEZNS1_24adjacent_difference_implIS3_Lb1ELb0EPlS7_ZN2at6native12_GLOBAL__N_124unique_dim_cuda_templateIN3c108BFloat16EEESt5tupleIJNS8_6TensorESF_SF_EERKSF_lbbbEUlllE1_EE10hipError_tPvRmT2_T3_mT4_P12ihipStream_tbEUlT_E_NS1_11comp_targetILNS1_3genE8ELNS1_11target_archE1030ELNS1_3gpuE2ELNS1_3repE0EEENS1_30default_config_static_selectorELNS0_4arch9wavefront6targetE1EEEvT1_
                                        ; -- End function
	.section	.AMDGPU.csdata,"",@progbits
; Kernel info:
; codeLenInByte = 0
; NumSgprs: 4
; NumVgprs: 0
; NumAgprs: 0
; TotalNumVgprs: 0
; ScratchSize: 0
; MemoryBound: 0
; FloatMode: 240
; IeeeMode: 1
; LDSByteSize: 0 bytes/workgroup (compile time only)
; SGPRBlocks: 0
; VGPRBlocks: 0
; NumSGPRsForWavesPerEU: 4
; NumVGPRsForWavesPerEU: 1
; AccumOffset: 4
; Occupancy: 8
; WaveLimiterHint : 0
; COMPUTE_PGM_RSRC2:SCRATCH_EN: 0
; COMPUTE_PGM_RSRC2:USER_SGPR: 6
; COMPUTE_PGM_RSRC2:TRAP_HANDLER: 0
; COMPUTE_PGM_RSRC2:TGID_X_EN: 1
; COMPUTE_PGM_RSRC2:TGID_Y_EN: 0
; COMPUTE_PGM_RSRC2:TGID_Z_EN: 0
; COMPUTE_PGM_RSRC2:TIDIG_COMP_CNT: 0
; COMPUTE_PGM_RSRC3_GFX90A:ACCUM_OFFSET: 0
; COMPUTE_PGM_RSRC3_GFX90A:TG_SPLIT: 0
	.section	.text._ZN7rocprim17ROCPRIM_400000_NS6detail17trampoline_kernelINS0_14default_configENS1_25partition_config_selectorILNS1_17partition_subalgoE8ElNS0_10empty_typeEbEEZZNS1_14partition_implILS5_8ELb0ES3_jPlPS6_PKS6_NS0_5tupleIJS9_S6_EEENSD_IJSA_SA_EEENS0_18inequality_wrapperIZN2at6native12_GLOBAL__N_124unique_dim_cuda_templateIN3c108BFloat16EEESt5tupleIJNSH_6TensorESO_SO_EERKSO_lbbbEUlllE0_EEPmJS6_EEE10hipError_tPvRmT3_T4_T5_T6_T7_T9_mT8_P12ihipStream_tbDpT10_ENKUlT_T0_E_clISt17integral_constantIbLb0EES1E_EEDaS19_S1A_EUlS19_E_NS1_11comp_targetILNS1_3genE0ELNS1_11target_archE4294967295ELNS1_3gpuE0ELNS1_3repE0EEENS1_30default_config_static_selectorELNS0_4arch9wavefront6targetE1EEEvT1_,"axG",@progbits,_ZN7rocprim17ROCPRIM_400000_NS6detail17trampoline_kernelINS0_14default_configENS1_25partition_config_selectorILNS1_17partition_subalgoE8ElNS0_10empty_typeEbEEZZNS1_14partition_implILS5_8ELb0ES3_jPlPS6_PKS6_NS0_5tupleIJS9_S6_EEENSD_IJSA_SA_EEENS0_18inequality_wrapperIZN2at6native12_GLOBAL__N_124unique_dim_cuda_templateIN3c108BFloat16EEESt5tupleIJNSH_6TensorESO_SO_EERKSO_lbbbEUlllE0_EEPmJS6_EEE10hipError_tPvRmT3_T4_T5_T6_T7_T9_mT8_P12ihipStream_tbDpT10_ENKUlT_T0_E_clISt17integral_constantIbLb0EES1E_EEDaS19_S1A_EUlS19_E_NS1_11comp_targetILNS1_3genE0ELNS1_11target_archE4294967295ELNS1_3gpuE0ELNS1_3repE0EEENS1_30default_config_static_selectorELNS0_4arch9wavefront6targetE1EEEvT1_,comdat
	.globl	_ZN7rocprim17ROCPRIM_400000_NS6detail17trampoline_kernelINS0_14default_configENS1_25partition_config_selectorILNS1_17partition_subalgoE8ElNS0_10empty_typeEbEEZZNS1_14partition_implILS5_8ELb0ES3_jPlPS6_PKS6_NS0_5tupleIJS9_S6_EEENSD_IJSA_SA_EEENS0_18inequality_wrapperIZN2at6native12_GLOBAL__N_124unique_dim_cuda_templateIN3c108BFloat16EEESt5tupleIJNSH_6TensorESO_SO_EERKSO_lbbbEUlllE0_EEPmJS6_EEE10hipError_tPvRmT3_T4_T5_T6_T7_T9_mT8_P12ihipStream_tbDpT10_ENKUlT_T0_E_clISt17integral_constantIbLb0EES1E_EEDaS19_S1A_EUlS19_E_NS1_11comp_targetILNS1_3genE0ELNS1_11target_archE4294967295ELNS1_3gpuE0ELNS1_3repE0EEENS1_30default_config_static_selectorELNS0_4arch9wavefront6targetE1EEEvT1_ ; -- Begin function _ZN7rocprim17ROCPRIM_400000_NS6detail17trampoline_kernelINS0_14default_configENS1_25partition_config_selectorILNS1_17partition_subalgoE8ElNS0_10empty_typeEbEEZZNS1_14partition_implILS5_8ELb0ES3_jPlPS6_PKS6_NS0_5tupleIJS9_S6_EEENSD_IJSA_SA_EEENS0_18inequality_wrapperIZN2at6native12_GLOBAL__N_124unique_dim_cuda_templateIN3c108BFloat16EEESt5tupleIJNSH_6TensorESO_SO_EERKSO_lbbbEUlllE0_EEPmJS6_EEE10hipError_tPvRmT3_T4_T5_T6_T7_T9_mT8_P12ihipStream_tbDpT10_ENKUlT_T0_E_clISt17integral_constantIbLb0EES1E_EEDaS19_S1A_EUlS19_E_NS1_11comp_targetILNS1_3genE0ELNS1_11target_archE4294967295ELNS1_3gpuE0ELNS1_3repE0EEENS1_30default_config_static_selectorELNS0_4arch9wavefront6targetE1EEEvT1_
	.p2align	8
	.type	_ZN7rocprim17ROCPRIM_400000_NS6detail17trampoline_kernelINS0_14default_configENS1_25partition_config_selectorILNS1_17partition_subalgoE8ElNS0_10empty_typeEbEEZZNS1_14partition_implILS5_8ELb0ES3_jPlPS6_PKS6_NS0_5tupleIJS9_S6_EEENSD_IJSA_SA_EEENS0_18inequality_wrapperIZN2at6native12_GLOBAL__N_124unique_dim_cuda_templateIN3c108BFloat16EEESt5tupleIJNSH_6TensorESO_SO_EERKSO_lbbbEUlllE0_EEPmJS6_EEE10hipError_tPvRmT3_T4_T5_T6_T7_T9_mT8_P12ihipStream_tbDpT10_ENKUlT_T0_E_clISt17integral_constantIbLb0EES1E_EEDaS19_S1A_EUlS19_E_NS1_11comp_targetILNS1_3genE0ELNS1_11target_archE4294967295ELNS1_3gpuE0ELNS1_3repE0EEENS1_30default_config_static_selectorELNS0_4arch9wavefront6targetE1EEEvT1_,@function
_ZN7rocprim17ROCPRIM_400000_NS6detail17trampoline_kernelINS0_14default_configENS1_25partition_config_selectorILNS1_17partition_subalgoE8ElNS0_10empty_typeEbEEZZNS1_14partition_implILS5_8ELb0ES3_jPlPS6_PKS6_NS0_5tupleIJS9_S6_EEENSD_IJSA_SA_EEENS0_18inequality_wrapperIZN2at6native12_GLOBAL__N_124unique_dim_cuda_templateIN3c108BFloat16EEESt5tupleIJNSH_6TensorESO_SO_EERKSO_lbbbEUlllE0_EEPmJS6_EEE10hipError_tPvRmT3_T4_T5_T6_T7_T9_mT8_P12ihipStream_tbDpT10_ENKUlT_T0_E_clISt17integral_constantIbLb0EES1E_EEDaS19_S1A_EUlS19_E_NS1_11comp_targetILNS1_3genE0ELNS1_11target_archE4294967295ELNS1_3gpuE0ELNS1_3repE0EEENS1_30default_config_static_selectorELNS0_4arch9wavefront6targetE1EEEvT1_: ; @_ZN7rocprim17ROCPRIM_400000_NS6detail17trampoline_kernelINS0_14default_configENS1_25partition_config_selectorILNS1_17partition_subalgoE8ElNS0_10empty_typeEbEEZZNS1_14partition_implILS5_8ELb0ES3_jPlPS6_PKS6_NS0_5tupleIJS9_S6_EEENSD_IJSA_SA_EEENS0_18inequality_wrapperIZN2at6native12_GLOBAL__N_124unique_dim_cuda_templateIN3c108BFloat16EEESt5tupleIJNSH_6TensorESO_SO_EERKSO_lbbbEUlllE0_EEPmJS6_EEE10hipError_tPvRmT3_T4_T5_T6_T7_T9_mT8_P12ihipStream_tbDpT10_ENKUlT_T0_E_clISt17integral_constantIbLb0EES1E_EEDaS19_S1A_EUlS19_E_NS1_11comp_targetILNS1_3genE0ELNS1_11target_archE4294967295ELNS1_3gpuE0ELNS1_3repE0EEENS1_30default_config_static_selectorELNS0_4arch9wavefront6targetE1EEEvT1_
; %bb.0:
	.section	.rodata,"a",@progbits
	.p2align	6, 0x0
	.amdhsa_kernel _ZN7rocprim17ROCPRIM_400000_NS6detail17trampoline_kernelINS0_14default_configENS1_25partition_config_selectorILNS1_17partition_subalgoE8ElNS0_10empty_typeEbEEZZNS1_14partition_implILS5_8ELb0ES3_jPlPS6_PKS6_NS0_5tupleIJS9_S6_EEENSD_IJSA_SA_EEENS0_18inequality_wrapperIZN2at6native12_GLOBAL__N_124unique_dim_cuda_templateIN3c108BFloat16EEESt5tupleIJNSH_6TensorESO_SO_EERKSO_lbbbEUlllE0_EEPmJS6_EEE10hipError_tPvRmT3_T4_T5_T6_T7_T9_mT8_P12ihipStream_tbDpT10_ENKUlT_T0_E_clISt17integral_constantIbLb0EES1E_EEDaS19_S1A_EUlS19_E_NS1_11comp_targetILNS1_3genE0ELNS1_11target_archE4294967295ELNS1_3gpuE0ELNS1_3repE0EEENS1_30default_config_static_selectorELNS0_4arch9wavefront6targetE1EEEvT1_
		.amdhsa_group_segment_fixed_size 0
		.amdhsa_private_segment_fixed_size 0
		.amdhsa_kernarg_size 120
		.amdhsa_user_sgpr_count 6
		.amdhsa_user_sgpr_private_segment_buffer 1
		.amdhsa_user_sgpr_dispatch_ptr 0
		.amdhsa_user_sgpr_queue_ptr 0
		.amdhsa_user_sgpr_kernarg_segment_ptr 1
		.amdhsa_user_sgpr_dispatch_id 0
		.amdhsa_user_sgpr_flat_scratch_init 0
		.amdhsa_user_sgpr_kernarg_preload_length 0
		.amdhsa_user_sgpr_kernarg_preload_offset 0
		.amdhsa_user_sgpr_private_segment_size 0
		.amdhsa_uses_dynamic_stack 0
		.amdhsa_system_sgpr_private_segment_wavefront_offset 0
		.amdhsa_system_sgpr_workgroup_id_x 1
		.amdhsa_system_sgpr_workgroup_id_y 0
		.amdhsa_system_sgpr_workgroup_id_z 0
		.amdhsa_system_sgpr_workgroup_info 0
		.amdhsa_system_vgpr_workitem_id 0
		.amdhsa_next_free_vgpr 1
		.amdhsa_next_free_sgpr 0
		.amdhsa_accum_offset 4
		.amdhsa_reserve_vcc 0
		.amdhsa_reserve_flat_scratch 0
		.amdhsa_float_round_mode_32 0
		.amdhsa_float_round_mode_16_64 0
		.amdhsa_float_denorm_mode_32 3
		.amdhsa_float_denorm_mode_16_64 3
		.amdhsa_dx10_clamp 1
		.amdhsa_ieee_mode 1
		.amdhsa_fp16_overflow 0
		.amdhsa_tg_split 0
		.amdhsa_exception_fp_ieee_invalid_op 0
		.amdhsa_exception_fp_denorm_src 0
		.amdhsa_exception_fp_ieee_div_zero 0
		.amdhsa_exception_fp_ieee_overflow 0
		.amdhsa_exception_fp_ieee_underflow 0
		.amdhsa_exception_fp_ieee_inexact 0
		.amdhsa_exception_int_div_zero 0
	.end_amdhsa_kernel
	.section	.text._ZN7rocprim17ROCPRIM_400000_NS6detail17trampoline_kernelINS0_14default_configENS1_25partition_config_selectorILNS1_17partition_subalgoE8ElNS0_10empty_typeEbEEZZNS1_14partition_implILS5_8ELb0ES3_jPlPS6_PKS6_NS0_5tupleIJS9_S6_EEENSD_IJSA_SA_EEENS0_18inequality_wrapperIZN2at6native12_GLOBAL__N_124unique_dim_cuda_templateIN3c108BFloat16EEESt5tupleIJNSH_6TensorESO_SO_EERKSO_lbbbEUlllE0_EEPmJS6_EEE10hipError_tPvRmT3_T4_T5_T6_T7_T9_mT8_P12ihipStream_tbDpT10_ENKUlT_T0_E_clISt17integral_constantIbLb0EES1E_EEDaS19_S1A_EUlS19_E_NS1_11comp_targetILNS1_3genE0ELNS1_11target_archE4294967295ELNS1_3gpuE0ELNS1_3repE0EEENS1_30default_config_static_selectorELNS0_4arch9wavefront6targetE1EEEvT1_,"axG",@progbits,_ZN7rocprim17ROCPRIM_400000_NS6detail17trampoline_kernelINS0_14default_configENS1_25partition_config_selectorILNS1_17partition_subalgoE8ElNS0_10empty_typeEbEEZZNS1_14partition_implILS5_8ELb0ES3_jPlPS6_PKS6_NS0_5tupleIJS9_S6_EEENSD_IJSA_SA_EEENS0_18inequality_wrapperIZN2at6native12_GLOBAL__N_124unique_dim_cuda_templateIN3c108BFloat16EEESt5tupleIJNSH_6TensorESO_SO_EERKSO_lbbbEUlllE0_EEPmJS6_EEE10hipError_tPvRmT3_T4_T5_T6_T7_T9_mT8_P12ihipStream_tbDpT10_ENKUlT_T0_E_clISt17integral_constantIbLb0EES1E_EEDaS19_S1A_EUlS19_E_NS1_11comp_targetILNS1_3genE0ELNS1_11target_archE4294967295ELNS1_3gpuE0ELNS1_3repE0EEENS1_30default_config_static_selectorELNS0_4arch9wavefront6targetE1EEEvT1_,comdat
.Lfunc_end1173:
	.size	_ZN7rocprim17ROCPRIM_400000_NS6detail17trampoline_kernelINS0_14default_configENS1_25partition_config_selectorILNS1_17partition_subalgoE8ElNS0_10empty_typeEbEEZZNS1_14partition_implILS5_8ELb0ES3_jPlPS6_PKS6_NS0_5tupleIJS9_S6_EEENSD_IJSA_SA_EEENS0_18inequality_wrapperIZN2at6native12_GLOBAL__N_124unique_dim_cuda_templateIN3c108BFloat16EEESt5tupleIJNSH_6TensorESO_SO_EERKSO_lbbbEUlllE0_EEPmJS6_EEE10hipError_tPvRmT3_T4_T5_T6_T7_T9_mT8_P12ihipStream_tbDpT10_ENKUlT_T0_E_clISt17integral_constantIbLb0EES1E_EEDaS19_S1A_EUlS19_E_NS1_11comp_targetILNS1_3genE0ELNS1_11target_archE4294967295ELNS1_3gpuE0ELNS1_3repE0EEENS1_30default_config_static_selectorELNS0_4arch9wavefront6targetE1EEEvT1_, .Lfunc_end1173-_ZN7rocprim17ROCPRIM_400000_NS6detail17trampoline_kernelINS0_14default_configENS1_25partition_config_selectorILNS1_17partition_subalgoE8ElNS0_10empty_typeEbEEZZNS1_14partition_implILS5_8ELb0ES3_jPlPS6_PKS6_NS0_5tupleIJS9_S6_EEENSD_IJSA_SA_EEENS0_18inequality_wrapperIZN2at6native12_GLOBAL__N_124unique_dim_cuda_templateIN3c108BFloat16EEESt5tupleIJNSH_6TensorESO_SO_EERKSO_lbbbEUlllE0_EEPmJS6_EEE10hipError_tPvRmT3_T4_T5_T6_T7_T9_mT8_P12ihipStream_tbDpT10_ENKUlT_T0_E_clISt17integral_constantIbLb0EES1E_EEDaS19_S1A_EUlS19_E_NS1_11comp_targetILNS1_3genE0ELNS1_11target_archE4294967295ELNS1_3gpuE0ELNS1_3repE0EEENS1_30default_config_static_selectorELNS0_4arch9wavefront6targetE1EEEvT1_
                                        ; -- End function
	.section	.AMDGPU.csdata,"",@progbits
; Kernel info:
; codeLenInByte = 0
; NumSgprs: 4
; NumVgprs: 0
; NumAgprs: 0
; TotalNumVgprs: 0
; ScratchSize: 0
; MemoryBound: 0
; FloatMode: 240
; IeeeMode: 1
; LDSByteSize: 0 bytes/workgroup (compile time only)
; SGPRBlocks: 0
; VGPRBlocks: 0
; NumSGPRsForWavesPerEU: 4
; NumVGPRsForWavesPerEU: 1
; AccumOffset: 4
; Occupancy: 8
; WaveLimiterHint : 0
; COMPUTE_PGM_RSRC2:SCRATCH_EN: 0
; COMPUTE_PGM_RSRC2:USER_SGPR: 6
; COMPUTE_PGM_RSRC2:TRAP_HANDLER: 0
; COMPUTE_PGM_RSRC2:TGID_X_EN: 1
; COMPUTE_PGM_RSRC2:TGID_Y_EN: 0
; COMPUTE_PGM_RSRC2:TGID_Z_EN: 0
; COMPUTE_PGM_RSRC2:TIDIG_COMP_CNT: 0
; COMPUTE_PGM_RSRC3_GFX90A:ACCUM_OFFSET: 0
; COMPUTE_PGM_RSRC3_GFX90A:TG_SPLIT: 0
	.section	.text._ZN7rocprim17ROCPRIM_400000_NS6detail17trampoline_kernelINS0_14default_configENS1_25partition_config_selectorILNS1_17partition_subalgoE8ElNS0_10empty_typeEbEEZZNS1_14partition_implILS5_8ELb0ES3_jPlPS6_PKS6_NS0_5tupleIJS9_S6_EEENSD_IJSA_SA_EEENS0_18inequality_wrapperIZN2at6native12_GLOBAL__N_124unique_dim_cuda_templateIN3c108BFloat16EEESt5tupleIJNSH_6TensorESO_SO_EERKSO_lbbbEUlllE0_EEPmJS6_EEE10hipError_tPvRmT3_T4_T5_T6_T7_T9_mT8_P12ihipStream_tbDpT10_ENKUlT_T0_E_clISt17integral_constantIbLb0EES1E_EEDaS19_S1A_EUlS19_E_NS1_11comp_targetILNS1_3genE5ELNS1_11target_archE942ELNS1_3gpuE9ELNS1_3repE0EEENS1_30default_config_static_selectorELNS0_4arch9wavefront6targetE1EEEvT1_,"axG",@progbits,_ZN7rocprim17ROCPRIM_400000_NS6detail17trampoline_kernelINS0_14default_configENS1_25partition_config_selectorILNS1_17partition_subalgoE8ElNS0_10empty_typeEbEEZZNS1_14partition_implILS5_8ELb0ES3_jPlPS6_PKS6_NS0_5tupleIJS9_S6_EEENSD_IJSA_SA_EEENS0_18inequality_wrapperIZN2at6native12_GLOBAL__N_124unique_dim_cuda_templateIN3c108BFloat16EEESt5tupleIJNSH_6TensorESO_SO_EERKSO_lbbbEUlllE0_EEPmJS6_EEE10hipError_tPvRmT3_T4_T5_T6_T7_T9_mT8_P12ihipStream_tbDpT10_ENKUlT_T0_E_clISt17integral_constantIbLb0EES1E_EEDaS19_S1A_EUlS19_E_NS1_11comp_targetILNS1_3genE5ELNS1_11target_archE942ELNS1_3gpuE9ELNS1_3repE0EEENS1_30default_config_static_selectorELNS0_4arch9wavefront6targetE1EEEvT1_,comdat
	.globl	_ZN7rocprim17ROCPRIM_400000_NS6detail17trampoline_kernelINS0_14default_configENS1_25partition_config_selectorILNS1_17partition_subalgoE8ElNS0_10empty_typeEbEEZZNS1_14partition_implILS5_8ELb0ES3_jPlPS6_PKS6_NS0_5tupleIJS9_S6_EEENSD_IJSA_SA_EEENS0_18inequality_wrapperIZN2at6native12_GLOBAL__N_124unique_dim_cuda_templateIN3c108BFloat16EEESt5tupleIJNSH_6TensorESO_SO_EERKSO_lbbbEUlllE0_EEPmJS6_EEE10hipError_tPvRmT3_T4_T5_T6_T7_T9_mT8_P12ihipStream_tbDpT10_ENKUlT_T0_E_clISt17integral_constantIbLb0EES1E_EEDaS19_S1A_EUlS19_E_NS1_11comp_targetILNS1_3genE5ELNS1_11target_archE942ELNS1_3gpuE9ELNS1_3repE0EEENS1_30default_config_static_selectorELNS0_4arch9wavefront6targetE1EEEvT1_ ; -- Begin function _ZN7rocprim17ROCPRIM_400000_NS6detail17trampoline_kernelINS0_14default_configENS1_25partition_config_selectorILNS1_17partition_subalgoE8ElNS0_10empty_typeEbEEZZNS1_14partition_implILS5_8ELb0ES3_jPlPS6_PKS6_NS0_5tupleIJS9_S6_EEENSD_IJSA_SA_EEENS0_18inequality_wrapperIZN2at6native12_GLOBAL__N_124unique_dim_cuda_templateIN3c108BFloat16EEESt5tupleIJNSH_6TensorESO_SO_EERKSO_lbbbEUlllE0_EEPmJS6_EEE10hipError_tPvRmT3_T4_T5_T6_T7_T9_mT8_P12ihipStream_tbDpT10_ENKUlT_T0_E_clISt17integral_constantIbLb0EES1E_EEDaS19_S1A_EUlS19_E_NS1_11comp_targetILNS1_3genE5ELNS1_11target_archE942ELNS1_3gpuE9ELNS1_3repE0EEENS1_30default_config_static_selectorELNS0_4arch9wavefront6targetE1EEEvT1_
	.p2align	8
	.type	_ZN7rocprim17ROCPRIM_400000_NS6detail17trampoline_kernelINS0_14default_configENS1_25partition_config_selectorILNS1_17partition_subalgoE8ElNS0_10empty_typeEbEEZZNS1_14partition_implILS5_8ELb0ES3_jPlPS6_PKS6_NS0_5tupleIJS9_S6_EEENSD_IJSA_SA_EEENS0_18inequality_wrapperIZN2at6native12_GLOBAL__N_124unique_dim_cuda_templateIN3c108BFloat16EEESt5tupleIJNSH_6TensorESO_SO_EERKSO_lbbbEUlllE0_EEPmJS6_EEE10hipError_tPvRmT3_T4_T5_T6_T7_T9_mT8_P12ihipStream_tbDpT10_ENKUlT_T0_E_clISt17integral_constantIbLb0EES1E_EEDaS19_S1A_EUlS19_E_NS1_11comp_targetILNS1_3genE5ELNS1_11target_archE942ELNS1_3gpuE9ELNS1_3repE0EEENS1_30default_config_static_selectorELNS0_4arch9wavefront6targetE1EEEvT1_,@function
_ZN7rocprim17ROCPRIM_400000_NS6detail17trampoline_kernelINS0_14default_configENS1_25partition_config_selectorILNS1_17partition_subalgoE8ElNS0_10empty_typeEbEEZZNS1_14partition_implILS5_8ELb0ES3_jPlPS6_PKS6_NS0_5tupleIJS9_S6_EEENSD_IJSA_SA_EEENS0_18inequality_wrapperIZN2at6native12_GLOBAL__N_124unique_dim_cuda_templateIN3c108BFloat16EEESt5tupleIJNSH_6TensorESO_SO_EERKSO_lbbbEUlllE0_EEPmJS6_EEE10hipError_tPvRmT3_T4_T5_T6_T7_T9_mT8_P12ihipStream_tbDpT10_ENKUlT_T0_E_clISt17integral_constantIbLb0EES1E_EEDaS19_S1A_EUlS19_E_NS1_11comp_targetILNS1_3genE5ELNS1_11target_archE942ELNS1_3gpuE9ELNS1_3repE0EEENS1_30default_config_static_selectorELNS0_4arch9wavefront6targetE1EEEvT1_: ; @_ZN7rocprim17ROCPRIM_400000_NS6detail17trampoline_kernelINS0_14default_configENS1_25partition_config_selectorILNS1_17partition_subalgoE8ElNS0_10empty_typeEbEEZZNS1_14partition_implILS5_8ELb0ES3_jPlPS6_PKS6_NS0_5tupleIJS9_S6_EEENSD_IJSA_SA_EEENS0_18inequality_wrapperIZN2at6native12_GLOBAL__N_124unique_dim_cuda_templateIN3c108BFloat16EEESt5tupleIJNSH_6TensorESO_SO_EERKSO_lbbbEUlllE0_EEPmJS6_EEE10hipError_tPvRmT3_T4_T5_T6_T7_T9_mT8_P12ihipStream_tbDpT10_ENKUlT_T0_E_clISt17integral_constantIbLb0EES1E_EEDaS19_S1A_EUlS19_E_NS1_11comp_targetILNS1_3genE5ELNS1_11target_archE942ELNS1_3gpuE9ELNS1_3repE0EEENS1_30default_config_static_selectorELNS0_4arch9wavefront6targetE1EEEvT1_
; %bb.0:
	.section	.rodata,"a",@progbits
	.p2align	6, 0x0
	.amdhsa_kernel _ZN7rocprim17ROCPRIM_400000_NS6detail17trampoline_kernelINS0_14default_configENS1_25partition_config_selectorILNS1_17partition_subalgoE8ElNS0_10empty_typeEbEEZZNS1_14partition_implILS5_8ELb0ES3_jPlPS6_PKS6_NS0_5tupleIJS9_S6_EEENSD_IJSA_SA_EEENS0_18inequality_wrapperIZN2at6native12_GLOBAL__N_124unique_dim_cuda_templateIN3c108BFloat16EEESt5tupleIJNSH_6TensorESO_SO_EERKSO_lbbbEUlllE0_EEPmJS6_EEE10hipError_tPvRmT3_T4_T5_T6_T7_T9_mT8_P12ihipStream_tbDpT10_ENKUlT_T0_E_clISt17integral_constantIbLb0EES1E_EEDaS19_S1A_EUlS19_E_NS1_11comp_targetILNS1_3genE5ELNS1_11target_archE942ELNS1_3gpuE9ELNS1_3repE0EEENS1_30default_config_static_selectorELNS0_4arch9wavefront6targetE1EEEvT1_
		.amdhsa_group_segment_fixed_size 0
		.amdhsa_private_segment_fixed_size 0
		.amdhsa_kernarg_size 120
		.amdhsa_user_sgpr_count 6
		.amdhsa_user_sgpr_private_segment_buffer 1
		.amdhsa_user_sgpr_dispatch_ptr 0
		.amdhsa_user_sgpr_queue_ptr 0
		.amdhsa_user_sgpr_kernarg_segment_ptr 1
		.amdhsa_user_sgpr_dispatch_id 0
		.amdhsa_user_sgpr_flat_scratch_init 0
		.amdhsa_user_sgpr_kernarg_preload_length 0
		.amdhsa_user_sgpr_kernarg_preload_offset 0
		.amdhsa_user_sgpr_private_segment_size 0
		.amdhsa_uses_dynamic_stack 0
		.amdhsa_system_sgpr_private_segment_wavefront_offset 0
		.amdhsa_system_sgpr_workgroup_id_x 1
		.amdhsa_system_sgpr_workgroup_id_y 0
		.amdhsa_system_sgpr_workgroup_id_z 0
		.amdhsa_system_sgpr_workgroup_info 0
		.amdhsa_system_vgpr_workitem_id 0
		.amdhsa_next_free_vgpr 1
		.amdhsa_next_free_sgpr 0
		.amdhsa_accum_offset 4
		.amdhsa_reserve_vcc 0
		.amdhsa_reserve_flat_scratch 0
		.amdhsa_float_round_mode_32 0
		.amdhsa_float_round_mode_16_64 0
		.amdhsa_float_denorm_mode_32 3
		.amdhsa_float_denorm_mode_16_64 3
		.amdhsa_dx10_clamp 1
		.amdhsa_ieee_mode 1
		.amdhsa_fp16_overflow 0
		.amdhsa_tg_split 0
		.amdhsa_exception_fp_ieee_invalid_op 0
		.amdhsa_exception_fp_denorm_src 0
		.amdhsa_exception_fp_ieee_div_zero 0
		.amdhsa_exception_fp_ieee_overflow 0
		.amdhsa_exception_fp_ieee_underflow 0
		.amdhsa_exception_fp_ieee_inexact 0
		.amdhsa_exception_int_div_zero 0
	.end_amdhsa_kernel
	.section	.text._ZN7rocprim17ROCPRIM_400000_NS6detail17trampoline_kernelINS0_14default_configENS1_25partition_config_selectorILNS1_17partition_subalgoE8ElNS0_10empty_typeEbEEZZNS1_14partition_implILS5_8ELb0ES3_jPlPS6_PKS6_NS0_5tupleIJS9_S6_EEENSD_IJSA_SA_EEENS0_18inequality_wrapperIZN2at6native12_GLOBAL__N_124unique_dim_cuda_templateIN3c108BFloat16EEESt5tupleIJNSH_6TensorESO_SO_EERKSO_lbbbEUlllE0_EEPmJS6_EEE10hipError_tPvRmT3_T4_T5_T6_T7_T9_mT8_P12ihipStream_tbDpT10_ENKUlT_T0_E_clISt17integral_constantIbLb0EES1E_EEDaS19_S1A_EUlS19_E_NS1_11comp_targetILNS1_3genE5ELNS1_11target_archE942ELNS1_3gpuE9ELNS1_3repE0EEENS1_30default_config_static_selectorELNS0_4arch9wavefront6targetE1EEEvT1_,"axG",@progbits,_ZN7rocprim17ROCPRIM_400000_NS6detail17trampoline_kernelINS0_14default_configENS1_25partition_config_selectorILNS1_17partition_subalgoE8ElNS0_10empty_typeEbEEZZNS1_14partition_implILS5_8ELb0ES3_jPlPS6_PKS6_NS0_5tupleIJS9_S6_EEENSD_IJSA_SA_EEENS0_18inequality_wrapperIZN2at6native12_GLOBAL__N_124unique_dim_cuda_templateIN3c108BFloat16EEESt5tupleIJNSH_6TensorESO_SO_EERKSO_lbbbEUlllE0_EEPmJS6_EEE10hipError_tPvRmT3_T4_T5_T6_T7_T9_mT8_P12ihipStream_tbDpT10_ENKUlT_T0_E_clISt17integral_constantIbLb0EES1E_EEDaS19_S1A_EUlS19_E_NS1_11comp_targetILNS1_3genE5ELNS1_11target_archE942ELNS1_3gpuE9ELNS1_3repE0EEENS1_30default_config_static_selectorELNS0_4arch9wavefront6targetE1EEEvT1_,comdat
.Lfunc_end1174:
	.size	_ZN7rocprim17ROCPRIM_400000_NS6detail17trampoline_kernelINS0_14default_configENS1_25partition_config_selectorILNS1_17partition_subalgoE8ElNS0_10empty_typeEbEEZZNS1_14partition_implILS5_8ELb0ES3_jPlPS6_PKS6_NS0_5tupleIJS9_S6_EEENSD_IJSA_SA_EEENS0_18inequality_wrapperIZN2at6native12_GLOBAL__N_124unique_dim_cuda_templateIN3c108BFloat16EEESt5tupleIJNSH_6TensorESO_SO_EERKSO_lbbbEUlllE0_EEPmJS6_EEE10hipError_tPvRmT3_T4_T5_T6_T7_T9_mT8_P12ihipStream_tbDpT10_ENKUlT_T0_E_clISt17integral_constantIbLb0EES1E_EEDaS19_S1A_EUlS19_E_NS1_11comp_targetILNS1_3genE5ELNS1_11target_archE942ELNS1_3gpuE9ELNS1_3repE0EEENS1_30default_config_static_selectorELNS0_4arch9wavefront6targetE1EEEvT1_, .Lfunc_end1174-_ZN7rocprim17ROCPRIM_400000_NS6detail17trampoline_kernelINS0_14default_configENS1_25partition_config_selectorILNS1_17partition_subalgoE8ElNS0_10empty_typeEbEEZZNS1_14partition_implILS5_8ELb0ES3_jPlPS6_PKS6_NS0_5tupleIJS9_S6_EEENSD_IJSA_SA_EEENS0_18inequality_wrapperIZN2at6native12_GLOBAL__N_124unique_dim_cuda_templateIN3c108BFloat16EEESt5tupleIJNSH_6TensorESO_SO_EERKSO_lbbbEUlllE0_EEPmJS6_EEE10hipError_tPvRmT3_T4_T5_T6_T7_T9_mT8_P12ihipStream_tbDpT10_ENKUlT_T0_E_clISt17integral_constantIbLb0EES1E_EEDaS19_S1A_EUlS19_E_NS1_11comp_targetILNS1_3genE5ELNS1_11target_archE942ELNS1_3gpuE9ELNS1_3repE0EEENS1_30default_config_static_selectorELNS0_4arch9wavefront6targetE1EEEvT1_
                                        ; -- End function
	.section	.AMDGPU.csdata,"",@progbits
; Kernel info:
; codeLenInByte = 0
; NumSgprs: 4
; NumVgprs: 0
; NumAgprs: 0
; TotalNumVgprs: 0
; ScratchSize: 0
; MemoryBound: 0
; FloatMode: 240
; IeeeMode: 1
; LDSByteSize: 0 bytes/workgroup (compile time only)
; SGPRBlocks: 0
; VGPRBlocks: 0
; NumSGPRsForWavesPerEU: 4
; NumVGPRsForWavesPerEU: 1
; AccumOffset: 4
; Occupancy: 8
; WaveLimiterHint : 0
; COMPUTE_PGM_RSRC2:SCRATCH_EN: 0
; COMPUTE_PGM_RSRC2:USER_SGPR: 6
; COMPUTE_PGM_RSRC2:TRAP_HANDLER: 0
; COMPUTE_PGM_RSRC2:TGID_X_EN: 1
; COMPUTE_PGM_RSRC2:TGID_Y_EN: 0
; COMPUTE_PGM_RSRC2:TGID_Z_EN: 0
; COMPUTE_PGM_RSRC2:TIDIG_COMP_CNT: 0
; COMPUTE_PGM_RSRC3_GFX90A:ACCUM_OFFSET: 0
; COMPUTE_PGM_RSRC3_GFX90A:TG_SPLIT: 0
	.section	.text._ZN7rocprim17ROCPRIM_400000_NS6detail17trampoline_kernelINS0_14default_configENS1_25partition_config_selectorILNS1_17partition_subalgoE8ElNS0_10empty_typeEbEEZZNS1_14partition_implILS5_8ELb0ES3_jPlPS6_PKS6_NS0_5tupleIJS9_S6_EEENSD_IJSA_SA_EEENS0_18inequality_wrapperIZN2at6native12_GLOBAL__N_124unique_dim_cuda_templateIN3c108BFloat16EEESt5tupleIJNSH_6TensorESO_SO_EERKSO_lbbbEUlllE0_EEPmJS6_EEE10hipError_tPvRmT3_T4_T5_T6_T7_T9_mT8_P12ihipStream_tbDpT10_ENKUlT_T0_E_clISt17integral_constantIbLb0EES1E_EEDaS19_S1A_EUlS19_E_NS1_11comp_targetILNS1_3genE4ELNS1_11target_archE910ELNS1_3gpuE8ELNS1_3repE0EEENS1_30default_config_static_selectorELNS0_4arch9wavefront6targetE1EEEvT1_,"axG",@progbits,_ZN7rocprim17ROCPRIM_400000_NS6detail17trampoline_kernelINS0_14default_configENS1_25partition_config_selectorILNS1_17partition_subalgoE8ElNS0_10empty_typeEbEEZZNS1_14partition_implILS5_8ELb0ES3_jPlPS6_PKS6_NS0_5tupleIJS9_S6_EEENSD_IJSA_SA_EEENS0_18inequality_wrapperIZN2at6native12_GLOBAL__N_124unique_dim_cuda_templateIN3c108BFloat16EEESt5tupleIJNSH_6TensorESO_SO_EERKSO_lbbbEUlllE0_EEPmJS6_EEE10hipError_tPvRmT3_T4_T5_T6_T7_T9_mT8_P12ihipStream_tbDpT10_ENKUlT_T0_E_clISt17integral_constantIbLb0EES1E_EEDaS19_S1A_EUlS19_E_NS1_11comp_targetILNS1_3genE4ELNS1_11target_archE910ELNS1_3gpuE8ELNS1_3repE0EEENS1_30default_config_static_selectorELNS0_4arch9wavefront6targetE1EEEvT1_,comdat
	.globl	_ZN7rocprim17ROCPRIM_400000_NS6detail17trampoline_kernelINS0_14default_configENS1_25partition_config_selectorILNS1_17partition_subalgoE8ElNS0_10empty_typeEbEEZZNS1_14partition_implILS5_8ELb0ES3_jPlPS6_PKS6_NS0_5tupleIJS9_S6_EEENSD_IJSA_SA_EEENS0_18inequality_wrapperIZN2at6native12_GLOBAL__N_124unique_dim_cuda_templateIN3c108BFloat16EEESt5tupleIJNSH_6TensorESO_SO_EERKSO_lbbbEUlllE0_EEPmJS6_EEE10hipError_tPvRmT3_T4_T5_T6_T7_T9_mT8_P12ihipStream_tbDpT10_ENKUlT_T0_E_clISt17integral_constantIbLb0EES1E_EEDaS19_S1A_EUlS19_E_NS1_11comp_targetILNS1_3genE4ELNS1_11target_archE910ELNS1_3gpuE8ELNS1_3repE0EEENS1_30default_config_static_selectorELNS0_4arch9wavefront6targetE1EEEvT1_ ; -- Begin function _ZN7rocprim17ROCPRIM_400000_NS6detail17trampoline_kernelINS0_14default_configENS1_25partition_config_selectorILNS1_17partition_subalgoE8ElNS0_10empty_typeEbEEZZNS1_14partition_implILS5_8ELb0ES3_jPlPS6_PKS6_NS0_5tupleIJS9_S6_EEENSD_IJSA_SA_EEENS0_18inequality_wrapperIZN2at6native12_GLOBAL__N_124unique_dim_cuda_templateIN3c108BFloat16EEESt5tupleIJNSH_6TensorESO_SO_EERKSO_lbbbEUlllE0_EEPmJS6_EEE10hipError_tPvRmT3_T4_T5_T6_T7_T9_mT8_P12ihipStream_tbDpT10_ENKUlT_T0_E_clISt17integral_constantIbLb0EES1E_EEDaS19_S1A_EUlS19_E_NS1_11comp_targetILNS1_3genE4ELNS1_11target_archE910ELNS1_3gpuE8ELNS1_3repE0EEENS1_30default_config_static_selectorELNS0_4arch9wavefront6targetE1EEEvT1_
	.p2align	8
	.type	_ZN7rocprim17ROCPRIM_400000_NS6detail17trampoline_kernelINS0_14default_configENS1_25partition_config_selectorILNS1_17partition_subalgoE8ElNS0_10empty_typeEbEEZZNS1_14partition_implILS5_8ELb0ES3_jPlPS6_PKS6_NS0_5tupleIJS9_S6_EEENSD_IJSA_SA_EEENS0_18inequality_wrapperIZN2at6native12_GLOBAL__N_124unique_dim_cuda_templateIN3c108BFloat16EEESt5tupleIJNSH_6TensorESO_SO_EERKSO_lbbbEUlllE0_EEPmJS6_EEE10hipError_tPvRmT3_T4_T5_T6_T7_T9_mT8_P12ihipStream_tbDpT10_ENKUlT_T0_E_clISt17integral_constantIbLb0EES1E_EEDaS19_S1A_EUlS19_E_NS1_11comp_targetILNS1_3genE4ELNS1_11target_archE910ELNS1_3gpuE8ELNS1_3repE0EEENS1_30default_config_static_selectorELNS0_4arch9wavefront6targetE1EEEvT1_,@function
_ZN7rocprim17ROCPRIM_400000_NS6detail17trampoline_kernelINS0_14default_configENS1_25partition_config_selectorILNS1_17partition_subalgoE8ElNS0_10empty_typeEbEEZZNS1_14partition_implILS5_8ELb0ES3_jPlPS6_PKS6_NS0_5tupleIJS9_S6_EEENSD_IJSA_SA_EEENS0_18inequality_wrapperIZN2at6native12_GLOBAL__N_124unique_dim_cuda_templateIN3c108BFloat16EEESt5tupleIJNSH_6TensorESO_SO_EERKSO_lbbbEUlllE0_EEPmJS6_EEE10hipError_tPvRmT3_T4_T5_T6_T7_T9_mT8_P12ihipStream_tbDpT10_ENKUlT_T0_E_clISt17integral_constantIbLb0EES1E_EEDaS19_S1A_EUlS19_E_NS1_11comp_targetILNS1_3genE4ELNS1_11target_archE910ELNS1_3gpuE8ELNS1_3repE0EEENS1_30default_config_static_selectorELNS0_4arch9wavefront6targetE1EEEvT1_: ; @_ZN7rocprim17ROCPRIM_400000_NS6detail17trampoline_kernelINS0_14default_configENS1_25partition_config_selectorILNS1_17partition_subalgoE8ElNS0_10empty_typeEbEEZZNS1_14partition_implILS5_8ELb0ES3_jPlPS6_PKS6_NS0_5tupleIJS9_S6_EEENSD_IJSA_SA_EEENS0_18inequality_wrapperIZN2at6native12_GLOBAL__N_124unique_dim_cuda_templateIN3c108BFloat16EEESt5tupleIJNSH_6TensorESO_SO_EERKSO_lbbbEUlllE0_EEPmJS6_EEE10hipError_tPvRmT3_T4_T5_T6_T7_T9_mT8_P12ihipStream_tbDpT10_ENKUlT_T0_E_clISt17integral_constantIbLb0EES1E_EEDaS19_S1A_EUlS19_E_NS1_11comp_targetILNS1_3genE4ELNS1_11target_archE910ELNS1_3gpuE8ELNS1_3repE0EEENS1_30default_config_static_selectorELNS0_4arch9wavefront6targetE1EEEvT1_
; %bb.0:
	s_load_dwordx8 s[20:27], s[4:5], 0x40
	s_load_dwordx4 s[0:3], s[4:5], 0x8
	s_load_dwordx4 s[28:31], s[4:5], 0x60
	s_load_dword s7, s[4:5], 0x70
	s_waitcnt lgkmcnt(0)
	v_mov_b32_e32 v2, s24
	s_lshl_b64 s[8:9], s[2:3], 3
	s_add_u32 s12, s0, s8
	s_mul_i32 s8, s7, 0x500
	s_addc_u32 s13, s1, s9
	s_add_i32 s1, s8, s2
	s_add_i32 s10, s7, -1
	s_sub_i32 s7, s24, s1
	s_add_u32 s8, s2, s8
	s_addc_u32 s9, s3, 0
	v_mov_b32_e32 v3, s25
	s_cmp_eq_u32 s6, s10
	s_load_dwordx2 s[22:23], s[22:23], 0x0
	v_cmp_ge_u64_e32 vcc, s[8:9], v[2:3]
	s_cselect_b64 s[24:25], -1, 0
	s_mul_i32 s0, s6, 0x500
	s_mov_b32 s1, 0
	s_and_b64 s[10:11], s[24:25], vcc
	s_xor_b64 s[34:35], s[10:11], -1
	s_lshl_b64 s[0:1], s[0:1], 3
	s_add_u32 s0, s12, s0
	s_mov_b64 s[8:9], -1
	s_addc_u32 s1, s13, s1
	s_and_b64 vcc, exec, s[34:35]
	s_cbranch_vccz .LBB1175_2
; %bb.1:
	v_lshlrev_b32_e32 v1, 3, v0
	v_mov_b32_e32 v2, s1
	v_add_co_u32_e32 v12, vcc, s0, v1
	v_addc_co_u32_e32 v13, vcc, 0, v2, vcc
	v_add_co_u32_e32 v2, vcc, 0x1000, v12
	v_addc_co_u32_e32 v3, vcc, 0, v13, vcc
	global_load_dwordx2 v[4:5], v1, s[0:1]
	global_load_dwordx2 v[6:7], v1, s[0:1] offset:2048
	global_load_dwordx2 v[8:9], v[2:3], off
	global_load_dwordx2 v[10:11], v[2:3], off offset:2048
	v_add_co_u32_e32 v2, vcc, 0x2000, v12
	v_addc_co_u32_e32 v3, vcc, 0, v13, vcc
	global_load_dwordx2 v[2:3], v[2:3], off
	s_mov_b64 s[8:9], 0
	s_waitcnt vmcnt(3)
	ds_write2st64_b64 v1, v[4:5], v[6:7] offset1:4
	s_waitcnt vmcnt(1)
	ds_write2st64_b64 v1, v[8:9], v[10:11] offset0:8 offset1:12
	s_waitcnt vmcnt(0)
	ds_write_b64 v1, v[2:3] offset:8192
	s_waitcnt lgkmcnt(0)
	s_barrier
.LBB1175_2:
	s_andn2_b64 vcc, exec, s[8:9]
	s_addk_i32 s7, 0x500
	s_cbranch_vccnz .LBB1175_14
; %bb.3:
	v_cmp_gt_u32_e32 vcc, s7, v0
                                        ; implicit-def: $vgpr2_vgpr3_vgpr4_vgpr5_vgpr6_vgpr7_vgpr8_vgpr9_vgpr10_vgpr11_vgpr12_vgpr13_vgpr14_vgpr15_vgpr16_vgpr17
	s_and_saveexec_b64 s[8:9], vcc
	s_cbranch_execz .LBB1175_5
; %bb.4:
	v_lshlrev_b32_e32 v1, 3, v0
	global_load_dwordx2 v[2:3], v1, s[0:1]
.LBB1175_5:
	s_or_b64 exec, exec, s[8:9]
	v_or_b32_e32 v1, 0x100, v0
	v_cmp_gt_u32_e32 vcc, s7, v1
	s_and_saveexec_b64 s[8:9], vcc
	s_cbranch_execz .LBB1175_7
; %bb.6:
	v_lshlrev_b32_e32 v1, 3, v0
	global_load_dwordx2 v[4:5], v1, s[0:1] offset:2048
.LBB1175_7:
	s_or_b64 exec, exec, s[8:9]
	v_or_b32_e32 v1, 0x200, v0
	v_cmp_gt_u32_e32 vcc, s7, v1
	s_and_saveexec_b64 s[8:9], vcc
	s_cbranch_execz .LBB1175_9
; %bb.8:
	v_lshlrev_b32_e32 v1, 3, v1
	global_load_dwordx2 v[6:7], v1, s[0:1]
.LBB1175_9:
	s_or_b64 exec, exec, s[8:9]
	v_or_b32_e32 v1, 0x300, v0
	v_cmp_gt_u32_e32 vcc, s7, v1
	s_and_saveexec_b64 s[8:9], vcc
	s_cbranch_execz .LBB1175_11
; %bb.10:
	v_lshlrev_b32_e32 v1, 3, v1
	global_load_dwordx2 v[8:9], v1, s[0:1]
.LBB1175_11:
	;; [unrolled: 9-line block ×3, first 2 shown]
	s_or_b64 exec, exec, s[8:9]
	v_lshlrev_b32_e32 v1, 3, v0
	s_waitcnt vmcnt(0)
	ds_write2st64_b64 v1, v[2:3], v[4:5] offset1:4
	ds_write2st64_b64 v1, v[6:7], v[8:9] offset0:8 offset1:12
	ds_write_b64 v1, v[10:11] offset:8192
	s_waitcnt lgkmcnt(0)
	s_barrier
.LBB1175_14:
	v_mul_u32_u24_e32 v1, 5, v0
	v_lshlrev_b32_e32 v20, 3, v1
	s_waitcnt lgkmcnt(0)
	ds_read2_b64 v[6:9], v20 offset1:1
	ds_read2_b64 v[2:5], v20 offset0:2 offset1:3
	ds_read_b64 v[10:11], v20 offset:32
	s_cmp_lg_u32 s6, 0
	s_cselect_b64 s[16:17], -1, 0
	s_cmp_lg_u64 s[2:3], 0
	s_cselect_b64 s[2:3], -1, 0
	s_or_b64 s[2:3], s[16:17], s[2:3]
	v_mad_u32_u24 v24, v0, 5, 1
	v_mad_u32_u24 v22, v0, 5, 2
	;; [unrolled: 1-line block ×4, first 2 shown]
	s_mov_b64 s[12:13], 0
	s_and_b64 vcc, exec, s[2:3]
	v_cmp_gt_i64_e64 s[2:3], s[26:27], 0
	s_waitcnt lgkmcnt(0)
	s_barrier
	s_cbranch_vccz .LBB1175_23
; %bb.15:
	s_add_u32 s0, s0, -8
	s_addc_u32 s1, s1, -1
	s_load_dwordx2 s[12:13], s[0:1], 0x0
	v_cndmask_b32_e64 v12, 0, 1, s[2:3]
	v_lshlrev_b32_e32 v21, 3, v0
	s_mov_b64 s[14:15], 0
	s_and_b64 vcc, exec, s[34:35]
	v_cmp_ne_u32_e64 s[0:1], 1, v12
	ds_write_b64 v21, v[10:11]
	s_cbranch_vccz .LBB1175_24
; %bb.16:
	v_mul_lo_u32 v14, v5, s26
	v_mul_lo_u32 v15, v4, s27
	v_mad_u64_u32 v[12:13], s[2:3], v4, s26, 0
	v_add3_u32 v13, v13, v15, v14
	s_and_b64 vcc, exec, s[0:1]
	v_lshlrev_b64 v[12:13], 1, v[12:13]
	s_cbranch_vccnz .LBB1175_27
; %bb.17:
	v_mul_lo_u32 v16, v11, s26
	v_mul_lo_u32 v17, v10, s27
	v_mad_u64_u32 v[14:15], s[2:3], v10, s26, 0
	v_add3_u32 v15, v15, v17, v16
	v_mov_b32_e32 v17, s29
	v_add_co_u32_e32 v16, vcc, s28, v12
	v_addc_co_u32_e64 v17, s[2:3], v17, v13, vcc
	v_lshlrev_b64 v[14:15], 1, v[14:15]
	v_mov_b32_e32 v19, s29
	v_add_co_u32_e64 v18, s[2:3], s28, v14
	v_addc_co_u32_e64 v19, s[8:9], v19, v15, s[2:3]
	global_load_ushort v14, v[18:19], off
	global_load_ushort v26, v[16:17], off
	s_mov_b64 s[14:15], -1
	s_waitcnt vmcnt(1)
	v_lshlrev_b32_e32 v14, 16, v14
	s_waitcnt vmcnt(0)
	v_lshlrev_b32_e32 v17, 16, v26
	v_cmp_eq_f32_e64 s[8:9], v17, v14
	s_and_saveexec_b64 s[18:19], s[8:9]
	s_cbranch_execz .LBB1175_26
; %bb.18:
	v_mov_b32_e32 v14, s29
	v_addc_co_u32_e64 v15, s[2:3], v15, v14, s[2:3]
	v_add_co_u32_e64 v14, s[2:3], 2, v18
	v_mov_b32_e32 v17, s29
	v_addc_co_u32_e64 v15, s[2:3], 0, v15, s[2:3]
	v_addc_co_u32_e32 v17, vcc, v13, v17, vcc
	v_add_co_u32_e32 v16, vcc, 2, v16
	s_add_u32 s2, s26, -1
	v_addc_co_u32_e32 v17, vcc, 0, v17, vcc
	s_addc_u32 s3, s27, -1
	s_mov_b64 s[8:9], 0
	s_mov_b64 s[36:37], 0
                                        ; implicit-def: $sgpr14_sgpr15
	s_branch .LBB1175_21
.LBB1175_19:                            ;   in Loop: Header=BB1175_21 Depth=1
	global_load_ushort v18, v[14:15], off
	global_load_ushort v19, v[16:17], off
	v_add_co_u32_e32 v14, vcc, 2, v14
	v_addc_co_u32_e32 v15, vcc, 0, v15, vcc
	v_add_co_u32_e32 v16, vcc, 2, v16
	v_addc_co_u32_e32 v17, vcc, 0, v17, vcc
	s_add_u32 s36, s36, 1
	s_addc_u32 s37, s37, 0
	s_andn2_b64 s[14:15], s[14:15], exec
	s_waitcnt vmcnt(1)
	v_lshlrev_b32_e32 v18, 16, v18
	s_waitcnt vmcnt(0)
	v_lshlrev_b32_e32 v19, 16, v19
	v_cmp_neq_f32_e32 vcc, v19, v18
	s_and_b64 s[38:39], vcc, exec
	s_or_b64 s[14:15], s[14:15], s[38:39]
.LBB1175_20:                            ;   in Loop: Header=BB1175_21 Depth=1
	s_and_b64 s[38:39], exec, s[14:15]
	s_or_b64 s[8:9], s[38:39], s[8:9]
	v_pk_mov_b32 v[18:19], s[36:37], s[36:37] op_sel:[0,1]
	s_andn2_b64 exec, exec, s[8:9]
	s_cbranch_execz .LBB1175_25
.LBB1175_21:                            ; =>This Inner Loop Header: Depth=1
	s_or_b64 s[14:15], s[14:15], exec
	s_cmp_eq_u64 s[2:3], s[36:37]
	s_cbranch_scc0 .LBB1175_19
; %bb.22:                               ;   in Loop: Header=BB1175_21 Depth=1
                                        ; implicit-def: $vgpr14_vgpr15
                                        ; implicit-def: $vgpr16_vgpr17
	s_mov_b64 s[36:37], s[26:27]
	s_branch .LBB1175_20
.LBB1175_23:
                                        ; implicit-def: $sgpr18_sgpr19
                                        ; implicit-def: $vgpr13
                                        ; implicit-def: $vgpr16
	s_branch .LBB1175_125
.LBB1175_24:
                                        ; implicit-def: $sgpr18_sgpr19
                                        ; implicit-def: $vgpr13
                                        ; implicit-def: $vgpr16
	s_cbranch_execnz .LBB1175_66
	s_branch .LBB1175_124
.LBB1175_25:
	s_or_b64 exec, exec, s[8:9]
	v_cmp_gt_i64_e32 vcc, s[26:27], v[18:19]
	s_orn2_b64 s[14:15], vcc, exec
.LBB1175_26:
	s_or_b64 exec, exec, s[18:19]
.LBB1175_27:
	v_mul_lo_u32 v16, v3, s26
	v_mul_lo_u32 v17, v2, s27
	v_mad_u64_u32 v[14:15], s[2:3], v2, s26, 0
	v_add3_u32 v15, v15, v17, v16
	s_mov_b64 s[18:19], 0
	s_and_b64 vcc, exec, s[0:1]
	v_lshlrev_b64 v[16:17], 1, v[14:15]
	s_mov_b64 s[36:37], 0
	s_cbranch_vccnz .LBB1175_36
; %bb.28:
	v_mov_b32_e32 v15, s29
	v_add_co_u32_e32 v14, vcc, s28, v16
	v_addc_co_u32_e64 v15, s[2:3], v15, v17, vcc
	v_mov_b32_e32 v19, s29
	v_add_co_u32_e64 v18, s[2:3], s28, v12
	v_addc_co_u32_e64 v19, s[8:9], v19, v13, s[2:3]
	global_load_ushort v12, v[18:19], off
	global_load_ushort v26, v[14:15], off
	s_mov_b64 s[36:37], -1
	s_waitcnt vmcnt(1)
	v_lshlrev_b32_e32 v12, 16, v12
	s_waitcnt vmcnt(0)
	v_lshlrev_b32_e32 v15, 16, v26
	v_cmp_eq_f32_e64 s[8:9], v15, v12
	s_and_saveexec_b64 s[38:39], s[8:9]
	s_cbranch_execz .LBB1175_35
; %bb.29:
	v_mov_b32_e32 v12, s29
	v_addc_co_u32_e64 v13, s[2:3], v13, v12, s[2:3]
	v_add_co_u32_e64 v12, s[2:3], 2, v18
	v_mov_b32_e32 v15, s29
	v_addc_co_u32_e64 v13, s[2:3], 0, v13, s[2:3]
	v_addc_co_u32_e32 v15, vcc, v17, v15, vcc
	v_add_co_u32_e32 v14, vcc, 2, v14
	s_add_u32 s2, s26, -1
	v_addc_co_u32_e32 v15, vcc, 0, v15, vcc
	s_addc_u32 s3, s27, -1
	s_mov_b64 s[8:9], 0
	s_mov_b64 s[40:41], 0
                                        ; implicit-def: $sgpr36_sgpr37
	s_branch .LBB1175_32
.LBB1175_30:                            ;   in Loop: Header=BB1175_32 Depth=1
	global_load_ushort v18, v[12:13], off
	global_load_ushort v19, v[14:15], off
	v_add_co_u32_e32 v12, vcc, 2, v12
	v_addc_co_u32_e32 v13, vcc, 0, v13, vcc
	v_add_co_u32_e32 v14, vcc, 2, v14
	v_addc_co_u32_e32 v15, vcc, 0, v15, vcc
	s_add_u32 s40, s40, 1
	s_addc_u32 s41, s41, 0
	s_andn2_b64 s[36:37], s[36:37], exec
	s_waitcnt vmcnt(1)
	v_lshlrev_b32_e32 v18, 16, v18
	s_waitcnt vmcnt(0)
	v_lshlrev_b32_e32 v19, 16, v19
	v_cmp_neq_f32_e32 vcc, v19, v18
	s_and_b64 s[42:43], vcc, exec
	s_or_b64 s[36:37], s[36:37], s[42:43]
.LBB1175_31:                            ;   in Loop: Header=BB1175_32 Depth=1
	s_and_b64 s[42:43], exec, s[36:37]
	s_or_b64 s[8:9], s[42:43], s[8:9]
	v_pk_mov_b32 v[18:19], s[40:41], s[40:41] op_sel:[0,1]
	s_andn2_b64 exec, exec, s[8:9]
	s_cbranch_execz .LBB1175_34
.LBB1175_32:                            ; =>This Inner Loop Header: Depth=1
	s_or_b64 s[36:37], s[36:37], exec
	s_cmp_eq_u64 s[2:3], s[40:41]
	s_cbranch_scc0 .LBB1175_30
; %bb.33:                               ;   in Loop: Header=BB1175_32 Depth=1
                                        ; implicit-def: $vgpr12_vgpr13
                                        ; implicit-def: $vgpr14_vgpr15
	s_mov_b64 s[40:41], s[26:27]
	s_branch .LBB1175_31
.LBB1175_34:
	s_or_b64 exec, exec, s[8:9]
	v_cmp_gt_i64_e32 vcc, s[26:27], v[18:19]
	s_orn2_b64 s[36:37], vcc, exec
.LBB1175_35:
	s_or_b64 exec, exec, s[38:39]
.LBB1175_36:
	v_mul_lo_u32 v14, v9, s26
	v_mul_lo_u32 v15, v8, s27
	v_mad_u64_u32 v[12:13], s[2:3], v8, s26, 0
	v_add3_u32 v13, v13, v15, v14
	s_and_b64 vcc, exec, s[0:1]
	v_lshlrev_b64 v[14:15], 1, v[12:13]
	s_cbranch_vccnz .LBB1175_45
; %bb.37:
	v_mov_b32_e32 v12, s29
	v_add_co_u32_e32 v18, vcc, s28, v14
	v_addc_co_u32_e64 v19, s[2:3], v12, v15, vcc
	v_mov_b32_e32 v13, s29
	v_add_co_u32_e64 v12, s[2:3], s28, v16
	v_addc_co_u32_e64 v13, s[8:9], v13, v17, s[2:3]
	global_load_ushort v16, v[12:13], off
	global_load_ushort v26, v[18:19], off
	s_mov_b64 s[18:19], -1
	s_waitcnt vmcnt(1)
	v_lshlrev_b32_e32 v13, 16, v16
	s_waitcnt vmcnt(0)
	v_lshlrev_b32_e32 v16, 16, v26
	v_cmp_eq_f32_e64 s[8:9], v16, v13
	s_and_saveexec_b64 s[38:39], s[8:9]
	s_cbranch_execz .LBB1175_44
; %bb.38:
	v_mov_b32_e32 v13, s29
	v_addc_co_u32_e64 v13, s[2:3], v17, v13, s[2:3]
	v_add_co_u32_e64 v12, s[2:3], 2, v12
	v_mov_b32_e32 v16, s29
	v_addc_co_u32_e64 v13, s[2:3], 0, v13, s[2:3]
	v_addc_co_u32_e32 v17, vcc, v15, v16, vcc
	v_add_co_u32_e32 v16, vcc, 2, v18
	s_add_u32 s2, s26, -1
	v_addc_co_u32_e32 v17, vcc, 0, v17, vcc
	s_addc_u32 s3, s27, -1
	s_mov_b64 s[8:9], 0
	s_mov_b64 s[40:41], 0
                                        ; implicit-def: $sgpr18_sgpr19
	s_branch .LBB1175_41
.LBB1175_39:                            ;   in Loop: Header=BB1175_41 Depth=1
	global_load_ushort v18, v[12:13], off
	global_load_ushort v19, v[16:17], off
	v_add_co_u32_e32 v12, vcc, 2, v12
	v_addc_co_u32_e32 v13, vcc, 0, v13, vcc
	v_add_co_u32_e32 v16, vcc, 2, v16
	v_addc_co_u32_e32 v17, vcc, 0, v17, vcc
	s_add_u32 s40, s40, 1
	s_addc_u32 s41, s41, 0
	s_andn2_b64 s[18:19], s[18:19], exec
	s_waitcnt vmcnt(1)
	v_lshlrev_b32_e32 v18, 16, v18
	s_waitcnt vmcnt(0)
	v_lshlrev_b32_e32 v19, 16, v19
	v_cmp_neq_f32_e32 vcc, v19, v18
	s_and_b64 s[42:43], vcc, exec
	s_or_b64 s[18:19], s[18:19], s[42:43]
.LBB1175_40:                            ;   in Loop: Header=BB1175_41 Depth=1
	s_and_b64 s[42:43], exec, s[18:19]
	s_or_b64 s[8:9], s[42:43], s[8:9]
	v_pk_mov_b32 v[18:19], s[40:41], s[40:41] op_sel:[0,1]
	s_andn2_b64 exec, exec, s[8:9]
	s_cbranch_execz .LBB1175_43
.LBB1175_41:                            ; =>This Inner Loop Header: Depth=1
	s_or_b64 s[18:19], s[18:19], exec
	s_cmp_eq_u64 s[2:3], s[40:41]
	s_cbranch_scc0 .LBB1175_39
; %bb.42:                               ;   in Loop: Header=BB1175_41 Depth=1
                                        ; implicit-def: $vgpr12_vgpr13
                                        ; implicit-def: $vgpr16_vgpr17
	s_mov_b64 s[40:41], s[26:27]
	s_branch .LBB1175_40
.LBB1175_43:
	s_or_b64 exec, exec, s[8:9]
	v_cmp_gt_i64_e32 vcc, s[26:27], v[18:19]
	s_orn2_b64 s[18:19], vcc, exec
.LBB1175_44:
	s_or_b64 exec, exec, s[38:39]
.LBB1175_45:
	v_mul_lo_u32 v16, v7, s26
	v_mul_lo_u32 v17, v6, s27
	v_mad_u64_u32 v[12:13], s[2:3], v6, s26, 0
	v_add3_u32 v13, v13, v17, v16
	s_mov_b64 s[40:41], 0
	s_and_b64 vcc, exec, s[0:1]
	v_lshlrev_b64 v[12:13], 1, v[12:13]
	s_cbranch_vccnz .LBB1175_54
; %bb.46:
	v_mov_b32_e32 v17, s29
	v_add_co_u32_e32 v16, vcc, s28, v12
	v_addc_co_u32_e64 v17, s[2:3], v17, v13, vcc
	v_mov_b32_e32 v19, s29
	v_add_co_u32_e64 v18, s[2:3], s28, v14
	v_addc_co_u32_e64 v19, s[8:9], v19, v15, s[2:3]
	global_load_ushort v14, v[18:19], off
	global_load_ushort v26, v[16:17], off
	s_mov_b64 s[40:41], -1
	s_waitcnt vmcnt(1)
	v_lshlrev_b32_e32 v14, 16, v14
	s_waitcnt vmcnt(0)
	v_lshlrev_b32_e32 v17, 16, v26
	v_cmp_eq_f32_e64 s[8:9], v17, v14
	s_and_saveexec_b64 s[38:39], s[8:9]
	s_cbranch_execz .LBB1175_53
; %bb.47:
	v_mov_b32_e32 v14, s29
	v_addc_co_u32_e64 v15, s[2:3], v15, v14, s[2:3]
	v_add_co_u32_e64 v14, s[2:3], 2, v18
	v_mov_b32_e32 v17, s29
	v_addc_co_u32_e64 v15, s[2:3], 0, v15, s[2:3]
	v_addc_co_u32_e32 v17, vcc, v13, v17, vcc
	v_add_co_u32_e32 v16, vcc, 2, v16
	s_add_u32 s2, s26, -1
	v_addc_co_u32_e32 v17, vcc, 0, v17, vcc
	s_addc_u32 s3, s27, -1
	s_mov_b64 s[8:9], 0
	s_mov_b64 s[42:43], 0
                                        ; implicit-def: $sgpr40_sgpr41
	s_branch .LBB1175_50
.LBB1175_48:                            ;   in Loop: Header=BB1175_50 Depth=1
	global_load_ushort v18, v[14:15], off
	global_load_ushort v19, v[16:17], off
	v_add_co_u32_e32 v14, vcc, 2, v14
	v_addc_co_u32_e32 v15, vcc, 0, v15, vcc
	v_add_co_u32_e32 v16, vcc, 2, v16
	v_addc_co_u32_e32 v17, vcc, 0, v17, vcc
	s_add_u32 s42, s42, 1
	s_addc_u32 s43, s43, 0
	s_andn2_b64 s[40:41], s[40:41], exec
	s_waitcnt vmcnt(1)
	v_lshlrev_b32_e32 v18, 16, v18
	s_waitcnt vmcnt(0)
	v_lshlrev_b32_e32 v19, 16, v19
	v_cmp_neq_f32_e32 vcc, v19, v18
	s_and_b64 s[44:45], vcc, exec
	s_or_b64 s[40:41], s[40:41], s[44:45]
.LBB1175_49:                            ;   in Loop: Header=BB1175_50 Depth=1
	s_and_b64 s[44:45], exec, s[40:41]
	s_or_b64 s[8:9], s[44:45], s[8:9]
	v_pk_mov_b32 v[18:19], s[42:43], s[42:43] op_sel:[0,1]
	s_andn2_b64 exec, exec, s[8:9]
	s_cbranch_execz .LBB1175_52
.LBB1175_50:                            ; =>This Inner Loop Header: Depth=1
	s_or_b64 s[40:41], s[40:41], exec
	s_cmp_eq_u64 s[2:3], s[42:43]
	s_cbranch_scc0 .LBB1175_48
; %bb.51:                               ;   in Loop: Header=BB1175_50 Depth=1
                                        ; implicit-def: $vgpr14_vgpr15
                                        ; implicit-def: $vgpr16_vgpr17
	s_mov_b64 s[42:43], s[26:27]
	s_branch .LBB1175_49
.LBB1175_52:
	s_or_b64 exec, exec, s[8:9]
	v_cmp_gt_i64_e32 vcc, s[26:27], v[18:19]
	s_orn2_b64 s[40:41], vcc, exec
.LBB1175_53:
	s_or_b64 exec, exec, s[38:39]
.LBB1175_54:
	v_cmp_ne_u32_e32 vcc, 0, v0
	s_waitcnt lgkmcnt(0)
	v_pk_mov_b32 v[14:15], s[12:13], s[12:13] op_sel:[0,1]
	s_barrier
	s_and_saveexec_b64 s[2:3], vcc
	s_cbranch_execz .LBB1175_56
; %bb.55:
	v_add_u32_e32 v14, -8, v21
	ds_read_b64 v[14:15], v14
.LBB1175_56:
	s_or_b64 exec, exec, s[2:3]
	v_cndmask_b32_e64 v17, 0, 1, s[36:37]
	v_cndmask_b32_e64 v16, 0, 1, s[18:19]
	;; [unrolled: 1-line block ×3, first 2 shown]
	v_lshlrev_b16_e32 v17, 8, v17
	v_lshlrev_b16_e32 v26, 8, v18
	v_or_b32_sdwa v27, v16, v17 dst_sel:WORD_1 dst_unused:UNUSED_PAD src0_sel:DWORD src1_sel:DWORD
	s_mov_b64 s[36:37], 0
	s_and_b64 vcc, exec, s[0:1]
	s_mov_b64 s[18:19], 0
	s_cbranch_vccnz .LBB1175_65
; %bb.57:
	s_waitcnt lgkmcnt(0)
	v_mul_lo_u32 v16, v15, s26
	v_mul_lo_u32 v17, v14, s27
	v_mad_u64_u32 v[14:15], s[2:3], v14, s26, 0
	v_add3_u32 v15, v15, v17, v16
	v_lshlrev_b64 v[14:15], 1, v[14:15]
	v_mov_b32_e32 v17, s29
	v_add_co_u32_e32 v16, vcc, s28, v14
	v_addc_co_u32_e64 v17, s[2:3], v17, v15, vcc
	v_mov_b32_e32 v14, s29
	v_add_co_u32_e64 v18, s[2:3], s28, v12
	v_addc_co_u32_e64 v19, s[8:9], v14, v13, s[2:3]
	global_load_ushort v12, v[16:17], off
	global_load_ushort v14, v[18:19], off
	s_mov_b64 s[18:19], -1
	s_waitcnt vmcnt(1)
	v_lshlrev_b32_e32 v12, 16, v12
	s_waitcnt vmcnt(0)
	v_lshlrev_b32_e32 v14, 16, v14
	v_cmp_eq_f32_e64 s[8:9], v12, v14
	s_and_saveexec_b64 s[38:39], s[8:9]
	s_cbranch_execz .LBB1175_64
; %bb.58:
	v_mov_b32_e32 v12, s29
	v_addc_co_u32_e64 v13, s[2:3], v13, v12, s[2:3]
	v_add_co_u32_e64 v12, s[2:3], 2, v18
	v_mov_b32_e32 v14, s29
	v_addc_co_u32_e64 v13, s[2:3], 0, v13, s[2:3]
	v_addc_co_u32_e32 v15, vcc, v15, v14, vcc
	v_add_co_u32_e32 v14, vcc, 2, v16
	s_add_u32 s2, s26, -1
	v_addc_co_u32_e32 v15, vcc, 0, v15, vcc
	s_addc_u32 s3, s27, -1
	s_mov_b64 s[8:9], 0
	s_mov_b64 s[40:41], 0
                                        ; implicit-def: $sgpr18_sgpr19
	s_branch .LBB1175_61
.LBB1175_59:                            ;   in Loop: Header=BB1175_61 Depth=1
	global_load_ushort v16, v[12:13], off
	global_load_ushort v17, v[14:15], off
	v_add_co_u32_e32 v12, vcc, 2, v12
	v_addc_co_u32_e32 v13, vcc, 0, v13, vcc
	v_add_co_u32_e32 v14, vcc, 2, v14
	v_addc_co_u32_e32 v15, vcc, 0, v15, vcc
	s_add_u32 s40, s40, 1
	s_addc_u32 s41, s41, 0
	s_andn2_b64 s[18:19], s[18:19], exec
	s_waitcnt vmcnt(1)
	v_lshlrev_b32_e32 v16, 16, v16
	s_waitcnt vmcnt(0)
	v_lshlrev_b32_e32 v17, 16, v17
	v_cmp_neq_f32_e32 vcc, v17, v16
	s_and_b64 s[42:43], vcc, exec
	s_or_b64 s[18:19], s[18:19], s[42:43]
.LBB1175_60:                            ;   in Loop: Header=BB1175_61 Depth=1
	s_and_b64 s[42:43], exec, s[18:19]
	s_or_b64 s[8:9], s[42:43], s[8:9]
	v_pk_mov_b32 v[16:17], s[40:41], s[40:41] op_sel:[0,1]
	s_andn2_b64 exec, exec, s[8:9]
	s_cbranch_execz .LBB1175_63
.LBB1175_61:                            ; =>This Inner Loop Header: Depth=1
	s_or_b64 s[18:19], s[18:19], exec
	s_cmp_eq_u64 s[2:3], s[40:41]
	s_cbranch_scc0 .LBB1175_59
; %bb.62:                               ;   in Loop: Header=BB1175_61 Depth=1
                                        ; implicit-def: $vgpr12_vgpr13
                                        ; implicit-def: $vgpr14_vgpr15
	s_mov_b64 s[40:41], s[26:27]
	s_branch .LBB1175_60
.LBB1175_63:
	s_or_b64 exec, exec, s[8:9]
	v_cmp_gt_i64_e32 vcc, s[26:27], v[16:17]
	s_orn2_b64 s[18:19], vcc, exec
.LBB1175_64:
	s_or_b64 exec, exec, s[38:39]
.LBB1175_65:
	v_cndmask_b32_e64 v13, 0, 1, s[14:15]
	v_or_b32_e32 v16, v26, v27
	s_and_b64 vcc, exec, s[36:37]
	s_cbranch_vccz .LBB1175_124
.LBB1175_66:
	v_cmp_gt_u32_e32 vcc, s7, v23
	s_mov_b64 s[18:19], 0
	s_mov_b64 s[14:15], 0
	s_and_saveexec_b64 s[36:37], vcc
	s_cbranch_execz .LBB1175_77
; %bb.67:
	s_and_b64 vcc, exec, s[0:1]
	s_mov_b64 s[38:39], 0
	s_cbranch_vccnz .LBB1175_76
; %bb.68:
	s_waitcnt lgkmcnt(0)
	v_mul_lo_u32 v14, v5, s26
	v_mul_lo_u32 v15, v4, s27
	v_mad_u64_u32 v[12:13], s[2:3], v4, s26, 0
	v_add3_u32 v13, v13, v15, v14
	v_mul_lo_u32 v14, v11, s26
	v_mul_lo_u32 v15, v10, s27
	v_mad_u64_u32 v[18:19], s[2:3], v10, s26, 0
	v_add3_u32 v19, v19, v15, v14
	v_lshlrev_b64 v[14:15], 1, v[12:13]
	v_mov_b32_e32 v12, s29
	v_add_co_u32_e32 v16, vcc, s28, v14
	v_addc_co_u32_e64 v17, s[2:3], v12, v15, vcc
	v_lshlrev_b64 v[12:13], 1, v[18:19]
	v_mov_b32_e32 v14, s29
	v_add_co_u32_e64 v18, s[2:3], s28, v12
	v_addc_co_u32_e64 v19, s[8:9], v14, v13, s[2:3]
	global_load_ushort v12, v[18:19], off
	global_load_ushort v14, v[16:17], off
	s_mov_b64 s[38:39], -1
	s_waitcnt vmcnt(1)
	v_lshlrev_b32_e32 v12, 16, v12
	s_waitcnt vmcnt(0)
	v_lshlrev_b32_e32 v14, 16, v14
	v_cmp_eq_f32_e64 s[8:9], v14, v12
	s_and_saveexec_b64 s[14:15], s[8:9]
	s_cbranch_execz .LBB1175_75
; %bb.69:
	v_mov_b32_e32 v12, s29
	v_addc_co_u32_e64 v13, s[2:3], v13, v12, s[2:3]
	v_add_co_u32_e64 v12, s[2:3], 2, v18
	v_mov_b32_e32 v14, s29
	v_addc_co_u32_e64 v13, s[2:3], 0, v13, s[2:3]
	v_addc_co_u32_e32 v15, vcc, v15, v14, vcc
	v_add_co_u32_e32 v14, vcc, 2, v16
	s_add_u32 s2, s26, -1
	v_addc_co_u32_e32 v15, vcc, 0, v15, vcc
	s_addc_u32 s3, s27, -1
	s_mov_b64 s[8:9], 0
	s_mov_b64 s[40:41], 0
                                        ; implicit-def: $sgpr38_sgpr39
	s_branch .LBB1175_72
.LBB1175_70:                            ;   in Loop: Header=BB1175_72 Depth=1
	global_load_ushort v16, v[12:13], off
	global_load_ushort v17, v[14:15], off
	v_add_co_u32_e32 v12, vcc, 2, v12
	v_addc_co_u32_e32 v13, vcc, 0, v13, vcc
	v_add_co_u32_e32 v14, vcc, 2, v14
	v_addc_co_u32_e32 v15, vcc, 0, v15, vcc
	s_add_u32 s40, s40, 1
	s_addc_u32 s41, s41, 0
	s_andn2_b64 s[38:39], s[38:39], exec
	s_waitcnt vmcnt(1)
	v_lshlrev_b32_e32 v16, 16, v16
	s_waitcnt vmcnt(0)
	v_lshlrev_b32_e32 v17, 16, v17
	v_cmp_neq_f32_e32 vcc, v17, v16
	s_and_b64 s[42:43], vcc, exec
	s_or_b64 s[38:39], s[38:39], s[42:43]
.LBB1175_71:                            ;   in Loop: Header=BB1175_72 Depth=1
	s_and_b64 s[42:43], exec, s[38:39]
	s_or_b64 s[8:9], s[42:43], s[8:9]
	v_pk_mov_b32 v[16:17], s[40:41], s[40:41] op_sel:[0,1]
	s_andn2_b64 exec, exec, s[8:9]
	s_cbranch_execz .LBB1175_74
.LBB1175_72:                            ; =>This Inner Loop Header: Depth=1
	s_or_b64 s[38:39], s[38:39], exec
	s_cmp_eq_u64 s[2:3], s[40:41]
	s_cbranch_scc0 .LBB1175_70
; %bb.73:                               ;   in Loop: Header=BB1175_72 Depth=1
                                        ; implicit-def: $vgpr12_vgpr13
                                        ; implicit-def: $vgpr14_vgpr15
	s_mov_b64 s[40:41], s[26:27]
	s_branch .LBB1175_71
.LBB1175_74:
	s_or_b64 exec, exec, s[8:9]
	v_cmp_gt_i64_e32 vcc, s[26:27], v[16:17]
	s_orn2_b64 s[38:39], vcc, exec
.LBB1175_75:
	s_or_b64 exec, exec, s[14:15]
.LBB1175_76:
	s_and_b64 s[14:15], s[38:39], exec
.LBB1175_77:
	s_or_b64 exec, exec, s[36:37]
	v_cmp_gt_u32_e32 vcc, s7, v25
	s_and_saveexec_b64 s[36:37], vcc
	s_cbranch_execz .LBB1175_88
; %bb.78:
	s_and_b64 vcc, exec, s[0:1]
	s_mov_b64 s[38:39], 0
	s_cbranch_vccnz .LBB1175_87
; %bb.79:
	s_waitcnt lgkmcnt(0)
	v_mul_lo_u32 v14, v3, s26
	v_mul_lo_u32 v15, v2, s27
	v_mad_u64_u32 v[12:13], s[2:3], v2, s26, 0
	v_add3_u32 v13, v13, v15, v14
	v_mul_lo_u32 v14, v5, s26
	v_mul_lo_u32 v15, v4, s27
	v_mad_u64_u32 v[18:19], s[2:3], v4, s26, 0
	v_add3_u32 v19, v19, v15, v14
	v_lshlrev_b64 v[14:15], 1, v[12:13]
	v_mov_b32_e32 v12, s29
	v_add_co_u32_e32 v16, vcc, s28, v14
	v_addc_co_u32_e64 v17, s[2:3], v12, v15, vcc
	v_lshlrev_b64 v[12:13], 1, v[18:19]
	v_mov_b32_e32 v14, s29
	v_add_co_u32_e64 v18, s[2:3], s28, v12
	v_addc_co_u32_e64 v19, s[8:9], v14, v13, s[2:3]
	global_load_ushort v12, v[18:19], off
	global_load_ushort v14, v[16:17], off
	s_mov_b64 s[38:39], -1
	s_waitcnt vmcnt(1)
	v_lshlrev_b32_e32 v12, 16, v12
	s_waitcnt vmcnt(0)
	v_lshlrev_b32_e32 v14, 16, v14
	v_cmp_eq_f32_e64 s[8:9], v14, v12
	s_and_saveexec_b64 s[18:19], s[8:9]
	s_cbranch_execz .LBB1175_86
; %bb.80:
	v_mov_b32_e32 v12, s29
	v_addc_co_u32_e64 v13, s[2:3], v13, v12, s[2:3]
	v_add_co_u32_e64 v12, s[2:3], 2, v18
	v_mov_b32_e32 v14, s29
	v_addc_co_u32_e64 v13, s[2:3], 0, v13, s[2:3]
	v_addc_co_u32_e32 v15, vcc, v15, v14, vcc
	v_add_co_u32_e32 v14, vcc, 2, v16
	s_add_u32 s2, s26, -1
	v_addc_co_u32_e32 v15, vcc, 0, v15, vcc
	s_addc_u32 s3, s27, -1
	s_mov_b64 s[8:9], 0
	s_mov_b64 s[40:41], 0
                                        ; implicit-def: $sgpr38_sgpr39
	s_branch .LBB1175_83
.LBB1175_81:                            ;   in Loop: Header=BB1175_83 Depth=1
	global_load_ushort v16, v[12:13], off
	global_load_ushort v17, v[14:15], off
	v_add_co_u32_e32 v12, vcc, 2, v12
	v_addc_co_u32_e32 v13, vcc, 0, v13, vcc
	v_add_co_u32_e32 v14, vcc, 2, v14
	v_addc_co_u32_e32 v15, vcc, 0, v15, vcc
	s_add_u32 s40, s40, 1
	s_addc_u32 s41, s41, 0
	s_andn2_b64 s[38:39], s[38:39], exec
	s_waitcnt vmcnt(1)
	v_lshlrev_b32_e32 v16, 16, v16
	s_waitcnt vmcnt(0)
	v_lshlrev_b32_e32 v17, 16, v17
	v_cmp_neq_f32_e32 vcc, v17, v16
	s_and_b64 s[42:43], vcc, exec
	s_or_b64 s[38:39], s[38:39], s[42:43]
.LBB1175_82:                            ;   in Loop: Header=BB1175_83 Depth=1
	s_and_b64 s[42:43], exec, s[38:39]
	s_or_b64 s[8:9], s[42:43], s[8:9]
	v_pk_mov_b32 v[16:17], s[40:41], s[40:41] op_sel:[0,1]
	s_andn2_b64 exec, exec, s[8:9]
	s_cbranch_execz .LBB1175_85
.LBB1175_83:                            ; =>This Inner Loop Header: Depth=1
	s_or_b64 s[38:39], s[38:39], exec
	s_cmp_eq_u64 s[2:3], s[40:41]
	s_cbranch_scc0 .LBB1175_81
; %bb.84:                               ;   in Loop: Header=BB1175_83 Depth=1
                                        ; implicit-def: $vgpr12_vgpr13
                                        ; implicit-def: $vgpr14_vgpr15
	s_mov_b64 s[40:41], s[26:27]
	s_branch .LBB1175_82
.LBB1175_85:
	s_or_b64 exec, exec, s[8:9]
	v_cmp_gt_i64_e32 vcc, s[26:27], v[16:17]
	s_orn2_b64 s[38:39], vcc, exec
.LBB1175_86:
	s_or_b64 exec, exec, s[18:19]
.LBB1175_87:
	s_and_b64 s[18:19], s[38:39], exec
.LBB1175_88:
	s_or_b64 exec, exec, s[36:37]
	v_cmp_gt_u32_e32 vcc, s7, v22
	s_mov_b64 s[36:37], 0
	s_mov_b64 s[38:39], 0
	s_and_saveexec_b64 s[40:41], vcc
	s_cbranch_execz .LBB1175_99
; %bb.89:
	s_and_b64 vcc, exec, s[0:1]
	s_mov_b64 s[42:43], 0
	s_cbranch_vccnz .LBB1175_98
; %bb.90:
	s_waitcnt lgkmcnt(0)
	v_mul_lo_u32 v14, v9, s26
	v_mul_lo_u32 v15, v8, s27
	v_mad_u64_u32 v[12:13], s[2:3], v8, s26, 0
	v_add3_u32 v13, v13, v15, v14
	v_mul_lo_u32 v14, v3, s26
	v_mul_lo_u32 v15, v2, s27
	v_mad_u64_u32 v[18:19], s[2:3], v2, s26, 0
	v_add3_u32 v19, v19, v15, v14
	v_lshlrev_b64 v[14:15], 1, v[12:13]
	v_mov_b32_e32 v12, s29
	v_add_co_u32_e32 v16, vcc, s28, v14
	v_addc_co_u32_e64 v17, s[2:3], v12, v15, vcc
	v_lshlrev_b64 v[12:13], 1, v[18:19]
	v_mov_b32_e32 v14, s29
	v_add_co_u32_e64 v18, s[2:3], s28, v12
	v_addc_co_u32_e64 v19, s[8:9], v14, v13, s[2:3]
	global_load_ushort v12, v[18:19], off
	global_load_ushort v14, v[16:17], off
	s_mov_b64 s[42:43], -1
	s_waitcnt vmcnt(1)
	v_lshlrev_b32_e32 v12, 16, v12
	s_waitcnt vmcnt(0)
	v_lshlrev_b32_e32 v14, 16, v14
	v_cmp_eq_f32_e64 s[8:9], v14, v12
	s_and_saveexec_b64 s[38:39], s[8:9]
	s_cbranch_execz .LBB1175_97
; %bb.91:
	v_mov_b32_e32 v12, s29
	v_addc_co_u32_e64 v13, s[2:3], v13, v12, s[2:3]
	v_add_co_u32_e64 v12, s[2:3], 2, v18
	v_mov_b32_e32 v14, s29
	v_addc_co_u32_e64 v13, s[2:3], 0, v13, s[2:3]
	v_addc_co_u32_e32 v15, vcc, v15, v14, vcc
	v_add_co_u32_e32 v14, vcc, 2, v16
	s_add_u32 s2, s26, -1
	v_addc_co_u32_e32 v15, vcc, 0, v15, vcc
	s_addc_u32 s3, s27, -1
	s_mov_b64 s[8:9], 0
	s_mov_b64 s[44:45], 0
                                        ; implicit-def: $sgpr42_sgpr43
	s_branch .LBB1175_94
.LBB1175_92:                            ;   in Loop: Header=BB1175_94 Depth=1
	global_load_ushort v16, v[12:13], off
	global_load_ushort v17, v[14:15], off
	v_add_co_u32_e32 v12, vcc, 2, v12
	v_addc_co_u32_e32 v13, vcc, 0, v13, vcc
	v_add_co_u32_e32 v14, vcc, 2, v14
	v_addc_co_u32_e32 v15, vcc, 0, v15, vcc
	s_add_u32 s44, s44, 1
	s_addc_u32 s45, s45, 0
	s_andn2_b64 s[42:43], s[42:43], exec
	s_waitcnt vmcnt(1)
	v_lshlrev_b32_e32 v16, 16, v16
	s_waitcnt vmcnt(0)
	v_lshlrev_b32_e32 v17, 16, v17
	v_cmp_neq_f32_e32 vcc, v17, v16
	s_and_b64 s[46:47], vcc, exec
	s_or_b64 s[42:43], s[42:43], s[46:47]
.LBB1175_93:                            ;   in Loop: Header=BB1175_94 Depth=1
	s_and_b64 s[46:47], exec, s[42:43]
	s_or_b64 s[8:9], s[46:47], s[8:9]
	v_pk_mov_b32 v[16:17], s[44:45], s[44:45] op_sel:[0,1]
	s_andn2_b64 exec, exec, s[8:9]
	s_cbranch_execz .LBB1175_96
.LBB1175_94:                            ; =>This Inner Loop Header: Depth=1
	s_or_b64 s[42:43], s[42:43], exec
	s_cmp_eq_u64 s[2:3], s[44:45]
	s_cbranch_scc0 .LBB1175_92
; %bb.95:                               ;   in Loop: Header=BB1175_94 Depth=1
                                        ; implicit-def: $vgpr12_vgpr13
                                        ; implicit-def: $vgpr14_vgpr15
	s_mov_b64 s[44:45], s[26:27]
	s_branch .LBB1175_93
.LBB1175_96:
	s_or_b64 exec, exec, s[8:9]
	v_cmp_gt_i64_e32 vcc, s[26:27], v[16:17]
	s_orn2_b64 s[42:43], vcc, exec
.LBB1175_97:
	s_or_b64 exec, exec, s[38:39]
.LBB1175_98:
	s_and_b64 s[38:39], s[42:43], exec
.LBB1175_99:
	s_or_b64 exec, exec, s[40:41]
	v_cmp_gt_u32_e32 vcc, s7, v24
	s_and_saveexec_b64 s[40:41], vcc
	s_cbranch_execz .LBB1175_110
; %bb.100:
	s_and_b64 vcc, exec, s[0:1]
	s_mov_b64 s[42:43], 0
	s_cbranch_vccnz .LBB1175_109
; %bb.101:
	s_waitcnt lgkmcnt(0)
	v_mul_lo_u32 v14, v7, s26
	v_mul_lo_u32 v15, v6, s27
	v_mad_u64_u32 v[12:13], s[2:3], v6, s26, 0
	v_add3_u32 v13, v13, v15, v14
	v_mul_lo_u32 v14, v9, s26
	v_mul_lo_u32 v15, v8, s27
	v_mad_u64_u32 v[18:19], s[2:3], v8, s26, 0
	v_add3_u32 v19, v19, v15, v14
	v_lshlrev_b64 v[14:15], 1, v[12:13]
	v_mov_b32_e32 v12, s29
	v_add_co_u32_e32 v16, vcc, s28, v14
	v_addc_co_u32_e64 v17, s[2:3], v12, v15, vcc
	v_lshlrev_b64 v[12:13], 1, v[18:19]
	v_mov_b32_e32 v14, s29
	v_add_co_u32_e64 v18, s[2:3], s28, v12
	v_addc_co_u32_e64 v19, s[8:9], v14, v13, s[2:3]
	global_load_ushort v12, v[18:19], off
	global_load_ushort v14, v[16:17], off
	s_mov_b64 s[42:43], -1
	s_waitcnt vmcnt(1)
	v_lshlrev_b32_e32 v12, 16, v12
	s_waitcnt vmcnt(0)
	v_lshlrev_b32_e32 v14, 16, v14
	v_cmp_eq_f32_e64 s[8:9], v14, v12
	s_and_saveexec_b64 s[36:37], s[8:9]
	s_cbranch_execz .LBB1175_108
; %bb.102:
	v_mov_b32_e32 v12, s29
	v_addc_co_u32_e64 v13, s[2:3], v13, v12, s[2:3]
	v_add_co_u32_e64 v12, s[2:3], 2, v18
	v_mov_b32_e32 v14, s29
	v_addc_co_u32_e64 v13, s[2:3], 0, v13, s[2:3]
	v_addc_co_u32_e32 v15, vcc, v15, v14, vcc
	v_add_co_u32_e32 v14, vcc, 2, v16
	s_add_u32 s2, s26, -1
	v_addc_co_u32_e32 v15, vcc, 0, v15, vcc
	s_addc_u32 s3, s27, -1
	s_mov_b64 s[8:9], 0
	s_mov_b64 s[44:45], 0
                                        ; implicit-def: $sgpr42_sgpr43
	s_branch .LBB1175_105
.LBB1175_103:                           ;   in Loop: Header=BB1175_105 Depth=1
	global_load_ushort v16, v[12:13], off
	global_load_ushort v17, v[14:15], off
	v_add_co_u32_e32 v12, vcc, 2, v12
	v_addc_co_u32_e32 v13, vcc, 0, v13, vcc
	v_add_co_u32_e32 v14, vcc, 2, v14
	v_addc_co_u32_e32 v15, vcc, 0, v15, vcc
	s_add_u32 s44, s44, 1
	s_addc_u32 s45, s45, 0
	s_andn2_b64 s[42:43], s[42:43], exec
	s_waitcnt vmcnt(1)
	v_lshlrev_b32_e32 v16, 16, v16
	s_waitcnt vmcnt(0)
	v_lshlrev_b32_e32 v17, 16, v17
	v_cmp_neq_f32_e32 vcc, v17, v16
	s_and_b64 s[46:47], vcc, exec
	s_or_b64 s[42:43], s[42:43], s[46:47]
.LBB1175_104:                           ;   in Loop: Header=BB1175_105 Depth=1
	s_and_b64 s[46:47], exec, s[42:43]
	s_or_b64 s[8:9], s[46:47], s[8:9]
	v_pk_mov_b32 v[16:17], s[44:45], s[44:45] op_sel:[0,1]
	s_andn2_b64 exec, exec, s[8:9]
	s_cbranch_execz .LBB1175_107
.LBB1175_105:                           ; =>This Inner Loop Header: Depth=1
	s_or_b64 s[42:43], s[42:43], exec
	s_cmp_eq_u64 s[2:3], s[44:45]
	s_cbranch_scc0 .LBB1175_103
; %bb.106:                              ;   in Loop: Header=BB1175_105 Depth=1
                                        ; implicit-def: $vgpr12_vgpr13
                                        ; implicit-def: $vgpr14_vgpr15
	s_mov_b64 s[44:45], s[26:27]
	s_branch .LBB1175_104
.LBB1175_107:
	s_or_b64 exec, exec, s[8:9]
	v_cmp_gt_i64_e32 vcc, s[26:27], v[16:17]
	s_orn2_b64 s[42:43], vcc, exec
.LBB1175_108:
	s_or_b64 exec, exec, s[36:37]
.LBB1175_109:
	s_and_b64 s[36:37], s[42:43], exec
.LBB1175_110:
	s_or_b64 exec, exec, s[40:41]
	v_cmp_ne_u32_e32 vcc, 0, v0
	s_waitcnt lgkmcnt(0)
	v_pk_mov_b32 v[12:13], s[12:13], s[12:13] op_sel:[0,1]
	s_barrier
	s_and_saveexec_b64 s[2:3], vcc
	s_cbranch_execz .LBB1175_112
; %bb.111:
	v_add_u32_e32 v12, -8, v21
	ds_read_b64 v[12:13], v12
.LBB1175_112:
	s_or_b64 exec, exec, s[2:3]
	v_cndmask_b32_e64 v15, 0, 1, s[18:19]
	v_cndmask_b32_e64 v14, 0, 1, s[38:39]
	;; [unrolled: 1-line block ×3, first 2 shown]
	v_lshlrev_b16_e32 v15, 8, v15
	v_cmp_gt_u32_e32 vcc, s7, v1
	v_lshlrev_b16_e32 v21, 8, v16
	v_or_b32_sdwa v26, v14, v15 dst_sel:WORD_1 dst_unused:UNUSED_PAD src0_sel:DWORD src1_sel:DWORD
	s_mov_b64 s[18:19], 0
	s_and_saveexec_b64 s[8:9], vcc
	s_cbranch_execz .LBB1175_123
; %bb.113:
	s_and_b64 vcc, exec, s[0:1]
	s_cbranch_vccnz .LBB1175_122
; %bb.114:
	s_waitcnt lgkmcnt(0)
	v_mul_lo_u32 v14, v13, s26
	v_mul_lo_u32 v15, v12, s27
	v_mad_u64_u32 v[12:13], s[0:1], v12, s26, 0
	v_add3_u32 v13, v13, v15, v14
	v_mul_lo_u32 v14, v7, s26
	v_mul_lo_u32 v15, v6, s27
	v_mad_u64_u32 v[18:19], s[0:1], v6, s26, 0
	v_add3_u32 v19, v19, v15, v14
	v_lshlrev_b64 v[14:15], 1, v[12:13]
	v_mov_b32_e32 v12, s29
	v_add_co_u32_e32 v16, vcc, s28, v14
	v_addc_co_u32_e64 v17, s[0:1], v12, v15, vcc
	v_lshlrev_b64 v[12:13], 1, v[18:19]
	v_mov_b32_e32 v14, s29
	v_add_co_u32_e64 v18, s[0:1], s28, v12
	v_addc_co_u32_e64 v19, s[2:3], v14, v13, s[0:1]
	global_load_ushort v12, v[18:19], off
	global_load_ushort v14, v[16:17], off
	s_mov_b64 s[18:19], -1
	s_waitcnt vmcnt(1)
	v_lshlrev_b32_e32 v12, 16, v12
	s_waitcnt vmcnt(0)
	v_lshlrev_b32_e32 v14, 16, v14
	v_cmp_eq_f32_e64 s[2:3], v14, v12
	s_and_saveexec_b64 s[12:13], s[2:3]
	s_cbranch_execz .LBB1175_121
; %bb.115:
	v_mov_b32_e32 v12, s29
	v_addc_co_u32_e64 v13, s[0:1], v13, v12, s[0:1]
	v_add_co_u32_e64 v12, s[0:1], 2, v18
	v_mov_b32_e32 v14, s29
	v_addc_co_u32_e64 v13, s[0:1], 0, v13, s[0:1]
	v_addc_co_u32_e32 v15, vcc, v15, v14, vcc
	v_add_co_u32_e32 v14, vcc, 2, v16
	s_add_u32 s0, s26, -1
	v_addc_co_u32_e32 v15, vcc, 0, v15, vcc
	s_addc_u32 s1, s27, -1
	s_mov_b64 s[2:3], 0
	s_mov_b64 s[36:37], 0
                                        ; implicit-def: $sgpr18_sgpr19
	s_branch .LBB1175_118
.LBB1175_116:                           ;   in Loop: Header=BB1175_118 Depth=1
	global_load_ushort v16, v[12:13], off
	global_load_ushort v17, v[14:15], off
	v_add_co_u32_e32 v12, vcc, 2, v12
	v_addc_co_u32_e32 v13, vcc, 0, v13, vcc
	v_add_co_u32_e32 v14, vcc, 2, v14
	v_addc_co_u32_e32 v15, vcc, 0, v15, vcc
	s_add_u32 s36, s36, 1
	s_addc_u32 s37, s37, 0
	s_andn2_b64 s[18:19], s[18:19], exec
	s_waitcnt vmcnt(1)
	v_lshlrev_b32_e32 v16, 16, v16
	s_waitcnt vmcnt(0)
	v_lshlrev_b32_e32 v17, 16, v17
	v_cmp_neq_f32_e32 vcc, v17, v16
	s_and_b64 s[38:39], vcc, exec
	s_or_b64 s[18:19], s[18:19], s[38:39]
.LBB1175_117:                           ;   in Loop: Header=BB1175_118 Depth=1
	s_and_b64 s[38:39], exec, s[18:19]
	s_or_b64 s[2:3], s[38:39], s[2:3]
	v_pk_mov_b32 v[16:17], s[36:37], s[36:37] op_sel:[0,1]
	s_andn2_b64 exec, exec, s[2:3]
	s_cbranch_execz .LBB1175_120
.LBB1175_118:                           ; =>This Inner Loop Header: Depth=1
	s_or_b64 s[18:19], s[18:19], exec
	s_cmp_eq_u64 s[0:1], s[36:37]
	s_cbranch_scc0 .LBB1175_116
; %bb.119:                              ;   in Loop: Header=BB1175_118 Depth=1
                                        ; implicit-def: $vgpr12_vgpr13
                                        ; implicit-def: $vgpr14_vgpr15
	s_mov_b64 s[36:37], s[26:27]
	s_branch .LBB1175_117
.LBB1175_120:
	s_or_b64 exec, exec, s[2:3]
	v_cmp_gt_i64_e32 vcc, s[26:27], v[16:17]
	s_orn2_b64 s[18:19], vcc, exec
.LBB1175_121:
	s_or_b64 exec, exec, s[12:13]
.LBB1175_122:
	s_and_b64 s[18:19], s[18:19], exec
.LBB1175_123:
	s_or_b64 exec, exec, s[8:9]
	s_waitcnt lgkmcnt(0)
	v_cndmask_b32_e64 v13, 0, 1, s[14:15]
	v_or_b32_e32 v16, v21, v26
.LBB1175_124:
	s_waitcnt lgkmcnt(0)
	s_mov_b64 s[12:13], -1
	s_cbranch_execnz .LBB1175_233
.LBB1175_125:
	v_lshlrev_b32_e32 v12, 5, v0
	v_sub_u32_e32 v26, v20, v12
	s_mov_b64 s[18:19], 0
	v_cmp_gt_i64_e64 s[14:15], s[26:27], 0
	s_and_b64 vcc, exec, s[34:35]
	ds_write_b64 v26, v[10:11]
	s_cbranch_vccz .LBB1175_133
; %bb.126:
	v_mul_lo_u32 v14, v5, s26
	v_mul_lo_u32 v15, v4, s27
	v_mad_u64_u32 v[12:13], s[0:1], v4, s26, 0
	v_add3_u32 v13, v13, v15, v14
	v_cndmask_b32_e64 v14, 0, 1, s[14:15]
	v_cmp_ne_u32_e64 s[0:1], 1, v14
	s_andn2_b64 vcc, exec, s[14:15]
	v_lshlrev_b64 v[12:13], 1, v[12:13]
	s_cbranch_vccnz .LBB1175_136
; %bb.127:
	v_mul_lo_u32 v16, v11, s26
	v_mul_lo_u32 v17, v10, s27
	v_mad_u64_u32 v[14:15], s[2:3], v10, s26, 0
	v_add3_u32 v15, v15, v17, v16
	v_mov_b32_e32 v17, s29
	v_add_co_u32_e32 v16, vcc, s28, v12
	v_addc_co_u32_e64 v17, s[2:3], v17, v13, vcc
	v_lshlrev_b64 v[14:15], 1, v[14:15]
	v_mov_b32_e32 v19, s29
	v_add_co_u32_e64 v18, s[2:3], s28, v14
	v_addc_co_u32_e64 v19, s[8:9], v19, v15, s[2:3]
	global_load_ushort v14, v[18:19], off
	global_load_ushort v20, v[16:17], off
	s_mov_b64 s[18:19], -1
	s_waitcnt vmcnt(1)
	v_lshlrev_b32_e32 v14, 16, v14
	s_waitcnt vmcnt(0)
	v_lshlrev_b32_e32 v17, 16, v20
	v_cmp_eq_f32_e64 s[8:9], v17, v14
	s_and_saveexec_b64 s[36:37], s[8:9]
	s_cbranch_execz .LBB1175_135
; %bb.128:
	v_mov_b32_e32 v14, s29
	v_addc_co_u32_e64 v15, s[2:3], v15, v14, s[2:3]
	v_add_co_u32_e64 v14, s[2:3], 2, v18
	v_mov_b32_e32 v17, s29
	v_addc_co_u32_e64 v15, s[2:3], 0, v15, s[2:3]
	v_addc_co_u32_e32 v17, vcc, v13, v17, vcc
	v_add_co_u32_e32 v16, vcc, 2, v16
	s_add_u32 s2, s26, -1
	v_addc_co_u32_e32 v17, vcc, 0, v17, vcc
	s_addc_u32 s3, s27, -1
	s_mov_b64 s[8:9], 0
	s_mov_b64 s[38:39], 0
                                        ; implicit-def: $sgpr18_sgpr19
	s_branch .LBB1175_131
.LBB1175_129:                           ;   in Loop: Header=BB1175_131 Depth=1
	global_load_ushort v18, v[14:15], off
	global_load_ushort v19, v[16:17], off
	v_add_co_u32_e32 v14, vcc, 2, v14
	v_addc_co_u32_e32 v15, vcc, 0, v15, vcc
	v_add_co_u32_e32 v16, vcc, 2, v16
	v_addc_co_u32_e32 v17, vcc, 0, v17, vcc
	s_add_u32 s38, s38, 1
	s_addc_u32 s39, s39, 0
	s_andn2_b64 s[18:19], s[18:19], exec
	s_waitcnt vmcnt(1)
	v_lshlrev_b32_e32 v18, 16, v18
	s_waitcnt vmcnt(0)
	v_lshlrev_b32_e32 v19, 16, v19
	v_cmp_neq_f32_e32 vcc, v19, v18
	s_and_b64 s[40:41], vcc, exec
	s_or_b64 s[18:19], s[18:19], s[40:41]
.LBB1175_130:                           ;   in Loop: Header=BB1175_131 Depth=1
	s_and_b64 s[40:41], exec, s[18:19]
	s_or_b64 s[8:9], s[40:41], s[8:9]
	v_pk_mov_b32 v[18:19], s[38:39], s[38:39] op_sel:[0,1]
	s_andn2_b64 exec, exec, s[8:9]
	s_cbranch_execz .LBB1175_134
.LBB1175_131:                           ; =>This Inner Loop Header: Depth=1
	s_or_b64 s[18:19], s[18:19], exec
	s_cmp_eq_u64 s[2:3], s[38:39]
	s_cbranch_scc0 .LBB1175_129
; %bb.132:                              ;   in Loop: Header=BB1175_131 Depth=1
                                        ; implicit-def: $vgpr14_vgpr15
                                        ; implicit-def: $vgpr16_vgpr17
	s_mov_b64 s[38:39], s[26:27]
	s_branch .LBB1175_130
.LBB1175_133:
                                        ; implicit-def: $sgpr18_sgpr19
                                        ; implicit-def: $vgpr13
                                        ; implicit-def: $vgpr16
	s_cbranch_execnz .LBB1175_175
	s_branch .LBB1175_233
.LBB1175_134:
	s_or_b64 exec, exec, s[8:9]
	v_cmp_gt_i64_e32 vcc, s[26:27], v[18:19]
	s_orn2_b64 s[18:19], vcc, exec
.LBB1175_135:
	s_or_b64 exec, exec, s[36:37]
.LBB1175_136:
	v_mul_lo_u32 v16, v3, s26
	v_mul_lo_u32 v17, v2, s27
	v_mad_u64_u32 v[14:15], s[2:3], v2, s26, 0
	v_add3_u32 v15, v15, v17, v16
	s_mov_b64 s[36:37], 0
	s_and_b64 vcc, exec, s[0:1]
	v_lshlrev_b64 v[14:15], 1, v[14:15]
	s_mov_b64 s[38:39], 0
	s_cbranch_vccnz .LBB1175_145
; %bb.137:
	v_mov_b32_e32 v17, s29
	v_add_co_u32_e32 v16, vcc, s28, v14
	v_addc_co_u32_e64 v17, s[2:3], v17, v15, vcc
	v_mov_b32_e32 v19, s29
	v_add_co_u32_e64 v18, s[2:3], s28, v12
	v_addc_co_u32_e64 v19, s[8:9], v19, v13, s[2:3]
	global_load_ushort v12, v[18:19], off
	global_load_ushort v20, v[16:17], off
	s_mov_b64 s[38:39], -1
	s_waitcnt vmcnt(1)
	v_lshlrev_b32_e32 v12, 16, v12
	s_waitcnt vmcnt(0)
	v_lshlrev_b32_e32 v17, 16, v20
	v_cmp_eq_f32_e64 s[8:9], v17, v12
	s_and_saveexec_b64 s[40:41], s[8:9]
	s_cbranch_execz .LBB1175_144
; %bb.138:
	v_mov_b32_e32 v12, s29
	v_addc_co_u32_e64 v13, s[2:3], v13, v12, s[2:3]
	v_add_co_u32_e64 v12, s[2:3], 2, v18
	v_mov_b32_e32 v17, s29
	v_addc_co_u32_e64 v13, s[2:3], 0, v13, s[2:3]
	v_addc_co_u32_e32 v17, vcc, v15, v17, vcc
	v_add_co_u32_e32 v16, vcc, 2, v16
	s_add_u32 s2, s26, -1
	v_addc_co_u32_e32 v17, vcc, 0, v17, vcc
	s_addc_u32 s3, s27, -1
	s_mov_b64 s[8:9], 0
	s_mov_b64 s[42:43], 0
                                        ; implicit-def: $sgpr38_sgpr39
	s_branch .LBB1175_141
.LBB1175_139:                           ;   in Loop: Header=BB1175_141 Depth=1
	global_load_ushort v18, v[12:13], off
	global_load_ushort v19, v[16:17], off
	v_add_co_u32_e32 v12, vcc, 2, v12
	v_addc_co_u32_e32 v13, vcc, 0, v13, vcc
	v_add_co_u32_e32 v16, vcc, 2, v16
	v_addc_co_u32_e32 v17, vcc, 0, v17, vcc
	s_add_u32 s42, s42, 1
	s_addc_u32 s43, s43, 0
	s_andn2_b64 s[38:39], s[38:39], exec
	s_waitcnt vmcnt(1)
	v_lshlrev_b32_e32 v18, 16, v18
	s_waitcnt vmcnt(0)
	v_lshlrev_b32_e32 v19, 16, v19
	v_cmp_neq_f32_e32 vcc, v19, v18
	s_and_b64 s[44:45], vcc, exec
	s_or_b64 s[38:39], s[38:39], s[44:45]
.LBB1175_140:                           ;   in Loop: Header=BB1175_141 Depth=1
	s_and_b64 s[44:45], exec, s[38:39]
	s_or_b64 s[8:9], s[44:45], s[8:9]
	v_pk_mov_b32 v[18:19], s[42:43], s[42:43] op_sel:[0,1]
	s_andn2_b64 exec, exec, s[8:9]
	s_cbranch_execz .LBB1175_143
.LBB1175_141:                           ; =>This Inner Loop Header: Depth=1
	s_or_b64 s[38:39], s[38:39], exec
	s_cmp_eq_u64 s[2:3], s[42:43]
	s_cbranch_scc0 .LBB1175_139
; %bb.142:                              ;   in Loop: Header=BB1175_141 Depth=1
                                        ; implicit-def: $vgpr12_vgpr13
                                        ; implicit-def: $vgpr16_vgpr17
	s_mov_b64 s[42:43], s[26:27]
	s_branch .LBB1175_140
.LBB1175_143:
	s_or_b64 exec, exec, s[8:9]
	v_cmp_gt_i64_e32 vcc, s[26:27], v[18:19]
	s_orn2_b64 s[38:39], vcc, exec
.LBB1175_144:
	s_or_b64 exec, exec, s[40:41]
.LBB1175_145:
	v_mul_lo_u32 v16, v9, s26
	v_mul_lo_u32 v17, v8, s27
	v_mad_u64_u32 v[12:13], s[2:3], v8, s26, 0
	v_add3_u32 v13, v13, v17, v16
	s_and_b64 vcc, exec, s[0:1]
	v_lshlrev_b64 v[12:13], 1, v[12:13]
	s_cbranch_vccnz .LBB1175_154
; %bb.146:
	v_mov_b32_e32 v17, s29
	v_add_co_u32_e32 v16, vcc, s28, v12
	v_addc_co_u32_e64 v17, s[2:3], v17, v13, vcc
	v_mov_b32_e32 v19, s29
	v_add_co_u32_e64 v18, s[2:3], s28, v14
	v_addc_co_u32_e64 v19, s[8:9], v19, v15, s[2:3]
	global_load_ushort v14, v[18:19], off
	global_load_ushort v20, v[16:17], off
	s_mov_b64 s[36:37], -1
	s_waitcnt vmcnt(1)
	v_lshlrev_b32_e32 v14, 16, v14
	s_waitcnt vmcnt(0)
	v_lshlrev_b32_e32 v17, 16, v20
	v_cmp_eq_f32_e64 s[8:9], v17, v14
	s_and_saveexec_b64 s[40:41], s[8:9]
	s_cbranch_execz .LBB1175_153
; %bb.147:
	v_mov_b32_e32 v14, s29
	v_addc_co_u32_e64 v15, s[2:3], v15, v14, s[2:3]
	v_add_co_u32_e64 v14, s[2:3], 2, v18
	v_mov_b32_e32 v17, s29
	v_addc_co_u32_e64 v15, s[2:3], 0, v15, s[2:3]
	v_addc_co_u32_e32 v17, vcc, v13, v17, vcc
	v_add_co_u32_e32 v16, vcc, 2, v16
	s_add_u32 s2, s26, -1
	v_addc_co_u32_e32 v17, vcc, 0, v17, vcc
	s_addc_u32 s3, s27, -1
	s_mov_b64 s[8:9], 0
	s_mov_b64 s[42:43], 0
                                        ; implicit-def: $sgpr36_sgpr37
	s_branch .LBB1175_150
.LBB1175_148:                           ;   in Loop: Header=BB1175_150 Depth=1
	global_load_ushort v18, v[14:15], off
	global_load_ushort v19, v[16:17], off
	v_add_co_u32_e32 v14, vcc, 2, v14
	v_addc_co_u32_e32 v15, vcc, 0, v15, vcc
	v_add_co_u32_e32 v16, vcc, 2, v16
	v_addc_co_u32_e32 v17, vcc, 0, v17, vcc
	s_add_u32 s42, s42, 1
	s_addc_u32 s43, s43, 0
	s_andn2_b64 s[36:37], s[36:37], exec
	s_waitcnt vmcnt(1)
	v_lshlrev_b32_e32 v18, 16, v18
	s_waitcnt vmcnt(0)
	v_lshlrev_b32_e32 v19, 16, v19
	v_cmp_neq_f32_e32 vcc, v19, v18
	s_and_b64 s[44:45], vcc, exec
	s_or_b64 s[36:37], s[36:37], s[44:45]
.LBB1175_149:                           ;   in Loop: Header=BB1175_150 Depth=1
	s_and_b64 s[44:45], exec, s[36:37]
	s_or_b64 s[8:9], s[44:45], s[8:9]
	v_pk_mov_b32 v[18:19], s[42:43], s[42:43] op_sel:[0,1]
	s_andn2_b64 exec, exec, s[8:9]
	s_cbranch_execz .LBB1175_152
.LBB1175_150:                           ; =>This Inner Loop Header: Depth=1
	s_or_b64 s[36:37], s[36:37], exec
	s_cmp_eq_u64 s[2:3], s[42:43]
	s_cbranch_scc0 .LBB1175_148
; %bb.151:                              ;   in Loop: Header=BB1175_150 Depth=1
                                        ; implicit-def: $vgpr14_vgpr15
                                        ; implicit-def: $vgpr16_vgpr17
	s_mov_b64 s[42:43], s[26:27]
	s_branch .LBB1175_149
.LBB1175_152:
	s_or_b64 exec, exec, s[8:9]
	v_cmp_gt_i64_e32 vcc, s[26:27], v[18:19]
	s_orn2_b64 s[36:37], vcc, exec
.LBB1175_153:
	s_or_b64 exec, exec, s[40:41]
.LBB1175_154:
	v_mul_lo_u32 v16, v7, s26
	v_mul_lo_u32 v17, v6, s27
	v_mad_u64_u32 v[14:15], s[2:3], v6, s26, 0
	v_add3_u32 v15, v15, v17, v16
	s_and_b64 vcc, exec, s[0:1]
	s_mov_b64 s[42:43], 0
	s_cbranch_vccnz .LBB1175_163
; %bb.155:
	v_lshlrev_b64 v[16:17], 1, v[14:15]
	v_mov_b32_e32 v19, s29
	v_add_co_u32_e32 v18, vcc, s28, v16
	v_addc_co_u32_e64 v19, s[2:3], v19, v17, vcc
	v_mov_b32_e32 v16, s29
	v_add_co_u32_e64 v20, s[2:3], s28, v12
	v_addc_co_u32_e64 v21, s[8:9], v16, v13, s[2:3]
	global_load_ushort v12, v[20:21], off
	global_load_ushort v16, v[18:19], off
	s_mov_b64 s[42:43], -1
	s_waitcnt vmcnt(1)
	v_lshlrev_b32_e32 v12, 16, v12
	s_waitcnt vmcnt(0)
	v_lshlrev_b32_e32 v16, 16, v16
	v_cmp_eq_f32_e64 s[8:9], v16, v12
	s_and_saveexec_b64 s[40:41], s[8:9]
	s_cbranch_execz .LBB1175_162
; %bb.156:
	v_mov_b32_e32 v12, s29
	v_addc_co_u32_e64 v13, s[2:3], v13, v12, s[2:3]
	v_add_co_u32_e64 v12, s[2:3], 2, v20
	v_mov_b32_e32 v16, s29
	v_addc_co_u32_e64 v13, s[2:3], 0, v13, s[2:3]
	v_addc_co_u32_e32 v17, vcc, v17, v16, vcc
	v_add_co_u32_e32 v16, vcc, 2, v18
	s_add_u32 s2, s26, -1
	v_addc_co_u32_e32 v17, vcc, 0, v17, vcc
	s_addc_u32 s3, s27, -1
	s_mov_b64 s[8:9], 0
	s_mov_b64 s[44:45], 0
                                        ; implicit-def: $sgpr42_sgpr43
	s_branch .LBB1175_159
.LBB1175_157:                           ;   in Loop: Header=BB1175_159 Depth=1
	global_load_ushort v18, v[12:13], off
	global_load_ushort v19, v[16:17], off
	v_add_co_u32_e32 v12, vcc, 2, v12
	v_addc_co_u32_e32 v13, vcc, 0, v13, vcc
	v_add_co_u32_e32 v16, vcc, 2, v16
	v_addc_co_u32_e32 v17, vcc, 0, v17, vcc
	s_add_u32 s44, s44, 1
	s_addc_u32 s45, s45, 0
	s_andn2_b64 s[42:43], s[42:43], exec
	s_waitcnt vmcnt(1)
	v_lshlrev_b32_e32 v18, 16, v18
	s_waitcnt vmcnt(0)
	v_lshlrev_b32_e32 v19, 16, v19
	v_cmp_neq_f32_e32 vcc, v19, v18
	s_and_b64 s[46:47], vcc, exec
	s_or_b64 s[42:43], s[42:43], s[46:47]
.LBB1175_158:                           ;   in Loop: Header=BB1175_159 Depth=1
	s_and_b64 s[46:47], exec, s[42:43]
	s_or_b64 s[8:9], s[46:47], s[8:9]
	v_pk_mov_b32 v[18:19], s[44:45], s[44:45] op_sel:[0,1]
	s_andn2_b64 exec, exec, s[8:9]
	s_cbranch_execz .LBB1175_161
.LBB1175_159:                           ; =>This Inner Loop Header: Depth=1
	s_or_b64 s[42:43], s[42:43], exec
	s_cmp_eq_u64 s[2:3], s[44:45]
	s_cbranch_scc0 .LBB1175_157
; %bb.160:                              ;   in Loop: Header=BB1175_159 Depth=1
                                        ; implicit-def: $vgpr12_vgpr13
                                        ; implicit-def: $vgpr16_vgpr17
	s_mov_b64 s[44:45], s[26:27]
	s_branch .LBB1175_158
.LBB1175_161:
	s_or_b64 exec, exec, s[8:9]
	v_cmp_gt_i64_e32 vcc, s[26:27], v[18:19]
	s_orn2_b64 s[42:43], vcc, exec
.LBB1175_162:
	s_or_b64 exec, exec, s[40:41]
.LBB1175_163:
	v_cndmask_b32_e64 v13, 0, 1, s[38:39]
	v_cndmask_b32_e64 v16, 0, 1, s[42:43]
	;; [unrolled: 1-line block ×3, first 2 shown]
	v_lshlrev_b16_e32 v16, 8, v16
	v_lshlrev_b16_e32 v13, 8, v13
	v_or_b32_e32 v16, 1, v16
	v_or_b32_sdwa v12, v12, v13 dst_sel:WORD_1 dst_unused:UNUSED_PAD src0_sel:DWORD src1_sel:DWORD
	v_or_b32_sdwa v12, v16, v12 dst_sel:DWORD dst_unused:UNUSED_PAD src0_sel:WORD_0 src1_sel:DWORD
	v_cndmask_b32_e64 v13, 0, 1, s[18:19]
	v_cmp_ne_u32_e32 vcc, 0, v0
	s_waitcnt lgkmcnt(0)
	s_barrier
	s_waitcnt lgkmcnt(0)
                                        ; implicit-def: $sgpr18_sgpr19
                                        ; implicit-def: $vgpr16
	s_and_saveexec_b64 s[2:3], vcc
	s_xor_b64 s[8:9], exec, s[2:3]
	s_cbranch_execz .LBB1175_174
; %bb.164:
	s_mov_b32 s33, 0x3020104
	s_and_b64 vcc, exec, s[0:1]
	s_mov_b64 s[36:37], 0
	s_cbranch_vccnz .LBB1175_173
; %bb.165:
	v_add_u32_e32 v16, -8, v26
	ds_read_b64 v[16:17], v16
	v_mov_b32_e32 v19, s29
	v_lshlrev_b64 v[14:15], 1, v[14:15]
	s_mov_b64 s[36:37], -1
	s_waitcnt lgkmcnt(0)
	v_mul_lo_u32 v18, v17, s26
	v_mul_lo_u32 v20, v16, s27
	v_mad_u64_u32 v[16:17], s[0:1], v16, s26, 0
	v_add3_u32 v17, v17, v20, v18
	v_lshlrev_b64 v[16:17], 1, v[16:17]
	v_add_co_u32_e32 v18, vcc, s28, v16
	v_addc_co_u32_e64 v19, s[0:1], v19, v17, vcc
	v_mov_b32_e32 v16, s29
	v_add_co_u32_e64 v20, s[0:1], s28, v14
	v_addc_co_u32_e64 v21, s[2:3], v16, v15, s[0:1]
	global_load_ushort v14, v[18:19], off
	global_load_ushort v16, v[20:21], off
	s_waitcnt vmcnt(1)
	v_lshlrev_b32_e32 v14, 16, v14
	s_waitcnt vmcnt(0)
	v_lshlrev_b32_e32 v16, 16, v16
	v_cmp_eq_f32_e64 s[2:3], v14, v16
	s_and_saveexec_b64 s[18:19], s[2:3]
	s_cbranch_execz .LBB1175_172
; %bb.166:
	v_mov_b32_e32 v14, s29
	v_addc_co_u32_e64 v15, s[0:1], v15, v14, s[0:1]
	v_add_co_u32_e64 v14, s[0:1], 2, v20
	v_mov_b32_e32 v16, s29
	v_addc_co_u32_e64 v15, s[0:1], 0, v15, s[0:1]
	v_addc_co_u32_e32 v17, vcc, v17, v16, vcc
	v_add_co_u32_e32 v16, vcc, 2, v18
	s_add_u32 s0, s26, -1
	v_addc_co_u32_e32 v17, vcc, 0, v17, vcc
	s_addc_u32 s1, s27, -1
	s_mov_b64 s[2:3], 0
	s_mov_b64 s[38:39], 0
                                        ; implicit-def: $sgpr36_sgpr37
	s_branch .LBB1175_169
.LBB1175_167:                           ;   in Loop: Header=BB1175_169 Depth=1
	global_load_ushort v18, v[14:15], off
	global_load_ushort v19, v[16:17], off
	v_add_co_u32_e32 v14, vcc, 2, v14
	v_addc_co_u32_e32 v15, vcc, 0, v15, vcc
	v_add_co_u32_e32 v16, vcc, 2, v16
	v_addc_co_u32_e32 v17, vcc, 0, v17, vcc
	s_add_u32 s38, s38, 1
	s_addc_u32 s39, s39, 0
	s_andn2_b64 s[36:37], s[36:37], exec
	s_waitcnt vmcnt(1)
	v_lshlrev_b32_e32 v18, 16, v18
	s_waitcnt vmcnt(0)
	v_lshlrev_b32_e32 v19, 16, v19
	v_cmp_neq_f32_e32 vcc, v19, v18
	s_and_b64 s[40:41], vcc, exec
	s_or_b64 s[36:37], s[36:37], s[40:41]
.LBB1175_168:                           ;   in Loop: Header=BB1175_169 Depth=1
	s_and_b64 s[40:41], exec, s[36:37]
	s_or_b64 s[2:3], s[40:41], s[2:3]
	v_pk_mov_b32 v[18:19], s[38:39], s[38:39] op_sel:[0,1]
	s_andn2_b64 exec, exec, s[2:3]
	s_cbranch_execz .LBB1175_171
.LBB1175_169:                           ; =>This Inner Loop Header: Depth=1
	s_or_b64 s[36:37], s[36:37], exec
	s_cmp_eq_u64 s[0:1], s[38:39]
	s_cbranch_scc0 .LBB1175_167
; %bb.170:                              ;   in Loop: Header=BB1175_169 Depth=1
                                        ; implicit-def: $vgpr14_vgpr15
                                        ; implicit-def: $vgpr16_vgpr17
	s_mov_b64 s[38:39], s[26:27]
	s_branch .LBB1175_168
.LBB1175_171:
	s_or_b64 exec, exec, s[2:3]
	v_cmp_gt_i64_e32 vcc, s[26:27], v[18:19]
	s_orn2_b64 s[36:37], vcc, exec
.LBB1175_172:
	s_or_b64 exec, exec, s[18:19]
.LBB1175_173:
	v_perm_b32 v16, v12, v12, s33
	s_and_b64 s[18:19], s[36:37], exec
	s_or_b64 s[12:13], s[12:13], exec
.LBB1175_174:
	s_or_b64 exec, exec, s[8:9]
	s_branch .LBB1175_233
.LBB1175_175:
	v_cmp_gt_u32_e32 vcc, s7, v23
	s_mov_b64 s[18:19], 0
	s_mov_b64 s[8:9], 0
	s_and_saveexec_b64 s[36:37], vcc
	s_cbranch_execz .LBB1175_186
; %bb.176:
	s_andn2_b64 vcc, exec, s[14:15]
	s_mov_b64 s[38:39], 0
	s_cbranch_vccnz .LBB1175_185
; %bb.177:
	v_mul_lo_u32 v14, v5, s26
	v_mul_lo_u32 v15, v4, s27
	v_mad_u64_u32 v[12:13], s[0:1], v4, s26, 0
	v_add3_u32 v13, v13, v15, v14
	v_mul_lo_u32 v14, v11, s26
	v_mul_lo_u32 v15, v10, s27
	v_mad_u64_u32 v[18:19], s[0:1], v10, s26, 0
	v_add3_u32 v19, v19, v15, v14
	v_lshlrev_b64 v[14:15], 1, v[12:13]
	v_mov_b32_e32 v12, s29
	v_add_co_u32_e32 v16, vcc, s28, v14
	v_addc_co_u32_e64 v17, s[0:1], v12, v15, vcc
	v_lshlrev_b64 v[12:13], 1, v[18:19]
	v_mov_b32_e32 v14, s29
	v_add_co_u32_e64 v18, s[0:1], s28, v12
	v_addc_co_u32_e64 v19, s[2:3], v14, v13, s[0:1]
	global_load_ushort v12, v[18:19], off
	global_load_ushort v14, v[16:17], off
	s_mov_b64 s[38:39], -1
	s_waitcnt vmcnt(1)
	v_lshlrev_b32_e32 v12, 16, v12
	s_waitcnt vmcnt(0)
	v_lshlrev_b32_e32 v14, 16, v14
	v_cmp_eq_f32_e64 s[2:3], v14, v12
	s_and_saveexec_b64 s[8:9], s[2:3]
	s_cbranch_execz .LBB1175_184
; %bb.178:
	v_mov_b32_e32 v12, s29
	v_addc_co_u32_e64 v13, s[0:1], v13, v12, s[0:1]
	v_add_co_u32_e64 v12, s[0:1], 2, v18
	v_mov_b32_e32 v14, s29
	v_addc_co_u32_e64 v13, s[0:1], 0, v13, s[0:1]
	v_addc_co_u32_e32 v15, vcc, v15, v14, vcc
	v_add_co_u32_e32 v14, vcc, 2, v16
	s_add_u32 s0, s26, -1
	v_addc_co_u32_e32 v15, vcc, 0, v15, vcc
	s_addc_u32 s1, s27, -1
	s_mov_b64 s[2:3], 0
	s_mov_b64 s[40:41], 0
                                        ; implicit-def: $sgpr38_sgpr39
	s_branch .LBB1175_181
.LBB1175_179:                           ;   in Loop: Header=BB1175_181 Depth=1
	global_load_ushort v16, v[12:13], off
	global_load_ushort v17, v[14:15], off
	v_add_co_u32_e32 v12, vcc, 2, v12
	v_addc_co_u32_e32 v13, vcc, 0, v13, vcc
	v_add_co_u32_e32 v14, vcc, 2, v14
	v_addc_co_u32_e32 v15, vcc, 0, v15, vcc
	s_add_u32 s40, s40, 1
	s_addc_u32 s41, s41, 0
	s_andn2_b64 s[38:39], s[38:39], exec
	s_waitcnt vmcnt(1)
	v_lshlrev_b32_e32 v16, 16, v16
	s_waitcnt vmcnt(0)
	v_lshlrev_b32_e32 v17, 16, v17
	v_cmp_neq_f32_e32 vcc, v17, v16
	s_and_b64 s[42:43], vcc, exec
	s_or_b64 s[38:39], s[38:39], s[42:43]
.LBB1175_180:                           ;   in Loop: Header=BB1175_181 Depth=1
	s_and_b64 s[42:43], exec, s[38:39]
	s_or_b64 s[2:3], s[42:43], s[2:3]
	v_pk_mov_b32 v[16:17], s[40:41], s[40:41] op_sel:[0,1]
	s_andn2_b64 exec, exec, s[2:3]
	s_cbranch_execz .LBB1175_183
.LBB1175_181:                           ; =>This Inner Loop Header: Depth=1
	s_or_b64 s[38:39], s[38:39], exec
	s_cmp_eq_u64 s[0:1], s[40:41]
	s_cbranch_scc0 .LBB1175_179
; %bb.182:                              ;   in Loop: Header=BB1175_181 Depth=1
                                        ; implicit-def: $vgpr12_vgpr13
                                        ; implicit-def: $vgpr14_vgpr15
	s_mov_b64 s[40:41], s[26:27]
	s_branch .LBB1175_180
.LBB1175_183:
	s_or_b64 exec, exec, s[2:3]
	v_cmp_gt_i64_e32 vcc, s[26:27], v[16:17]
	s_orn2_b64 s[38:39], vcc, exec
.LBB1175_184:
	s_or_b64 exec, exec, s[8:9]
.LBB1175_185:
	s_and_b64 s[8:9], s[38:39], exec
.LBB1175_186:
	s_or_b64 exec, exec, s[36:37]
	v_cmp_gt_u32_e32 vcc, s7, v25
	s_and_saveexec_b64 s[36:37], vcc
	s_cbranch_execz .LBB1175_197
; %bb.187:
	s_andn2_b64 vcc, exec, s[14:15]
	s_mov_b64 s[38:39], 0
	s_cbranch_vccnz .LBB1175_196
; %bb.188:
	v_mul_lo_u32 v14, v3, s26
	v_mul_lo_u32 v15, v2, s27
	v_mad_u64_u32 v[12:13], s[0:1], v2, s26, 0
	v_add3_u32 v13, v13, v15, v14
	v_mul_lo_u32 v14, v5, s26
	v_mul_lo_u32 v15, v4, s27
	v_mad_u64_u32 v[18:19], s[0:1], v4, s26, 0
	v_add3_u32 v19, v19, v15, v14
	v_lshlrev_b64 v[14:15], 1, v[12:13]
	v_mov_b32_e32 v12, s29
	v_add_co_u32_e32 v16, vcc, s28, v14
	v_addc_co_u32_e64 v17, s[0:1], v12, v15, vcc
	v_lshlrev_b64 v[12:13], 1, v[18:19]
	v_mov_b32_e32 v14, s29
	v_add_co_u32_e64 v18, s[0:1], s28, v12
	v_addc_co_u32_e64 v19, s[2:3], v14, v13, s[0:1]
	global_load_ushort v12, v[18:19], off
	global_load_ushort v14, v[16:17], off
	s_mov_b64 s[38:39], -1
	s_waitcnt vmcnt(1)
	v_lshlrev_b32_e32 v12, 16, v12
	s_waitcnt vmcnt(0)
	v_lshlrev_b32_e32 v14, 16, v14
	v_cmp_eq_f32_e64 s[2:3], v14, v12
	s_and_saveexec_b64 s[18:19], s[2:3]
	s_cbranch_execz .LBB1175_195
; %bb.189:
	v_mov_b32_e32 v12, s29
	v_addc_co_u32_e64 v13, s[0:1], v13, v12, s[0:1]
	v_add_co_u32_e64 v12, s[0:1], 2, v18
	v_mov_b32_e32 v14, s29
	v_addc_co_u32_e64 v13, s[0:1], 0, v13, s[0:1]
	v_addc_co_u32_e32 v15, vcc, v15, v14, vcc
	v_add_co_u32_e32 v14, vcc, 2, v16
	s_add_u32 s0, s26, -1
	v_addc_co_u32_e32 v15, vcc, 0, v15, vcc
	s_addc_u32 s1, s27, -1
	s_mov_b64 s[2:3], 0
	s_mov_b64 s[40:41], 0
                                        ; implicit-def: $sgpr38_sgpr39
	s_branch .LBB1175_192
.LBB1175_190:                           ;   in Loop: Header=BB1175_192 Depth=1
	global_load_ushort v16, v[12:13], off
	global_load_ushort v17, v[14:15], off
	v_add_co_u32_e32 v12, vcc, 2, v12
	v_addc_co_u32_e32 v13, vcc, 0, v13, vcc
	v_add_co_u32_e32 v14, vcc, 2, v14
	v_addc_co_u32_e32 v15, vcc, 0, v15, vcc
	s_add_u32 s40, s40, 1
	s_addc_u32 s41, s41, 0
	s_andn2_b64 s[38:39], s[38:39], exec
	s_waitcnt vmcnt(1)
	v_lshlrev_b32_e32 v16, 16, v16
	s_waitcnt vmcnt(0)
	v_lshlrev_b32_e32 v17, 16, v17
	v_cmp_neq_f32_e32 vcc, v17, v16
	s_and_b64 s[42:43], vcc, exec
	s_or_b64 s[38:39], s[38:39], s[42:43]
.LBB1175_191:                           ;   in Loop: Header=BB1175_192 Depth=1
	s_and_b64 s[42:43], exec, s[38:39]
	s_or_b64 s[2:3], s[42:43], s[2:3]
	v_pk_mov_b32 v[16:17], s[40:41], s[40:41] op_sel:[0,1]
	s_andn2_b64 exec, exec, s[2:3]
	s_cbranch_execz .LBB1175_194
.LBB1175_192:                           ; =>This Inner Loop Header: Depth=1
	s_or_b64 s[38:39], s[38:39], exec
	s_cmp_eq_u64 s[0:1], s[40:41]
	s_cbranch_scc0 .LBB1175_190
; %bb.193:                              ;   in Loop: Header=BB1175_192 Depth=1
                                        ; implicit-def: $vgpr12_vgpr13
                                        ; implicit-def: $vgpr14_vgpr15
	s_mov_b64 s[40:41], s[26:27]
	s_branch .LBB1175_191
.LBB1175_194:
	s_or_b64 exec, exec, s[2:3]
	v_cmp_gt_i64_e32 vcc, s[26:27], v[16:17]
	s_orn2_b64 s[38:39], vcc, exec
.LBB1175_195:
	s_or_b64 exec, exec, s[18:19]
.LBB1175_196:
	s_and_b64 s[18:19], s[38:39], exec
.LBB1175_197:
	s_or_b64 exec, exec, s[36:37]
	v_cmp_gt_u32_e32 vcc, s7, v22
	s_mov_b64 s[36:37], 0
	s_mov_b64 s[38:39], 0
	s_and_saveexec_b64 s[40:41], vcc
	s_cbranch_execz .LBB1175_208
; %bb.198:
	s_andn2_b64 vcc, exec, s[14:15]
	s_mov_b64 s[42:43], 0
	s_cbranch_vccnz .LBB1175_207
; %bb.199:
	v_mul_lo_u32 v14, v9, s26
	v_mul_lo_u32 v15, v8, s27
	v_mad_u64_u32 v[12:13], s[0:1], v8, s26, 0
	v_add3_u32 v13, v13, v15, v14
	v_mul_lo_u32 v14, v3, s26
	v_mul_lo_u32 v15, v2, s27
	v_mad_u64_u32 v[18:19], s[0:1], v2, s26, 0
	v_add3_u32 v19, v19, v15, v14
	v_lshlrev_b64 v[14:15], 1, v[12:13]
	v_mov_b32_e32 v12, s29
	v_add_co_u32_e32 v16, vcc, s28, v14
	v_addc_co_u32_e64 v17, s[0:1], v12, v15, vcc
	v_lshlrev_b64 v[12:13], 1, v[18:19]
	v_mov_b32_e32 v14, s29
	v_add_co_u32_e64 v18, s[0:1], s28, v12
	v_addc_co_u32_e64 v19, s[2:3], v14, v13, s[0:1]
	global_load_ushort v12, v[18:19], off
	global_load_ushort v14, v[16:17], off
	s_mov_b64 s[42:43], -1
	s_waitcnt vmcnt(1)
	v_lshlrev_b32_e32 v12, 16, v12
	s_waitcnt vmcnt(0)
	v_lshlrev_b32_e32 v14, 16, v14
	v_cmp_eq_f32_e64 s[2:3], v14, v12
	s_and_saveexec_b64 s[38:39], s[2:3]
	s_cbranch_execz .LBB1175_206
; %bb.200:
	v_mov_b32_e32 v12, s29
	v_addc_co_u32_e64 v13, s[0:1], v13, v12, s[0:1]
	v_add_co_u32_e64 v12, s[0:1], 2, v18
	v_mov_b32_e32 v14, s29
	v_addc_co_u32_e64 v13, s[0:1], 0, v13, s[0:1]
	v_addc_co_u32_e32 v15, vcc, v15, v14, vcc
	v_add_co_u32_e32 v14, vcc, 2, v16
	s_add_u32 s0, s26, -1
	v_addc_co_u32_e32 v15, vcc, 0, v15, vcc
	s_addc_u32 s1, s27, -1
	s_mov_b64 s[2:3], 0
	s_mov_b64 s[44:45], 0
                                        ; implicit-def: $sgpr42_sgpr43
	s_branch .LBB1175_203
.LBB1175_201:                           ;   in Loop: Header=BB1175_203 Depth=1
	global_load_ushort v16, v[12:13], off
	global_load_ushort v17, v[14:15], off
	v_add_co_u32_e32 v12, vcc, 2, v12
	v_addc_co_u32_e32 v13, vcc, 0, v13, vcc
	v_add_co_u32_e32 v14, vcc, 2, v14
	v_addc_co_u32_e32 v15, vcc, 0, v15, vcc
	s_add_u32 s44, s44, 1
	s_addc_u32 s45, s45, 0
	s_andn2_b64 s[42:43], s[42:43], exec
	s_waitcnt vmcnt(1)
	v_lshlrev_b32_e32 v16, 16, v16
	s_waitcnt vmcnt(0)
	v_lshlrev_b32_e32 v17, 16, v17
	v_cmp_neq_f32_e32 vcc, v17, v16
	s_and_b64 s[46:47], vcc, exec
	s_or_b64 s[42:43], s[42:43], s[46:47]
.LBB1175_202:                           ;   in Loop: Header=BB1175_203 Depth=1
	s_and_b64 s[46:47], exec, s[42:43]
	s_or_b64 s[2:3], s[46:47], s[2:3]
	v_pk_mov_b32 v[16:17], s[44:45], s[44:45] op_sel:[0,1]
	s_andn2_b64 exec, exec, s[2:3]
	s_cbranch_execz .LBB1175_205
.LBB1175_203:                           ; =>This Inner Loop Header: Depth=1
	s_or_b64 s[42:43], s[42:43], exec
	s_cmp_eq_u64 s[0:1], s[44:45]
	s_cbranch_scc0 .LBB1175_201
; %bb.204:                              ;   in Loop: Header=BB1175_203 Depth=1
                                        ; implicit-def: $vgpr12_vgpr13
                                        ; implicit-def: $vgpr14_vgpr15
	s_mov_b64 s[44:45], s[26:27]
	s_branch .LBB1175_202
.LBB1175_205:
	s_or_b64 exec, exec, s[2:3]
	v_cmp_gt_i64_e32 vcc, s[26:27], v[16:17]
	s_orn2_b64 s[42:43], vcc, exec
.LBB1175_206:
	s_or_b64 exec, exec, s[38:39]
.LBB1175_207:
	s_and_b64 s[38:39], s[42:43], exec
.LBB1175_208:
	s_or_b64 exec, exec, s[40:41]
	v_cmp_gt_u32_e32 vcc, s7, v24
	s_and_saveexec_b64 s[40:41], vcc
	s_cbranch_execz .LBB1175_219
; %bb.209:
	s_andn2_b64 vcc, exec, s[14:15]
	s_mov_b64 s[42:43], 0
	s_cbranch_vccnz .LBB1175_218
; %bb.210:
	v_mul_lo_u32 v14, v7, s26
	v_mul_lo_u32 v15, v6, s27
	v_mad_u64_u32 v[12:13], s[0:1], v6, s26, 0
	v_add3_u32 v13, v13, v15, v14
	v_mul_lo_u32 v14, v9, s26
	v_mul_lo_u32 v15, v8, s27
	v_mad_u64_u32 v[18:19], s[0:1], v8, s26, 0
	v_add3_u32 v19, v19, v15, v14
	v_lshlrev_b64 v[14:15], 1, v[12:13]
	v_mov_b32_e32 v12, s29
	v_add_co_u32_e32 v16, vcc, s28, v14
	v_addc_co_u32_e64 v17, s[0:1], v12, v15, vcc
	v_lshlrev_b64 v[12:13], 1, v[18:19]
	v_mov_b32_e32 v14, s29
	v_add_co_u32_e64 v18, s[0:1], s28, v12
	v_addc_co_u32_e64 v19, s[2:3], v14, v13, s[0:1]
	global_load_ushort v12, v[18:19], off
	global_load_ushort v14, v[16:17], off
	s_mov_b64 s[42:43], -1
	s_waitcnt vmcnt(1)
	v_lshlrev_b32_e32 v12, 16, v12
	s_waitcnt vmcnt(0)
	v_lshlrev_b32_e32 v14, 16, v14
	v_cmp_eq_f32_e64 s[2:3], v14, v12
	s_and_saveexec_b64 s[36:37], s[2:3]
	s_cbranch_execz .LBB1175_217
; %bb.211:
	v_mov_b32_e32 v12, s29
	v_addc_co_u32_e64 v13, s[0:1], v13, v12, s[0:1]
	v_add_co_u32_e64 v12, s[0:1], 2, v18
	v_mov_b32_e32 v14, s29
	v_addc_co_u32_e64 v13, s[0:1], 0, v13, s[0:1]
	v_addc_co_u32_e32 v15, vcc, v15, v14, vcc
	v_add_co_u32_e32 v14, vcc, 2, v16
	s_add_u32 s0, s26, -1
	v_addc_co_u32_e32 v15, vcc, 0, v15, vcc
	s_addc_u32 s1, s27, -1
	s_mov_b64 s[2:3], 0
	s_mov_b64 s[44:45], 0
                                        ; implicit-def: $sgpr42_sgpr43
	s_branch .LBB1175_214
.LBB1175_212:                           ;   in Loop: Header=BB1175_214 Depth=1
	global_load_ushort v16, v[12:13], off
	global_load_ushort v17, v[14:15], off
	v_add_co_u32_e32 v12, vcc, 2, v12
	v_addc_co_u32_e32 v13, vcc, 0, v13, vcc
	v_add_co_u32_e32 v14, vcc, 2, v14
	v_addc_co_u32_e32 v15, vcc, 0, v15, vcc
	s_add_u32 s44, s44, 1
	s_addc_u32 s45, s45, 0
	s_andn2_b64 s[42:43], s[42:43], exec
	s_waitcnt vmcnt(1)
	v_lshlrev_b32_e32 v16, 16, v16
	s_waitcnt vmcnt(0)
	v_lshlrev_b32_e32 v17, 16, v17
	v_cmp_neq_f32_e32 vcc, v17, v16
	s_and_b64 s[46:47], vcc, exec
	s_or_b64 s[42:43], s[42:43], s[46:47]
.LBB1175_213:                           ;   in Loop: Header=BB1175_214 Depth=1
	s_and_b64 s[46:47], exec, s[42:43]
	s_or_b64 s[2:3], s[46:47], s[2:3]
	v_pk_mov_b32 v[16:17], s[44:45], s[44:45] op_sel:[0,1]
	s_andn2_b64 exec, exec, s[2:3]
	s_cbranch_execz .LBB1175_216
.LBB1175_214:                           ; =>This Inner Loop Header: Depth=1
	s_or_b64 s[42:43], s[42:43], exec
	s_cmp_eq_u64 s[0:1], s[44:45]
	s_cbranch_scc0 .LBB1175_212
; %bb.215:                              ;   in Loop: Header=BB1175_214 Depth=1
                                        ; implicit-def: $vgpr12_vgpr13
                                        ; implicit-def: $vgpr14_vgpr15
	s_mov_b64 s[44:45], s[26:27]
	s_branch .LBB1175_213
.LBB1175_216:
	s_or_b64 exec, exec, s[2:3]
	v_cmp_gt_i64_e32 vcc, s[26:27], v[16:17]
	s_orn2_b64 s[42:43], vcc, exec
.LBB1175_217:
	s_or_b64 exec, exec, s[36:37]
.LBB1175_218:
	s_and_b64 s[36:37], s[42:43], exec
.LBB1175_219:
	s_or_b64 exec, exec, s[40:41]
	v_cndmask_b32_e64 v13, 0, 1, s[18:19]
	v_cndmask_b32_e64 v14, 0, 1, s[36:37]
	;; [unrolled: 1-line block ×3, first 2 shown]
	v_lshlrev_b16_e32 v14, 8, v14
	v_lshlrev_b16_e32 v13, 8, v13
	v_or_b32_e32 v14, 1, v14
	v_or_b32_sdwa v12, v12, v13 dst_sel:WORD_1 dst_unused:UNUSED_PAD src0_sel:DWORD src1_sel:DWORD
	v_or_b32_sdwa v12, v14, v12 dst_sel:DWORD dst_unused:UNUSED_PAD src0_sel:WORD_0 src1_sel:DWORD
	v_cndmask_b32_e64 v13, 0, 1, s[8:9]
	v_cmp_ne_u32_e32 vcc, 0, v0
	s_waitcnt lgkmcnt(0)
	s_barrier
	s_waitcnt lgkmcnt(0)
                                        ; implicit-def: $sgpr18_sgpr19
                                        ; implicit-def: $vgpr16
	s_and_saveexec_b64 s[8:9], vcc
	s_cbranch_execz .LBB1175_232
; %bb.220:
	v_cmp_gt_u32_e32 vcc, s7, v1
	s_mov_b32 s33, 0x3020104
	s_mov_b64 s[0:1], 0
	s_and_saveexec_b64 s[18:19], vcc
	s_cbranch_execz .LBB1175_231
; %bb.221:
	s_andn2_b64 vcc, exec, s[14:15]
	s_mov_b64 s[36:37], 0
	s_cbranch_vccnz .LBB1175_230
; %bb.222:
	v_add_u32_e32 v14, -8, v26
	ds_read_b64 v[14:15], v14
	v_mul_lo_u32 v16, v7, s26
	v_mad_u64_u32 v[20:21], s[0:1], v6, s26, 0
	s_mov_b64 s[36:37], -1
	s_waitcnt lgkmcnt(0)
	v_mul_lo_u32 v17, v15, s26
	v_mul_lo_u32 v18, v14, s27
	v_mad_u64_u32 v[14:15], s[0:1], v14, s26, 0
	v_add3_u32 v15, v15, v18, v17
	v_mul_lo_u32 v17, v6, s27
	v_add3_u32 v21, v21, v17, v16
	v_lshlrev_b64 v[16:17], 1, v[14:15]
	v_mov_b32_e32 v14, s29
	v_add_co_u32_e32 v18, vcc, s28, v16
	v_addc_co_u32_e64 v19, s[0:1], v14, v17, vcc
	v_lshlrev_b64 v[14:15], 1, v[20:21]
	v_mov_b32_e32 v16, s29
	v_add_co_u32_e64 v20, s[0:1], s28, v14
	v_addc_co_u32_e64 v21, s[2:3], v16, v15, s[0:1]
	global_load_ushort v14, v[20:21], off
	global_load_ushort v16, v[18:19], off
	s_waitcnt vmcnt(1)
	v_lshlrev_b32_e32 v14, 16, v14
	s_waitcnt vmcnt(0)
	v_lshlrev_b32_e32 v16, 16, v16
	v_cmp_eq_f32_e64 s[2:3], v16, v14
	s_and_saveexec_b64 s[14:15], s[2:3]
	s_cbranch_execz .LBB1175_229
; %bb.223:
	v_mov_b32_e32 v14, s29
	v_addc_co_u32_e64 v15, s[0:1], v15, v14, s[0:1]
	v_add_co_u32_e64 v14, s[0:1], 2, v20
	v_mov_b32_e32 v16, s29
	v_addc_co_u32_e64 v15, s[0:1], 0, v15, s[0:1]
	v_addc_co_u32_e32 v17, vcc, v17, v16, vcc
	v_add_co_u32_e32 v16, vcc, 2, v18
	s_add_u32 s0, s26, -1
	v_addc_co_u32_e32 v17, vcc, 0, v17, vcc
	s_addc_u32 s1, s27, -1
	s_mov_b64 s[2:3], 0
	s_mov_b64 s[36:37], 0
                                        ; implicit-def: $sgpr28_sgpr29
	s_branch .LBB1175_226
.LBB1175_224:                           ;   in Loop: Header=BB1175_226 Depth=1
	global_load_ushort v18, v[14:15], off
	global_load_ushort v19, v[16:17], off
	v_add_co_u32_e32 v14, vcc, 2, v14
	v_addc_co_u32_e32 v15, vcc, 0, v15, vcc
	v_add_co_u32_e32 v16, vcc, 2, v16
	v_addc_co_u32_e32 v17, vcc, 0, v17, vcc
	s_add_u32 s36, s36, 1
	s_addc_u32 s37, s37, 0
	s_andn2_b64 s[28:29], s[28:29], exec
	s_waitcnt vmcnt(1)
	v_lshlrev_b32_e32 v18, 16, v18
	s_waitcnt vmcnt(0)
	v_lshlrev_b32_e32 v19, 16, v19
	v_cmp_neq_f32_e32 vcc, v19, v18
	s_and_b64 s[38:39], vcc, exec
	s_or_b64 s[28:29], s[28:29], s[38:39]
.LBB1175_225:                           ;   in Loop: Header=BB1175_226 Depth=1
	s_and_b64 s[38:39], exec, s[28:29]
	s_or_b64 s[2:3], s[38:39], s[2:3]
	v_pk_mov_b32 v[18:19], s[36:37], s[36:37] op_sel:[0,1]
	s_andn2_b64 exec, exec, s[2:3]
	s_cbranch_execz .LBB1175_228
.LBB1175_226:                           ; =>This Inner Loop Header: Depth=1
	s_or_b64 s[28:29], s[28:29], exec
	s_cmp_eq_u64 s[0:1], s[36:37]
	s_cbranch_scc0 .LBB1175_224
; %bb.227:                              ;   in Loop: Header=BB1175_226 Depth=1
                                        ; implicit-def: $vgpr14_vgpr15
                                        ; implicit-def: $vgpr16_vgpr17
	s_mov_b64 s[36:37], s[26:27]
	s_branch .LBB1175_225
.LBB1175_228:
	s_or_b64 exec, exec, s[2:3]
	v_cmp_gt_i64_e32 vcc, s[26:27], v[18:19]
	s_orn2_b64 s[36:37], vcc, exec
.LBB1175_229:
	s_or_b64 exec, exec, s[14:15]
.LBB1175_230:
	s_and_b64 s[0:1], s[36:37], exec
.LBB1175_231:
	s_or_b64 exec, exec, s[18:19]
	v_perm_b32 v16, v12, v12, s33
	s_and_b64 s[18:19], s[0:1], exec
	s_or_b64 s[12:13], s[12:13], exec
.LBB1175_232:
	s_or_b64 exec, exec, s[8:9]
.LBB1175_233:
	s_and_saveexec_b64 s[0:1], s[12:13]
	s_cbranch_execz .LBB1175_235
; %bb.234:
	v_lshrrev_b32_e32 v14, 24, v16
	s_movk_i32 s2, 0xff
	v_lshlrev_b16_e32 v14, 8, v14
	v_and_b32_sdwa v15, v16, s2 dst_sel:DWORD dst_unused:UNUSED_PAD src0_sel:WORD_1 src1_sel:DWORD
	v_or_b32_sdwa v14, v15, v14 dst_sel:WORD_1 dst_unused:UNUSED_PAD src0_sel:DWORD src1_sel:DWORD
	v_mov_b32_e32 v15, 8
	v_cndmask_b32_e64 v12, 0, 1, s[18:19]
	v_lshrrev_b32_sdwa v15, v15, v16 dst_sel:BYTE_1 dst_unused:UNUSED_PAD src0_sel:DWORD src1_sel:DWORD
	v_or_b32_e32 v12, v12, v15
	s_mov_b32 s2, 0xffff
	v_or_b32_sdwa v12, v12, v14 dst_sel:DWORD dst_unused:UNUSED_PAD src0_sel:WORD_0 src1_sel:DWORD
	v_and_b32_sdwa v13, s2, v13 dst_sel:DWORD dst_unused:UNUSED_PAD src0_sel:DWORD src1_sel:BYTE_0
.LBB1175_235:
	s_or_b64 exec, exec, s[0:1]
	s_andn2_b64 vcc, exec, s[10:11]
	s_cbranch_vccnz .LBB1175_237
; %bb.236:
	v_cmp_gt_u32_e32 vcc, s7, v1
	v_cndmask_b32_e32 v1, 0, v12, vcc
	v_and_b32_e32 v1, 0xffff00ff, v1
	v_cmp_gt_u32_e64 s[0:1], s7, v24
	v_cndmask_b32_e64 v1, v1, v12, s[0:1]
	v_lshrrev_b32_e32 v14, 24, v1
	s_mov_b32 s2, 0x40c0100
	v_perm_b32 v1, v14, v1, s2
	v_cmp_gt_u32_e64 s[2:3], s7, v22
	v_cmp_gt_u32_e64 s[8:9], s7, v25
	v_cndmask_b32_e64 v1, v1, v12, s[2:3]
	s_or_b64 s[2:3], s[8:9], s[2:3]
	s_or_b64 s[0:1], s[2:3], s[0:1]
	s_or_b64 vcc, s[0:1], vcc
	v_and_b32_e32 v1, 0xffffff, v1
	v_cndmask_b32_e32 v14, 0, v13, vcc
	v_cndmask_b32_e64 v1, v1, v12, s[8:9]
	v_and_b32_e32 v14, 0xffffff00, v14
	v_cmp_gt_u32_e32 vcc, s7, v23
	v_cndmask_b32_e32 v1, v1, v12, vcc
	v_cndmask_b32_e32 v12, v14, v13, vcc
	s_mov_b32 s0, 0x3020104
	v_and_b32_e32 v13, 0xff, v12
	v_perm_b32 v12, v1, v1, s0
.LBB1175_237:
	v_and_b32_e32 v1, 0xff, v12
	v_bfe_u32 v25, v12, 8, 8
	v_bfe_u32 v27, v12, 16, 8
	v_alignbit_b32 v14, v13, v12, 24
	v_and_b32_e32 v28, 0xff, v14
	v_and_b32_e32 v14, 0xff, v13
	v_add3_u32 v15, v25, v1, v27
	v_add3_u32 v31, v15, v28, v14
	v_mbcnt_lo_u32_b32 v14, -1, 0
	v_mbcnt_hi_u32_b32 v29, -1, v14
	v_and_b32_e32 v14, 15, v29
	v_cmp_eq_u32_e64 s[14:15], 0, v14
	v_cmp_lt_u32_e64 s[12:13], 1, v14
	v_cmp_lt_u32_e64 s[10:11], 3, v14
	;; [unrolled: 1-line block ×3, first 2 shown]
	v_and_b32_e32 v14, 16, v29
	v_cmp_eq_u32_e64 s[18:19], 0, v14
	v_or_b32_e32 v14, 63, v0
	v_cmp_lt_u32_e64 s[0:1], 31, v29
	v_lshrrev_b32_e32 v30, 6, v0
	v_cmp_eq_u32_e64 s[2:3], v14, v0
	s_and_b64 vcc, exec, s[16:17]
	s_waitcnt lgkmcnt(0)
	s_barrier
	s_cbranch_vccz .LBB1175_264
; %bb.238:
	v_mov_b32_dpp v14, v31 row_shr:1 row_mask:0xf bank_mask:0xf
	v_cndmask_b32_e64 v14, v14, 0, s[14:15]
	v_add_u32_e32 v14, v14, v31
	s_nop 1
	v_mov_b32_dpp v15, v14 row_shr:2 row_mask:0xf bank_mask:0xf
	v_cndmask_b32_e64 v15, 0, v15, s[12:13]
	v_add_u32_e32 v14, v14, v15
	s_nop 1
	;; [unrolled: 4-line block ×4, first 2 shown]
	v_mov_b32_dpp v15, v14 row_bcast:15 row_mask:0xf bank_mask:0xf
	v_cndmask_b32_e64 v15, v15, 0, s[18:19]
	v_add_u32_e32 v14, v14, v15
	s_nop 1
	v_mov_b32_dpp v15, v14 row_bcast:31 row_mask:0xf bank_mask:0xf
	v_cndmask_b32_e64 v15, 0, v15, s[0:1]
	v_add_u32_e32 v14, v14, v15
	s_and_saveexec_b64 s[16:17], s[2:3]
	s_cbranch_execz .LBB1175_240
; %bb.239:
	v_lshlrev_b32_e32 v15, 2, v30
	ds_write_b32 v15, v14
.LBB1175_240:
	s_or_b64 exec, exec, s[16:17]
	v_cmp_gt_u32_e32 vcc, 4, v0
	s_waitcnt lgkmcnt(0)
	s_barrier
	s_and_saveexec_b64 s[16:17], vcc
	s_cbranch_execz .LBB1175_242
; %bb.241:
	v_lshlrev_b32_e32 v15, 2, v0
	ds_read_b32 v16, v15
	v_and_b32_e32 v17, 3, v29
	v_cmp_ne_u32_e32 vcc, 0, v17
	s_waitcnt lgkmcnt(0)
	v_mov_b32_dpp v18, v16 row_shr:1 row_mask:0xf bank_mask:0xf
	v_cndmask_b32_e32 v18, 0, v18, vcc
	v_add_u32_e32 v16, v18, v16
	v_cmp_lt_u32_e32 vcc, 1, v17
	s_nop 0
	v_mov_b32_dpp v18, v16 row_shr:2 row_mask:0xf bank_mask:0xf
	v_cndmask_b32_e32 v17, 0, v18, vcc
	v_add_u32_e32 v16, v16, v17
	ds_write_b32 v15, v16
.LBB1175_242:
	s_or_b64 exec, exec, s[16:17]
	v_cmp_gt_u32_e32 vcc, 64, v0
	v_cmp_lt_u32_e64 s[16:17], 63, v0
	s_waitcnt lgkmcnt(0)
	s_barrier
	s_waitcnt lgkmcnt(0)
                                        ; implicit-def: $vgpr24
	s_and_saveexec_b64 s[26:27], s[16:17]
	s_cbranch_execz .LBB1175_244
; %bb.243:
	v_lshl_add_u32 v15, v30, 2, -4
	ds_read_b32 v24, v15
	s_waitcnt lgkmcnt(0)
	v_add_u32_e32 v14, v24, v14
.LBB1175_244:
	s_or_b64 exec, exec, s[26:27]
	v_add_u32_e32 v15, -1, v29
	v_and_b32_e32 v16, 64, v29
	v_cmp_lt_i32_e64 s[16:17], v15, v16
	v_cndmask_b32_e64 v15, v15, v29, s[16:17]
	v_lshlrev_b32_e32 v15, 2, v15
	ds_bpermute_b32 v26, v15, v14
	v_cmp_eq_u32_e64 s[16:17], 0, v29
	s_and_saveexec_b64 s[26:27], vcc
	s_cbranch_execz .LBB1175_263
; %bb.245:
	v_mov_b32_e32 v21, 0
	ds_read_b32 v14, v21 offset:12
	s_and_saveexec_b64 s[28:29], s[16:17]
	s_cbranch_execz .LBB1175_247
; %bb.246:
	s_add_i32 s36, s6, 64
	s_mov_b32 s37, 0
	s_lshl_b64 s[36:37], s[36:37], 3
	s_add_u32 s36, s30, s36
	v_mov_b32_e32 v15, 1
	s_addc_u32 s37, s31, s37
	s_waitcnt lgkmcnt(0)
	global_store_dwordx2 v21, v[14:15], s[36:37]
.LBB1175_247:
	s_or_b64 exec, exec, s[28:29]
	v_xad_u32 v16, v29, -1, s6
	v_add_u32_e32 v20, 64, v16
	v_lshlrev_b64 v[18:19], 3, v[20:21]
	v_mov_b32_e32 v15, s31
	v_add_co_u32_e32 v22, vcc, s30, v18
	v_addc_co_u32_e32 v23, vcc, v15, v19, vcc
	global_load_dwordx2 v[18:19], v[22:23], off glc
	s_waitcnt vmcnt(0)
	v_cmp_eq_u16_sdwa s[36:37], v19, v21 src0_sel:BYTE_0 src1_sel:DWORD
	s_and_saveexec_b64 s[28:29], s[36:37]
	s_cbranch_execz .LBB1175_251
; %bb.248:
	s_mov_b64 s[36:37], 0
	v_mov_b32_e32 v15, 0
.LBB1175_249:                           ; =>This Inner Loop Header: Depth=1
	global_load_dwordx2 v[18:19], v[22:23], off glc
	s_waitcnt vmcnt(0)
	v_cmp_ne_u16_sdwa s[38:39], v19, v15 src0_sel:BYTE_0 src1_sel:DWORD
	s_or_b64 s[36:37], s[38:39], s[36:37]
	s_andn2_b64 exec, exec, s[36:37]
	s_cbranch_execnz .LBB1175_249
; %bb.250:
	s_or_b64 exec, exec, s[36:37]
.LBB1175_251:
	s_or_b64 exec, exec, s[28:29]
	v_and_b32_e32 v32, 63, v29
	v_mov_b32_e32 v15, 2
	v_cmp_ne_u32_e32 vcc, 63, v32
	v_cmp_eq_u16_sdwa s[28:29], v19, v15 src0_sel:BYTE_0 src1_sel:DWORD
	v_lshlrev_b64 v[20:21], v29, -1
	v_addc_co_u32_e32 v23, vcc, 0, v29, vcc
	v_and_b32_e32 v17, s29, v21
	v_lshlrev_b32_e32 v33, 2, v23
	v_or_b32_e32 v17, 0x80000000, v17
	ds_bpermute_b32 v23, v33, v18
	v_and_b32_e32 v22, s28, v20
	v_ffbl_b32_e32 v17, v17
	v_add_u32_e32 v17, 32, v17
	v_ffbl_b32_e32 v22, v22
	v_min_u32_e32 v17, v22, v17
	v_cmp_lt_u32_e32 vcc, v32, v17
	s_waitcnt lgkmcnt(0)
	v_cndmask_b32_e32 v22, 0, v23, vcc
	v_cmp_gt_u32_e32 vcc, 62, v32
	v_add_u32_e32 v18, v22, v18
	v_cndmask_b32_e64 v22, 0, 1, vcc
	v_lshlrev_b32_e32 v22, 1, v22
	v_add_lshl_u32 v34, v22, v29, 2
	ds_bpermute_b32 v22, v34, v18
	v_add_u32_e32 v35, 2, v32
	v_cmp_le_u32_e32 vcc, v35, v17
	v_add_u32_e32 v37, 4, v32
	v_add_u32_e32 v39, 8, v32
	s_waitcnt lgkmcnt(0)
	v_cndmask_b32_e32 v22, 0, v22, vcc
	v_cmp_gt_u32_e32 vcc, 60, v32
	v_add_u32_e32 v18, v18, v22
	v_cndmask_b32_e64 v22, 0, 1, vcc
	v_lshlrev_b32_e32 v22, 2, v22
	v_add_lshl_u32 v36, v22, v29, 2
	ds_bpermute_b32 v22, v36, v18
	v_cmp_le_u32_e32 vcc, v37, v17
	v_add_u32_e32 v42, 16, v32
	v_add_u32_e32 v44, 32, v32
	s_waitcnt lgkmcnt(0)
	v_cndmask_b32_e32 v22, 0, v22, vcc
	v_cmp_gt_u32_e32 vcc, 56, v32
	v_add_u32_e32 v18, v18, v22
	v_cndmask_b32_e64 v22, 0, 1, vcc
	v_lshlrev_b32_e32 v22, 3, v22
	v_add_lshl_u32 v38, v22, v29, 2
	ds_bpermute_b32 v22, v38, v18
	v_cmp_le_u32_e32 vcc, v39, v17
	s_waitcnt lgkmcnt(0)
	v_cndmask_b32_e32 v22, 0, v22, vcc
	v_cmp_gt_u32_e32 vcc, 48, v32
	v_add_u32_e32 v18, v18, v22
	v_cndmask_b32_e64 v22, 0, 1, vcc
	v_lshlrev_b32_e32 v22, 4, v22
	v_add_lshl_u32 v41, v22, v29, 2
	ds_bpermute_b32 v22, v41, v18
	v_cmp_le_u32_e32 vcc, v42, v17
	;; [unrolled: 9-line block ×3, first 2 shown]
	s_waitcnt lgkmcnt(0)
	v_cndmask_b32_e32 v17, 0, v22, vcc
	v_add_u32_e32 v18, v18, v17
	v_mov_b32_e32 v17, 0
	s_branch .LBB1175_253
.LBB1175_252:                           ;   in Loop: Header=BB1175_253 Depth=1
	s_or_b64 exec, exec, s[28:29]
	v_cmp_eq_u16_sdwa s[28:29], v19, v15 src0_sel:BYTE_0 src1_sel:DWORD
	v_and_b32_e32 v22, s29, v21
	v_or_b32_e32 v22, 0x80000000, v22
	ds_bpermute_b32 v45, v33, v18
	v_and_b32_e32 v23, s28, v20
	v_ffbl_b32_e32 v22, v22
	v_add_u32_e32 v22, 32, v22
	v_ffbl_b32_e32 v23, v23
	v_min_u32_e32 v22, v23, v22
	v_cmp_lt_u32_e32 vcc, v32, v22
	s_waitcnt lgkmcnt(0)
	v_cndmask_b32_e32 v23, 0, v45, vcc
	v_add_u32_e32 v18, v23, v18
	ds_bpermute_b32 v23, v34, v18
	v_cmp_le_u32_e32 vcc, v35, v22
	v_subrev_u32_e32 v16, 64, v16
	s_waitcnt lgkmcnt(0)
	v_cndmask_b32_e32 v23, 0, v23, vcc
	v_add_u32_e32 v18, v18, v23
	ds_bpermute_b32 v23, v36, v18
	v_cmp_le_u32_e32 vcc, v37, v22
	s_waitcnt lgkmcnt(0)
	v_cndmask_b32_e32 v23, 0, v23, vcc
	v_add_u32_e32 v18, v18, v23
	ds_bpermute_b32 v23, v38, v18
	v_cmp_le_u32_e32 vcc, v39, v22
	;; [unrolled: 5-line block ×4, first 2 shown]
	s_waitcnt lgkmcnt(0)
	v_cndmask_b32_e32 v22, 0, v23, vcc
	v_add3_u32 v18, v22, v40, v18
.LBB1175_253:                           ; =>This Loop Header: Depth=1
                                        ;     Child Loop BB1175_256 Depth 2
	v_cmp_ne_u16_sdwa s[28:29], v19, v15 src0_sel:BYTE_0 src1_sel:DWORD
	v_cndmask_b32_e64 v19, 0, 1, s[28:29]
	;;#ASMSTART
	;;#ASMEND
	v_cmp_ne_u32_e32 vcc, 0, v19
	s_cmp_lg_u64 vcc, exec
	v_mov_b32_e32 v40, v18
	s_cbranch_scc1 .LBB1175_258
; %bb.254:                              ;   in Loop: Header=BB1175_253 Depth=1
	v_lshlrev_b64 v[18:19], 3, v[16:17]
	v_mov_b32_e32 v23, s31
	v_add_co_u32_e32 v22, vcc, s30, v18
	v_addc_co_u32_e32 v23, vcc, v23, v19, vcc
	global_load_dwordx2 v[18:19], v[22:23], off glc
	s_waitcnt vmcnt(0)
	v_cmp_eq_u16_sdwa s[36:37], v19, v17 src0_sel:BYTE_0 src1_sel:DWORD
	s_and_saveexec_b64 s[28:29], s[36:37]
	s_cbranch_execz .LBB1175_252
; %bb.255:                              ;   in Loop: Header=BB1175_253 Depth=1
	s_mov_b64 s[36:37], 0
.LBB1175_256:                           ;   Parent Loop BB1175_253 Depth=1
                                        ; =>  This Inner Loop Header: Depth=2
	global_load_dwordx2 v[18:19], v[22:23], off glc
	s_waitcnt vmcnt(0)
	v_cmp_ne_u16_sdwa s[38:39], v19, v17 src0_sel:BYTE_0 src1_sel:DWORD
	s_or_b64 s[36:37], s[38:39], s[36:37]
	s_andn2_b64 exec, exec, s[36:37]
	s_cbranch_execnz .LBB1175_256
; %bb.257:                              ;   in Loop: Header=BB1175_253 Depth=1
	s_or_b64 exec, exec, s[36:37]
	s_branch .LBB1175_252
.LBB1175_258:                           ;   in Loop: Header=BB1175_253 Depth=1
                                        ; implicit-def: $vgpr18
                                        ; implicit-def: $vgpr19
	s_cbranch_execz .LBB1175_253
; %bb.259:
	s_and_saveexec_b64 s[28:29], s[16:17]
	s_cbranch_execz .LBB1175_261
; %bb.260:
	s_add_i32 s6, s6, 64
	s_mov_b32 s7, 0
	s_lshl_b64 s[6:7], s[6:7], 3
	s_add_u32 s6, s30, s6
	v_add_u32_e32 v16, v40, v14
	v_mov_b32_e32 v17, 2
	s_addc_u32 s7, s31, s7
	v_mov_b32_e32 v15, 0
	global_store_dwordx2 v15, v[16:17], s[6:7]
	s_movk_i32 s6, 0x2800
	v_add_u32_e64 v15, s6, 0
	ds_write2_b32 v15, v14, v40 offset1:2
.LBB1175_261:
	s_or_b64 exec, exec, s[28:29]
	v_cmp_eq_u32_e32 vcc, 0, v0
	s_and_b64 exec, exec, vcc
	s_cbranch_execz .LBB1175_263
; %bb.262:
	v_mov_b32_e32 v14, 0
	ds_write_b32 v14, v40 offset:12
.LBB1175_263:
	s_or_b64 exec, exec, s[26:27]
	v_mov_b32_e32 v14, 0
	s_waitcnt lgkmcnt(0)
	s_barrier
	ds_read_b32 v14, v14 offset:12
	v_cndmask_b32_e64 v15, v26, v24, s[16:17]
	v_cmp_ne_u32_e32 vcc, 0, v0
	v_cndmask_b32_e32 v15, 0, v15, vcc
	s_movk_i32 s6, 0x2800
	s_waitcnt lgkmcnt(0)
	v_add_u32_e32 v26, v14, v15
	v_add_u32_e64 v14, s6, 0
	s_barrier
	ds_read2_b32 v[14:15], v14 offset1:2
	v_add_u32_e32 v24, v26, v1
	v_add_u32_e32 v22, v24, v25
	;; [unrolled: 1-line block ×4, first 2 shown]
	s_load_dwordx2 s[4:5], s[4:5], 0x28
	v_lshrrev_b64 v[16:17], 24, v[12:13]
	s_branch .LBB1175_274
.LBB1175_264:
                                        ; implicit-def: $vgpr18
                                        ; implicit-def: $vgpr20
                                        ; implicit-def: $vgpr22
                                        ; implicit-def: $vgpr24
                                        ; implicit-def: $vgpr26
                                        ; implicit-def: $vgpr15
	s_load_dwordx2 s[4:5], s[4:5], 0x28
	v_lshrrev_b64 v[16:17], 24, v[12:13]
	s_cbranch_execz .LBB1175_274
; %bb.265:
	s_waitcnt lgkmcnt(0)
	v_mov_b32_dpp v14, v31 row_shr:1 row_mask:0xf bank_mask:0xf
	v_cndmask_b32_e64 v14, v14, 0, s[14:15]
	v_add_u32_e32 v14, v14, v31
	s_nop 1
	v_mov_b32_dpp v15, v14 row_shr:2 row_mask:0xf bank_mask:0xf
	v_cndmask_b32_e64 v15, 0, v15, s[12:13]
	v_add_u32_e32 v14, v14, v15
	s_nop 1
	;; [unrolled: 4-line block ×4, first 2 shown]
	v_mov_b32_dpp v15, v14 row_bcast:15 row_mask:0xf bank_mask:0xf
	v_cndmask_b32_e64 v15, v15, 0, s[18:19]
	v_add_u32_e32 v14, v14, v15
	s_nop 1
	v_mov_b32_dpp v15, v14 row_bcast:31 row_mask:0xf bank_mask:0xf
	v_cndmask_b32_e64 v15, 0, v15, s[0:1]
	v_add_u32_e32 v14, v14, v15
	s_and_saveexec_b64 s[0:1], s[2:3]
	s_cbranch_execz .LBB1175_267
; %bb.266:
	v_lshlrev_b32_e32 v15, 2, v30
	ds_write_b32 v15, v14
.LBB1175_267:
	s_or_b64 exec, exec, s[0:1]
	v_cmp_gt_u32_e32 vcc, 4, v0
	s_waitcnt lgkmcnt(0)
	s_barrier
	s_and_saveexec_b64 s[0:1], vcc
	s_cbranch_execz .LBB1175_269
; %bb.268:
	v_lshlrev_b32_e32 v15, 2, v0
	ds_read_b32 v17, v15
	v_and_b32_e32 v18, 3, v29
	v_cmp_ne_u32_e32 vcc, 0, v18
	s_waitcnt lgkmcnt(0)
	v_mov_b32_dpp v19, v17 row_shr:1 row_mask:0xf bank_mask:0xf
	v_cndmask_b32_e32 v19, 0, v19, vcc
	v_add_u32_e32 v17, v19, v17
	v_cmp_lt_u32_e32 vcc, 1, v18
	s_nop 0
	v_mov_b32_dpp v19, v17 row_shr:2 row_mask:0xf bank_mask:0xf
	v_cndmask_b32_e32 v18, 0, v19, vcc
	v_add_u32_e32 v17, v17, v18
	ds_write_b32 v15, v17
.LBB1175_269:
	s_or_b64 exec, exec, s[0:1]
	v_cmp_lt_u32_e32 vcc, 63, v0
	v_mov_b32_e32 v15, 0
	v_mov_b32_e32 v17, 0
	s_waitcnt lgkmcnt(0)
	s_barrier
	s_and_saveexec_b64 s[0:1], vcc
	s_cbranch_execz .LBB1175_271
; %bb.270:
	v_lshl_add_u32 v17, v30, 2, -4
	ds_read_b32 v17, v17
.LBB1175_271:
	s_or_b64 exec, exec, s[0:1]
	v_add_u32_e32 v18, -1, v29
	v_and_b32_e32 v19, 64, v29
	v_cmp_lt_i32_e32 vcc, v18, v19
	v_cndmask_b32_e32 v18, v18, v29, vcc
	s_waitcnt lgkmcnt(0)
	v_add_u32_e32 v14, v17, v14
	v_lshlrev_b32_e32 v18, 2, v18
	ds_bpermute_b32 v18, v18, v14
	ds_read_b32 v14, v15 offset:12
	v_cmp_eq_u32_e32 vcc, 0, v0
	s_and_saveexec_b64 s[0:1], vcc
	s_cbranch_execz .LBB1175_273
; %bb.272:
	v_mov_b32_e32 v19, 0
	v_mov_b32_e32 v15, 2
	s_waitcnt lgkmcnt(0)
	global_store_dwordx2 v19, v[14:15], s[30:31] offset:512
.LBB1175_273:
	s_or_b64 exec, exec, s[0:1]
	v_cmp_eq_u32_e64 s[0:1], 0, v29
	s_waitcnt lgkmcnt(1)
	v_cndmask_b32_e64 v17, v18, v17, s[0:1]
	v_cndmask_b32_e64 v26, v17, 0, vcc
	v_add_u32_e32 v24, v26, v1
	v_add_u32_e32 v22, v24, v25
	v_add_u32_e32 v20, v22, v27
	v_mov_b32_e32 v15, 0
	v_add_u32_e32 v18, v20, v28
	s_waitcnt lgkmcnt(0)
	s_barrier
.LBB1175_274:
	s_movk_i32 s0, 0x101
	s_waitcnt lgkmcnt(0)
	v_cmp_gt_u32_e32 vcc, s0, v14
	v_lshrrev_b32_e32 v1, 8, v12
	s_mov_b64 s[0:1], -1
	s_cbranch_vccnz .LBB1175_278
; %bb.275:
	s_and_b64 vcc, exec, s[0:1]
	s_cbranch_vccnz .LBB1175_294
.LBB1175_276:
	v_cmp_eq_u32_e32 vcc, 0, v0
	s_and_b64 s[0:1], vcc, s[24:25]
	s_and_saveexec_b64 s[2:3], s[0:1]
	s_cbranch_execnz .LBB1175_308
.LBB1175_277:
	s_endpgm
.LBB1175_278:
	v_add_u32_e32 v17, v15, v14
	v_cmp_lt_u32_e32 vcc, v26, v17
	s_or_b64 s[2:3], s[34:35], vcc
	s_and_saveexec_b64 s[0:1], s[2:3]
	s_cbranch_execz .LBB1175_281
; %bb.279:
	v_and_b32_e32 v19, 1, v12
	v_cmp_eq_u32_e32 vcc, 1, v19
	s_and_b64 exec, exec, vcc
	s_cbranch_execz .LBB1175_281
; %bb.280:
	s_lshl_b64 s[2:3], s[22:23], 3
	s_add_u32 s2, s4, s2
	v_mov_b32_e32 v27, 0
	s_addc_u32 s3, s5, s3
	v_lshlrev_b64 v[28:29], 3, v[26:27]
	v_mov_b32_e32 v19, s3
	v_add_co_u32_e32 v28, vcc, s2, v28
	v_addc_co_u32_e32 v29, vcc, v19, v29, vcc
	global_store_dwordx2 v[28:29], v[6:7], off
.LBB1175_281:
	s_or_b64 exec, exec, s[0:1]
	v_cmp_lt_u32_e32 vcc, v24, v17
	s_or_b64 s[2:3], s[34:35], vcc
	s_and_saveexec_b64 s[0:1], s[2:3]
	s_cbranch_execz .LBB1175_284
; %bb.282:
	v_and_b32_e32 v19, 1, v1
	v_cmp_eq_u32_e32 vcc, 1, v19
	s_and_b64 exec, exec, vcc
	s_cbranch_execz .LBB1175_284
; %bb.283:
	s_lshl_b64 s[2:3], s[22:23], 3
	s_add_u32 s2, s4, s2
	v_mov_b32_e32 v25, 0
	s_addc_u32 s3, s5, s3
	v_lshlrev_b64 v[28:29], 3, v[24:25]
	v_mov_b32_e32 v19, s3
	v_add_co_u32_e32 v28, vcc, s2, v28
	v_addc_co_u32_e32 v29, vcc, v19, v29, vcc
	global_store_dwordx2 v[28:29], v[8:9], off
.LBB1175_284:
	s_or_b64 exec, exec, s[0:1]
	v_cmp_lt_u32_e32 vcc, v22, v17
	s_or_b64 s[2:3], s[34:35], vcc
	s_and_saveexec_b64 s[0:1], s[2:3]
	s_cbranch_execz .LBB1175_287
; %bb.285:
	v_mov_b32_e32 v19, 1
	v_and_b32_sdwa v19, v19, v12 dst_sel:DWORD dst_unused:UNUSED_PAD src0_sel:DWORD src1_sel:WORD_1
	v_cmp_eq_u32_e32 vcc, 1, v19
	s_and_b64 exec, exec, vcc
	s_cbranch_execz .LBB1175_287
; %bb.286:
	s_lshl_b64 s[2:3], s[22:23], 3
	s_add_u32 s2, s4, s2
	v_mov_b32_e32 v23, 0
	s_addc_u32 s3, s5, s3
	v_lshlrev_b64 v[28:29], 3, v[22:23]
	v_mov_b32_e32 v19, s3
	v_add_co_u32_e32 v28, vcc, s2, v28
	v_addc_co_u32_e32 v29, vcc, v19, v29, vcc
	global_store_dwordx2 v[28:29], v[2:3], off
.LBB1175_287:
	s_or_b64 exec, exec, s[0:1]
	v_cmp_lt_u32_e32 vcc, v20, v17
	s_or_b64 s[2:3], s[34:35], vcc
	s_and_saveexec_b64 s[0:1], s[2:3]
	s_cbranch_execz .LBB1175_290
; %bb.288:
	v_and_b32_e32 v19, 1, v16
	v_cmp_eq_u32_e32 vcc, 1, v19
	s_and_b64 exec, exec, vcc
	s_cbranch_execz .LBB1175_290
; %bb.289:
	s_lshl_b64 s[2:3], s[22:23], 3
	s_add_u32 s2, s4, s2
	v_mov_b32_e32 v21, 0
	s_addc_u32 s3, s5, s3
	v_lshlrev_b64 v[28:29], 3, v[20:21]
	v_mov_b32_e32 v19, s3
	v_add_co_u32_e32 v28, vcc, s2, v28
	v_addc_co_u32_e32 v29, vcc, v19, v29, vcc
	global_store_dwordx2 v[28:29], v[4:5], off
.LBB1175_290:
	s_or_b64 exec, exec, s[0:1]
	v_cmp_lt_u32_e32 vcc, v18, v17
	s_or_b64 s[2:3], s[34:35], vcc
	s_and_saveexec_b64 s[0:1], s[2:3]
	s_cbranch_execz .LBB1175_293
; %bb.291:
	v_and_b32_e32 v17, 1, v13
	v_cmp_eq_u32_e32 vcc, 1, v17
	s_and_b64 exec, exec, vcc
	s_cbranch_execz .LBB1175_293
; %bb.292:
	s_lshl_b64 s[2:3], s[22:23], 3
	s_add_u32 s2, s4, s2
	v_mov_b32_e32 v19, 0
	s_addc_u32 s3, s5, s3
	v_lshlrev_b64 v[28:29], 3, v[18:19]
	v_mov_b32_e32 v17, s3
	v_add_co_u32_e32 v28, vcc, s2, v28
	v_addc_co_u32_e32 v29, vcc, v17, v29, vcc
	global_store_dwordx2 v[28:29], v[10:11], off
.LBB1175_293:
	s_or_b64 exec, exec, s[0:1]
	s_branch .LBB1175_276
.LBB1175_294:
	v_and_b32_e32 v17, 1, v12
	v_cmp_eq_u32_e32 vcc, 1, v17
	s_and_saveexec_b64 s[0:1], vcc
	s_cbranch_execz .LBB1175_296
; %bb.295:
	v_sub_u32_e32 v17, v26, v15
	v_lshlrev_b32_e32 v17, 3, v17
	ds_write_b64 v17, v[6:7]
.LBB1175_296:
	s_or_b64 exec, exec, s[0:1]
	v_and_b32_e32 v1, 1, v1
	v_cmp_eq_u32_e32 vcc, 1, v1
	s_and_saveexec_b64 s[0:1], vcc
	s_cbranch_execz .LBB1175_298
; %bb.297:
	v_sub_u32_e32 v1, v24, v15
	v_lshlrev_b32_e32 v1, 3, v1
	ds_write_b64 v1, v[8:9]
.LBB1175_298:
	s_or_b64 exec, exec, s[0:1]
	v_mov_b32_e32 v1, 1
	v_and_b32_sdwa v1, v1, v12 dst_sel:DWORD dst_unused:UNUSED_PAD src0_sel:DWORD src1_sel:WORD_1
	v_cmp_eq_u32_e32 vcc, 1, v1
	s_and_saveexec_b64 s[0:1], vcc
	s_cbranch_execz .LBB1175_300
; %bb.299:
	v_sub_u32_e32 v1, v22, v15
	v_lshlrev_b32_e32 v1, 3, v1
	ds_write_b64 v1, v[2:3]
.LBB1175_300:
	s_or_b64 exec, exec, s[0:1]
	v_and_b32_e32 v1, 1, v16
	v_cmp_eq_u32_e32 vcc, 1, v1
	s_and_saveexec_b64 s[0:1], vcc
	s_cbranch_execz .LBB1175_302
; %bb.301:
	v_sub_u32_e32 v1, v20, v15
	v_lshlrev_b32_e32 v1, 3, v1
	ds_write_b64 v1, v[4:5]
.LBB1175_302:
	s_or_b64 exec, exec, s[0:1]
	v_and_b32_e32 v1, 1, v13
	v_cmp_eq_u32_e32 vcc, 1, v1
	s_and_saveexec_b64 s[0:1], vcc
	s_cbranch_execz .LBB1175_304
; %bb.303:
	v_sub_u32_e32 v1, v18, v15
	v_lshlrev_b32_e32 v1, 3, v1
	ds_write_b64 v1, v[10:11]
.LBB1175_304:
	s_or_b64 exec, exec, s[0:1]
	v_cmp_lt_u32_e32 vcc, v0, v14
	s_waitcnt lgkmcnt(0)
	s_barrier
	s_and_saveexec_b64 s[0:1], vcc
	s_cbranch_execz .LBB1175_307
; %bb.305:
	v_mov_b32_e32 v3, 0
	v_mov_b32_e32 v2, v15
	v_lshlrev_b64 v[4:5], 3, v[2:3]
	v_mov_b32_e32 v1, s5
	v_add_co_u32_e32 v2, vcc, s4, v4
	v_addc_co_u32_e32 v4, vcc, v1, v5, vcc
	s_lshl_b64 s[2:3], s[22:23], 3
	v_mov_b32_e32 v5, s3
	v_add_co_u32_e32 v1, vcc, s2, v2
	v_addc_co_u32_e32 v4, vcc, v4, v5, vcc
	v_lshlrev_b32_e32 v5, 3, v0
	s_mov_b64 s[2:3], 0
	v_mov_b32_e32 v2, v0
.LBB1175_306:                           ; =>This Inner Loop Header: Depth=1
	ds_read_b64 v[6:7], v5
	v_lshlrev_b64 v[8:9], 3, v[2:3]
	v_add_co_u32_e32 v8, vcc, v1, v8
	v_add_u32_e32 v2, 0x100, v2
	v_addc_co_u32_e32 v9, vcc, v4, v9, vcc
	v_cmp_ge_u32_e32 vcc, v2, v14
	v_add_u32_e32 v5, 0x800, v5
	s_or_b64 s[2:3], vcc, s[2:3]
	s_waitcnt lgkmcnt(0)
	global_store_dwordx2 v[8:9], v[6:7], off
	s_andn2_b64 exec, exec, s[2:3]
	s_cbranch_execnz .LBB1175_306
.LBB1175_307:
	s_or_b64 exec, exec, s[0:1]
	v_cmp_eq_u32_e32 vcc, 0, v0
	s_and_b64 s[0:1], vcc, s[24:25]
	s_and_saveexec_b64 s[2:3], s[0:1]
	s_cbranch_execz .LBB1175_277
.LBB1175_308:
	v_mov_b32_e32 v0, s23
	v_add_co_u32_e32 v1, vcc, s22, v14
	v_addc_co_u32_e32 v3, vcc, 0, v0, vcc
	v_add_co_u32_e32 v0, vcc, v1, v15
	v_mov_b32_e32 v2, 0
	v_addc_co_u32_e32 v1, vcc, 0, v3, vcc
	global_store_dwordx2 v2, v[0:1], s[20:21]
	s_endpgm
	.section	.rodata,"a",@progbits
	.p2align	6, 0x0
	.amdhsa_kernel _ZN7rocprim17ROCPRIM_400000_NS6detail17trampoline_kernelINS0_14default_configENS1_25partition_config_selectorILNS1_17partition_subalgoE8ElNS0_10empty_typeEbEEZZNS1_14partition_implILS5_8ELb0ES3_jPlPS6_PKS6_NS0_5tupleIJS9_S6_EEENSD_IJSA_SA_EEENS0_18inequality_wrapperIZN2at6native12_GLOBAL__N_124unique_dim_cuda_templateIN3c108BFloat16EEESt5tupleIJNSH_6TensorESO_SO_EERKSO_lbbbEUlllE0_EEPmJS6_EEE10hipError_tPvRmT3_T4_T5_T6_T7_T9_mT8_P12ihipStream_tbDpT10_ENKUlT_T0_E_clISt17integral_constantIbLb0EES1E_EEDaS19_S1A_EUlS19_E_NS1_11comp_targetILNS1_3genE4ELNS1_11target_archE910ELNS1_3gpuE8ELNS1_3repE0EEENS1_30default_config_static_selectorELNS0_4arch9wavefront6targetE1EEEvT1_
		.amdhsa_group_segment_fixed_size 10252
		.amdhsa_private_segment_fixed_size 0
		.amdhsa_kernarg_size 120
		.amdhsa_user_sgpr_count 6
		.amdhsa_user_sgpr_private_segment_buffer 1
		.amdhsa_user_sgpr_dispatch_ptr 0
		.amdhsa_user_sgpr_queue_ptr 0
		.amdhsa_user_sgpr_kernarg_segment_ptr 1
		.amdhsa_user_sgpr_dispatch_id 0
		.amdhsa_user_sgpr_flat_scratch_init 0
		.amdhsa_user_sgpr_kernarg_preload_length 0
		.amdhsa_user_sgpr_kernarg_preload_offset 0
		.amdhsa_user_sgpr_private_segment_size 0
		.amdhsa_uses_dynamic_stack 0
		.amdhsa_system_sgpr_private_segment_wavefront_offset 0
		.amdhsa_system_sgpr_workgroup_id_x 1
		.amdhsa_system_sgpr_workgroup_id_y 0
		.amdhsa_system_sgpr_workgroup_id_z 0
		.amdhsa_system_sgpr_workgroup_info 0
		.amdhsa_system_vgpr_workitem_id 0
		.amdhsa_next_free_vgpr 46
		.amdhsa_next_free_sgpr 48
		.amdhsa_accum_offset 48
		.amdhsa_reserve_vcc 1
		.amdhsa_reserve_flat_scratch 0
		.amdhsa_float_round_mode_32 0
		.amdhsa_float_round_mode_16_64 0
		.amdhsa_float_denorm_mode_32 3
		.amdhsa_float_denorm_mode_16_64 3
		.amdhsa_dx10_clamp 1
		.amdhsa_ieee_mode 1
		.amdhsa_fp16_overflow 0
		.amdhsa_tg_split 0
		.amdhsa_exception_fp_ieee_invalid_op 0
		.amdhsa_exception_fp_denorm_src 0
		.amdhsa_exception_fp_ieee_div_zero 0
		.amdhsa_exception_fp_ieee_overflow 0
		.amdhsa_exception_fp_ieee_underflow 0
		.amdhsa_exception_fp_ieee_inexact 0
		.amdhsa_exception_int_div_zero 0
	.end_amdhsa_kernel
	.section	.text._ZN7rocprim17ROCPRIM_400000_NS6detail17trampoline_kernelINS0_14default_configENS1_25partition_config_selectorILNS1_17partition_subalgoE8ElNS0_10empty_typeEbEEZZNS1_14partition_implILS5_8ELb0ES3_jPlPS6_PKS6_NS0_5tupleIJS9_S6_EEENSD_IJSA_SA_EEENS0_18inequality_wrapperIZN2at6native12_GLOBAL__N_124unique_dim_cuda_templateIN3c108BFloat16EEESt5tupleIJNSH_6TensorESO_SO_EERKSO_lbbbEUlllE0_EEPmJS6_EEE10hipError_tPvRmT3_T4_T5_T6_T7_T9_mT8_P12ihipStream_tbDpT10_ENKUlT_T0_E_clISt17integral_constantIbLb0EES1E_EEDaS19_S1A_EUlS19_E_NS1_11comp_targetILNS1_3genE4ELNS1_11target_archE910ELNS1_3gpuE8ELNS1_3repE0EEENS1_30default_config_static_selectorELNS0_4arch9wavefront6targetE1EEEvT1_,"axG",@progbits,_ZN7rocprim17ROCPRIM_400000_NS6detail17trampoline_kernelINS0_14default_configENS1_25partition_config_selectorILNS1_17partition_subalgoE8ElNS0_10empty_typeEbEEZZNS1_14partition_implILS5_8ELb0ES3_jPlPS6_PKS6_NS0_5tupleIJS9_S6_EEENSD_IJSA_SA_EEENS0_18inequality_wrapperIZN2at6native12_GLOBAL__N_124unique_dim_cuda_templateIN3c108BFloat16EEESt5tupleIJNSH_6TensorESO_SO_EERKSO_lbbbEUlllE0_EEPmJS6_EEE10hipError_tPvRmT3_T4_T5_T6_T7_T9_mT8_P12ihipStream_tbDpT10_ENKUlT_T0_E_clISt17integral_constantIbLb0EES1E_EEDaS19_S1A_EUlS19_E_NS1_11comp_targetILNS1_3genE4ELNS1_11target_archE910ELNS1_3gpuE8ELNS1_3repE0EEENS1_30default_config_static_selectorELNS0_4arch9wavefront6targetE1EEEvT1_,comdat
.Lfunc_end1175:
	.size	_ZN7rocprim17ROCPRIM_400000_NS6detail17trampoline_kernelINS0_14default_configENS1_25partition_config_selectorILNS1_17partition_subalgoE8ElNS0_10empty_typeEbEEZZNS1_14partition_implILS5_8ELb0ES3_jPlPS6_PKS6_NS0_5tupleIJS9_S6_EEENSD_IJSA_SA_EEENS0_18inequality_wrapperIZN2at6native12_GLOBAL__N_124unique_dim_cuda_templateIN3c108BFloat16EEESt5tupleIJNSH_6TensorESO_SO_EERKSO_lbbbEUlllE0_EEPmJS6_EEE10hipError_tPvRmT3_T4_T5_T6_T7_T9_mT8_P12ihipStream_tbDpT10_ENKUlT_T0_E_clISt17integral_constantIbLb0EES1E_EEDaS19_S1A_EUlS19_E_NS1_11comp_targetILNS1_3genE4ELNS1_11target_archE910ELNS1_3gpuE8ELNS1_3repE0EEENS1_30default_config_static_selectorELNS0_4arch9wavefront6targetE1EEEvT1_, .Lfunc_end1175-_ZN7rocprim17ROCPRIM_400000_NS6detail17trampoline_kernelINS0_14default_configENS1_25partition_config_selectorILNS1_17partition_subalgoE8ElNS0_10empty_typeEbEEZZNS1_14partition_implILS5_8ELb0ES3_jPlPS6_PKS6_NS0_5tupleIJS9_S6_EEENSD_IJSA_SA_EEENS0_18inequality_wrapperIZN2at6native12_GLOBAL__N_124unique_dim_cuda_templateIN3c108BFloat16EEESt5tupleIJNSH_6TensorESO_SO_EERKSO_lbbbEUlllE0_EEPmJS6_EEE10hipError_tPvRmT3_T4_T5_T6_T7_T9_mT8_P12ihipStream_tbDpT10_ENKUlT_T0_E_clISt17integral_constantIbLb0EES1E_EEDaS19_S1A_EUlS19_E_NS1_11comp_targetILNS1_3genE4ELNS1_11target_archE910ELNS1_3gpuE8ELNS1_3repE0EEENS1_30default_config_static_selectorELNS0_4arch9wavefront6targetE1EEEvT1_
                                        ; -- End function
	.section	.AMDGPU.csdata,"",@progbits
; Kernel info:
; codeLenInByte = 11856
; NumSgprs: 52
; NumVgprs: 46
; NumAgprs: 0
; TotalNumVgprs: 46
; ScratchSize: 0
; MemoryBound: 0
; FloatMode: 240
; IeeeMode: 1
; LDSByteSize: 10252 bytes/workgroup (compile time only)
; SGPRBlocks: 6
; VGPRBlocks: 5
; NumSGPRsForWavesPerEU: 52
; NumVGPRsForWavesPerEU: 46
; AccumOffset: 48
; Occupancy: 6
; WaveLimiterHint : 1
; COMPUTE_PGM_RSRC2:SCRATCH_EN: 0
; COMPUTE_PGM_RSRC2:USER_SGPR: 6
; COMPUTE_PGM_RSRC2:TRAP_HANDLER: 0
; COMPUTE_PGM_RSRC2:TGID_X_EN: 1
; COMPUTE_PGM_RSRC2:TGID_Y_EN: 0
; COMPUTE_PGM_RSRC2:TGID_Z_EN: 0
; COMPUTE_PGM_RSRC2:TIDIG_COMP_CNT: 0
; COMPUTE_PGM_RSRC3_GFX90A:ACCUM_OFFSET: 11
; COMPUTE_PGM_RSRC3_GFX90A:TG_SPLIT: 0
	.section	.text._ZN7rocprim17ROCPRIM_400000_NS6detail17trampoline_kernelINS0_14default_configENS1_25partition_config_selectorILNS1_17partition_subalgoE8ElNS0_10empty_typeEbEEZZNS1_14partition_implILS5_8ELb0ES3_jPlPS6_PKS6_NS0_5tupleIJS9_S6_EEENSD_IJSA_SA_EEENS0_18inequality_wrapperIZN2at6native12_GLOBAL__N_124unique_dim_cuda_templateIN3c108BFloat16EEESt5tupleIJNSH_6TensorESO_SO_EERKSO_lbbbEUlllE0_EEPmJS6_EEE10hipError_tPvRmT3_T4_T5_T6_T7_T9_mT8_P12ihipStream_tbDpT10_ENKUlT_T0_E_clISt17integral_constantIbLb0EES1E_EEDaS19_S1A_EUlS19_E_NS1_11comp_targetILNS1_3genE3ELNS1_11target_archE908ELNS1_3gpuE7ELNS1_3repE0EEENS1_30default_config_static_selectorELNS0_4arch9wavefront6targetE1EEEvT1_,"axG",@progbits,_ZN7rocprim17ROCPRIM_400000_NS6detail17trampoline_kernelINS0_14default_configENS1_25partition_config_selectorILNS1_17partition_subalgoE8ElNS0_10empty_typeEbEEZZNS1_14partition_implILS5_8ELb0ES3_jPlPS6_PKS6_NS0_5tupleIJS9_S6_EEENSD_IJSA_SA_EEENS0_18inequality_wrapperIZN2at6native12_GLOBAL__N_124unique_dim_cuda_templateIN3c108BFloat16EEESt5tupleIJNSH_6TensorESO_SO_EERKSO_lbbbEUlllE0_EEPmJS6_EEE10hipError_tPvRmT3_T4_T5_T6_T7_T9_mT8_P12ihipStream_tbDpT10_ENKUlT_T0_E_clISt17integral_constantIbLb0EES1E_EEDaS19_S1A_EUlS19_E_NS1_11comp_targetILNS1_3genE3ELNS1_11target_archE908ELNS1_3gpuE7ELNS1_3repE0EEENS1_30default_config_static_selectorELNS0_4arch9wavefront6targetE1EEEvT1_,comdat
	.globl	_ZN7rocprim17ROCPRIM_400000_NS6detail17trampoline_kernelINS0_14default_configENS1_25partition_config_selectorILNS1_17partition_subalgoE8ElNS0_10empty_typeEbEEZZNS1_14partition_implILS5_8ELb0ES3_jPlPS6_PKS6_NS0_5tupleIJS9_S6_EEENSD_IJSA_SA_EEENS0_18inequality_wrapperIZN2at6native12_GLOBAL__N_124unique_dim_cuda_templateIN3c108BFloat16EEESt5tupleIJNSH_6TensorESO_SO_EERKSO_lbbbEUlllE0_EEPmJS6_EEE10hipError_tPvRmT3_T4_T5_T6_T7_T9_mT8_P12ihipStream_tbDpT10_ENKUlT_T0_E_clISt17integral_constantIbLb0EES1E_EEDaS19_S1A_EUlS19_E_NS1_11comp_targetILNS1_3genE3ELNS1_11target_archE908ELNS1_3gpuE7ELNS1_3repE0EEENS1_30default_config_static_selectorELNS0_4arch9wavefront6targetE1EEEvT1_ ; -- Begin function _ZN7rocprim17ROCPRIM_400000_NS6detail17trampoline_kernelINS0_14default_configENS1_25partition_config_selectorILNS1_17partition_subalgoE8ElNS0_10empty_typeEbEEZZNS1_14partition_implILS5_8ELb0ES3_jPlPS6_PKS6_NS0_5tupleIJS9_S6_EEENSD_IJSA_SA_EEENS0_18inequality_wrapperIZN2at6native12_GLOBAL__N_124unique_dim_cuda_templateIN3c108BFloat16EEESt5tupleIJNSH_6TensorESO_SO_EERKSO_lbbbEUlllE0_EEPmJS6_EEE10hipError_tPvRmT3_T4_T5_T6_T7_T9_mT8_P12ihipStream_tbDpT10_ENKUlT_T0_E_clISt17integral_constantIbLb0EES1E_EEDaS19_S1A_EUlS19_E_NS1_11comp_targetILNS1_3genE3ELNS1_11target_archE908ELNS1_3gpuE7ELNS1_3repE0EEENS1_30default_config_static_selectorELNS0_4arch9wavefront6targetE1EEEvT1_
	.p2align	8
	.type	_ZN7rocprim17ROCPRIM_400000_NS6detail17trampoline_kernelINS0_14default_configENS1_25partition_config_selectorILNS1_17partition_subalgoE8ElNS0_10empty_typeEbEEZZNS1_14partition_implILS5_8ELb0ES3_jPlPS6_PKS6_NS0_5tupleIJS9_S6_EEENSD_IJSA_SA_EEENS0_18inequality_wrapperIZN2at6native12_GLOBAL__N_124unique_dim_cuda_templateIN3c108BFloat16EEESt5tupleIJNSH_6TensorESO_SO_EERKSO_lbbbEUlllE0_EEPmJS6_EEE10hipError_tPvRmT3_T4_T5_T6_T7_T9_mT8_P12ihipStream_tbDpT10_ENKUlT_T0_E_clISt17integral_constantIbLb0EES1E_EEDaS19_S1A_EUlS19_E_NS1_11comp_targetILNS1_3genE3ELNS1_11target_archE908ELNS1_3gpuE7ELNS1_3repE0EEENS1_30default_config_static_selectorELNS0_4arch9wavefront6targetE1EEEvT1_,@function
_ZN7rocprim17ROCPRIM_400000_NS6detail17trampoline_kernelINS0_14default_configENS1_25partition_config_selectorILNS1_17partition_subalgoE8ElNS0_10empty_typeEbEEZZNS1_14partition_implILS5_8ELb0ES3_jPlPS6_PKS6_NS0_5tupleIJS9_S6_EEENSD_IJSA_SA_EEENS0_18inequality_wrapperIZN2at6native12_GLOBAL__N_124unique_dim_cuda_templateIN3c108BFloat16EEESt5tupleIJNSH_6TensorESO_SO_EERKSO_lbbbEUlllE0_EEPmJS6_EEE10hipError_tPvRmT3_T4_T5_T6_T7_T9_mT8_P12ihipStream_tbDpT10_ENKUlT_T0_E_clISt17integral_constantIbLb0EES1E_EEDaS19_S1A_EUlS19_E_NS1_11comp_targetILNS1_3genE3ELNS1_11target_archE908ELNS1_3gpuE7ELNS1_3repE0EEENS1_30default_config_static_selectorELNS0_4arch9wavefront6targetE1EEEvT1_: ; @_ZN7rocprim17ROCPRIM_400000_NS6detail17trampoline_kernelINS0_14default_configENS1_25partition_config_selectorILNS1_17partition_subalgoE8ElNS0_10empty_typeEbEEZZNS1_14partition_implILS5_8ELb0ES3_jPlPS6_PKS6_NS0_5tupleIJS9_S6_EEENSD_IJSA_SA_EEENS0_18inequality_wrapperIZN2at6native12_GLOBAL__N_124unique_dim_cuda_templateIN3c108BFloat16EEESt5tupleIJNSH_6TensorESO_SO_EERKSO_lbbbEUlllE0_EEPmJS6_EEE10hipError_tPvRmT3_T4_T5_T6_T7_T9_mT8_P12ihipStream_tbDpT10_ENKUlT_T0_E_clISt17integral_constantIbLb0EES1E_EEDaS19_S1A_EUlS19_E_NS1_11comp_targetILNS1_3genE3ELNS1_11target_archE908ELNS1_3gpuE7ELNS1_3repE0EEENS1_30default_config_static_selectorELNS0_4arch9wavefront6targetE1EEEvT1_
; %bb.0:
	.section	.rodata,"a",@progbits
	.p2align	6, 0x0
	.amdhsa_kernel _ZN7rocprim17ROCPRIM_400000_NS6detail17trampoline_kernelINS0_14default_configENS1_25partition_config_selectorILNS1_17partition_subalgoE8ElNS0_10empty_typeEbEEZZNS1_14partition_implILS5_8ELb0ES3_jPlPS6_PKS6_NS0_5tupleIJS9_S6_EEENSD_IJSA_SA_EEENS0_18inequality_wrapperIZN2at6native12_GLOBAL__N_124unique_dim_cuda_templateIN3c108BFloat16EEESt5tupleIJNSH_6TensorESO_SO_EERKSO_lbbbEUlllE0_EEPmJS6_EEE10hipError_tPvRmT3_T4_T5_T6_T7_T9_mT8_P12ihipStream_tbDpT10_ENKUlT_T0_E_clISt17integral_constantIbLb0EES1E_EEDaS19_S1A_EUlS19_E_NS1_11comp_targetILNS1_3genE3ELNS1_11target_archE908ELNS1_3gpuE7ELNS1_3repE0EEENS1_30default_config_static_selectorELNS0_4arch9wavefront6targetE1EEEvT1_
		.amdhsa_group_segment_fixed_size 0
		.amdhsa_private_segment_fixed_size 0
		.amdhsa_kernarg_size 120
		.amdhsa_user_sgpr_count 6
		.amdhsa_user_sgpr_private_segment_buffer 1
		.amdhsa_user_sgpr_dispatch_ptr 0
		.amdhsa_user_sgpr_queue_ptr 0
		.amdhsa_user_sgpr_kernarg_segment_ptr 1
		.amdhsa_user_sgpr_dispatch_id 0
		.amdhsa_user_sgpr_flat_scratch_init 0
		.amdhsa_user_sgpr_kernarg_preload_length 0
		.amdhsa_user_sgpr_kernarg_preload_offset 0
		.amdhsa_user_sgpr_private_segment_size 0
		.amdhsa_uses_dynamic_stack 0
		.amdhsa_system_sgpr_private_segment_wavefront_offset 0
		.amdhsa_system_sgpr_workgroup_id_x 1
		.amdhsa_system_sgpr_workgroup_id_y 0
		.amdhsa_system_sgpr_workgroup_id_z 0
		.amdhsa_system_sgpr_workgroup_info 0
		.amdhsa_system_vgpr_workitem_id 0
		.amdhsa_next_free_vgpr 1
		.amdhsa_next_free_sgpr 0
		.amdhsa_accum_offset 4
		.amdhsa_reserve_vcc 0
		.amdhsa_reserve_flat_scratch 0
		.amdhsa_float_round_mode_32 0
		.amdhsa_float_round_mode_16_64 0
		.amdhsa_float_denorm_mode_32 3
		.amdhsa_float_denorm_mode_16_64 3
		.amdhsa_dx10_clamp 1
		.amdhsa_ieee_mode 1
		.amdhsa_fp16_overflow 0
		.amdhsa_tg_split 0
		.amdhsa_exception_fp_ieee_invalid_op 0
		.amdhsa_exception_fp_denorm_src 0
		.amdhsa_exception_fp_ieee_div_zero 0
		.amdhsa_exception_fp_ieee_overflow 0
		.amdhsa_exception_fp_ieee_underflow 0
		.amdhsa_exception_fp_ieee_inexact 0
		.amdhsa_exception_int_div_zero 0
	.end_amdhsa_kernel
	.section	.text._ZN7rocprim17ROCPRIM_400000_NS6detail17trampoline_kernelINS0_14default_configENS1_25partition_config_selectorILNS1_17partition_subalgoE8ElNS0_10empty_typeEbEEZZNS1_14partition_implILS5_8ELb0ES3_jPlPS6_PKS6_NS0_5tupleIJS9_S6_EEENSD_IJSA_SA_EEENS0_18inequality_wrapperIZN2at6native12_GLOBAL__N_124unique_dim_cuda_templateIN3c108BFloat16EEESt5tupleIJNSH_6TensorESO_SO_EERKSO_lbbbEUlllE0_EEPmJS6_EEE10hipError_tPvRmT3_T4_T5_T6_T7_T9_mT8_P12ihipStream_tbDpT10_ENKUlT_T0_E_clISt17integral_constantIbLb0EES1E_EEDaS19_S1A_EUlS19_E_NS1_11comp_targetILNS1_3genE3ELNS1_11target_archE908ELNS1_3gpuE7ELNS1_3repE0EEENS1_30default_config_static_selectorELNS0_4arch9wavefront6targetE1EEEvT1_,"axG",@progbits,_ZN7rocprim17ROCPRIM_400000_NS6detail17trampoline_kernelINS0_14default_configENS1_25partition_config_selectorILNS1_17partition_subalgoE8ElNS0_10empty_typeEbEEZZNS1_14partition_implILS5_8ELb0ES3_jPlPS6_PKS6_NS0_5tupleIJS9_S6_EEENSD_IJSA_SA_EEENS0_18inequality_wrapperIZN2at6native12_GLOBAL__N_124unique_dim_cuda_templateIN3c108BFloat16EEESt5tupleIJNSH_6TensorESO_SO_EERKSO_lbbbEUlllE0_EEPmJS6_EEE10hipError_tPvRmT3_T4_T5_T6_T7_T9_mT8_P12ihipStream_tbDpT10_ENKUlT_T0_E_clISt17integral_constantIbLb0EES1E_EEDaS19_S1A_EUlS19_E_NS1_11comp_targetILNS1_3genE3ELNS1_11target_archE908ELNS1_3gpuE7ELNS1_3repE0EEENS1_30default_config_static_selectorELNS0_4arch9wavefront6targetE1EEEvT1_,comdat
.Lfunc_end1176:
	.size	_ZN7rocprim17ROCPRIM_400000_NS6detail17trampoline_kernelINS0_14default_configENS1_25partition_config_selectorILNS1_17partition_subalgoE8ElNS0_10empty_typeEbEEZZNS1_14partition_implILS5_8ELb0ES3_jPlPS6_PKS6_NS0_5tupleIJS9_S6_EEENSD_IJSA_SA_EEENS0_18inequality_wrapperIZN2at6native12_GLOBAL__N_124unique_dim_cuda_templateIN3c108BFloat16EEESt5tupleIJNSH_6TensorESO_SO_EERKSO_lbbbEUlllE0_EEPmJS6_EEE10hipError_tPvRmT3_T4_T5_T6_T7_T9_mT8_P12ihipStream_tbDpT10_ENKUlT_T0_E_clISt17integral_constantIbLb0EES1E_EEDaS19_S1A_EUlS19_E_NS1_11comp_targetILNS1_3genE3ELNS1_11target_archE908ELNS1_3gpuE7ELNS1_3repE0EEENS1_30default_config_static_selectorELNS0_4arch9wavefront6targetE1EEEvT1_, .Lfunc_end1176-_ZN7rocprim17ROCPRIM_400000_NS6detail17trampoline_kernelINS0_14default_configENS1_25partition_config_selectorILNS1_17partition_subalgoE8ElNS0_10empty_typeEbEEZZNS1_14partition_implILS5_8ELb0ES3_jPlPS6_PKS6_NS0_5tupleIJS9_S6_EEENSD_IJSA_SA_EEENS0_18inequality_wrapperIZN2at6native12_GLOBAL__N_124unique_dim_cuda_templateIN3c108BFloat16EEESt5tupleIJNSH_6TensorESO_SO_EERKSO_lbbbEUlllE0_EEPmJS6_EEE10hipError_tPvRmT3_T4_T5_T6_T7_T9_mT8_P12ihipStream_tbDpT10_ENKUlT_T0_E_clISt17integral_constantIbLb0EES1E_EEDaS19_S1A_EUlS19_E_NS1_11comp_targetILNS1_3genE3ELNS1_11target_archE908ELNS1_3gpuE7ELNS1_3repE0EEENS1_30default_config_static_selectorELNS0_4arch9wavefront6targetE1EEEvT1_
                                        ; -- End function
	.section	.AMDGPU.csdata,"",@progbits
; Kernel info:
; codeLenInByte = 0
; NumSgprs: 4
; NumVgprs: 0
; NumAgprs: 0
; TotalNumVgprs: 0
; ScratchSize: 0
; MemoryBound: 0
; FloatMode: 240
; IeeeMode: 1
; LDSByteSize: 0 bytes/workgroup (compile time only)
; SGPRBlocks: 0
; VGPRBlocks: 0
; NumSGPRsForWavesPerEU: 4
; NumVGPRsForWavesPerEU: 1
; AccumOffset: 4
; Occupancy: 8
; WaveLimiterHint : 0
; COMPUTE_PGM_RSRC2:SCRATCH_EN: 0
; COMPUTE_PGM_RSRC2:USER_SGPR: 6
; COMPUTE_PGM_RSRC2:TRAP_HANDLER: 0
; COMPUTE_PGM_RSRC2:TGID_X_EN: 1
; COMPUTE_PGM_RSRC2:TGID_Y_EN: 0
; COMPUTE_PGM_RSRC2:TGID_Z_EN: 0
; COMPUTE_PGM_RSRC2:TIDIG_COMP_CNT: 0
; COMPUTE_PGM_RSRC3_GFX90A:ACCUM_OFFSET: 0
; COMPUTE_PGM_RSRC3_GFX90A:TG_SPLIT: 0
	.section	.text._ZN7rocprim17ROCPRIM_400000_NS6detail17trampoline_kernelINS0_14default_configENS1_25partition_config_selectorILNS1_17partition_subalgoE8ElNS0_10empty_typeEbEEZZNS1_14partition_implILS5_8ELb0ES3_jPlPS6_PKS6_NS0_5tupleIJS9_S6_EEENSD_IJSA_SA_EEENS0_18inequality_wrapperIZN2at6native12_GLOBAL__N_124unique_dim_cuda_templateIN3c108BFloat16EEESt5tupleIJNSH_6TensorESO_SO_EERKSO_lbbbEUlllE0_EEPmJS6_EEE10hipError_tPvRmT3_T4_T5_T6_T7_T9_mT8_P12ihipStream_tbDpT10_ENKUlT_T0_E_clISt17integral_constantIbLb0EES1E_EEDaS19_S1A_EUlS19_E_NS1_11comp_targetILNS1_3genE2ELNS1_11target_archE906ELNS1_3gpuE6ELNS1_3repE0EEENS1_30default_config_static_selectorELNS0_4arch9wavefront6targetE1EEEvT1_,"axG",@progbits,_ZN7rocprim17ROCPRIM_400000_NS6detail17trampoline_kernelINS0_14default_configENS1_25partition_config_selectorILNS1_17partition_subalgoE8ElNS0_10empty_typeEbEEZZNS1_14partition_implILS5_8ELb0ES3_jPlPS6_PKS6_NS0_5tupleIJS9_S6_EEENSD_IJSA_SA_EEENS0_18inequality_wrapperIZN2at6native12_GLOBAL__N_124unique_dim_cuda_templateIN3c108BFloat16EEESt5tupleIJNSH_6TensorESO_SO_EERKSO_lbbbEUlllE0_EEPmJS6_EEE10hipError_tPvRmT3_T4_T5_T6_T7_T9_mT8_P12ihipStream_tbDpT10_ENKUlT_T0_E_clISt17integral_constantIbLb0EES1E_EEDaS19_S1A_EUlS19_E_NS1_11comp_targetILNS1_3genE2ELNS1_11target_archE906ELNS1_3gpuE6ELNS1_3repE0EEENS1_30default_config_static_selectorELNS0_4arch9wavefront6targetE1EEEvT1_,comdat
	.globl	_ZN7rocprim17ROCPRIM_400000_NS6detail17trampoline_kernelINS0_14default_configENS1_25partition_config_selectorILNS1_17partition_subalgoE8ElNS0_10empty_typeEbEEZZNS1_14partition_implILS5_8ELb0ES3_jPlPS6_PKS6_NS0_5tupleIJS9_S6_EEENSD_IJSA_SA_EEENS0_18inequality_wrapperIZN2at6native12_GLOBAL__N_124unique_dim_cuda_templateIN3c108BFloat16EEESt5tupleIJNSH_6TensorESO_SO_EERKSO_lbbbEUlllE0_EEPmJS6_EEE10hipError_tPvRmT3_T4_T5_T6_T7_T9_mT8_P12ihipStream_tbDpT10_ENKUlT_T0_E_clISt17integral_constantIbLb0EES1E_EEDaS19_S1A_EUlS19_E_NS1_11comp_targetILNS1_3genE2ELNS1_11target_archE906ELNS1_3gpuE6ELNS1_3repE0EEENS1_30default_config_static_selectorELNS0_4arch9wavefront6targetE1EEEvT1_ ; -- Begin function _ZN7rocprim17ROCPRIM_400000_NS6detail17trampoline_kernelINS0_14default_configENS1_25partition_config_selectorILNS1_17partition_subalgoE8ElNS0_10empty_typeEbEEZZNS1_14partition_implILS5_8ELb0ES3_jPlPS6_PKS6_NS0_5tupleIJS9_S6_EEENSD_IJSA_SA_EEENS0_18inequality_wrapperIZN2at6native12_GLOBAL__N_124unique_dim_cuda_templateIN3c108BFloat16EEESt5tupleIJNSH_6TensorESO_SO_EERKSO_lbbbEUlllE0_EEPmJS6_EEE10hipError_tPvRmT3_T4_T5_T6_T7_T9_mT8_P12ihipStream_tbDpT10_ENKUlT_T0_E_clISt17integral_constantIbLb0EES1E_EEDaS19_S1A_EUlS19_E_NS1_11comp_targetILNS1_3genE2ELNS1_11target_archE906ELNS1_3gpuE6ELNS1_3repE0EEENS1_30default_config_static_selectorELNS0_4arch9wavefront6targetE1EEEvT1_
	.p2align	8
	.type	_ZN7rocprim17ROCPRIM_400000_NS6detail17trampoline_kernelINS0_14default_configENS1_25partition_config_selectorILNS1_17partition_subalgoE8ElNS0_10empty_typeEbEEZZNS1_14partition_implILS5_8ELb0ES3_jPlPS6_PKS6_NS0_5tupleIJS9_S6_EEENSD_IJSA_SA_EEENS0_18inequality_wrapperIZN2at6native12_GLOBAL__N_124unique_dim_cuda_templateIN3c108BFloat16EEESt5tupleIJNSH_6TensorESO_SO_EERKSO_lbbbEUlllE0_EEPmJS6_EEE10hipError_tPvRmT3_T4_T5_T6_T7_T9_mT8_P12ihipStream_tbDpT10_ENKUlT_T0_E_clISt17integral_constantIbLb0EES1E_EEDaS19_S1A_EUlS19_E_NS1_11comp_targetILNS1_3genE2ELNS1_11target_archE906ELNS1_3gpuE6ELNS1_3repE0EEENS1_30default_config_static_selectorELNS0_4arch9wavefront6targetE1EEEvT1_,@function
_ZN7rocprim17ROCPRIM_400000_NS6detail17trampoline_kernelINS0_14default_configENS1_25partition_config_selectorILNS1_17partition_subalgoE8ElNS0_10empty_typeEbEEZZNS1_14partition_implILS5_8ELb0ES3_jPlPS6_PKS6_NS0_5tupleIJS9_S6_EEENSD_IJSA_SA_EEENS0_18inequality_wrapperIZN2at6native12_GLOBAL__N_124unique_dim_cuda_templateIN3c108BFloat16EEESt5tupleIJNSH_6TensorESO_SO_EERKSO_lbbbEUlllE0_EEPmJS6_EEE10hipError_tPvRmT3_T4_T5_T6_T7_T9_mT8_P12ihipStream_tbDpT10_ENKUlT_T0_E_clISt17integral_constantIbLb0EES1E_EEDaS19_S1A_EUlS19_E_NS1_11comp_targetILNS1_3genE2ELNS1_11target_archE906ELNS1_3gpuE6ELNS1_3repE0EEENS1_30default_config_static_selectorELNS0_4arch9wavefront6targetE1EEEvT1_: ; @_ZN7rocprim17ROCPRIM_400000_NS6detail17trampoline_kernelINS0_14default_configENS1_25partition_config_selectorILNS1_17partition_subalgoE8ElNS0_10empty_typeEbEEZZNS1_14partition_implILS5_8ELb0ES3_jPlPS6_PKS6_NS0_5tupleIJS9_S6_EEENSD_IJSA_SA_EEENS0_18inequality_wrapperIZN2at6native12_GLOBAL__N_124unique_dim_cuda_templateIN3c108BFloat16EEESt5tupleIJNSH_6TensorESO_SO_EERKSO_lbbbEUlllE0_EEPmJS6_EEE10hipError_tPvRmT3_T4_T5_T6_T7_T9_mT8_P12ihipStream_tbDpT10_ENKUlT_T0_E_clISt17integral_constantIbLb0EES1E_EEDaS19_S1A_EUlS19_E_NS1_11comp_targetILNS1_3genE2ELNS1_11target_archE906ELNS1_3gpuE6ELNS1_3repE0EEENS1_30default_config_static_selectorELNS0_4arch9wavefront6targetE1EEEvT1_
; %bb.0:
	.section	.rodata,"a",@progbits
	.p2align	6, 0x0
	.amdhsa_kernel _ZN7rocprim17ROCPRIM_400000_NS6detail17trampoline_kernelINS0_14default_configENS1_25partition_config_selectorILNS1_17partition_subalgoE8ElNS0_10empty_typeEbEEZZNS1_14partition_implILS5_8ELb0ES3_jPlPS6_PKS6_NS0_5tupleIJS9_S6_EEENSD_IJSA_SA_EEENS0_18inequality_wrapperIZN2at6native12_GLOBAL__N_124unique_dim_cuda_templateIN3c108BFloat16EEESt5tupleIJNSH_6TensorESO_SO_EERKSO_lbbbEUlllE0_EEPmJS6_EEE10hipError_tPvRmT3_T4_T5_T6_T7_T9_mT8_P12ihipStream_tbDpT10_ENKUlT_T0_E_clISt17integral_constantIbLb0EES1E_EEDaS19_S1A_EUlS19_E_NS1_11comp_targetILNS1_3genE2ELNS1_11target_archE906ELNS1_3gpuE6ELNS1_3repE0EEENS1_30default_config_static_selectorELNS0_4arch9wavefront6targetE1EEEvT1_
		.amdhsa_group_segment_fixed_size 0
		.amdhsa_private_segment_fixed_size 0
		.amdhsa_kernarg_size 120
		.amdhsa_user_sgpr_count 6
		.amdhsa_user_sgpr_private_segment_buffer 1
		.amdhsa_user_sgpr_dispatch_ptr 0
		.amdhsa_user_sgpr_queue_ptr 0
		.amdhsa_user_sgpr_kernarg_segment_ptr 1
		.amdhsa_user_sgpr_dispatch_id 0
		.amdhsa_user_sgpr_flat_scratch_init 0
		.amdhsa_user_sgpr_kernarg_preload_length 0
		.amdhsa_user_sgpr_kernarg_preload_offset 0
		.amdhsa_user_sgpr_private_segment_size 0
		.amdhsa_uses_dynamic_stack 0
		.amdhsa_system_sgpr_private_segment_wavefront_offset 0
		.amdhsa_system_sgpr_workgroup_id_x 1
		.amdhsa_system_sgpr_workgroup_id_y 0
		.amdhsa_system_sgpr_workgroup_id_z 0
		.amdhsa_system_sgpr_workgroup_info 0
		.amdhsa_system_vgpr_workitem_id 0
		.amdhsa_next_free_vgpr 1
		.amdhsa_next_free_sgpr 0
		.amdhsa_accum_offset 4
		.amdhsa_reserve_vcc 0
		.amdhsa_reserve_flat_scratch 0
		.amdhsa_float_round_mode_32 0
		.amdhsa_float_round_mode_16_64 0
		.amdhsa_float_denorm_mode_32 3
		.amdhsa_float_denorm_mode_16_64 3
		.amdhsa_dx10_clamp 1
		.amdhsa_ieee_mode 1
		.amdhsa_fp16_overflow 0
		.amdhsa_tg_split 0
		.amdhsa_exception_fp_ieee_invalid_op 0
		.amdhsa_exception_fp_denorm_src 0
		.amdhsa_exception_fp_ieee_div_zero 0
		.amdhsa_exception_fp_ieee_overflow 0
		.amdhsa_exception_fp_ieee_underflow 0
		.amdhsa_exception_fp_ieee_inexact 0
		.amdhsa_exception_int_div_zero 0
	.end_amdhsa_kernel
	.section	.text._ZN7rocprim17ROCPRIM_400000_NS6detail17trampoline_kernelINS0_14default_configENS1_25partition_config_selectorILNS1_17partition_subalgoE8ElNS0_10empty_typeEbEEZZNS1_14partition_implILS5_8ELb0ES3_jPlPS6_PKS6_NS0_5tupleIJS9_S6_EEENSD_IJSA_SA_EEENS0_18inequality_wrapperIZN2at6native12_GLOBAL__N_124unique_dim_cuda_templateIN3c108BFloat16EEESt5tupleIJNSH_6TensorESO_SO_EERKSO_lbbbEUlllE0_EEPmJS6_EEE10hipError_tPvRmT3_T4_T5_T6_T7_T9_mT8_P12ihipStream_tbDpT10_ENKUlT_T0_E_clISt17integral_constantIbLb0EES1E_EEDaS19_S1A_EUlS19_E_NS1_11comp_targetILNS1_3genE2ELNS1_11target_archE906ELNS1_3gpuE6ELNS1_3repE0EEENS1_30default_config_static_selectorELNS0_4arch9wavefront6targetE1EEEvT1_,"axG",@progbits,_ZN7rocprim17ROCPRIM_400000_NS6detail17trampoline_kernelINS0_14default_configENS1_25partition_config_selectorILNS1_17partition_subalgoE8ElNS0_10empty_typeEbEEZZNS1_14partition_implILS5_8ELb0ES3_jPlPS6_PKS6_NS0_5tupleIJS9_S6_EEENSD_IJSA_SA_EEENS0_18inequality_wrapperIZN2at6native12_GLOBAL__N_124unique_dim_cuda_templateIN3c108BFloat16EEESt5tupleIJNSH_6TensorESO_SO_EERKSO_lbbbEUlllE0_EEPmJS6_EEE10hipError_tPvRmT3_T4_T5_T6_T7_T9_mT8_P12ihipStream_tbDpT10_ENKUlT_T0_E_clISt17integral_constantIbLb0EES1E_EEDaS19_S1A_EUlS19_E_NS1_11comp_targetILNS1_3genE2ELNS1_11target_archE906ELNS1_3gpuE6ELNS1_3repE0EEENS1_30default_config_static_selectorELNS0_4arch9wavefront6targetE1EEEvT1_,comdat
.Lfunc_end1177:
	.size	_ZN7rocprim17ROCPRIM_400000_NS6detail17trampoline_kernelINS0_14default_configENS1_25partition_config_selectorILNS1_17partition_subalgoE8ElNS0_10empty_typeEbEEZZNS1_14partition_implILS5_8ELb0ES3_jPlPS6_PKS6_NS0_5tupleIJS9_S6_EEENSD_IJSA_SA_EEENS0_18inequality_wrapperIZN2at6native12_GLOBAL__N_124unique_dim_cuda_templateIN3c108BFloat16EEESt5tupleIJNSH_6TensorESO_SO_EERKSO_lbbbEUlllE0_EEPmJS6_EEE10hipError_tPvRmT3_T4_T5_T6_T7_T9_mT8_P12ihipStream_tbDpT10_ENKUlT_T0_E_clISt17integral_constantIbLb0EES1E_EEDaS19_S1A_EUlS19_E_NS1_11comp_targetILNS1_3genE2ELNS1_11target_archE906ELNS1_3gpuE6ELNS1_3repE0EEENS1_30default_config_static_selectorELNS0_4arch9wavefront6targetE1EEEvT1_, .Lfunc_end1177-_ZN7rocprim17ROCPRIM_400000_NS6detail17trampoline_kernelINS0_14default_configENS1_25partition_config_selectorILNS1_17partition_subalgoE8ElNS0_10empty_typeEbEEZZNS1_14partition_implILS5_8ELb0ES3_jPlPS6_PKS6_NS0_5tupleIJS9_S6_EEENSD_IJSA_SA_EEENS0_18inequality_wrapperIZN2at6native12_GLOBAL__N_124unique_dim_cuda_templateIN3c108BFloat16EEESt5tupleIJNSH_6TensorESO_SO_EERKSO_lbbbEUlllE0_EEPmJS6_EEE10hipError_tPvRmT3_T4_T5_T6_T7_T9_mT8_P12ihipStream_tbDpT10_ENKUlT_T0_E_clISt17integral_constantIbLb0EES1E_EEDaS19_S1A_EUlS19_E_NS1_11comp_targetILNS1_3genE2ELNS1_11target_archE906ELNS1_3gpuE6ELNS1_3repE0EEENS1_30default_config_static_selectorELNS0_4arch9wavefront6targetE1EEEvT1_
                                        ; -- End function
	.section	.AMDGPU.csdata,"",@progbits
; Kernel info:
; codeLenInByte = 0
; NumSgprs: 4
; NumVgprs: 0
; NumAgprs: 0
; TotalNumVgprs: 0
; ScratchSize: 0
; MemoryBound: 0
; FloatMode: 240
; IeeeMode: 1
; LDSByteSize: 0 bytes/workgroup (compile time only)
; SGPRBlocks: 0
; VGPRBlocks: 0
; NumSGPRsForWavesPerEU: 4
; NumVGPRsForWavesPerEU: 1
; AccumOffset: 4
; Occupancy: 8
; WaveLimiterHint : 0
; COMPUTE_PGM_RSRC2:SCRATCH_EN: 0
; COMPUTE_PGM_RSRC2:USER_SGPR: 6
; COMPUTE_PGM_RSRC2:TRAP_HANDLER: 0
; COMPUTE_PGM_RSRC2:TGID_X_EN: 1
; COMPUTE_PGM_RSRC2:TGID_Y_EN: 0
; COMPUTE_PGM_RSRC2:TGID_Z_EN: 0
; COMPUTE_PGM_RSRC2:TIDIG_COMP_CNT: 0
; COMPUTE_PGM_RSRC3_GFX90A:ACCUM_OFFSET: 0
; COMPUTE_PGM_RSRC3_GFX90A:TG_SPLIT: 0
	.section	.text._ZN7rocprim17ROCPRIM_400000_NS6detail17trampoline_kernelINS0_14default_configENS1_25partition_config_selectorILNS1_17partition_subalgoE8ElNS0_10empty_typeEbEEZZNS1_14partition_implILS5_8ELb0ES3_jPlPS6_PKS6_NS0_5tupleIJS9_S6_EEENSD_IJSA_SA_EEENS0_18inequality_wrapperIZN2at6native12_GLOBAL__N_124unique_dim_cuda_templateIN3c108BFloat16EEESt5tupleIJNSH_6TensorESO_SO_EERKSO_lbbbEUlllE0_EEPmJS6_EEE10hipError_tPvRmT3_T4_T5_T6_T7_T9_mT8_P12ihipStream_tbDpT10_ENKUlT_T0_E_clISt17integral_constantIbLb0EES1E_EEDaS19_S1A_EUlS19_E_NS1_11comp_targetILNS1_3genE10ELNS1_11target_archE1200ELNS1_3gpuE4ELNS1_3repE0EEENS1_30default_config_static_selectorELNS0_4arch9wavefront6targetE1EEEvT1_,"axG",@progbits,_ZN7rocprim17ROCPRIM_400000_NS6detail17trampoline_kernelINS0_14default_configENS1_25partition_config_selectorILNS1_17partition_subalgoE8ElNS0_10empty_typeEbEEZZNS1_14partition_implILS5_8ELb0ES3_jPlPS6_PKS6_NS0_5tupleIJS9_S6_EEENSD_IJSA_SA_EEENS0_18inequality_wrapperIZN2at6native12_GLOBAL__N_124unique_dim_cuda_templateIN3c108BFloat16EEESt5tupleIJNSH_6TensorESO_SO_EERKSO_lbbbEUlllE0_EEPmJS6_EEE10hipError_tPvRmT3_T4_T5_T6_T7_T9_mT8_P12ihipStream_tbDpT10_ENKUlT_T0_E_clISt17integral_constantIbLb0EES1E_EEDaS19_S1A_EUlS19_E_NS1_11comp_targetILNS1_3genE10ELNS1_11target_archE1200ELNS1_3gpuE4ELNS1_3repE0EEENS1_30default_config_static_selectorELNS0_4arch9wavefront6targetE1EEEvT1_,comdat
	.globl	_ZN7rocprim17ROCPRIM_400000_NS6detail17trampoline_kernelINS0_14default_configENS1_25partition_config_selectorILNS1_17partition_subalgoE8ElNS0_10empty_typeEbEEZZNS1_14partition_implILS5_8ELb0ES3_jPlPS6_PKS6_NS0_5tupleIJS9_S6_EEENSD_IJSA_SA_EEENS0_18inequality_wrapperIZN2at6native12_GLOBAL__N_124unique_dim_cuda_templateIN3c108BFloat16EEESt5tupleIJNSH_6TensorESO_SO_EERKSO_lbbbEUlllE0_EEPmJS6_EEE10hipError_tPvRmT3_T4_T5_T6_T7_T9_mT8_P12ihipStream_tbDpT10_ENKUlT_T0_E_clISt17integral_constantIbLb0EES1E_EEDaS19_S1A_EUlS19_E_NS1_11comp_targetILNS1_3genE10ELNS1_11target_archE1200ELNS1_3gpuE4ELNS1_3repE0EEENS1_30default_config_static_selectorELNS0_4arch9wavefront6targetE1EEEvT1_ ; -- Begin function _ZN7rocprim17ROCPRIM_400000_NS6detail17trampoline_kernelINS0_14default_configENS1_25partition_config_selectorILNS1_17partition_subalgoE8ElNS0_10empty_typeEbEEZZNS1_14partition_implILS5_8ELb0ES3_jPlPS6_PKS6_NS0_5tupleIJS9_S6_EEENSD_IJSA_SA_EEENS0_18inequality_wrapperIZN2at6native12_GLOBAL__N_124unique_dim_cuda_templateIN3c108BFloat16EEESt5tupleIJNSH_6TensorESO_SO_EERKSO_lbbbEUlllE0_EEPmJS6_EEE10hipError_tPvRmT3_T4_T5_T6_T7_T9_mT8_P12ihipStream_tbDpT10_ENKUlT_T0_E_clISt17integral_constantIbLb0EES1E_EEDaS19_S1A_EUlS19_E_NS1_11comp_targetILNS1_3genE10ELNS1_11target_archE1200ELNS1_3gpuE4ELNS1_3repE0EEENS1_30default_config_static_selectorELNS0_4arch9wavefront6targetE1EEEvT1_
	.p2align	8
	.type	_ZN7rocprim17ROCPRIM_400000_NS6detail17trampoline_kernelINS0_14default_configENS1_25partition_config_selectorILNS1_17partition_subalgoE8ElNS0_10empty_typeEbEEZZNS1_14partition_implILS5_8ELb0ES3_jPlPS6_PKS6_NS0_5tupleIJS9_S6_EEENSD_IJSA_SA_EEENS0_18inequality_wrapperIZN2at6native12_GLOBAL__N_124unique_dim_cuda_templateIN3c108BFloat16EEESt5tupleIJNSH_6TensorESO_SO_EERKSO_lbbbEUlllE0_EEPmJS6_EEE10hipError_tPvRmT3_T4_T5_T6_T7_T9_mT8_P12ihipStream_tbDpT10_ENKUlT_T0_E_clISt17integral_constantIbLb0EES1E_EEDaS19_S1A_EUlS19_E_NS1_11comp_targetILNS1_3genE10ELNS1_11target_archE1200ELNS1_3gpuE4ELNS1_3repE0EEENS1_30default_config_static_selectorELNS0_4arch9wavefront6targetE1EEEvT1_,@function
_ZN7rocprim17ROCPRIM_400000_NS6detail17trampoline_kernelINS0_14default_configENS1_25partition_config_selectorILNS1_17partition_subalgoE8ElNS0_10empty_typeEbEEZZNS1_14partition_implILS5_8ELb0ES3_jPlPS6_PKS6_NS0_5tupleIJS9_S6_EEENSD_IJSA_SA_EEENS0_18inequality_wrapperIZN2at6native12_GLOBAL__N_124unique_dim_cuda_templateIN3c108BFloat16EEESt5tupleIJNSH_6TensorESO_SO_EERKSO_lbbbEUlllE0_EEPmJS6_EEE10hipError_tPvRmT3_T4_T5_T6_T7_T9_mT8_P12ihipStream_tbDpT10_ENKUlT_T0_E_clISt17integral_constantIbLb0EES1E_EEDaS19_S1A_EUlS19_E_NS1_11comp_targetILNS1_3genE10ELNS1_11target_archE1200ELNS1_3gpuE4ELNS1_3repE0EEENS1_30default_config_static_selectorELNS0_4arch9wavefront6targetE1EEEvT1_: ; @_ZN7rocprim17ROCPRIM_400000_NS6detail17trampoline_kernelINS0_14default_configENS1_25partition_config_selectorILNS1_17partition_subalgoE8ElNS0_10empty_typeEbEEZZNS1_14partition_implILS5_8ELb0ES3_jPlPS6_PKS6_NS0_5tupleIJS9_S6_EEENSD_IJSA_SA_EEENS0_18inequality_wrapperIZN2at6native12_GLOBAL__N_124unique_dim_cuda_templateIN3c108BFloat16EEESt5tupleIJNSH_6TensorESO_SO_EERKSO_lbbbEUlllE0_EEPmJS6_EEE10hipError_tPvRmT3_T4_T5_T6_T7_T9_mT8_P12ihipStream_tbDpT10_ENKUlT_T0_E_clISt17integral_constantIbLb0EES1E_EEDaS19_S1A_EUlS19_E_NS1_11comp_targetILNS1_3genE10ELNS1_11target_archE1200ELNS1_3gpuE4ELNS1_3repE0EEENS1_30default_config_static_selectorELNS0_4arch9wavefront6targetE1EEEvT1_
; %bb.0:
	.section	.rodata,"a",@progbits
	.p2align	6, 0x0
	.amdhsa_kernel _ZN7rocprim17ROCPRIM_400000_NS6detail17trampoline_kernelINS0_14default_configENS1_25partition_config_selectorILNS1_17partition_subalgoE8ElNS0_10empty_typeEbEEZZNS1_14partition_implILS5_8ELb0ES3_jPlPS6_PKS6_NS0_5tupleIJS9_S6_EEENSD_IJSA_SA_EEENS0_18inequality_wrapperIZN2at6native12_GLOBAL__N_124unique_dim_cuda_templateIN3c108BFloat16EEESt5tupleIJNSH_6TensorESO_SO_EERKSO_lbbbEUlllE0_EEPmJS6_EEE10hipError_tPvRmT3_T4_T5_T6_T7_T9_mT8_P12ihipStream_tbDpT10_ENKUlT_T0_E_clISt17integral_constantIbLb0EES1E_EEDaS19_S1A_EUlS19_E_NS1_11comp_targetILNS1_3genE10ELNS1_11target_archE1200ELNS1_3gpuE4ELNS1_3repE0EEENS1_30default_config_static_selectorELNS0_4arch9wavefront6targetE1EEEvT1_
		.amdhsa_group_segment_fixed_size 0
		.amdhsa_private_segment_fixed_size 0
		.amdhsa_kernarg_size 120
		.amdhsa_user_sgpr_count 6
		.amdhsa_user_sgpr_private_segment_buffer 1
		.amdhsa_user_sgpr_dispatch_ptr 0
		.amdhsa_user_sgpr_queue_ptr 0
		.amdhsa_user_sgpr_kernarg_segment_ptr 1
		.amdhsa_user_sgpr_dispatch_id 0
		.amdhsa_user_sgpr_flat_scratch_init 0
		.amdhsa_user_sgpr_kernarg_preload_length 0
		.amdhsa_user_sgpr_kernarg_preload_offset 0
		.amdhsa_user_sgpr_private_segment_size 0
		.amdhsa_uses_dynamic_stack 0
		.amdhsa_system_sgpr_private_segment_wavefront_offset 0
		.amdhsa_system_sgpr_workgroup_id_x 1
		.amdhsa_system_sgpr_workgroup_id_y 0
		.amdhsa_system_sgpr_workgroup_id_z 0
		.amdhsa_system_sgpr_workgroup_info 0
		.amdhsa_system_vgpr_workitem_id 0
		.amdhsa_next_free_vgpr 1
		.amdhsa_next_free_sgpr 0
		.amdhsa_accum_offset 4
		.amdhsa_reserve_vcc 0
		.amdhsa_reserve_flat_scratch 0
		.amdhsa_float_round_mode_32 0
		.amdhsa_float_round_mode_16_64 0
		.amdhsa_float_denorm_mode_32 3
		.amdhsa_float_denorm_mode_16_64 3
		.amdhsa_dx10_clamp 1
		.amdhsa_ieee_mode 1
		.amdhsa_fp16_overflow 0
		.amdhsa_tg_split 0
		.amdhsa_exception_fp_ieee_invalid_op 0
		.amdhsa_exception_fp_denorm_src 0
		.amdhsa_exception_fp_ieee_div_zero 0
		.amdhsa_exception_fp_ieee_overflow 0
		.amdhsa_exception_fp_ieee_underflow 0
		.amdhsa_exception_fp_ieee_inexact 0
		.amdhsa_exception_int_div_zero 0
	.end_amdhsa_kernel
	.section	.text._ZN7rocprim17ROCPRIM_400000_NS6detail17trampoline_kernelINS0_14default_configENS1_25partition_config_selectorILNS1_17partition_subalgoE8ElNS0_10empty_typeEbEEZZNS1_14partition_implILS5_8ELb0ES3_jPlPS6_PKS6_NS0_5tupleIJS9_S6_EEENSD_IJSA_SA_EEENS0_18inequality_wrapperIZN2at6native12_GLOBAL__N_124unique_dim_cuda_templateIN3c108BFloat16EEESt5tupleIJNSH_6TensorESO_SO_EERKSO_lbbbEUlllE0_EEPmJS6_EEE10hipError_tPvRmT3_T4_T5_T6_T7_T9_mT8_P12ihipStream_tbDpT10_ENKUlT_T0_E_clISt17integral_constantIbLb0EES1E_EEDaS19_S1A_EUlS19_E_NS1_11comp_targetILNS1_3genE10ELNS1_11target_archE1200ELNS1_3gpuE4ELNS1_3repE0EEENS1_30default_config_static_selectorELNS0_4arch9wavefront6targetE1EEEvT1_,"axG",@progbits,_ZN7rocprim17ROCPRIM_400000_NS6detail17trampoline_kernelINS0_14default_configENS1_25partition_config_selectorILNS1_17partition_subalgoE8ElNS0_10empty_typeEbEEZZNS1_14partition_implILS5_8ELb0ES3_jPlPS6_PKS6_NS0_5tupleIJS9_S6_EEENSD_IJSA_SA_EEENS0_18inequality_wrapperIZN2at6native12_GLOBAL__N_124unique_dim_cuda_templateIN3c108BFloat16EEESt5tupleIJNSH_6TensorESO_SO_EERKSO_lbbbEUlllE0_EEPmJS6_EEE10hipError_tPvRmT3_T4_T5_T6_T7_T9_mT8_P12ihipStream_tbDpT10_ENKUlT_T0_E_clISt17integral_constantIbLb0EES1E_EEDaS19_S1A_EUlS19_E_NS1_11comp_targetILNS1_3genE10ELNS1_11target_archE1200ELNS1_3gpuE4ELNS1_3repE0EEENS1_30default_config_static_selectorELNS0_4arch9wavefront6targetE1EEEvT1_,comdat
.Lfunc_end1178:
	.size	_ZN7rocprim17ROCPRIM_400000_NS6detail17trampoline_kernelINS0_14default_configENS1_25partition_config_selectorILNS1_17partition_subalgoE8ElNS0_10empty_typeEbEEZZNS1_14partition_implILS5_8ELb0ES3_jPlPS6_PKS6_NS0_5tupleIJS9_S6_EEENSD_IJSA_SA_EEENS0_18inequality_wrapperIZN2at6native12_GLOBAL__N_124unique_dim_cuda_templateIN3c108BFloat16EEESt5tupleIJNSH_6TensorESO_SO_EERKSO_lbbbEUlllE0_EEPmJS6_EEE10hipError_tPvRmT3_T4_T5_T6_T7_T9_mT8_P12ihipStream_tbDpT10_ENKUlT_T0_E_clISt17integral_constantIbLb0EES1E_EEDaS19_S1A_EUlS19_E_NS1_11comp_targetILNS1_3genE10ELNS1_11target_archE1200ELNS1_3gpuE4ELNS1_3repE0EEENS1_30default_config_static_selectorELNS0_4arch9wavefront6targetE1EEEvT1_, .Lfunc_end1178-_ZN7rocprim17ROCPRIM_400000_NS6detail17trampoline_kernelINS0_14default_configENS1_25partition_config_selectorILNS1_17partition_subalgoE8ElNS0_10empty_typeEbEEZZNS1_14partition_implILS5_8ELb0ES3_jPlPS6_PKS6_NS0_5tupleIJS9_S6_EEENSD_IJSA_SA_EEENS0_18inequality_wrapperIZN2at6native12_GLOBAL__N_124unique_dim_cuda_templateIN3c108BFloat16EEESt5tupleIJNSH_6TensorESO_SO_EERKSO_lbbbEUlllE0_EEPmJS6_EEE10hipError_tPvRmT3_T4_T5_T6_T7_T9_mT8_P12ihipStream_tbDpT10_ENKUlT_T0_E_clISt17integral_constantIbLb0EES1E_EEDaS19_S1A_EUlS19_E_NS1_11comp_targetILNS1_3genE10ELNS1_11target_archE1200ELNS1_3gpuE4ELNS1_3repE0EEENS1_30default_config_static_selectorELNS0_4arch9wavefront6targetE1EEEvT1_
                                        ; -- End function
	.section	.AMDGPU.csdata,"",@progbits
; Kernel info:
; codeLenInByte = 0
; NumSgprs: 4
; NumVgprs: 0
; NumAgprs: 0
; TotalNumVgprs: 0
; ScratchSize: 0
; MemoryBound: 0
; FloatMode: 240
; IeeeMode: 1
; LDSByteSize: 0 bytes/workgroup (compile time only)
; SGPRBlocks: 0
; VGPRBlocks: 0
; NumSGPRsForWavesPerEU: 4
; NumVGPRsForWavesPerEU: 1
; AccumOffset: 4
; Occupancy: 8
; WaveLimiterHint : 0
; COMPUTE_PGM_RSRC2:SCRATCH_EN: 0
; COMPUTE_PGM_RSRC2:USER_SGPR: 6
; COMPUTE_PGM_RSRC2:TRAP_HANDLER: 0
; COMPUTE_PGM_RSRC2:TGID_X_EN: 1
; COMPUTE_PGM_RSRC2:TGID_Y_EN: 0
; COMPUTE_PGM_RSRC2:TGID_Z_EN: 0
; COMPUTE_PGM_RSRC2:TIDIG_COMP_CNT: 0
; COMPUTE_PGM_RSRC3_GFX90A:ACCUM_OFFSET: 0
; COMPUTE_PGM_RSRC3_GFX90A:TG_SPLIT: 0
	.section	.text._ZN7rocprim17ROCPRIM_400000_NS6detail17trampoline_kernelINS0_14default_configENS1_25partition_config_selectorILNS1_17partition_subalgoE8ElNS0_10empty_typeEbEEZZNS1_14partition_implILS5_8ELb0ES3_jPlPS6_PKS6_NS0_5tupleIJS9_S6_EEENSD_IJSA_SA_EEENS0_18inequality_wrapperIZN2at6native12_GLOBAL__N_124unique_dim_cuda_templateIN3c108BFloat16EEESt5tupleIJNSH_6TensorESO_SO_EERKSO_lbbbEUlllE0_EEPmJS6_EEE10hipError_tPvRmT3_T4_T5_T6_T7_T9_mT8_P12ihipStream_tbDpT10_ENKUlT_T0_E_clISt17integral_constantIbLb0EES1E_EEDaS19_S1A_EUlS19_E_NS1_11comp_targetILNS1_3genE9ELNS1_11target_archE1100ELNS1_3gpuE3ELNS1_3repE0EEENS1_30default_config_static_selectorELNS0_4arch9wavefront6targetE1EEEvT1_,"axG",@progbits,_ZN7rocprim17ROCPRIM_400000_NS6detail17trampoline_kernelINS0_14default_configENS1_25partition_config_selectorILNS1_17partition_subalgoE8ElNS0_10empty_typeEbEEZZNS1_14partition_implILS5_8ELb0ES3_jPlPS6_PKS6_NS0_5tupleIJS9_S6_EEENSD_IJSA_SA_EEENS0_18inequality_wrapperIZN2at6native12_GLOBAL__N_124unique_dim_cuda_templateIN3c108BFloat16EEESt5tupleIJNSH_6TensorESO_SO_EERKSO_lbbbEUlllE0_EEPmJS6_EEE10hipError_tPvRmT3_T4_T5_T6_T7_T9_mT8_P12ihipStream_tbDpT10_ENKUlT_T0_E_clISt17integral_constantIbLb0EES1E_EEDaS19_S1A_EUlS19_E_NS1_11comp_targetILNS1_3genE9ELNS1_11target_archE1100ELNS1_3gpuE3ELNS1_3repE0EEENS1_30default_config_static_selectorELNS0_4arch9wavefront6targetE1EEEvT1_,comdat
	.globl	_ZN7rocprim17ROCPRIM_400000_NS6detail17trampoline_kernelINS0_14default_configENS1_25partition_config_selectorILNS1_17partition_subalgoE8ElNS0_10empty_typeEbEEZZNS1_14partition_implILS5_8ELb0ES3_jPlPS6_PKS6_NS0_5tupleIJS9_S6_EEENSD_IJSA_SA_EEENS0_18inequality_wrapperIZN2at6native12_GLOBAL__N_124unique_dim_cuda_templateIN3c108BFloat16EEESt5tupleIJNSH_6TensorESO_SO_EERKSO_lbbbEUlllE0_EEPmJS6_EEE10hipError_tPvRmT3_T4_T5_T6_T7_T9_mT8_P12ihipStream_tbDpT10_ENKUlT_T0_E_clISt17integral_constantIbLb0EES1E_EEDaS19_S1A_EUlS19_E_NS1_11comp_targetILNS1_3genE9ELNS1_11target_archE1100ELNS1_3gpuE3ELNS1_3repE0EEENS1_30default_config_static_selectorELNS0_4arch9wavefront6targetE1EEEvT1_ ; -- Begin function _ZN7rocprim17ROCPRIM_400000_NS6detail17trampoline_kernelINS0_14default_configENS1_25partition_config_selectorILNS1_17partition_subalgoE8ElNS0_10empty_typeEbEEZZNS1_14partition_implILS5_8ELb0ES3_jPlPS6_PKS6_NS0_5tupleIJS9_S6_EEENSD_IJSA_SA_EEENS0_18inequality_wrapperIZN2at6native12_GLOBAL__N_124unique_dim_cuda_templateIN3c108BFloat16EEESt5tupleIJNSH_6TensorESO_SO_EERKSO_lbbbEUlllE0_EEPmJS6_EEE10hipError_tPvRmT3_T4_T5_T6_T7_T9_mT8_P12ihipStream_tbDpT10_ENKUlT_T0_E_clISt17integral_constantIbLb0EES1E_EEDaS19_S1A_EUlS19_E_NS1_11comp_targetILNS1_3genE9ELNS1_11target_archE1100ELNS1_3gpuE3ELNS1_3repE0EEENS1_30default_config_static_selectorELNS0_4arch9wavefront6targetE1EEEvT1_
	.p2align	8
	.type	_ZN7rocprim17ROCPRIM_400000_NS6detail17trampoline_kernelINS0_14default_configENS1_25partition_config_selectorILNS1_17partition_subalgoE8ElNS0_10empty_typeEbEEZZNS1_14partition_implILS5_8ELb0ES3_jPlPS6_PKS6_NS0_5tupleIJS9_S6_EEENSD_IJSA_SA_EEENS0_18inequality_wrapperIZN2at6native12_GLOBAL__N_124unique_dim_cuda_templateIN3c108BFloat16EEESt5tupleIJNSH_6TensorESO_SO_EERKSO_lbbbEUlllE0_EEPmJS6_EEE10hipError_tPvRmT3_T4_T5_T6_T7_T9_mT8_P12ihipStream_tbDpT10_ENKUlT_T0_E_clISt17integral_constantIbLb0EES1E_EEDaS19_S1A_EUlS19_E_NS1_11comp_targetILNS1_3genE9ELNS1_11target_archE1100ELNS1_3gpuE3ELNS1_3repE0EEENS1_30default_config_static_selectorELNS0_4arch9wavefront6targetE1EEEvT1_,@function
_ZN7rocprim17ROCPRIM_400000_NS6detail17trampoline_kernelINS0_14default_configENS1_25partition_config_selectorILNS1_17partition_subalgoE8ElNS0_10empty_typeEbEEZZNS1_14partition_implILS5_8ELb0ES3_jPlPS6_PKS6_NS0_5tupleIJS9_S6_EEENSD_IJSA_SA_EEENS0_18inequality_wrapperIZN2at6native12_GLOBAL__N_124unique_dim_cuda_templateIN3c108BFloat16EEESt5tupleIJNSH_6TensorESO_SO_EERKSO_lbbbEUlllE0_EEPmJS6_EEE10hipError_tPvRmT3_T4_T5_T6_T7_T9_mT8_P12ihipStream_tbDpT10_ENKUlT_T0_E_clISt17integral_constantIbLb0EES1E_EEDaS19_S1A_EUlS19_E_NS1_11comp_targetILNS1_3genE9ELNS1_11target_archE1100ELNS1_3gpuE3ELNS1_3repE0EEENS1_30default_config_static_selectorELNS0_4arch9wavefront6targetE1EEEvT1_: ; @_ZN7rocprim17ROCPRIM_400000_NS6detail17trampoline_kernelINS0_14default_configENS1_25partition_config_selectorILNS1_17partition_subalgoE8ElNS0_10empty_typeEbEEZZNS1_14partition_implILS5_8ELb0ES3_jPlPS6_PKS6_NS0_5tupleIJS9_S6_EEENSD_IJSA_SA_EEENS0_18inequality_wrapperIZN2at6native12_GLOBAL__N_124unique_dim_cuda_templateIN3c108BFloat16EEESt5tupleIJNSH_6TensorESO_SO_EERKSO_lbbbEUlllE0_EEPmJS6_EEE10hipError_tPvRmT3_T4_T5_T6_T7_T9_mT8_P12ihipStream_tbDpT10_ENKUlT_T0_E_clISt17integral_constantIbLb0EES1E_EEDaS19_S1A_EUlS19_E_NS1_11comp_targetILNS1_3genE9ELNS1_11target_archE1100ELNS1_3gpuE3ELNS1_3repE0EEENS1_30default_config_static_selectorELNS0_4arch9wavefront6targetE1EEEvT1_
; %bb.0:
	.section	.rodata,"a",@progbits
	.p2align	6, 0x0
	.amdhsa_kernel _ZN7rocprim17ROCPRIM_400000_NS6detail17trampoline_kernelINS0_14default_configENS1_25partition_config_selectorILNS1_17partition_subalgoE8ElNS0_10empty_typeEbEEZZNS1_14partition_implILS5_8ELb0ES3_jPlPS6_PKS6_NS0_5tupleIJS9_S6_EEENSD_IJSA_SA_EEENS0_18inequality_wrapperIZN2at6native12_GLOBAL__N_124unique_dim_cuda_templateIN3c108BFloat16EEESt5tupleIJNSH_6TensorESO_SO_EERKSO_lbbbEUlllE0_EEPmJS6_EEE10hipError_tPvRmT3_T4_T5_T6_T7_T9_mT8_P12ihipStream_tbDpT10_ENKUlT_T0_E_clISt17integral_constantIbLb0EES1E_EEDaS19_S1A_EUlS19_E_NS1_11comp_targetILNS1_3genE9ELNS1_11target_archE1100ELNS1_3gpuE3ELNS1_3repE0EEENS1_30default_config_static_selectorELNS0_4arch9wavefront6targetE1EEEvT1_
		.amdhsa_group_segment_fixed_size 0
		.amdhsa_private_segment_fixed_size 0
		.amdhsa_kernarg_size 120
		.amdhsa_user_sgpr_count 6
		.amdhsa_user_sgpr_private_segment_buffer 1
		.amdhsa_user_sgpr_dispatch_ptr 0
		.amdhsa_user_sgpr_queue_ptr 0
		.amdhsa_user_sgpr_kernarg_segment_ptr 1
		.amdhsa_user_sgpr_dispatch_id 0
		.amdhsa_user_sgpr_flat_scratch_init 0
		.amdhsa_user_sgpr_kernarg_preload_length 0
		.amdhsa_user_sgpr_kernarg_preload_offset 0
		.amdhsa_user_sgpr_private_segment_size 0
		.amdhsa_uses_dynamic_stack 0
		.amdhsa_system_sgpr_private_segment_wavefront_offset 0
		.amdhsa_system_sgpr_workgroup_id_x 1
		.amdhsa_system_sgpr_workgroup_id_y 0
		.amdhsa_system_sgpr_workgroup_id_z 0
		.amdhsa_system_sgpr_workgroup_info 0
		.amdhsa_system_vgpr_workitem_id 0
		.amdhsa_next_free_vgpr 1
		.amdhsa_next_free_sgpr 0
		.amdhsa_accum_offset 4
		.amdhsa_reserve_vcc 0
		.amdhsa_reserve_flat_scratch 0
		.amdhsa_float_round_mode_32 0
		.amdhsa_float_round_mode_16_64 0
		.amdhsa_float_denorm_mode_32 3
		.amdhsa_float_denorm_mode_16_64 3
		.amdhsa_dx10_clamp 1
		.amdhsa_ieee_mode 1
		.amdhsa_fp16_overflow 0
		.amdhsa_tg_split 0
		.amdhsa_exception_fp_ieee_invalid_op 0
		.amdhsa_exception_fp_denorm_src 0
		.amdhsa_exception_fp_ieee_div_zero 0
		.amdhsa_exception_fp_ieee_overflow 0
		.amdhsa_exception_fp_ieee_underflow 0
		.amdhsa_exception_fp_ieee_inexact 0
		.amdhsa_exception_int_div_zero 0
	.end_amdhsa_kernel
	.section	.text._ZN7rocprim17ROCPRIM_400000_NS6detail17trampoline_kernelINS0_14default_configENS1_25partition_config_selectorILNS1_17partition_subalgoE8ElNS0_10empty_typeEbEEZZNS1_14partition_implILS5_8ELb0ES3_jPlPS6_PKS6_NS0_5tupleIJS9_S6_EEENSD_IJSA_SA_EEENS0_18inequality_wrapperIZN2at6native12_GLOBAL__N_124unique_dim_cuda_templateIN3c108BFloat16EEESt5tupleIJNSH_6TensorESO_SO_EERKSO_lbbbEUlllE0_EEPmJS6_EEE10hipError_tPvRmT3_T4_T5_T6_T7_T9_mT8_P12ihipStream_tbDpT10_ENKUlT_T0_E_clISt17integral_constantIbLb0EES1E_EEDaS19_S1A_EUlS19_E_NS1_11comp_targetILNS1_3genE9ELNS1_11target_archE1100ELNS1_3gpuE3ELNS1_3repE0EEENS1_30default_config_static_selectorELNS0_4arch9wavefront6targetE1EEEvT1_,"axG",@progbits,_ZN7rocprim17ROCPRIM_400000_NS6detail17trampoline_kernelINS0_14default_configENS1_25partition_config_selectorILNS1_17partition_subalgoE8ElNS0_10empty_typeEbEEZZNS1_14partition_implILS5_8ELb0ES3_jPlPS6_PKS6_NS0_5tupleIJS9_S6_EEENSD_IJSA_SA_EEENS0_18inequality_wrapperIZN2at6native12_GLOBAL__N_124unique_dim_cuda_templateIN3c108BFloat16EEESt5tupleIJNSH_6TensorESO_SO_EERKSO_lbbbEUlllE0_EEPmJS6_EEE10hipError_tPvRmT3_T4_T5_T6_T7_T9_mT8_P12ihipStream_tbDpT10_ENKUlT_T0_E_clISt17integral_constantIbLb0EES1E_EEDaS19_S1A_EUlS19_E_NS1_11comp_targetILNS1_3genE9ELNS1_11target_archE1100ELNS1_3gpuE3ELNS1_3repE0EEENS1_30default_config_static_selectorELNS0_4arch9wavefront6targetE1EEEvT1_,comdat
.Lfunc_end1179:
	.size	_ZN7rocprim17ROCPRIM_400000_NS6detail17trampoline_kernelINS0_14default_configENS1_25partition_config_selectorILNS1_17partition_subalgoE8ElNS0_10empty_typeEbEEZZNS1_14partition_implILS5_8ELb0ES3_jPlPS6_PKS6_NS0_5tupleIJS9_S6_EEENSD_IJSA_SA_EEENS0_18inequality_wrapperIZN2at6native12_GLOBAL__N_124unique_dim_cuda_templateIN3c108BFloat16EEESt5tupleIJNSH_6TensorESO_SO_EERKSO_lbbbEUlllE0_EEPmJS6_EEE10hipError_tPvRmT3_T4_T5_T6_T7_T9_mT8_P12ihipStream_tbDpT10_ENKUlT_T0_E_clISt17integral_constantIbLb0EES1E_EEDaS19_S1A_EUlS19_E_NS1_11comp_targetILNS1_3genE9ELNS1_11target_archE1100ELNS1_3gpuE3ELNS1_3repE0EEENS1_30default_config_static_selectorELNS0_4arch9wavefront6targetE1EEEvT1_, .Lfunc_end1179-_ZN7rocprim17ROCPRIM_400000_NS6detail17trampoline_kernelINS0_14default_configENS1_25partition_config_selectorILNS1_17partition_subalgoE8ElNS0_10empty_typeEbEEZZNS1_14partition_implILS5_8ELb0ES3_jPlPS6_PKS6_NS0_5tupleIJS9_S6_EEENSD_IJSA_SA_EEENS0_18inequality_wrapperIZN2at6native12_GLOBAL__N_124unique_dim_cuda_templateIN3c108BFloat16EEESt5tupleIJNSH_6TensorESO_SO_EERKSO_lbbbEUlllE0_EEPmJS6_EEE10hipError_tPvRmT3_T4_T5_T6_T7_T9_mT8_P12ihipStream_tbDpT10_ENKUlT_T0_E_clISt17integral_constantIbLb0EES1E_EEDaS19_S1A_EUlS19_E_NS1_11comp_targetILNS1_3genE9ELNS1_11target_archE1100ELNS1_3gpuE3ELNS1_3repE0EEENS1_30default_config_static_selectorELNS0_4arch9wavefront6targetE1EEEvT1_
                                        ; -- End function
	.section	.AMDGPU.csdata,"",@progbits
; Kernel info:
; codeLenInByte = 0
; NumSgprs: 4
; NumVgprs: 0
; NumAgprs: 0
; TotalNumVgprs: 0
; ScratchSize: 0
; MemoryBound: 0
; FloatMode: 240
; IeeeMode: 1
; LDSByteSize: 0 bytes/workgroup (compile time only)
; SGPRBlocks: 0
; VGPRBlocks: 0
; NumSGPRsForWavesPerEU: 4
; NumVGPRsForWavesPerEU: 1
; AccumOffset: 4
; Occupancy: 8
; WaveLimiterHint : 0
; COMPUTE_PGM_RSRC2:SCRATCH_EN: 0
; COMPUTE_PGM_RSRC2:USER_SGPR: 6
; COMPUTE_PGM_RSRC2:TRAP_HANDLER: 0
; COMPUTE_PGM_RSRC2:TGID_X_EN: 1
; COMPUTE_PGM_RSRC2:TGID_Y_EN: 0
; COMPUTE_PGM_RSRC2:TGID_Z_EN: 0
; COMPUTE_PGM_RSRC2:TIDIG_COMP_CNT: 0
; COMPUTE_PGM_RSRC3_GFX90A:ACCUM_OFFSET: 0
; COMPUTE_PGM_RSRC3_GFX90A:TG_SPLIT: 0
	.section	.text._ZN7rocprim17ROCPRIM_400000_NS6detail17trampoline_kernelINS0_14default_configENS1_25partition_config_selectorILNS1_17partition_subalgoE8ElNS0_10empty_typeEbEEZZNS1_14partition_implILS5_8ELb0ES3_jPlPS6_PKS6_NS0_5tupleIJS9_S6_EEENSD_IJSA_SA_EEENS0_18inequality_wrapperIZN2at6native12_GLOBAL__N_124unique_dim_cuda_templateIN3c108BFloat16EEESt5tupleIJNSH_6TensorESO_SO_EERKSO_lbbbEUlllE0_EEPmJS6_EEE10hipError_tPvRmT3_T4_T5_T6_T7_T9_mT8_P12ihipStream_tbDpT10_ENKUlT_T0_E_clISt17integral_constantIbLb0EES1E_EEDaS19_S1A_EUlS19_E_NS1_11comp_targetILNS1_3genE8ELNS1_11target_archE1030ELNS1_3gpuE2ELNS1_3repE0EEENS1_30default_config_static_selectorELNS0_4arch9wavefront6targetE1EEEvT1_,"axG",@progbits,_ZN7rocprim17ROCPRIM_400000_NS6detail17trampoline_kernelINS0_14default_configENS1_25partition_config_selectorILNS1_17partition_subalgoE8ElNS0_10empty_typeEbEEZZNS1_14partition_implILS5_8ELb0ES3_jPlPS6_PKS6_NS0_5tupleIJS9_S6_EEENSD_IJSA_SA_EEENS0_18inequality_wrapperIZN2at6native12_GLOBAL__N_124unique_dim_cuda_templateIN3c108BFloat16EEESt5tupleIJNSH_6TensorESO_SO_EERKSO_lbbbEUlllE0_EEPmJS6_EEE10hipError_tPvRmT3_T4_T5_T6_T7_T9_mT8_P12ihipStream_tbDpT10_ENKUlT_T0_E_clISt17integral_constantIbLb0EES1E_EEDaS19_S1A_EUlS19_E_NS1_11comp_targetILNS1_3genE8ELNS1_11target_archE1030ELNS1_3gpuE2ELNS1_3repE0EEENS1_30default_config_static_selectorELNS0_4arch9wavefront6targetE1EEEvT1_,comdat
	.globl	_ZN7rocprim17ROCPRIM_400000_NS6detail17trampoline_kernelINS0_14default_configENS1_25partition_config_selectorILNS1_17partition_subalgoE8ElNS0_10empty_typeEbEEZZNS1_14partition_implILS5_8ELb0ES3_jPlPS6_PKS6_NS0_5tupleIJS9_S6_EEENSD_IJSA_SA_EEENS0_18inequality_wrapperIZN2at6native12_GLOBAL__N_124unique_dim_cuda_templateIN3c108BFloat16EEESt5tupleIJNSH_6TensorESO_SO_EERKSO_lbbbEUlllE0_EEPmJS6_EEE10hipError_tPvRmT3_T4_T5_T6_T7_T9_mT8_P12ihipStream_tbDpT10_ENKUlT_T0_E_clISt17integral_constantIbLb0EES1E_EEDaS19_S1A_EUlS19_E_NS1_11comp_targetILNS1_3genE8ELNS1_11target_archE1030ELNS1_3gpuE2ELNS1_3repE0EEENS1_30default_config_static_selectorELNS0_4arch9wavefront6targetE1EEEvT1_ ; -- Begin function _ZN7rocprim17ROCPRIM_400000_NS6detail17trampoline_kernelINS0_14default_configENS1_25partition_config_selectorILNS1_17partition_subalgoE8ElNS0_10empty_typeEbEEZZNS1_14partition_implILS5_8ELb0ES3_jPlPS6_PKS6_NS0_5tupleIJS9_S6_EEENSD_IJSA_SA_EEENS0_18inequality_wrapperIZN2at6native12_GLOBAL__N_124unique_dim_cuda_templateIN3c108BFloat16EEESt5tupleIJNSH_6TensorESO_SO_EERKSO_lbbbEUlllE0_EEPmJS6_EEE10hipError_tPvRmT3_T4_T5_T6_T7_T9_mT8_P12ihipStream_tbDpT10_ENKUlT_T0_E_clISt17integral_constantIbLb0EES1E_EEDaS19_S1A_EUlS19_E_NS1_11comp_targetILNS1_3genE8ELNS1_11target_archE1030ELNS1_3gpuE2ELNS1_3repE0EEENS1_30default_config_static_selectorELNS0_4arch9wavefront6targetE1EEEvT1_
	.p2align	8
	.type	_ZN7rocprim17ROCPRIM_400000_NS6detail17trampoline_kernelINS0_14default_configENS1_25partition_config_selectorILNS1_17partition_subalgoE8ElNS0_10empty_typeEbEEZZNS1_14partition_implILS5_8ELb0ES3_jPlPS6_PKS6_NS0_5tupleIJS9_S6_EEENSD_IJSA_SA_EEENS0_18inequality_wrapperIZN2at6native12_GLOBAL__N_124unique_dim_cuda_templateIN3c108BFloat16EEESt5tupleIJNSH_6TensorESO_SO_EERKSO_lbbbEUlllE0_EEPmJS6_EEE10hipError_tPvRmT3_T4_T5_T6_T7_T9_mT8_P12ihipStream_tbDpT10_ENKUlT_T0_E_clISt17integral_constantIbLb0EES1E_EEDaS19_S1A_EUlS19_E_NS1_11comp_targetILNS1_3genE8ELNS1_11target_archE1030ELNS1_3gpuE2ELNS1_3repE0EEENS1_30default_config_static_selectorELNS0_4arch9wavefront6targetE1EEEvT1_,@function
_ZN7rocprim17ROCPRIM_400000_NS6detail17trampoline_kernelINS0_14default_configENS1_25partition_config_selectorILNS1_17partition_subalgoE8ElNS0_10empty_typeEbEEZZNS1_14partition_implILS5_8ELb0ES3_jPlPS6_PKS6_NS0_5tupleIJS9_S6_EEENSD_IJSA_SA_EEENS0_18inequality_wrapperIZN2at6native12_GLOBAL__N_124unique_dim_cuda_templateIN3c108BFloat16EEESt5tupleIJNSH_6TensorESO_SO_EERKSO_lbbbEUlllE0_EEPmJS6_EEE10hipError_tPvRmT3_T4_T5_T6_T7_T9_mT8_P12ihipStream_tbDpT10_ENKUlT_T0_E_clISt17integral_constantIbLb0EES1E_EEDaS19_S1A_EUlS19_E_NS1_11comp_targetILNS1_3genE8ELNS1_11target_archE1030ELNS1_3gpuE2ELNS1_3repE0EEENS1_30default_config_static_selectorELNS0_4arch9wavefront6targetE1EEEvT1_: ; @_ZN7rocprim17ROCPRIM_400000_NS6detail17trampoline_kernelINS0_14default_configENS1_25partition_config_selectorILNS1_17partition_subalgoE8ElNS0_10empty_typeEbEEZZNS1_14partition_implILS5_8ELb0ES3_jPlPS6_PKS6_NS0_5tupleIJS9_S6_EEENSD_IJSA_SA_EEENS0_18inequality_wrapperIZN2at6native12_GLOBAL__N_124unique_dim_cuda_templateIN3c108BFloat16EEESt5tupleIJNSH_6TensorESO_SO_EERKSO_lbbbEUlllE0_EEPmJS6_EEE10hipError_tPvRmT3_T4_T5_T6_T7_T9_mT8_P12ihipStream_tbDpT10_ENKUlT_T0_E_clISt17integral_constantIbLb0EES1E_EEDaS19_S1A_EUlS19_E_NS1_11comp_targetILNS1_3genE8ELNS1_11target_archE1030ELNS1_3gpuE2ELNS1_3repE0EEENS1_30default_config_static_selectorELNS0_4arch9wavefront6targetE1EEEvT1_
; %bb.0:
	.section	.rodata,"a",@progbits
	.p2align	6, 0x0
	.amdhsa_kernel _ZN7rocprim17ROCPRIM_400000_NS6detail17trampoline_kernelINS0_14default_configENS1_25partition_config_selectorILNS1_17partition_subalgoE8ElNS0_10empty_typeEbEEZZNS1_14partition_implILS5_8ELb0ES3_jPlPS6_PKS6_NS0_5tupleIJS9_S6_EEENSD_IJSA_SA_EEENS0_18inequality_wrapperIZN2at6native12_GLOBAL__N_124unique_dim_cuda_templateIN3c108BFloat16EEESt5tupleIJNSH_6TensorESO_SO_EERKSO_lbbbEUlllE0_EEPmJS6_EEE10hipError_tPvRmT3_T4_T5_T6_T7_T9_mT8_P12ihipStream_tbDpT10_ENKUlT_T0_E_clISt17integral_constantIbLb0EES1E_EEDaS19_S1A_EUlS19_E_NS1_11comp_targetILNS1_3genE8ELNS1_11target_archE1030ELNS1_3gpuE2ELNS1_3repE0EEENS1_30default_config_static_selectorELNS0_4arch9wavefront6targetE1EEEvT1_
		.amdhsa_group_segment_fixed_size 0
		.amdhsa_private_segment_fixed_size 0
		.amdhsa_kernarg_size 120
		.amdhsa_user_sgpr_count 6
		.amdhsa_user_sgpr_private_segment_buffer 1
		.amdhsa_user_sgpr_dispatch_ptr 0
		.amdhsa_user_sgpr_queue_ptr 0
		.amdhsa_user_sgpr_kernarg_segment_ptr 1
		.amdhsa_user_sgpr_dispatch_id 0
		.amdhsa_user_sgpr_flat_scratch_init 0
		.amdhsa_user_sgpr_kernarg_preload_length 0
		.amdhsa_user_sgpr_kernarg_preload_offset 0
		.amdhsa_user_sgpr_private_segment_size 0
		.amdhsa_uses_dynamic_stack 0
		.amdhsa_system_sgpr_private_segment_wavefront_offset 0
		.amdhsa_system_sgpr_workgroup_id_x 1
		.amdhsa_system_sgpr_workgroup_id_y 0
		.amdhsa_system_sgpr_workgroup_id_z 0
		.amdhsa_system_sgpr_workgroup_info 0
		.amdhsa_system_vgpr_workitem_id 0
		.amdhsa_next_free_vgpr 1
		.amdhsa_next_free_sgpr 0
		.amdhsa_accum_offset 4
		.amdhsa_reserve_vcc 0
		.amdhsa_reserve_flat_scratch 0
		.amdhsa_float_round_mode_32 0
		.amdhsa_float_round_mode_16_64 0
		.amdhsa_float_denorm_mode_32 3
		.amdhsa_float_denorm_mode_16_64 3
		.amdhsa_dx10_clamp 1
		.amdhsa_ieee_mode 1
		.amdhsa_fp16_overflow 0
		.amdhsa_tg_split 0
		.amdhsa_exception_fp_ieee_invalid_op 0
		.amdhsa_exception_fp_denorm_src 0
		.amdhsa_exception_fp_ieee_div_zero 0
		.amdhsa_exception_fp_ieee_overflow 0
		.amdhsa_exception_fp_ieee_underflow 0
		.amdhsa_exception_fp_ieee_inexact 0
		.amdhsa_exception_int_div_zero 0
	.end_amdhsa_kernel
	.section	.text._ZN7rocprim17ROCPRIM_400000_NS6detail17trampoline_kernelINS0_14default_configENS1_25partition_config_selectorILNS1_17partition_subalgoE8ElNS0_10empty_typeEbEEZZNS1_14partition_implILS5_8ELb0ES3_jPlPS6_PKS6_NS0_5tupleIJS9_S6_EEENSD_IJSA_SA_EEENS0_18inequality_wrapperIZN2at6native12_GLOBAL__N_124unique_dim_cuda_templateIN3c108BFloat16EEESt5tupleIJNSH_6TensorESO_SO_EERKSO_lbbbEUlllE0_EEPmJS6_EEE10hipError_tPvRmT3_T4_T5_T6_T7_T9_mT8_P12ihipStream_tbDpT10_ENKUlT_T0_E_clISt17integral_constantIbLb0EES1E_EEDaS19_S1A_EUlS19_E_NS1_11comp_targetILNS1_3genE8ELNS1_11target_archE1030ELNS1_3gpuE2ELNS1_3repE0EEENS1_30default_config_static_selectorELNS0_4arch9wavefront6targetE1EEEvT1_,"axG",@progbits,_ZN7rocprim17ROCPRIM_400000_NS6detail17trampoline_kernelINS0_14default_configENS1_25partition_config_selectorILNS1_17partition_subalgoE8ElNS0_10empty_typeEbEEZZNS1_14partition_implILS5_8ELb0ES3_jPlPS6_PKS6_NS0_5tupleIJS9_S6_EEENSD_IJSA_SA_EEENS0_18inequality_wrapperIZN2at6native12_GLOBAL__N_124unique_dim_cuda_templateIN3c108BFloat16EEESt5tupleIJNSH_6TensorESO_SO_EERKSO_lbbbEUlllE0_EEPmJS6_EEE10hipError_tPvRmT3_T4_T5_T6_T7_T9_mT8_P12ihipStream_tbDpT10_ENKUlT_T0_E_clISt17integral_constantIbLb0EES1E_EEDaS19_S1A_EUlS19_E_NS1_11comp_targetILNS1_3genE8ELNS1_11target_archE1030ELNS1_3gpuE2ELNS1_3repE0EEENS1_30default_config_static_selectorELNS0_4arch9wavefront6targetE1EEEvT1_,comdat
.Lfunc_end1180:
	.size	_ZN7rocprim17ROCPRIM_400000_NS6detail17trampoline_kernelINS0_14default_configENS1_25partition_config_selectorILNS1_17partition_subalgoE8ElNS0_10empty_typeEbEEZZNS1_14partition_implILS5_8ELb0ES3_jPlPS6_PKS6_NS0_5tupleIJS9_S6_EEENSD_IJSA_SA_EEENS0_18inequality_wrapperIZN2at6native12_GLOBAL__N_124unique_dim_cuda_templateIN3c108BFloat16EEESt5tupleIJNSH_6TensorESO_SO_EERKSO_lbbbEUlllE0_EEPmJS6_EEE10hipError_tPvRmT3_T4_T5_T6_T7_T9_mT8_P12ihipStream_tbDpT10_ENKUlT_T0_E_clISt17integral_constantIbLb0EES1E_EEDaS19_S1A_EUlS19_E_NS1_11comp_targetILNS1_3genE8ELNS1_11target_archE1030ELNS1_3gpuE2ELNS1_3repE0EEENS1_30default_config_static_selectorELNS0_4arch9wavefront6targetE1EEEvT1_, .Lfunc_end1180-_ZN7rocprim17ROCPRIM_400000_NS6detail17trampoline_kernelINS0_14default_configENS1_25partition_config_selectorILNS1_17partition_subalgoE8ElNS0_10empty_typeEbEEZZNS1_14partition_implILS5_8ELb0ES3_jPlPS6_PKS6_NS0_5tupleIJS9_S6_EEENSD_IJSA_SA_EEENS0_18inequality_wrapperIZN2at6native12_GLOBAL__N_124unique_dim_cuda_templateIN3c108BFloat16EEESt5tupleIJNSH_6TensorESO_SO_EERKSO_lbbbEUlllE0_EEPmJS6_EEE10hipError_tPvRmT3_T4_T5_T6_T7_T9_mT8_P12ihipStream_tbDpT10_ENKUlT_T0_E_clISt17integral_constantIbLb0EES1E_EEDaS19_S1A_EUlS19_E_NS1_11comp_targetILNS1_3genE8ELNS1_11target_archE1030ELNS1_3gpuE2ELNS1_3repE0EEENS1_30default_config_static_selectorELNS0_4arch9wavefront6targetE1EEEvT1_
                                        ; -- End function
	.section	.AMDGPU.csdata,"",@progbits
; Kernel info:
; codeLenInByte = 0
; NumSgprs: 4
; NumVgprs: 0
; NumAgprs: 0
; TotalNumVgprs: 0
; ScratchSize: 0
; MemoryBound: 0
; FloatMode: 240
; IeeeMode: 1
; LDSByteSize: 0 bytes/workgroup (compile time only)
; SGPRBlocks: 0
; VGPRBlocks: 0
; NumSGPRsForWavesPerEU: 4
; NumVGPRsForWavesPerEU: 1
; AccumOffset: 4
; Occupancy: 8
; WaveLimiterHint : 0
; COMPUTE_PGM_RSRC2:SCRATCH_EN: 0
; COMPUTE_PGM_RSRC2:USER_SGPR: 6
; COMPUTE_PGM_RSRC2:TRAP_HANDLER: 0
; COMPUTE_PGM_RSRC2:TGID_X_EN: 1
; COMPUTE_PGM_RSRC2:TGID_Y_EN: 0
; COMPUTE_PGM_RSRC2:TGID_Z_EN: 0
; COMPUTE_PGM_RSRC2:TIDIG_COMP_CNT: 0
; COMPUTE_PGM_RSRC3_GFX90A:ACCUM_OFFSET: 0
; COMPUTE_PGM_RSRC3_GFX90A:TG_SPLIT: 0
	.section	.text._ZN7rocprim17ROCPRIM_400000_NS6detail17trampoline_kernelINS0_14default_configENS1_25partition_config_selectorILNS1_17partition_subalgoE8ElNS0_10empty_typeEbEEZZNS1_14partition_implILS5_8ELb0ES3_jPlPS6_PKS6_NS0_5tupleIJS9_S6_EEENSD_IJSA_SA_EEENS0_18inequality_wrapperIZN2at6native12_GLOBAL__N_124unique_dim_cuda_templateIN3c108BFloat16EEESt5tupleIJNSH_6TensorESO_SO_EERKSO_lbbbEUlllE0_EEPmJS6_EEE10hipError_tPvRmT3_T4_T5_T6_T7_T9_mT8_P12ihipStream_tbDpT10_ENKUlT_T0_E_clISt17integral_constantIbLb1EES1E_EEDaS19_S1A_EUlS19_E_NS1_11comp_targetILNS1_3genE0ELNS1_11target_archE4294967295ELNS1_3gpuE0ELNS1_3repE0EEENS1_30default_config_static_selectorELNS0_4arch9wavefront6targetE1EEEvT1_,"axG",@progbits,_ZN7rocprim17ROCPRIM_400000_NS6detail17trampoline_kernelINS0_14default_configENS1_25partition_config_selectorILNS1_17partition_subalgoE8ElNS0_10empty_typeEbEEZZNS1_14partition_implILS5_8ELb0ES3_jPlPS6_PKS6_NS0_5tupleIJS9_S6_EEENSD_IJSA_SA_EEENS0_18inequality_wrapperIZN2at6native12_GLOBAL__N_124unique_dim_cuda_templateIN3c108BFloat16EEESt5tupleIJNSH_6TensorESO_SO_EERKSO_lbbbEUlllE0_EEPmJS6_EEE10hipError_tPvRmT3_T4_T5_T6_T7_T9_mT8_P12ihipStream_tbDpT10_ENKUlT_T0_E_clISt17integral_constantIbLb1EES1E_EEDaS19_S1A_EUlS19_E_NS1_11comp_targetILNS1_3genE0ELNS1_11target_archE4294967295ELNS1_3gpuE0ELNS1_3repE0EEENS1_30default_config_static_selectorELNS0_4arch9wavefront6targetE1EEEvT1_,comdat
	.globl	_ZN7rocprim17ROCPRIM_400000_NS6detail17trampoline_kernelINS0_14default_configENS1_25partition_config_selectorILNS1_17partition_subalgoE8ElNS0_10empty_typeEbEEZZNS1_14partition_implILS5_8ELb0ES3_jPlPS6_PKS6_NS0_5tupleIJS9_S6_EEENSD_IJSA_SA_EEENS0_18inequality_wrapperIZN2at6native12_GLOBAL__N_124unique_dim_cuda_templateIN3c108BFloat16EEESt5tupleIJNSH_6TensorESO_SO_EERKSO_lbbbEUlllE0_EEPmJS6_EEE10hipError_tPvRmT3_T4_T5_T6_T7_T9_mT8_P12ihipStream_tbDpT10_ENKUlT_T0_E_clISt17integral_constantIbLb1EES1E_EEDaS19_S1A_EUlS19_E_NS1_11comp_targetILNS1_3genE0ELNS1_11target_archE4294967295ELNS1_3gpuE0ELNS1_3repE0EEENS1_30default_config_static_selectorELNS0_4arch9wavefront6targetE1EEEvT1_ ; -- Begin function _ZN7rocprim17ROCPRIM_400000_NS6detail17trampoline_kernelINS0_14default_configENS1_25partition_config_selectorILNS1_17partition_subalgoE8ElNS0_10empty_typeEbEEZZNS1_14partition_implILS5_8ELb0ES3_jPlPS6_PKS6_NS0_5tupleIJS9_S6_EEENSD_IJSA_SA_EEENS0_18inequality_wrapperIZN2at6native12_GLOBAL__N_124unique_dim_cuda_templateIN3c108BFloat16EEESt5tupleIJNSH_6TensorESO_SO_EERKSO_lbbbEUlllE0_EEPmJS6_EEE10hipError_tPvRmT3_T4_T5_T6_T7_T9_mT8_P12ihipStream_tbDpT10_ENKUlT_T0_E_clISt17integral_constantIbLb1EES1E_EEDaS19_S1A_EUlS19_E_NS1_11comp_targetILNS1_3genE0ELNS1_11target_archE4294967295ELNS1_3gpuE0ELNS1_3repE0EEENS1_30default_config_static_selectorELNS0_4arch9wavefront6targetE1EEEvT1_
	.p2align	8
	.type	_ZN7rocprim17ROCPRIM_400000_NS6detail17trampoline_kernelINS0_14default_configENS1_25partition_config_selectorILNS1_17partition_subalgoE8ElNS0_10empty_typeEbEEZZNS1_14partition_implILS5_8ELb0ES3_jPlPS6_PKS6_NS0_5tupleIJS9_S6_EEENSD_IJSA_SA_EEENS0_18inequality_wrapperIZN2at6native12_GLOBAL__N_124unique_dim_cuda_templateIN3c108BFloat16EEESt5tupleIJNSH_6TensorESO_SO_EERKSO_lbbbEUlllE0_EEPmJS6_EEE10hipError_tPvRmT3_T4_T5_T6_T7_T9_mT8_P12ihipStream_tbDpT10_ENKUlT_T0_E_clISt17integral_constantIbLb1EES1E_EEDaS19_S1A_EUlS19_E_NS1_11comp_targetILNS1_3genE0ELNS1_11target_archE4294967295ELNS1_3gpuE0ELNS1_3repE0EEENS1_30default_config_static_selectorELNS0_4arch9wavefront6targetE1EEEvT1_,@function
_ZN7rocprim17ROCPRIM_400000_NS6detail17trampoline_kernelINS0_14default_configENS1_25partition_config_selectorILNS1_17partition_subalgoE8ElNS0_10empty_typeEbEEZZNS1_14partition_implILS5_8ELb0ES3_jPlPS6_PKS6_NS0_5tupleIJS9_S6_EEENSD_IJSA_SA_EEENS0_18inequality_wrapperIZN2at6native12_GLOBAL__N_124unique_dim_cuda_templateIN3c108BFloat16EEESt5tupleIJNSH_6TensorESO_SO_EERKSO_lbbbEUlllE0_EEPmJS6_EEE10hipError_tPvRmT3_T4_T5_T6_T7_T9_mT8_P12ihipStream_tbDpT10_ENKUlT_T0_E_clISt17integral_constantIbLb1EES1E_EEDaS19_S1A_EUlS19_E_NS1_11comp_targetILNS1_3genE0ELNS1_11target_archE4294967295ELNS1_3gpuE0ELNS1_3repE0EEENS1_30default_config_static_selectorELNS0_4arch9wavefront6targetE1EEEvT1_: ; @_ZN7rocprim17ROCPRIM_400000_NS6detail17trampoline_kernelINS0_14default_configENS1_25partition_config_selectorILNS1_17partition_subalgoE8ElNS0_10empty_typeEbEEZZNS1_14partition_implILS5_8ELb0ES3_jPlPS6_PKS6_NS0_5tupleIJS9_S6_EEENSD_IJSA_SA_EEENS0_18inequality_wrapperIZN2at6native12_GLOBAL__N_124unique_dim_cuda_templateIN3c108BFloat16EEESt5tupleIJNSH_6TensorESO_SO_EERKSO_lbbbEUlllE0_EEPmJS6_EEE10hipError_tPvRmT3_T4_T5_T6_T7_T9_mT8_P12ihipStream_tbDpT10_ENKUlT_T0_E_clISt17integral_constantIbLb1EES1E_EEDaS19_S1A_EUlS19_E_NS1_11comp_targetILNS1_3genE0ELNS1_11target_archE4294967295ELNS1_3gpuE0ELNS1_3repE0EEENS1_30default_config_static_selectorELNS0_4arch9wavefront6targetE1EEEvT1_
; %bb.0:
	.section	.rodata,"a",@progbits
	.p2align	6, 0x0
	.amdhsa_kernel _ZN7rocprim17ROCPRIM_400000_NS6detail17trampoline_kernelINS0_14default_configENS1_25partition_config_selectorILNS1_17partition_subalgoE8ElNS0_10empty_typeEbEEZZNS1_14partition_implILS5_8ELb0ES3_jPlPS6_PKS6_NS0_5tupleIJS9_S6_EEENSD_IJSA_SA_EEENS0_18inequality_wrapperIZN2at6native12_GLOBAL__N_124unique_dim_cuda_templateIN3c108BFloat16EEESt5tupleIJNSH_6TensorESO_SO_EERKSO_lbbbEUlllE0_EEPmJS6_EEE10hipError_tPvRmT3_T4_T5_T6_T7_T9_mT8_P12ihipStream_tbDpT10_ENKUlT_T0_E_clISt17integral_constantIbLb1EES1E_EEDaS19_S1A_EUlS19_E_NS1_11comp_targetILNS1_3genE0ELNS1_11target_archE4294967295ELNS1_3gpuE0ELNS1_3repE0EEENS1_30default_config_static_selectorELNS0_4arch9wavefront6targetE1EEEvT1_
		.amdhsa_group_segment_fixed_size 0
		.amdhsa_private_segment_fixed_size 0
		.amdhsa_kernarg_size 136
		.amdhsa_user_sgpr_count 6
		.amdhsa_user_sgpr_private_segment_buffer 1
		.amdhsa_user_sgpr_dispatch_ptr 0
		.amdhsa_user_sgpr_queue_ptr 0
		.amdhsa_user_sgpr_kernarg_segment_ptr 1
		.amdhsa_user_sgpr_dispatch_id 0
		.amdhsa_user_sgpr_flat_scratch_init 0
		.amdhsa_user_sgpr_kernarg_preload_length 0
		.amdhsa_user_sgpr_kernarg_preload_offset 0
		.amdhsa_user_sgpr_private_segment_size 0
		.amdhsa_uses_dynamic_stack 0
		.amdhsa_system_sgpr_private_segment_wavefront_offset 0
		.amdhsa_system_sgpr_workgroup_id_x 1
		.amdhsa_system_sgpr_workgroup_id_y 0
		.amdhsa_system_sgpr_workgroup_id_z 0
		.amdhsa_system_sgpr_workgroup_info 0
		.amdhsa_system_vgpr_workitem_id 0
		.amdhsa_next_free_vgpr 1
		.amdhsa_next_free_sgpr 0
		.amdhsa_accum_offset 4
		.amdhsa_reserve_vcc 0
		.amdhsa_reserve_flat_scratch 0
		.amdhsa_float_round_mode_32 0
		.amdhsa_float_round_mode_16_64 0
		.amdhsa_float_denorm_mode_32 3
		.amdhsa_float_denorm_mode_16_64 3
		.amdhsa_dx10_clamp 1
		.amdhsa_ieee_mode 1
		.amdhsa_fp16_overflow 0
		.amdhsa_tg_split 0
		.amdhsa_exception_fp_ieee_invalid_op 0
		.amdhsa_exception_fp_denorm_src 0
		.amdhsa_exception_fp_ieee_div_zero 0
		.amdhsa_exception_fp_ieee_overflow 0
		.amdhsa_exception_fp_ieee_underflow 0
		.amdhsa_exception_fp_ieee_inexact 0
		.amdhsa_exception_int_div_zero 0
	.end_amdhsa_kernel
	.section	.text._ZN7rocprim17ROCPRIM_400000_NS6detail17trampoline_kernelINS0_14default_configENS1_25partition_config_selectorILNS1_17partition_subalgoE8ElNS0_10empty_typeEbEEZZNS1_14partition_implILS5_8ELb0ES3_jPlPS6_PKS6_NS0_5tupleIJS9_S6_EEENSD_IJSA_SA_EEENS0_18inequality_wrapperIZN2at6native12_GLOBAL__N_124unique_dim_cuda_templateIN3c108BFloat16EEESt5tupleIJNSH_6TensorESO_SO_EERKSO_lbbbEUlllE0_EEPmJS6_EEE10hipError_tPvRmT3_T4_T5_T6_T7_T9_mT8_P12ihipStream_tbDpT10_ENKUlT_T0_E_clISt17integral_constantIbLb1EES1E_EEDaS19_S1A_EUlS19_E_NS1_11comp_targetILNS1_3genE0ELNS1_11target_archE4294967295ELNS1_3gpuE0ELNS1_3repE0EEENS1_30default_config_static_selectorELNS0_4arch9wavefront6targetE1EEEvT1_,"axG",@progbits,_ZN7rocprim17ROCPRIM_400000_NS6detail17trampoline_kernelINS0_14default_configENS1_25partition_config_selectorILNS1_17partition_subalgoE8ElNS0_10empty_typeEbEEZZNS1_14partition_implILS5_8ELb0ES3_jPlPS6_PKS6_NS0_5tupleIJS9_S6_EEENSD_IJSA_SA_EEENS0_18inequality_wrapperIZN2at6native12_GLOBAL__N_124unique_dim_cuda_templateIN3c108BFloat16EEESt5tupleIJNSH_6TensorESO_SO_EERKSO_lbbbEUlllE0_EEPmJS6_EEE10hipError_tPvRmT3_T4_T5_T6_T7_T9_mT8_P12ihipStream_tbDpT10_ENKUlT_T0_E_clISt17integral_constantIbLb1EES1E_EEDaS19_S1A_EUlS19_E_NS1_11comp_targetILNS1_3genE0ELNS1_11target_archE4294967295ELNS1_3gpuE0ELNS1_3repE0EEENS1_30default_config_static_selectorELNS0_4arch9wavefront6targetE1EEEvT1_,comdat
.Lfunc_end1181:
	.size	_ZN7rocprim17ROCPRIM_400000_NS6detail17trampoline_kernelINS0_14default_configENS1_25partition_config_selectorILNS1_17partition_subalgoE8ElNS0_10empty_typeEbEEZZNS1_14partition_implILS5_8ELb0ES3_jPlPS6_PKS6_NS0_5tupleIJS9_S6_EEENSD_IJSA_SA_EEENS0_18inequality_wrapperIZN2at6native12_GLOBAL__N_124unique_dim_cuda_templateIN3c108BFloat16EEESt5tupleIJNSH_6TensorESO_SO_EERKSO_lbbbEUlllE0_EEPmJS6_EEE10hipError_tPvRmT3_T4_T5_T6_T7_T9_mT8_P12ihipStream_tbDpT10_ENKUlT_T0_E_clISt17integral_constantIbLb1EES1E_EEDaS19_S1A_EUlS19_E_NS1_11comp_targetILNS1_3genE0ELNS1_11target_archE4294967295ELNS1_3gpuE0ELNS1_3repE0EEENS1_30default_config_static_selectorELNS0_4arch9wavefront6targetE1EEEvT1_, .Lfunc_end1181-_ZN7rocprim17ROCPRIM_400000_NS6detail17trampoline_kernelINS0_14default_configENS1_25partition_config_selectorILNS1_17partition_subalgoE8ElNS0_10empty_typeEbEEZZNS1_14partition_implILS5_8ELb0ES3_jPlPS6_PKS6_NS0_5tupleIJS9_S6_EEENSD_IJSA_SA_EEENS0_18inequality_wrapperIZN2at6native12_GLOBAL__N_124unique_dim_cuda_templateIN3c108BFloat16EEESt5tupleIJNSH_6TensorESO_SO_EERKSO_lbbbEUlllE0_EEPmJS6_EEE10hipError_tPvRmT3_T4_T5_T6_T7_T9_mT8_P12ihipStream_tbDpT10_ENKUlT_T0_E_clISt17integral_constantIbLb1EES1E_EEDaS19_S1A_EUlS19_E_NS1_11comp_targetILNS1_3genE0ELNS1_11target_archE4294967295ELNS1_3gpuE0ELNS1_3repE0EEENS1_30default_config_static_selectorELNS0_4arch9wavefront6targetE1EEEvT1_
                                        ; -- End function
	.section	.AMDGPU.csdata,"",@progbits
; Kernel info:
; codeLenInByte = 0
; NumSgprs: 4
; NumVgprs: 0
; NumAgprs: 0
; TotalNumVgprs: 0
; ScratchSize: 0
; MemoryBound: 0
; FloatMode: 240
; IeeeMode: 1
; LDSByteSize: 0 bytes/workgroup (compile time only)
; SGPRBlocks: 0
; VGPRBlocks: 0
; NumSGPRsForWavesPerEU: 4
; NumVGPRsForWavesPerEU: 1
; AccumOffset: 4
; Occupancy: 8
; WaveLimiterHint : 0
; COMPUTE_PGM_RSRC2:SCRATCH_EN: 0
; COMPUTE_PGM_RSRC2:USER_SGPR: 6
; COMPUTE_PGM_RSRC2:TRAP_HANDLER: 0
; COMPUTE_PGM_RSRC2:TGID_X_EN: 1
; COMPUTE_PGM_RSRC2:TGID_Y_EN: 0
; COMPUTE_PGM_RSRC2:TGID_Z_EN: 0
; COMPUTE_PGM_RSRC2:TIDIG_COMP_CNT: 0
; COMPUTE_PGM_RSRC3_GFX90A:ACCUM_OFFSET: 0
; COMPUTE_PGM_RSRC3_GFX90A:TG_SPLIT: 0
	.section	.text._ZN7rocprim17ROCPRIM_400000_NS6detail17trampoline_kernelINS0_14default_configENS1_25partition_config_selectorILNS1_17partition_subalgoE8ElNS0_10empty_typeEbEEZZNS1_14partition_implILS5_8ELb0ES3_jPlPS6_PKS6_NS0_5tupleIJS9_S6_EEENSD_IJSA_SA_EEENS0_18inequality_wrapperIZN2at6native12_GLOBAL__N_124unique_dim_cuda_templateIN3c108BFloat16EEESt5tupleIJNSH_6TensorESO_SO_EERKSO_lbbbEUlllE0_EEPmJS6_EEE10hipError_tPvRmT3_T4_T5_T6_T7_T9_mT8_P12ihipStream_tbDpT10_ENKUlT_T0_E_clISt17integral_constantIbLb1EES1E_EEDaS19_S1A_EUlS19_E_NS1_11comp_targetILNS1_3genE5ELNS1_11target_archE942ELNS1_3gpuE9ELNS1_3repE0EEENS1_30default_config_static_selectorELNS0_4arch9wavefront6targetE1EEEvT1_,"axG",@progbits,_ZN7rocprim17ROCPRIM_400000_NS6detail17trampoline_kernelINS0_14default_configENS1_25partition_config_selectorILNS1_17partition_subalgoE8ElNS0_10empty_typeEbEEZZNS1_14partition_implILS5_8ELb0ES3_jPlPS6_PKS6_NS0_5tupleIJS9_S6_EEENSD_IJSA_SA_EEENS0_18inequality_wrapperIZN2at6native12_GLOBAL__N_124unique_dim_cuda_templateIN3c108BFloat16EEESt5tupleIJNSH_6TensorESO_SO_EERKSO_lbbbEUlllE0_EEPmJS6_EEE10hipError_tPvRmT3_T4_T5_T6_T7_T9_mT8_P12ihipStream_tbDpT10_ENKUlT_T0_E_clISt17integral_constantIbLb1EES1E_EEDaS19_S1A_EUlS19_E_NS1_11comp_targetILNS1_3genE5ELNS1_11target_archE942ELNS1_3gpuE9ELNS1_3repE0EEENS1_30default_config_static_selectorELNS0_4arch9wavefront6targetE1EEEvT1_,comdat
	.globl	_ZN7rocprim17ROCPRIM_400000_NS6detail17trampoline_kernelINS0_14default_configENS1_25partition_config_selectorILNS1_17partition_subalgoE8ElNS0_10empty_typeEbEEZZNS1_14partition_implILS5_8ELb0ES3_jPlPS6_PKS6_NS0_5tupleIJS9_S6_EEENSD_IJSA_SA_EEENS0_18inequality_wrapperIZN2at6native12_GLOBAL__N_124unique_dim_cuda_templateIN3c108BFloat16EEESt5tupleIJNSH_6TensorESO_SO_EERKSO_lbbbEUlllE0_EEPmJS6_EEE10hipError_tPvRmT3_T4_T5_T6_T7_T9_mT8_P12ihipStream_tbDpT10_ENKUlT_T0_E_clISt17integral_constantIbLb1EES1E_EEDaS19_S1A_EUlS19_E_NS1_11comp_targetILNS1_3genE5ELNS1_11target_archE942ELNS1_3gpuE9ELNS1_3repE0EEENS1_30default_config_static_selectorELNS0_4arch9wavefront6targetE1EEEvT1_ ; -- Begin function _ZN7rocprim17ROCPRIM_400000_NS6detail17trampoline_kernelINS0_14default_configENS1_25partition_config_selectorILNS1_17partition_subalgoE8ElNS0_10empty_typeEbEEZZNS1_14partition_implILS5_8ELb0ES3_jPlPS6_PKS6_NS0_5tupleIJS9_S6_EEENSD_IJSA_SA_EEENS0_18inequality_wrapperIZN2at6native12_GLOBAL__N_124unique_dim_cuda_templateIN3c108BFloat16EEESt5tupleIJNSH_6TensorESO_SO_EERKSO_lbbbEUlllE0_EEPmJS6_EEE10hipError_tPvRmT3_T4_T5_T6_T7_T9_mT8_P12ihipStream_tbDpT10_ENKUlT_T0_E_clISt17integral_constantIbLb1EES1E_EEDaS19_S1A_EUlS19_E_NS1_11comp_targetILNS1_3genE5ELNS1_11target_archE942ELNS1_3gpuE9ELNS1_3repE0EEENS1_30default_config_static_selectorELNS0_4arch9wavefront6targetE1EEEvT1_
	.p2align	8
	.type	_ZN7rocprim17ROCPRIM_400000_NS6detail17trampoline_kernelINS0_14default_configENS1_25partition_config_selectorILNS1_17partition_subalgoE8ElNS0_10empty_typeEbEEZZNS1_14partition_implILS5_8ELb0ES3_jPlPS6_PKS6_NS0_5tupleIJS9_S6_EEENSD_IJSA_SA_EEENS0_18inequality_wrapperIZN2at6native12_GLOBAL__N_124unique_dim_cuda_templateIN3c108BFloat16EEESt5tupleIJNSH_6TensorESO_SO_EERKSO_lbbbEUlllE0_EEPmJS6_EEE10hipError_tPvRmT3_T4_T5_T6_T7_T9_mT8_P12ihipStream_tbDpT10_ENKUlT_T0_E_clISt17integral_constantIbLb1EES1E_EEDaS19_S1A_EUlS19_E_NS1_11comp_targetILNS1_3genE5ELNS1_11target_archE942ELNS1_3gpuE9ELNS1_3repE0EEENS1_30default_config_static_selectorELNS0_4arch9wavefront6targetE1EEEvT1_,@function
_ZN7rocprim17ROCPRIM_400000_NS6detail17trampoline_kernelINS0_14default_configENS1_25partition_config_selectorILNS1_17partition_subalgoE8ElNS0_10empty_typeEbEEZZNS1_14partition_implILS5_8ELb0ES3_jPlPS6_PKS6_NS0_5tupleIJS9_S6_EEENSD_IJSA_SA_EEENS0_18inequality_wrapperIZN2at6native12_GLOBAL__N_124unique_dim_cuda_templateIN3c108BFloat16EEESt5tupleIJNSH_6TensorESO_SO_EERKSO_lbbbEUlllE0_EEPmJS6_EEE10hipError_tPvRmT3_T4_T5_T6_T7_T9_mT8_P12ihipStream_tbDpT10_ENKUlT_T0_E_clISt17integral_constantIbLb1EES1E_EEDaS19_S1A_EUlS19_E_NS1_11comp_targetILNS1_3genE5ELNS1_11target_archE942ELNS1_3gpuE9ELNS1_3repE0EEENS1_30default_config_static_selectorELNS0_4arch9wavefront6targetE1EEEvT1_: ; @_ZN7rocprim17ROCPRIM_400000_NS6detail17trampoline_kernelINS0_14default_configENS1_25partition_config_selectorILNS1_17partition_subalgoE8ElNS0_10empty_typeEbEEZZNS1_14partition_implILS5_8ELb0ES3_jPlPS6_PKS6_NS0_5tupleIJS9_S6_EEENSD_IJSA_SA_EEENS0_18inequality_wrapperIZN2at6native12_GLOBAL__N_124unique_dim_cuda_templateIN3c108BFloat16EEESt5tupleIJNSH_6TensorESO_SO_EERKSO_lbbbEUlllE0_EEPmJS6_EEE10hipError_tPvRmT3_T4_T5_T6_T7_T9_mT8_P12ihipStream_tbDpT10_ENKUlT_T0_E_clISt17integral_constantIbLb1EES1E_EEDaS19_S1A_EUlS19_E_NS1_11comp_targetILNS1_3genE5ELNS1_11target_archE942ELNS1_3gpuE9ELNS1_3repE0EEENS1_30default_config_static_selectorELNS0_4arch9wavefront6targetE1EEEvT1_
; %bb.0:
	.section	.rodata,"a",@progbits
	.p2align	6, 0x0
	.amdhsa_kernel _ZN7rocprim17ROCPRIM_400000_NS6detail17trampoline_kernelINS0_14default_configENS1_25partition_config_selectorILNS1_17partition_subalgoE8ElNS0_10empty_typeEbEEZZNS1_14partition_implILS5_8ELb0ES3_jPlPS6_PKS6_NS0_5tupleIJS9_S6_EEENSD_IJSA_SA_EEENS0_18inequality_wrapperIZN2at6native12_GLOBAL__N_124unique_dim_cuda_templateIN3c108BFloat16EEESt5tupleIJNSH_6TensorESO_SO_EERKSO_lbbbEUlllE0_EEPmJS6_EEE10hipError_tPvRmT3_T4_T5_T6_T7_T9_mT8_P12ihipStream_tbDpT10_ENKUlT_T0_E_clISt17integral_constantIbLb1EES1E_EEDaS19_S1A_EUlS19_E_NS1_11comp_targetILNS1_3genE5ELNS1_11target_archE942ELNS1_3gpuE9ELNS1_3repE0EEENS1_30default_config_static_selectorELNS0_4arch9wavefront6targetE1EEEvT1_
		.amdhsa_group_segment_fixed_size 0
		.amdhsa_private_segment_fixed_size 0
		.amdhsa_kernarg_size 136
		.amdhsa_user_sgpr_count 6
		.amdhsa_user_sgpr_private_segment_buffer 1
		.amdhsa_user_sgpr_dispatch_ptr 0
		.amdhsa_user_sgpr_queue_ptr 0
		.amdhsa_user_sgpr_kernarg_segment_ptr 1
		.amdhsa_user_sgpr_dispatch_id 0
		.amdhsa_user_sgpr_flat_scratch_init 0
		.amdhsa_user_sgpr_kernarg_preload_length 0
		.amdhsa_user_sgpr_kernarg_preload_offset 0
		.amdhsa_user_sgpr_private_segment_size 0
		.amdhsa_uses_dynamic_stack 0
		.amdhsa_system_sgpr_private_segment_wavefront_offset 0
		.amdhsa_system_sgpr_workgroup_id_x 1
		.amdhsa_system_sgpr_workgroup_id_y 0
		.amdhsa_system_sgpr_workgroup_id_z 0
		.amdhsa_system_sgpr_workgroup_info 0
		.amdhsa_system_vgpr_workitem_id 0
		.amdhsa_next_free_vgpr 1
		.amdhsa_next_free_sgpr 0
		.amdhsa_accum_offset 4
		.amdhsa_reserve_vcc 0
		.amdhsa_reserve_flat_scratch 0
		.amdhsa_float_round_mode_32 0
		.amdhsa_float_round_mode_16_64 0
		.amdhsa_float_denorm_mode_32 3
		.amdhsa_float_denorm_mode_16_64 3
		.amdhsa_dx10_clamp 1
		.amdhsa_ieee_mode 1
		.amdhsa_fp16_overflow 0
		.amdhsa_tg_split 0
		.amdhsa_exception_fp_ieee_invalid_op 0
		.amdhsa_exception_fp_denorm_src 0
		.amdhsa_exception_fp_ieee_div_zero 0
		.amdhsa_exception_fp_ieee_overflow 0
		.amdhsa_exception_fp_ieee_underflow 0
		.amdhsa_exception_fp_ieee_inexact 0
		.amdhsa_exception_int_div_zero 0
	.end_amdhsa_kernel
	.section	.text._ZN7rocprim17ROCPRIM_400000_NS6detail17trampoline_kernelINS0_14default_configENS1_25partition_config_selectorILNS1_17partition_subalgoE8ElNS0_10empty_typeEbEEZZNS1_14partition_implILS5_8ELb0ES3_jPlPS6_PKS6_NS0_5tupleIJS9_S6_EEENSD_IJSA_SA_EEENS0_18inequality_wrapperIZN2at6native12_GLOBAL__N_124unique_dim_cuda_templateIN3c108BFloat16EEESt5tupleIJNSH_6TensorESO_SO_EERKSO_lbbbEUlllE0_EEPmJS6_EEE10hipError_tPvRmT3_T4_T5_T6_T7_T9_mT8_P12ihipStream_tbDpT10_ENKUlT_T0_E_clISt17integral_constantIbLb1EES1E_EEDaS19_S1A_EUlS19_E_NS1_11comp_targetILNS1_3genE5ELNS1_11target_archE942ELNS1_3gpuE9ELNS1_3repE0EEENS1_30default_config_static_selectorELNS0_4arch9wavefront6targetE1EEEvT1_,"axG",@progbits,_ZN7rocprim17ROCPRIM_400000_NS6detail17trampoline_kernelINS0_14default_configENS1_25partition_config_selectorILNS1_17partition_subalgoE8ElNS0_10empty_typeEbEEZZNS1_14partition_implILS5_8ELb0ES3_jPlPS6_PKS6_NS0_5tupleIJS9_S6_EEENSD_IJSA_SA_EEENS0_18inequality_wrapperIZN2at6native12_GLOBAL__N_124unique_dim_cuda_templateIN3c108BFloat16EEESt5tupleIJNSH_6TensorESO_SO_EERKSO_lbbbEUlllE0_EEPmJS6_EEE10hipError_tPvRmT3_T4_T5_T6_T7_T9_mT8_P12ihipStream_tbDpT10_ENKUlT_T0_E_clISt17integral_constantIbLb1EES1E_EEDaS19_S1A_EUlS19_E_NS1_11comp_targetILNS1_3genE5ELNS1_11target_archE942ELNS1_3gpuE9ELNS1_3repE0EEENS1_30default_config_static_selectorELNS0_4arch9wavefront6targetE1EEEvT1_,comdat
.Lfunc_end1182:
	.size	_ZN7rocprim17ROCPRIM_400000_NS6detail17trampoline_kernelINS0_14default_configENS1_25partition_config_selectorILNS1_17partition_subalgoE8ElNS0_10empty_typeEbEEZZNS1_14partition_implILS5_8ELb0ES3_jPlPS6_PKS6_NS0_5tupleIJS9_S6_EEENSD_IJSA_SA_EEENS0_18inequality_wrapperIZN2at6native12_GLOBAL__N_124unique_dim_cuda_templateIN3c108BFloat16EEESt5tupleIJNSH_6TensorESO_SO_EERKSO_lbbbEUlllE0_EEPmJS6_EEE10hipError_tPvRmT3_T4_T5_T6_T7_T9_mT8_P12ihipStream_tbDpT10_ENKUlT_T0_E_clISt17integral_constantIbLb1EES1E_EEDaS19_S1A_EUlS19_E_NS1_11comp_targetILNS1_3genE5ELNS1_11target_archE942ELNS1_3gpuE9ELNS1_3repE0EEENS1_30default_config_static_selectorELNS0_4arch9wavefront6targetE1EEEvT1_, .Lfunc_end1182-_ZN7rocprim17ROCPRIM_400000_NS6detail17trampoline_kernelINS0_14default_configENS1_25partition_config_selectorILNS1_17partition_subalgoE8ElNS0_10empty_typeEbEEZZNS1_14partition_implILS5_8ELb0ES3_jPlPS6_PKS6_NS0_5tupleIJS9_S6_EEENSD_IJSA_SA_EEENS0_18inequality_wrapperIZN2at6native12_GLOBAL__N_124unique_dim_cuda_templateIN3c108BFloat16EEESt5tupleIJNSH_6TensorESO_SO_EERKSO_lbbbEUlllE0_EEPmJS6_EEE10hipError_tPvRmT3_T4_T5_T6_T7_T9_mT8_P12ihipStream_tbDpT10_ENKUlT_T0_E_clISt17integral_constantIbLb1EES1E_EEDaS19_S1A_EUlS19_E_NS1_11comp_targetILNS1_3genE5ELNS1_11target_archE942ELNS1_3gpuE9ELNS1_3repE0EEENS1_30default_config_static_selectorELNS0_4arch9wavefront6targetE1EEEvT1_
                                        ; -- End function
	.section	.AMDGPU.csdata,"",@progbits
; Kernel info:
; codeLenInByte = 0
; NumSgprs: 4
; NumVgprs: 0
; NumAgprs: 0
; TotalNumVgprs: 0
; ScratchSize: 0
; MemoryBound: 0
; FloatMode: 240
; IeeeMode: 1
; LDSByteSize: 0 bytes/workgroup (compile time only)
; SGPRBlocks: 0
; VGPRBlocks: 0
; NumSGPRsForWavesPerEU: 4
; NumVGPRsForWavesPerEU: 1
; AccumOffset: 4
; Occupancy: 8
; WaveLimiterHint : 0
; COMPUTE_PGM_RSRC2:SCRATCH_EN: 0
; COMPUTE_PGM_RSRC2:USER_SGPR: 6
; COMPUTE_PGM_RSRC2:TRAP_HANDLER: 0
; COMPUTE_PGM_RSRC2:TGID_X_EN: 1
; COMPUTE_PGM_RSRC2:TGID_Y_EN: 0
; COMPUTE_PGM_RSRC2:TGID_Z_EN: 0
; COMPUTE_PGM_RSRC2:TIDIG_COMP_CNT: 0
; COMPUTE_PGM_RSRC3_GFX90A:ACCUM_OFFSET: 0
; COMPUTE_PGM_RSRC3_GFX90A:TG_SPLIT: 0
	.section	.text._ZN7rocprim17ROCPRIM_400000_NS6detail17trampoline_kernelINS0_14default_configENS1_25partition_config_selectorILNS1_17partition_subalgoE8ElNS0_10empty_typeEbEEZZNS1_14partition_implILS5_8ELb0ES3_jPlPS6_PKS6_NS0_5tupleIJS9_S6_EEENSD_IJSA_SA_EEENS0_18inequality_wrapperIZN2at6native12_GLOBAL__N_124unique_dim_cuda_templateIN3c108BFloat16EEESt5tupleIJNSH_6TensorESO_SO_EERKSO_lbbbEUlllE0_EEPmJS6_EEE10hipError_tPvRmT3_T4_T5_T6_T7_T9_mT8_P12ihipStream_tbDpT10_ENKUlT_T0_E_clISt17integral_constantIbLb1EES1E_EEDaS19_S1A_EUlS19_E_NS1_11comp_targetILNS1_3genE4ELNS1_11target_archE910ELNS1_3gpuE8ELNS1_3repE0EEENS1_30default_config_static_selectorELNS0_4arch9wavefront6targetE1EEEvT1_,"axG",@progbits,_ZN7rocprim17ROCPRIM_400000_NS6detail17trampoline_kernelINS0_14default_configENS1_25partition_config_selectorILNS1_17partition_subalgoE8ElNS0_10empty_typeEbEEZZNS1_14partition_implILS5_8ELb0ES3_jPlPS6_PKS6_NS0_5tupleIJS9_S6_EEENSD_IJSA_SA_EEENS0_18inequality_wrapperIZN2at6native12_GLOBAL__N_124unique_dim_cuda_templateIN3c108BFloat16EEESt5tupleIJNSH_6TensorESO_SO_EERKSO_lbbbEUlllE0_EEPmJS6_EEE10hipError_tPvRmT3_T4_T5_T6_T7_T9_mT8_P12ihipStream_tbDpT10_ENKUlT_T0_E_clISt17integral_constantIbLb1EES1E_EEDaS19_S1A_EUlS19_E_NS1_11comp_targetILNS1_3genE4ELNS1_11target_archE910ELNS1_3gpuE8ELNS1_3repE0EEENS1_30default_config_static_selectorELNS0_4arch9wavefront6targetE1EEEvT1_,comdat
	.globl	_ZN7rocprim17ROCPRIM_400000_NS6detail17trampoline_kernelINS0_14default_configENS1_25partition_config_selectorILNS1_17partition_subalgoE8ElNS0_10empty_typeEbEEZZNS1_14partition_implILS5_8ELb0ES3_jPlPS6_PKS6_NS0_5tupleIJS9_S6_EEENSD_IJSA_SA_EEENS0_18inequality_wrapperIZN2at6native12_GLOBAL__N_124unique_dim_cuda_templateIN3c108BFloat16EEESt5tupleIJNSH_6TensorESO_SO_EERKSO_lbbbEUlllE0_EEPmJS6_EEE10hipError_tPvRmT3_T4_T5_T6_T7_T9_mT8_P12ihipStream_tbDpT10_ENKUlT_T0_E_clISt17integral_constantIbLb1EES1E_EEDaS19_S1A_EUlS19_E_NS1_11comp_targetILNS1_3genE4ELNS1_11target_archE910ELNS1_3gpuE8ELNS1_3repE0EEENS1_30default_config_static_selectorELNS0_4arch9wavefront6targetE1EEEvT1_ ; -- Begin function _ZN7rocprim17ROCPRIM_400000_NS6detail17trampoline_kernelINS0_14default_configENS1_25partition_config_selectorILNS1_17partition_subalgoE8ElNS0_10empty_typeEbEEZZNS1_14partition_implILS5_8ELb0ES3_jPlPS6_PKS6_NS0_5tupleIJS9_S6_EEENSD_IJSA_SA_EEENS0_18inequality_wrapperIZN2at6native12_GLOBAL__N_124unique_dim_cuda_templateIN3c108BFloat16EEESt5tupleIJNSH_6TensorESO_SO_EERKSO_lbbbEUlllE0_EEPmJS6_EEE10hipError_tPvRmT3_T4_T5_T6_T7_T9_mT8_P12ihipStream_tbDpT10_ENKUlT_T0_E_clISt17integral_constantIbLb1EES1E_EEDaS19_S1A_EUlS19_E_NS1_11comp_targetILNS1_3genE4ELNS1_11target_archE910ELNS1_3gpuE8ELNS1_3repE0EEENS1_30default_config_static_selectorELNS0_4arch9wavefront6targetE1EEEvT1_
	.p2align	8
	.type	_ZN7rocprim17ROCPRIM_400000_NS6detail17trampoline_kernelINS0_14default_configENS1_25partition_config_selectorILNS1_17partition_subalgoE8ElNS0_10empty_typeEbEEZZNS1_14partition_implILS5_8ELb0ES3_jPlPS6_PKS6_NS0_5tupleIJS9_S6_EEENSD_IJSA_SA_EEENS0_18inequality_wrapperIZN2at6native12_GLOBAL__N_124unique_dim_cuda_templateIN3c108BFloat16EEESt5tupleIJNSH_6TensorESO_SO_EERKSO_lbbbEUlllE0_EEPmJS6_EEE10hipError_tPvRmT3_T4_T5_T6_T7_T9_mT8_P12ihipStream_tbDpT10_ENKUlT_T0_E_clISt17integral_constantIbLb1EES1E_EEDaS19_S1A_EUlS19_E_NS1_11comp_targetILNS1_3genE4ELNS1_11target_archE910ELNS1_3gpuE8ELNS1_3repE0EEENS1_30default_config_static_selectorELNS0_4arch9wavefront6targetE1EEEvT1_,@function
_ZN7rocprim17ROCPRIM_400000_NS6detail17trampoline_kernelINS0_14default_configENS1_25partition_config_selectorILNS1_17partition_subalgoE8ElNS0_10empty_typeEbEEZZNS1_14partition_implILS5_8ELb0ES3_jPlPS6_PKS6_NS0_5tupleIJS9_S6_EEENSD_IJSA_SA_EEENS0_18inequality_wrapperIZN2at6native12_GLOBAL__N_124unique_dim_cuda_templateIN3c108BFloat16EEESt5tupleIJNSH_6TensorESO_SO_EERKSO_lbbbEUlllE0_EEPmJS6_EEE10hipError_tPvRmT3_T4_T5_T6_T7_T9_mT8_P12ihipStream_tbDpT10_ENKUlT_T0_E_clISt17integral_constantIbLb1EES1E_EEDaS19_S1A_EUlS19_E_NS1_11comp_targetILNS1_3genE4ELNS1_11target_archE910ELNS1_3gpuE8ELNS1_3repE0EEENS1_30default_config_static_selectorELNS0_4arch9wavefront6targetE1EEEvT1_: ; @_ZN7rocprim17ROCPRIM_400000_NS6detail17trampoline_kernelINS0_14default_configENS1_25partition_config_selectorILNS1_17partition_subalgoE8ElNS0_10empty_typeEbEEZZNS1_14partition_implILS5_8ELb0ES3_jPlPS6_PKS6_NS0_5tupleIJS9_S6_EEENSD_IJSA_SA_EEENS0_18inequality_wrapperIZN2at6native12_GLOBAL__N_124unique_dim_cuda_templateIN3c108BFloat16EEESt5tupleIJNSH_6TensorESO_SO_EERKSO_lbbbEUlllE0_EEPmJS6_EEE10hipError_tPvRmT3_T4_T5_T6_T7_T9_mT8_P12ihipStream_tbDpT10_ENKUlT_T0_E_clISt17integral_constantIbLb1EES1E_EEDaS19_S1A_EUlS19_E_NS1_11comp_targetILNS1_3genE4ELNS1_11target_archE910ELNS1_3gpuE8ELNS1_3repE0EEENS1_30default_config_static_selectorELNS0_4arch9wavefront6targetE1EEEvT1_
; %bb.0:
	s_load_dwordx2 s[28:29], s[4:5], 0x28
	s_load_dwordx8 s[20:27], s[4:5], 0x40
	s_load_dwordx4 s[16:19], s[4:5], 0x60
	v_cmp_ne_u32_e64 s[2:3], 0, v0
	v_cmp_eq_u32_e64 s[0:1], 0, v0
	s_and_saveexec_b64 s[6:7], s[0:1]
	s_cbranch_execz .LBB1183_4
; %bb.1:
	s_mov_b64 s[10:11], exec
	v_mbcnt_lo_u32_b32 v1, s10, 0
	v_mbcnt_hi_u32_b32 v1, s11, v1
	v_cmp_eq_u32_e32 vcc, 0, v1
                                        ; implicit-def: $vgpr2
	s_and_saveexec_b64 s[8:9], vcc
	s_cbranch_execz .LBB1183_3
; %bb.2:
	s_load_dwordx2 s[12:13], s[4:5], 0x78
	s_bcnt1_i32_b64 s10, s[10:11]
	v_mov_b32_e32 v2, 0
	v_mov_b32_e32 v3, s10
	s_waitcnt lgkmcnt(0)
	global_atomic_add v2, v2, v3, s[12:13] glc
.LBB1183_3:
	s_or_b64 exec, exec, s[8:9]
	s_waitcnt vmcnt(0)
	v_readfirstlane_b32 s8, v2
	v_add_u32_e32 v1, s8, v1
	v_mov_b32_e32 v2, 0
	ds_write_b32 v2, v1
.LBB1183_4:
	s_or_b64 exec, exec, s[6:7]
	v_mov_b32_e32 v3, 0
	s_load_dwordx4 s[8:11], s[4:5], 0x8
	s_load_dword s12, s[4:5], 0x70
	s_waitcnt lgkmcnt(0)
	s_barrier
	ds_read_b32 v1, v3
	s_waitcnt lgkmcnt(0)
	s_barrier
	global_load_dwordx2 v[4:5], v3, s[22:23]
	s_lshl_b64 s[4:5], s[10:11], 3
	s_mul_i32 s14, s12, 0x500
	s_add_u32 s8, s8, s4
	s_addc_u32 s4, s9, s5
	s_add_i32 s5, s14, s10
	s_add_i32 s12, s12, -1
	s_sub_i32 s48, s24, s5
	v_mov_b32_e32 v8, s4
	s_add_u32 s4, s10, s14
	s_addc_u32 s5, s11, 0
	v_readfirstlane_b32 s33, v1
	v_mov_b32_e32 v6, s24
	v_mov_b32_e32 v7, s25
	s_movk_i32 s13, 0x500
	s_cmp_eq_u32 s33, s12
	v_mul_lo_u32 v2, v1, s13
	v_cmp_ge_u64_e32 vcc, s[4:5], v[6:7]
	s_cselect_b64 s[24:25], -1, 0
	v_lshlrev_b64 v[2:3], 3, v[2:3]
	s_and_b64 s[12:13], vcc, s[24:25]
	v_add_co_u32_e64 v18, s[4:5], s8, v2
	s_xor_b64 s[30:31], s[12:13], -1
	s_mov_b64 s[6:7], -1
	v_addc_co_u32_e64 v19, s[4:5], v8, v3, s[4:5]
	s_and_b64 vcc, exec, s[30:31]
	s_waitcnt vmcnt(0)
	v_readfirstlane_b32 s22, v4
	v_readfirstlane_b32 s23, v5
	s_cbranch_vccz .LBB1183_6
; %bb.5:
	v_lshlrev_b32_e32 v1, 3, v0
	v_add_co_u32_e32 v12, vcc, v18, v1
	v_addc_co_u32_e32 v13, vcc, 0, v19, vcc
	v_add_co_u32_e32 v2, vcc, 0x1000, v12
	v_readfirstlane_b32 s4, v18
	v_readfirstlane_b32 s5, v19
	v_addc_co_u32_e32 v3, vcc, 0, v13, vcc
	s_nop 3
	global_load_dwordx2 v[4:5], v1, s[4:5]
	global_load_dwordx2 v[6:7], v1, s[4:5] offset:2048
	global_load_dwordx2 v[8:9], v[2:3], off
	global_load_dwordx2 v[10:11], v[2:3], off offset:2048
	v_add_co_u32_e32 v2, vcc, 0x2000, v12
	v_addc_co_u32_e32 v3, vcc, 0, v13, vcc
	global_load_dwordx2 v[2:3], v[2:3], off
	s_mov_b64 s[6:7], 0
	s_waitcnt vmcnt(3)
	ds_write2st64_b64 v1, v[4:5], v[6:7] offset1:4
	s_waitcnt vmcnt(1)
	ds_write2st64_b64 v1, v[8:9], v[10:11] offset0:8 offset1:12
	s_waitcnt vmcnt(0)
	ds_write_b64 v1, v[2:3] offset:8192
	s_waitcnt lgkmcnt(0)
	s_barrier
.LBB1183_6:
	s_andn2_b64 vcc, exec, s[6:7]
	s_addk_i32 s48, 0x500
	s_cbranch_vccnz .LBB1183_18
; %bb.7:
	v_cmp_gt_u32_e32 vcc, s48, v0
                                        ; implicit-def: $vgpr2_vgpr3_vgpr4_vgpr5_vgpr6_vgpr7_vgpr8_vgpr9_vgpr10_vgpr11_vgpr12_vgpr13_vgpr14_vgpr15_vgpr16_vgpr17
	s_and_saveexec_b64 s[4:5], vcc
	s_cbranch_execz .LBB1183_9
; %bb.8:
	v_lshlrev_b32_e32 v1, 3, v0
	v_readfirstlane_b32 s6, v18
	v_readfirstlane_b32 s7, v19
	s_nop 4
	global_load_dwordx2 v[2:3], v1, s[6:7]
.LBB1183_9:
	s_or_b64 exec, exec, s[4:5]
	v_or_b32_e32 v1, 0x100, v0
	v_cmp_gt_u32_e32 vcc, s48, v1
	s_and_saveexec_b64 s[4:5], vcc
	s_cbranch_execz .LBB1183_11
; %bb.10:
	v_lshlrev_b32_e32 v1, 3, v0
	v_readfirstlane_b32 s6, v18
	v_readfirstlane_b32 s7, v19
	s_nop 4
	global_load_dwordx2 v[4:5], v1, s[6:7] offset:2048
.LBB1183_11:
	s_or_b64 exec, exec, s[4:5]
	v_or_b32_e32 v1, 0x200, v0
	v_cmp_gt_u32_e32 vcc, s48, v1
	s_and_saveexec_b64 s[4:5], vcc
	s_cbranch_execz .LBB1183_13
; %bb.12:
	v_lshlrev_b32_e32 v1, 3, v1
	v_readfirstlane_b32 s6, v18
	v_readfirstlane_b32 s7, v19
	s_nop 4
	global_load_dwordx2 v[6:7], v1, s[6:7]
.LBB1183_13:
	s_or_b64 exec, exec, s[4:5]
	v_or_b32_e32 v1, 0x300, v0
	v_cmp_gt_u32_e32 vcc, s48, v1
	s_and_saveexec_b64 s[4:5], vcc
	s_cbranch_execz .LBB1183_15
; %bb.14:
	v_lshlrev_b32_e32 v1, 3, v1
	v_readfirstlane_b32 s6, v18
	v_readfirstlane_b32 s7, v19
	s_nop 4
	global_load_dwordx2 v[8:9], v1, s[6:7]
.LBB1183_15:
	s_or_b64 exec, exec, s[4:5]
	v_or_b32_e32 v1, 0x400, v0
	v_cmp_gt_u32_e32 vcc, s48, v1
	s_and_saveexec_b64 s[4:5], vcc
	s_cbranch_execz .LBB1183_17
; %bb.16:
	v_lshlrev_b32_e32 v1, 3, v1
	v_readfirstlane_b32 s6, v18
	v_readfirstlane_b32 s7, v19
	s_nop 4
	global_load_dwordx2 v[10:11], v1, s[6:7]
.LBB1183_17:
	s_or_b64 exec, exec, s[4:5]
	v_lshlrev_b32_e32 v1, 3, v0
	s_waitcnt vmcnt(0)
	ds_write2st64_b64 v1, v[2:3], v[4:5] offset1:4
	ds_write2st64_b64 v1, v[6:7], v[8:9] offset0:8 offset1:12
	ds_write_b64 v1, v[10:11] offset:8192
	s_waitcnt lgkmcnt(0)
	s_barrier
.LBB1183_18:
	v_mul_u32_u24_e32 v1, 5, v0
	v_lshlrev_b32_e32 v26, 3, v1
	ds_read2_b64 v[6:9], v26 offset1:1
	ds_read2_b64 v[2:5], v26 offset0:2 offset1:3
	ds_read_b64 v[10:11], v26 offset:32
	s_cmp_lg_u32 s33, 0
	s_cselect_b64 s[34:35], -1, 0
	s_cmp_lg_u64 s[10:11], 0
	s_cselect_b64 s[4:5], -1, 0
	s_or_b64 s[4:5], s[4:5], s[34:35]
	v_mad_u32_u24 v24, v0, 5, 1
	v_mad_u32_u24 v22, v0, 5, 2
	;; [unrolled: 1-line block ×4, first 2 shown]
	s_mov_b64 s[14:15], 0
	s_and_b64 vcc, exec, s[4:5]
	v_cmp_gt_i64_e64 s[4:5], s[26:27], 0
	s_waitcnt lgkmcnt(0)
	s_barrier
	s_cbranch_vccz .LBB1183_27
; %bb.19:
	global_load_dwordx2 v[14:15], v[18:19], off offset:-8
	v_cndmask_b32_e64 v12, 0, 1, s[4:5]
	v_lshlrev_b32_e32 v27, 3, v0
	s_mov_b64 s[10:11], 0
	s_and_b64 vcc, exec, s[30:31]
	v_cmp_ne_u32_e64 s[4:5], 1, v12
	ds_write_b64 v27, v[10:11]
	s_cbranch_vccz .LBB1183_28
; %bb.20:
	v_mul_lo_u32 v16, v5, s26
	v_mul_lo_u32 v17, v4, s27
	v_mad_u64_u32 v[12:13], s[6:7], v4, s26, 0
	v_add3_u32 v13, v13, v17, v16
	s_and_b64 vcc, exec, s[4:5]
	v_lshlrev_b64 v[12:13], 1, v[12:13]
	s_cbranch_vccnz .LBB1183_31
; %bb.21:
	v_mul_lo_u32 v18, v11, s26
	v_mul_lo_u32 v19, v10, s27
	v_mad_u64_u32 v[16:17], s[6:7], v10, s26, 0
	v_add3_u32 v17, v17, v19, v18
	v_mov_b32_e32 v19, s17
	v_add_co_u32_e32 v18, vcc, s16, v12
	v_addc_co_u32_e64 v19, s[6:7], v19, v13, vcc
	v_lshlrev_b64 v[16:17], 1, v[16:17]
	v_mov_b32_e32 v21, s17
	v_add_co_u32_e64 v20, s[6:7], s16, v16
	v_addc_co_u32_e64 v21, s[8:9], v21, v17, s[6:7]
	global_load_ushort v16, v[20:21], off
	global_load_ushort v28, v[18:19], off
	s_mov_b64 s[10:11], -1
	s_waitcnt vmcnt(1)
	v_lshlrev_b32_e32 v16, 16, v16
	s_waitcnt vmcnt(0)
	v_lshlrev_b32_e32 v19, 16, v28
	v_cmp_eq_f32_e64 s[8:9], v19, v16
	s_and_saveexec_b64 s[14:15], s[8:9]
	s_cbranch_execz .LBB1183_30
; %bb.22:
	v_mov_b32_e32 v16, s17
	v_addc_co_u32_e64 v17, s[6:7], v17, v16, s[6:7]
	v_add_co_u32_e64 v16, s[6:7], 2, v20
	v_mov_b32_e32 v19, s17
	v_addc_co_u32_e64 v17, s[6:7], 0, v17, s[6:7]
	v_addc_co_u32_e32 v19, vcc, v13, v19, vcc
	v_add_co_u32_e32 v18, vcc, 2, v18
	s_add_u32 s6, s26, -1
	v_addc_co_u32_e32 v19, vcc, 0, v19, vcc
	s_addc_u32 s7, s27, -1
	s_mov_b64 s[8:9], 0
	s_mov_b64 s[36:37], 0
                                        ; implicit-def: $sgpr10_sgpr11
	s_branch .LBB1183_25
.LBB1183_23:                            ;   in Loop: Header=BB1183_25 Depth=1
	global_load_ushort v20, v[16:17], off
	global_load_ushort v21, v[18:19], off
	v_add_co_u32_e32 v16, vcc, 2, v16
	v_addc_co_u32_e32 v17, vcc, 0, v17, vcc
	v_add_co_u32_e32 v18, vcc, 2, v18
	v_addc_co_u32_e32 v19, vcc, 0, v19, vcc
	s_add_u32 s36, s36, 1
	s_addc_u32 s37, s37, 0
	s_andn2_b64 s[10:11], s[10:11], exec
	s_waitcnt vmcnt(1)
	v_lshlrev_b32_e32 v20, 16, v20
	s_waitcnt vmcnt(0)
	v_lshlrev_b32_e32 v21, 16, v21
	v_cmp_neq_f32_e32 vcc, v21, v20
	s_and_b64 s[38:39], vcc, exec
	s_or_b64 s[10:11], s[10:11], s[38:39]
.LBB1183_24:                            ;   in Loop: Header=BB1183_25 Depth=1
	s_and_b64 s[38:39], exec, s[10:11]
	s_or_b64 s[8:9], s[38:39], s[8:9]
	v_pk_mov_b32 v[20:21], s[36:37], s[36:37] op_sel:[0,1]
	s_andn2_b64 exec, exec, s[8:9]
	s_cbranch_execz .LBB1183_29
.LBB1183_25:                            ; =>This Inner Loop Header: Depth=1
	s_or_b64 s[10:11], s[10:11], exec
	s_cmp_eq_u64 s[6:7], s[36:37]
	s_cbranch_scc0 .LBB1183_23
; %bb.26:                               ;   in Loop: Header=BB1183_25 Depth=1
                                        ; implicit-def: $vgpr16_vgpr17
                                        ; implicit-def: $vgpr18_vgpr19
	s_mov_b64 s[36:37], s[26:27]
	s_branch .LBB1183_24
.LBB1183_27:
                                        ; implicit-def: $sgpr36_sgpr37
                                        ; implicit-def: $vgpr13
                                        ; implicit-def: $vgpr16
	s_branch .LBB1183_129
.LBB1183_28:
                                        ; implicit-def: $sgpr36_sgpr37
                                        ; implicit-def: $vgpr13
                                        ; implicit-def: $vgpr16
	s_cbranch_execnz .LBB1183_70
	s_branch .LBB1183_128
.LBB1183_29:
	s_or_b64 exec, exec, s[8:9]
	v_cmp_gt_i64_e32 vcc, s[26:27], v[20:21]
	s_orn2_b64 s[10:11], vcc, exec
.LBB1183_30:
	s_or_b64 exec, exec, s[14:15]
.LBB1183_31:
	v_mul_lo_u32 v18, v3, s26
	v_mul_lo_u32 v19, v2, s27
	v_mad_u64_u32 v[16:17], s[6:7], v2, s26, 0
	v_add3_u32 v17, v17, v19, v18
	s_mov_b64 s[14:15], 0
	s_and_b64 vcc, exec, s[4:5]
	v_lshlrev_b64 v[18:19], 1, v[16:17]
	s_mov_b64 s[36:37], 0
	s_cbranch_vccnz .LBB1183_40
; %bb.32:
	v_mov_b32_e32 v17, s17
	v_add_co_u32_e32 v16, vcc, s16, v18
	v_addc_co_u32_e64 v17, s[6:7], v17, v19, vcc
	v_mov_b32_e32 v21, s17
	v_add_co_u32_e64 v20, s[6:7], s16, v12
	v_addc_co_u32_e64 v21, s[8:9], v21, v13, s[6:7]
	global_load_ushort v12, v[20:21], off
	global_load_ushort v28, v[16:17], off
	s_mov_b64 s[36:37], -1
	s_waitcnt vmcnt(1)
	v_lshlrev_b32_e32 v12, 16, v12
	s_waitcnt vmcnt(0)
	v_lshlrev_b32_e32 v17, 16, v28
	v_cmp_eq_f32_e64 s[8:9], v17, v12
	s_and_saveexec_b64 s[38:39], s[8:9]
	s_cbranch_execz .LBB1183_39
; %bb.33:
	v_mov_b32_e32 v12, s17
	v_addc_co_u32_e64 v13, s[6:7], v13, v12, s[6:7]
	v_add_co_u32_e64 v12, s[6:7], 2, v20
	v_mov_b32_e32 v17, s17
	v_addc_co_u32_e64 v13, s[6:7], 0, v13, s[6:7]
	v_addc_co_u32_e32 v17, vcc, v19, v17, vcc
	v_add_co_u32_e32 v16, vcc, 2, v16
	s_add_u32 s6, s26, -1
	v_addc_co_u32_e32 v17, vcc, 0, v17, vcc
	s_addc_u32 s7, s27, -1
	s_mov_b64 s[8:9], 0
	s_mov_b64 s[40:41], 0
                                        ; implicit-def: $sgpr36_sgpr37
	s_branch .LBB1183_36
.LBB1183_34:                            ;   in Loop: Header=BB1183_36 Depth=1
	global_load_ushort v20, v[12:13], off
	global_load_ushort v21, v[16:17], off
	v_add_co_u32_e32 v12, vcc, 2, v12
	v_addc_co_u32_e32 v13, vcc, 0, v13, vcc
	v_add_co_u32_e32 v16, vcc, 2, v16
	v_addc_co_u32_e32 v17, vcc, 0, v17, vcc
	s_add_u32 s40, s40, 1
	s_addc_u32 s41, s41, 0
	s_andn2_b64 s[36:37], s[36:37], exec
	s_waitcnt vmcnt(1)
	v_lshlrev_b32_e32 v20, 16, v20
	s_waitcnt vmcnt(0)
	v_lshlrev_b32_e32 v21, 16, v21
	v_cmp_neq_f32_e32 vcc, v21, v20
	s_and_b64 s[42:43], vcc, exec
	s_or_b64 s[36:37], s[36:37], s[42:43]
.LBB1183_35:                            ;   in Loop: Header=BB1183_36 Depth=1
	s_and_b64 s[42:43], exec, s[36:37]
	s_or_b64 s[8:9], s[42:43], s[8:9]
	v_pk_mov_b32 v[20:21], s[40:41], s[40:41] op_sel:[0,1]
	s_andn2_b64 exec, exec, s[8:9]
	s_cbranch_execz .LBB1183_38
.LBB1183_36:                            ; =>This Inner Loop Header: Depth=1
	s_or_b64 s[36:37], s[36:37], exec
	s_cmp_eq_u64 s[6:7], s[40:41]
	s_cbranch_scc0 .LBB1183_34
; %bb.37:                               ;   in Loop: Header=BB1183_36 Depth=1
                                        ; implicit-def: $vgpr12_vgpr13
                                        ; implicit-def: $vgpr16_vgpr17
	s_mov_b64 s[40:41], s[26:27]
	s_branch .LBB1183_35
.LBB1183_38:
	s_or_b64 exec, exec, s[8:9]
	v_cmp_gt_i64_e32 vcc, s[26:27], v[20:21]
	s_orn2_b64 s[36:37], vcc, exec
.LBB1183_39:
	s_or_b64 exec, exec, s[38:39]
.LBB1183_40:
	v_mul_lo_u32 v16, v9, s26
	v_mul_lo_u32 v17, v8, s27
	v_mad_u64_u32 v[12:13], s[6:7], v8, s26, 0
	v_add3_u32 v13, v13, v17, v16
	s_and_b64 vcc, exec, s[4:5]
	v_lshlrev_b64 v[16:17], 1, v[12:13]
	s_cbranch_vccnz .LBB1183_49
; %bb.41:
	v_mov_b32_e32 v12, s17
	v_add_co_u32_e32 v20, vcc, s16, v16
	v_addc_co_u32_e64 v21, s[6:7], v12, v17, vcc
	v_mov_b32_e32 v13, s17
	v_add_co_u32_e64 v12, s[6:7], s16, v18
	v_addc_co_u32_e64 v13, s[8:9], v13, v19, s[6:7]
	global_load_ushort v18, v[12:13], off
	global_load_ushort v28, v[20:21], off
	s_mov_b64 s[14:15], -1
	s_waitcnt vmcnt(1)
	v_lshlrev_b32_e32 v13, 16, v18
	s_waitcnt vmcnt(0)
	v_lshlrev_b32_e32 v18, 16, v28
	v_cmp_eq_f32_e64 s[8:9], v18, v13
	s_and_saveexec_b64 s[38:39], s[8:9]
	s_cbranch_execz .LBB1183_48
; %bb.42:
	v_mov_b32_e32 v13, s17
	v_addc_co_u32_e64 v13, s[6:7], v19, v13, s[6:7]
	v_add_co_u32_e64 v12, s[6:7], 2, v12
	v_mov_b32_e32 v18, s17
	v_addc_co_u32_e64 v13, s[6:7], 0, v13, s[6:7]
	v_addc_co_u32_e32 v19, vcc, v17, v18, vcc
	v_add_co_u32_e32 v18, vcc, 2, v20
	s_add_u32 s6, s26, -1
	v_addc_co_u32_e32 v19, vcc, 0, v19, vcc
	s_addc_u32 s7, s27, -1
	s_mov_b64 s[8:9], 0
	s_mov_b64 s[40:41], 0
                                        ; implicit-def: $sgpr14_sgpr15
	s_branch .LBB1183_45
.LBB1183_43:                            ;   in Loop: Header=BB1183_45 Depth=1
	global_load_ushort v20, v[12:13], off
	global_load_ushort v21, v[18:19], off
	v_add_co_u32_e32 v12, vcc, 2, v12
	v_addc_co_u32_e32 v13, vcc, 0, v13, vcc
	v_add_co_u32_e32 v18, vcc, 2, v18
	v_addc_co_u32_e32 v19, vcc, 0, v19, vcc
	s_add_u32 s40, s40, 1
	s_addc_u32 s41, s41, 0
	s_andn2_b64 s[14:15], s[14:15], exec
	s_waitcnt vmcnt(1)
	v_lshlrev_b32_e32 v20, 16, v20
	s_waitcnt vmcnt(0)
	v_lshlrev_b32_e32 v21, 16, v21
	v_cmp_neq_f32_e32 vcc, v21, v20
	s_and_b64 s[42:43], vcc, exec
	s_or_b64 s[14:15], s[14:15], s[42:43]
.LBB1183_44:                            ;   in Loop: Header=BB1183_45 Depth=1
	s_and_b64 s[42:43], exec, s[14:15]
	s_or_b64 s[8:9], s[42:43], s[8:9]
	v_pk_mov_b32 v[20:21], s[40:41], s[40:41] op_sel:[0,1]
	s_andn2_b64 exec, exec, s[8:9]
	s_cbranch_execz .LBB1183_47
.LBB1183_45:                            ; =>This Inner Loop Header: Depth=1
	s_or_b64 s[14:15], s[14:15], exec
	s_cmp_eq_u64 s[6:7], s[40:41]
	s_cbranch_scc0 .LBB1183_43
; %bb.46:                               ;   in Loop: Header=BB1183_45 Depth=1
                                        ; implicit-def: $vgpr12_vgpr13
                                        ; implicit-def: $vgpr18_vgpr19
	s_mov_b64 s[40:41], s[26:27]
	s_branch .LBB1183_44
.LBB1183_47:
	s_or_b64 exec, exec, s[8:9]
	v_cmp_gt_i64_e32 vcc, s[26:27], v[20:21]
	s_orn2_b64 s[14:15], vcc, exec
.LBB1183_48:
	s_or_b64 exec, exec, s[38:39]
.LBB1183_49:
	v_mul_lo_u32 v18, v7, s26
	v_mul_lo_u32 v19, v6, s27
	v_mad_u64_u32 v[12:13], s[6:7], v6, s26, 0
	v_add3_u32 v13, v13, v19, v18
	s_mov_b64 s[40:41], 0
	s_and_b64 vcc, exec, s[4:5]
	v_lshlrev_b64 v[12:13], 1, v[12:13]
	s_cbranch_vccnz .LBB1183_58
; %bb.50:
	v_mov_b32_e32 v19, s17
	v_add_co_u32_e32 v18, vcc, s16, v12
	v_addc_co_u32_e64 v19, s[6:7], v19, v13, vcc
	v_mov_b32_e32 v21, s17
	v_add_co_u32_e64 v20, s[6:7], s16, v16
	v_addc_co_u32_e64 v21, s[8:9], v21, v17, s[6:7]
	global_load_ushort v16, v[20:21], off
	global_load_ushort v28, v[18:19], off
	s_mov_b64 s[40:41], -1
	s_waitcnt vmcnt(1)
	v_lshlrev_b32_e32 v16, 16, v16
	s_waitcnt vmcnt(0)
	v_lshlrev_b32_e32 v19, 16, v28
	v_cmp_eq_f32_e64 s[8:9], v19, v16
	s_and_saveexec_b64 s[38:39], s[8:9]
	s_cbranch_execz .LBB1183_57
; %bb.51:
	v_mov_b32_e32 v16, s17
	v_addc_co_u32_e64 v17, s[6:7], v17, v16, s[6:7]
	v_add_co_u32_e64 v16, s[6:7], 2, v20
	v_mov_b32_e32 v19, s17
	v_addc_co_u32_e64 v17, s[6:7], 0, v17, s[6:7]
	v_addc_co_u32_e32 v19, vcc, v13, v19, vcc
	v_add_co_u32_e32 v18, vcc, 2, v18
	s_add_u32 s6, s26, -1
	v_addc_co_u32_e32 v19, vcc, 0, v19, vcc
	s_addc_u32 s7, s27, -1
	s_mov_b64 s[8:9], 0
	s_mov_b64 s[42:43], 0
                                        ; implicit-def: $sgpr40_sgpr41
	s_branch .LBB1183_54
.LBB1183_52:                            ;   in Loop: Header=BB1183_54 Depth=1
	global_load_ushort v20, v[16:17], off
	global_load_ushort v21, v[18:19], off
	v_add_co_u32_e32 v16, vcc, 2, v16
	v_addc_co_u32_e32 v17, vcc, 0, v17, vcc
	v_add_co_u32_e32 v18, vcc, 2, v18
	v_addc_co_u32_e32 v19, vcc, 0, v19, vcc
	s_add_u32 s42, s42, 1
	s_addc_u32 s43, s43, 0
	s_andn2_b64 s[40:41], s[40:41], exec
	s_waitcnt vmcnt(1)
	v_lshlrev_b32_e32 v20, 16, v20
	s_waitcnt vmcnt(0)
	v_lshlrev_b32_e32 v21, 16, v21
	v_cmp_neq_f32_e32 vcc, v21, v20
	s_and_b64 s[44:45], vcc, exec
	s_or_b64 s[40:41], s[40:41], s[44:45]
.LBB1183_53:                            ;   in Loop: Header=BB1183_54 Depth=1
	s_and_b64 s[44:45], exec, s[40:41]
	s_or_b64 s[8:9], s[44:45], s[8:9]
	v_pk_mov_b32 v[20:21], s[42:43], s[42:43] op_sel:[0,1]
	s_andn2_b64 exec, exec, s[8:9]
	s_cbranch_execz .LBB1183_56
.LBB1183_54:                            ; =>This Inner Loop Header: Depth=1
	s_or_b64 s[40:41], s[40:41], exec
	s_cmp_eq_u64 s[6:7], s[42:43]
	s_cbranch_scc0 .LBB1183_52
; %bb.55:                               ;   in Loop: Header=BB1183_54 Depth=1
                                        ; implicit-def: $vgpr16_vgpr17
                                        ; implicit-def: $vgpr18_vgpr19
	s_mov_b64 s[42:43], s[26:27]
	s_branch .LBB1183_53
.LBB1183_56:
	s_or_b64 exec, exec, s[8:9]
	v_cmp_gt_i64_e32 vcc, s[26:27], v[20:21]
	s_orn2_b64 s[40:41], vcc, exec
.LBB1183_57:
	s_or_b64 exec, exec, s[38:39]
.LBB1183_58:
	s_waitcnt vmcnt(0)
	v_pk_mov_b32 v[16:17], v[14:15], v[14:15] op_sel:[0,1]
	s_waitcnt lgkmcnt(0)
	s_barrier
	s_and_saveexec_b64 s[6:7], s[2:3]
	s_cbranch_execz .LBB1183_60
; %bb.59:
	v_add_u32_e32 v16, -8, v27
	ds_read_b64 v[16:17], v16
.LBB1183_60:
	s_or_b64 exec, exec, s[6:7]
	v_cndmask_b32_e64 v19, 0, 1, s[36:37]
	v_cndmask_b32_e64 v18, 0, 1, s[14:15]
	;; [unrolled: 1-line block ×3, first 2 shown]
	v_lshlrev_b16_e32 v19, 8, v19
	v_lshlrev_b16_e32 v28, 8, v20
	v_or_b32_sdwa v29, v18, v19 dst_sel:WORD_1 dst_unused:UNUSED_PAD src0_sel:DWORD src1_sel:DWORD
	s_mov_b64 s[14:15], 0
	s_and_b64 vcc, exec, s[4:5]
	s_mov_b64 s[36:37], 0
	s_cbranch_vccnz .LBB1183_69
; %bb.61:
	s_waitcnt lgkmcnt(0)
	v_mul_lo_u32 v18, v17, s26
	v_mul_lo_u32 v19, v16, s27
	v_mad_u64_u32 v[16:17], s[6:7], v16, s26, 0
	v_add3_u32 v17, v17, v19, v18
	v_lshlrev_b64 v[16:17], 1, v[16:17]
	v_mov_b32_e32 v19, s17
	v_add_co_u32_e32 v18, vcc, s16, v16
	v_addc_co_u32_e64 v19, s[6:7], v19, v17, vcc
	v_mov_b32_e32 v16, s17
	v_add_co_u32_e64 v20, s[6:7], s16, v12
	v_addc_co_u32_e64 v21, s[8:9], v16, v13, s[6:7]
	global_load_ushort v12, v[18:19], off
	global_load_ushort v16, v[20:21], off
	s_mov_b64 s[36:37], -1
	s_waitcnt vmcnt(1)
	v_lshlrev_b32_e32 v12, 16, v12
	s_waitcnt vmcnt(0)
	v_lshlrev_b32_e32 v16, 16, v16
	v_cmp_eq_f32_e64 s[8:9], v12, v16
	s_and_saveexec_b64 s[38:39], s[8:9]
	s_cbranch_execz .LBB1183_68
; %bb.62:
	v_mov_b32_e32 v12, s17
	v_addc_co_u32_e64 v13, s[6:7], v13, v12, s[6:7]
	v_add_co_u32_e64 v12, s[6:7], 2, v20
	v_mov_b32_e32 v16, s17
	v_addc_co_u32_e64 v13, s[6:7], 0, v13, s[6:7]
	v_addc_co_u32_e32 v17, vcc, v17, v16, vcc
	v_add_co_u32_e32 v16, vcc, 2, v18
	s_add_u32 s6, s26, -1
	v_addc_co_u32_e32 v17, vcc, 0, v17, vcc
	s_addc_u32 s7, s27, -1
	s_mov_b64 s[8:9], 0
	s_mov_b64 s[40:41], 0
                                        ; implicit-def: $sgpr36_sgpr37
	s_branch .LBB1183_65
.LBB1183_63:                            ;   in Loop: Header=BB1183_65 Depth=1
	global_load_ushort v18, v[12:13], off
	global_load_ushort v19, v[16:17], off
	v_add_co_u32_e32 v12, vcc, 2, v12
	v_addc_co_u32_e32 v13, vcc, 0, v13, vcc
	v_add_co_u32_e32 v16, vcc, 2, v16
	v_addc_co_u32_e32 v17, vcc, 0, v17, vcc
	s_add_u32 s40, s40, 1
	s_addc_u32 s41, s41, 0
	s_andn2_b64 s[36:37], s[36:37], exec
	s_waitcnt vmcnt(1)
	v_lshlrev_b32_e32 v18, 16, v18
	s_waitcnt vmcnt(0)
	v_lshlrev_b32_e32 v19, 16, v19
	v_cmp_neq_f32_e32 vcc, v19, v18
	s_and_b64 s[42:43], vcc, exec
	s_or_b64 s[36:37], s[36:37], s[42:43]
.LBB1183_64:                            ;   in Loop: Header=BB1183_65 Depth=1
	s_and_b64 s[42:43], exec, s[36:37]
	s_or_b64 s[8:9], s[42:43], s[8:9]
	v_pk_mov_b32 v[18:19], s[40:41], s[40:41] op_sel:[0,1]
	s_andn2_b64 exec, exec, s[8:9]
	s_cbranch_execz .LBB1183_67
.LBB1183_65:                            ; =>This Inner Loop Header: Depth=1
	s_or_b64 s[36:37], s[36:37], exec
	s_cmp_eq_u64 s[6:7], s[40:41]
	s_cbranch_scc0 .LBB1183_63
; %bb.66:                               ;   in Loop: Header=BB1183_65 Depth=1
                                        ; implicit-def: $vgpr12_vgpr13
                                        ; implicit-def: $vgpr16_vgpr17
	s_mov_b64 s[40:41], s[26:27]
	s_branch .LBB1183_64
.LBB1183_67:
	s_or_b64 exec, exec, s[8:9]
	v_cmp_gt_i64_e32 vcc, s[26:27], v[18:19]
	s_orn2_b64 s[36:37], vcc, exec
.LBB1183_68:
	s_or_b64 exec, exec, s[38:39]
.LBB1183_69:
	v_cndmask_b32_e64 v13, 0, 1, s[10:11]
	s_waitcnt lgkmcnt(0)
	v_or_b32_e32 v16, v28, v29
	s_and_b64 vcc, exec, s[14:15]
	s_cbranch_vccz .LBB1183_128
.LBB1183_70:
	v_cmp_gt_u32_e32 vcc, s48, v23
	s_mov_b64 s[14:15], 0
	s_mov_b64 s[10:11], 0
	s_and_saveexec_b64 s[36:37], vcc
	s_cbranch_execz .LBB1183_81
; %bb.71:
	s_and_b64 vcc, exec, s[4:5]
	s_mov_b64 s[38:39], 0
	s_cbranch_vccnz .LBB1183_80
; %bb.72:
	v_mul_lo_u32 v16, v5, s26
	v_mul_lo_u32 v17, v4, s27
	v_mad_u64_u32 v[12:13], s[6:7], v4, s26, 0
	v_add3_u32 v13, v13, v17, v16
	v_mul_lo_u32 v16, v11, s26
	v_mul_lo_u32 v17, v10, s27
	v_mad_u64_u32 v[20:21], s[6:7], v10, s26, 0
	v_add3_u32 v21, v21, v17, v16
	v_lshlrev_b64 v[16:17], 1, v[12:13]
	v_mov_b32_e32 v12, s17
	v_add_co_u32_e32 v18, vcc, s16, v16
	v_addc_co_u32_e64 v19, s[6:7], v12, v17, vcc
	v_lshlrev_b64 v[12:13], 1, v[20:21]
	v_mov_b32_e32 v16, s17
	v_add_co_u32_e64 v20, s[6:7], s16, v12
	v_addc_co_u32_e64 v21, s[8:9], v16, v13, s[6:7]
	global_load_ushort v12, v[20:21], off
	global_load_ushort v16, v[18:19], off
	s_mov_b64 s[38:39], -1
	s_waitcnt vmcnt(1)
	v_lshlrev_b32_e32 v12, 16, v12
	s_waitcnt vmcnt(0)
	v_lshlrev_b32_e32 v16, 16, v16
	v_cmp_eq_f32_e64 s[8:9], v16, v12
	s_and_saveexec_b64 s[10:11], s[8:9]
	s_cbranch_execz .LBB1183_79
; %bb.73:
	v_mov_b32_e32 v12, s17
	v_addc_co_u32_e64 v13, s[6:7], v13, v12, s[6:7]
	v_add_co_u32_e64 v12, s[6:7], 2, v20
	v_mov_b32_e32 v16, s17
	v_addc_co_u32_e64 v13, s[6:7], 0, v13, s[6:7]
	v_addc_co_u32_e32 v17, vcc, v17, v16, vcc
	v_add_co_u32_e32 v16, vcc, 2, v18
	s_add_u32 s6, s26, -1
	v_addc_co_u32_e32 v17, vcc, 0, v17, vcc
	s_addc_u32 s7, s27, -1
	s_mov_b64 s[8:9], 0
	s_mov_b64 s[40:41], 0
                                        ; implicit-def: $sgpr38_sgpr39
	s_branch .LBB1183_76
.LBB1183_74:                            ;   in Loop: Header=BB1183_76 Depth=1
	global_load_ushort v18, v[12:13], off
	global_load_ushort v19, v[16:17], off
	v_add_co_u32_e32 v12, vcc, 2, v12
	v_addc_co_u32_e32 v13, vcc, 0, v13, vcc
	v_add_co_u32_e32 v16, vcc, 2, v16
	v_addc_co_u32_e32 v17, vcc, 0, v17, vcc
	s_add_u32 s40, s40, 1
	s_addc_u32 s41, s41, 0
	s_andn2_b64 s[38:39], s[38:39], exec
	s_waitcnt vmcnt(1)
	v_lshlrev_b32_e32 v18, 16, v18
	s_waitcnt vmcnt(0)
	v_lshlrev_b32_e32 v19, 16, v19
	v_cmp_neq_f32_e32 vcc, v19, v18
	s_and_b64 s[42:43], vcc, exec
	s_or_b64 s[38:39], s[38:39], s[42:43]
.LBB1183_75:                            ;   in Loop: Header=BB1183_76 Depth=1
	s_and_b64 s[42:43], exec, s[38:39]
	s_or_b64 s[8:9], s[42:43], s[8:9]
	v_pk_mov_b32 v[18:19], s[40:41], s[40:41] op_sel:[0,1]
	s_andn2_b64 exec, exec, s[8:9]
	s_cbranch_execz .LBB1183_78
.LBB1183_76:                            ; =>This Inner Loop Header: Depth=1
	s_or_b64 s[38:39], s[38:39], exec
	s_cmp_eq_u64 s[6:7], s[40:41]
	s_cbranch_scc0 .LBB1183_74
; %bb.77:                               ;   in Loop: Header=BB1183_76 Depth=1
                                        ; implicit-def: $vgpr12_vgpr13
                                        ; implicit-def: $vgpr16_vgpr17
	s_mov_b64 s[40:41], s[26:27]
	s_branch .LBB1183_75
.LBB1183_78:
	s_or_b64 exec, exec, s[8:9]
	v_cmp_gt_i64_e32 vcc, s[26:27], v[18:19]
	s_orn2_b64 s[38:39], vcc, exec
.LBB1183_79:
	s_or_b64 exec, exec, s[10:11]
.LBB1183_80:
	s_and_b64 s[10:11], s[38:39], exec
.LBB1183_81:
	s_or_b64 exec, exec, s[36:37]
	v_cmp_gt_u32_e32 vcc, s48, v25
	s_and_saveexec_b64 s[36:37], vcc
	s_cbranch_execz .LBB1183_92
; %bb.82:
	s_and_b64 vcc, exec, s[4:5]
	s_mov_b64 s[38:39], 0
	s_cbranch_vccnz .LBB1183_91
; %bb.83:
	v_mul_lo_u32 v16, v3, s26
	v_mul_lo_u32 v17, v2, s27
	v_mad_u64_u32 v[12:13], s[6:7], v2, s26, 0
	v_add3_u32 v13, v13, v17, v16
	v_mul_lo_u32 v16, v5, s26
	v_mul_lo_u32 v17, v4, s27
	v_mad_u64_u32 v[20:21], s[6:7], v4, s26, 0
	v_add3_u32 v21, v21, v17, v16
	v_lshlrev_b64 v[16:17], 1, v[12:13]
	v_mov_b32_e32 v12, s17
	v_add_co_u32_e32 v18, vcc, s16, v16
	v_addc_co_u32_e64 v19, s[6:7], v12, v17, vcc
	v_lshlrev_b64 v[12:13], 1, v[20:21]
	v_mov_b32_e32 v16, s17
	v_add_co_u32_e64 v20, s[6:7], s16, v12
	v_addc_co_u32_e64 v21, s[8:9], v16, v13, s[6:7]
	global_load_ushort v12, v[20:21], off
	global_load_ushort v16, v[18:19], off
	s_mov_b64 s[38:39], -1
	s_waitcnt vmcnt(1)
	v_lshlrev_b32_e32 v12, 16, v12
	s_waitcnt vmcnt(0)
	v_lshlrev_b32_e32 v16, 16, v16
	v_cmp_eq_f32_e64 s[8:9], v16, v12
	s_and_saveexec_b64 s[14:15], s[8:9]
	s_cbranch_execz .LBB1183_90
; %bb.84:
	v_mov_b32_e32 v12, s17
	v_addc_co_u32_e64 v13, s[6:7], v13, v12, s[6:7]
	v_add_co_u32_e64 v12, s[6:7], 2, v20
	v_mov_b32_e32 v16, s17
	v_addc_co_u32_e64 v13, s[6:7], 0, v13, s[6:7]
	v_addc_co_u32_e32 v17, vcc, v17, v16, vcc
	v_add_co_u32_e32 v16, vcc, 2, v18
	s_add_u32 s6, s26, -1
	v_addc_co_u32_e32 v17, vcc, 0, v17, vcc
	s_addc_u32 s7, s27, -1
	s_mov_b64 s[8:9], 0
	s_mov_b64 s[40:41], 0
                                        ; implicit-def: $sgpr38_sgpr39
	s_branch .LBB1183_87
.LBB1183_85:                            ;   in Loop: Header=BB1183_87 Depth=1
	global_load_ushort v18, v[12:13], off
	global_load_ushort v19, v[16:17], off
	v_add_co_u32_e32 v12, vcc, 2, v12
	v_addc_co_u32_e32 v13, vcc, 0, v13, vcc
	v_add_co_u32_e32 v16, vcc, 2, v16
	v_addc_co_u32_e32 v17, vcc, 0, v17, vcc
	s_add_u32 s40, s40, 1
	s_addc_u32 s41, s41, 0
	s_andn2_b64 s[38:39], s[38:39], exec
	s_waitcnt vmcnt(1)
	v_lshlrev_b32_e32 v18, 16, v18
	s_waitcnt vmcnt(0)
	v_lshlrev_b32_e32 v19, 16, v19
	v_cmp_neq_f32_e32 vcc, v19, v18
	s_and_b64 s[42:43], vcc, exec
	s_or_b64 s[38:39], s[38:39], s[42:43]
.LBB1183_86:                            ;   in Loop: Header=BB1183_87 Depth=1
	s_and_b64 s[42:43], exec, s[38:39]
	s_or_b64 s[8:9], s[42:43], s[8:9]
	v_pk_mov_b32 v[18:19], s[40:41], s[40:41] op_sel:[0,1]
	s_andn2_b64 exec, exec, s[8:9]
	s_cbranch_execz .LBB1183_89
.LBB1183_87:                            ; =>This Inner Loop Header: Depth=1
	s_or_b64 s[38:39], s[38:39], exec
	s_cmp_eq_u64 s[6:7], s[40:41]
	s_cbranch_scc0 .LBB1183_85
; %bb.88:                               ;   in Loop: Header=BB1183_87 Depth=1
                                        ; implicit-def: $vgpr12_vgpr13
                                        ; implicit-def: $vgpr16_vgpr17
	s_mov_b64 s[40:41], s[26:27]
	s_branch .LBB1183_86
.LBB1183_89:
	s_or_b64 exec, exec, s[8:9]
	v_cmp_gt_i64_e32 vcc, s[26:27], v[18:19]
	s_orn2_b64 s[38:39], vcc, exec
.LBB1183_90:
	s_or_b64 exec, exec, s[14:15]
.LBB1183_91:
	s_and_b64 s[14:15], s[38:39], exec
.LBB1183_92:
	s_or_b64 exec, exec, s[36:37]
	v_cmp_gt_u32_e32 vcc, s48, v22
	s_mov_b64 s[36:37], 0
	s_mov_b64 s[38:39], 0
	s_and_saveexec_b64 s[40:41], vcc
	s_cbranch_execz .LBB1183_103
; %bb.93:
	s_and_b64 vcc, exec, s[4:5]
	s_mov_b64 s[42:43], 0
	s_cbranch_vccnz .LBB1183_102
; %bb.94:
	v_mul_lo_u32 v16, v9, s26
	v_mul_lo_u32 v17, v8, s27
	v_mad_u64_u32 v[12:13], s[6:7], v8, s26, 0
	v_add3_u32 v13, v13, v17, v16
	v_mul_lo_u32 v16, v3, s26
	v_mul_lo_u32 v17, v2, s27
	v_mad_u64_u32 v[20:21], s[6:7], v2, s26, 0
	v_add3_u32 v21, v21, v17, v16
	v_lshlrev_b64 v[16:17], 1, v[12:13]
	v_mov_b32_e32 v12, s17
	v_add_co_u32_e32 v18, vcc, s16, v16
	v_addc_co_u32_e64 v19, s[6:7], v12, v17, vcc
	v_lshlrev_b64 v[12:13], 1, v[20:21]
	v_mov_b32_e32 v16, s17
	v_add_co_u32_e64 v20, s[6:7], s16, v12
	v_addc_co_u32_e64 v21, s[8:9], v16, v13, s[6:7]
	global_load_ushort v12, v[20:21], off
	global_load_ushort v16, v[18:19], off
	s_mov_b64 s[42:43], -1
	s_waitcnt vmcnt(1)
	v_lshlrev_b32_e32 v12, 16, v12
	s_waitcnt vmcnt(0)
	v_lshlrev_b32_e32 v16, 16, v16
	v_cmp_eq_f32_e64 s[8:9], v16, v12
	s_and_saveexec_b64 s[38:39], s[8:9]
	s_cbranch_execz .LBB1183_101
; %bb.95:
	v_mov_b32_e32 v12, s17
	v_addc_co_u32_e64 v13, s[6:7], v13, v12, s[6:7]
	v_add_co_u32_e64 v12, s[6:7], 2, v20
	v_mov_b32_e32 v16, s17
	v_addc_co_u32_e64 v13, s[6:7], 0, v13, s[6:7]
	v_addc_co_u32_e32 v17, vcc, v17, v16, vcc
	v_add_co_u32_e32 v16, vcc, 2, v18
	s_add_u32 s6, s26, -1
	v_addc_co_u32_e32 v17, vcc, 0, v17, vcc
	s_addc_u32 s7, s27, -1
	s_mov_b64 s[8:9], 0
	s_mov_b64 s[44:45], 0
                                        ; implicit-def: $sgpr42_sgpr43
	s_branch .LBB1183_98
.LBB1183_96:                            ;   in Loop: Header=BB1183_98 Depth=1
	global_load_ushort v18, v[12:13], off
	global_load_ushort v19, v[16:17], off
	v_add_co_u32_e32 v12, vcc, 2, v12
	v_addc_co_u32_e32 v13, vcc, 0, v13, vcc
	v_add_co_u32_e32 v16, vcc, 2, v16
	v_addc_co_u32_e32 v17, vcc, 0, v17, vcc
	s_add_u32 s44, s44, 1
	s_addc_u32 s45, s45, 0
	s_andn2_b64 s[42:43], s[42:43], exec
	s_waitcnt vmcnt(1)
	v_lshlrev_b32_e32 v18, 16, v18
	s_waitcnt vmcnt(0)
	v_lshlrev_b32_e32 v19, 16, v19
	v_cmp_neq_f32_e32 vcc, v19, v18
	s_and_b64 s[46:47], vcc, exec
	s_or_b64 s[42:43], s[42:43], s[46:47]
.LBB1183_97:                            ;   in Loop: Header=BB1183_98 Depth=1
	s_and_b64 s[46:47], exec, s[42:43]
	s_or_b64 s[8:9], s[46:47], s[8:9]
	v_pk_mov_b32 v[18:19], s[44:45], s[44:45] op_sel:[0,1]
	s_andn2_b64 exec, exec, s[8:9]
	s_cbranch_execz .LBB1183_100
.LBB1183_98:                            ; =>This Inner Loop Header: Depth=1
	s_or_b64 s[42:43], s[42:43], exec
	s_cmp_eq_u64 s[6:7], s[44:45]
	s_cbranch_scc0 .LBB1183_96
; %bb.99:                               ;   in Loop: Header=BB1183_98 Depth=1
                                        ; implicit-def: $vgpr12_vgpr13
                                        ; implicit-def: $vgpr16_vgpr17
	s_mov_b64 s[44:45], s[26:27]
	s_branch .LBB1183_97
.LBB1183_100:
	s_or_b64 exec, exec, s[8:9]
	v_cmp_gt_i64_e32 vcc, s[26:27], v[18:19]
	s_orn2_b64 s[42:43], vcc, exec
.LBB1183_101:
	s_or_b64 exec, exec, s[38:39]
.LBB1183_102:
	s_and_b64 s[38:39], s[42:43], exec
.LBB1183_103:
	s_or_b64 exec, exec, s[40:41]
	v_cmp_gt_u32_e32 vcc, s48, v24
	s_and_saveexec_b64 s[40:41], vcc
	s_cbranch_execz .LBB1183_114
; %bb.104:
	s_and_b64 vcc, exec, s[4:5]
	s_mov_b64 s[42:43], 0
	s_cbranch_vccnz .LBB1183_113
; %bb.105:
	v_mul_lo_u32 v16, v7, s26
	v_mul_lo_u32 v17, v6, s27
	v_mad_u64_u32 v[12:13], s[6:7], v6, s26, 0
	v_add3_u32 v13, v13, v17, v16
	v_mul_lo_u32 v16, v9, s26
	v_mul_lo_u32 v17, v8, s27
	v_mad_u64_u32 v[20:21], s[6:7], v8, s26, 0
	v_add3_u32 v21, v21, v17, v16
	v_lshlrev_b64 v[16:17], 1, v[12:13]
	v_mov_b32_e32 v12, s17
	v_add_co_u32_e32 v18, vcc, s16, v16
	v_addc_co_u32_e64 v19, s[6:7], v12, v17, vcc
	v_lshlrev_b64 v[12:13], 1, v[20:21]
	v_mov_b32_e32 v16, s17
	v_add_co_u32_e64 v20, s[6:7], s16, v12
	v_addc_co_u32_e64 v21, s[8:9], v16, v13, s[6:7]
	global_load_ushort v12, v[20:21], off
	global_load_ushort v16, v[18:19], off
	s_mov_b64 s[42:43], -1
	s_waitcnt vmcnt(1)
	v_lshlrev_b32_e32 v12, 16, v12
	s_waitcnt vmcnt(0)
	v_lshlrev_b32_e32 v16, 16, v16
	v_cmp_eq_f32_e64 s[8:9], v16, v12
	s_and_saveexec_b64 s[36:37], s[8:9]
	s_cbranch_execz .LBB1183_112
; %bb.106:
	v_mov_b32_e32 v12, s17
	v_addc_co_u32_e64 v13, s[6:7], v13, v12, s[6:7]
	v_add_co_u32_e64 v12, s[6:7], 2, v20
	v_mov_b32_e32 v16, s17
	v_addc_co_u32_e64 v13, s[6:7], 0, v13, s[6:7]
	v_addc_co_u32_e32 v17, vcc, v17, v16, vcc
	v_add_co_u32_e32 v16, vcc, 2, v18
	s_add_u32 s6, s26, -1
	v_addc_co_u32_e32 v17, vcc, 0, v17, vcc
	s_addc_u32 s7, s27, -1
	s_mov_b64 s[8:9], 0
	s_mov_b64 s[44:45], 0
                                        ; implicit-def: $sgpr42_sgpr43
	s_branch .LBB1183_109
.LBB1183_107:                           ;   in Loop: Header=BB1183_109 Depth=1
	global_load_ushort v18, v[12:13], off
	global_load_ushort v19, v[16:17], off
	v_add_co_u32_e32 v12, vcc, 2, v12
	v_addc_co_u32_e32 v13, vcc, 0, v13, vcc
	v_add_co_u32_e32 v16, vcc, 2, v16
	v_addc_co_u32_e32 v17, vcc, 0, v17, vcc
	s_add_u32 s44, s44, 1
	s_addc_u32 s45, s45, 0
	s_andn2_b64 s[42:43], s[42:43], exec
	s_waitcnt vmcnt(1)
	v_lshlrev_b32_e32 v18, 16, v18
	s_waitcnt vmcnt(0)
	v_lshlrev_b32_e32 v19, 16, v19
	v_cmp_neq_f32_e32 vcc, v19, v18
	s_and_b64 s[46:47], vcc, exec
	s_or_b64 s[42:43], s[42:43], s[46:47]
.LBB1183_108:                           ;   in Loop: Header=BB1183_109 Depth=1
	s_and_b64 s[46:47], exec, s[42:43]
	s_or_b64 s[8:9], s[46:47], s[8:9]
	v_pk_mov_b32 v[18:19], s[44:45], s[44:45] op_sel:[0,1]
	s_andn2_b64 exec, exec, s[8:9]
	s_cbranch_execz .LBB1183_111
.LBB1183_109:                           ; =>This Inner Loop Header: Depth=1
	s_or_b64 s[42:43], s[42:43], exec
	s_cmp_eq_u64 s[6:7], s[44:45]
	s_cbranch_scc0 .LBB1183_107
; %bb.110:                              ;   in Loop: Header=BB1183_109 Depth=1
                                        ; implicit-def: $vgpr12_vgpr13
                                        ; implicit-def: $vgpr16_vgpr17
	s_mov_b64 s[44:45], s[26:27]
	s_branch .LBB1183_108
.LBB1183_111:
	s_or_b64 exec, exec, s[8:9]
	v_cmp_gt_i64_e32 vcc, s[26:27], v[18:19]
	s_orn2_b64 s[42:43], vcc, exec
.LBB1183_112:
	s_or_b64 exec, exec, s[36:37]
.LBB1183_113:
	s_and_b64 s[36:37], s[42:43], exec
.LBB1183_114:
	s_or_b64 exec, exec, s[40:41]
	s_waitcnt lgkmcnt(0)
	s_barrier
	s_and_saveexec_b64 s[6:7], s[2:3]
	s_cbranch_execz .LBB1183_116
; %bb.115:
	v_add_u32_e32 v12, -8, v27
	s_waitcnt vmcnt(0)
	ds_read_b64 v[14:15], v12
.LBB1183_116:
	s_or_b64 exec, exec, s[6:7]
	v_cndmask_b32_e64 v13, 0, 1, s[14:15]
	v_cndmask_b32_e64 v12, 0, 1, s[38:39]
	;; [unrolled: 1-line block ×3, first 2 shown]
	v_lshlrev_b16_e32 v13, 8, v13
	v_cmp_gt_u32_e32 vcc, s48, v1
	v_lshlrev_b16_e32 v20, 8, v16
	v_or_b32_sdwa v21, v12, v13 dst_sel:WORD_1 dst_unused:UNUSED_PAD src0_sel:DWORD src1_sel:DWORD
	s_mov_b64 s[36:37], 0
	s_and_saveexec_b64 s[8:9], vcc
	s_cbranch_execz .LBB1183_127
; %bb.117:
	s_and_b64 vcc, exec, s[4:5]
	s_cbranch_vccnz .LBB1183_126
; %bb.118:
	s_waitcnt vmcnt(0) lgkmcnt(0)
	v_mul_lo_u32 v15, v15, s26
	v_mul_lo_u32 v16, v14, s27
	v_mad_u64_u32 v[12:13], s[4:5], v14, s26, 0
	v_add3_u32 v13, v13, v16, v15
	v_mul_lo_u32 v14, v7, s26
	v_mul_lo_u32 v15, v6, s27
	v_mad_u64_u32 v[18:19], s[4:5], v6, s26, 0
	v_add3_u32 v19, v19, v15, v14
	v_lshlrev_b64 v[14:15], 1, v[12:13]
	v_mov_b32_e32 v12, s17
	v_add_co_u32_e32 v16, vcc, s16, v14
	v_addc_co_u32_e64 v17, s[4:5], v12, v15, vcc
	v_lshlrev_b64 v[12:13], 1, v[18:19]
	v_mov_b32_e32 v14, s17
	v_add_co_u32_e64 v18, s[4:5], s16, v12
	v_addc_co_u32_e64 v19, s[6:7], v14, v13, s[4:5]
	global_load_ushort v12, v[18:19], off
	global_load_ushort v14, v[16:17], off
	s_mov_b64 s[36:37], -1
	s_waitcnt vmcnt(1)
	v_lshlrev_b32_e32 v12, 16, v12
	s_waitcnt vmcnt(0)
	v_lshlrev_b32_e32 v14, 16, v14
	v_cmp_eq_f32_e64 s[6:7], v14, v12
	s_and_saveexec_b64 s[14:15], s[6:7]
	s_cbranch_execz .LBB1183_125
; %bb.119:
	v_mov_b32_e32 v12, s17
	v_addc_co_u32_e64 v13, s[4:5], v13, v12, s[4:5]
	v_add_co_u32_e64 v12, s[4:5], 2, v18
	v_mov_b32_e32 v14, s17
	v_addc_co_u32_e64 v13, s[4:5], 0, v13, s[4:5]
	v_addc_co_u32_e32 v15, vcc, v15, v14, vcc
	v_add_co_u32_e32 v14, vcc, 2, v16
	s_add_u32 s4, s26, -1
	v_addc_co_u32_e32 v15, vcc, 0, v15, vcc
	s_addc_u32 s5, s27, -1
	s_mov_b64 s[6:7], 0
	s_mov_b64 s[38:39], 0
                                        ; implicit-def: $sgpr36_sgpr37
	s_branch .LBB1183_122
.LBB1183_120:                           ;   in Loop: Header=BB1183_122 Depth=1
	global_load_ushort v16, v[12:13], off
	global_load_ushort v17, v[14:15], off
	v_add_co_u32_e32 v12, vcc, 2, v12
	v_addc_co_u32_e32 v13, vcc, 0, v13, vcc
	v_add_co_u32_e32 v14, vcc, 2, v14
	v_addc_co_u32_e32 v15, vcc, 0, v15, vcc
	s_add_u32 s38, s38, 1
	s_addc_u32 s39, s39, 0
	s_andn2_b64 s[36:37], s[36:37], exec
	s_waitcnt vmcnt(1)
	v_lshlrev_b32_e32 v16, 16, v16
	s_waitcnt vmcnt(0)
	v_lshlrev_b32_e32 v17, 16, v17
	v_cmp_neq_f32_e32 vcc, v17, v16
	s_and_b64 s[40:41], vcc, exec
	s_or_b64 s[36:37], s[36:37], s[40:41]
.LBB1183_121:                           ;   in Loop: Header=BB1183_122 Depth=1
	s_and_b64 s[40:41], exec, s[36:37]
	s_or_b64 s[6:7], s[40:41], s[6:7]
	v_pk_mov_b32 v[16:17], s[38:39], s[38:39] op_sel:[0,1]
	s_andn2_b64 exec, exec, s[6:7]
	s_cbranch_execz .LBB1183_124
.LBB1183_122:                           ; =>This Inner Loop Header: Depth=1
	s_or_b64 s[36:37], s[36:37], exec
	s_cmp_eq_u64 s[4:5], s[38:39]
	s_cbranch_scc0 .LBB1183_120
; %bb.123:                              ;   in Loop: Header=BB1183_122 Depth=1
                                        ; implicit-def: $vgpr12_vgpr13
                                        ; implicit-def: $vgpr14_vgpr15
	s_mov_b64 s[38:39], s[26:27]
	s_branch .LBB1183_121
.LBB1183_124:
	s_or_b64 exec, exec, s[6:7]
	v_cmp_gt_i64_e32 vcc, s[26:27], v[16:17]
	s_orn2_b64 s[36:37], vcc, exec
.LBB1183_125:
	s_or_b64 exec, exec, s[14:15]
.LBB1183_126:
	s_and_b64 s[36:37], s[36:37], exec
.LBB1183_127:
	s_or_b64 exec, exec, s[8:9]
	v_cndmask_b32_e64 v13, 0, 1, s[10:11]
	v_or_b32_e32 v16, v20, v21
.LBB1183_128:
	s_mov_b64 s[14:15], -1
	s_cbranch_execnz .LBB1183_237
.LBB1183_129:
	v_lshlrev_b32_e32 v12, 5, v0
	v_sub_u32_e32 v26, v26, v12
	s_mov_b64 s[36:37], 0
	v_cmp_gt_i64_e64 s[10:11], s[26:27], 0
	s_and_b64 vcc, exec, s[30:31]
	ds_write_b64 v26, v[10:11]
	s_cbranch_vccz .LBB1183_137
; %bb.130:
	s_waitcnt vmcnt(0) lgkmcnt(1)
	v_mul_lo_u32 v14, v5, s26
	v_mul_lo_u32 v15, v4, s27
	v_mad_u64_u32 v[12:13], s[4:5], v4, s26, 0
	v_add3_u32 v13, v13, v15, v14
	v_cndmask_b32_e64 v14, 0, 1, s[10:11]
	v_cmp_ne_u32_e64 s[4:5], 1, v14
	s_andn2_b64 vcc, exec, s[10:11]
	v_lshlrev_b64 v[12:13], 1, v[12:13]
	s_cbranch_vccnz .LBB1183_140
; %bb.131:
	v_mul_lo_u32 v16, v11, s26
	v_mul_lo_u32 v17, v10, s27
	v_mad_u64_u32 v[14:15], s[6:7], v10, s26, 0
	v_add3_u32 v15, v15, v17, v16
	v_mov_b32_e32 v17, s17
	v_add_co_u32_e32 v16, vcc, s16, v12
	v_addc_co_u32_e64 v17, s[6:7], v17, v13, vcc
	v_lshlrev_b64 v[14:15], 1, v[14:15]
	v_mov_b32_e32 v19, s17
	v_add_co_u32_e64 v18, s[6:7], s16, v14
	v_addc_co_u32_e64 v19, s[8:9], v19, v15, s[6:7]
	global_load_ushort v14, v[18:19], off
	global_load_ushort v20, v[16:17], off
	s_mov_b64 s[36:37], -1
	s_waitcnt vmcnt(1)
	v_lshlrev_b32_e32 v14, 16, v14
	s_waitcnt vmcnt(0)
	v_lshlrev_b32_e32 v17, 16, v20
	v_cmp_eq_f32_e64 s[8:9], v17, v14
	s_and_saveexec_b64 s[38:39], s[8:9]
	s_cbranch_execz .LBB1183_139
; %bb.132:
	v_mov_b32_e32 v14, s17
	v_addc_co_u32_e64 v15, s[6:7], v15, v14, s[6:7]
	v_add_co_u32_e64 v14, s[6:7], 2, v18
	v_mov_b32_e32 v17, s17
	v_addc_co_u32_e64 v15, s[6:7], 0, v15, s[6:7]
	v_addc_co_u32_e32 v17, vcc, v13, v17, vcc
	v_add_co_u32_e32 v16, vcc, 2, v16
	s_add_u32 s6, s26, -1
	v_addc_co_u32_e32 v17, vcc, 0, v17, vcc
	s_addc_u32 s7, s27, -1
	s_mov_b64 s[8:9], 0
	s_mov_b64 s[40:41], 0
                                        ; implicit-def: $sgpr36_sgpr37
	s_branch .LBB1183_135
.LBB1183_133:                           ;   in Loop: Header=BB1183_135 Depth=1
	global_load_ushort v18, v[14:15], off
	global_load_ushort v19, v[16:17], off
	v_add_co_u32_e32 v14, vcc, 2, v14
	v_addc_co_u32_e32 v15, vcc, 0, v15, vcc
	v_add_co_u32_e32 v16, vcc, 2, v16
	v_addc_co_u32_e32 v17, vcc, 0, v17, vcc
	s_add_u32 s40, s40, 1
	s_addc_u32 s41, s41, 0
	s_andn2_b64 s[36:37], s[36:37], exec
	s_waitcnt vmcnt(1)
	v_lshlrev_b32_e32 v18, 16, v18
	s_waitcnt vmcnt(0)
	v_lshlrev_b32_e32 v19, 16, v19
	v_cmp_neq_f32_e32 vcc, v19, v18
	s_and_b64 s[42:43], vcc, exec
	s_or_b64 s[36:37], s[36:37], s[42:43]
.LBB1183_134:                           ;   in Loop: Header=BB1183_135 Depth=1
	s_and_b64 s[42:43], exec, s[36:37]
	s_or_b64 s[8:9], s[42:43], s[8:9]
	v_pk_mov_b32 v[18:19], s[40:41], s[40:41] op_sel:[0,1]
	s_andn2_b64 exec, exec, s[8:9]
	s_cbranch_execz .LBB1183_138
.LBB1183_135:                           ; =>This Inner Loop Header: Depth=1
	s_or_b64 s[36:37], s[36:37], exec
	s_cmp_eq_u64 s[6:7], s[40:41]
	s_cbranch_scc0 .LBB1183_133
; %bb.136:                              ;   in Loop: Header=BB1183_135 Depth=1
                                        ; implicit-def: $vgpr14_vgpr15
                                        ; implicit-def: $vgpr16_vgpr17
	s_mov_b64 s[40:41], s[26:27]
	s_branch .LBB1183_134
.LBB1183_137:
                                        ; implicit-def: $sgpr36_sgpr37
                                        ; implicit-def: $vgpr13
                                        ; implicit-def: $vgpr16
	s_cbranch_execnz .LBB1183_179
	s_branch .LBB1183_237
.LBB1183_138:
	s_or_b64 exec, exec, s[8:9]
	v_cmp_gt_i64_e32 vcc, s[26:27], v[18:19]
	s_orn2_b64 s[36:37], vcc, exec
.LBB1183_139:
	s_or_b64 exec, exec, s[38:39]
.LBB1183_140:
	v_mul_lo_u32 v16, v3, s26
	v_mul_lo_u32 v17, v2, s27
	v_mad_u64_u32 v[14:15], s[6:7], v2, s26, 0
	v_add3_u32 v15, v15, v17, v16
	s_mov_b64 s[38:39], 0
	s_and_b64 vcc, exec, s[4:5]
	v_lshlrev_b64 v[14:15], 1, v[14:15]
	s_mov_b64 s[40:41], 0
	s_cbranch_vccnz .LBB1183_149
; %bb.141:
	v_mov_b32_e32 v17, s17
	v_add_co_u32_e32 v16, vcc, s16, v14
	v_addc_co_u32_e64 v17, s[6:7], v17, v15, vcc
	v_mov_b32_e32 v19, s17
	v_add_co_u32_e64 v18, s[6:7], s16, v12
	v_addc_co_u32_e64 v19, s[8:9], v19, v13, s[6:7]
	global_load_ushort v12, v[18:19], off
	global_load_ushort v20, v[16:17], off
	s_mov_b64 s[40:41], -1
	s_waitcnt vmcnt(1)
	v_lshlrev_b32_e32 v12, 16, v12
	s_waitcnt vmcnt(0)
	v_lshlrev_b32_e32 v17, 16, v20
	v_cmp_eq_f32_e64 s[8:9], v17, v12
	s_and_saveexec_b64 s[42:43], s[8:9]
	s_cbranch_execz .LBB1183_148
; %bb.142:
	v_mov_b32_e32 v12, s17
	v_addc_co_u32_e64 v13, s[6:7], v13, v12, s[6:7]
	v_add_co_u32_e64 v12, s[6:7], 2, v18
	v_mov_b32_e32 v17, s17
	v_addc_co_u32_e64 v13, s[6:7], 0, v13, s[6:7]
	v_addc_co_u32_e32 v17, vcc, v15, v17, vcc
	v_add_co_u32_e32 v16, vcc, 2, v16
	s_add_u32 s6, s26, -1
	v_addc_co_u32_e32 v17, vcc, 0, v17, vcc
	s_addc_u32 s7, s27, -1
	s_mov_b64 s[8:9], 0
	s_mov_b64 s[44:45], 0
                                        ; implicit-def: $sgpr40_sgpr41
	s_branch .LBB1183_145
.LBB1183_143:                           ;   in Loop: Header=BB1183_145 Depth=1
	global_load_ushort v18, v[12:13], off
	global_load_ushort v19, v[16:17], off
	v_add_co_u32_e32 v12, vcc, 2, v12
	v_addc_co_u32_e32 v13, vcc, 0, v13, vcc
	v_add_co_u32_e32 v16, vcc, 2, v16
	v_addc_co_u32_e32 v17, vcc, 0, v17, vcc
	s_add_u32 s44, s44, 1
	s_addc_u32 s45, s45, 0
	s_andn2_b64 s[40:41], s[40:41], exec
	s_waitcnt vmcnt(1)
	v_lshlrev_b32_e32 v18, 16, v18
	s_waitcnt vmcnt(0)
	v_lshlrev_b32_e32 v19, 16, v19
	v_cmp_neq_f32_e32 vcc, v19, v18
	s_and_b64 s[46:47], vcc, exec
	s_or_b64 s[40:41], s[40:41], s[46:47]
.LBB1183_144:                           ;   in Loop: Header=BB1183_145 Depth=1
	s_and_b64 s[46:47], exec, s[40:41]
	s_or_b64 s[8:9], s[46:47], s[8:9]
	v_pk_mov_b32 v[18:19], s[44:45], s[44:45] op_sel:[0,1]
	s_andn2_b64 exec, exec, s[8:9]
	s_cbranch_execz .LBB1183_147
.LBB1183_145:                           ; =>This Inner Loop Header: Depth=1
	s_or_b64 s[40:41], s[40:41], exec
	s_cmp_eq_u64 s[6:7], s[44:45]
	s_cbranch_scc0 .LBB1183_143
; %bb.146:                              ;   in Loop: Header=BB1183_145 Depth=1
                                        ; implicit-def: $vgpr12_vgpr13
                                        ; implicit-def: $vgpr16_vgpr17
	s_mov_b64 s[44:45], s[26:27]
	s_branch .LBB1183_144
.LBB1183_147:
	s_or_b64 exec, exec, s[8:9]
	v_cmp_gt_i64_e32 vcc, s[26:27], v[18:19]
	s_orn2_b64 s[40:41], vcc, exec
.LBB1183_148:
	s_or_b64 exec, exec, s[42:43]
.LBB1183_149:
	v_mul_lo_u32 v16, v9, s26
	v_mul_lo_u32 v17, v8, s27
	v_mad_u64_u32 v[12:13], s[6:7], v8, s26, 0
	v_add3_u32 v13, v13, v17, v16
	s_and_b64 vcc, exec, s[4:5]
	v_lshlrev_b64 v[12:13], 1, v[12:13]
	s_cbranch_vccnz .LBB1183_158
; %bb.150:
	v_mov_b32_e32 v17, s17
	v_add_co_u32_e32 v16, vcc, s16, v12
	v_addc_co_u32_e64 v17, s[6:7], v17, v13, vcc
	v_mov_b32_e32 v19, s17
	v_add_co_u32_e64 v18, s[6:7], s16, v14
	v_addc_co_u32_e64 v19, s[8:9], v19, v15, s[6:7]
	global_load_ushort v14, v[18:19], off
	global_load_ushort v20, v[16:17], off
	s_mov_b64 s[38:39], -1
	s_waitcnt vmcnt(1)
	v_lshlrev_b32_e32 v14, 16, v14
	s_waitcnt vmcnt(0)
	v_lshlrev_b32_e32 v17, 16, v20
	v_cmp_eq_f32_e64 s[8:9], v17, v14
	s_and_saveexec_b64 s[42:43], s[8:9]
	s_cbranch_execz .LBB1183_157
; %bb.151:
	v_mov_b32_e32 v14, s17
	v_addc_co_u32_e64 v15, s[6:7], v15, v14, s[6:7]
	v_add_co_u32_e64 v14, s[6:7], 2, v18
	v_mov_b32_e32 v17, s17
	v_addc_co_u32_e64 v15, s[6:7], 0, v15, s[6:7]
	v_addc_co_u32_e32 v17, vcc, v13, v17, vcc
	v_add_co_u32_e32 v16, vcc, 2, v16
	s_add_u32 s6, s26, -1
	v_addc_co_u32_e32 v17, vcc, 0, v17, vcc
	s_addc_u32 s7, s27, -1
	s_mov_b64 s[8:9], 0
	s_mov_b64 s[44:45], 0
                                        ; implicit-def: $sgpr38_sgpr39
	s_branch .LBB1183_154
.LBB1183_152:                           ;   in Loop: Header=BB1183_154 Depth=1
	global_load_ushort v18, v[14:15], off
	global_load_ushort v19, v[16:17], off
	v_add_co_u32_e32 v14, vcc, 2, v14
	v_addc_co_u32_e32 v15, vcc, 0, v15, vcc
	v_add_co_u32_e32 v16, vcc, 2, v16
	v_addc_co_u32_e32 v17, vcc, 0, v17, vcc
	s_add_u32 s44, s44, 1
	s_addc_u32 s45, s45, 0
	s_andn2_b64 s[38:39], s[38:39], exec
	s_waitcnt vmcnt(1)
	v_lshlrev_b32_e32 v18, 16, v18
	s_waitcnt vmcnt(0)
	v_lshlrev_b32_e32 v19, 16, v19
	v_cmp_neq_f32_e32 vcc, v19, v18
	s_and_b64 s[46:47], vcc, exec
	s_or_b64 s[38:39], s[38:39], s[46:47]
.LBB1183_153:                           ;   in Loop: Header=BB1183_154 Depth=1
	s_and_b64 s[46:47], exec, s[38:39]
	s_or_b64 s[8:9], s[46:47], s[8:9]
	v_pk_mov_b32 v[18:19], s[44:45], s[44:45] op_sel:[0,1]
	s_andn2_b64 exec, exec, s[8:9]
	s_cbranch_execz .LBB1183_156
.LBB1183_154:                           ; =>This Inner Loop Header: Depth=1
	s_or_b64 s[38:39], s[38:39], exec
	s_cmp_eq_u64 s[6:7], s[44:45]
	s_cbranch_scc0 .LBB1183_152
; %bb.155:                              ;   in Loop: Header=BB1183_154 Depth=1
                                        ; implicit-def: $vgpr14_vgpr15
                                        ; implicit-def: $vgpr16_vgpr17
	s_mov_b64 s[44:45], s[26:27]
	s_branch .LBB1183_153
.LBB1183_156:
	s_or_b64 exec, exec, s[8:9]
	v_cmp_gt_i64_e32 vcc, s[26:27], v[18:19]
	s_orn2_b64 s[38:39], vcc, exec
.LBB1183_157:
	s_or_b64 exec, exec, s[42:43]
.LBB1183_158:
	v_mul_lo_u32 v16, v7, s26
	v_mul_lo_u32 v17, v6, s27
	v_mad_u64_u32 v[14:15], s[6:7], v6, s26, 0
	v_add3_u32 v15, v15, v17, v16
	s_and_b64 vcc, exec, s[4:5]
	s_mov_b64 s[44:45], 0
	s_cbranch_vccnz .LBB1183_167
; %bb.159:
	v_lshlrev_b64 v[16:17], 1, v[14:15]
	v_mov_b32_e32 v19, s17
	v_add_co_u32_e32 v18, vcc, s16, v16
	v_addc_co_u32_e64 v19, s[6:7], v19, v17, vcc
	v_mov_b32_e32 v16, s17
	v_add_co_u32_e64 v20, s[6:7], s16, v12
	v_addc_co_u32_e64 v21, s[8:9], v16, v13, s[6:7]
	global_load_ushort v12, v[20:21], off
	global_load_ushort v16, v[18:19], off
	s_mov_b64 s[44:45], -1
	s_waitcnt vmcnt(1)
	v_lshlrev_b32_e32 v12, 16, v12
	s_waitcnt vmcnt(0)
	v_lshlrev_b32_e32 v16, 16, v16
	v_cmp_eq_f32_e64 s[8:9], v16, v12
	s_and_saveexec_b64 s[42:43], s[8:9]
	s_cbranch_execz .LBB1183_166
; %bb.160:
	v_mov_b32_e32 v12, s17
	v_addc_co_u32_e64 v13, s[6:7], v13, v12, s[6:7]
	v_add_co_u32_e64 v12, s[6:7], 2, v20
	v_mov_b32_e32 v16, s17
	v_addc_co_u32_e64 v13, s[6:7], 0, v13, s[6:7]
	v_addc_co_u32_e32 v17, vcc, v17, v16, vcc
	v_add_co_u32_e32 v16, vcc, 2, v18
	s_add_u32 s6, s26, -1
	v_addc_co_u32_e32 v17, vcc, 0, v17, vcc
	s_addc_u32 s7, s27, -1
	s_mov_b64 s[8:9], 0
	s_mov_b64 s[46:47], 0
                                        ; implicit-def: $sgpr44_sgpr45
	s_branch .LBB1183_163
.LBB1183_161:                           ;   in Loop: Header=BB1183_163 Depth=1
	global_load_ushort v18, v[12:13], off
	global_load_ushort v19, v[16:17], off
	v_add_co_u32_e32 v12, vcc, 2, v12
	v_addc_co_u32_e32 v13, vcc, 0, v13, vcc
	v_add_co_u32_e32 v16, vcc, 2, v16
	v_addc_co_u32_e32 v17, vcc, 0, v17, vcc
	s_add_u32 s46, s46, 1
	s_addc_u32 s47, s47, 0
	s_andn2_b64 s[44:45], s[44:45], exec
	s_waitcnt vmcnt(1)
	v_lshlrev_b32_e32 v18, 16, v18
	s_waitcnt vmcnt(0)
	v_lshlrev_b32_e32 v19, 16, v19
	v_cmp_neq_f32_e32 vcc, v19, v18
	s_and_b64 s[50:51], vcc, exec
	s_or_b64 s[44:45], s[44:45], s[50:51]
.LBB1183_162:                           ;   in Loop: Header=BB1183_163 Depth=1
	s_and_b64 s[50:51], exec, s[44:45]
	s_or_b64 s[8:9], s[50:51], s[8:9]
	v_pk_mov_b32 v[18:19], s[46:47], s[46:47] op_sel:[0,1]
	s_andn2_b64 exec, exec, s[8:9]
	s_cbranch_execz .LBB1183_165
.LBB1183_163:                           ; =>This Inner Loop Header: Depth=1
	s_or_b64 s[44:45], s[44:45], exec
	s_cmp_eq_u64 s[6:7], s[46:47]
	s_cbranch_scc0 .LBB1183_161
; %bb.164:                              ;   in Loop: Header=BB1183_163 Depth=1
                                        ; implicit-def: $vgpr12_vgpr13
                                        ; implicit-def: $vgpr16_vgpr17
	s_mov_b64 s[46:47], s[26:27]
	s_branch .LBB1183_162
.LBB1183_165:
	s_or_b64 exec, exec, s[8:9]
	v_cmp_gt_i64_e32 vcc, s[26:27], v[18:19]
	s_orn2_b64 s[44:45], vcc, exec
.LBB1183_166:
	s_or_b64 exec, exec, s[42:43]
.LBB1183_167:
	v_cndmask_b32_e64 v13, 0, 1, s[40:41]
	v_cndmask_b32_e64 v16, 0, 1, s[44:45]
	v_cndmask_b32_e64 v12, 0, 1, s[38:39]
	v_lshlrev_b16_e32 v16, 8, v16
	v_lshlrev_b16_e32 v13, 8, v13
	v_or_b32_e32 v16, 1, v16
	v_or_b32_sdwa v12, v12, v13 dst_sel:WORD_1 dst_unused:UNUSED_PAD src0_sel:DWORD src1_sel:DWORD
	v_or_b32_sdwa v12, v16, v12 dst_sel:DWORD dst_unused:UNUSED_PAD src0_sel:WORD_0 src1_sel:DWORD
	v_cndmask_b32_e64 v13, 0, 1, s[36:37]
	s_waitcnt lgkmcnt(0)
	s_barrier
	s_waitcnt lgkmcnt(0)
                                        ; implicit-def: $sgpr36_sgpr37
                                        ; implicit-def: $vgpr16
	s_and_saveexec_b64 s[6:7], s[2:3]
	s_xor_b64 s[8:9], exec, s[6:7]
	s_cbranch_execz .LBB1183_178
; %bb.168:
	s_mov_b32 s42, 0x3020104
	s_and_b64 vcc, exec, s[4:5]
	s_mov_b64 s[38:39], 0
	s_cbranch_vccnz .LBB1183_177
; %bb.169:
	v_add_u32_e32 v16, -8, v26
	ds_read_b64 v[16:17], v16
	v_mov_b32_e32 v19, s17
	v_lshlrev_b64 v[14:15], 1, v[14:15]
	s_mov_b64 s[38:39], -1
	s_waitcnt lgkmcnt(0)
	v_mul_lo_u32 v18, v17, s26
	v_mul_lo_u32 v20, v16, s27
	v_mad_u64_u32 v[16:17], s[4:5], v16, s26, 0
	v_add3_u32 v17, v17, v20, v18
	v_lshlrev_b64 v[16:17], 1, v[16:17]
	v_add_co_u32_e32 v18, vcc, s16, v16
	v_addc_co_u32_e64 v19, s[4:5], v19, v17, vcc
	v_mov_b32_e32 v16, s17
	v_add_co_u32_e64 v20, s[4:5], s16, v14
	v_addc_co_u32_e64 v21, s[6:7], v16, v15, s[4:5]
	global_load_ushort v14, v[18:19], off
	global_load_ushort v16, v[20:21], off
	s_waitcnt vmcnt(1)
	v_lshlrev_b32_e32 v14, 16, v14
	s_waitcnt vmcnt(0)
	v_lshlrev_b32_e32 v16, 16, v16
	v_cmp_eq_f32_e64 s[6:7], v14, v16
	s_and_saveexec_b64 s[36:37], s[6:7]
	s_cbranch_execz .LBB1183_176
; %bb.170:
	v_mov_b32_e32 v14, s17
	v_addc_co_u32_e64 v15, s[4:5], v15, v14, s[4:5]
	v_add_co_u32_e64 v14, s[4:5], 2, v20
	v_mov_b32_e32 v16, s17
	v_addc_co_u32_e64 v15, s[4:5], 0, v15, s[4:5]
	v_addc_co_u32_e32 v17, vcc, v17, v16, vcc
	v_add_co_u32_e32 v16, vcc, 2, v18
	s_add_u32 s4, s26, -1
	v_addc_co_u32_e32 v17, vcc, 0, v17, vcc
	s_addc_u32 s5, s27, -1
	s_mov_b64 s[6:7], 0
	s_mov_b64 s[40:41], 0
                                        ; implicit-def: $sgpr38_sgpr39
	s_branch .LBB1183_173
.LBB1183_171:                           ;   in Loop: Header=BB1183_173 Depth=1
	global_load_ushort v18, v[14:15], off
	global_load_ushort v19, v[16:17], off
	v_add_co_u32_e32 v14, vcc, 2, v14
	v_addc_co_u32_e32 v15, vcc, 0, v15, vcc
	v_add_co_u32_e32 v16, vcc, 2, v16
	v_addc_co_u32_e32 v17, vcc, 0, v17, vcc
	s_add_u32 s40, s40, 1
	s_addc_u32 s41, s41, 0
	s_andn2_b64 s[38:39], s[38:39], exec
	s_waitcnt vmcnt(1)
	v_lshlrev_b32_e32 v18, 16, v18
	s_waitcnt vmcnt(0)
	v_lshlrev_b32_e32 v19, 16, v19
	v_cmp_neq_f32_e32 vcc, v19, v18
	s_and_b64 s[44:45], vcc, exec
	s_or_b64 s[38:39], s[38:39], s[44:45]
.LBB1183_172:                           ;   in Loop: Header=BB1183_173 Depth=1
	s_and_b64 s[44:45], exec, s[38:39]
	s_or_b64 s[6:7], s[44:45], s[6:7]
	v_pk_mov_b32 v[18:19], s[40:41], s[40:41] op_sel:[0,1]
	s_andn2_b64 exec, exec, s[6:7]
	s_cbranch_execz .LBB1183_175
.LBB1183_173:                           ; =>This Inner Loop Header: Depth=1
	s_or_b64 s[38:39], s[38:39], exec
	s_cmp_eq_u64 s[4:5], s[40:41]
	s_cbranch_scc0 .LBB1183_171
; %bb.174:                              ;   in Loop: Header=BB1183_173 Depth=1
                                        ; implicit-def: $vgpr14_vgpr15
                                        ; implicit-def: $vgpr16_vgpr17
	s_mov_b64 s[40:41], s[26:27]
	s_branch .LBB1183_172
.LBB1183_175:
	s_or_b64 exec, exec, s[6:7]
	v_cmp_gt_i64_e32 vcc, s[26:27], v[18:19]
	s_orn2_b64 s[38:39], vcc, exec
.LBB1183_176:
	s_or_b64 exec, exec, s[36:37]
.LBB1183_177:
	v_perm_b32 v16, v12, v12, s42
	s_and_b64 s[36:37], s[38:39], exec
	s_or_b64 s[14:15], s[14:15], exec
.LBB1183_178:
	s_or_b64 exec, exec, s[8:9]
	s_branch .LBB1183_237
.LBB1183_179:
	v_cmp_gt_u32_e32 vcc, s48, v23
	s_mov_b64 s[36:37], 0
	s_mov_b64 s[8:9], 0
	s_and_saveexec_b64 s[38:39], vcc
	s_cbranch_execz .LBB1183_190
; %bb.180:
	s_andn2_b64 vcc, exec, s[10:11]
	s_mov_b64 s[40:41], 0
	s_cbranch_vccnz .LBB1183_189
; %bb.181:
	s_waitcnt vmcnt(0) lgkmcnt(1)
	v_mul_lo_u32 v14, v5, s26
	v_mul_lo_u32 v15, v4, s27
	v_mad_u64_u32 v[12:13], s[4:5], v4, s26, 0
	v_add3_u32 v13, v13, v15, v14
	v_mul_lo_u32 v14, v11, s26
	v_mul_lo_u32 v15, v10, s27
	v_mad_u64_u32 v[18:19], s[4:5], v10, s26, 0
	v_add3_u32 v19, v19, v15, v14
	v_lshlrev_b64 v[14:15], 1, v[12:13]
	v_mov_b32_e32 v12, s17
	v_add_co_u32_e32 v16, vcc, s16, v14
	v_addc_co_u32_e64 v17, s[4:5], v12, v15, vcc
	v_lshlrev_b64 v[12:13], 1, v[18:19]
	v_mov_b32_e32 v14, s17
	v_add_co_u32_e64 v18, s[4:5], s16, v12
	v_addc_co_u32_e64 v19, s[6:7], v14, v13, s[4:5]
	global_load_ushort v12, v[18:19], off
	global_load_ushort v14, v[16:17], off
	s_mov_b64 s[40:41], -1
	s_waitcnt vmcnt(1)
	v_lshlrev_b32_e32 v12, 16, v12
	s_waitcnt vmcnt(0)
	v_lshlrev_b32_e32 v14, 16, v14
	v_cmp_eq_f32_e64 s[6:7], v14, v12
	s_and_saveexec_b64 s[8:9], s[6:7]
	s_cbranch_execz .LBB1183_188
; %bb.182:
	v_mov_b32_e32 v12, s17
	v_addc_co_u32_e64 v13, s[4:5], v13, v12, s[4:5]
	v_add_co_u32_e64 v12, s[4:5], 2, v18
	v_mov_b32_e32 v14, s17
	v_addc_co_u32_e64 v13, s[4:5], 0, v13, s[4:5]
	v_addc_co_u32_e32 v15, vcc, v15, v14, vcc
	v_add_co_u32_e32 v14, vcc, 2, v16
	s_add_u32 s4, s26, -1
	v_addc_co_u32_e32 v15, vcc, 0, v15, vcc
	s_addc_u32 s5, s27, -1
	s_mov_b64 s[6:7], 0
	s_mov_b64 s[42:43], 0
                                        ; implicit-def: $sgpr40_sgpr41
	s_branch .LBB1183_185
.LBB1183_183:                           ;   in Loop: Header=BB1183_185 Depth=1
	global_load_ushort v16, v[12:13], off
	global_load_ushort v17, v[14:15], off
	v_add_co_u32_e32 v12, vcc, 2, v12
	v_addc_co_u32_e32 v13, vcc, 0, v13, vcc
	v_add_co_u32_e32 v14, vcc, 2, v14
	v_addc_co_u32_e32 v15, vcc, 0, v15, vcc
	s_add_u32 s42, s42, 1
	s_addc_u32 s43, s43, 0
	s_andn2_b64 s[40:41], s[40:41], exec
	s_waitcnt vmcnt(1)
	v_lshlrev_b32_e32 v16, 16, v16
	s_waitcnt vmcnt(0)
	v_lshlrev_b32_e32 v17, 16, v17
	v_cmp_neq_f32_e32 vcc, v17, v16
	s_and_b64 s[44:45], vcc, exec
	s_or_b64 s[40:41], s[40:41], s[44:45]
.LBB1183_184:                           ;   in Loop: Header=BB1183_185 Depth=1
	s_and_b64 s[44:45], exec, s[40:41]
	s_or_b64 s[6:7], s[44:45], s[6:7]
	v_pk_mov_b32 v[16:17], s[42:43], s[42:43] op_sel:[0,1]
	s_andn2_b64 exec, exec, s[6:7]
	s_cbranch_execz .LBB1183_187
.LBB1183_185:                           ; =>This Inner Loop Header: Depth=1
	s_or_b64 s[40:41], s[40:41], exec
	s_cmp_eq_u64 s[4:5], s[42:43]
	s_cbranch_scc0 .LBB1183_183
; %bb.186:                              ;   in Loop: Header=BB1183_185 Depth=1
                                        ; implicit-def: $vgpr12_vgpr13
                                        ; implicit-def: $vgpr14_vgpr15
	s_mov_b64 s[42:43], s[26:27]
	s_branch .LBB1183_184
.LBB1183_187:
	s_or_b64 exec, exec, s[6:7]
	v_cmp_gt_i64_e32 vcc, s[26:27], v[16:17]
	s_orn2_b64 s[40:41], vcc, exec
.LBB1183_188:
	s_or_b64 exec, exec, s[8:9]
.LBB1183_189:
	s_and_b64 s[8:9], s[40:41], exec
.LBB1183_190:
	s_or_b64 exec, exec, s[38:39]
	v_cmp_gt_u32_e32 vcc, s48, v25
	s_and_saveexec_b64 s[38:39], vcc
	s_cbranch_execz .LBB1183_201
; %bb.191:
	s_andn2_b64 vcc, exec, s[10:11]
	s_mov_b64 s[40:41], 0
	s_cbranch_vccnz .LBB1183_200
; %bb.192:
	s_waitcnt vmcnt(0) lgkmcnt(1)
	v_mul_lo_u32 v14, v3, s26
	v_mul_lo_u32 v15, v2, s27
	v_mad_u64_u32 v[12:13], s[4:5], v2, s26, 0
	v_add3_u32 v13, v13, v15, v14
	v_mul_lo_u32 v14, v5, s26
	v_mul_lo_u32 v15, v4, s27
	v_mad_u64_u32 v[18:19], s[4:5], v4, s26, 0
	v_add3_u32 v19, v19, v15, v14
	v_lshlrev_b64 v[14:15], 1, v[12:13]
	v_mov_b32_e32 v12, s17
	v_add_co_u32_e32 v16, vcc, s16, v14
	v_addc_co_u32_e64 v17, s[4:5], v12, v15, vcc
	v_lshlrev_b64 v[12:13], 1, v[18:19]
	v_mov_b32_e32 v14, s17
	v_add_co_u32_e64 v18, s[4:5], s16, v12
	v_addc_co_u32_e64 v19, s[6:7], v14, v13, s[4:5]
	global_load_ushort v12, v[18:19], off
	global_load_ushort v14, v[16:17], off
	s_mov_b64 s[40:41], -1
	s_waitcnt vmcnt(1)
	v_lshlrev_b32_e32 v12, 16, v12
	s_waitcnt vmcnt(0)
	v_lshlrev_b32_e32 v14, 16, v14
	v_cmp_eq_f32_e64 s[6:7], v14, v12
	s_and_saveexec_b64 s[36:37], s[6:7]
	s_cbranch_execz .LBB1183_199
; %bb.193:
	v_mov_b32_e32 v12, s17
	v_addc_co_u32_e64 v13, s[4:5], v13, v12, s[4:5]
	v_add_co_u32_e64 v12, s[4:5], 2, v18
	v_mov_b32_e32 v14, s17
	v_addc_co_u32_e64 v13, s[4:5], 0, v13, s[4:5]
	v_addc_co_u32_e32 v15, vcc, v15, v14, vcc
	v_add_co_u32_e32 v14, vcc, 2, v16
	s_add_u32 s4, s26, -1
	v_addc_co_u32_e32 v15, vcc, 0, v15, vcc
	s_addc_u32 s5, s27, -1
	s_mov_b64 s[6:7], 0
	s_mov_b64 s[42:43], 0
                                        ; implicit-def: $sgpr40_sgpr41
	s_branch .LBB1183_196
.LBB1183_194:                           ;   in Loop: Header=BB1183_196 Depth=1
	global_load_ushort v16, v[12:13], off
	global_load_ushort v17, v[14:15], off
	v_add_co_u32_e32 v12, vcc, 2, v12
	v_addc_co_u32_e32 v13, vcc, 0, v13, vcc
	v_add_co_u32_e32 v14, vcc, 2, v14
	v_addc_co_u32_e32 v15, vcc, 0, v15, vcc
	s_add_u32 s42, s42, 1
	s_addc_u32 s43, s43, 0
	s_andn2_b64 s[40:41], s[40:41], exec
	s_waitcnt vmcnt(1)
	v_lshlrev_b32_e32 v16, 16, v16
	s_waitcnt vmcnt(0)
	v_lshlrev_b32_e32 v17, 16, v17
	v_cmp_neq_f32_e32 vcc, v17, v16
	s_and_b64 s[44:45], vcc, exec
	s_or_b64 s[40:41], s[40:41], s[44:45]
.LBB1183_195:                           ;   in Loop: Header=BB1183_196 Depth=1
	s_and_b64 s[44:45], exec, s[40:41]
	s_or_b64 s[6:7], s[44:45], s[6:7]
	v_pk_mov_b32 v[16:17], s[42:43], s[42:43] op_sel:[0,1]
	s_andn2_b64 exec, exec, s[6:7]
	s_cbranch_execz .LBB1183_198
.LBB1183_196:                           ; =>This Inner Loop Header: Depth=1
	s_or_b64 s[40:41], s[40:41], exec
	s_cmp_eq_u64 s[4:5], s[42:43]
	s_cbranch_scc0 .LBB1183_194
; %bb.197:                              ;   in Loop: Header=BB1183_196 Depth=1
                                        ; implicit-def: $vgpr12_vgpr13
                                        ; implicit-def: $vgpr14_vgpr15
	s_mov_b64 s[42:43], s[26:27]
	s_branch .LBB1183_195
.LBB1183_198:
	s_or_b64 exec, exec, s[6:7]
	v_cmp_gt_i64_e32 vcc, s[26:27], v[16:17]
	s_orn2_b64 s[40:41], vcc, exec
.LBB1183_199:
	s_or_b64 exec, exec, s[36:37]
.LBB1183_200:
	s_and_b64 s[36:37], s[40:41], exec
.LBB1183_201:
	s_or_b64 exec, exec, s[38:39]
	v_cmp_gt_u32_e32 vcc, s48, v22
	s_mov_b64 s[38:39], 0
	s_mov_b64 s[40:41], 0
	s_and_saveexec_b64 s[42:43], vcc
	s_cbranch_execz .LBB1183_212
; %bb.202:
	s_andn2_b64 vcc, exec, s[10:11]
	s_mov_b64 s[44:45], 0
	s_cbranch_vccnz .LBB1183_211
; %bb.203:
	s_waitcnt vmcnt(0) lgkmcnt(1)
	v_mul_lo_u32 v14, v9, s26
	v_mul_lo_u32 v15, v8, s27
	v_mad_u64_u32 v[12:13], s[4:5], v8, s26, 0
	v_add3_u32 v13, v13, v15, v14
	v_mul_lo_u32 v14, v3, s26
	v_mul_lo_u32 v15, v2, s27
	v_mad_u64_u32 v[18:19], s[4:5], v2, s26, 0
	v_add3_u32 v19, v19, v15, v14
	v_lshlrev_b64 v[14:15], 1, v[12:13]
	v_mov_b32_e32 v12, s17
	v_add_co_u32_e32 v16, vcc, s16, v14
	v_addc_co_u32_e64 v17, s[4:5], v12, v15, vcc
	v_lshlrev_b64 v[12:13], 1, v[18:19]
	v_mov_b32_e32 v14, s17
	v_add_co_u32_e64 v18, s[4:5], s16, v12
	v_addc_co_u32_e64 v19, s[6:7], v14, v13, s[4:5]
	global_load_ushort v12, v[18:19], off
	global_load_ushort v14, v[16:17], off
	s_mov_b64 s[44:45], -1
	s_waitcnt vmcnt(1)
	v_lshlrev_b32_e32 v12, 16, v12
	s_waitcnt vmcnt(0)
	v_lshlrev_b32_e32 v14, 16, v14
	v_cmp_eq_f32_e64 s[6:7], v14, v12
	s_and_saveexec_b64 s[40:41], s[6:7]
	s_cbranch_execz .LBB1183_210
; %bb.204:
	v_mov_b32_e32 v12, s17
	v_addc_co_u32_e64 v13, s[4:5], v13, v12, s[4:5]
	v_add_co_u32_e64 v12, s[4:5], 2, v18
	v_mov_b32_e32 v14, s17
	v_addc_co_u32_e64 v13, s[4:5], 0, v13, s[4:5]
	v_addc_co_u32_e32 v15, vcc, v15, v14, vcc
	v_add_co_u32_e32 v14, vcc, 2, v16
	s_add_u32 s4, s26, -1
	v_addc_co_u32_e32 v15, vcc, 0, v15, vcc
	s_addc_u32 s5, s27, -1
	s_mov_b64 s[6:7], 0
	s_mov_b64 s[46:47], 0
                                        ; implicit-def: $sgpr44_sgpr45
	s_branch .LBB1183_207
.LBB1183_205:                           ;   in Loop: Header=BB1183_207 Depth=1
	global_load_ushort v16, v[12:13], off
	global_load_ushort v17, v[14:15], off
	v_add_co_u32_e32 v12, vcc, 2, v12
	v_addc_co_u32_e32 v13, vcc, 0, v13, vcc
	v_add_co_u32_e32 v14, vcc, 2, v14
	v_addc_co_u32_e32 v15, vcc, 0, v15, vcc
	s_add_u32 s46, s46, 1
	s_addc_u32 s47, s47, 0
	s_andn2_b64 s[44:45], s[44:45], exec
	s_waitcnt vmcnt(1)
	v_lshlrev_b32_e32 v16, 16, v16
	s_waitcnt vmcnt(0)
	v_lshlrev_b32_e32 v17, 16, v17
	v_cmp_neq_f32_e32 vcc, v17, v16
	s_and_b64 s[50:51], vcc, exec
	s_or_b64 s[44:45], s[44:45], s[50:51]
.LBB1183_206:                           ;   in Loop: Header=BB1183_207 Depth=1
	s_and_b64 s[50:51], exec, s[44:45]
	s_or_b64 s[6:7], s[50:51], s[6:7]
	v_pk_mov_b32 v[16:17], s[46:47], s[46:47] op_sel:[0,1]
	s_andn2_b64 exec, exec, s[6:7]
	s_cbranch_execz .LBB1183_209
.LBB1183_207:                           ; =>This Inner Loop Header: Depth=1
	s_or_b64 s[44:45], s[44:45], exec
	s_cmp_eq_u64 s[4:5], s[46:47]
	s_cbranch_scc0 .LBB1183_205
; %bb.208:                              ;   in Loop: Header=BB1183_207 Depth=1
                                        ; implicit-def: $vgpr12_vgpr13
                                        ; implicit-def: $vgpr14_vgpr15
	s_mov_b64 s[46:47], s[26:27]
	s_branch .LBB1183_206
.LBB1183_209:
	s_or_b64 exec, exec, s[6:7]
	v_cmp_gt_i64_e32 vcc, s[26:27], v[16:17]
	s_orn2_b64 s[44:45], vcc, exec
.LBB1183_210:
	s_or_b64 exec, exec, s[40:41]
.LBB1183_211:
	s_and_b64 s[40:41], s[44:45], exec
.LBB1183_212:
	s_or_b64 exec, exec, s[42:43]
	v_cmp_gt_u32_e32 vcc, s48, v24
	s_and_saveexec_b64 s[42:43], vcc
	s_cbranch_execz .LBB1183_223
; %bb.213:
	s_andn2_b64 vcc, exec, s[10:11]
	s_mov_b64 s[44:45], 0
	s_cbranch_vccnz .LBB1183_222
; %bb.214:
	s_waitcnt vmcnt(0) lgkmcnt(1)
	v_mul_lo_u32 v14, v7, s26
	v_mul_lo_u32 v15, v6, s27
	v_mad_u64_u32 v[12:13], s[4:5], v6, s26, 0
	v_add3_u32 v13, v13, v15, v14
	v_mul_lo_u32 v14, v9, s26
	v_mul_lo_u32 v15, v8, s27
	v_mad_u64_u32 v[18:19], s[4:5], v8, s26, 0
	v_add3_u32 v19, v19, v15, v14
	v_lshlrev_b64 v[14:15], 1, v[12:13]
	v_mov_b32_e32 v12, s17
	v_add_co_u32_e32 v16, vcc, s16, v14
	v_addc_co_u32_e64 v17, s[4:5], v12, v15, vcc
	v_lshlrev_b64 v[12:13], 1, v[18:19]
	v_mov_b32_e32 v14, s17
	v_add_co_u32_e64 v18, s[4:5], s16, v12
	v_addc_co_u32_e64 v19, s[6:7], v14, v13, s[4:5]
	global_load_ushort v12, v[18:19], off
	global_load_ushort v14, v[16:17], off
	s_mov_b64 s[44:45], -1
	s_waitcnt vmcnt(1)
	v_lshlrev_b32_e32 v12, 16, v12
	s_waitcnt vmcnt(0)
	v_lshlrev_b32_e32 v14, 16, v14
	v_cmp_eq_f32_e64 s[6:7], v14, v12
	s_and_saveexec_b64 s[38:39], s[6:7]
	s_cbranch_execz .LBB1183_221
; %bb.215:
	v_mov_b32_e32 v12, s17
	v_addc_co_u32_e64 v13, s[4:5], v13, v12, s[4:5]
	v_add_co_u32_e64 v12, s[4:5], 2, v18
	v_mov_b32_e32 v14, s17
	v_addc_co_u32_e64 v13, s[4:5], 0, v13, s[4:5]
	v_addc_co_u32_e32 v15, vcc, v15, v14, vcc
	v_add_co_u32_e32 v14, vcc, 2, v16
	s_add_u32 s4, s26, -1
	v_addc_co_u32_e32 v15, vcc, 0, v15, vcc
	s_addc_u32 s5, s27, -1
	s_mov_b64 s[6:7], 0
	s_mov_b64 s[46:47], 0
                                        ; implicit-def: $sgpr44_sgpr45
	s_branch .LBB1183_218
.LBB1183_216:                           ;   in Loop: Header=BB1183_218 Depth=1
	global_load_ushort v16, v[12:13], off
	global_load_ushort v17, v[14:15], off
	v_add_co_u32_e32 v12, vcc, 2, v12
	v_addc_co_u32_e32 v13, vcc, 0, v13, vcc
	v_add_co_u32_e32 v14, vcc, 2, v14
	v_addc_co_u32_e32 v15, vcc, 0, v15, vcc
	s_add_u32 s46, s46, 1
	s_addc_u32 s47, s47, 0
	s_andn2_b64 s[44:45], s[44:45], exec
	s_waitcnt vmcnt(1)
	v_lshlrev_b32_e32 v16, 16, v16
	s_waitcnt vmcnt(0)
	v_lshlrev_b32_e32 v17, 16, v17
	v_cmp_neq_f32_e32 vcc, v17, v16
	s_and_b64 s[50:51], vcc, exec
	s_or_b64 s[44:45], s[44:45], s[50:51]
.LBB1183_217:                           ;   in Loop: Header=BB1183_218 Depth=1
	s_and_b64 s[50:51], exec, s[44:45]
	s_or_b64 s[6:7], s[50:51], s[6:7]
	v_pk_mov_b32 v[16:17], s[46:47], s[46:47] op_sel:[0,1]
	s_andn2_b64 exec, exec, s[6:7]
	s_cbranch_execz .LBB1183_220
.LBB1183_218:                           ; =>This Inner Loop Header: Depth=1
	s_or_b64 s[44:45], s[44:45], exec
	s_cmp_eq_u64 s[4:5], s[46:47]
	s_cbranch_scc0 .LBB1183_216
; %bb.219:                              ;   in Loop: Header=BB1183_218 Depth=1
                                        ; implicit-def: $vgpr12_vgpr13
                                        ; implicit-def: $vgpr14_vgpr15
	s_mov_b64 s[46:47], s[26:27]
	s_branch .LBB1183_217
.LBB1183_220:
	s_or_b64 exec, exec, s[6:7]
	v_cmp_gt_i64_e32 vcc, s[26:27], v[16:17]
	s_orn2_b64 s[44:45], vcc, exec
.LBB1183_221:
	s_or_b64 exec, exec, s[38:39]
.LBB1183_222:
	s_and_b64 s[38:39], s[44:45], exec
.LBB1183_223:
	s_or_b64 exec, exec, s[42:43]
	v_cndmask_b32_e64 v13, 0, 1, s[36:37]
	s_waitcnt vmcnt(0) lgkmcnt(1)
	v_cndmask_b32_e64 v14, 0, 1, s[38:39]
	v_cndmask_b32_e64 v12, 0, 1, s[40:41]
	v_lshlrev_b16_e32 v14, 8, v14
	v_lshlrev_b16_e32 v13, 8, v13
	v_or_b32_e32 v14, 1, v14
	v_or_b32_sdwa v12, v12, v13 dst_sel:WORD_1 dst_unused:UNUSED_PAD src0_sel:DWORD src1_sel:DWORD
	v_or_b32_sdwa v12, v14, v12 dst_sel:DWORD dst_unused:UNUSED_PAD src0_sel:WORD_0 src1_sel:DWORD
	v_cndmask_b32_e64 v13, 0, 1, s[8:9]
	s_waitcnt lgkmcnt(0)
	s_barrier
	s_waitcnt lgkmcnt(0)
                                        ; implicit-def: $sgpr36_sgpr37
                                        ; implicit-def: $vgpr16
	s_and_saveexec_b64 s[6:7], s[2:3]
	s_cbranch_execz .LBB1183_236
; %bb.224:
	v_cmp_gt_u32_e32 vcc, s48, v1
	s_mov_b32 s38, 0x3020104
	s_mov_b64 s[2:3], 0
	s_and_saveexec_b64 s[8:9], vcc
	s_cbranch_execz .LBB1183_235
; %bb.225:
	s_andn2_b64 vcc, exec, s[10:11]
	s_mov_b64 s[36:37], 0
	s_cbranch_vccnz .LBB1183_234
; %bb.226:
	v_add_u32_e32 v14, -8, v26
	ds_read_b64 v[14:15], v14
	v_mul_lo_u32 v16, v7, s26
	v_mad_u64_u32 v[20:21], s[2:3], v6, s26, 0
	s_mov_b64 s[36:37], -1
	s_waitcnt lgkmcnt(0)
	v_mul_lo_u32 v17, v15, s26
	v_mul_lo_u32 v18, v14, s27
	v_mad_u64_u32 v[14:15], s[2:3], v14, s26, 0
	v_add3_u32 v15, v15, v18, v17
	v_mul_lo_u32 v17, v6, s27
	v_add3_u32 v21, v21, v17, v16
	v_lshlrev_b64 v[16:17], 1, v[14:15]
	v_mov_b32_e32 v14, s17
	v_add_co_u32_e32 v18, vcc, s16, v16
	v_addc_co_u32_e64 v19, s[2:3], v14, v17, vcc
	v_lshlrev_b64 v[14:15], 1, v[20:21]
	v_mov_b32_e32 v16, s17
	v_add_co_u32_e64 v20, s[2:3], s16, v14
	v_addc_co_u32_e64 v21, s[4:5], v16, v15, s[2:3]
	global_load_ushort v14, v[20:21], off
	global_load_ushort v16, v[18:19], off
	s_waitcnt vmcnt(1)
	v_lshlrev_b32_e32 v14, 16, v14
	s_waitcnt vmcnt(0)
	v_lshlrev_b32_e32 v16, 16, v16
	v_cmp_eq_f32_e64 s[4:5], v16, v14
	s_and_saveexec_b64 s[10:11], s[4:5]
	s_cbranch_execz .LBB1183_233
; %bb.227:
	v_mov_b32_e32 v14, s17
	v_addc_co_u32_e64 v15, s[2:3], v15, v14, s[2:3]
	v_add_co_u32_e64 v14, s[2:3], 2, v20
	v_mov_b32_e32 v16, s17
	v_addc_co_u32_e64 v15, s[2:3], 0, v15, s[2:3]
	v_addc_co_u32_e32 v17, vcc, v17, v16, vcc
	v_add_co_u32_e32 v16, vcc, 2, v18
	s_add_u32 s2, s26, -1
	v_addc_co_u32_e32 v17, vcc, 0, v17, vcc
	s_addc_u32 s3, s27, -1
	s_mov_b64 s[4:5], 0
	s_mov_b64 s[36:37], 0
                                        ; implicit-def: $sgpr16_sgpr17
	s_branch .LBB1183_230
.LBB1183_228:                           ;   in Loop: Header=BB1183_230 Depth=1
	global_load_ushort v18, v[14:15], off
	global_load_ushort v19, v[16:17], off
	v_add_co_u32_e32 v14, vcc, 2, v14
	v_addc_co_u32_e32 v15, vcc, 0, v15, vcc
	v_add_co_u32_e32 v16, vcc, 2, v16
	v_addc_co_u32_e32 v17, vcc, 0, v17, vcc
	s_add_u32 s36, s36, 1
	s_addc_u32 s37, s37, 0
	s_andn2_b64 s[16:17], s[16:17], exec
	s_waitcnt vmcnt(1)
	v_lshlrev_b32_e32 v18, 16, v18
	s_waitcnt vmcnt(0)
	v_lshlrev_b32_e32 v19, 16, v19
	v_cmp_neq_f32_e32 vcc, v19, v18
	s_and_b64 s[40:41], vcc, exec
	s_or_b64 s[16:17], s[16:17], s[40:41]
.LBB1183_229:                           ;   in Loop: Header=BB1183_230 Depth=1
	s_and_b64 s[40:41], exec, s[16:17]
	s_or_b64 s[4:5], s[40:41], s[4:5]
	v_pk_mov_b32 v[18:19], s[36:37], s[36:37] op_sel:[0,1]
	s_andn2_b64 exec, exec, s[4:5]
	s_cbranch_execz .LBB1183_232
.LBB1183_230:                           ; =>This Inner Loop Header: Depth=1
	s_or_b64 s[16:17], s[16:17], exec
	s_cmp_eq_u64 s[2:3], s[36:37]
	s_cbranch_scc0 .LBB1183_228
; %bb.231:                              ;   in Loop: Header=BB1183_230 Depth=1
                                        ; implicit-def: $vgpr14_vgpr15
                                        ; implicit-def: $vgpr16_vgpr17
	s_mov_b64 s[36:37], s[26:27]
	s_branch .LBB1183_229
.LBB1183_232:
	s_or_b64 exec, exec, s[4:5]
	v_cmp_gt_i64_e32 vcc, s[26:27], v[18:19]
	s_orn2_b64 s[36:37], vcc, exec
.LBB1183_233:
	s_or_b64 exec, exec, s[10:11]
.LBB1183_234:
	s_and_b64 s[2:3], s[36:37], exec
.LBB1183_235:
	s_or_b64 exec, exec, s[8:9]
	v_perm_b32 v16, v12, v12, s38
	s_and_b64 s[36:37], s[2:3], exec
	s_or_b64 s[14:15], s[14:15], exec
.LBB1183_236:
	s_or_b64 exec, exec, s[6:7]
.LBB1183_237:
	s_and_saveexec_b64 s[2:3], s[14:15]
	s_cbranch_execz .LBB1183_239
; %bb.238:
	s_waitcnt vmcnt(0) lgkmcnt(0)
	v_lshrrev_b32_e32 v14, 24, v16
	s_movk_i32 s4, 0xff
	v_lshlrev_b16_e32 v14, 8, v14
	v_and_b32_sdwa v15, v16, s4 dst_sel:DWORD dst_unused:UNUSED_PAD src0_sel:WORD_1 src1_sel:DWORD
	v_or_b32_sdwa v14, v15, v14 dst_sel:WORD_1 dst_unused:UNUSED_PAD src0_sel:DWORD src1_sel:DWORD
	v_mov_b32_e32 v15, 8
	v_cndmask_b32_e64 v12, 0, 1, s[36:37]
	v_lshrrev_b32_sdwa v15, v15, v16 dst_sel:BYTE_1 dst_unused:UNUSED_PAD src0_sel:DWORD src1_sel:DWORD
	v_or_b32_e32 v12, v12, v15
	s_mov_b32 s4, 0xffff
	v_or_b32_sdwa v12, v12, v14 dst_sel:DWORD dst_unused:UNUSED_PAD src0_sel:WORD_0 src1_sel:DWORD
	v_and_b32_sdwa v13, s4, v13 dst_sel:DWORD dst_unused:UNUSED_PAD src0_sel:DWORD src1_sel:BYTE_0
.LBB1183_239:
	s_or_b64 exec, exec, s[2:3]
	s_andn2_b64 vcc, exec, s[12:13]
	s_cbranch_vccnz .LBB1183_241
; %bb.240:
	v_cmp_gt_u32_e32 vcc, s48, v1
	v_cndmask_b32_e32 v1, 0, v12, vcc
	v_and_b32_e32 v1, 0xffff00ff, v1
	v_cmp_gt_u32_e64 s[2:3], s48, v24
	v_cndmask_b32_e64 v1, v1, v12, s[2:3]
	s_waitcnt vmcnt(0) lgkmcnt(0)
	v_lshrrev_b32_e32 v14, 24, v1
	s_mov_b32 s4, 0x40c0100
	v_perm_b32 v1, v14, v1, s4
	v_cmp_gt_u32_e64 s[4:5], s48, v22
	v_cmp_gt_u32_e64 s[6:7], s48, v25
	v_cndmask_b32_e64 v1, v1, v12, s[4:5]
	s_or_b64 s[4:5], s[6:7], s[4:5]
	s_or_b64 s[2:3], s[4:5], s[2:3]
	s_or_b64 vcc, s[2:3], vcc
	v_and_b32_e32 v1, 0xffffff, v1
	v_cndmask_b32_e32 v14, 0, v13, vcc
	v_cndmask_b32_e64 v1, v1, v12, s[6:7]
	v_and_b32_e32 v14, 0xffffff00, v14
	v_cmp_gt_u32_e32 vcc, s48, v23
	v_cndmask_b32_e32 v1, v1, v12, vcc
	v_cndmask_b32_e32 v12, v14, v13, vcc
	s_mov_b32 s2, 0x3020104
	v_and_b32_e32 v13, 0xff, v12
	v_perm_b32 v12, v1, v1, s2
.LBB1183_241:
	v_and_b32_e32 v1, 0xff, v12
	v_bfe_u32 v25, v12, 8, 8
	v_bfe_u32 v27, v12, 16, 8
	s_waitcnt vmcnt(0) lgkmcnt(0)
	v_alignbit_b32 v14, v13, v12, 24
	v_and_b32_e32 v28, 0xff, v14
	v_and_b32_e32 v14, 0xff, v13
	v_add3_u32 v15, v25, v1, v27
	v_add3_u32 v31, v15, v28, v14
	v_mbcnt_lo_u32_b32 v14, -1, 0
	v_mbcnt_hi_u32_b32 v29, -1, v14
	v_and_b32_e32 v14, 15, v29
	v_cmp_eq_u32_e64 s[14:15], 0, v14
	v_cmp_lt_u32_e64 s[12:13], 1, v14
	v_cmp_lt_u32_e64 s[10:11], 3, v14
	;; [unrolled: 1-line block ×3, first 2 shown]
	v_and_b32_e32 v14, 16, v29
	v_cmp_eq_u32_e64 s[6:7], 0, v14
	v_or_b32_e32 v14, 63, v0
	v_cmp_lt_u32_e64 s[2:3], 31, v29
	v_lshrrev_b32_e32 v30, 6, v0
	v_cmp_eq_u32_e64 s[4:5], v14, v0
	s_and_b64 vcc, exec, s[34:35]
	s_barrier
	s_cbranch_vccz .LBB1183_272
; %bb.242:
	v_mov_b32_dpp v14, v31 row_shr:1 row_mask:0xf bank_mask:0xf
	v_cndmask_b32_e64 v14, v14, 0, s[14:15]
	v_add_u32_e32 v14, v14, v31
	s_nop 1
	v_mov_b32_dpp v15, v14 row_shr:2 row_mask:0xf bank_mask:0xf
	v_cndmask_b32_e64 v15, 0, v15, s[12:13]
	v_add_u32_e32 v14, v14, v15
	s_nop 1
	;; [unrolled: 4-line block ×4, first 2 shown]
	v_mov_b32_dpp v15, v14 row_bcast:15 row_mask:0xf bank_mask:0xf
	v_cndmask_b32_e64 v15, v15, 0, s[6:7]
	v_add_u32_e32 v14, v14, v15
	s_nop 1
	v_mov_b32_dpp v15, v14 row_bcast:31 row_mask:0xf bank_mask:0xf
	v_cndmask_b32_e64 v15, 0, v15, s[2:3]
	v_add_u32_e32 v14, v14, v15
	s_and_saveexec_b64 s[16:17], s[4:5]
	s_cbranch_execz .LBB1183_244
; %bb.243:
	v_lshlrev_b32_e32 v15, 2, v30
	ds_write_b32 v15, v14
.LBB1183_244:
	s_or_b64 exec, exec, s[16:17]
	v_cmp_gt_u32_e32 vcc, 4, v0
	s_waitcnt lgkmcnt(0)
	s_barrier
	s_and_saveexec_b64 s[16:17], vcc
	s_cbranch_execz .LBB1183_246
; %bb.245:
	v_lshlrev_b32_e32 v15, 2, v0
	ds_read_b32 v16, v15
	v_and_b32_e32 v17, 3, v29
	v_cmp_ne_u32_e32 vcc, 0, v17
	s_waitcnt lgkmcnt(0)
	v_mov_b32_dpp v18, v16 row_shr:1 row_mask:0xf bank_mask:0xf
	v_cndmask_b32_e32 v18, 0, v18, vcc
	v_add_u32_e32 v16, v18, v16
	v_cmp_lt_u32_e32 vcc, 1, v17
	s_nop 0
	v_mov_b32_dpp v18, v16 row_shr:2 row_mask:0xf bank_mask:0xf
	v_cndmask_b32_e32 v17, 0, v18, vcc
	v_add_u32_e32 v16, v16, v17
	ds_write_b32 v15, v16
.LBB1183_246:
	s_or_b64 exec, exec, s[16:17]
	v_cmp_gt_u32_e32 vcc, 64, v0
	v_cmp_lt_u32_e64 s[16:17], 63, v0
	s_waitcnt lgkmcnt(0)
	s_barrier
	s_waitcnt lgkmcnt(0)
                                        ; implicit-def: $vgpr24
	s_and_saveexec_b64 s[26:27], s[16:17]
	s_cbranch_execz .LBB1183_248
; %bb.247:
	v_lshl_add_u32 v15, v30, 2, -4
	ds_read_b32 v24, v15
	s_waitcnt lgkmcnt(0)
	v_add_u32_e32 v14, v24, v14
.LBB1183_248:
	s_or_b64 exec, exec, s[26:27]
	v_add_u32_e32 v15, -1, v29
	v_and_b32_e32 v16, 64, v29
	v_cmp_lt_i32_e64 s[16:17], v15, v16
	v_cndmask_b32_e64 v15, v15, v29, s[16:17]
	v_lshlrev_b32_e32 v15, 2, v15
	ds_bpermute_b32 v26, v15, v14
	v_cmp_eq_u32_e64 s[16:17], 0, v29
	s_and_saveexec_b64 s[26:27], vcc
	s_cbranch_execz .LBB1183_271
; %bb.249:
	v_mov_b32_e32 v23, 0
	ds_read_b32 v14, v23 offset:12
	s_and_saveexec_b64 s[34:35], s[16:17]
	s_cbranch_execz .LBB1183_251
; %bb.250:
	s_add_i32 s36, s33, 64
	s_mov_b32 s37, 0
	s_lshl_b64 s[36:37], s[36:37], 3
	s_add_u32 s36, s18, s36
	v_mov_b32_e32 v15, 1
	s_addc_u32 s37, s19, s37
	s_waitcnt lgkmcnt(0)
	global_store_dwordx2 v23, v[14:15], s[36:37]
.LBB1183_251:
	s_or_b64 exec, exec, s[34:35]
	v_xad_u32 v16, v29, -1, s33
	v_add_u32_e32 v22, 64, v16
	v_lshlrev_b64 v[18:19], 3, v[22:23]
	v_mov_b32_e32 v15, s19
	v_add_co_u32_e32 v18, vcc, s18, v18
	v_addc_co_u32_e32 v19, vcc, v15, v19, vcc
	global_load_dwordx2 v[20:21], v[18:19], off glc
	s_waitcnt vmcnt(0)
	v_cmp_eq_u16_sdwa s[36:37], v21, v23 src0_sel:BYTE_0 src1_sel:DWORD
	s_and_saveexec_b64 s[34:35], s[36:37]
	s_cbranch_execz .LBB1183_257
; %bb.252:
	s_mov_b32 s38, 1
	s_mov_b64 s[36:37], 0
	v_mov_b32_e32 v15, 0
.LBB1183_253:                           ; =>This Loop Header: Depth=1
                                        ;     Child Loop BB1183_254 Depth 2
	s_max_u32 s39, s38, 1
.LBB1183_254:                           ;   Parent Loop BB1183_253 Depth=1
                                        ; =>  This Inner Loop Header: Depth=2
	s_add_i32 s39, s39, -1
	s_cmp_eq_u32 s39, 0
	s_sleep 1
	s_cbranch_scc0 .LBB1183_254
; %bb.255:                              ;   in Loop: Header=BB1183_253 Depth=1
	global_load_dwordx2 v[20:21], v[18:19], off glc
	s_cmp_lt_u32 s38, 32
	s_cselect_b64 s[40:41], -1, 0
	s_cmp_lg_u64 s[40:41], 0
	s_addc_u32 s38, s38, 0
	s_waitcnt vmcnt(0)
	v_cmp_ne_u16_sdwa s[40:41], v21, v15 src0_sel:BYTE_0 src1_sel:DWORD
	s_or_b64 s[36:37], s[40:41], s[36:37]
	s_andn2_b64 exec, exec, s[36:37]
	s_cbranch_execnz .LBB1183_253
; %bb.256:
	s_or_b64 exec, exec, s[36:37]
.LBB1183_257:
	s_or_b64 exec, exec, s[34:35]
	v_and_b32_e32 v32, 63, v29
	v_mov_b32_e32 v15, 2
	v_cmp_ne_u32_e32 vcc, 63, v32
	v_cmp_eq_u16_sdwa s[34:35], v21, v15 src0_sel:BYTE_0 src1_sel:DWORD
	v_lshlrev_b64 v[18:19], v29, -1
	v_addc_co_u32_e32 v23, vcc, 0, v29, vcc
	v_and_b32_e32 v17, s35, v19
	v_lshlrev_b32_e32 v33, 2, v23
	v_or_b32_e32 v17, 0x80000000, v17
	ds_bpermute_b32 v23, v33, v20
	v_and_b32_e32 v22, s34, v18
	v_ffbl_b32_e32 v17, v17
	v_add_u32_e32 v17, 32, v17
	v_ffbl_b32_e32 v22, v22
	v_min_u32_e32 v17, v22, v17
	v_cmp_lt_u32_e32 vcc, v32, v17
	s_waitcnt lgkmcnt(0)
	v_cndmask_b32_e32 v22, 0, v23, vcc
	v_cmp_gt_u32_e32 vcc, 62, v32
	v_add_u32_e32 v20, v22, v20
	v_cndmask_b32_e64 v22, 0, 1, vcc
	v_lshlrev_b32_e32 v22, 1, v22
	v_add_lshl_u32 v34, v22, v29, 2
	ds_bpermute_b32 v22, v34, v20
	v_add_u32_e32 v35, 2, v32
	v_cmp_le_u32_e32 vcc, v35, v17
	v_add_u32_e32 v37, 4, v32
	v_add_u32_e32 v39, 8, v32
	s_waitcnt lgkmcnt(0)
	v_cndmask_b32_e32 v22, 0, v22, vcc
	v_cmp_gt_u32_e32 vcc, 60, v32
	v_add_u32_e32 v20, v20, v22
	v_cndmask_b32_e64 v22, 0, 1, vcc
	v_lshlrev_b32_e32 v22, 2, v22
	v_add_lshl_u32 v36, v22, v29, 2
	ds_bpermute_b32 v22, v36, v20
	v_cmp_le_u32_e32 vcc, v37, v17
	v_add_u32_e32 v42, 16, v32
	v_add_u32_e32 v44, 32, v32
	s_waitcnt lgkmcnt(0)
	v_cndmask_b32_e32 v22, 0, v22, vcc
	v_cmp_gt_u32_e32 vcc, 56, v32
	v_add_u32_e32 v20, v20, v22
	v_cndmask_b32_e64 v22, 0, 1, vcc
	v_lshlrev_b32_e32 v22, 3, v22
	v_add_lshl_u32 v38, v22, v29, 2
	ds_bpermute_b32 v22, v38, v20
	v_cmp_le_u32_e32 vcc, v39, v17
	s_waitcnt lgkmcnt(0)
	v_cndmask_b32_e32 v22, 0, v22, vcc
	v_cmp_gt_u32_e32 vcc, 48, v32
	v_add_u32_e32 v20, v20, v22
	v_cndmask_b32_e64 v22, 0, 1, vcc
	v_lshlrev_b32_e32 v22, 4, v22
	v_add_lshl_u32 v41, v22, v29, 2
	ds_bpermute_b32 v22, v41, v20
	v_cmp_le_u32_e32 vcc, v42, v17
	;; [unrolled: 9-line block ×3, first 2 shown]
	s_waitcnt lgkmcnt(0)
	v_cndmask_b32_e32 v17, 0, v22, vcc
	v_add_u32_e32 v20, v20, v17
	v_mov_b32_e32 v17, 0
	s_branch .LBB1183_259
.LBB1183_258:                           ;   in Loop: Header=BB1183_259 Depth=1
	s_or_b64 exec, exec, s[34:35]
	v_cmp_eq_u16_sdwa s[34:35], v21, v15 src0_sel:BYTE_0 src1_sel:DWORD
	v_and_b32_e32 v22, s35, v19
	v_or_b32_e32 v22, 0x80000000, v22
	ds_bpermute_b32 v45, v33, v20
	v_and_b32_e32 v23, s34, v18
	v_ffbl_b32_e32 v22, v22
	v_add_u32_e32 v22, 32, v22
	v_ffbl_b32_e32 v23, v23
	v_min_u32_e32 v22, v23, v22
	v_cmp_lt_u32_e32 vcc, v32, v22
	s_waitcnt lgkmcnt(0)
	v_cndmask_b32_e32 v23, 0, v45, vcc
	v_add_u32_e32 v20, v23, v20
	ds_bpermute_b32 v23, v34, v20
	v_cmp_le_u32_e32 vcc, v35, v22
	v_subrev_u32_e32 v16, 64, v16
	s_waitcnt lgkmcnt(0)
	v_cndmask_b32_e32 v23, 0, v23, vcc
	v_add_u32_e32 v20, v20, v23
	ds_bpermute_b32 v23, v36, v20
	v_cmp_le_u32_e32 vcc, v37, v22
	s_waitcnt lgkmcnt(0)
	v_cndmask_b32_e32 v23, 0, v23, vcc
	v_add_u32_e32 v20, v20, v23
	ds_bpermute_b32 v23, v38, v20
	v_cmp_le_u32_e32 vcc, v39, v22
	;; [unrolled: 5-line block ×4, first 2 shown]
	s_waitcnt lgkmcnt(0)
	v_cndmask_b32_e32 v22, 0, v23, vcc
	v_add3_u32 v20, v22, v40, v20
.LBB1183_259:                           ; =>This Loop Header: Depth=1
                                        ;     Child Loop BB1183_262 Depth 2
                                        ;       Child Loop BB1183_263 Depth 3
	v_cmp_ne_u16_sdwa s[34:35], v21, v15 src0_sel:BYTE_0 src1_sel:DWORD
	v_cndmask_b32_e64 v21, 0, 1, s[34:35]
	;;#ASMSTART
	;;#ASMEND
	v_cmp_ne_u32_e32 vcc, 0, v21
	s_cmp_lg_u64 vcc, exec
	v_mov_b32_e32 v40, v20
	s_cbranch_scc1 .LBB1183_266
; %bb.260:                              ;   in Loop: Header=BB1183_259 Depth=1
	v_lshlrev_b64 v[20:21], 3, v[16:17]
	v_mov_b32_e32 v23, s19
	v_add_co_u32_e32 v22, vcc, s18, v20
	v_addc_co_u32_e32 v23, vcc, v23, v21, vcc
	global_load_dwordx2 v[20:21], v[22:23], off glc
	s_waitcnt vmcnt(0)
	v_cmp_eq_u16_sdwa s[36:37], v21, v17 src0_sel:BYTE_0 src1_sel:DWORD
	s_and_saveexec_b64 s[34:35], s[36:37]
	s_cbranch_execz .LBB1183_258
; %bb.261:                              ;   in Loop: Header=BB1183_259 Depth=1
	s_mov_b32 s38, 1
	s_mov_b64 s[36:37], 0
.LBB1183_262:                           ;   Parent Loop BB1183_259 Depth=1
                                        ; =>  This Loop Header: Depth=2
                                        ;       Child Loop BB1183_263 Depth 3
	s_max_u32 s39, s38, 1
.LBB1183_263:                           ;   Parent Loop BB1183_259 Depth=1
                                        ;     Parent Loop BB1183_262 Depth=2
                                        ; =>    This Inner Loop Header: Depth=3
	s_add_i32 s39, s39, -1
	s_cmp_eq_u32 s39, 0
	s_sleep 1
	s_cbranch_scc0 .LBB1183_263
; %bb.264:                              ;   in Loop: Header=BB1183_262 Depth=2
	global_load_dwordx2 v[20:21], v[22:23], off glc
	s_cmp_lt_u32 s38, 32
	s_cselect_b64 s[40:41], -1, 0
	s_cmp_lg_u64 s[40:41], 0
	s_addc_u32 s38, s38, 0
	s_waitcnt vmcnt(0)
	v_cmp_ne_u16_sdwa s[40:41], v21, v17 src0_sel:BYTE_0 src1_sel:DWORD
	s_or_b64 s[36:37], s[40:41], s[36:37]
	s_andn2_b64 exec, exec, s[36:37]
	s_cbranch_execnz .LBB1183_262
; %bb.265:                              ;   in Loop: Header=BB1183_259 Depth=1
	s_or_b64 exec, exec, s[36:37]
	s_branch .LBB1183_258
.LBB1183_266:                           ;   in Loop: Header=BB1183_259 Depth=1
                                        ; implicit-def: $vgpr20
                                        ; implicit-def: $vgpr21
	s_cbranch_execz .LBB1183_259
; %bb.267:
	s_and_saveexec_b64 s[34:35], s[16:17]
	s_cbranch_execz .LBB1183_269
; %bb.268:
	s_add_i32 s36, s33, 64
	s_mov_b32 s37, 0
	s_lshl_b64 s[36:37], s[36:37], 3
	s_add_u32 s36, s18, s36
	v_add_u32_e32 v16, v40, v14
	v_mov_b32_e32 v17, 2
	s_addc_u32 s37, s19, s37
	v_mov_b32_e32 v15, 0
	s_movk_i32 s33, 0x2800
	global_store_dwordx2 v15, v[16:17], s[36:37]
	v_add_u32_e64 v15, s33, 0
	ds_write2_b32 v15, v14, v40 offset1:2
.LBB1183_269:
	s_or_b64 exec, exec, s[34:35]
	s_and_b64 exec, exec, s[0:1]
	s_cbranch_execz .LBB1183_271
; %bb.270:
	v_mov_b32_e32 v14, 0
	ds_write_b32 v14, v40 offset:12
.LBB1183_271:
	s_or_b64 exec, exec, s[26:27]
	v_mov_b32_e32 v14, 0
	s_waitcnt lgkmcnt(0)
	s_barrier
	ds_read_b32 v14, v14 offset:12
	v_cndmask_b32_e64 v15, v26, v24, s[16:17]
	v_cndmask_b32_e64 v15, v15, 0, s[0:1]
	s_movk_i32 s16, 0x2800
	s_waitcnt lgkmcnt(0)
	v_add_u32_e32 v26, v14, v15
	v_add_u32_e64 v14, s16, 0
	s_barrier
	ds_read2_b32 v[14:15], v14 offset1:2
	v_add_u32_e32 v24, v26, v1
	v_add_u32_e32 v22, v24, v25
	;; [unrolled: 1-line block ×4, first 2 shown]
	v_lshrrev_b64 v[16:17], 24, v[12:13]
	s_branch .LBB1183_282
.LBB1183_272:
                                        ; implicit-def: $vgpr18
                                        ; implicit-def: $vgpr20
                                        ; implicit-def: $vgpr22
                                        ; implicit-def: $vgpr24
                                        ; implicit-def: $vgpr26
                                        ; implicit-def: $vgpr15
	v_lshrrev_b64 v[16:17], 24, v[12:13]
	s_cbranch_execz .LBB1183_282
; %bb.273:
	s_waitcnt lgkmcnt(0)
	v_mov_b32_dpp v14, v31 row_shr:1 row_mask:0xf bank_mask:0xf
	v_cndmask_b32_e64 v14, v14, 0, s[14:15]
	v_add_u32_e32 v14, v14, v31
	s_nop 1
	v_mov_b32_dpp v15, v14 row_shr:2 row_mask:0xf bank_mask:0xf
	v_cndmask_b32_e64 v15, 0, v15, s[12:13]
	v_add_u32_e32 v14, v14, v15
	s_nop 1
	;; [unrolled: 4-line block ×4, first 2 shown]
	v_mov_b32_dpp v15, v14 row_bcast:15 row_mask:0xf bank_mask:0xf
	v_cndmask_b32_e64 v15, v15, 0, s[6:7]
	v_add_u32_e32 v14, v14, v15
	s_nop 1
	v_mov_b32_dpp v15, v14 row_bcast:31 row_mask:0xf bank_mask:0xf
	v_cndmask_b32_e64 v15, 0, v15, s[2:3]
	v_add_u32_e32 v14, v14, v15
	s_and_saveexec_b64 s[2:3], s[4:5]
	s_cbranch_execz .LBB1183_275
; %bb.274:
	v_lshlrev_b32_e32 v15, 2, v30
	ds_write_b32 v15, v14
.LBB1183_275:
	s_or_b64 exec, exec, s[2:3]
	v_cmp_gt_u32_e32 vcc, 4, v0
	s_waitcnt lgkmcnt(0)
	s_barrier
	s_and_saveexec_b64 s[2:3], vcc
	s_cbranch_execz .LBB1183_277
; %bb.276:
	v_lshlrev_b32_e32 v15, 2, v0
	ds_read_b32 v17, v15
	v_and_b32_e32 v18, 3, v29
	v_cmp_ne_u32_e32 vcc, 0, v18
	s_waitcnt lgkmcnt(0)
	v_mov_b32_dpp v19, v17 row_shr:1 row_mask:0xf bank_mask:0xf
	v_cndmask_b32_e32 v19, 0, v19, vcc
	v_add_u32_e32 v17, v19, v17
	v_cmp_lt_u32_e32 vcc, 1, v18
	s_nop 0
	v_mov_b32_dpp v19, v17 row_shr:2 row_mask:0xf bank_mask:0xf
	v_cndmask_b32_e32 v18, 0, v19, vcc
	v_add_u32_e32 v17, v17, v18
	ds_write_b32 v15, v17
.LBB1183_277:
	s_or_b64 exec, exec, s[2:3]
	v_cmp_lt_u32_e32 vcc, 63, v0
	v_mov_b32_e32 v15, 0
	v_mov_b32_e32 v17, 0
	s_waitcnt lgkmcnt(0)
	s_barrier
	s_and_saveexec_b64 s[2:3], vcc
	s_cbranch_execz .LBB1183_279
; %bb.278:
	v_lshl_add_u32 v17, v30, 2, -4
	ds_read_b32 v17, v17
.LBB1183_279:
	s_or_b64 exec, exec, s[2:3]
	v_add_u32_e32 v18, -1, v29
	v_and_b32_e32 v19, 64, v29
	v_cmp_lt_i32_e32 vcc, v18, v19
	v_cndmask_b32_e32 v18, v18, v29, vcc
	s_waitcnt lgkmcnt(0)
	v_add_u32_e32 v14, v17, v14
	v_lshlrev_b32_e32 v18, 2, v18
	ds_bpermute_b32 v18, v18, v14
	ds_read_b32 v14, v15 offset:12
	s_and_saveexec_b64 s[2:3], s[0:1]
	s_cbranch_execz .LBB1183_281
; %bb.280:
	v_mov_b32_e32 v19, 0
	v_mov_b32_e32 v15, 2
	s_waitcnt lgkmcnt(0)
	global_store_dwordx2 v19, v[14:15], s[18:19] offset:512
.LBB1183_281:
	s_or_b64 exec, exec, s[2:3]
	v_cmp_eq_u32_e32 vcc, 0, v29
	s_waitcnt lgkmcnt(1)
	v_cndmask_b32_e32 v17, v18, v17, vcc
	v_cndmask_b32_e64 v26, v17, 0, s[0:1]
	v_add_u32_e32 v24, v26, v1
	v_add_u32_e32 v22, v24, v25
	;; [unrolled: 1-line block ×3, first 2 shown]
	v_mov_b32_e32 v15, 0
	v_add_u32_e32 v18, v20, v28
	s_waitcnt lgkmcnt(0)
	s_barrier
.LBB1183_282:
	s_movk_i32 s2, 0x101
	s_waitcnt lgkmcnt(0)
	v_cmp_gt_u32_e32 vcc, s2, v14
	v_lshrrev_b32_e32 v1, 8, v12
	s_mov_b64 s[2:3], -1
	s_cbranch_vccnz .LBB1183_286
; %bb.283:
	s_and_b64 vcc, exec, s[2:3]
	s_cbranch_vccnz .LBB1183_302
.LBB1183_284:
	s_and_b64 s[0:1], s[0:1], s[24:25]
	s_and_saveexec_b64 s[2:3], s[0:1]
	s_cbranch_execnz .LBB1183_316
.LBB1183_285:
	s_endpgm
.LBB1183_286:
	v_add_u32_e32 v17, v15, v14
	v_cmp_lt_u32_e32 vcc, v26, v17
	s_or_b64 s[4:5], s[30:31], vcc
	s_and_saveexec_b64 s[2:3], s[4:5]
	s_cbranch_execz .LBB1183_289
; %bb.287:
	v_and_b32_e32 v19, 1, v12
	v_cmp_eq_u32_e32 vcc, 1, v19
	s_and_b64 exec, exec, vcc
	s_cbranch_execz .LBB1183_289
; %bb.288:
	s_lshl_b64 s[4:5], s[22:23], 3
	s_add_u32 s4, s28, s4
	v_mov_b32_e32 v27, 0
	s_addc_u32 s5, s29, s5
	v_lshlrev_b64 v[28:29], 3, v[26:27]
	v_mov_b32_e32 v19, s5
	v_add_co_u32_e32 v28, vcc, s4, v28
	v_addc_co_u32_e32 v29, vcc, v19, v29, vcc
	global_store_dwordx2 v[28:29], v[6:7], off
.LBB1183_289:
	s_or_b64 exec, exec, s[2:3]
	v_cmp_lt_u32_e32 vcc, v24, v17
	s_or_b64 s[4:5], s[30:31], vcc
	s_and_saveexec_b64 s[2:3], s[4:5]
	s_cbranch_execz .LBB1183_292
; %bb.290:
	v_and_b32_e32 v19, 1, v1
	v_cmp_eq_u32_e32 vcc, 1, v19
	s_and_b64 exec, exec, vcc
	s_cbranch_execz .LBB1183_292
; %bb.291:
	s_lshl_b64 s[4:5], s[22:23], 3
	s_add_u32 s4, s28, s4
	v_mov_b32_e32 v25, 0
	s_addc_u32 s5, s29, s5
	v_lshlrev_b64 v[28:29], 3, v[24:25]
	v_mov_b32_e32 v19, s5
	v_add_co_u32_e32 v28, vcc, s4, v28
	v_addc_co_u32_e32 v29, vcc, v19, v29, vcc
	global_store_dwordx2 v[28:29], v[8:9], off
.LBB1183_292:
	s_or_b64 exec, exec, s[2:3]
	v_cmp_lt_u32_e32 vcc, v22, v17
	s_or_b64 s[4:5], s[30:31], vcc
	s_and_saveexec_b64 s[2:3], s[4:5]
	s_cbranch_execz .LBB1183_295
; %bb.293:
	v_mov_b32_e32 v19, 1
	v_and_b32_sdwa v19, v19, v12 dst_sel:DWORD dst_unused:UNUSED_PAD src0_sel:DWORD src1_sel:WORD_1
	v_cmp_eq_u32_e32 vcc, 1, v19
	s_and_b64 exec, exec, vcc
	s_cbranch_execz .LBB1183_295
; %bb.294:
	s_lshl_b64 s[4:5], s[22:23], 3
	s_add_u32 s4, s28, s4
	v_mov_b32_e32 v23, 0
	s_addc_u32 s5, s29, s5
	v_lshlrev_b64 v[28:29], 3, v[22:23]
	v_mov_b32_e32 v19, s5
	v_add_co_u32_e32 v28, vcc, s4, v28
	v_addc_co_u32_e32 v29, vcc, v19, v29, vcc
	global_store_dwordx2 v[28:29], v[2:3], off
.LBB1183_295:
	s_or_b64 exec, exec, s[2:3]
	v_cmp_lt_u32_e32 vcc, v20, v17
	s_or_b64 s[4:5], s[30:31], vcc
	s_and_saveexec_b64 s[2:3], s[4:5]
	s_cbranch_execz .LBB1183_298
; %bb.296:
	v_and_b32_e32 v19, 1, v16
	v_cmp_eq_u32_e32 vcc, 1, v19
	s_and_b64 exec, exec, vcc
	s_cbranch_execz .LBB1183_298
; %bb.297:
	s_lshl_b64 s[4:5], s[22:23], 3
	s_add_u32 s4, s28, s4
	v_mov_b32_e32 v21, 0
	s_addc_u32 s5, s29, s5
	v_lshlrev_b64 v[28:29], 3, v[20:21]
	v_mov_b32_e32 v19, s5
	v_add_co_u32_e32 v28, vcc, s4, v28
	v_addc_co_u32_e32 v29, vcc, v19, v29, vcc
	global_store_dwordx2 v[28:29], v[4:5], off
.LBB1183_298:
	s_or_b64 exec, exec, s[2:3]
	v_cmp_lt_u32_e32 vcc, v18, v17
	s_or_b64 s[4:5], s[30:31], vcc
	s_and_saveexec_b64 s[2:3], s[4:5]
	s_cbranch_execz .LBB1183_301
; %bb.299:
	v_and_b32_e32 v17, 1, v13
	v_cmp_eq_u32_e32 vcc, 1, v17
	s_and_b64 exec, exec, vcc
	s_cbranch_execz .LBB1183_301
; %bb.300:
	s_lshl_b64 s[4:5], s[22:23], 3
	s_add_u32 s4, s28, s4
	v_mov_b32_e32 v19, 0
	s_addc_u32 s5, s29, s5
	v_lshlrev_b64 v[28:29], 3, v[18:19]
	v_mov_b32_e32 v17, s5
	v_add_co_u32_e32 v28, vcc, s4, v28
	v_addc_co_u32_e32 v29, vcc, v17, v29, vcc
	global_store_dwordx2 v[28:29], v[10:11], off
.LBB1183_301:
	s_or_b64 exec, exec, s[2:3]
	s_branch .LBB1183_284
.LBB1183_302:
	v_and_b32_e32 v17, 1, v12
	v_cmp_eq_u32_e32 vcc, 1, v17
	s_and_saveexec_b64 s[2:3], vcc
	s_cbranch_execz .LBB1183_304
; %bb.303:
	v_sub_u32_e32 v17, v26, v15
	v_lshlrev_b32_e32 v17, 3, v17
	ds_write_b64 v17, v[6:7]
.LBB1183_304:
	s_or_b64 exec, exec, s[2:3]
	v_and_b32_e32 v1, 1, v1
	v_cmp_eq_u32_e32 vcc, 1, v1
	s_and_saveexec_b64 s[2:3], vcc
	s_cbranch_execz .LBB1183_306
; %bb.305:
	v_sub_u32_e32 v1, v24, v15
	v_lshlrev_b32_e32 v1, 3, v1
	ds_write_b64 v1, v[8:9]
.LBB1183_306:
	s_or_b64 exec, exec, s[2:3]
	v_mov_b32_e32 v1, 1
	v_and_b32_sdwa v1, v1, v12 dst_sel:DWORD dst_unused:UNUSED_PAD src0_sel:DWORD src1_sel:WORD_1
	v_cmp_eq_u32_e32 vcc, 1, v1
	s_and_saveexec_b64 s[2:3], vcc
	s_cbranch_execz .LBB1183_308
; %bb.307:
	v_sub_u32_e32 v1, v22, v15
	v_lshlrev_b32_e32 v1, 3, v1
	ds_write_b64 v1, v[2:3]
.LBB1183_308:
	s_or_b64 exec, exec, s[2:3]
	v_and_b32_e32 v1, 1, v16
	v_cmp_eq_u32_e32 vcc, 1, v1
	s_and_saveexec_b64 s[2:3], vcc
	s_cbranch_execz .LBB1183_310
; %bb.309:
	v_sub_u32_e32 v1, v20, v15
	v_lshlrev_b32_e32 v1, 3, v1
	ds_write_b64 v1, v[4:5]
.LBB1183_310:
	s_or_b64 exec, exec, s[2:3]
	v_and_b32_e32 v1, 1, v13
	v_cmp_eq_u32_e32 vcc, 1, v1
	s_and_saveexec_b64 s[2:3], vcc
	s_cbranch_execz .LBB1183_312
; %bb.311:
	v_sub_u32_e32 v1, v18, v15
	v_lshlrev_b32_e32 v1, 3, v1
	ds_write_b64 v1, v[10:11]
.LBB1183_312:
	s_or_b64 exec, exec, s[2:3]
	v_cmp_lt_u32_e32 vcc, v0, v14
	s_waitcnt lgkmcnt(0)
	s_barrier
	s_and_saveexec_b64 s[2:3], vcc
	s_cbranch_execz .LBB1183_315
; %bb.313:
	v_mov_b32_e32 v1, 0
	v_mov_b32_e32 v2, v15
	;; [unrolled: 1-line block ×3, first 2 shown]
	v_lshlrev_b64 v[2:3], 3, v[2:3]
	v_mov_b32_e32 v4, s29
	v_add_co_u32_e32 v2, vcc, s28, v2
	v_addc_co_u32_e32 v3, vcc, v4, v3, vcc
	s_lshl_b64 s[4:5], s[22:23], 3
	v_mov_b32_e32 v4, s5
	v_add_co_u32_e32 v2, vcc, s4, v2
	v_addc_co_u32_e32 v3, vcc, v3, v4, vcc
	v_lshlrev_b32_e32 v4, 3, v0
	s_mov_b64 s[4:5], 0
.LBB1183_314:                           ; =>This Inner Loop Header: Depth=1
	ds_read_b64 v[6:7], v4
	v_lshlrev_b64 v[8:9], 3, v[0:1]
	v_add_co_u32_e32 v8, vcc, v2, v8
	v_add_u32_e32 v0, 0x100, v0
	v_addc_co_u32_e32 v9, vcc, v3, v9, vcc
	v_cmp_ge_u32_e32 vcc, v0, v14
	v_add_u32_e32 v4, 0x800, v4
	s_or_b64 s[4:5], vcc, s[4:5]
	s_waitcnt lgkmcnt(0)
	global_store_dwordx2 v[8:9], v[6:7], off
	s_andn2_b64 exec, exec, s[4:5]
	s_cbranch_execnz .LBB1183_314
.LBB1183_315:
	s_or_b64 exec, exec, s[2:3]
	s_and_b64 s[0:1], s[0:1], s[24:25]
	s_and_saveexec_b64 s[2:3], s[0:1]
	s_cbranch_execz .LBB1183_285
.LBB1183_316:
	v_mov_b32_e32 v0, s23
	v_add_co_u32_e32 v1, vcc, s22, v14
	v_addc_co_u32_e32 v3, vcc, 0, v0, vcc
	v_add_co_u32_e32 v0, vcc, v1, v15
	v_mov_b32_e32 v2, 0
	v_addc_co_u32_e32 v1, vcc, 0, v3, vcc
	global_store_dwordx2 v2, v[0:1], s[20:21]
	s_endpgm
	.section	.rodata,"a",@progbits
	.p2align	6, 0x0
	.amdhsa_kernel _ZN7rocprim17ROCPRIM_400000_NS6detail17trampoline_kernelINS0_14default_configENS1_25partition_config_selectorILNS1_17partition_subalgoE8ElNS0_10empty_typeEbEEZZNS1_14partition_implILS5_8ELb0ES3_jPlPS6_PKS6_NS0_5tupleIJS9_S6_EEENSD_IJSA_SA_EEENS0_18inequality_wrapperIZN2at6native12_GLOBAL__N_124unique_dim_cuda_templateIN3c108BFloat16EEESt5tupleIJNSH_6TensorESO_SO_EERKSO_lbbbEUlllE0_EEPmJS6_EEE10hipError_tPvRmT3_T4_T5_T6_T7_T9_mT8_P12ihipStream_tbDpT10_ENKUlT_T0_E_clISt17integral_constantIbLb1EES1E_EEDaS19_S1A_EUlS19_E_NS1_11comp_targetILNS1_3genE4ELNS1_11target_archE910ELNS1_3gpuE8ELNS1_3repE0EEENS1_30default_config_static_selectorELNS0_4arch9wavefront6targetE1EEEvT1_
		.amdhsa_group_segment_fixed_size 10252
		.amdhsa_private_segment_fixed_size 0
		.amdhsa_kernarg_size 136
		.amdhsa_user_sgpr_count 6
		.amdhsa_user_sgpr_private_segment_buffer 1
		.amdhsa_user_sgpr_dispatch_ptr 0
		.amdhsa_user_sgpr_queue_ptr 0
		.amdhsa_user_sgpr_kernarg_segment_ptr 1
		.amdhsa_user_sgpr_dispatch_id 0
		.amdhsa_user_sgpr_flat_scratch_init 0
		.amdhsa_user_sgpr_kernarg_preload_length 0
		.amdhsa_user_sgpr_kernarg_preload_offset 0
		.amdhsa_user_sgpr_private_segment_size 0
		.amdhsa_uses_dynamic_stack 0
		.amdhsa_system_sgpr_private_segment_wavefront_offset 0
		.amdhsa_system_sgpr_workgroup_id_x 1
		.amdhsa_system_sgpr_workgroup_id_y 0
		.amdhsa_system_sgpr_workgroup_id_z 0
		.amdhsa_system_sgpr_workgroup_info 0
		.amdhsa_system_vgpr_workitem_id 0
		.amdhsa_next_free_vgpr 46
		.amdhsa_next_free_sgpr 52
		.amdhsa_accum_offset 48
		.amdhsa_reserve_vcc 1
		.amdhsa_reserve_flat_scratch 0
		.amdhsa_float_round_mode_32 0
		.amdhsa_float_round_mode_16_64 0
		.amdhsa_float_denorm_mode_32 3
		.amdhsa_float_denorm_mode_16_64 3
		.amdhsa_dx10_clamp 1
		.amdhsa_ieee_mode 1
		.amdhsa_fp16_overflow 0
		.amdhsa_tg_split 0
		.amdhsa_exception_fp_ieee_invalid_op 0
		.amdhsa_exception_fp_denorm_src 0
		.amdhsa_exception_fp_ieee_div_zero 0
		.amdhsa_exception_fp_ieee_overflow 0
		.amdhsa_exception_fp_ieee_underflow 0
		.amdhsa_exception_fp_ieee_inexact 0
		.amdhsa_exception_int_div_zero 0
	.end_amdhsa_kernel
	.section	.text._ZN7rocprim17ROCPRIM_400000_NS6detail17trampoline_kernelINS0_14default_configENS1_25partition_config_selectorILNS1_17partition_subalgoE8ElNS0_10empty_typeEbEEZZNS1_14partition_implILS5_8ELb0ES3_jPlPS6_PKS6_NS0_5tupleIJS9_S6_EEENSD_IJSA_SA_EEENS0_18inequality_wrapperIZN2at6native12_GLOBAL__N_124unique_dim_cuda_templateIN3c108BFloat16EEESt5tupleIJNSH_6TensorESO_SO_EERKSO_lbbbEUlllE0_EEPmJS6_EEE10hipError_tPvRmT3_T4_T5_T6_T7_T9_mT8_P12ihipStream_tbDpT10_ENKUlT_T0_E_clISt17integral_constantIbLb1EES1E_EEDaS19_S1A_EUlS19_E_NS1_11comp_targetILNS1_3genE4ELNS1_11target_archE910ELNS1_3gpuE8ELNS1_3repE0EEENS1_30default_config_static_selectorELNS0_4arch9wavefront6targetE1EEEvT1_,"axG",@progbits,_ZN7rocprim17ROCPRIM_400000_NS6detail17trampoline_kernelINS0_14default_configENS1_25partition_config_selectorILNS1_17partition_subalgoE8ElNS0_10empty_typeEbEEZZNS1_14partition_implILS5_8ELb0ES3_jPlPS6_PKS6_NS0_5tupleIJS9_S6_EEENSD_IJSA_SA_EEENS0_18inequality_wrapperIZN2at6native12_GLOBAL__N_124unique_dim_cuda_templateIN3c108BFloat16EEESt5tupleIJNSH_6TensorESO_SO_EERKSO_lbbbEUlllE0_EEPmJS6_EEE10hipError_tPvRmT3_T4_T5_T6_T7_T9_mT8_P12ihipStream_tbDpT10_ENKUlT_T0_E_clISt17integral_constantIbLb1EES1E_EEDaS19_S1A_EUlS19_E_NS1_11comp_targetILNS1_3genE4ELNS1_11target_archE910ELNS1_3gpuE8ELNS1_3repE0EEENS1_30default_config_static_selectorELNS0_4arch9wavefront6targetE1EEEvT1_,comdat
.Lfunc_end1183:
	.size	_ZN7rocprim17ROCPRIM_400000_NS6detail17trampoline_kernelINS0_14default_configENS1_25partition_config_selectorILNS1_17partition_subalgoE8ElNS0_10empty_typeEbEEZZNS1_14partition_implILS5_8ELb0ES3_jPlPS6_PKS6_NS0_5tupleIJS9_S6_EEENSD_IJSA_SA_EEENS0_18inequality_wrapperIZN2at6native12_GLOBAL__N_124unique_dim_cuda_templateIN3c108BFloat16EEESt5tupleIJNSH_6TensorESO_SO_EERKSO_lbbbEUlllE0_EEPmJS6_EEE10hipError_tPvRmT3_T4_T5_T6_T7_T9_mT8_P12ihipStream_tbDpT10_ENKUlT_T0_E_clISt17integral_constantIbLb1EES1E_EEDaS19_S1A_EUlS19_E_NS1_11comp_targetILNS1_3genE4ELNS1_11target_archE910ELNS1_3gpuE8ELNS1_3repE0EEENS1_30default_config_static_selectorELNS0_4arch9wavefront6targetE1EEEvT1_, .Lfunc_end1183-_ZN7rocprim17ROCPRIM_400000_NS6detail17trampoline_kernelINS0_14default_configENS1_25partition_config_selectorILNS1_17partition_subalgoE8ElNS0_10empty_typeEbEEZZNS1_14partition_implILS5_8ELb0ES3_jPlPS6_PKS6_NS0_5tupleIJS9_S6_EEENSD_IJSA_SA_EEENS0_18inequality_wrapperIZN2at6native12_GLOBAL__N_124unique_dim_cuda_templateIN3c108BFloat16EEESt5tupleIJNSH_6TensorESO_SO_EERKSO_lbbbEUlllE0_EEPmJS6_EEE10hipError_tPvRmT3_T4_T5_T6_T7_T9_mT8_P12ihipStream_tbDpT10_ENKUlT_T0_E_clISt17integral_constantIbLb1EES1E_EEDaS19_S1A_EUlS19_E_NS1_11comp_targetILNS1_3genE4ELNS1_11target_archE910ELNS1_3gpuE8ELNS1_3repE0EEENS1_30default_config_static_selectorELNS0_4arch9wavefront6targetE1EEEvT1_
                                        ; -- End function
	.section	.AMDGPU.csdata,"",@progbits
; Kernel info:
; codeLenInByte = 12132
; NumSgprs: 56
; NumVgprs: 46
; NumAgprs: 0
; TotalNumVgprs: 46
; ScratchSize: 0
; MemoryBound: 0
; FloatMode: 240
; IeeeMode: 1
; LDSByteSize: 10252 bytes/workgroup (compile time only)
; SGPRBlocks: 6
; VGPRBlocks: 5
; NumSGPRsForWavesPerEU: 56
; NumVGPRsForWavesPerEU: 46
; AccumOffset: 48
; Occupancy: 6
; WaveLimiterHint : 1
; COMPUTE_PGM_RSRC2:SCRATCH_EN: 0
; COMPUTE_PGM_RSRC2:USER_SGPR: 6
; COMPUTE_PGM_RSRC2:TRAP_HANDLER: 0
; COMPUTE_PGM_RSRC2:TGID_X_EN: 1
; COMPUTE_PGM_RSRC2:TGID_Y_EN: 0
; COMPUTE_PGM_RSRC2:TGID_Z_EN: 0
; COMPUTE_PGM_RSRC2:TIDIG_COMP_CNT: 0
; COMPUTE_PGM_RSRC3_GFX90A:ACCUM_OFFSET: 11
; COMPUTE_PGM_RSRC3_GFX90A:TG_SPLIT: 0
	.section	.text._ZN7rocprim17ROCPRIM_400000_NS6detail17trampoline_kernelINS0_14default_configENS1_25partition_config_selectorILNS1_17partition_subalgoE8ElNS0_10empty_typeEbEEZZNS1_14partition_implILS5_8ELb0ES3_jPlPS6_PKS6_NS0_5tupleIJS9_S6_EEENSD_IJSA_SA_EEENS0_18inequality_wrapperIZN2at6native12_GLOBAL__N_124unique_dim_cuda_templateIN3c108BFloat16EEESt5tupleIJNSH_6TensorESO_SO_EERKSO_lbbbEUlllE0_EEPmJS6_EEE10hipError_tPvRmT3_T4_T5_T6_T7_T9_mT8_P12ihipStream_tbDpT10_ENKUlT_T0_E_clISt17integral_constantIbLb1EES1E_EEDaS19_S1A_EUlS19_E_NS1_11comp_targetILNS1_3genE3ELNS1_11target_archE908ELNS1_3gpuE7ELNS1_3repE0EEENS1_30default_config_static_selectorELNS0_4arch9wavefront6targetE1EEEvT1_,"axG",@progbits,_ZN7rocprim17ROCPRIM_400000_NS6detail17trampoline_kernelINS0_14default_configENS1_25partition_config_selectorILNS1_17partition_subalgoE8ElNS0_10empty_typeEbEEZZNS1_14partition_implILS5_8ELb0ES3_jPlPS6_PKS6_NS0_5tupleIJS9_S6_EEENSD_IJSA_SA_EEENS0_18inequality_wrapperIZN2at6native12_GLOBAL__N_124unique_dim_cuda_templateIN3c108BFloat16EEESt5tupleIJNSH_6TensorESO_SO_EERKSO_lbbbEUlllE0_EEPmJS6_EEE10hipError_tPvRmT3_T4_T5_T6_T7_T9_mT8_P12ihipStream_tbDpT10_ENKUlT_T0_E_clISt17integral_constantIbLb1EES1E_EEDaS19_S1A_EUlS19_E_NS1_11comp_targetILNS1_3genE3ELNS1_11target_archE908ELNS1_3gpuE7ELNS1_3repE0EEENS1_30default_config_static_selectorELNS0_4arch9wavefront6targetE1EEEvT1_,comdat
	.globl	_ZN7rocprim17ROCPRIM_400000_NS6detail17trampoline_kernelINS0_14default_configENS1_25partition_config_selectorILNS1_17partition_subalgoE8ElNS0_10empty_typeEbEEZZNS1_14partition_implILS5_8ELb0ES3_jPlPS6_PKS6_NS0_5tupleIJS9_S6_EEENSD_IJSA_SA_EEENS0_18inequality_wrapperIZN2at6native12_GLOBAL__N_124unique_dim_cuda_templateIN3c108BFloat16EEESt5tupleIJNSH_6TensorESO_SO_EERKSO_lbbbEUlllE0_EEPmJS6_EEE10hipError_tPvRmT3_T4_T5_T6_T7_T9_mT8_P12ihipStream_tbDpT10_ENKUlT_T0_E_clISt17integral_constantIbLb1EES1E_EEDaS19_S1A_EUlS19_E_NS1_11comp_targetILNS1_3genE3ELNS1_11target_archE908ELNS1_3gpuE7ELNS1_3repE0EEENS1_30default_config_static_selectorELNS0_4arch9wavefront6targetE1EEEvT1_ ; -- Begin function _ZN7rocprim17ROCPRIM_400000_NS6detail17trampoline_kernelINS0_14default_configENS1_25partition_config_selectorILNS1_17partition_subalgoE8ElNS0_10empty_typeEbEEZZNS1_14partition_implILS5_8ELb0ES3_jPlPS6_PKS6_NS0_5tupleIJS9_S6_EEENSD_IJSA_SA_EEENS0_18inequality_wrapperIZN2at6native12_GLOBAL__N_124unique_dim_cuda_templateIN3c108BFloat16EEESt5tupleIJNSH_6TensorESO_SO_EERKSO_lbbbEUlllE0_EEPmJS6_EEE10hipError_tPvRmT3_T4_T5_T6_T7_T9_mT8_P12ihipStream_tbDpT10_ENKUlT_T0_E_clISt17integral_constantIbLb1EES1E_EEDaS19_S1A_EUlS19_E_NS1_11comp_targetILNS1_3genE3ELNS1_11target_archE908ELNS1_3gpuE7ELNS1_3repE0EEENS1_30default_config_static_selectorELNS0_4arch9wavefront6targetE1EEEvT1_
	.p2align	8
	.type	_ZN7rocprim17ROCPRIM_400000_NS6detail17trampoline_kernelINS0_14default_configENS1_25partition_config_selectorILNS1_17partition_subalgoE8ElNS0_10empty_typeEbEEZZNS1_14partition_implILS5_8ELb0ES3_jPlPS6_PKS6_NS0_5tupleIJS9_S6_EEENSD_IJSA_SA_EEENS0_18inequality_wrapperIZN2at6native12_GLOBAL__N_124unique_dim_cuda_templateIN3c108BFloat16EEESt5tupleIJNSH_6TensorESO_SO_EERKSO_lbbbEUlllE0_EEPmJS6_EEE10hipError_tPvRmT3_T4_T5_T6_T7_T9_mT8_P12ihipStream_tbDpT10_ENKUlT_T0_E_clISt17integral_constantIbLb1EES1E_EEDaS19_S1A_EUlS19_E_NS1_11comp_targetILNS1_3genE3ELNS1_11target_archE908ELNS1_3gpuE7ELNS1_3repE0EEENS1_30default_config_static_selectorELNS0_4arch9wavefront6targetE1EEEvT1_,@function
_ZN7rocprim17ROCPRIM_400000_NS6detail17trampoline_kernelINS0_14default_configENS1_25partition_config_selectorILNS1_17partition_subalgoE8ElNS0_10empty_typeEbEEZZNS1_14partition_implILS5_8ELb0ES3_jPlPS6_PKS6_NS0_5tupleIJS9_S6_EEENSD_IJSA_SA_EEENS0_18inequality_wrapperIZN2at6native12_GLOBAL__N_124unique_dim_cuda_templateIN3c108BFloat16EEESt5tupleIJNSH_6TensorESO_SO_EERKSO_lbbbEUlllE0_EEPmJS6_EEE10hipError_tPvRmT3_T4_T5_T6_T7_T9_mT8_P12ihipStream_tbDpT10_ENKUlT_T0_E_clISt17integral_constantIbLb1EES1E_EEDaS19_S1A_EUlS19_E_NS1_11comp_targetILNS1_3genE3ELNS1_11target_archE908ELNS1_3gpuE7ELNS1_3repE0EEENS1_30default_config_static_selectorELNS0_4arch9wavefront6targetE1EEEvT1_: ; @_ZN7rocprim17ROCPRIM_400000_NS6detail17trampoline_kernelINS0_14default_configENS1_25partition_config_selectorILNS1_17partition_subalgoE8ElNS0_10empty_typeEbEEZZNS1_14partition_implILS5_8ELb0ES3_jPlPS6_PKS6_NS0_5tupleIJS9_S6_EEENSD_IJSA_SA_EEENS0_18inequality_wrapperIZN2at6native12_GLOBAL__N_124unique_dim_cuda_templateIN3c108BFloat16EEESt5tupleIJNSH_6TensorESO_SO_EERKSO_lbbbEUlllE0_EEPmJS6_EEE10hipError_tPvRmT3_T4_T5_T6_T7_T9_mT8_P12ihipStream_tbDpT10_ENKUlT_T0_E_clISt17integral_constantIbLb1EES1E_EEDaS19_S1A_EUlS19_E_NS1_11comp_targetILNS1_3genE3ELNS1_11target_archE908ELNS1_3gpuE7ELNS1_3repE0EEENS1_30default_config_static_selectorELNS0_4arch9wavefront6targetE1EEEvT1_
; %bb.0:
	.section	.rodata,"a",@progbits
	.p2align	6, 0x0
	.amdhsa_kernel _ZN7rocprim17ROCPRIM_400000_NS6detail17trampoline_kernelINS0_14default_configENS1_25partition_config_selectorILNS1_17partition_subalgoE8ElNS0_10empty_typeEbEEZZNS1_14partition_implILS5_8ELb0ES3_jPlPS6_PKS6_NS0_5tupleIJS9_S6_EEENSD_IJSA_SA_EEENS0_18inequality_wrapperIZN2at6native12_GLOBAL__N_124unique_dim_cuda_templateIN3c108BFloat16EEESt5tupleIJNSH_6TensorESO_SO_EERKSO_lbbbEUlllE0_EEPmJS6_EEE10hipError_tPvRmT3_T4_T5_T6_T7_T9_mT8_P12ihipStream_tbDpT10_ENKUlT_T0_E_clISt17integral_constantIbLb1EES1E_EEDaS19_S1A_EUlS19_E_NS1_11comp_targetILNS1_3genE3ELNS1_11target_archE908ELNS1_3gpuE7ELNS1_3repE0EEENS1_30default_config_static_selectorELNS0_4arch9wavefront6targetE1EEEvT1_
		.amdhsa_group_segment_fixed_size 0
		.amdhsa_private_segment_fixed_size 0
		.amdhsa_kernarg_size 136
		.amdhsa_user_sgpr_count 6
		.amdhsa_user_sgpr_private_segment_buffer 1
		.amdhsa_user_sgpr_dispatch_ptr 0
		.amdhsa_user_sgpr_queue_ptr 0
		.amdhsa_user_sgpr_kernarg_segment_ptr 1
		.amdhsa_user_sgpr_dispatch_id 0
		.amdhsa_user_sgpr_flat_scratch_init 0
		.amdhsa_user_sgpr_kernarg_preload_length 0
		.amdhsa_user_sgpr_kernarg_preload_offset 0
		.amdhsa_user_sgpr_private_segment_size 0
		.amdhsa_uses_dynamic_stack 0
		.amdhsa_system_sgpr_private_segment_wavefront_offset 0
		.amdhsa_system_sgpr_workgroup_id_x 1
		.amdhsa_system_sgpr_workgroup_id_y 0
		.amdhsa_system_sgpr_workgroup_id_z 0
		.amdhsa_system_sgpr_workgroup_info 0
		.amdhsa_system_vgpr_workitem_id 0
		.amdhsa_next_free_vgpr 1
		.amdhsa_next_free_sgpr 0
		.amdhsa_accum_offset 4
		.amdhsa_reserve_vcc 0
		.amdhsa_reserve_flat_scratch 0
		.amdhsa_float_round_mode_32 0
		.amdhsa_float_round_mode_16_64 0
		.amdhsa_float_denorm_mode_32 3
		.amdhsa_float_denorm_mode_16_64 3
		.amdhsa_dx10_clamp 1
		.amdhsa_ieee_mode 1
		.amdhsa_fp16_overflow 0
		.amdhsa_tg_split 0
		.amdhsa_exception_fp_ieee_invalid_op 0
		.amdhsa_exception_fp_denorm_src 0
		.amdhsa_exception_fp_ieee_div_zero 0
		.amdhsa_exception_fp_ieee_overflow 0
		.amdhsa_exception_fp_ieee_underflow 0
		.amdhsa_exception_fp_ieee_inexact 0
		.amdhsa_exception_int_div_zero 0
	.end_amdhsa_kernel
	.section	.text._ZN7rocprim17ROCPRIM_400000_NS6detail17trampoline_kernelINS0_14default_configENS1_25partition_config_selectorILNS1_17partition_subalgoE8ElNS0_10empty_typeEbEEZZNS1_14partition_implILS5_8ELb0ES3_jPlPS6_PKS6_NS0_5tupleIJS9_S6_EEENSD_IJSA_SA_EEENS0_18inequality_wrapperIZN2at6native12_GLOBAL__N_124unique_dim_cuda_templateIN3c108BFloat16EEESt5tupleIJNSH_6TensorESO_SO_EERKSO_lbbbEUlllE0_EEPmJS6_EEE10hipError_tPvRmT3_T4_T5_T6_T7_T9_mT8_P12ihipStream_tbDpT10_ENKUlT_T0_E_clISt17integral_constantIbLb1EES1E_EEDaS19_S1A_EUlS19_E_NS1_11comp_targetILNS1_3genE3ELNS1_11target_archE908ELNS1_3gpuE7ELNS1_3repE0EEENS1_30default_config_static_selectorELNS0_4arch9wavefront6targetE1EEEvT1_,"axG",@progbits,_ZN7rocprim17ROCPRIM_400000_NS6detail17trampoline_kernelINS0_14default_configENS1_25partition_config_selectorILNS1_17partition_subalgoE8ElNS0_10empty_typeEbEEZZNS1_14partition_implILS5_8ELb0ES3_jPlPS6_PKS6_NS0_5tupleIJS9_S6_EEENSD_IJSA_SA_EEENS0_18inequality_wrapperIZN2at6native12_GLOBAL__N_124unique_dim_cuda_templateIN3c108BFloat16EEESt5tupleIJNSH_6TensorESO_SO_EERKSO_lbbbEUlllE0_EEPmJS6_EEE10hipError_tPvRmT3_T4_T5_T6_T7_T9_mT8_P12ihipStream_tbDpT10_ENKUlT_T0_E_clISt17integral_constantIbLb1EES1E_EEDaS19_S1A_EUlS19_E_NS1_11comp_targetILNS1_3genE3ELNS1_11target_archE908ELNS1_3gpuE7ELNS1_3repE0EEENS1_30default_config_static_selectorELNS0_4arch9wavefront6targetE1EEEvT1_,comdat
.Lfunc_end1184:
	.size	_ZN7rocprim17ROCPRIM_400000_NS6detail17trampoline_kernelINS0_14default_configENS1_25partition_config_selectorILNS1_17partition_subalgoE8ElNS0_10empty_typeEbEEZZNS1_14partition_implILS5_8ELb0ES3_jPlPS6_PKS6_NS0_5tupleIJS9_S6_EEENSD_IJSA_SA_EEENS0_18inequality_wrapperIZN2at6native12_GLOBAL__N_124unique_dim_cuda_templateIN3c108BFloat16EEESt5tupleIJNSH_6TensorESO_SO_EERKSO_lbbbEUlllE0_EEPmJS6_EEE10hipError_tPvRmT3_T4_T5_T6_T7_T9_mT8_P12ihipStream_tbDpT10_ENKUlT_T0_E_clISt17integral_constantIbLb1EES1E_EEDaS19_S1A_EUlS19_E_NS1_11comp_targetILNS1_3genE3ELNS1_11target_archE908ELNS1_3gpuE7ELNS1_3repE0EEENS1_30default_config_static_selectorELNS0_4arch9wavefront6targetE1EEEvT1_, .Lfunc_end1184-_ZN7rocprim17ROCPRIM_400000_NS6detail17trampoline_kernelINS0_14default_configENS1_25partition_config_selectorILNS1_17partition_subalgoE8ElNS0_10empty_typeEbEEZZNS1_14partition_implILS5_8ELb0ES3_jPlPS6_PKS6_NS0_5tupleIJS9_S6_EEENSD_IJSA_SA_EEENS0_18inequality_wrapperIZN2at6native12_GLOBAL__N_124unique_dim_cuda_templateIN3c108BFloat16EEESt5tupleIJNSH_6TensorESO_SO_EERKSO_lbbbEUlllE0_EEPmJS6_EEE10hipError_tPvRmT3_T4_T5_T6_T7_T9_mT8_P12ihipStream_tbDpT10_ENKUlT_T0_E_clISt17integral_constantIbLb1EES1E_EEDaS19_S1A_EUlS19_E_NS1_11comp_targetILNS1_3genE3ELNS1_11target_archE908ELNS1_3gpuE7ELNS1_3repE0EEENS1_30default_config_static_selectorELNS0_4arch9wavefront6targetE1EEEvT1_
                                        ; -- End function
	.section	.AMDGPU.csdata,"",@progbits
; Kernel info:
; codeLenInByte = 0
; NumSgprs: 4
; NumVgprs: 0
; NumAgprs: 0
; TotalNumVgprs: 0
; ScratchSize: 0
; MemoryBound: 0
; FloatMode: 240
; IeeeMode: 1
; LDSByteSize: 0 bytes/workgroup (compile time only)
; SGPRBlocks: 0
; VGPRBlocks: 0
; NumSGPRsForWavesPerEU: 4
; NumVGPRsForWavesPerEU: 1
; AccumOffset: 4
; Occupancy: 8
; WaveLimiterHint : 0
; COMPUTE_PGM_RSRC2:SCRATCH_EN: 0
; COMPUTE_PGM_RSRC2:USER_SGPR: 6
; COMPUTE_PGM_RSRC2:TRAP_HANDLER: 0
; COMPUTE_PGM_RSRC2:TGID_X_EN: 1
; COMPUTE_PGM_RSRC2:TGID_Y_EN: 0
; COMPUTE_PGM_RSRC2:TGID_Z_EN: 0
; COMPUTE_PGM_RSRC2:TIDIG_COMP_CNT: 0
; COMPUTE_PGM_RSRC3_GFX90A:ACCUM_OFFSET: 0
; COMPUTE_PGM_RSRC3_GFX90A:TG_SPLIT: 0
	.section	.text._ZN7rocprim17ROCPRIM_400000_NS6detail17trampoline_kernelINS0_14default_configENS1_25partition_config_selectorILNS1_17partition_subalgoE8ElNS0_10empty_typeEbEEZZNS1_14partition_implILS5_8ELb0ES3_jPlPS6_PKS6_NS0_5tupleIJS9_S6_EEENSD_IJSA_SA_EEENS0_18inequality_wrapperIZN2at6native12_GLOBAL__N_124unique_dim_cuda_templateIN3c108BFloat16EEESt5tupleIJNSH_6TensorESO_SO_EERKSO_lbbbEUlllE0_EEPmJS6_EEE10hipError_tPvRmT3_T4_T5_T6_T7_T9_mT8_P12ihipStream_tbDpT10_ENKUlT_T0_E_clISt17integral_constantIbLb1EES1E_EEDaS19_S1A_EUlS19_E_NS1_11comp_targetILNS1_3genE2ELNS1_11target_archE906ELNS1_3gpuE6ELNS1_3repE0EEENS1_30default_config_static_selectorELNS0_4arch9wavefront6targetE1EEEvT1_,"axG",@progbits,_ZN7rocprim17ROCPRIM_400000_NS6detail17trampoline_kernelINS0_14default_configENS1_25partition_config_selectorILNS1_17partition_subalgoE8ElNS0_10empty_typeEbEEZZNS1_14partition_implILS5_8ELb0ES3_jPlPS6_PKS6_NS0_5tupleIJS9_S6_EEENSD_IJSA_SA_EEENS0_18inequality_wrapperIZN2at6native12_GLOBAL__N_124unique_dim_cuda_templateIN3c108BFloat16EEESt5tupleIJNSH_6TensorESO_SO_EERKSO_lbbbEUlllE0_EEPmJS6_EEE10hipError_tPvRmT3_T4_T5_T6_T7_T9_mT8_P12ihipStream_tbDpT10_ENKUlT_T0_E_clISt17integral_constantIbLb1EES1E_EEDaS19_S1A_EUlS19_E_NS1_11comp_targetILNS1_3genE2ELNS1_11target_archE906ELNS1_3gpuE6ELNS1_3repE0EEENS1_30default_config_static_selectorELNS0_4arch9wavefront6targetE1EEEvT1_,comdat
	.globl	_ZN7rocprim17ROCPRIM_400000_NS6detail17trampoline_kernelINS0_14default_configENS1_25partition_config_selectorILNS1_17partition_subalgoE8ElNS0_10empty_typeEbEEZZNS1_14partition_implILS5_8ELb0ES3_jPlPS6_PKS6_NS0_5tupleIJS9_S6_EEENSD_IJSA_SA_EEENS0_18inequality_wrapperIZN2at6native12_GLOBAL__N_124unique_dim_cuda_templateIN3c108BFloat16EEESt5tupleIJNSH_6TensorESO_SO_EERKSO_lbbbEUlllE0_EEPmJS6_EEE10hipError_tPvRmT3_T4_T5_T6_T7_T9_mT8_P12ihipStream_tbDpT10_ENKUlT_T0_E_clISt17integral_constantIbLb1EES1E_EEDaS19_S1A_EUlS19_E_NS1_11comp_targetILNS1_3genE2ELNS1_11target_archE906ELNS1_3gpuE6ELNS1_3repE0EEENS1_30default_config_static_selectorELNS0_4arch9wavefront6targetE1EEEvT1_ ; -- Begin function _ZN7rocprim17ROCPRIM_400000_NS6detail17trampoline_kernelINS0_14default_configENS1_25partition_config_selectorILNS1_17partition_subalgoE8ElNS0_10empty_typeEbEEZZNS1_14partition_implILS5_8ELb0ES3_jPlPS6_PKS6_NS0_5tupleIJS9_S6_EEENSD_IJSA_SA_EEENS0_18inequality_wrapperIZN2at6native12_GLOBAL__N_124unique_dim_cuda_templateIN3c108BFloat16EEESt5tupleIJNSH_6TensorESO_SO_EERKSO_lbbbEUlllE0_EEPmJS6_EEE10hipError_tPvRmT3_T4_T5_T6_T7_T9_mT8_P12ihipStream_tbDpT10_ENKUlT_T0_E_clISt17integral_constantIbLb1EES1E_EEDaS19_S1A_EUlS19_E_NS1_11comp_targetILNS1_3genE2ELNS1_11target_archE906ELNS1_3gpuE6ELNS1_3repE0EEENS1_30default_config_static_selectorELNS0_4arch9wavefront6targetE1EEEvT1_
	.p2align	8
	.type	_ZN7rocprim17ROCPRIM_400000_NS6detail17trampoline_kernelINS0_14default_configENS1_25partition_config_selectorILNS1_17partition_subalgoE8ElNS0_10empty_typeEbEEZZNS1_14partition_implILS5_8ELb0ES3_jPlPS6_PKS6_NS0_5tupleIJS9_S6_EEENSD_IJSA_SA_EEENS0_18inequality_wrapperIZN2at6native12_GLOBAL__N_124unique_dim_cuda_templateIN3c108BFloat16EEESt5tupleIJNSH_6TensorESO_SO_EERKSO_lbbbEUlllE0_EEPmJS6_EEE10hipError_tPvRmT3_T4_T5_T6_T7_T9_mT8_P12ihipStream_tbDpT10_ENKUlT_T0_E_clISt17integral_constantIbLb1EES1E_EEDaS19_S1A_EUlS19_E_NS1_11comp_targetILNS1_3genE2ELNS1_11target_archE906ELNS1_3gpuE6ELNS1_3repE0EEENS1_30default_config_static_selectorELNS0_4arch9wavefront6targetE1EEEvT1_,@function
_ZN7rocprim17ROCPRIM_400000_NS6detail17trampoline_kernelINS0_14default_configENS1_25partition_config_selectorILNS1_17partition_subalgoE8ElNS0_10empty_typeEbEEZZNS1_14partition_implILS5_8ELb0ES3_jPlPS6_PKS6_NS0_5tupleIJS9_S6_EEENSD_IJSA_SA_EEENS0_18inequality_wrapperIZN2at6native12_GLOBAL__N_124unique_dim_cuda_templateIN3c108BFloat16EEESt5tupleIJNSH_6TensorESO_SO_EERKSO_lbbbEUlllE0_EEPmJS6_EEE10hipError_tPvRmT3_T4_T5_T6_T7_T9_mT8_P12ihipStream_tbDpT10_ENKUlT_T0_E_clISt17integral_constantIbLb1EES1E_EEDaS19_S1A_EUlS19_E_NS1_11comp_targetILNS1_3genE2ELNS1_11target_archE906ELNS1_3gpuE6ELNS1_3repE0EEENS1_30default_config_static_selectorELNS0_4arch9wavefront6targetE1EEEvT1_: ; @_ZN7rocprim17ROCPRIM_400000_NS6detail17trampoline_kernelINS0_14default_configENS1_25partition_config_selectorILNS1_17partition_subalgoE8ElNS0_10empty_typeEbEEZZNS1_14partition_implILS5_8ELb0ES3_jPlPS6_PKS6_NS0_5tupleIJS9_S6_EEENSD_IJSA_SA_EEENS0_18inequality_wrapperIZN2at6native12_GLOBAL__N_124unique_dim_cuda_templateIN3c108BFloat16EEESt5tupleIJNSH_6TensorESO_SO_EERKSO_lbbbEUlllE0_EEPmJS6_EEE10hipError_tPvRmT3_T4_T5_T6_T7_T9_mT8_P12ihipStream_tbDpT10_ENKUlT_T0_E_clISt17integral_constantIbLb1EES1E_EEDaS19_S1A_EUlS19_E_NS1_11comp_targetILNS1_3genE2ELNS1_11target_archE906ELNS1_3gpuE6ELNS1_3repE0EEENS1_30default_config_static_selectorELNS0_4arch9wavefront6targetE1EEEvT1_
; %bb.0:
	.section	.rodata,"a",@progbits
	.p2align	6, 0x0
	.amdhsa_kernel _ZN7rocprim17ROCPRIM_400000_NS6detail17trampoline_kernelINS0_14default_configENS1_25partition_config_selectorILNS1_17partition_subalgoE8ElNS0_10empty_typeEbEEZZNS1_14partition_implILS5_8ELb0ES3_jPlPS6_PKS6_NS0_5tupleIJS9_S6_EEENSD_IJSA_SA_EEENS0_18inequality_wrapperIZN2at6native12_GLOBAL__N_124unique_dim_cuda_templateIN3c108BFloat16EEESt5tupleIJNSH_6TensorESO_SO_EERKSO_lbbbEUlllE0_EEPmJS6_EEE10hipError_tPvRmT3_T4_T5_T6_T7_T9_mT8_P12ihipStream_tbDpT10_ENKUlT_T0_E_clISt17integral_constantIbLb1EES1E_EEDaS19_S1A_EUlS19_E_NS1_11comp_targetILNS1_3genE2ELNS1_11target_archE906ELNS1_3gpuE6ELNS1_3repE0EEENS1_30default_config_static_selectorELNS0_4arch9wavefront6targetE1EEEvT1_
		.amdhsa_group_segment_fixed_size 0
		.amdhsa_private_segment_fixed_size 0
		.amdhsa_kernarg_size 136
		.amdhsa_user_sgpr_count 6
		.amdhsa_user_sgpr_private_segment_buffer 1
		.amdhsa_user_sgpr_dispatch_ptr 0
		.amdhsa_user_sgpr_queue_ptr 0
		.amdhsa_user_sgpr_kernarg_segment_ptr 1
		.amdhsa_user_sgpr_dispatch_id 0
		.amdhsa_user_sgpr_flat_scratch_init 0
		.amdhsa_user_sgpr_kernarg_preload_length 0
		.amdhsa_user_sgpr_kernarg_preload_offset 0
		.amdhsa_user_sgpr_private_segment_size 0
		.amdhsa_uses_dynamic_stack 0
		.amdhsa_system_sgpr_private_segment_wavefront_offset 0
		.amdhsa_system_sgpr_workgroup_id_x 1
		.amdhsa_system_sgpr_workgroup_id_y 0
		.amdhsa_system_sgpr_workgroup_id_z 0
		.amdhsa_system_sgpr_workgroup_info 0
		.amdhsa_system_vgpr_workitem_id 0
		.amdhsa_next_free_vgpr 1
		.amdhsa_next_free_sgpr 0
		.amdhsa_accum_offset 4
		.amdhsa_reserve_vcc 0
		.amdhsa_reserve_flat_scratch 0
		.amdhsa_float_round_mode_32 0
		.amdhsa_float_round_mode_16_64 0
		.amdhsa_float_denorm_mode_32 3
		.amdhsa_float_denorm_mode_16_64 3
		.amdhsa_dx10_clamp 1
		.amdhsa_ieee_mode 1
		.amdhsa_fp16_overflow 0
		.amdhsa_tg_split 0
		.amdhsa_exception_fp_ieee_invalid_op 0
		.amdhsa_exception_fp_denorm_src 0
		.amdhsa_exception_fp_ieee_div_zero 0
		.amdhsa_exception_fp_ieee_overflow 0
		.amdhsa_exception_fp_ieee_underflow 0
		.amdhsa_exception_fp_ieee_inexact 0
		.amdhsa_exception_int_div_zero 0
	.end_amdhsa_kernel
	.section	.text._ZN7rocprim17ROCPRIM_400000_NS6detail17trampoline_kernelINS0_14default_configENS1_25partition_config_selectorILNS1_17partition_subalgoE8ElNS0_10empty_typeEbEEZZNS1_14partition_implILS5_8ELb0ES3_jPlPS6_PKS6_NS0_5tupleIJS9_S6_EEENSD_IJSA_SA_EEENS0_18inequality_wrapperIZN2at6native12_GLOBAL__N_124unique_dim_cuda_templateIN3c108BFloat16EEESt5tupleIJNSH_6TensorESO_SO_EERKSO_lbbbEUlllE0_EEPmJS6_EEE10hipError_tPvRmT3_T4_T5_T6_T7_T9_mT8_P12ihipStream_tbDpT10_ENKUlT_T0_E_clISt17integral_constantIbLb1EES1E_EEDaS19_S1A_EUlS19_E_NS1_11comp_targetILNS1_3genE2ELNS1_11target_archE906ELNS1_3gpuE6ELNS1_3repE0EEENS1_30default_config_static_selectorELNS0_4arch9wavefront6targetE1EEEvT1_,"axG",@progbits,_ZN7rocprim17ROCPRIM_400000_NS6detail17trampoline_kernelINS0_14default_configENS1_25partition_config_selectorILNS1_17partition_subalgoE8ElNS0_10empty_typeEbEEZZNS1_14partition_implILS5_8ELb0ES3_jPlPS6_PKS6_NS0_5tupleIJS9_S6_EEENSD_IJSA_SA_EEENS0_18inequality_wrapperIZN2at6native12_GLOBAL__N_124unique_dim_cuda_templateIN3c108BFloat16EEESt5tupleIJNSH_6TensorESO_SO_EERKSO_lbbbEUlllE0_EEPmJS6_EEE10hipError_tPvRmT3_T4_T5_T6_T7_T9_mT8_P12ihipStream_tbDpT10_ENKUlT_T0_E_clISt17integral_constantIbLb1EES1E_EEDaS19_S1A_EUlS19_E_NS1_11comp_targetILNS1_3genE2ELNS1_11target_archE906ELNS1_3gpuE6ELNS1_3repE0EEENS1_30default_config_static_selectorELNS0_4arch9wavefront6targetE1EEEvT1_,comdat
.Lfunc_end1185:
	.size	_ZN7rocprim17ROCPRIM_400000_NS6detail17trampoline_kernelINS0_14default_configENS1_25partition_config_selectorILNS1_17partition_subalgoE8ElNS0_10empty_typeEbEEZZNS1_14partition_implILS5_8ELb0ES3_jPlPS6_PKS6_NS0_5tupleIJS9_S6_EEENSD_IJSA_SA_EEENS0_18inequality_wrapperIZN2at6native12_GLOBAL__N_124unique_dim_cuda_templateIN3c108BFloat16EEESt5tupleIJNSH_6TensorESO_SO_EERKSO_lbbbEUlllE0_EEPmJS6_EEE10hipError_tPvRmT3_T4_T5_T6_T7_T9_mT8_P12ihipStream_tbDpT10_ENKUlT_T0_E_clISt17integral_constantIbLb1EES1E_EEDaS19_S1A_EUlS19_E_NS1_11comp_targetILNS1_3genE2ELNS1_11target_archE906ELNS1_3gpuE6ELNS1_3repE0EEENS1_30default_config_static_selectorELNS0_4arch9wavefront6targetE1EEEvT1_, .Lfunc_end1185-_ZN7rocprim17ROCPRIM_400000_NS6detail17trampoline_kernelINS0_14default_configENS1_25partition_config_selectorILNS1_17partition_subalgoE8ElNS0_10empty_typeEbEEZZNS1_14partition_implILS5_8ELb0ES3_jPlPS6_PKS6_NS0_5tupleIJS9_S6_EEENSD_IJSA_SA_EEENS0_18inequality_wrapperIZN2at6native12_GLOBAL__N_124unique_dim_cuda_templateIN3c108BFloat16EEESt5tupleIJNSH_6TensorESO_SO_EERKSO_lbbbEUlllE0_EEPmJS6_EEE10hipError_tPvRmT3_T4_T5_T6_T7_T9_mT8_P12ihipStream_tbDpT10_ENKUlT_T0_E_clISt17integral_constantIbLb1EES1E_EEDaS19_S1A_EUlS19_E_NS1_11comp_targetILNS1_3genE2ELNS1_11target_archE906ELNS1_3gpuE6ELNS1_3repE0EEENS1_30default_config_static_selectorELNS0_4arch9wavefront6targetE1EEEvT1_
                                        ; -- End function
	.section	.AMDGPU.csdata,"",@progbits
; Kernel info:
; codeLenInByte = 0
; NumSgprs: 4
; NumVgprs: 0
; NumAgprs: 0
; TotalNumVgprs: 0
; ScratchSize: 0
; MemoryBound: 0
; FloatMode: 240
; IeeeMode: 1
; LDSByteSize: 0 bytes/workgroup (compile time only)
; SGPRBlocks: 0
; VGPRBlocks: 0
; NumSGPRsForWavesPerEU: 4
; NumVGPRsForWavesPerEU: 1
; AccumOffset: 4
; Occupancy: 8
; WaveLimiterHint : 0
; COMPUTE_PGM_RSRC2:SCRATCH_EN: 0
; COMPUTE_PGM_RSRC2:USER_SGPR: 6
; COMPUTE_PGM_RSRC2:TRAP_HANDLER: 0
; COMPUTE_PGM_RSRC2:TGID_X_EN: 1
; COMPUTE_PGM_RSRC2:TGID_Y_EN: 0
; COMPUTE_PGM_RSRC2:TGID_Z_EN: 0
; COMPUTE_PGM_RSRC2:TIDIG_COMP_CNT: 0
; COMPUTE_PGM_RSRC3_GFX90A:ACCUM_OFFSET: 0
; COMPUTE_PGM_RSRC3_GFX90A:TG_SPLIT: 0
	.section	.text._ZN7rocprim17ROCPRIM_400000_NS6detail17trampoline_kernelINS0_14default_configENS1_25partition_config_selectorILNS1_17partition_subalgoE8ElNS0_10empty_typeEbEEZZNS1_14partition_implILS5_8ELb0ES3_jPlPS6_PKS6_NS0_5tupleIJS9_S6_EEENSD_IJSA_SA_EEENS0_18inequality_wrapperIZN2at6native12_GLOBAL__N_124unique_dim_cuda_templateIN3c108BFloat16EEESt5tupleIJNSH_6TensorESO_SO_EERKSO_lbbbEUlllE0_EEPmJS6_EEE10hipError_tPvRmT3_T4_T5_T6_T7_T9_mT8_P12ihipStream_tbDpT10_ENKUlT_T0_E_clISt17integral_constantIbLb1EES1E_EEDaS19_S1A_EUlS19_E_NS1_11comp_targetILNS1_3genE10ELNS1_11target_archE1200ELNS1_3gpuE4ELNS1_3repE0EEENS1_30default_config_static_selectorELNS0_4arch9wavefront6targetE1EEEvT1_,"axG",@progbits,_ZN7rocprim17ROCPRIM_400000_NS6detail17trampoline_kernelINS0_14default_configENS1_25partition_config_selectorILNS1_17partition_subalgoE8ElNS0_10empty_typeEbEEZZNS1_14partition_implILS5_8ELb0ES3_jPlPS6_PKS6_NS0_5tupleIJS9_S6_EEENSD_IJSA_SA_EEENS0_18inequality_wrapperIZN2at6native12_GLOBAL__N_124unique_dim_cuda_templateIN3c108BFloat16EEESt5tupleIJNSH_6TensorESO_SO_EERKSO_lbbbEUlllE0_EEPmJS6_EEE10hipError_tPvRmT3_T4_T5_T6_T7_T9_mT8_P12ihipStream_tbDpT10_ENKUlT_T0_E_clISt17integral_constantIbLb1EES1E_EEDaS19_S1A_EUlS19_E_NS1_11comp_targetILNS1_3genE10ELNS1_11target_archE1200ELNS1_3gpuE4ELNS1_3repE0EEENS1_30default_config_static_selectorELNS0_4arch9wavefront6targetE1EEEvT1_,comdat
	.globl	_ZN7rocprim17ROCPRIM_400000_NS6detail17trampoline_kernelINS0_14default_configENS1_25partition_config_selectorILNS1_17partition_subalgoE8ElNS0_10empty_typeEbEEZZNS1_14partition_implILS5_8ELb0ES3_jPlPS6_PKS6_NS0_5tupleIJS9_S6_EEENSD_IJSA_SA_EEENS0_18inequality_wrapperIZN2at6native12_GLOBAL__N_124unique_dim_cuda_templateIN3c108BFloat16EEESt5tupleIJNSH_6TensorESO_SO_EERKSO_lbbbEUlllE0_EEPmJS6_EEE10hipError_tPvRmT3_T4_T5_T6_T7_T9_mT8_P12ihipStream_tbDpT10_ENKUlT_T0_E_clISt17integral_constantIbLb1EES1E_EEDaS19_S1A_EUlS19_E_NS1_11comp_targetILNS1_3genE10ELNS1_11target_archE1200ELNS1_3gpuE4ELNS1_3repE0EEENS1_30default_config_static_selectorELNS0_4arch9wavefront6targetE1EEEvT1_ ; -- Begin function _ZN7rocprim17ROCPRIM_400000_NS6detail17trampoline_kernelINS0_14default_configENS1_25partition_config_selectorILNS1_17partition_subalgoE8ElNS0_10empty_typeEbEEZZNS1_14partition_implILS5_8ELb0ES3_jPlPS6_PKS6_NS0_5tupleIJS9_S6_EEENSD_IJSA_SA_EEENS0_18inequality_wrapperIZN2at6native12_GLOBAL__N_124unique_dim_cuda_templateIN3c108BFloat16EEESt5tupleIJNSH_6TensorESO_SO_EERKSO_lbbbEUlllE0_EEPmJS6_EEE10hipError_tPvRmT3_T4_T5_T6_T7_T9_mT8_P12ihipStream_tbDpT10_ENKUlT_T0_E_clISt17integral_constantIbLb1EES1E_EEDaS19_S1A_EUlS19_E_NS1_11comp_targetILNS1_3genE10ELNS1_11target_archE1200ELNS1_3gpuE4ELNS1_3repE0EEENS1_30default_config_static_selectorELNS0_4arch9wavefront6targetE1EEEvT1_
	.p2align	8
	.type	_ZN7rocprim17ROCPRIM_400000_NS6detail17trampoline_kernelINS0_14default_configENS1_25partition_config_selectorILNS1_17partition_subalgoE8ElNS0_10empty_typeEbEEZZNS1_14partition_implILS5_8ELb0ES3_jPlPS6_PKS6_NS0_5tupleIJS9_S6_EEENSD_IJSA_SA_EEENS0_18inequality_wrapperIZN2at6native12_GLOBAL__N_124unique_dim_cuda_templateIN3c108BFloat16EEESt5tupleIJNSH_6TensorESO_SO_EERKSO_lbbbEUlllE0_EEPmJS6_EEE10hipError_tPvRmT3_T4_T5_T6_T7_T9_mT8_P12ihipStream_tbDpT10_ENKUlT_T0_E_clISt17integral_constantIbLb1EES1E_EEDaS19_S1A_EUlS19_E_NS1_11comp_targetILNS1_3genE10ELNS1_11target_archE1200ELNS1_3gpuE4ELNS1_3repE0EEENS1_30default_config_static_selectorELNS0_4arch9wavefront6targetE1EEEvT1_,@function
_ZN7rocprim17ROCPRIM_400000_NS6detail17trampoline_kernelINS0_14default_configENS1_25partition_config_selectorILNS1_17partition_subalgoE8ElNS0_10empty_typeEbEEZZNS1_14partition_implILS5_8ELb0ES3_jPlPS6_PKS6_NS0_5tupleIJS9_S6_EEENSD_IJSA_SA_EEENS0_18inequality_wrapperIZN2at6native12_GLOBAL__N_124unique_dim_cuda_templateIN3c108BFloat16EEESt5tupleIJNSH_6TensorESO_SO_EERKSO_lbbbEUlllE0_EEPmJS6_EEE10hipError_tPvRmT3_T4_T5_T6_T7_T9_mT8_P12ihipStream_tbDpT10_ENKUlT_T0_E_clISt17integral_constantIbLb1EES1E_EEDaS19_S1A_EUlS19_E_NS1_11comp_targetILNS1_3genE10ELNS1_11target_archE1200ELNS1_3gpuE4ELNS1_3repE0EEENS1_30default_config_static_selectorELNS0_4arch9wavefront6targetE1EEEvT1_: ; @_ZN7rocprim17ROCPRIM_400000_NS6detail17trampoline_kernelINS0_14default_configENS1_25partition_config_selectorILNS1_17partition_subalgoE8ElNS0_10empty_typeEbEEZZNS1_14partition_implILS5_8ELb0ES3_jPlPS6_PKS6_NS0_5tupleIJS9_S6_EEENSD_IJSA_SA_EEENS0_18inequality_wrapperIZN2at6native12_GLOBAL__N_124unique_dim_cuda_templateIN3c108BFloat16EEESt5tupleIJNSH_6TensorESO_SO_EERKSO_lbbbEUlllE0_EEPmJS6_EEE10hipError_tPvRmT3_T4_T5_T6_T7_T9_mT8_P12ihipStream_tbDpT10_ENKUlT_T0_E_clISt17integral_constantIbLb1EES1E_EEDaS19_S1A_EUlS19_E_NS1_11comp_targetILNS1_3genE10ELNS1_11target_archE1200ELNS1_3gpuE4ELNS1_3repE0EEENS1_30default_config_static_selectorELNS0_4arch9wavefront6targetE1EEEvT1_
; %bb.0:
	.section	.rodata,"a",@progbits
	.p2align	6, 0x0
	.amdhsa_kernel _ZN7rocprim17ROCPRIM_400000_NS6detail17trampoline_kernelINS0_14default_configENS1_25partition_config_selectorILNS1_17partition_subalgoE8ElNS0_10empty_typeEbEEZZNS1_14partition_implILS5_8ELb0ES3_jPlPS6_PKS6_NS0_5tupleIJS9_S6_EEENSD_IJSA_SA_EEENS0_18inequality_wrapperIZN2at6native12_GLOBAL__N_124unique_dim_cuda_templateIN3c108BFloat16EEESt5tupleIJNSH_6TensorESO_SO_EERKSO_lbbbEUlllE0_EEPmJS6_EEE10hipError_tPvRmT3_T4_T5_T6_T7_T9_mT8_P12ihipStream_tbDpT10_ENKUlT_T0_E_clISt17integral_constantIbLb1EES1E_EEDaS19_S1A_EUlS19_E_NS1_11comp_targetILNS1_3genE10ELNS1_11target_archE1200ELNS1_3gpuE4ELNS1_3repE0EEENS1_30default_config_static_selectorELNS0_4arch9wavefront6targetE1EEEvT1_
		.amdhsa_group_segment_fixed_size 0
		.amdhsa_private_segment_fixed_size 0
		.amdhsa_kernarg_size 136
		.amdhsa_user_sgpr_count 6
		.amdhsa_user_sgpr_private_segment_buffer 1
		.amdhsa_user_sgpr_dispatch_ptr 0
		.amdhsa_user_sgpr_queue_ptr 0
		.amdhsa_user_sgpr_kernarg_segment_ptr 1
		.amdhsa_user_sgpr_dispatch_id 0
		.amdhsa_user_sgpr_flat_scratch_init 0
		.amdhsa_user_sgpr_kernarg_preload_length 0
		.amdhsa_user_sgpr_kernarg_preload_offset 0
		.amdhsa_user_sgpr_private_segment_size 0
		.amdhsa_uses_dynamic_stack 0
		.amdhsa_system_sgpr_private_segment_wavefront_offset 0
		.amdhsa_system_sgpr_workgroup_id_x 1
		.amdhsa_system_sgpr_workgroup_id_y 0
		.amdhsa_system_sgpr_workgroup_id_z 0
		.amdhsa_system_sgpr_workgroup_info 0
		.amdhsa_system_vgpr_workitem_id 0
		.amdhsa_next_free_vgpr 1
		.amdhsa_next_free_sgpr 0
		.amdhsa_accum_offset 4
		.amdhsa_reserve_vcc 0
		.amdhsa_reserve_flat_scratch 0
		.amdhsa_float_round_mode_32 0
		.amdhsa_float_round_mode_16_64 0
		.amdhsa_float_denorm_mode_32 3
		.amdhsa_float_denorm_mode_16_64 3
		.amdhsa_dx10_clamp 1
		.amdhsa_ieee_mode 1
		.amdhsa_fp16_overflow 0
		.amdhsa_tg_split 0
		.amdhsa_exception_fp_ieee_invalid_op 0
		.amdhsa_exception_fp_denorm_src 0
		.amdhsa_exception_fp_ieee_div_zero 0
		.amdhsa_exception_fp_ieee_overflow 0
		.amdhsa_exception_fp_ieee_underflow 0
		.amdhsa_exception_fp_ieee_inexact 0
		.amdhsa_exception_int_div_zero 0
	.end_amdhsa_kernel
	.section	.text._ZN7rocprim17ROCPRIM_400000_NS6detail17trampoline_kernelINS0_14default_configENS1_25partition_config_selectorILNS1_17partition_subalgoE8ElNS0_10empty_typeEbEEZZNS1_14partition_implILS5_8ELb0ES3_jPlPS6_PKS6_NS0_5tupleIJS9_S6_EEENSD_IJSA_SA_EEENS0_18inequality_wrapperIZN2at6native12_GLOBAL__N_124unique_dim_cuda_templateIN3c108BFloat16EEESt5tupleIJNSH_6TensorESO_SO_EERKSO_lbbbEUlllE0_EEPmJS6_EEE10hipError_tPvRmT3_T4_T5_T6_T7_T9_mT8_P12ihipStream_tbDpT10_ENKUlT_T0_E_clISt17integral_constantIbLb1EES1E_EEDaS19_S1A_EUlS19_E_NS1_11comp_targetILNS1_3genE10ELNS1_11target_archE1200ELNS1_3gpuE4ELNS1_3repE0EEENS1_30default_config_static_selectorELNS0_4arch9wavefront6targetE1EEEvT1_,"axG",@progbits,_ZN7rocprim17ROCPRIM_400000_NS6detail17trampoline_kernelINS0_14default_configENS1_25partition_config_selectorILNS1_17partition_subalgoE8ElNS0_10empty_typeEbEEZZNS1_14partition_implILS5_8ELb0ES3_jPlPS6_PKS6_NS0_5tupleIJS9_S6_EEENSD_IJSA_SA_EEENS0_18inequality_wrapperIZN2at6native12_GLOBAL__N_124unique_dim_cuda_templateIN3c108BFloat16EEESt5tupleIJNSH_6TensorESO_SO_EERKSO_lbbbEUlllE0_EEPmJS6_EEE10hipError_tPvRmT3_T4_T5_T6_T7_T9_mT8_P12ihipStream_tbDpT10_ENKUlT_T0_E_clISt17integral_constantIbLb1EES1E_EEDaS19_S1A_EUlS19_E_NS1_11comp_targetILNS1_3genE10ELNS1_11target_archE1200ELNS1_3gpuE4ELNS1_3repE0EEENS1_30default_config_static_selectorELNS0_4arch9wavefront6targetE1EEEvT1_,comdat
.Lfunc_end1186:
	.size	_ZN7rocprim17ROCPRIM_400000_NS6detail17trampoline_kernelINS0_14default_configENS1_25partition_config_selectorILNS1_17partition_subalgoE8ElNS0_10empty_typeEbEEZZNS1_14partition_implILS5_8ELb0ES3_jPlPS6_PKS6_NS0_5tupleIJS9_S6_EEENSD_IJSA_SA_EEENS0_18inequality_wrapperIZN2at6native12_GLOBAL__N_124unique_dim_cuda_templateIN3c108BFloat16EEESt5tupleIJNSH_6TensorESO_SO_EERKSO_lbbbEUlllE0_EEPmJS6_EEE10hipError_tPvRmT3_T4_T5_T6_T7_T9_mT8_P12ihipStream_tbDpT10_ENKUlT_T0_E_clISt17integral_constantIbLb1EES1E_EEDaS19_S1A_EUlS19_E_NS1_11comp_targetILNS1_3genE10ELNS1_11target_archE1200ELNS1_3gpuE4ELNS1_3repE0EEENS1_30default_config_static_selectorELNS0_4arch9wavefront6targetE1EEEvT1_, .Lfunc_end1186-_ZN7rocprim17ROCPRIM_400000_NS6detail17trampoline_kernelINS0_14default_configENS1_25partition_config_selectorILNS1_17partition_subalgoE8ElNS0_10empty_typeEbEEZZNS1_14partition_implILS5_8ELb0ES3_jPlPS6_PKS6_NS0_5tupleIJS9_S6_EEENSD_IJSA_SA_EEENS0_18inequality_wrapperIZN2at6native12_GLOBAL__N_124unique_dim_cuda_templateIN3c108BFloat16EEESt5tupleIJNSH_6TensorESO_SO_EERKSO_lbbbEUlllE0_EEPmJS6_EEE10hipError_tPvRmT3_T4_T5_T6_T7_T9_mT8_P12ihipStream_tbDpT10_ENKUlT_T0_E_clISt17integral_constantIbLb1EES1E_EEDaS19_S1A_EUlS19_E_NS1_11comp_targetILNS1_3genE10ELNS1_11target_archE1200ELNS1_3gpuE4ELNS1_3repE0EEENS1_30default_config_static_selectorELNS0_4arch9wavefront6targetE1EEEvT1_
                                        ; -- End function
	.section	.AMDGPU.csdata,"",@progbits
; Kernel info:
; codeLenInByte = 0
; NumSgprs: 4
; NumVgprs: 0
; NumAgprs: 0
; TotalNumVgprs: 0
; ScratchSize: 0
; MemoryBound: 0
; FloatMode: 240
; IeeeMode: 1
; LDSByteSize: 0 bytes/workgroup (compile time only)
; SGPRBlocks: 0
; VGPRBlocks: 0
; NumSGPRsForWavesPerEU: 4
; NumVGPRsForWavesPerEU: 1
; AccumOffset: 4
; Occupancy: 8
; WaveLimiterHint : 0
; COMPUTE_PGM_RSRC2:SCRATCH_EN: 0
; COMPUTE_PGM_RSRC2:USER_SGPR: 6
; COMPUTE_PGM_RSRC2:TRAP_HANDLER: 0
; COMPUTE_PGM_RSRC2:TGID_X_EN: 1
; COMPUTE_PGM_RSRC2:TGID_Y_EN: 0
; COMPUTE_PGM_RSRC2:TGID_Z_EN: 0
; COMPUTE_PGM_RSRC2:TIDIG_COMP_CNT: 0
; COMPUTE_PGM_RSRC3_GFX90A:ACCUM_OFFSET: 0
; COMPUTE_PGM_RSRC3_GFX90A:TG_SPLIT: 0
	.section	.text._ZN7rocprim17ROCPRIM_400000_NS6detail17trampoline_kernelINS0_14default_configENS1_25partition_config_selectorILNS1_17partition_subalgoE8ElNS0_10empty_typeEbEEZZNS1_14partition_implILS5_8ELb0ES3_jPlPS6_PKS6_NS0_5tupleIJS9_S6_EEENSD_IJSA_SA_EEENS0_18inequality_wrapperIZN2at6native12_GLOBAL__N_124unique_dim_cuda_templateIN3c108BFloat16EEESt5tupleIJNSH_6TensorESO_SO_EERKSO_lbbbEUlllE0_EEPmJS6_EEE10hipError_tPvRmT3_T4_T5_T6_T7_T9_mT8_P12ihipStream_tbDpT10_ENKUlT_T0_E_clISt17integral_constantIbLb1EES1E_EEDaS19_S1A_EUlS19_E_NS1_11comp_targetILNS1_3genE9ELNS1_11target_archE1100ELNS1_3gpuE3ELNS1_3repE0EEENS1_30default_config_static_selectorELNS0_4arch9wavefront6targetE1EEEvT1_,"axG",@progbits,_ZN7rocprim17ROCPRIM_400000_NS6detail17trampoline_kernelINS0_14default_configENS1_25partition_config_selectorILNS1_17partition_subalgoE8ElNS0_10empty_typeEbEEZZNS1_14partition_implILS5_8ELb0ES3_jPlPS6_PKS6_NS0_5tupleIJS9_S6_EEENSD_IJSA_SA_EEENS0_18inequality_wrapperIZN2at6native12_GLOBAL__N_124unique_dim_cuda_templateIN3c108BFloat16EEESt5tupleIJNSH_6TensorESO_SO_EERKSO_lbbbEUlllE0_EEPmJS6_EEE10hipError_tPvRmT3_T4_T5_T6_T7_T9_mT8_P12ihipStream_tbDpT10_ENKUlT_T0_E_clISt17integral_constantIbLb1EES1E_EEDaS19_S1A_EUlS19_E_NS1_11comp_targetILNS1_3genE9ELNS1_11target_archE1100ELNS1_3gpuE3ELNS1_3repE0EEENS1_30default_config_static_selectorELNS0_4arch9wavefront6targetE1EEEvT1_,comdat
	.globl	_ZN7rocprim17ROCPRIM_400000_NS6detail17trampoline_kernelINS0_14default_configENS1_25partition_config_selectorILNS1_17partition_subalgoE8ElNS0_10empty_typeEbEEZZNS1_14partition_implILS5_8ELb0ES3_jPlPS6_PKS6_NS0_5tupleIJS9_S6_EEENSD_IJSA_SA_EEENS0_18inequality_wrapperIZN2at6native12_GLOBAL__N_124unique_dim_cuda_templateIN3c108BFloat16EEESt5tupleIJNSH_6TensorESO_SO_EERKSO_lbbbEUlllE0_EEPmJS6_EEE10hipError_tPvRmT3_T4_T5_T6_T7_T9_mT8_P12ihipStream_tbDpT10_ENKUlT_T0_E_clISt17integral_constantIbLb1EES1E_EEDaS19_S1A_EUlS19_E_NS1_11comp_targetILNS1_3genE9ELNS1_11target_archE1100ELNS1_3gpuE3ELNS1_3repE0EEENS1_30default_config_static_selectorELNS0_4arch9wavefront6targetE1EEEvT1_ ; -- Begin function _ZN7rocprim17ROCPRIM_400000_NS6detail17trampoline_kernelINS0_14default_configENS1_25partition_config_selectorILNS1_17partition_subalgoE8ElNS0_10empty_typeEbEEZZNS1_14partition_implILS5_8ELb0ES3_jPlPS6_PKS6_NS0_5tupleIJS9_S6_EEENSD_IJSA_SA_EEENS0_18inequality_wrapperIZN2at6native12_GLOBAL__N_124unique_dim_cuda_templateIN3c108BFloat16EEESt5tupleIJNSH_6TensorESO_SO_EERKSO_lbbbEUlllE0_EEPmJS6_EEE10hipError_tPvRmT3_T4_T5_T6_T7_T9_mT8_P12ihipStream_tbDpT10_ENKUlT_T0_E_clISt17integral_constantIbLb1EES1E_EEDaS19_S1A_EUlS19_E_NS1_11comp_targetILNS1_3genE9ELNS1_11target_archE1100ELNS1_3gpuE3ELNS1_3repE0EEENS1_30default_config_static_selectorELNS0_4arch9wavefront6targetE1EEEvT1_
	.p2align	8
	.type	_ZN7rocprim17ROCPRIM_400000_NS6detail17trampoline_kernelINS0_14default_configENS1_25partition_config_selectorILNS1_17partition_subalgoE8ElNS0_10empty_typeEbEEZZNS1_14partition_implILS5_8ELb0ES3_jPlPS6_PKS6_NS0_5tupleIJS9_S6_EEENSD_IJSA_SA_EEENS0_18inequality_wrapperIZN2at6native12_GLOBAL__N_124unique_dim_cuda_templateIN3c108BFloat16EEESt5tupleIJNSH_6TensorESO_SO_EERKSO_lbbbEUlllE0_EEPmJS6_EEE10hipError_tPvRmT3_T4_T5_T6_T7_T9_mT8_P12ihipStream_tbDpT10_ENKUlT_T0_E_clISt17integral_constantIbLb1EES1E_EEDaS19_S1A_EUlS19_E_NS1_11comp_targetILNS1_3genE9ELNS1_11target_archE1100ELNS1_3gpuE3ELNS1_3repE0EEENS1_30default_config_static_selectorELNS0_4arch9wavefront6targetE1EEEvT1_,@function
_ZN7rocprim17ROCPRIM_400000_NS6detail17trampoline_kernelINS0_14default_configENS1_25partition_config_selectorILNS1_17partition_subalgoE8ElNS0_10empty_typeEbEEZZNS1_14partition_implILS5_8ELb0ES3_jPlPS6_PKS6_NS0_5tupleIJS9_S6_EEENSD_IJSA_SA_EEENS0_18inequality_wrapperIZN2at6native12_GLOBAL__N_124unique_dim_cuda_templateIN3c108BFloat16EEESt5tupleIJNSH_6TensorESO_SO_EERKSO_lbbbEUlllE0_EEPmJS6_EEE10hipError_tPvRmT3_T4_T5_T6_T7_T9_mT8_P12ihipStream_tbDpT10_ENKUlT_T0_E_clISt17integral_constantIbLb1EES1E_EEDaS19_S1A_EUlS19_E_NS1_11comp_targetILNS1_3genE9ELNS1_11target_archE1100ELNS1_3gpuE3ELNS1_3repE0EEENS1_30default_config_static_selectorELNS0_4arch9wavefront6targetE1EEEvT1_: ; @_ZN7rocprim17ROCPRIM_400000_NS6detail17trampoline_kernelINS0_14default_configENS1_25partition_config_selectorILNS1_17partition_subalgoE8ElNS0_10empty_typeEbEEZZNS1_14partition_implILS5_8ELb0ES3_jPlPS6_PKS6_NS0_5tupleIJS9_S6_EEENSD_IJSA_SA_EEENS0_18inequality_wrapperIZN2at6native12_GLOBAL__N_124unique_dim_cuda_templateIN3c108BFloat16EEESt5tupleIJNSH_6TensorESO_SO_EERKSO_lbbbEUlllE0_EEPmJS6_EEE10hipError_tPvRmT3_T4_T5_T6_T7_T9_mT8_P12ihipStream_tbDpT10_ENKUlT_T0_E_clISt17integral_constantIbLb1EES1E_EEDaS19_S1A_EUlS19_E_NS1_11comp_targetILNS1_3genE9ELNS1_11target_archE1100ELNS1_3gpuE3ELNS1_3repE0EEENS1_30default_config_static_selectorELNS0_4arch9wavefront6targetE1EEEvT1_
; %bb.0:
	.section	.rodata,"a",@progbits
	.p2align	6, 0x0
	.amdhsa_kernel _ZN7rocprim17ROCPRIM_400000_NS6detail17trampoline_kernelINS0_14default_configENS1_25partition_config_selectorILNS1_17partition_subalgoE8ElNS0_10empty_typeEbEEZZNS1_14partition_implILS5_8ELb0ES3_jPlPS6_PKS6_NS0_5tupleIJS9_S6_EEENSD_IJSA_SA_EEENS0_18inequality_wrapperIZN2at6native12_GLOBAL__N_124unique_dim_cuda_templateIN3c108BFloat16EEESt5tupleIJNSH_6TensorESO_SO_EERKSO_lbbbEUlllE0_EEPmJS6_EEE10hipError_tPvRmT3_T4_T5_T6_T7_T9_mT8_P12ihipStream_tbDpT10_ENKUlT_T0_E_clISt17integral_constantIbLb1EES1E_EEDaS19_S1A_EUlS19_E_NS1_11comp_targetILNS1_3genE9ELNS1_11target_archE1100ELNS1_3gpuE3ELNS1_3repE0EEENS1_30default_config_static_selectorELNS0_4arch9wavefront6targetE1EEEvT1_
		.amdhsa_group_segment_fixed_size 0
		.amdhsa_private_segment_fixed_size 0
		.amdhsa_kernarg_size 136
		.amdhsa_user_sgpr_count 6
		.amdhsa_user_sgpr_private_segment_buffer 1
		.amdhsa_user_sgpr_dispatch_ptr 0
		.amdhsa_user_sgpr_queue_ptr 0
		.amdhsa_user_sgpr_kernarg_segment_ptr 1
		.amdhsa_user_sgpr_dispatch_id 0
		.amdhsa_user_sgpr_flat_scratch_init 0
		.amdhsa_user_sgpr_kernarg_preload_length 0
		.amdhsa_user_sgpr_kernarg_preload_offset 0
		.amdhsa_user_sgpr_private_segment_size 0
		.amdhsa_uses_dynamic_stack 0
		.amdhsa_system_sgpr_private_segment_wavefront_offset 0
		.amdhsa_system_sgpr_workgroup_id_x 1
		.amdhsa_system_sgpr_workgroup_id_y 0
		.amdhsa_system_sgpr_workgroup_id_z 0
		.amdhsa_system_sgpr_workgroup_info 0
		.amdhsa_system_vgpr_workitem_id 0
		.amdhsa_next_free_vgpr 1
		.amdhsa_next_free_sgpr 0
		.amdhsa_accum_offset 4
		.amdhsa_reserve_vcc 0
		.amdhsa_reserve_flat_scratch 0
		.amdhsa_float_round_mode_32 0
		.amdhsa_float_round_mode_16_64 0
		.amdhsa_float_denorm_mode_32 3
		.amdhsa_float_denorm_mode_16_64 3
		.amdhsa_dx10_clamp 1
		.amdhsa_ieee_mode 1
		.amdhsa_fp16_overflow 0
		.amdhsa_tg_split 0
		.amdhsa_exception_fp_ieee_invalid_op 0
		.amdhsa_exception_fp_denorm_src 0
		.amdhsa_exception_fp_ieee_div_zero 0
		.amdhsa_exception_fp_ieee_overflow 0
		.amdhsa_exception_fp_ieee_underflow 0
		.amdhsa_exception_fp_ieee_inexact 0
		.amdhsa_exception_int_div_zero 0
	.end_amdhsa_kernel
	.section	.text._ZN7rocprim17ROCPRIM_400000_NS6detail17trampoline_kernelINS0_14default_configENS1_25partition_config_selectorILNS1_17partition_subalgoE8ElNS0_10empty_typeEbEEZZNS1_14partition_implILS5_8ELb0ES3_jPlPS6_PKS6_NS0_5tupleIJS9_S6_EEENSD_IJSA_SA_EEENS0_18inequality_wrapperIZN2at6native12_GLOBAL__N_124unique_dim_cuda_templateIN3c108BFloat16EEESt5tupleIJNSH_6TensorESO_SO_EERKSO_lbbbEUlllE0_EEPmJS6_EEE10hipError_tPvRmT3_T4_T5_T6_T7_T9_mT8_P12ihipStream_tbDpT10_ENKUlT_T0_E_clISt17integral_constantIbLb1EES1E_EEDaS19_S1A_EUlS19_E_NS1_11comp_targetILNS1_3genE9ELNS1_11target_archE1100ELNS1_3gpuE3ELNS1_3repE0EEENS1_30default_config_static_selectorELNS0_4arch9wavefront6targetE1EEEvT1_,"axG",@progbits,_ZN7rocprim17ROCPRIM_400000_NS6detail17trampoline_kernelINS0_14default_configENS1_25partition_config_selectorILNS1_17partition_subalgoE8ElNS0_10empty_typeEbEEZZNS1_14partition_implILS5_8ELb0ES3_jPlPS6_PKS6_NS0_5tupleIJS9_S6_EEENSD_IJSA_SA_EEENS0_18inequality_wrapperIZN2at6native12_GLOBAL__N_124unique_dim_cuda_templateIN3c108BFloat16EEESt5tupleIJNSH_6TensorESO_SO_EERKSO_lbbbEUlllE0_EEPmJS6_EEE10hipError_tPvRmT3_T4_T5_T6_T7_T9_mT8_P12ihipStream_tbDpT10_ENKUlT_T0_E_clISt17integral_constantIbLb1EES1E_EEDaS19_S1A_EUlS19_E_NS1_11comp_targetILNS1_3genE9ELNS1_11target_archE1100ELNS1_3gpuE3ELNS1_3repE0EEENS1_30default_config_static_selectorELNS0_4arch9wavefront6targetE1EEEvT1_,comdat
.Lfunc_end1187:
	.size	_ZN7rocprim17ROCPRIM_400000_NS6detail17trampoline_kernelINS0_14default_configENS1_25partition_config_selectorILNS1_17partition_subalgoE8ElNS0_10empty_typeEbEEZZNS1_14partition_implILS5_8ELb0ES3_jPlPS6_PKS6_NS0_5tupleIJS9_S6_EEENSD_IJSA_SA_EEENS0_18inequality_wrapperIZN2at6native12_GLOBAL__N_124unique_dim_cuda_templateIN3c108BFloat16EEESt5tupleIJNSH_6TensorESO_SO_EERKSO_lbbbEUlllE0_EEPmJS6_EEE10hipError_tPvRmT3_T4_T5_T6_T7_T9_mT8_P12ihipStream_tbDpT10_ENKUlT_T0_E_clISt17integral_constantIbLb1EES1E_EEDaS19_S1A_EUlS19_E_NS1_11comp_targetILNS1_3genE9ELNS1_11target_archE1100ELNS1_3gpuE3ELNS1_3repE0EEENS1_30default_config_static_selectorELNS0_4arch9wavefront6targetE1EEEvT1_, .Lfunc_end1187-_ZN7rocprim17ROCPRIM_400000_NS6detail17trampoline_kernelINS0_14default_configENS1_25partition_config_selectorILNS1_17partition_subalgoE8ElNS0_10empty_typeEbEEZZNS1_14partition_implILS5_8ELb0ES3_jPlPS6_PKS6_NS0_5tupleIJS9_S6_EEENSD_IJSA_SA_EEENS0_18inequality_wrapperIZN2at6native12_GLOBAL__N_124unique_dim_cuda_templateIN3c108BFloat16EEESt5tupleIJNSH_6TensorESO_SO_EERKSO_lbbbEUlllE0_EEPmJS6_EEE10hipError_tPvRmT3_T4_T5_T6_T7_T9_mT8_P12ihipStream_tbDpT10_ENKUlT_T0_E_clISt17integral_constantIbLb1EES1E_EEDaS19_S1A_EUlS19_E_NS1_11comp_targetILNS1_3genE9ELNS1_11target_archE1100ELNS1_3gpuE3ELNS1_3repE0EEENS1_30default_config_static_selectorELNS0_4arch9wavefront6targetE1EEEvT1_
                                        ; -- End function
	.section	.AMDGPU.csdata,"",@progbits
; Kernel info:
; codeLenInByte = 0
; NumSgprs: 4
; NumVgprs: 0
; NumAgprs: 0
; TotalNumVgprs: 0
; ScratchSize: 0
; MemoryBound: 0
; FloatMode: 240
; IeeeMode: 1
; LDSByteSize: 0 bytes/workgroup (compile time only)
; SGPRBlocks: 0
; VGPRBlocks: 0
; NumSGPRsForWavesPerEU: 4
; NumVGPRsForWavesPerEU: 1
; AccumOffset: 4
; Occupancy: 8
; WaveLimiterHint : 0
; COMPUTE_PGM_RSRC2:SCRATCH_EN: 0
; COMPUTE_PGM_RSRC2:USER_SGPR: 6
; COMPUTE_PGM_RSRC2:TRAP_HANDLER: 0
; COMPUTE_PGM_RSRC2:TGID_X_EN: 1
; COMPUTE_PGM_RSRC2:TGID_Y_EN: 0
; COMPUTE_PGM_RSRC2:TGID_Z_EN: 0
; COMPUTE_PGM_RSRC2:TIDIG_COMP_CNT: 0
; COMPUTE_PGM_RSRC3_GFX90A:ACCUM_OFFSET: 0
; COMPUTE_PGM_RSRC3_GFX90A:TG_SPLIT: 0
	.section	.text._ZN7rocprim17ROCPRIM_400000_NS6detail17trampoline_kernelINS0_14default_configENS1_25partition_config_selectorILNS1_17partition_subalgoE8ElNS0_10empty_typeEbEEZZNS1_14partition_implILS5_8ELb0ES3_jPlPS6_PKS6_NS0_5tupleIJS9_S6_EEENSD_IJSA_SA_EEENS0_18inequality_wrapperIZN2at6native12_GLOBAL__N_124unique_dim_cuda_templateIN3c108BFloat16EEESt5tupleIJNSH_6TensorESO_SO_EERKSO_lbbbEUlllE0_EEPmJS6_EEE10hipError_tPvRmT3_T4_T5_T6_T7_T9_mT8_P12ihipStream_tbDpT10_ENKUlT_T0_E_clISt17integral_constantIbLb1EES1E_EEDaS19_S1A_EUlS19_E_NS1_11comp_targetILNS1_3genE8ELNS1_11target_archE1030ELNS1_3gpuE2ELNS1_3repE0EEENS1_30default_config_static_selectorELNS0_4arch9wavefront6targetE1EEEvT1_,"axG",@progbits,_ZN7rocprim17ROCPRIM_400000_NS6detail17trampoline_kernelINS0_14default_configENS1_25partition_config_selectorILNS1_17partition_subalgoE8ElNS0_10empty_typeEbEEZZNS1_14partition_implILS5_8ELb0ES3_jPlPS6_PKS6_NS0_5tupleIJS9_S6_EEENSD_IJSA_SA_EEENS0_18inequality_wrapperIZN2at6native12_GLOBAL__N_124unique_dim_cuda_templateIN3c108BFloat16EEESt5tupleIJNSH_6TensorESO_SO_EERKSO_lbbbEUlllE0_EEPmJS6_EEE10hipError_tPvRmT3_T4_T5_T6_T7_T9_mT8_P12ihipStream_tbDpT10_ENKUlT_T0_E_clISt17integral_constantIbLb1EES1E_EEDaS19_S1A_EUlS19_E_NS1_11comp_targetILNS1_3genE8ELNS1_11target_archE1030ELNS1_3gpuE2ELNS1_3repE0EEENS1_30default_config_static_selectorELNS0_4arch9wavefront6targetE1EEEvT1_,comdat
	.globl	_ZN7rocprim17ROCPRIM_400000_NS6detail17trampoline_kernelINS0_14default_configENS1_25partition_config_selectorILNS1_17partition_subalgoE8ElNS0_10empty_typeEbEEZZNS1_14partition_implILS5_8ELb0ES3_jPlPS6_PKS6_NS0_5tupleIJS9_S6_EEENSD_IJSA_SA_EEENS0_18inequality_wrapperIZN2at6native12_GLOBAL__N_124unique_dim_cuda_templateIN3c108BFloat16EEESt5tupleIJNSH_6TensorESO_SO_EERKSO_lbbbEUlllE0_EEPmJS6_EEE10hipError_tPvRmT3_T4_T5_T6_T7_T9_mT8_P12ihipStream_tbDpT10_ENKUlT_T0_E_clISt17integral_constantIbLb1EES1E_EEDaS19_S1A_EUlS19_E_NS1_11comp_targetILNS1_3genE8ELNS1_11target_archE1030ELNS1_3gpuE2ELNS1_3repE0EEENS1_30default_config_static_selectorELNS0_4arch9wavefront6targetE1EEEvT1_ ; -- Begin function _ZN7rocprim17ROCPRIM_400000_NS6detail17trampoline_kernelINS0_14default_configENS1_25partition_config_selectorILNS1_17partition_subalgoE8ElNS0_10empty_typeEbEEZZNS1_14partition_implILS5_8ELb0ES3_jPlPS6_PKS6_NS0_5tupleIJS9_S6_EEENSD_IJSA_SA_EEENS0_18inequality_wrapperIZN2at6native12_GLOBAL__N_124unique_dim_cuda_templateIN3c108BFloat16EEESt5tupleIJNSH_6TensorESO_SO_EERKSO_lbbbEUlllE0_EEPmJS6_EEE10hipError_tPvRmT3_T4_T5_T6_T7_T9_mT8_P12ihipStream_tbDpT10_ENKUlT_T0_E_clISt17integral_constantIbLb1EES1E_EEDaS19_S1A_EUlS19_E_NS1_11comp_targetILNS1_3genE8ELNS1_11target_archE1030ELNS1_3gpuE2ELNS1_3repE0EEENS1_30default_config_static_selectorELNS0_4arch9wavefront6targetE1EEEvT1_
	.p2align	8
	.type	_ZN7rocprim17ROCPRIM_400000_NS6detail17trampoline_kernelINS0_14default_configENS1_25partition_config_selectorILNS1_17partition_subalgoE8ElNS0_10empty_typeEbEEZZNS1_14partition_implILS5_8ELb0ES3_jPlPS6_PKS6_NS0_5tupleIJS9_S6_EEENSD_IJSA_SA_EEENS0_18inequality_wrapperIZN2at6native12_GLOBAL__N_124unique_dim_cuda_templateIN3c108BFloat16EEESt5tupleIJNSH_6TensorESO_SO_EERKSO_lbbbEUlllE0_EEPmJS6_EEE10hipError_tPvRmT3_T4_T5_T6_T7_T9_mT8_P12ihipStream_tbDpT10_ENKUlT_T0_E_clISt17integral_constantIbLb1EES1E_EEDaS19_S1A_EUlS19_E_NS1_11comp_targetILNS1_3genE8ELNS1_11target_archE1030ELNS1_3gpuE2ELNS1_3repE0EEENS1_30default_config_static_selectorELNS0_4arch9wavefront6targetE1EEEvT1_,@function
_ZN7rocprim17ROCPRIM_400000_NS6detail17trampoline_kernelINS0_14default_configENS1_25partition_config_selectorILNS1_17partition_subalgoE8ElNS0_10empty_typeEbEEZZNS1_14partition_implILS5_8ELb0ES3_jPlPS6_PKS6_NS0_5tupleIJS9_S6_EEENSD_IJSA_SA_EEENS0_18inequality_wrapperIZN2at6native12_GLOBAL__N_124unique_dim_cuda_templateIN3c108BFloat16EEESt5tupleIJNSH_6TensorESO_SO_EERKSO_lbbbEUlllE0_EEPmJS6_EEE10hipError_tPvRmT3_T4_T5_T6_T7_T9_mT8_P12ihipStream_tbDpT10_ENKUlT_T0_E_clISt17integral_constantIbLb1EES1E_EEDaS19_S1A_EUlS19_E_NS1_11comp_targetILNS1_3genE8ELNS1_11target_archE1030ELNS1_3gpuE2ELNS1_3repE0EEENS1_30default_config_static_selectorELNS0_4arch9wavefront6targetE1EEEvT1_: ; @_ZN7rocprim17ROCPRIM_400000_NS6detail17trampoline_kernelINS0_14default_configENS1_25partition_config_selectorILNS1_17partition_subalgoE8ElNS0_10empty_typeEbEEZZNS1_14partition_implILS5_8ELb0ES3_jPlPS6_PKS6_NS0_5tupleIJS9_S6_EEENSD_IJSA_SA_EEENS0_18inequality_wrapperIZN2at6native12_GLOBAL__N_124unique_dim_cuda_templateIN3c108BFloat16EEESt5tupleIJNSH_6TensorESO_SO_EERKSO_lbbbEUlllE0_EEPmJS6_EEE10hipError_tPvRmT3_T4_T5_T6_T7_T9_mT8_P12ihipStream_tbDpT10_ENKUlT_T0_E_clISt17integral_constantIbLb1EES1E_EEDaS19_S1A_EUlS19_E_NS1_11comp_targetILNS1_3genE8ELNS1_11target_archE1030ELNS1_3gpuE2ELNS1_3repE0EEENS1_30default_config_static_selectorELNS0_4arch9wavefront6targetE1EEEvT1_
; %bb.0:
	.section	.rodata,"a",@progbits
	.p2align	6, 0x0
	.amdhsa_kernel _ZN7rocprim17ROCPRIM_400000_NS6detail17trampoline_kernelINS0_14default_configENS1_25partition_config_selectorILNS1_17partition_subalgoE8ElNS0_10empty_typeEbEEZZNS1_14partition_implILS5_8ELb0ES3_jPlPS6_PKS6_NS0_5tupleIJS9_S6_EEENSD_IJSA_SA_EEENS0_18inequality_wrapperIZN2at6native12_GLOBAL__N_124unique_dim_cuda_templateIN3c108BFloat16EEESt5tupleIJNSH_6TensorESO_SO_EERKSO_lbbbEUlllE0_EEPmJS6_EEE10hipError_tPvRmT3_T4_T5_T6_T7_T9_mT8_P12ihipStream_tbDpT10_ENKUlT_T0_E_clISt17integral_constantIbLb1EES1E_EEDaS19_S1A_EUlS19_E_NS1_11comp_targetILNS1_3genE8ELNS1_11target_archE1030ELNS1_3gpuE2ELNS1_3repE0EEENS1_30default_config_static_selectorELNS0_4arch9wavefront6targetE1EEEvT1_
		.amdhsa_group_segment_fixed_size 0
		.amdhsa_private_segment_fixed_size 0
		.amdhsa_kernarg_size 136
		.amdhsa_user_sgpr_count 6
		.amdhsa_user_sgpr_private_segment_buffer 1
		.amdhsa_user_sgpr_dispatch_ptr 0
		.amdhsa_user_sgpr_queue_ptr 0
		.amdhsa_user_sgpr_kernarg_segment_ptr 1
		.amdhsa_user_sgpr_dispatch_id 0
		.amdhsa_user_sgpr_flat_scratch_init 0
		.amdhsa_user_sgpr_kernarg_preload_length 0
		.amdhsa_user_sgpr_kernarg_preload_offset 0
		.amdhsa_user_sgpr_private_segment_size 0
		.amdhsa_uses_dynamic_stack 0
		.amdhsa_system_sgpr_private_segment_wavefront_offset 0
		.amdhsa_system_sgpr_workgroup_id_x 1
		.amdhsa_system_sgpr_workgroup_id_y 0
		.amdhsa_system_sgpr_workgroup_id_z 0
		.amdhsa_system_sgpr_workgroup_info 0
		.amdhsa_system_vgpr_workitem_id 0
		.amdhsa_next_free_vgpr 1
		.amdhsa_next_free_sgpr 0
		.amdhsa_accum_offset 4
		.amdhsa_reserve_vcc 0
		.amdhsa_reserve_flat_scratch 0
		.amdhsa_float_round_mode_32 0
		.amdhsa_float_round_mode_16_64 0
		.amdhsa_float_denorm_mode_32 3
		.amdhsa_float_denorm_mode_16_64 3
		.amdhsa_dx10_clamp 1
		.amdhsa_ieee_mode 1
		.amdhsa_fp16_overflow 0
		.amdhsa_tg_split 0
		.amdhsa_exception_fp_ieee_invalid_op 0
		.amdhsa_exception_fp_denorm_src 0
		.amdhsa_exception_fp_ieee_div_zero 0
		.amdhsa_exception_fp_ieee_overflow 0
		.amdhsa_exception_fp_ieee_underflow 0
		.amdhsa_exception_fp_ieee_inexact 0
		.amdhsa_exception_int_div_zero 0
	.end_amdhsa_kernel
	.section	.text._ZN7rocprim17ROCPRIM_400000_NS6detail17trampoline_kernelINS0_14default_configENS1_25partition_config_selectorILNS1_17partition_subalgoE8ElNS0_10empty_typeEbEEZZNS1_14partition_implILS5_8ELb0ES3_jPlPS6_PKS6_NS0_5tupleIJS9_S6_EEENSD_IJSA_SA_EEENS0_18inequality_wrapperIZN2at6native12_GLOBAL__N_124unique_dim_cuda_templateIN3c108BFloat16EEESt5tupleIJNSH_6TensorESO_SO_EERKSO_lbbbEUlllE0_EEPmJS6_EEE10hipError_tPvRmT3_T4_T5_T6_T7_T9_mT8_P12ihipStream_tbDpT10_ENKUlT_T0_E_clISt17integral_constantIbLb1EES1E_EEDaS19_S1A_EUlS19_E_NS1_11comp_targetILNS1_3genE8ELNS1_11target_archE1030ELNS1_3gpuE2ELNS1_3repE0EEENS1_30default_config_static_selectorELNS0_4arch9wavefront6targetE1EEEvT1_,"axG",@progbits,_ZN7rocprim17ROCPRIM_400000_NS6detail17trampoline_kernelINS0_14default_configENS1_25partition_config_selectorILNS1_17partition_subalgoE8ElNS0_10empty_typeEbEEZZNS1_14partition_implILS5_8ELb0ES3_jPlPS6_PKS6_NS0_5tupleIJS9_S6_EEENSD_IJSA_SA_EEENS0_18inequality_wrapperIZN2at6native12_GLOBAL__N_124unique_dim_cuda_templateIN3c108BFloat16EEESt5tupleIJNSH_6TensorESO_SO_EERKSO_lbbbEUlllE0_EEPmJS6_EEE10hipError_tPvRmT3_T4_T5_T6_T7_T9_mT8_P12ihipStream_tbDpT10_ENKUlT_T0_E_clISt17integral_constantIbLb1EES1E_EEDaS19_S1A_EUlS19_E_NS1_11comp_targetILNS1_3genE8ELNS1_11target_archE1030ELNS1_3gpuE2ELNS1_3repE0EEENS1_30default_config_static_selectorELNS0_4arch9wavefront6targetE1EEEvT1_,comdat
.Lfunc_end1188:
	.size	_ZN7rocprim17ROCPRIM_400000_NS6detail17trampoline_kernelINS0_14default_configENS1_25partition_config_selectorILNS1_17partition_subalgoE8ElNS0_10empty_typeEbEEZZNS1_14partition_implILS5_8ELb0ES3_jPlPS6_PKS6_NS0_5tupleIJS9_S6_EEENSD_IJSA_SA_EEENS0_18inequality_wrapperIZN2at6native12_GLOBAL__N_124unique_dim_cuda_templateIN3c108BFloat16EEESt5tupleIJNSH_6TensorESO_SO_EERKSO_lbbbEUlllE0_EEPmJS6_EEE10hipError_tPvRmT3_T4_T5_T6_T7_T9_mT8_P12ihipStream_tbDpT10_ENKUlT_T0_E_clISt17integral_constantIbLb1EES1E_EEDaS19_S1A_EUlS19_E_NS1_11comp_targetILNS1_3genE8ELNS1_11target_archE1030ELNS1_3gpuE2ELNS1_3repE0EEENS1_30default_config_static_selectorELNS0_4arch9wavefront6targetE1EEEvT1_, .Lfunc_end1188-_ZN7rocprim17ROCPRIM_400000_NS6detail17trampoline_kernelINS0_14default_configENS1_25partition_config_selectorILNS1_17partition_subalgoE8ElNS0_10empty_typeEbEEZZNS1_14partition_implILS5_8ELb0ES3_jPlPS6_PKS6_NS0_5tupleIJS9_S6_EEENSD_IJSA_SA_EEENS0_18inequality_wrapperIZN2at6native12_GLOBAL__N_124unique_dim_cuda_templateIN3c108BFloat16EEESt5tupleIJNSH_6TensorESO_SO_EERKSO_lbbbEUlllE0_EEPmJS6_EEE10hipError_tPvRmT3_T4_T5_T6_T7_T9_mT8_P12ihipStream_tbDpT10_ENKUlT_T0_E_clISt17integral_constantIbLb1EES1E_EEDaS19_S1A_EUlS19_E_NS1_11comp_targetILNS1_3genE8ELNS1_11target_archE1030ELNS1_3gpuE2ELNS1_3repE0EEENS1_30default_config_static_selectorELNS0_4arch9wavefront6targetE1EEEvT1_
                                        ; -- End function
	.section	.AMDGPU.csdata,"",@progbits
; Kernel info:
; codeLenInByte = 0
; NumSgprs: 4
; NumVgprs: 0
; NumAgprs: 0
; TotalNumVgprs: 0
; ScratchSize: 0
; MemoryBound: 0
; FloatMode: 240
; IeeeMode: 1
; LDSByteSize: 0 bytes/workgroup (compile time only)
; SGPRBlocks: 0
; VGPRBlocks: 0
; NumSGPRsForWavesPerEU: 4
; NumVGPRsForWavesPerEU: 1
; AccumOffset: 4
; Occupancy: 8
; WaveLimiterHint : 0
; COMPUTE_PGM_RSRC2:SCRATCH_EN: 0
; COMPUTE_PGM_RSRC2:USER_SGPR: 6
; COMPUTE_PGM_RSRC2:TRAP_HANDLER: 0
; COMPUTE_PGM_RSRC2:TGID_X_EN: 1
; COMPUTE_PGM_RSRC2:TGID_Y_EN: 0
; COMPUTE_PGM_RSRC2:TGID_Z_EN: 0
; COMPUTE_PGM_RSRC2:TIDIG_COMP_CNT: 0
; COMPUTE_PGM_RSRC3_GFX90A:ACCUM_OFFSET: 0
; COMPUTE_PGM_RSRC3_GFX90A:TG_SPLIT: 0
	.section	.text._ZN7rocprim17ROCPRIM_400000_NS6detail17trampoline_kernelINS0_14default_configENS1_25partition_config_selectorILNS1_17partition_subalgoE8ElNS0_10empty_typeEbEEZZNS1_14partition_implILS5_8ELb0ES3_jPlPS6_PKS6_NS0_5tupleIJS9_S6_EEENSD_IJSA_SA_EEENS0_18inequality_wrapperIZN2at6native12_GLOBAL__N_124unique_dim_cuda_templateIN3c108BFloat16EEESt5tupleIJNSH_6TensorESO_SO_EERKSO_lbbbEUlllE0_EEPmJS6_EEE10hipError_tPvRmT3_T4_T5_T6_T7_T9_mT8_P12ihipStream_tbDpT10_ENKUlT_T0_E_clISt17integral_constantIbLb1EES1D_IbLb0EEEEDaS19_S1A_EUlS19_E_NS1_11comp_targetILNS1_3genE0ELNS1_11target_archE4294967295ELNS1_3gpuE0ELNS1_3repE0EEENS1_30default_config_static_selectorELNS0_4arch9wavefront6targetE1EEEvT1_,"axG",@progbits,_ZN7rocprim17ROCPRIM_400000_NS6detail17trampoline_kernelINS0_14default_configENS1_25partition_config_selectorILNS1_17partition_subalgoE8ElNS0_10empty_typeEbEEZZNS1_14partition_implILS5_8ELb0ES3_jPlPS6_PKS6_NS0_5tupleIJS9_S6_EEENSD_IJSA_SA_EEENS0_18inequality_wrapperIZN2at6native12_GLOBAL__N_124unique_dim_cuda_templateIN3c108BFloat16EEESt5tupleIJNSH_6TensorESO_SO_EERKSO_lbbbEUlllE0_EEPmJS6_EEE10hipError_tPvRmT3_T4_T5_T6_T7_T9_mT8_P12ihipStream_tbDpT10_ENKUlT_T0_E_clISt17integral_constantIbLb1EES1D_IbLb0EEEEDaS19_S1A_EUlS19_E_NS1_11comp_targetILNS1_3genE0ELNS1_11target_archE4294967295ELNS1_3gpuE0ELNS1_3repE0EEENS1_30default_config_static_selectorELNS0_4arch9wavefront6targetE1EEEvT1_,comdat
	.globl	_ZN7rocprim17ROCPRIM_400000_NS6detail17trampoline_kernelINS0_14default_configENS1_25partition_config_selectorILNS1_17partition_subalgoE8ElNS0_10empty_typeEbEEZZNS1_14partition_implILS5_8ELb0ES3_jPlPS6_PKS6_NS0_5tupleIJS9_S6_EEENSD_IJSA_SA_EEENS0_18inequality_wrapperIZN2at6native12_GLOBAL__N_124unique_dim_cuda_templateIN3c108BFloat16EEESt5tupleIJNSH_6TensorESO_SO_EERKSO_lbbbEUlllE0_EEPmJS6_EEE10hipError_tPvRmT3_T4_T5_T6_T7_T9_mT8_P12ihipStream_tbDpT10_ENKUlT_T0_E_clISt17integral_constantIbLb1EES1D_IbLb0EEEEDaS19_S1A_EUlS19_E_NS1_11comp_targetILNS1_3genE0ELNS1_11target_archE4294967295ELNS1_3gpuE0ELNS1_3repE0EEENS1_30default_config_static_selectorELNS0_4arch9wavefront6targetE1EEEvT1_ ; -- Begin function _ZN7rocprim17ROCPRIM_400000_NS6detail17trampoline_kernelINS0_14default_configENS1_25partition_config_selectorILNS1_17partition_subalgoE8ElNS0_10empty_typeEbEEZZNS1_14partition_implILS5_8ELb0ES3_jPlPS6_PKS6_NS0_5tupleIJS9_S6_EEENSD_IJSA_SA_EEENS0_18inequality_wrapperIZN2at6native12_GLOBAL__N_124unique_dim_cuda_templateIN3c108BFloat16EEESt5tupleIJNSH_6TensorESO_SO_EERKSO_lbbbEUlllE0_EEPmJS6_EEE10hipError_tPvRmT3_T4_T5_T6_T7_T9_mT8_P12ihipStream_tbDpT10_ENKUlT_T0_E_clISt17integral_constantIbLb1EES1D_IbLb0EEEEDaS19_S1A_EUlS19_E_NS1_11comp_targetILNS1_3genE0ELNS1_11target_archE4294967295ELNS1_3gpuE0ELNS1_3repE0EEENS1_30default_config_static_selectorELNS0_4arch9wavefront6targetE1EEEvT1_
	.p2align	8
	.type	_ZN7rocprim17ROCPRIM_400000_NS6detail17trampoline_kernelINS0_14default_configENS1_25partition_config_selectorILNS1_17partition_subalgoE8ElNS0_10empty_typeEbEEZZNS1_14partition_implILS5_8ELb0ES3_jPlPS6_PKS6_NS0_5tupleIJS9_S6_EEENSD_IJSA_SA_EEENS0_18inequality_wrapperIZN2at6native12_GLOBAL__N_124unique_dim_cuda_templateIN3c108BFloat16EEESt5tupleIJNSH_6TensorESO_SO_EERKSO_lbbbEUlllE0_EEPmJS6_EEE10hipError_tPvRmT3_T4_T5_T6_T7_T9_mT8_P12ihipStream_tbDpT10_ENKUlT_T0_E_clISt17integral_constantIbLb1EES1D_IbLb0EEEEDaS19_S1A_EUlS19_E_NS1_11comp_targetILNS1_3genE0ELNS1_11target_archE4294967295ELNS1_3gpuE0ELNS1_3repE0EEENS1_30default_config_static_selectorELNS0_4arch9wavefront6targetE1EEEvT1_,@function
_ZN7rocprim17ROCPRIM_400000_NS6detail17trampoline_kernelINS0_14default_configENS1_25partition_config_selectorILNS1_17partition_subalgoE8ElNS0_10empty_typeEbEEZZNS1_14partition_implILS5_8ELb0ES3_jPlPS6_PKS6_NS0_5tupleIJS9_S6_EEENSD_IJSA_SA_EEENS0_18inequality_wrapperIZN2at6native12_GLOBAL__N_124unique_dim_cuda_templateIN3c108BFloat16EEESt5tupleIJNSH_6TensorESO_SO_EERKSO_lbbbEUlllE0_EEPmJS6_EEE10hipError_tPvRmT3_T4_T5_T6_T7_T9_mT8_P12ihipStream_tbDpT10_ENKUlT_T0_E_clISt17integral_constantIbLb1EES1D_IbLb0EEEEDaS19_S1A_EUlS19_E_NS1_11comp_targetILNS1_3genE0ELNS1_11target_archE4294967295ELNS1_3gpuE0ELNS1_3repE0EEENS1_30default_config_static_selectorELNS0_4arch9wavefront6targetE1EEEvT1_: ; @_ZN7rocprim17ROCPRIM_400000_NS6detail17trampoline_kernelINS0_14default_configENS1_25partition_config_selectorILNS1_17partition_subalgoE8ElNS0_10empty_typeEbEEZZNS1_14partition_implILS5_8ELb0ES3_jPlPS6_PKS6_NS0_5tupleIJS9_S6_EEENSD_IJSA_SA_EEENS0_18inequality_wrapperIZN2at6native12_GLOBAL__N_124unique_dim_cuda_templateIN3c108BFloat16EEESt5tupleIJNSH_6TensorESO_SO_EERKSO_lbbbEUlllE0_EEPmJS6_EEE10hipError_tPvRmT3_T4_T5_T6_T7_T9_mT8_P12ihipStream_tbDpT10_ENKUlT_T0_E_clISt17integral_constantIbLb1EES1D_IbLb0EEEEDaS19_S1A_EUlS19_E_NS1_11comp_targetILNS1_3genE0ELNS1_11target_archE4294967295ELNS1_3gpuE0ELNS1_3repE0EEENS1_30default_config_static_selectorELNS0_4arch9wavefront6targetE1EEEvT1_
; %bb.0:
	.section	.rodata,"a",@progbits
	.p2align	6, 0x0
	.amdhsa_kernel _ZN7rocprim17ROCPRIM_400000_NS6detail17trampoline_kernelINS0_14default_configENS1_25partition_config_selectorILNS1_17partition_subalgoE8ElNS0_10empty_typeEbEEZZNS1_14partition_implILS5_8ELb0ES3_jPlPS6_PKS6_NS0_5tupleIJS9_S6_EEENSD_IJSA_SA_EEENS0_18inequality_wrapperIZN2at6native12_GLOBAL__N_124unique_dim_cuda_templateIN3c108BFloat16EEESt5tupleIJNSH_6TensorESO_SO_EERKSO_lbbbEUlllE0_EEPmJS6_EEE10hipError_tPvRmT3_T4_T5_T6_T7_T9_mT8_P12ihipStream_tbDpT10_ENKUlT_T0_E_clISt17integral_constantIbLb1EES1D_IbLb0EEEEDaS19_S1A_EUlS19_E_NS1_11comp_targetILNS1_3genE0ELNS1_11target_archE4294967295ELNS1_3gpuE0ELNS1_3repE0EEENS1_30default_config_static_selectorELNS0_4arch9wavefront6targetE1EEEvT1_
		.amdhsa_group_segment_fixed_size 0
		.amdhsa_private_segment_fixed_size 0
		.amdhsa_kernarg_size 120
		.amdhsa_user_sgpr_count 6
		.amdhsa_user_sgpr_private_segment_buffer 1
		.amdhsa_user_sgpr_dispatch_ptr 0
		.amdhsa_user_sgpr_queue_ptr 0
		.amdhsa_user_sgpr_kernarg_segment_ptr 1
		.amdhsa_user_sgpr_dispatch_id 0
		.amdhsa_user_sgpr_flat_scratch_init 0
		.amdhsa_user_sgpr_kernarg_preload_length 0
		.amdhsa_user_sgpr_kernarg_preload_offset 0
		.amdhsa_user_sgpr_private_segment_size 0
		.amdhsa_uses_dynamic_stack 0
		.amdhsa_system_sgpr_private_segment_wavefront_offset 0
		.amdhsa_system_sgpr_workgroup_id_x 1
		.amdhsa_system_sgpr_workgroup_id_y 0
		.amdhsa_system_sgpr_workgroup_id_z 0
		.amdhsa_system_sgpr_workgroup_info 0
		.amdhsa_system_vgpr_workitem_id 0
		.amdhsa_next_free_vgpr 1
		.amdhsa_next_free_sgpr 0
		.amdhsa_accum_offset 4
		.amdhsa_reserve_vcc 0
		.amdhsa_reserve_flat_scratch 0
		.amdhsa_float_round_mode_32 0
		.amdhsa_float_round_mode_16_64 0
		.amdhsa_float_denorm_mode_32 3
		.amdhsa_float_denorm_mode_16_64 3
		.amdhsa_dx10_clamp 1
		.amdhsa_ieee_mode 1
		.amdhsa_fp16_overflow 0
		.amdhsa_tg_split 0
		.amdhsa_exception_fp_ieee_invalid_op 0
		.amdhsa_exception_fp_denorm_src 0
		.amdhsa_exception_fp_ieee_div_zero 0
		.amdhsa_exception_fp_ieee_overflow 0
		.amdhsa_exception_fp_ieee_underflow 0
		.amdhsa_exception_fp_ieee_inexact 0
		.amdhsa_exception_int_div_zero 0
	.end_amdhsa_kernel
	.section	.text._ZN7rocprim17ROCPRIM_400000_NS6detail17trampoline_kernelINS0_14default_configENS1_25partition_config_selectorILNS1_17partition_subalgoE8ElNS0_10empty_typeEbEEZZNS1_14partition_implILS5_8ELb0ES3_jPlPS6_PKS6_NS0_5tupleIJS9_S6_EEENSD_IJSA_SA_EEENS0_18inequality_wrapperIZN2at6native12_GLOBAL__N_124unique_dim_cuda_templateIN3c108BFloat16EEESt5tupleIJNSH_6TensorESO_SO_EERKSO_lbbbEUlllE0_EEPmJS6_EEE10hipError_tPvRmT3_T4_T5_T6_T7_T9_mT8_P12ihipStream_tbDpT10_ENKUlT_T0_E_clISt17integral_constantIbLb1EES1D_IbLb0EEEEDaS19_S1A_EUlS19_E_NS1_11comp_targetILNS1_3genE0ELNS1_11target_archE4294967295ELNS1_3gpuE0ELNS1_3repE0EEENS1_30default_config_static_selectorELNS0_4arch9wavefront6targetE1EEEvT1_,"axG",@progbits,_ZN7rocprim17ROCPRIM_400000_NS6detail17trampoline_kernelINS0_14default_configENS1_25partition_config_selectorILNS1_17partition_subalgoE8ElNS0_10empty_typeEbEEZZNS1_14partition_implILS5_8ELb0ES3_jPlPS6_PKS6_NS0_5tupleIJS9_S6_EEENSD_IJSA_SA_EEENS0_18inequality_wrapperIZN2at6native12_GLOBAL__N_124unique_dim_cuda_templateIN3c108BFloat16EEESt5tupleIJNSH_6TensorESO_SO_EERKSO_lbbbEUlllE0_EEPmJS6_EEE10hipError_tPvRmT3_T4_T5_T6_T7_T9_mT8_P12ihipStream_tbDpT10_ENKUlT_T0_E_clISt17integral_constantIbLb1EES1D_IbLb0EEEEDaS19_S1A_EUlS19_E_NS1_11comp_targetILNS1_3genE0ELNS1_11target_archE4294967295ELNS1_3gpuE0ELNS1_3repE0EEENS1_30default_config_static_selectorELNS0_4arch9wavefront6targetE1EEEvT1_,comdat
.Lfunc_end1189:
	.size	_ZN7rocprim17ROCPRIM_400000_NS6detail17trampoline_kernelINS0_14default_configENS1_25partition_config_selectorILNS1_17partition_subalgoE8ElNS0_10empty_typeEbEEZZNS1_14partition_implILS5_8ELb0ES3_jPlPS6_PKS6_NS0_5tupleIJS9_S6_EEENSD_IJSA_SA_EEENS0_18inequality_wrapperIZN2at6native12_GLOBAL__N_124unique_dim_cuda_templateIN3c108BFloat16EEESt5tupleIJNSH_6TensorESO_SO_EERKSO_lbbbEUlllE0_EEPmJS6_EEE10hipError_tPvRmT3_T4_T5_T6_T7_T9_mT8_P12ihipStream_tbDpT10_ENKUlT_T0_E_clISt17integral_constantIbLb1EES1D_IbLb0EEEEDaS19_S1A_EUlS19_E_NS1_11comp_targetILNS1_3genE0ELNS1_11target_archE4294967295ELNS1_3gpuE0ELNS1_3repE0EEENS1_30default_config_static_selectorELNS0_4arch9wavefront6targetE1EEEvT1_, .Lfunc_end1189-_ZN7rocprim17ROCPRIM_400000_NS6detail17trampoline_kernelINS0_14default_configENS1_25partition_config_selectorILNS1_17partition_subalgoE8ElNS0_10empty_typeEbEEZZNS1_14partition_implILS5_8ELb0ES3_jPlPS6_PKS6_NS0_5tupleIJS9_S6_EEENSD_IJSA_SA_EEENS0_18inequality_wrapperIZN2at6native12_GLOBAL__N_124unique_dim_cuda_templateIN3c108BFloat16EEESt5tupleIJNSH_6TensorESO_SO_EERKSO_lbbbEUlllE0_EEPmJS6_EEE10hipError_tPvRmT3_T4_T5_T6_T7_T9_mT8_P12ihipStream_tbDpT10_ENKUlT_T0_E_clISt17integral_constantIbLb1EES1D_IbLb0EEEEDaS19_S1A_EUlS19_E_NS1_11comp_targetILNS1_3genE0ELNS1_11target_archE4294967295ELNS1_3gpuE0ELNS1_3repE0EEENS1_30default_config_static_selectorELNS0_4arch9wavefront6targetE1EEEvT1_
                                        ; -- End function
	.section	.AMDGPU.csdata,"",@progbits
; Kernel info:
; codeLenInByte = 0
; NumSgprs: 4
; NumVgprs: 0
; NumAgprs: 0
; TotalNumVgprs: 0
; ScratchSize: 0
; MemoryBound: 0
; FloatMode: 240
; IeeeMode: 1
; LDSByteSize: 0 bytes/workgroup (compile time only)
; SGPRBlocks: 0
; VGPRBlocks: 0
; NumSGPRsForWavesPerEU: 4
; NumVGPRsForWavesPerEU: 1
; AccumOffset: 4
; Occupancy: 8
; WaveLimiterHint : 0
; COMPUTE_PGM_RSRC2:SCRATCH_EN: 0
; COMPUTE_PGM_RSRC2:USER_SGPR: 6
; COMPUTE_PGM_RSRC2:TRAP_HANDLER: 0
; COMPUTE_PGM_RSRC2:TGID_X_EN: 1
; COMPUTE_PGM_RSRC2:TGID_Y_EN: 0
; COMPUTE_PGM_RSRC2:TGID_Z_EN: 0
; COMPUTE_PGM_RSRC2:TIDIG_COMP_CNT: 0
; COMPUTE_PGM_RSRC3_GFX90A:ACCUM_OFFSET: 0
; COMPUTE_PGM_RSRC3_GFX90A:TG_SPLIT: 0
	.section	.text._ZN7rocprim17ROCPRIM_400000_NS6detail17trampoline_kernelINS0_14default_configENS1_25partition_config_selectorILNS1_17partition_subalgoE8ElNS0_10empty_typeEbEEZZNS1_14partition_implILS5_8ELb0ES3_jPlPS6_PKS6_NS0_5tupleIJS9_S6_EEENSD_IJSA_SA_EEENS0_18inequality_wrapperIZN2at6native12_GLOBAL__N_124unique_dim_cuda_templateIN3c108BFloat16EEESt5tupleIJNSH_6TensorESO_SO_EERKSO_lbbbEUlllE0_EEPmJS6_EEE10hipError_tPvRmT3_T4_T5_T6_T7_T9_mT8_P12ihipStream_tbDpT10_ENKUlT_T0_E_clISt17integral_constantIbLb1EES1D_IbLb0EEEEDaS19_S1A_EUlS19_E_NS1_11comp_targetILNS1_3genE5ELNS1_11target_archE942ELNS1_3gpuE9ELNS1_3repE0EEENS1_30default_config_static_selectorELNS0_4arch9wavefront6targetE1EEEvT1_,"axG",@progbits,_ZN7rocprim17ROCPRIM_400000_NS6detail17trampoline_kernelINS0_14default_configENS1_25partition_config_selectorILNS1_17partition_subalgoE8ElNS0_10empty_typeEbEEZZNS1_14partition_implILS5_8ELb0ES3_jPlPS6_PKS6_NS0_5tupleIJS9_S6_EEENSD_IJSA_SA_EEENS0_18inequality_wrapperIZN2at6native12_GLOBAL__N_124unique_dim_cuda_templateIN3c108BFloat16EEESt5tupleIJNSH_6TensorESO_SO_EERKSO_lbbbEUlllE0_EEPmJS6_EEE10hipError_tPvRmT3_T4_T5_T6_T7_T9_mT8_P12ihipStream_tbDpT10_ENKUlT_T0_E_clISt17integral_constantIbLb1EES1D_IbLb0EEEEDaS19_S1A_EUlS19_E_NS1_11comp_targetILNS1_3genE5ELNS1_11target_archE942ELNS1_3gpuE9ELNS1_3repE0EEENS1_30default_config_static_selectorELNS0_4arch9wavefront6targetE1EEEvT1_,comdat
	.globl	_ZN7rocprim17ROCPRIM_400000_NS6detail17trampoline_kernelINS0_14default_configENS1_25partition_config_selectorILNS1_17partition_subalgoE8ElNS0_10empty_typeEbEEZZNS1_14partition_implILS5_8ELb0ES3_jPlPS6_PKS6_NS0_5tupleIJS9_S6_EEENSD_IJSA_SA_EEENS0_18inequality_wrapperIZN2at6native12_GLOBAL__N_124unique_dim_cuda_templateIN3c108BFloat16EEESt5tupleIJNSH_6TensorESO_SO_EERKSO_lbbbEUlllE0_EEPmJS6_EEE10hipError_tPvRmT3_T4_T5_T6_T7_T9_mT8_P12ihipStream_tbDpT10_ENKUlT_T0_E_clISt17integral_constantIbLb1EES1D_IbLb0EEEEDaS19_S1A_EUlS19_E_NS1_11comp_targetILNS1_3genE5ELNS1_11target_archE942ELNS1_3gpuE9ELNS1_3repE0EEENS1_30default_config_static_selectorELNS0_4arch9wavefront6targetE1EEEvT1_ ; -- Begin function _ZN7rocprim17ROCPRIM_400000_NS6detail17trampoline_kernelINS0_14default_configENS1_25partition_config_selectorILNS1_17partition_subalgoE8ElNS0_10empty_typeEbEEZZNS1_14partition_implILS5_8ELb0ES3_jPlPS6_PKS6_NS0_5tupleIJS9_S6_EEENSD_IJSA_SA_EEENS0_18inequality_wrapperIZN2at6native12_GLOBAL__N_124unique_dim_cuda_templateIN3c108BFloat16EEESt5tupleIJNSH_6TensorESO_SO_EERKSO_lbbbEUlllE0_EEPmJS6_EEE10hipError_tPvRmT3_T4_T5_T6_T7_T9_mT8_P12ihipStream_tbDpT10_ENKUlT_T0_E_clISt17integral_constantIbLb1EES1D_IbLb0EEEEDaS19_S1A_EUlS19_E_NS1_11comp_targetILNS1_3genE5ELNS1_11target_archE942ELNS1_3gpuE9ELNS1_3repE0EEENS1_30default_config_static_selectorELNS0_4arch9wavefront6targetE1EEEvT1_
	.p2align	8
	.type	_ZN7rocprim17ROCPRIM_400000_NS6detail17trampoline_kernelINS0_14default_configENS1_25partition_config_selectorILNS1_17partition_subalgoE8ElNS0_10empty_typeEbEEZZNS1_14partition_implILS5_8ELb0ES3_jPlPS6_PKS6_NS0_5tupleIJS9_S6_EEENSD_IJSA_SA_EEENS0_18inequality_wrapperIZN2at6native12_GLOBAL__N_124unique_dim_cuda_templateIN3c108BFloat16EEESt5tupleIJNSH_6TensorESO_SO_EERKSO_lbbbEUlllE0_EEPmJS6_EEE10hipError_tPvRmT3_T4_T5_T6_T7_T9_mT8_P12ihipStream_tbDpT10_ENKUlT_T0_E_clISt17integral_constantIbLb1EES1D_IbLb0EEEEDaS19_S1A_EUlS19_E_NS1_11comp_targetILNS1_3genE5ELNS1_11target_archE942ELNS1_3gpuE9ELNS1_3repE0EEENS1_30default_config_static_selectorELNS0_4arch9wavefront6targetE1EEEvT1_,@function
_ZN7rocprim17ROCPRIM_400000_NS6detail17trampoline_kernelINS0_14default_configENS1_25partition_config_selectorILNS1_17partition_subalgoE8ElNS0_10empty_typeEbEEZZNS1_14partition_implILS5_8ELb0ES3_jPlPS6_PKS6_NS0_5tupleIJS9_S6_EEENSD_IJSA_SA_EEENS0_18inequality_wrapperIZN2at6native12_GLOBAL__N_124unique_dim_cuda_templateIN3c108BFloat16EEESt5tupleIJNSH_6TensorESO_SO_EERKSO_lbbbEUlllE0_EEPmJS6_EEE10hipError_tPvRmT3_T4_T5_T6_T7_T9_mT8_P12ihipStream_tbDpT10_ENKUlT_T0_E_clISt17integral_constantIbLb1EES1D_IbLb0EEEEDaS19_S1A_EUlS19_E_NS1_11comp_targetILNS1_3genE5ELNS1_11target_archE942ELNS1_3gpuE9ELNS1_3repE0EEENS1_30default_config_static_selectorELNS0_4arch9wavefront6targetE1EEEvT1_: ; @_ZN7rocprim17ROCPRIM_400000_NS6detail17trampoline_kernelINS0_14default_configENS1_25partition_config_selectorILNS1_17partition_subalgoE8ElNS0_10empty_typeEbEEZZNS1_14partition_implILS5_8ELb0ES3_jPlPS6_PKS6_NS0_5tupleIJS9_S6_EEENSD_IJSA_SA_EEENS0_18inequality_wrapperIZN2at6native12_GLOBAL__N_124unique_dim_cuda_templateIN3c108BFloat16EEESt5tupleIJNSH_6TensorESO_SO_EERKSO_lbbbEUlllE0_EEPmJS6_EEE10hipError_tPvRmT3_T4_T5_T6_T7_T9_mT8_P12ihipStream_tbDpT10_ENKUlT_T0_E_clISt17integral_constantIbLb1EES1D_IbLb0EEEEDaS19_S1A_EUlS19_E_NS1_11comp_targetILNS1_3genE5ELNS1_11target_archE942ELNS1_3gpuE9ELNS1_3repE0EEENS1_30default_config_static_selectorELNS0_4arch9wavefront6targetE1EEEvT1_
; %bb.0:
	.section	.rodata,"a",@progbits
	.p2align	6, 0x0
	.amdhsa_kernel _ZN7rocprim17ROCPRIM_400000_NS6detail17trampoline_kernelINS0_14default_configENS1_25partition_config_selectorILNS1_17partition_subalgoE8ElNS0_10empty_typeEbEEZZNS1_14partition_implILS5_8ELb0ES3_jPlPS6_PKS6_NS0_5tupleIJS9_S6_EEENSD_IJSA_SA_EEENS0_18inequality_wrapperIZN2at6native12_GLOBAL__N_124unique_dim_cuda_templateIN3c108BFloat16EEESt5tupleIJNSH_6TensorESO_SO_EERKSO_lbbbEUlllE0_EEPmJS6_EEE10hipError_tPvRmT3_T4_T5_T6_T7_T9_mT8_P12ihipStream_tbDpT10_ENKUlT_T0_E_clISt17integral_constantIbLb1EES1D_IbLb0EEEEDaS19_S1A_EUlS19_E_NS1_11comp_targetILNS1_3genE5ELNS1_11target_archE942ELNS1_3gpuE9ELNS1_3repE0EEENS1_30default_config_static_selectorELNS0_4arch9wavefront6targetE1EEEvT1_
		.amdhsa_group_segment_fixed_size 0
		.amdhsa_private_segment_fixed_size 0
		.amdhsa_kernarg_size 120
		.amdhsa_user_sgpr_count 6
		.amdhsa_user_sgpr_private_segment_buffer 1
		.amdhsa_user_sgpr_dispatch_ptr 0
		.amdhsa_user_sgpr_queue_ptr 0
		.amdhsa_user_sgpr_kernarg_segment_ptr 1
		.amdhsa_user_sgpr_dispatch_id 0
		.amdhsa_user_sgpr_flat_scratch_init 0
		.amdhsa_user_sgpr_kernarg_preload_length 0
		.amdhsa_user_sgpr_kernarg_preload_offset 0
		.amdhsa_user_sgpr_private_segment_size 0
		.amdhsa_uses_dynamic_stack 0
		.amdhsa_system_sgpr_private_segment_wavefront_offset 0
		.amdhsa_system_sgpr_workgroup_id_x 1
		.amdhsa_system_sgpr_workgroup_id_y 0
		.amdhsa_system_sgpr_workgroup_id_z 0
		.amdhsa_system_sgpr_workgroup_info 0
		.amdhsa_system_vgpr_workitem_id 0
		.amdhsa_next_free_vgpr 1
		.amdhsa_next_free_sgpr 0
		.amdhsa_accum_offset 4
		.amdhsa_reserve_vcc 0
		.amdhsa_reserve_flat_scratch 0
		.amdhsa_float_round_mode_32 0
		.amdhsa_float_round_mode_16_64 0
		.amdhsa_float_denorm_mode_32 3
		.amdhsa_float_denorm_mode_16_64 3
		.amdhsa_dx10_clamp 1
		.amdhsa_ieee_mode 1
		.amdhsa_fp16_overflow 0
		.amdhsa_tg_split 0
		.amdhsa_exception_fp_ieee_invalid_op 0
		.amdhsa_exception_fp_denorm_src 0
		.amdhsa_exception_fp_ieee_div_zero 0
		.amdhsa_exception_fp_ieee_overflow 0
		.amdhsa_exception_fp_ieee_underflow 0
		.amdhsa_exception_fp_ieee_inexact 0
		.amdhsa_exception_int_div_zero 0
	.end_amdhsa_kernel
	.section	.text._ZN7rocprim17ROCPRIM_400000_NS6detail17trampoline_kernelINS0_14default_configENS1_25partition_config_selectorILNS1_17partition_subalgoE8ElNS0_10empty_typeEbEEZZNS1_14partition_implILS5_8ELb0ES3_jPlPS6_PKS6_NS0_5tupleIJS9_S6_EEENSD_IJSA_SA_EEENS0_18inequality_wrapperIZN2at6native12_GLOBAL__N_124unique_dim_cuda_templateIN3c108BFloat16EEESt5tupleIJNSH_6TensorESO_SO_EERKSO_lbbbEUlllE0_EEPmJS6_EEE10hipError_tPvRmT3_T4_T5_T6_T7_T9_mT8_P12ihipStream_tbDpT10_ENKUlT_T0_E_clISt17integral_constantIbLb1EES1D_IbLb0EEEEDaS19_S1A_EUlS19_E_NS1_11comp_targetILNS1_3genE5ELNS1_11target_archE942ELNS1_3gpuE9ELNS1_3repE0EEENS1_30default_config_static_selectorELNS0_4arch9wavefront6targetE1EEEvT1_,"axG",@progbits,_ZN7rocprim17ROCPRIM_400000_NS6detail17trampoline_kernelINS0_14default_configENS1_25partition_config_selectorILNS1_17partition_subalgoE8ElNS0_10empty_typeEbEEZZNS1_14partition_implILS5_8ELb0ES3_jPlPS6_PKS6_NS0_5tupleIJS9_S6_EEENSD_IJSA_SA_EEENS0_18inequality_wrapperIZN2at6native12_GLOBAL__N_124unique_dim_cuda_templateIN3c108BFloat16EEESt5tupleIJNSH_6TensorESO_SO_EERKSO_lbbbEUlllE0_EEPmJS6_EEE10hipError_tPvRmT3_T4_T5_T6_T7_T9_mT8_P12ihipStream_tbDpT10_ENKUlT_T0_E_clISt17integral_constantIbLb1EES1D_IbLb0EEEEDaS19_S1A_EUlS19_E_NS1_11comp_targetILNS1_3genE5ELNS1_11target_archE942ELNS1_3gpuE9ELNS1_3repE0EEENS1_30default_config_static_selectorELNS0_4arch9wavefront6targetE1EEEvT1_,comdat
.Lfunc_end1190:
	.size	_ZN7rocprim17ROCPRIM_400000_NS6detail17trampoline_kernelINS0_14default_configENS1_25partition_config_selectorILNS1_17partition_subalgoE8ElNS0_10empty_typeEbEEZZNS1_14partition_implILS5_8ELb0ES3_jPlPS6_PKS6_NS0_5tupleIJS9_S6_EEENSD_IJSA_SA_EEENS0_18inequality_wrapperIZN2at6native12_GLOBAL__N_124unique_dim_cuda_templateIN3c108BFloat16EEESt5tupleIJNSH_6TensorESO_SO_EERKSO_lbbbEUlllE0_EEPmJS6_EEE10hipError_tPvRmT3_T4_T5_T6_T7_T9_mT8_P12ihipStream_tbDpT10_ENKUlT_T0_E_clISt17integral_constantIbLb1EES1D_IbLb0EEEEDaS19_S1A_EUlS19_E_NS1_11comp_targetILNS1_3genE5ELNS1_11target_archE942ELNS1_3gpuE9ELNS1_3repE0EEENS1_30default_config_static_selectorELNS0_4arch9wavefront6targetE1EEEvT1_, .Lfunc_end1190-_ZN7rocprim17ROCPRIM_400000_NS6detail17trampoline_kernelINS0_14default_configENS1_25partition_config_selectorILNS1_17partition_subalgoE8ElNS0_10empty_typeEbEEZZNS1_14partition_implILS5_8ELb0ES3_jPlPS6_PKS6_NS0_5tupleIJS9_S6_EEENSD_IJSA_SA_EEENS0_18inequality_wrapperIZN2at6native12_GLOBAL__N_124unique_dim_cuda_templateIN3c108BFloat16EEESt5tupleIJNSH_6TensorESO_SO_EERKSO_lbbbEUlllE0_EEPmJS6_EEE10hipError_tPvRmT3_T4_T5_T6_T7_T9_mT8_P12ihipStream_tbDpT10_ENKUlT_T0_E_clISt17integral_constantIbLb1EES1D_IbLb0EEEEDaS19_S1A_EUlS19_E_NS1_11comp_targetILNS1_3genE5ELNS1_11target_archE942ELNS1_3gpuE9ELNS1_3repE0EEENS1_30default_config_static_selectorELNS0_4arch9wavefront6targetE1EEEvT1_
                                        ; -- End function
	.section	.AMDGPU.csdata,"",@progbits
; Kernel info:
; codeLenInByte = 0
; NumSgprs: 4
; NumVgprs: 0
; NumAgprs: 0
; TotalNumVgprs: 0
; ScratchSize: 0
; MemoryBound: 0
; FloatMode: 240
; IeeeMode: 1
; LDSByteSize: 0 bytes/workgroup (compile time only)
; SGPRBlocks: 0
; VGPRBlocks: 0
; NumSGPRsForWavesPerEU: 4
; NumVGPRsForWavesPerEU: 1
; AccumOffset: 4
; Occupancy: 8
; WaveLimiterHint : 0
; COMPUTE_PGM_RSRC2:SCRATCH_EN: 0
; COMPUTE_PGM_RSRC2:USER_SGPR: 6
; COMPUTE_PGM_RSRC2:TRAP_HANDLER: 0
; COMPUTE_PGM_RSRC2:TGID_X_EN: 1
; COMPUTE_PGM_RSRC2:TGID_Y_EN: 0
; COMPUTE_PGM_RSRC2:TGID_Z_EN: 0
; COMPUTE_PGM_RSRC2:TIDIG_COMP_CNT: 0
; COMPUTE_PGM_RSRC3_GFX90A:ACCUM_OFFSET: 0
; COMPUTE_PGM_RSRC3_GFX90A:TG_SPLIT: 0
	.section	.text._ZN7rocprim17ROCPRIM_400000_NS6detail17trampoline_kernelINS0_14default_configENS1_25partition_config_selectorILNS1_17partition_subalgoE8ElNS0_10empty_typeEbEEZZNS1_14partition_implILS5_8ELb0ES3_jPlPS6_PKS6_NS0_5tupleIJS9_S6_EEENSD_IJSA_SA_EEENS0_18inequality_wrapperIZN2at6native12_GLOBAL__N_124unique_dim_cuda_templateIN3c108BFloat16EEESt5tupleIJNSH_6TensorESO_SO_EERKSO_lbbbEUlllE0_EEPmJS6_EEE10hipError_tPvRmT3_T4_T5_T6_T7_T9_mT8_P12ihipStream_tbDpT10_ENKUlT_T0_E_clISt17integral_constantIbLb1EES1D_IbLb0EEEEDaS19_S1A_EUlS19_E_NS1_11comp_targetILNS1_3genE4ELNS1_11target_archE910ELNS1_3gpuE8ELNS1_3repE0EEENS1_30default_config_static_selectorELNS0_4arch9wavefront6targetE1EEEvT1_,"axG",@progbits,_ZN7rocprim17ROCPRIM_400000_NS6detail17trampoline_kernelINS0_14default_configENS1_25partition_config_selectorILNS1_17partition_subalgoE8ElNS0_10empty_typeEbEEZZNS1_14partition_implILS5_8ELb0ES3_jPlPS6_PKS6_NS0_5tupleIJS9_S6_EEENSD_IJSA_SA_EEENS0_18inequality_wrapperIZN2at6native12_GLOBAL__N_124unique_dim_cuda_templateIN3c108BFloat16EEESt5tupleIJNSH_6TensorESO_SO_EERKSO_lbbbEUlllE0_EEPmJS6_EEE10hipError_tPvRmT3_T4_T5_T6_T7_T9_mT8_P12ihipStream_tbDpT10_ENKUlT_T0_E_clISt17integral_constantIbLb1EES1D_IbLb0EEEEDaS19_S1A_EUlS19_E_NS1_11comp_targetILNS1_3genE4ELNS1_11target_archE910ELNS1_3gpuE8ELNS1_3repE0EEENS1_30default_config_static_selectorELNS0_4arch9wavefront6targetE1EEEvT1_,comdat
	.globl	_ZN7rocprim17ROCPRIM_400000_NS6detail17trampoline_kernelINS0_14default_configENS1_25partition_config_selectorILNS1_17partition_subalgoE8ElNS0_10empty_typeEbEEZZNS1_14partition_implILS5_8ELb0ES3_jPlPS6_PKS6_NS0_5tupleIJS9_S6_EEENSD_IJSA_SA_EEENS0_18inequality_wrapperIZN2at6native12_GLOBAL__N_124unique_dim_cuda_templateIN3c108BFloat16EEESt5tupleIJNSH_6TensorESO_SO_EERKSO_lbbbEUlllE0_EEPmJS6_EEE10hipError_tPvRmT3_T4_T5_T6_T7_T9_mT8_P12ihipStream_tbDpT10_ENKUlT_T0_E_clISt17integral_constantIbLb1EES1D_IbLb0EEEEDaS19_S1A_EUlS19_E_NS1_11comp_targetILNS1_3genE4ELNS1_11target_archE910ELNS1_3gpuE8ELNS1_3repE0EEENS1_30default_config_static_selectorELNS0_4arch9wavefront6targetE1EEEvT1_ ; -- Begin function _ZN7rocprim17ROCPRIM_400000_NS6detail17trampoline_kernelINS0_14default_configENS1_25partition_config_selectorILNS1_17partition_subalgoE8ElNS0_10empty_typeEbEEZZNS1_14partition_implILS5_8ELb0ES3_jPlPS6_PKS6_NS0_5tupleIJS9_S6_EEENSD_IJSA_SA_EEENS0_18inequality_wrapperIZN2at6native12_GLOBAL__N_124unique_dim_cuda_templateIN3c108BFloat16EEESt5tupleIJNSH_6TensorESO_SO_EERKSO_lbbbEUlllE0_EEPmJS6_EEE10hipError_tPvRmT3_T4_T5_T6_T7_T9_mT8_P12ihipStream_tbDpT10_ENKUlT_T0_E_clISt17integral_constantIbLb1EES1D_IbLb0EEEEDaS19_S1A_EUlS19_E_NS1_11comp_targetILNS1_3genE4ELNS1_11target_archE910ELNS1_3gpuE8ELNS1_3repE0EEENS1_30default_config_static_selectorELNS0_4arch9wavefront6targetE1EEEvT1_
	.p2align	8
	.type	_ZN7rocprim17ROCPRIM_400000_NS6detail17trampoline_kernelINS0_14default_configENS1_25partition_config_selectorILNS1_17partition_subalgoE8ElNS0_10empty_typeEbEEZZNS1_14partition_implILS5_8ELb0ES3_jPlPS6_PKS6_NS0_5tupleIJS9_S6_EEENSD_IJSA_SA_EEENS0_18inequality_wrapperIZN2at6native12_GLOBAL__N_124unique_dim_cuda_templateIN3c108BFloat16EEESt5tupleIJNSH_6TensorESO_SO_EERKSO_lbbbEUlllE0_EEPmJS6_EEE10hipError_tPvRmT3_T4_T5_T6_T7_T9_mT8_P12ihipStream_tbDpT10_ENKUlT_T0_E_clISt17integral_constantIbLb1EES1D_IbLb0EEEEDaS19_S1A_EUlS19_E_NS1_11comp_targetILNS1_3genE4ELNS1_11target_archE910ELNS1_3gpuE8ELNS1_3repE0EEENS1_30default_config_static_selectorELNS0_4arch9wavefront6targetE1EEEvT1_,@function
_ZN7rocprim17ROCPRIM_400000_NS6detail17trampoline_kernelINS0_14default_configENS1_25partition_config_selectorILNS1_17partition_subalgoE8ElNS0_10empty_typeEbEEZZNS1_14partition_implILS5_8ELb0ES3_jPlPS6_PKS6_NS0_5tupleIJS9_S6_EEENSD_IJSA_SA_EEENS0_18inequality_wrapperIZN2at6native12_GLOBAL__N_124unique_dim_cuda_templateIN3c108BFloat16EEESt5tupleIJNSH_6TensorESO_SO_EERKSO_lbbbEUlllE0_EEPmJS6_EEE10hipError_tPvRmT3_T4_T5_T6_T7_T9_mT8_P12ihipStream_tbDpT10_ENKUlT_T0_E_clISt17integral_constantIbLb1EES1D_IbLb0EEEEDaS19_S1A_EUlS19_E_NS1_11comp_targetILNS1_3genE4ELNS1_11target_archE910ELNS1_3gpuE8ELNS1_3repE0EEENS1_30default_config_static_selectorELNS0_4arch9wavefront6targetE1EEEvT1_: ; @_ZN7rocprim17ROCPRIM_400000_NS6detail17trampoline_kernelINS0_14default_configENS1_25partition_config_selectorILNS1_17partition_subalgoE8ElNS0_10empty_typeEbEEZZNS1_14partition_implILS5_8ELb0ES3_jPlPS6_PKS6_NS0_5tupleIJS9_S6_EEENSD_IJSA_SA_EEENS0_18inequality_wrapperIZN2at6native12_GLOBAL__N_124unique_dim_cuda_templateIN3c108BFloat16EEESt5tupleIJNSH_6TensorESO_SO_EERKSO_lbbbEUlllE0_EEPmJS6_EEE10hipError_tPvRmT3_T4_T5_T6_T7_T9_mT8_P12ihipStream_tbDpT10_ENKUlT_T0_E_clISt17integral_constantIbLb1EES1D_IbLb0EEEEDaS19_S1A_EUlS19_E_NS1_11comp_targetILNS1_3genE4ELNS1_11target_archE910ELNS1_3gpuE8ELNS1_3repE0EEENS1_30default_config_static_selectorELNS0_4arch9wavefront6targetE1EEEvT1_
; %bb.0:
	s_load_dwordx8 s[20:27], s[4:5], 0x40
	s_load_dwordx4 s[0:3], s[4:5], 0x8
	s_load_dwordx4 s[28:31], s[4:5], 0x60
	s_load_dword s7, s[4:5], 0x70
	s_waitcnt lgkmcnt(0)
	v_mov_b32_e32 v2, s24
	s_lshl_b64 s[8:9], s[2:3], 3
	s_add_u32 s12, s0, s8
	s_mul_i32 s8, s7, 0x500
	s_addc_u32 s13, s1, s9
	s_add_i32 s1, s8, s2
	s_add_i32 s10, s7, -1
	s_sub_i32 s7, s24, s1
	s_add_u32 s8, s2, s8
	s_addc_u32 s9, s3, 0
	v_mov_b32_e32 v3, s25
	s_cmp_eq_u32 s6, s10
	s_load_dwordx2 s[22:23], s[22:23], 0x0
	v_cmp_ge_u64_e32 vcc, s[8:9], v[2:3]
	s_cselect_b64 s[24:25], -1, 0
	s_mul_i32 s0, s6, 0x500
	s_mov_b32 s1, 0
	s_and_b64 s[10:11], s[24:25], vcc
	s_xor_b64 s[34:35], s[10:11], -1
	s_lshl_b64 s[0:1], s[0:1], 3
	s_add_u32 s0, s12, s0
	s_mov_b64 s[8:9], -1
	s_addc_u32 s1, s13, s1
	s_and_b64 vcc, exec, s[34:35]
	s_cbranch_vccz .LBB1191_2
; %bb.1:
	v_lshlrev_b32_e32 v1, 3, v0
	v_mov_b32_e32 v2, s1
	v_add_co_u32_e32 v12, vcc, s0, v1
	v_addc_co_u32_e32 v13, vcc, 0, v2, vcc
	v_add_co_u32_e32 v2, vcc, 0x1000, v12
	v_addc_co_u32_e32 v3, vcc, 0, v13, vcc
	global_load_dwordx2 v[4:5], v1, s[0:1]
	global_load_dwordx2 v[6:7], v1, s[0:1] offset:2048
	global_load_dwordx2 v[8:9], v[2:3], off
	global_load_dwordx2 v[10:11], v[2:3], off offset:2048
	v_add_co_u32_e32 v2, vcc, 0x2000, v12
	v_addc_co_u32_e32 v3, vcc, 0, v13, vcc
	global_load_dwordx2 v[2:3], v[2:3], off
	s_mov_b64 s[8:9], 0
	s_waitcnt vmcnt(3)
	ds_write2st64_b64 v1, v[4:5], v[6:7] offset1:4
	s_waitcnt vmcnt(1)
	ds_write2st64_b64 v1, v[8:9], v[10:11] offset0:8 offset1:12
	s_waitcnt vmcnt(0)
	ds_write_b64 v1, v[2:3] offset:8192
	s_waitcnt lgkmcnt(0)
	s_barrier
.LBB1191_2:
	s_andn2_b64 vcc, exec, s[8:9]
	s_addk_i32 s7, 0x500
	s_cbranch_vccnz .LBB1191_14
; %bb.3:
	v_cmp_gt_u32_e32 vcc, s7, v0
                                        ; implicit-def: $vgpr2_vgpr3_vgpr4_vgpr5_vgpr6_vgpr7_vgpr8_vgpr9_vgpr10_vgpr11_vgpr12_vgpr13_vgpr14_vgpr15_vgpr16_vgpr17
	s_and_saveexec_b64 s[8:9], vcc
	s_cbranch_execz .LBB1191_5
; %bb.4:
	v_lshlrev_b32_e32 v1, 3, v0
	global_load_dwordx2 v[2:3], v1, s[0:1]
.LBB1191_5:
	s_or_b64 exec, exec, s[8:9]
	v_or_b32_e32 v1, 0x100, v0
	v_cmp_gt_u32_e32 vcc, s7, v1
	s_and_saveexec_b64 s[8:9], vcc
	s_cbranch_execz .LBB1191_7
; %bb.6:
	v_lshlrev_b32_e32 v1, 3, v0
	global_load_dwordx2 v[4:5], v1, s[0:1] offset:2048
.LBB1191_7:
	s_or_b64 exec, exec, s[8:9]
	v_or_b32_e32 v1, 0x200, v0
	v_cmp_gt_u32_e32 vcc, s7, v1
	s_and_saveexec_b64 s[8:9], vcc
	s_cbranch_execz .LBB1191_9
; %bb.8:
	v_lshlrev_b32_e32 v1, 3, v1
	global_load_dwordx2 v[6:7], v1, s[0:1]
.LBB1191_9:
	s_or_b64 exec, exec, s[8:9]
	v_or_b32_e32 v1, 0x300, v0
	v_cmp_gt_u32_e32 vcc, s7, v1
	s_and_saveexec_b64 s[8:9], vcc
	s_cbranch_execz .LBB1191_11
; %bb.10:
	v_lshlrev_b32_e32 v1, 3, v1
	global_load_dwordx2 v[8:9], v1, s[0:1]
.LBB1191_11:
	;; [unrolled: 9-line block ×3, first 2 shown]
	s_or_b64 exec, exec, s[8:9]
	v_lshlrev_b32_e32 v1, 3, v0
	s_waitcnt vmcnt(0)
	ds_write2st64_b64 v1, v[2:3], v[4:5] offset1:4
	ds_write2st64_b64 v1, v[6:7], v[8:9] offset0:8 offset1:12
	ds_write_b64 v1, v[10:11] offset:8192
	s_waitcnt lgkmcnt(0)
	s_barrier
.LBB1191_14:
	v_mul_u32_u24_e32 v1, 5, v0
	v_lshlrev_b32_e32 v20, 3, v1
	s_waitcnt lgkmcnt(0)
	ds_read2_b64 v[6:9], v20 offset1:1
	ds_read2_b64 v[2:5], v20 offset0:2 offset1:3
	ds_read_b64 v[10:11], v20 offset:32
	s_cmp_lg_u32 s6, 0
	s_cselect_b64 s[16:17], -1, 0
	s_cmp_lg_u64 s[2:3], 0
	s_cselect_b64 s[2:3], -1, 0
	s_or_b64 s[2:3], s[16:17], s[2:3]
	v_mad_u32_u24 v24, v0, 5, 1
	v_mad_u32_u24 v22, v0, 5, 2
	;; [unrolled: 1-line block ×4, first 2 shown]
	s_mov_b64 s[12:13], 0
	s_and_b64 vcc, exec, s[2:3]
	v_cmp_gt_i64_e64 s[2:3], s[26:27], 0
	s_waitcnt lgkmcnt(0)
	s_barrier
	s_cbranch_vccz .LBB1191_23
; %bb.15:
	s_add_u32 s0, s0, -8
	s_addc_u32 s1, s1, -1
	s_load_dwordx2 s[12:13], s[0:1], 0x0
	v_cndmask_b32_e64 v12, 0, 1, s[2:3]
	v_lshlrev_b32_e32 v21, 3, v0
	s_mov_b64 s[14:15], 0
	s_and_b64 vcc, exec, s[34:35]
	v_cmp_ne_u32_e64 s[0:1], 1, v12
	ds_write_b64 v21, v[10:11]
	s_cbranch_vccz .LBB1191_24
; %bb.16:
	v_mul_lo_u32 v14, v5, s26
	v_mul_lo_u32 v15, v4, s27
	v_mad_u64_u32 v[12:13], s[2:3], v4, s26, 0
	v_add3_u32 v13, v13, v15, v14
	s_and_b64 vcc, exec, s[0:1]
	v_lshlrev_b64 v[12:13], 1, v[12:13]
	s_cbranch_vccnz .LBB1191_27
; %bb.17:
	v_mul_lo_u32 v16, v11, s26
	v_mul_lo_u32 v17, v10, s27
	v_mad_u64_u32 v[14:15], s[2:3], v10, s26, 0
	v_add3_u32 v15, v15, v17, v16
	v_mov_b32_e32 v17, s29
	v_add_co_u32_e32 v16, vcc, s28, v12
	v_addc_co_u32_e64 v17, s[2:3], v17, v13, vcc
	v_lshlrev_b64 v[14:15], 1, v[14:15]
	v_mov_b32_e32 v19, s29
	v_add_co_u32_e64 v18, s[2:3], s28, v14
	v_addc_co_u32_e64 v19, s[8:9], v19, v15, s[2:3]
	global_load_ushort v14, v[18:19], off
	global_load_ushort v26, v[16:17], off
	s_mov_b64 s[14:15], -1
	s_waitcnt vmcnt(1)
	v_lshlrev_b32_e32 v14, 16, v14
	s_waitcnt vmcnt(0)
	v_lshlrev_b32_e32 v17, 16, v26
	v_cmp_eq_f32_e64 s[8:9], v17, v14
	s_and_saveexec_b64 s[18:19], s[8:9]
	s_cbranch_execz .LBB1191_26
; %bb.18:
	v_mov_b32_e32 v14, s29
	v_addc_co_u32_e64 v15, s[2:3], v15, v14, s[2:3]
	v_add_co_u32_e64 v14, s[2:3], 2, v18
	v_mov_b32_e32 v17, s29
	v_addc_co_u32_e64 v15, s[2:3], 0, v15, s[2:3]
	v_addc_co_u32_e32 v17, vcc, v13, v17, vcc
	v_add_co_u32_e32 v16, vcc, 2, v16
	s_add_u32 s2, s26, -1
	v_addc_co_u32_e32 v17, vcc, 0, v17, vcc
	s_addc_u32 s3, s27, -1
	s_mov_b64 s[8:9], 0
	s_mov_b64 s[36:37], 0
                                        ; implicit-def: $sgpr14_sgpr15
	s_branch .LBB1191_21
.LBB1191_19:                            ;   in Loop: Header=BB1191_21 Depth=1
	global_load_ushort v18, v[14:15], off
	global_load_ushort v19, v[16:17], off
	v_add_co_u32_e32 v14, vcc, 2, v14
	v_addc_co_u32_e32 v15, vcc, 0, v15, vcc
	v_add_co_u32_e32 v16, vcc, 2, v16
	v_addc_co_u32_e32 v17, vcc, 0, v17, vcc
	s_add_u32 s36, s36, 1
	s_addc_u32 s37, s37, 0
	s_andn2_b64 s[14:15], s[14:15], exec
	s_waitcnt vmcnt(1)
	v_lshlrev_b32_e32 v18, 16, v18
	s_waitcnt vmcnt(0)
	v_lshlrev_b32_e32 v19, 16, v19
	v_cmp_neq_f32_e32 vcc, v19, v18
	s_and_b64 s[38:39], vcc, exec
	s_or_b64 s[14:15], s[14:15], s[38:39]
.LBB1191_20:                            ;   in Loop: Header=BB1191_21 Depth=1
	s_and_b64 s[38:39], exec, s[14:15]
	s_or_b64 s[8:9], s[38:39], s[8:9]
	v_pk_mov_b32 v[18:19], s[36:37], s[36:37] op_sel:[0,1]
	s_andn2_b64 exec, exec, s[8:9]
	s_cbranch_execz .LBB1191_25
.LBB1191_21:                            ; =>This Inner Loop Header: Depth=1
	s_or_b64 s[14:15], s[14:15], exec
	s_cmp_eq_u64 s[2:3], s[36:37]
	s_cbranch_scc0 .LBB1191_19
; %bb.22:                               ;   in Loop: Header=BB1191_21 Depth=1
                                        ; implicit-def: $vgpr14_vgpr15
                                        ; implicit-def: $vgpr16_vgpr17
	s_mov_b64 s[36:37], s[26:27]
	s_branch .LBB1191_20
.LBB1191_23:
                                        ; implicit-def: $sgpr18_sgpr19
                                        ; implicit-def: $vgpr13
                                        ; implicit-def: $vgpr16
	s_branch .LBB1191_125
.LBB1191_24:
                                        ; implicit-def: $sgpr18_sgpr19
                                        ; implicit-def: $vgpr13
                                        ; implicit-def: $vgpr16
	s_cbranch_execnz .LBB1191_66
	s_branch .LBB1191_124
.LBB1191_25:
	s_or_b64 exec, exec, s[8:9]
	v_cmp_gt_i64_e32 vcc, s[26:27], v[18:19]
	s_orn2_b64 s[14:15], vcc, exec
.LBB1191_26:
	s_or_b64 exec, exec, s[18:19]
.LBB1191_27:
	v_mul_lo_u32 v16, v3, s26
	v_mul_lo_u32 v17, v2, s27
	v_mad_u64_u32 v[14:15], s[2:3], v2, s26, 0
	v_add3_u32 v15, v15, v17, v16
	s_mov_b64 s[18:19], 0
	s_and_b64 vcc, exec, s[0:1]
	v_lshlrev_b64 v[16:17], 1, v[14:15]
	s_mov_b64 s[36:37], 0
	s_cbranch_vccnz .LBB1191_36
; %bb.28:
	v_mov_b32_e32 v15, s29
	v_add_co_u32_e32 v14, vcc, s28, v16
	v_addc_co_u32_e64 v15, s[2:3], v15, v17, vcc
	v_mov_b32_e32 v19, s29
	v_add_co_u32_e64 v18, s[2:3], s28, v12
	v_addc_co_u32_e64 v19, s[8:9], v19, v13, s[2:3]
	global_load_ushort v12, v[18:19], off
	global_load_ushort v26, v[14:15], off
	s_mov_b64 s[36:37], -1
	s_waitcnt vmcnt(1)
	v_lshlrev_b32_e32 v12, 16, v12
	s_waitcnt vmcnt(0)
	v_lshlrev_b32_e32 v15, 16, v26
	v_cmp_eq_f32_e64 s[8:9], v15, v12
	s_and_saveexec_b64 s[38:39], s[8:9]
	s_cbranch_execz .LBB1191_35
; %bb.29:
	v_mov_b32_e32 v12, s29
	v_addc_co_u32_e64 v13, s[2:3], v13, v12, s[2:3]
	v_add_co_u32_e64 v12, s[2:3], 2, v18
	v_mov_b32_e32 v15, s29
	v_addc_co_u32_e64 v13, s[2:3], 0, v13, s[2:3]
	v_addc_co_u32_e32 v15, vcc, v17, v15, vcc
	v_add_co_u32_e32 v14, vcc, 2, v14
	s_add_u32 s2, s26, -1
	v_addc_co_u32_e32 v15, vcc, 0, v15, vcc
	s_addc_u32 s3, s27, -1
	s_mov_b64 s[8:9], 0
	s_mov_b64 s[40:41], 0
                                        ; implicit-def: $sgpr36_sgpr37
	s_branch .LBB1191_32
.LBB1191_30:                            ;   in Loop: Header=BB1191_32 Depth=1
	global_load_ushort v18, v[12:13], off
	global_load_ushort v19, v[14:15], off
	v_add_co_u32_e32 v12, vcc, 2, v12
	v_addc_co_u32_e32 v13, vcc, 0, v13, vcc
	v_add_co_u32_e32 v14, vcc, 2, v14
	v_addc_co_u32_e32 v15, vcc, 0, v15, vcc
	s_add_u32 s40, s40, 1
	s_addc_u32 s41, s41, 0
	s_andn2_b64 s[36:37], s[36:37], exec
	s_waitcnt vmcnt(1)
	v_lshlrev_b32_e32 v18, 16, v18
	s_waitcnt vmcnt(0)
	v_lshlrev_b32_e32 v19, 16, v19
	v_cmp_neq_f32_e32 vcc, v19, v18
	s_and_b64 s[42:43], vcc, exec
	s_or_b64 s[36:37], s[36:37], s[42:43]
.LBB1191_31:                            ;   in Loop: Header=BB1191_32 Depth=1
	s_and_b64 s[42:43], exec, s[36:37]
	s_or_b64 s[8:9], s[42:43], s[8:9]
	v_pk_mov_b32 v[18:19], s[40:41], s[40:41] op_sel:[0,1]
	s_andn2_b64 exec, exec, s[8:9]
	s_cbranch_execz .LBB1191_34
.LBB1191_32:                            ; =>This Inner Loop Header: Depth=1
	s_or_b64 s[36:37], s[36:37], exec
	s_cmp_eq_u64 s[2:3], s[40:41]
	s_cbranch_scc0 .LBB1191_30
; %bb.33:                               ;   in Loop: Header=BB1191_32 Depth=1
                                        ; implicit-def: $vgpr12_vgpr13
                                        ; implicit-def: $vgpr14_vgpr15
	s_mov_b64 s[40:41], s[26:27]
	s_branch .LBB1191_31
.LBB1191_34:
	s_or_b64 exec, exec, s[8:9]
	v_cmp_gt_i64_e32 vcc, s[26:27], v[18:19]
	s_orn2_b64 s[36:37], vcc, exec
.LBB1191_35:
	s_or_b64 exec, exec, s[38:39]
.LBB1191_36:
	v_mul_lo_u32 v14, v9, s26
	v_mul_lo_u32 v15, v8, s27
	v_mad_u64_u32 v[12:13], s[2:3], v8, s26, 0
	v_add3_u32 v13, v13, v15, v14
	s_and_b64 vcc, exec, s[0:1]
	v_lshlrev_b64 v[14:15], 1, v[12:13]
	s_cbranch_vccnz .LBB1191_45
; %bb.37:
	v_mov_b32_e32 v12, s29
	v_add_co_u32_e32 v18, vcc, s28, v14
	v_addc_co_u32_e64 v19, s[2:3], v12, v15, vcc
	v_mov_b32_e32 v13, s29
	v_add_co_u32_e64 v12, s[2:3], s28, v16
	v_addc_co_u32_e64 v13, s[8:9], v13, v17, s[2:3]
	global_load_ushort v16, v[12:13], off
	global_load_ushort v26, v[18:19], off
	s_mov_b64 s[18:19], -1
	s_waitcnt vmcnt(1)
	v_lshlrev_b32_e32 v13, 16, v16
	s_waitcnt vmcnt(0)
	v_lshlrev_b32_e32 v16, 16, v26
	v_cmp_eq_f32_e64 s[8:9], v16, v13
	s_and_saveexec_b64 s[38:39], s[8:9]
	s_cbranch_execz .LBB1191_44
; %bb.38:
	v_mov_b32_e32 v13, s29
	v_addc_co_u32_e64 v13, s[2:3], v17, v13, s[2:3]
	v_add_co_u32_e64 v12, s[2:3], 2, v12
	v_mov_b32_e32 v16, s29
	v_addc_co_u32_e64 v13, s[2:3], 0, v13, s[2:3]
	v_addc_co_u32_e32 v17, vcc, v15, v16, vcc
	v_add_co_u32_e32 v16, vcc, 2, v18
	s_add_u32 s2, s26, -1
	v_addc_co_u32_e32 v17, vcc, 0, v17, vcc
	s_addc_u32 s3, s27, -1
	s_mov_b64 s[8:9], 0
	s_mov_b64 s[40:41], 0
                                        ; implicit-def: $sgpr18_sgpr19
	s_branch .LBB1191_41
.LBB1191_39:                            ;   in Loop: Header=BB1191_41 Depth=1
	global_load_ushort v18, v[12:13], off
	global_load_ushort v19, v[16:17], off
	v_add_co_u32_e32 v12, vcc, 2, v12
	v_addc_co_u32_e32 v13, vcc, 0, v13, vcc
	v_add_co_u32_e32 v16, vcc, 2, v16
	v_addc_co_u32_e32 v17, vcc, 0, v17, vcc
	s_add_u32 s40, s40, 1
	s_addc_u32 s41, s41, 0
	s_andn2_b64 s[18:19], s[18:19], exec
	s_waitcnt vmcnt(1)
	v_lshlrev_b32_e32 v18, 16, v18
	s_waitcnt vmcnt(0)
	v_lshlrev_b32_e32 v19, 16, v19
	v_cmp_neq_f32_e32 vcc, v19, v18
	s_and_b64 s[42:43], vcc, exec
	s_or_b64 s[18:19], s[18:19], s[42:43]
.LBB1191_40:                            ;   in Loop: Header=BB1191_41 Depth=1
	s_and_b64 s[42:43], exec, s[18:19]
	s_or_b64 s[8:9], s[42:43], s[8:9]
	v_pk_mov_b32 v[18:19], s[40:41], s[40:41] op_sel:[0,1]
	s_andn2_b64 exec, exec, s[8:9]
	s_cbranch_execz .LBB1191_43
.LBB1191_41:                            ; =>This Inner Loop Header: Depth=1
	s_or_b64 s[18:19], s[18:19], exec
	s_cmp_eq_u64 s[2:3], s[40:41]
	s_cbranch_scc0 .LBB1191_39
; %bb.42:                               ;   in Loop: Header=BB1191_41 Depth=1
                                        ; implicit-def: $vgpr12_vgpr13
                                        ; implicit-def: $vgpr16_vgpr17
	s_mov_b64 s[40:41], s[26:27]
	s_branch .LBB1191_40
.LBB1191_43:
	s_or_b64 exec, exec, s[8:9]
	v_cmp_gt_i64_e32 vcc, s[26:27], v[18:19]
	s_orn2_b64 s[18:19], vcc, exec
.LBB1191_44:
	s_or_b64 exec, exec, s[38:39]
.LBB1191_45:
	v_mul_lo_u32 v16, v7, s26
	v_mul_lo_u32 v17, v6, s27
	v_mad_u64_u32 v[12:13], s[2:3], v6, s26, 0
	v_add3_u32 v13, v13, v17, v16
	s_mov_b64 s[40:41], 0
	s_and_b64 vcc, exec, s[0:1]
	v_lshlrev_b64 v[12:13], 1, v[12:13]
	s_cbranch_vccnz .LBB1191_54
; %bb.46:
	v_mov_b32_e32 v17, s29
	v_add_co_u32_e32 v16, vcc, s28, v12
	v_addc_co_u32_e64 v17, s[2:3], v17, v13, vcc
	v_mov_b32_e32 v19, s29
	v_add_co_u32_e64 v18, s[2:3], s28, v14
	v_addc_co_u32_e64 v19, s[8:9], v19, v15, s[2:3]
	global_load_ushort v14, v[18:19], off
	global_load_ushort v26, v[16:17], off
	s_mov_b64 s[40:41], -1
	s_waitcnt vmcnt(1)
	v_lshlrev_b32_e32 v14, 16, v14
	s_waitcnt vmcnt(0)
	v_lshlrev_b32_e32 v17, 16, v26
	v_cmp_eq_f32_e64 s[8:9], v17, v14
	s_and_saveexec_b64 s[38:39], s[8:9]
	s_cbranch_execz .LBB1191_53
; %bb.47:
	v_mov_b32_e32 v14, s29
	v_addc_co_u32_e64 v15, s[2:3], v15, v14, s[2:3]
	v_add_co_u32_e64 v14, s[2:3], 2, v18
	v_mov_b32_e32 v17, s29
	v_addc_co_u32_e64 v15, s[2:3], 0, v15, s[2:3]
	v_addc_co_u32_e32 v17, vcc, v13, v17, vcc
	v_add_co_u32_e32 v16, vcc, 2, v16
	s_add_u32 s2, s26, -1
	v_addc_co_u32_e32 v17, vcc, 0, v17, vcc
	s_addc_u32 s3, s27, -1
	s_mov_b64 s[8:9], 0
	s_mov_b64 s[42:43], 0
                                        ; implicit-def: $sgpr40_sgpr41
	s_branch .LBB1191_50
.LBB1191_48:                            ;   in Loop: Header=BB1191_50 Depth=1
	global_load_ushort v18, v[14:15], off
	global_load_ushort v19, v[16:17], off
	v_add_co_u32_e32 v14, vcc, 2, v14
	v_addc_co_u32_e32 v15, vcc, 0, v15, vcc
	v_add_co_u32_e32 v16, vcc, 2, v16
	v_addc_co_u32_e32 v17, vcc, 0, v17, vcc
	s_add_u32 s42, s42, 1
	s_addc_u32 s43, s43, 0
	s_andn2_b64 s[40:41], s[40:41], exec
	s_waitcnt vmcnt(1)
	v_lshlrev_b32_e32 v18, 16, v18
	s_waitcnt vmcnt(0)
	v_lshlrev_b32_e32 v19, 16, v19
	v_cmp_neq_f32_e32 vcc, v19, v18
	s_and_b64 s[44:45], vcc, exec
	s_or_b64 s[40:41], s[40:41], s[44:45]
.LBB1191_49:                            ;   in Loop: Header=BB1191_50 Depth=1
	s_and_b64 s[44:45], exec, s[40:41]
	s_or_b64 s[8:9], s[44:45], s[8:9]
	v_pk_mov_b32 v[18:19], s[42:43], s[42:43] op_sel:[0,1]
	s_andn2_b64 exec, exec, s[8:9]
	s_cbranch_execz .LBB1191_52
.LBB1191_50:                            ; =>This Inner Loop Header: Depth=1
	s_or_b64 s[40:41], s[40:41], exec
	s_cmp_eq_u64 s[2:3], s[42:43]
	s_cbranch_scc0 .LBB1191_48
; %bb.51:                               ;   in Loop: Header=BB1191_50 Depth=1
                                        ; implicit-def: $vgpr14_vgpr15
                                        ; implicit-def: $vgpr16_vgpr17
	s_mov_b64 s[42:43], s[26:27]
	s_branch .LBB1191_49
.LBB1191_52:
	s_or_b64 exec, exec, s[8:9]
	v_cmp_gt_i64_e32 vcc, s[26:27], v[18:19]
	s_orn2_b64 s[40:41], vcc, exec
.LBB1191_53:
	s_or_b64 exec, exec, s[38:39]
.LBB1191_54:
	v_cmp_ne_u32_e32 vcc, 0, v0
	s_waitcnt lgkmcnt(0)
	v_pk_mov_b32 v[14:15], s[12:13], s[12:13] op_sel:[0,1]
	s_barrier
	s_and_saveexec_b64 s[2:3], vcc
	s_cbranch_execz .LBB1191_56
; %bb.55:
	v_add_u32_e32 v14, -8, v21
	ds_read_b64 v[14:15], v14
.LBB1191_56:
	s_or_b64 exec, exec, s[2:3]
	v_cndmask_b32_e64 v17, 0, 1, s[36:37]
	v_cndmask_b32_e64 v16, 0, 1, s[18:19]
	;; [unrolled: 1-line block ×3, first 2 shown]
	v_lshlrev_b16_e32 v17, 8, v17
	v_lshlrev_b16_e32 v26, 8, v18
	v_or_b32_sdwa v27, v16, v17 dst_sel:WORD_1 dst_unused:UNUSED_PAD src0_sel:DWORD src1_sel:DWORD
	s_mov_b64 s[36:37], 0
	s_and_b64 vcc, exec, s[0:1]
	s_mov_b64 s[18:19], 0
	s_cbranch_vccnz .LBB1191_65
; %bb.57:
	s_waitcnt lgkmcnt(0)
	v_mul_lo_u32 v16, v15, s26
	v_mul_lo_u32 v17, v14, s27
	v_mad_u64_u32 v[14:15], s[2:3], v14, s26, 0
	v_add3_u32 v15, v15, v17, v16
	v_lshlrev_b64 v[14:15], 1, v[14:15]
	v_mov_b32_e32 v17, s29
	v_add_co_u32_e32 v16, vcc, s28, v14
	v_addc_co_u32_e64 v17, s[2:3], v17, v15, vcc
	v_mov_b32_e32 v14, s29
	v_add_co_u32_e64 v18, s[2:3], s28, v12
	v_addc_co_u32_e64 v19, s[8:9], v14, v13, s[2:3]
	global_load_ushort v12, v[16:17], off
	global_load_ushort v14, v[18:19], off
	s_mov_b64 s[18:19], -1
	s_waitcnt vmcnt(1)
	v_lshlrev_b32_e32 v12, 16, v12
	s_waitcnt vmcnt(0)
	v_lshlrev_b32_e32 v14, 16, v14
	v_cmp_eq_f32_e64 s[8:9], v12, v14
	s_and_saveexec_b64 s[38:39], s[8:9]
	s_cbranch_execz .LBB1191_64
; %bb.58:
	v_mov_b32_e32 v12, s29
	v_addc_co_u32_e64 v13, s[2:3], v13, v12, s[2:3]
	v_add_co_u32_e64 v12, s[2:3], 2, v18
	v_mov_b32_e32 v14, s29
	v_addc_co_u32_e64 v13, s[2:3], 0, v13, s[2:3]
	v_addc_co_u32_e32 v15, vcc, v15, v14, vcc
	v_add_co_u32_e32 v14, vcc, 2, v16
	s_add_u32 s2, s26, -1
	v_addc_co_u32_e32 v15, vcc, 0, v15, vcc
	s_addc_u32 s3, s27, -1
	s_mov_b64 s[8:9], 0
	s_mov_b64 s[40:41], 0
                                        ; implicit-def: $sgpr18_sgpr19
	s_branch .LBB1191_61
.LBB1191_59:                            ;   in Loop: Header=BB1191_61 Depth=1
	global_load_ushort v16, v[12:13], off
	global_load_ushort v17, v[14:15], off
	v_add_co_u32_e32 v12, vcc, 2, v12
	v_addc_co_u32_e32 v13, vcc, 0, v13, vcc
	v_add_co_u32_e32 v14, vcc, 2, v14
	v_addc_co_u32_e32 v15, vcc, 0, v15, vcc
	s_add_u32 s40, s40, 1
	s_addc_u32 s41, s41, 0
	s_andn2_b64 s[18:19], s[18:19], exec
	s_waitcnt vmcnt(1)
	v_lshlrev_b32_e32 v16, 16, v16
	s_waitcnt vmcnt(0)
	v_lshlrev_b32_e32 v17, 16, v17
	v_cmp_neq_f32_e32 vcc, v17, v16
	s_and_b64 s[42:43], vcc, exec
	s_or_b64 s[18:19], s[18:19], s[42:43]
.LBB1191_60:                            ;   in Loop: Header=BB1191_61 Depth=1
	s_and_b64 s[42:43], exec, s[18:19]
	s_or_b64 s[8:9], s[42:43], s[8:9]
	v_pk_mov_b32 v[16:17], s[40:41], s[40:41] op_sel:[0,1]
	s_andn2_b64 exec, exec, s[8:9]
	s_cbranch_execz .LBB1191_63
.LBB1191_61:                            ; =>This Inner Loop Header: Depth=1
	s_or_b64 s[18:19], s[18:19], exec
	s_cmp_eq_u64 s[2:3], s[40:41]
	s_cbranch_scc0 .LBB1191_59
; %bb.62:                               ;   in Loop: Header=BB1191_61 Depth=1
                                        ; implicit-def: $vgpr12_vgpr13
                                        ; implicit-def: $vgpr14_vgpr15
	s_mov_b64 s[40:41], s[26:27]
	s_branch .LBB1191_60
.LBB1191_63:
	s_or_b64 exec, exec, s[8:9]
	v_cmp_gt_i64_e32 vcc, s[26:27], v[16:17]
	s_orn2_b64 s[18:19], vcc, exec
.LBB1191_64:
	s_or_b64 exec, exec, s[38:39]
.LBB1191_65:
	v_cndmask_b32_e64 v13, 0, 1, s[14:15]
	v_or_b32_e32 v16, v26, v27
	s_and_b64 vcc, exec, s[36:37]
	s_cbranch_vccz .LBB1191_124
.LBB1191_66:
	v_cmp_gt_u32_e32 vcc, s7, v23
	s_mov_b64 s[18:19], 0
	s_mov_b64 s[14:15], 0
	s_and_saveexec_b64 s[36:37], vcc
	s_cbranch_execz .LBB1191_77
; %bb.67:
	s_and_b64 vcc, exec, s[0:1]
	s_mov_b64 s[38:39], 0
	s_cbranch_vccnz .LBB1191_76
; %bb.68:
	s_waitcnt lgkmcnt(0)
	v_mul_lo_u32 v14, v5, s26
	v_mul_lo_u32 v15, v4, s27
	v_mad_u64_u32 v[12:13], s[2:3], v4, s26, 0
	v_add3_u32 v13, v13, v15, v14
	v_mul_lo_u32 v14, v11, s26
	v_mul_lo_u32 v15, v10, s27
	v_mad_u64_u32 v[18:19], s[2:3], v10, s26, 0
	v_add3_u32 v19, v19, v15, v14
	v_lshlrev_b64 v[14:15], 1, v[12:13]
	v_mov_b32_e32 v12, s29
	v_add_co_u32_e32 v16, vcc, s28, v14
	v_addc_co_u32_e64 v17, s[2:3], v12, v15, vcc
	v_lshlrev_b64 v[12:13], 1, v[18:19]
	v_mov_b32_e32 v14, s29
	v_add_co_u32_e64 v18, s[2:3], s28, v12
	v_addc_co_u32_e64 v19, s[8:9], v14, v13, s[2:3]
	global_load_ushort v12, v[18:19], off
	global_load_ushort v14, v[16:17], off
	s_mov_b64 s[38:39], -1
	s_waitcnt vmcnt(1)
	v_lshlrev_b32_e32 v12, 16, v12
	s_waitcnt vmcnt(0)
	v_lshlrev_b32_e32 v14, 16, v14
	v_cmp_eq_f32_e64 s[8:9], v14, v12
	s_and_saveexec_b64 s[14:15], s[8:9]
	s_cbranch_execz .LBB1191_75
; %bb.69:
	v_mov_b32_e32 v12, s29
	v_addc_co_u32_e64 v13, s[2:3], v13, v12, s[2:3]
	v_add_co_u32_e64 v12, s[2:3], 2, v18
	v_mov_b32_e32 v14, s29
	v_addc_co_u32_e64 v13, s[2:3], 0, v13, s[2:3]
	v_addc_co_u32_e32 v15, vcc, v15, v14, vcc
	v_add_co_u32_e32 v14, vcc, 2, v16
	s_add_u32 s2, s26, -1
	v_addc_co_u32_e32 v15, vcc, 0, v15, vcc
	s_addc_u32 s3, s27, -1
	s_mov_b64 s[8:9], 0
	s_mov_b64 s[40:41], 0
                                        ; implicit-def: $sgpr38_sgpr39
	s_branch .LBB1191_72
.LBB1191_70:                            ;   in Loop: Header=BB1191_72 Depth=1
	global_load_ushort v16, v[12:13], off
	global_load_ushort v17, v[14:15], off
	v_add_co_u32_e32 v12, vcc, 2, v12
	v_addc_co_u32_e32 v13, vcc, 0, v13, vcc
	v_add_co_u32_e32 v14, vcc, 2, v14
	v_addc_co_u32_e32 v15, vcc, 0, v15, vcc
	s_add_u32 s40, s40, 1
	s_addc_u32 s41, s41, 0
	s_andn2_b64 s[38:39], s[38:39], exec
	s_waitcnt vmcnt(1)
	v_lshlrev_b32_e32 v16, 16, v16
	s_waitcnt vmcnt(0)
	v_lshlrev_b32_e32 v17, 16, v17
	v_cmp_neq_f32_e32 vcc, v17, v16
	s_and_b64 s[42:43], vcc, exec
	s_or_b64 s[38:39], s[38:39], s[42:43]
.LBB1191_71:                            ;   in Loop: Header=BB1191_72 Depth=1
	s_and_b64 s[42:43], exec, s[38:39]
	s_or_b64 s[8:9], s[42:43], s[8:9]
	v_pk_mov_b32 v[16:17], s[40:41], s[40:41] op_sel:[0,1]
	s_andn2_b64 exec, exec, s[8:9]
	s_cbranch_execz .LBB1191_74
.LBB1191_72:                            ; =>This Inner Loop Header: Depth=1
	s_or_b64 s[38:39], s[38:39], exec
	s_cmp_eq_u64 s[2:3], s[40:41]
	s_cbranch_scc0 .LBB1191_70
; %bb.73:                               ;   in Loop: Header=BB1191_72 Depth=1
                                        ; implicit-def: $vgpr12_vgpr13
                                        ; implicit-def: $vgpr14_vgpr15
	s_mov_b64 s[40:41], s[26:27]
	s_branch .LBB1191_71
.LBB1191_74:
	s_or_b64 exec, exec, s[8:9]
	v_cmp_gt_i64_e32 vcc, s[26:27], v[16:17]
	s_orn2_b64 s[38:39], vcc, exec
.LBB1191_75:
	s_or_b64 exec, exec, s[14:15]
.LBB1191_76:
	s_and_b64 s[14:15], s[38:39], exec
.LBB1191_77:
	s_or_b64 exec, exec, s[36:37]
	v_cmp_gt_u32_e32 vcc, s7, v25
	s_and_saveexec_b64 s[36:37], vcc
	s_cbranch_execz .LBB1191_88
; %bb.78:
	s_and_b64 vcc, exec, s[0:1]
	s_mov_b64 s[38:39], 0
	s_cbranch_vccnz .LBB1191_87
; %bb.79:
	s_waitcnt lgkmcnt(0)
	v_mul_lo_u32 v14, v3, s26
	v_mul_lo_u32 v15, v2, s27
	v_mad_u64_u32 v[12:13], s[2:3], v2, s26, 0
	v_add3_u32 v13, v13, v15, v14
	v_mul_lo_u32 v14, v5, s26
	v_mul_lo_u32 v15, v4, s27
	v_mad_u64_u32 v[18:19], s[2:3], v4, s26, 0
	v_add3_u32 v19, v19, v15, v14
	v_lshlrev_b64 v[14:15], 1, v[12:13]
	v_mov_b32_e32 v12, s29
	v_add_co_u32_e32 v16, vcc, s28, v14
	v_addc_co_u32_e64 v17, s[2:3], v12, v15, vcc
	v_lshlrev_b64 v[12:13], 1, v[18:19]
	v_mov_b32_e32 v14, s29
	v_add_co_u32_e64 v18, s[2:3], s28, v12
	v_addc_co_u32_e64 v19, s[8:9], v14, v13, s[2:3]
	global_load_ushort v12, v[18:19], off
	global_load_ushort v14, v[16:17], off
	s_mov_b64 s[38:39], -1
	s_waitcnt vmcnt(1)
	v_lshlrev_b32_e32 v12, 16, v12
	s_waitcnt vmcnt(0)
	v_lshlrev_b32_e32 v14, 16, v14
	v_cmp_eq_f32_e64 s[8:9], v14, v12
	s_and_saveexec_b64 s[18:19], s[8:9]
	s_cbranch_execz .LBB1191_86
; %bb.80:
	v_mov_b32_e32 v12, s29
	v_addc_co_u32_e64 v13, s[2:3], v13, v12, s[2:3]
	v_add_co_u32_e64 v12, s[2:3], 2, v18
	v_mov_b32_e32 v14, s29
	v_addc_co_u32_e64 v13, s[2:3], 0, v13, s[2:3]
	v_addc_co_u32_e32 v15, vcc, v15, v14, vcc
	v_add_co_u32_e32 v14, vcc, 2, v16
	s_add_u32 s2, s26, -1
	v_addc_co_u32_e32 v15, vcc, 0, v15, vcc
	s_addc_u32 s3, s27, -1
	s_mov_b64 s[8:9], 0
	s_mov_b64 s[40:41], 0
                                        ; implicit-def: $sgpr38_sgpr39
	s_branch .LBB1191_83
.LBB1191_81:                            ;   in Loop: Header=BB1191_83 Depth=1
	global_load_ushort v16, v[12:13], off
	global_load_ushort v17, v[14:15], off
	v_add_co_u32_e32 v12, vcc, 2, v12
	v_addc_co_u32_e32 v13, vcc, 0, v13, vcc
	v_add_co_u32_e32 v14, vcc, 2, v14
	v_addc_co_u32_e32 v15, vcc, 0, v15, vcc
	s_add_u32 s40, s40, 1
	s_addc_u32 s41, s41, 0
	s_andn2_b64 s[38:39], s[38:39], exec
	s_waitcnt vmcnt(1)
	v_lshlrev_b32_e32 v16, 16, v16
	s_waitcnt vmcnt(0)
	v_lshlrev_b32_e32 v17, 16, v17
	v_cmp_neq_f32_e32 vcc, v17, v16
	s_and_b64 s[42:43], vcc, exec
	s_or_b64 s[38:39], s[38:39], s[42:43]
.LBB1191_82:                            ;   in Loop: Header=BB1191_83 Depth=1
	s_and_b64 s[42:43], exec, s[38:39]
	s_or_b64 s[8:9], s[42:43], s[8:9]
	v_pk_mov_b32 v[16:17], s[40:41], s[40:41] op_sel:[0,1]
	s_andn2_b64 exec, exec, s[8:9]
	s_cbranch_execz .LBB1191_85
.LBB1191_83:                            ; =>This Inner Loop Header: Depth=1
	s_or_b64 s[38:39], s[38:39], exec
	s_cmp_eq_u64 s[2:3], s[40:41]
	s_cbranch_scc0 .LBB1191_81
; %bb.84:                               ;   in Loop: Header=BB1191_83 Depth=1
                                        ; implicit-def: $vgpr12_vgpr13
                                        ; implicit-def: $vgpr14_vgpr15
	s_mov_b64 s[40:41], s[26:27]
	s_branch .LBB1191_82
.LBB1191_85:
	s_or_b64 exec, exec, s[8:9]
	v_cmp_gt_i64_e32 vcc, s[26:27], v[16:17]
	s_orn2_b64 s[38:39], vcc, exec
.LBB1191_86:
	s_or_b64 exec, exec, s[18:19]
.LBB1191_87:
	s_and_b64 s[18:19], s[38:39], exec
.LBB1191_88:
	s_or_b64 exec, exec, s[36:37]
	v_cmp_gt_u32_e32 vcc, s7, v22
	s_mov_b64 s[36:37], 0
	s_mov_b64 s[38:39], 0
	s_and_saveexec_b64 s[40:41], vcc
	s_cbranch_execz .LBB1191_99
; %bb.89:
	s_and_b64 vcc, exec, s[0:1]
	s_mov_b64 s[42:43], 0
	s_cbranch_vccnz .LBB1191_98
; %bb.90:
	s_waitcnt lgkmcnt(0)
	v_mul_lo_u32 v14, v9, s26
	v_mul_lo_u32 v15, v8, s27
	v_mad_u64_u32 v[12:13], s[2:3], v8, s26, 0
	v_add3_u32 v13, v13, v15, v14
	v_mul_lo_u32 v14, v3, s26
	v_mul_lo_u32 v15, v2, s27
	v_mad_u64_u32 v[18:19], s[2:3], v2, s26, 0
	v_add3_u32 v19, v19, v15, v14
	v_lshlrev_b64 v[14:15], 1, v[12:13]
	v_mov_b32_e32 v12, s29
	v_add_co_u32_e32 v16, vcc, s28, v14
	v_addc_co_u32_e64 v17, s[2:3], v12, v15, vcc
	v_lshlrev_b64 v[12:13], 1, v[18:19]
	v_mov_b32_e32 v14, s29
	v_add_co_u32_e64 v18, s[2:3], s28, v12
	v_addc_co_u32_e64 v19, s[8:9], v14, v13, s[2:3]
	global_load_ushort v12, v[18:19], off
	global_load_ushort v14, v[16:17], off
	s_mov_b64 s[42:43], -1
	s_waitcnt vmcnt(1)
	v_lshlrev_b32_e32 v12, 16, v12
	s_waitcnt vmcnt(0)
	v_lshlrev_b32_e32 v14, 16, v14
	v_cmp_eq_f32_e64 s[8:9], v14, v12
	s_and_saveexec_b64 s[38:39], s[8:9]
	s_cbranch_execz .LBB1191_97
; %bb.91:
	v_mov_b32_e32 v12, s29
	v_addc_co_u32_e64 v13, s[2:3], v13, v12, s[2:3]
	v_add_co_u32_e64 v12, s[2:3], 2, v18
	v_mov_b32_e32 v14, s29
	v_addc_co_u32_e64 v13, s[2:3], 0, v13, s[2:3]
	v_addc_co_u32_e32 v15, vcc, v15, v14, vcc
	v_add_co_u32_e32 v14, vcc, 2, v16
	s_add_u32 s2, s26, -1
	v_addc_co_u32_e32 v15, vcc, 0, v15, vcc
	s_addc_u32 s3, s27, -1
	s_mov_b64 s[8:9], 0
	s_mov_b64 s[44:45], 0
                                        ; implicit-def: $sgpr42_sgpr43
	s_branch .LBB1191_94
.LBB1191_92:                            ;   in Loop: Header=BB1191_94 Depth=1
	global_load_ushort v16, v[12:13], off
	global_load_ushort v17, v[14:15], off
	v_add_co_u32_e32 v12, vcc, 2, v12
	v_addc_co_u32_e32 v13, vcc, 0, v13, vcc
	v_add_co_u32_e32 v14, vcc, 2, v14
	v_addc_co_u32_e32 v15, vcc, 0, v15, vcc
	s_add_u32 s44, s44, 1
	s_addc_u32 s45, s45, 0
	s_andn2_b64 s[42:43], s[42:43], exec
	s_waitcnt vmcnt(1)
	v_lshlrev_b32_e32 v16, 16, v16
	s_waitcnt vmcnt(0)
	v_lshlrev_b32_e32 v17, 16, v17
	v_cmp_neq_f32_e32 vcc, v17, v16
	s_and_b64 s[46:47], vcc, exec
	s_or_b64 s[42:43], s[42:43], s[46:47]
.LBB1191_93:                            ;   in Loop: Header=BB1191_94 Depth=1
	s_and_b64 s[46:47], exec, s[42:43]
	s_or_b64 s[8:9], s[46:47], s[8:9]
	v_pk_mov_b32 v[16:17], s[44:45], s[44:45] op_sel:[0,1]
	s_andn2_b64 exec, exec, s[8:9]
	s_cbranch_execz .LBB1191_96
.LBB1191_94:                            ; =>This Inner Loop Header: Depth=1
	s_or_b64 s[42:43], s[42:43], exec
	s_cmp_eq_u64 s[2:3], s[44:45]
	s_cbranch_scc0 .LBB1191_92
; %bb.95:                               ;   in Loop: Header=BB1191_94 Depth=1
                                        ; implicit-def: $vgpr12_vgpr13
                                        ; implicit-def: $vgpr14_vgpr15
	s_mov_b64 s[44:45], s[26:27]
	s_branch .LBB1191_93
.LBB1191_96:
	s_or_b64 exec, exec, s[8:9]
	v_cmp_gt_i64_e32 vcc, s[26:27], v[16:17]
	s_orn2_b64 s[42:43], vcc, exec
.LBB1191_97:
	s_or_b64 exec, exec, s[38:39]
.LBB1191_98:
	s_and_b64 s[38:39], s[42:43], exec
.LBB1191_99:
	s_or_b64 exec, exec, s[40:41]
	v_cmp_gt_u32_e32 vcc, s7, v24
	s_and_saveexec_b64 s[40:41], vcc
	s_cbranch_execz .LBB1191_110
; %bb.100:
	s_and_b64 vcc, exec, s[0:1]
	s_mov_b64 s[42:43], 0
	s_cbranch_vccnz .LBB1191_109
; %bb.101:
	s_waitcnt lgkmcnt(0)
	v_mul_lo_u32 v14, v7, s26
	v_mul_lo_u32 v15, v6, s27
	v_mad_u64_u32 v[12:13], s[2:3], v6, s26, 0
	v_add3_u32 v13, v13, v15, v14
	v_mul_lo_u32 v14, v9, s26
	v_mul_lo_u32 v15, v8, s27
	v_mad_u64_u32 v[18:19], s[2:3], v8, s26, 0
	v_add3_u32 v19, v19, v15, v14
	v_lshlrev_b64 v[14:15], 1, v[12:13]
	v_mov_b32_e32 v12, s29
	v_add_co_u32_e32 v16, vcc, s28, v14
	v_addc_co_u32_e64 v17, s[2:3], v12, v15, vcc
	v_lshlrev_b64 v[12:13], 1, v[18:19]
	v_mov_b32_e32 v14, s29
	v_add_co_u32_e64 v18, s[2:3], s28, v12
	v_addc_co_u32_e64 v19, s[8:9], v14, v13, s[2:3]
	global_load_ushort v12, v[18:19], off
	global_load_ushort v14, v[16:17], off
	s_mov_b64 s[42:43], -1
	s_waitcnt vmcnt(1)
	v_lshlrev_b32_e32 v12, 16, v12
	s_waitcnt vmcnt(0)
	v_lshlrev_b32_e32 v14, 16, v14
	v_cmp_eq_f32_e64 s[8:9], v14, v12
	s_and_saveexec_b64 s[36:37], s[8:9]
	s_cbranch_execz .LBB1191_108
; %bb.102:
	v_mov_b32_e32 v12, s29
	v_addc_co_u32_e64 v13, s[2:3], v13, v12, s[2:3]
	v_add_co_u32_e64 v12, s[2:3], 2, v18
	v_mov_b32_e32 v14, s29
	v_addc_co_u32_e64 v13, s[2:3], 0, v13, s[2:3]
	v_addc_co_u32_e32 v15, vcc, v15, v14, vcc
	v_add_co_u32_e32 v14, vcc, 2, v16
	s_add_u32 s2, s26, -1
	v_addc_co_u32_e32 v15, vcc, 0, v15, vcc
	s_addc_u32 s3, s27, -1
	s_mov_b64 s[8:9], 0
	s_mov_b64 s[44:45], 0
                                        ; implicit-def: $sgpr42_sgpr43
	s_branch .LBB1191_105
.LBB1191_103:                           ;   in Loop: Header=BB1191_105 Depth=1
	global_load_ushort v16, v[12:13], off
	global_load_ushort v17, v[14:15], off
	v_add_co_u32_e32 v12, vcc, 2, v12
	v_addc_co_u32_e32 v13, vcc, 0, v13, vcc
	v_add_co_u32_e32 v14, vcc, 2, v14
	v_addc_co_u32_e32 v15, vcc, 0, v15, vcc
	s_add_u32 s44, s44, 1
	s_addc_u32 s45, s45, 0
	s_andn2_b64 s[42:43], s[42:43], exec
	s_waitcnt vmcnt(1)
	v_lshlrev_b32_e32 v16, 16, v16
	s_waitcnt vmcnt(0)
	v_lshlrev_b32_e32 v17, 16, v17
	v_cmp_neq_f32_e32 vcc, v17, v16
	s_and_b64 s[46:47], vcc, exec
	s_or_b64 s[42:43], s[42:43], s[46:47]
.LBB1191_104:                           ;   in Loop: Header=BB1191_105 Depth=1
	s_and_b64 s[46:47], exec, s[42:43]
	s_or_b64 s[8:9], s[46:47], s[8:9]
	v_pk_mov_b32 v[16:17], s[44:45], s[44:45] op_sel:[0,1]
	s_andn2_b64 exec, exec, s[8:9]
	s_cbranch_execz .LBB1191_107
.LBB1191_105:                           ; =>This Inner Loop Header: Depth=1
	s_or_b64 s[42:43], s[42:43], exec
	s_cmp_eq_u64 s[2:3], s[44:45]
	s_cbranch_scc0 .LBB1191_103
; %bb.106:                              ;   in Loop: Header=BB1191_105 Depth=1
                                        ; implicit-def: $vgpr12_vgpr13
                                        ; implicit-def: $vgpr14_vgpr15
	s_mov_b64 s[44:45], s[26:27]
	s_branch .LBB1191_104
.LBB1191_107:
	s_or_b64 exec, exec, s[8:9]
	v_cmp_gt_i64_e32 vcc, s[26:27], v[16:17]
	s_orn2_b64 s[42:43], vcc, exec
.LBB1191_108:
	s_or_b64 exec, exec, s[36:37]
.LBB1191_109:
	s_and_b64 s[36:37], s[42:43], exec
.LBB1191_110:
	s_or_b64 exec, exec, s[40:41]
	v_cmp_ne_u32_e32 vcc, 0, v0
	s_waitcnt lgkmcnt(0)
	v_pk_mov_b32 v[12:13], s[12:13], s[12:13] op_sel:[0,1]
	s_barrier
	s_and_saveexec_b64 s[2:3], vcc
	s_cbranch_execz .LBB1191_112
; %bb.111:
	v_add_u32_e32 v12, -8, v21
	ds_read_b64 v[12:13], v12
.LBB1191_112:
	s_or_b64 exec, exec, s[2:3]
	v_cndmask_b32_e64 v15, 0, 1, s[18:19]
	v_cndmask_b32_e64 v14, 0, 1, s[38:39]
	;; [unrolled: 1-line block ×3, first 2 shown]
	v_lshlrev_b16_e32 v15, 8, v15
	v_cmp_gt_u32_e32 vcc, s7, v1
	v_lshlrev_b16_e32 v21, 8, v16
	v_or_b32_sdwa v26, v14, v15 dst_sel:WORD_1 dst_unused:UNUSED_PAD src0_sel:DWORD src1_sel:DWORD
	s_mov_b64 s[18:19], 0
	s_and_saveexec_b64 s[8:9], vcc
	s_cbranch_execz .LBB1191_123
; %bb.113:
	s_and_b64 vcc, exec, s[0:1]
	s_cbranch_vccnz .LBB1191_122
; %bb.114:
	s_waitcnt lgkmcnt(0)
	v_mul_lo_u32 v14, v13, s26
	v_mul_lo_u32 v15, v12, s27
	v_mad_u64_u32 v[12:13], s[0:1], v12, s26, 0
	v_add3_u32 v13, v13, v15, v14
	v_mul_lo_u32 v14, v7, s26
	v_mul_lo_u32 v15, v6, s27
	v_mad_u64_u32 v[18:19], s[0:1], v6, s26, 0
	v_add3_u32 v19, v19, v15, v14
	v_lshlrev_b64 v[14:15], 1, v[12:13]
	v_mov_b32_e32 v12, s29
	v_add_co_u32_e32 v16, vcc, s28, v14
	v_addc_co_u32_e64 v17, s[0:1], v12, v15, vcc
	v_lshlrev_b64 v[12:13], 1, v[18:19]
	v_mov_b32_e32 v14, s29
	v_add_co_u32_e64 v18, s[0:1], s28, v12
	v_addc_co_u32_e64 v19, s[2:3], v14, v13, s[0:1]
	global_load_ushort v12, v[18:19], off
	global_load_ushort v14, v[16:17], off
	s_mov_b64 s[18:19], -1
	s_waitcnt vmcnt(1)
	v_lshlrev_b32_e32 v12, 16, v12
	s_waitcnt vmcnt(0)
	v_lshlrev_b32_e32 v14, 16, v14
	v_cmp_eq_f32_e64 s[2:3], v14, v12
	s_and_saveexec_b64 s[12:13], s[2:3]
	s_cbranch_execz .LBB1191_121
; %bb.115:
	v_mov_b32_e32 v12, s29
	v_addc_co_u32_e64 v13, s[0:1], v13, v12, s[0:1]
	v_add_co_u32_e64 v12, s[0:1], 2, v18
	v_mov_b32_e32 v14, s29
	v_addc_co_u32_e64 v13, s[0:1], 0, v13, s[0:1]
	v_addc_co_u32_e32 v15, vcc, v15, v14, vcc
	v_add_co_u32_e32 v14, vcc, 2, v16
	s_add_u32 s0, s26, -1
	v_addc_co_u32_e32 v15, vcc, 0, v15, vcc
	s_addc_u32 s1, s27, -1
	s_mov_b64 s[2:3], 0
	s_mov_b64 s[36:37], 0
                                        ; implicit-def: $sgpr18_sgpr19
	s_branch .LBB1191_118
.LBB1191_116:                           ;   in Loop: Header=BB1191_118 Depth=1
	global_load_ushort v16, v[12:13], off
	global_load_ushort v17, v[14:15], off
	v_add_co_u32_e32 v12, vcc, 2, v12
	v_addc_co_u32_e32 v13, vcc, 0, v13, vcc
	v_add_co_u32_e32 v14, vcc, 2, v14
	v_addc_co_u32_e32 v15, vcc, 0, v15, vcc
	s_add_u32 s36, s36, 1
	s_addc_u32 s37, s37, 0
	s_andn2_b64 s[18:19], s[18:19], exec
	s_waitcnt vmcnt(1)
	v_lshlrev_b32_e32 v16, 16, v16
	s_waitcnt vmcnt(0)
	v_lshlrev_b32_e32 v17, 16, v17
	v_cmp_neq_f32_e32 vcc, v17, v16
	s_and_b64 s[38:39], vcc, exec
	s_or_b64 s[18:19], s[18:19], s[38:39]
.LBB1191_117:                           ;   in Loop: Header=BB1191_118 Depth=1
	s_and_b64 s[38:39], exec, s[18:19]
	s_or_b64 s[2:3], s[38:39], s[2:3]
	v_pk_mov_b32 v[16:17], s[36:37], s[36:37] op_sel:[0,1]
	s_andn2_b64 exec, exec, s[2:3]
	s_cbranch_execz .LBB1191_120
.LBB1191_118:                           ; =>This Inner Loop Header: Depth=1
	s_or_b64 s[18:19], s[18:19], exec
	s_cmp_eq_u64 s[0:1], s[36:37]
	s_cbranch_scc0 .LBB1191_116
; %bb.119:                              ;   in Loop: Header=BB1191_118 Depth=1
                                        ; implicit-def: $vgpr12_vgpr13
                                        ; implicit-def: $vgpr14_vgpr15
	s_mov_b64 s[36:37], s[26:27]
	s_branch .LBB1191_117
.LBB1191_120:
	s_or_b64 exec, exec, s[2:3]
	v_cmp_gt_i64_e32 vcc, s[26:27], v[16:17]
	s_orn2_b64 s[18:19], vcc, exec
.LBB1191_121:
	s_or_b64 exec, exec, s[12:13]
.LBB1191_122:
	s_and_b64 s[18:19], s[18:19], exec
.LBB1191_123:
	s_or_b64 exec, exec, s[8:9]
	s_waitcnt lgkmcnt(0)
	v_cndmask_b32_e64 v13, 0, 1, s[14:15]
	v_or_b32_e32 v16, v21, v26
.LBB1191_124:
	s_waitcnt lgkmcnt(0)
	s_mov_b64 s[12:13], -1
	s_cbranch_execnz .LBB1191_233
.LBB1191_125:
	v_lshlrev_b32_e32 v12, 5, v0
	v_sub_u32_e32 v26, v20, v12
	s_mov_b64 s[18:19], 0
	v_cmp_gt_i64_e64 s[14:15], s[26:27], 0
	s_and_b64 vcc, exec, s[34:35]
	ds_write_b64 v26, v[10:11]
	s_cbranch_vccz .LBB1191_133
; %bb.126:
	v_mul_lo_u32 v14, v5, s26
	v_mul_lo_u32 v15, v4, s27
	v_mad_u64_u32 v[12:13], s[0:1], v4, s26, 0
	v_add3_u32 v13, v13, v15, v14
	v_cndmask_b32_e64 v14, 0, 1, s[14:15]
	v_cmp_ne_u32_e64 s[0:1], 1, v14
	s_andn2_b64 vcc, exec, s[14:15]
	v_lshlrev_b64 v[12:13], 1, v[12:13]
	s_cbranch_vccnz .LBB1191_136
; %bb.127:
	v_mul_lo_u32 v16, v11, s26
	v_mul_lo_u32 v17, v10, s27
	v_mad_u64_u32 v[14:15], s[2:3], v10, s26, 0
	v_add3_u32 v15, v15, v17, v16
	v_mov_b32_e32 v17, s29
	v_add_co_u32_e32 v16, vcc, s28, v12
	v_addc_co_u32_e64 v17, s[2:3], v17, v13, vcc
	v_lshlrev_b64 v[14:15], 1, v[14:15]
	v_mov_b32_e32 v19, s29
	v_add_co_u32_e64 v18, s[2:3], s28, v14
	v_addc_co_u32_e64 v19, s[8:9], v19, v15, s[2:3]
	global_load_ushort v14, v[18:19], off
	global_load_ushort v20, v[16:17], off
	s_mov_b64 s[18:19], -1
	s_waitcnt vmcnt(1)
	v_lshlrev_b32_e32 v14, 16, v14
	s_waitcnt vmcnt(0)
	v_lshlrev_b32_e32 v17, 16, v20
	v_cmp_eq_f32_e64 s[8:9], v17, v14
	s_and_saveexec_b64 s[36:37], s[8:9]
	s_cbranch_execz .LBB1191_135
; %bb.128:
	v_mov_b32_e32 v14, s29
	v_addc_co_u32_e64 v15, s[2:3], v15, v14, s[2:3]
	v_add_co_u32_e64 v14, s[2:3], 2, v18
	v_mov_b32_e32 v17, s29
	v_addc_co_u32_e64 v15, s[2:3], 0, v15, s[2:3]
	v_addc_co_u32_e32 v17, vcc, v13, v17, vcc
	v_add_co_u32_e32 v16, vcc, 2, v16
	s_add_u32 s2, s26, -1
	v_addc_co_u32_e32 v17, vcc, 0, v17, vcc
	s_addc_u32 s3, s27, -1
	s_mov_b64 s[8:9], 0
	s_mov_b64 s[38:39], 0
                                        ; implicit-def: $sgpr18_sgpr19
	s_branch .LBB1191_131
.LBB1191_129:                           ;   in Loop: Header=BB1191_131 Depth=1
	global_load_ushort v18, v[14:15], off
	global_load_ushort v19, v[16:17], off
	v_add_co_u32_e32 v14, vcc, 2, v14
	v_addc_co_u32_e32 v15, vcc, 0, v15, vcc
	v_add_co_u32_e32 v16, vcc, 2, v16
	v_addc_co_u32_e32 v17, vcc, 0, v17, vcc
	s_add_u32 s38, s38, 1
	s_addc_u32 s39, s39, 0
	s_andn2_b64 s[18:19], s[18:19], exec
	s_waitcnt vmcnt(1)
	v_lshlrev_b32_e32 v18, 16, v18
	s_waitcnt vmcnt(0)
	v_lshlrev_b32_e32 v19, 16, v19
	v_cmp_neq_f32_e32 vcc, v19, v18
	s_and_b64 s[40:41], vcc, exec
	s_or_b64 s[18:19], s[18:19], s[40:41]
.LBB1191_130:                           ;   in Loop: Header=BB1191_131 Depth=1
	s_and_b64 s[40:41], exec, s[18:19]
	s_or_b64 s[8:9], s[40:41], s[8:9]
	v_pk_mov_b32 v[18:19], s[38:39], s[38:39] op_sel:[0,1]
	s_andn2_b64 exec, exec, s[8:9]
	s_cbranch_execz .LBB1191_134
.LBB1191_131:                           ; =>This Inner Loop Header: Depth=1
	s_or_b64 s[18:19], s[18:19], exec
	s_cmp_eq_u64 s[2:3], s[38:39]
	s_cbranch_scc0 .LBB1191_129
; %bb.132:                              ;   in Loop: Header=BB1191_131 Depth=1
                                        ; implicit-def: $vgpr14_vgpr15
                                        ; implicit-def: $vgpr16_vgpr17
	s_mov_b64 s[38:39], s[26:27]
	s_branch .LBB1191_130
.LBB1191_133:
                                        ; implicit-def: $sgpr18_sgpr19
                                        ; implicit-def: $vgpr13
                                        ; implicit-def: $vgpr16
	s_cbranch_execnz .LBB1191_175
	s_branch .LBB1191_233
.LBB1191_134:
	s_or_b64 exec, exec, s[8:9]
	v_cmp_gt_i64_e32 vcc, s[26:27], v[18:19]
	s_orn2_b64 s[18:19], vcc, exec
.LBB1191_135:
	s_or_b64 exec, exec, s[36:37]
.LBB1191_136:
	v_mul_lo_u32 v16, v3, s26
	v_mul_lo_u32 v17, v2, s27
	v_mad_u64_u32 v[14:15], s[2:3], v2, s26, 0
	v_add3_u32 v15, v15, v17, v16
	s_mov_b64 s[36:37], 0
	s_and_b64 vcc, exec, s[0:1]
	v_lshlrev_b64 v[14:15], 1, v[14:15]
	s_mov_b64 s[38:39], 0
	s_cbranch_vccnz .LBB1191_145
; %bb.137:
	v_mov_b32_e32 v17, s29
	v_add_co_u32_e32 v16, vcc, s28, v14
	v_addc_co_u32_e64 v17, s[2:3], v17, v15, vcc
	v_mov_b32_e32 v19, s29
	v_add_co_u32_e64 v18, s[2:3], s28, v12
	v_addc_co_u32_e64 v19, s[8:9], v19, v13, s[2:3]
	global_load_ushort v12, v[18:19], off
	global_load_ushort v20, v[16:17], off
	s_mov_b64 s[38:39], -1
	s_waitcnt vmcnt(1)
	v_lshlrev_b32_e32 v12, 16, v12
	s_waitcnt vmcnt(0)
	v_lshlrev_b32_e32 v17, 16, v20
	v_cmp_eq_f32_e64 s[8:9], v17, v12
	s_and_saveexec_b64 s[40:41], s[8:9]
	s_cbranch_execz .LBB1191_144
; %bb.138:
	v_mov_b32_e32 v12, s29
	v_addc_co_u32_e64 v13, s[2:3], v13, v12, s[2:3]
	v_add_co_u32_e64 v12, s[2:3], 2, v18
	v_mov_b32_e32 v17, s29
	v_addc_co_u32_e64 v13, s[2:3], 0, v13, s[2:3]
	v_addc_co_u32_e32 v17, vcc, v15, v17, vcc
	v_add_co_u32_e32 v16, vcc, 2, v16
	s_add_u32 s2, s26, -1
	v_addc_co_u32_e32 v17, vcc, 0, v17, vcc
	s_addc_u32 s3, s27, -1
	s_mov_b64 s[8:9], 0
	s_mov_b64 s[42:43], 0
                                        ; implicit-def: $sgpr38_sgpr39
	s_branch .LBB1191_141
.LBB1191_139:                           ;   in Loop: Header=BB1191_141 Depth=1
	global_load_ushort v18, v[12:13], off
	global_load_ushort v19, v[16:17], off
	v_add_co_u32_e32 v12, vcc, 2, v12
	v_addc_co_u32_e32 v13, vcc, 0, v13, vcc
	v_add_co_u32_e32 v16, vcc, 2, v16
	v_addc_co_u32_e32 v17, vcc, 0, v17, vcc
	s_add_u32 s42, s42, 1
	s_addc_u32 s43, s43, 0
	s_andn2_b64 s[38:39], s[38:39], exec
	s_waitcnt vmcnt(1)
	v_lshlrev_b32_e32 v18, 16, v18
	s_waitcnt vmcnt(0)
	v_lshlrev_b32_e32 v19, 16, v19
	v_cmp_neq_f32_e32 vcc, v19, v18
	s_and_b64 s[44:45], vcc, exec
	s_or_b64 s[38:39], s[38:39], s[44:45]
.LBB1191_140:                           ;   in Loop: Header=BB1191_141 Depth=1
	s_and_b64 s[44:45], exec, s[38:39]
	s_or_b64 s[8:9], s[44:45], s[8:9]
	v_pk_mov_b32 v[18:19], s[42:43], s[42:43] op_sel:[0,1]
	s_andn2_b64 exec, exec, s[8:9]
	s_cbranch_execz .LBB1191_143
.LBB1191_141:                           ; =>This Inner Loop Header: Depth=1
	s_or_b64 s[38:39], s[38:39], exec
	s_cmp_eq_u64 s[2:3], s[42:43]
	s_cbranch_scc0 .LBB1191_139
; %bb.142:                              ;   in Loop: Header=BB1191_141 Depth=1
                                        ; implicit-def: $vgpr12_vgpr13
                                        ; implicit-def: $vgpr16_vgpr17
	s_mov_b64 s[42:43], s[26:27]
	s_branch .LBB1191_140
.LBB1191_143:
	s_or_b64 exec, exec, s[8:9]
	v_cmp_gt_i64_e32 vcc, s[26:27], v[18:19]
	s_orn2_b64 s[38:39], vcc, exec
.LBB1191_144:
	s_or_b64 exec, exec, s[40:41]
.LBB1191_145:
	v_mul_lo_u32 v16, v9, s26
	v_mul_lo_u32 v17, v8, s27
	v_mad_u64_u32 v[12:13], s[2:3], v8, s26, 0
	v_add3_u32 v13, v13, v17, v16
	s_and_b64 vcc, exec, s[0:1]
	v_lshlrev_b64 v[12:13], 1, v[12:13]
	s_cbranch_vccnz .LBB1191_154
; %bb.146:
	v_mov_b32_e32 v17, s29
	v_add_co_u32_e32 v16, vcc, s28, v12
	v_addc_co_u32_e64 v17, s[2:3], v17, v13, vcc
	v_mov_b32_e32 v19, s29
	v_add_co_u32_e64 v18, s[2:3], s28, v14
	v_addc_co_u32_e64 v19, s[8:9], v19, v15, s[2:3]
	global_load_ushort v14, v[18:19], off
	global_load_ushort v20, v[16:17], off
	s_mov_b64 s[36:37], -1
	s_waitcnt vmcnt(1)
	v_lshlrev_b32_e32 v14, 16, v14
	s_waitcnt vmcnt(0)
	v_lshlrev_b32_e32 v17, 16, v20
	v_cmp_eq_f32_e64 s[8:9], v17, v14
	s_and_saveexec_b64 s[40:41], s[8:9]
	s_cbranch_execz .LBB1191_153
; %bb.147:
	v_mov_b32_e32 v14, s29
	v_addc_co_u32_e64 v15, s[2:3], v15, v14, s[2:3]
	v_add_co_u32_e64 v14, s[2:3], 2, v18
	v_mov_b32_e32 v17, s29
	v_addc_co_u32_e64 v15, s[2:3], 0, v15, s[2:3]
	v_addc_co_u32_e32 v17, vcc, v13, v17, vcc
	v_add_co_u32_e32 v16, vcc, 2, v16
	s_add_u32 s2, s26, -1
	v_addc_co_u32_e32 v17, vcc, 0, v17, vcc
	s_addc_u32 s3, s27, -1
	s_mov_b64 s[8:9], 0
	s_mov_b64 s[42:43], 0
                                        ; implicit-def: $sgpr36_sgpr37
	s_branch .LBB1191_150
.LBB1191_148:                           ;   in Loop: Header=BB1191_150 Depth=1
	global_load_ushort v18, v[14:15], off
	global_load_ushort v19, v[16:17], off
	v_add_co_u32_e32 v14, vcc, 2, v14
	v_addc_co_u32_e32 v15, vcc, 0, v15, vcc
	v_add_co_u32_e32 v16, vcc, 2, v16
	v_addc_co_u32_e32 v17, vcc, 0, v17, vcc
	s_add_u32 s42, s42, 1
	s_addc_u32 s43, s43, 0
	s_andn2_b64 s[36:37], s[36:37], exec
	s_waitcnt vmcnt(1)
	v_lshlrev_b32_e32 v18, 16, v18
	s_waitcnt vmcnt(0)
	v_lshlrev_b32_e32 v19, 16, v19
	v_cmp_neq_f32_e32 vcc, v19, v18
	s_and_b64 s[44:45], vcc, exec
	s_or_b64 s[36:37], s[36:37], s[44:45]
.LBB1191_149:                           ;   in Loop: Header=BB1191_150 Depth=1
	s_and_b64 s[44:45], exec, s[36:37]
	s_or_b64 s[8:9], s[44:45], s[8:9]
	v_pk_mov_b32 v[18:19], s[42:43], s[42:43] op_sel:[0,1]
	s_andn2_b64 exec, exec, s[8:9]
	s_cbranch_execz .LBB1191_152
.LBB1191_150:                           ; =>This Inner Loop Header: Depth=1
	s_or_b64 s[36:37], s[36:37], exec
	s_cmp_eq_u64 s[2:3], s[42:43]
	s_cbranch_scc0 .LBB1191_148
; %bb.151:                              ;   in Loop: Header=BB1191_150 Depth=1
                                        ; implicit-def: $vgpr14_vgpr15
                                        ; implicit-def: $vgpr16_vgpr17
	s_mov_b64 s[42:43], s[26:27]
	s_branch .LBB1191_149
.LBB1191_152:
	s_or_b64 exec, exec, s[8:9]
	v_cmp_gt_i64_e32 vcc, s[26:27], v[18:19]
	s_orn2_b64 s[36:37], vcc, exec
.LBB1191_153:
	s_or_b64 exec, exec, s[40:41]
.LBB1191_154:
	v_mul_lo_u32 v16, v7, s26
	v_mul_lo_u32 v17, v6, s27
	v_mad_u64_u32 v[14:15], s[2:3], v6, s26, 0
	v_add3_u32 v15, v15, v17, v16
	s_and_b64 vcc, exec, s[0:1]
	s_mov_b64 s[42:43], 0
	s_cbranch_vccnz .LBB1191_163
; %bb.155:
	v_lshlrev_b64 v[16:17], 1, v[14:15]
	v_mov_b32_e32 v19, s29
	v_add_co_u32_e32 v18, vcc, s28, v16
	v_addc_co_u32_e64 v19, s[2:3], v19, v17, vcc
	v_mov_b32_e32 v16, s29
	v_add_co_u32_e64 v20, s[2:3], s28, v12
	v_addc_co_u32_e64 v21, s[8:9], v16, v13, s[2:3]
	global_load_ushort v12, v[20:21], off
	global_load_ushort v16, v[18:19], off
	s_mov_b64 s[42:43], -1
	s_waitcnt vmcnt(1)
	v_lshlrev_b32_e32 v12, 16, v12
	s_waitcnt vmcnt(0)
	v_lshlrev_b32_e32 v16, 16, v16
	v_cmp_eq_f32_e64 s[8:9], v16, v12
	s_and_saveexec_b64 s[40:41], s[8:9]
	s_cbranch_execz .LBB1191_162
; %bb.156:
	v_mov_b32_e32 v12, s29
	v_addc_co_u32_e64 v13, s[2:3], v13, v12, s[2:3]
	v_add_co_u32_e64 v12, s[2:3], 2, v20
	v_mov_b32_e32 v16, s29
	v_addc_co_u32_e64 v13, s[2:3], 0, v13, s[2:3]
	v_addc_co_u32_e32 v17, vcc, v17, v16, vcc
	v_add_co_u32_e32 v16, vcc, 2, v18
	s_add_u32 s2, s26, -1
	v_addc_co_u32_e32 v17, vcc, 0, v17, vcc
	s_addc_u32 s3, s27, -1
	s_mov_b64 s[8:9], 0
	s_mov_b64 s[44:45], 0
                                        ; implicit-def: $sgpr42_sgpr43
	s_branch .LBB1191_159
.LBB1191_157:                           ;   in Loop: Header=BB1191_159 Depth=1
	global_load_ushort v18, v[12:13], off
	global_load_ushort v19, v[16:17], off
	v_add_co_u32_e32 v12, vcc, 2, v12
	v_addc_co_u32_e32 v13, vcc, 0, v13, vcc
	v_add_co_u32_e32 v16, vcc, 2, v16
	v_addc_co_u32_e32 v17, vcc, 0, v17, vcc
	s_add_u32 s44, s44, 1
	s_addc_u32 s45, s45, 0
	s_andn2_b64 s[42:43], s[42:43], exec
	s_waitcnt vmcnt(1)
	v_lshlrev_b32_e32 v18, 16, v18
	s_waitcnt vmcnt(0)
	v_lshlrev_b32_e32 v19, 16, v19
	v_cmp_neq_f32_e32 vcc, v19, v18
	s_and_b64 s[46:47], vcc, exec
	s_or_b64 s[42:43], s[42:43], s[46:47]
.LBB1191_158:                           ;   in Loop: Header=BB1191_159 Depth=1
	s_and_b64 s[46:47], exec, s[42:43]
	s_or_b64 s[8:9], s[46:47], s[8:9]
	v_pk_mov_b32 v[18:19], s[44:45], s[44:45] op_sel:[0,1]
	s_andn2_b64 exec, exec, s[8:9]
	s_cbranch_execz .LBB1191_161
.LBB1191_159:                           ; =>This Inner Loop Header: Depth=1
	s_or_b64 s[42:43], s[42:43], exec
	s_cmp_eq_u64 s[2:3], s[44:45]
	s_cbranch_scc0 .LBB1191_157
; %bb.160:                              ;   in Loop: Header=BB1191_159 Depth=1
                                        ; implicit-def: $vgpr12_vgpr13
                                        ; implicit-def: $vgpr16_vgpr17
	s_mov_b64 s[44:45], s[26:27]
	s_branch .LBB1191_158
.LBB1191_161:
	s_or_b64 exec, exec, s[8:9]
	v_cmp_gt_i64_e32 vcc, s[26:27], v[18:19]
	s_orn2_b64 s[42:43], vcc, exec
.LBB1191_162:
	s_or_b64 exec, exec, s[40:41]
.LBB1191_163:
	v_cndmask_b32_e64 v13, 0, 1, s[38:39]
	v_cndmask_b32_e64 v16, 0, 1, s[42:43]
	v_cndmask_b32_e64 v12, 0, 1, s[36:37]
	v_lshlrev_b16_e32 v16, 8, v16
	v_lshlrev_b16_e32 v13, 8, v13
	v_or_b32_e32 v16, 1, v16
	v_or_b32_sdwa v12, v12, v13 dst_sel:WORD_1 dst_unused:UNUSED_PAD src0_sel:DWORD src1_sel:DWORD
	v_or_b32_sdwa v12, v16, v12 dst_sel:DWORD dst_unused:UNUSED_PAD src0_sel:WORD_0 src1_sel:DWORD
	v_cndmask_b32_e64 v13, 0, 1, s[18:19]
	v_cmp_ne_u32_e32 vcc, 0, v0
	s_waitcnt lgkmcnt(0)
	s_barrier
	s_waitcnt lgkmcnt(0)
                                        ; implicit-def: $sgpr18_sgpr19
                                        ; implicit-def: $vgpr16
	s_and_saveexec_b64 s[2:3], vcc
	s_xor_b64 s[8:9], exec, s[2:3]
	s_cbranch_execz .LBB1191_174
; %bb.164:
	s_mov_b32 s33, 0x3020104
	s_and_b64 vcc, exec, s[0:1]
	s_mov_b64 s[36:37], 0
	s_cbranch_vccnz .LBB1191_173
; %bb.165:
	v_add_u32_e32 v16, -8, v26
	ds_read_b64 v[16:17], v16
	v_mov_b32_e32 v19, s29
	v_lshlrev_b64 v[14:15], 1, v[14:15]
	s_mov_b64 s[36:37], -1
	s_waitcnt lgkmcnt(0)
	v_mul_lo_u32 v18, v17, s26
	v_mul_lo_u32 v20, v16, s27
	v_mad_u64_u32 v[16:17], s[0:1], v16, s26, 0
	v_add3_u32 v17, v17, v20, v18
	v_lshlrev_b64 v[16:17], 1, v[16:17]
	v_add_co_u32_e32 v18, vcc, s28, v16
	v_addc_co_u32_e64 v19, s[0:1], v19, v17, vcc
	v_mov_b32_e32 v16, s29
	v_add_co_u32_e64 v20, s[0:1], s28, v14
	v_addc_co_u32_e64 v21, s[2:3], v16, v15, s[0:1]
	global_load_ushort v14, v[18:19], off
	global_load_ushort v16, v[20:21], off
	s_waitcnt vmcnt(1)
	v_lshlrev_b32_e32 v14, 16, v14
	s_waitcnt vmcnt(0)
	v_lshlrev_b32_e32 v16, 16, v16
	v_cmp_eq_f32_e64 s[2:3], v14, v16
	s_and_saveexec_b64 s[18:19], s[2:3]
	s_cbranch_execz .LBB1191_172
; %bb.166:
	v_mov_b32_e32 v14, s29
	v_addc_co_u32_e64 v15, s[0:1], v15, v14, s[0:1]
	v_add_co_u32_e64 v14, s[0:1], 2, v20
	v_mov_b32_e32 v16, s29
	v_addc_co_u32_e64 v15, s[0:1], 0, v15, s[0:1]
	v_addc_co_u32_e32 v17, vcc, v17, v16, vcc
	v_add_co_u32_e32 v16, vcc, 2, v18
	s_add_u32 s0, s26, -1
	v_addc_co_u32_e32 v17, vcc, 0, v17, vcc
	s_addc_u32 s1, s27, -1
	s_mov_b64 s[2:3], 0
	s_mov_b64 s[38:39], 0
                                        ; implicit-def: $sgpr36_sgpr37
	s_branch .LBB1191_169
.LBB1191_167:                           ;   in Loop: Header=BB1191_169 Depth=1
	global_load_ushort v18, v[14:15], off
	global_load_ushort v19, v[16:17], off
	v_add_co_u32_e32 v14, vcc, 2, v14
	v_addc_co_u32_e32 v15, vcc, 0, v15, vcc
	v_add_co_u32_e32 v16, vcc, 2, v16
	v_addc_co_u32_e32 v17, vcc, 0, v17, vcc
	s_add_u32 s38, s38, 1
	s_addc_u32 s39, s39, 0
	s_andn2_b64 s[36:37], s[36:37], exec
	s_waitcnt vmcnt(1)
	v_lshlrev_b32_e32 v18, 16, v18
	s_waitcnt vmcnt(0)
	v_lshlrev_b32_e32 v19, 16, v19
	v_cmp_neq_f32_e32 vcc, v19, v18
	s_and_b64 s[40:41], vcc, exec
	s_or_b64 s[36:37], s[36:37], s[40:41]
.LBB1191_168:                           ;   in Loop: Header=BB1191_169 Depth=1
	s_and_b64 s[40:41], exec, s[36:37]
	s_or_b64 s[2:3], s[40:41], s[2:3]
	v_pk_mov_b32 v[18:19], s[38:39], s[38:39] op_sel:[0,1]
	s_andn2_b64 exec, exec, s[2:3]
	s_cbranch_execz .LBB1191_171
.LBB1191_169:                           ; =>This Inner Loop Header: Depth=1
	s_or_b64 s[36:37], s[36:37], exec
	s_cmp_eq_u64 s[0:1], s[38:39]
	s_cbranch_scc0 .LBB1191_167
; %bb.170:                              ;   in Loop: Header=BB1191_169 Depth=1
                                        ; implicit-def: $vgpr14_vgpr15
                                        ; implicit-def: $vgpr16_vgpr17
	s_mov_b64 s[38:39], s[26:27]
	s_branch .LBB1191_168
.LBB1191_171:
	s_or_b64 exec, exec, s[2:3]
	v_cmp_gt_i64_e32 vcc, s[26:27], v[18:19]
	s_orn2_b64 s[36:37], vcc, exec
.LBB1191_172:
	s_or_b64 exec, exec, s[18:19]
.LBB1191_173:
	v_perm_b32 v16, v12, v12, s33
	s_and_b64 s[18:19], s[36:37], exec
	s_or_b64 s[12:13], s[12:13], exec
.LBB1191_174:
	s_or_b64 exec, exec, s[8:9]
	s_branch .LBB1191_233
.LBB1191_175:
	v_cmp_gt_u32_e32 vcc, s7, v23
	s_mov_b64 s[18:19], 0
	s_mov_b64 s[8:9], 0
	s_and_saveexec_b64 s[36:37], vcc
	s_cbranch_execz .LBB1191_186
; %bb.176:
	s_andn2_b64 vcc, exec, s[14:15]
	s_mov_b64 s[38:39], 0
	s_cbranch_vccnz .LBB1191_185
; %bb.177:
	v_mul_lo_u32 v14, v5, s26
	v_mul_lo_u32 v15, v4, s27
	v_mad_u64_u32 v[12:13], s[0:1], v4, s26, 0
	v_add3_u32 v13, v13, v15, v14
	v_mul_lo_u32 v14, v11, s26
	v_mul_lo_u32 v15, v10, s27
	v_mad_u64_u32 v[18:19], s[0:1], v10, s26, 0
	v_add3_u32 v19, v19, v15, v14
	v_lshlrev_b64 v[14:15], 1, v[12:13]
	v_mov_b32_e32 v12, s29
	v_add_co_u32_e32 v16, vcc, s28, v14
	v_addc_co_u32_e64 v17, s[0:1], v12, v15, vcc
	v_lshlrev_b64 v[12:13], 1, v[18:19]
	v_mov_b32_e32 v14, s29
	v_add_co_u32_e64 v18, s[0:1], s28, v12
	v_addc_co_u32_e64 v19, s[2:3], v14, v13, s[0:1]
	global_load_ushort v12, v[18:19], off
	global_load_ushort v14, v[16:17], off
	s_mov_b64 s[38:39], -1
	s_waitcnt vmcnt(1)
	v_lshlrev_b32_e32 v12, 16, v12
	s_waitcnt vmcnt(0)
	v_lshlrev_b32_e32 v14, 16, v14
	v_cmp_eq_f32_e64 s[2:3], v14, v12
	s_and_saveexec_b64 s[8:9], s[2:3]
	s_cbranch_execz .LBB1191_184
; %bb.178:
	v_mov_b32_e32 v12, s29
	v_addc_co_u32_e64 v13, s[0:1], v13, v12, s[0:1]
	v_add_co_u32_e64 v12, s[0:1], 2, v18
	v_mov_b32_e32 v14, s29
	v_addc_co_u32_e64 v13, s[0:1], 0, v13, s[0:1]
	v_addc_co_u32_e32 v15, vcc, v15, v14, vcc
	v_add_co_u32_e32 v14, vcc, 2, v16
	s_add_u32 s0, s26, -1
	v_addc_co_u32_e32 v15, vcc, 0, v15, vcc
	s_addc_u32 s1, s27, -1
	s_mov_b64 s[2:3], 0
	s_mov_b64 s[40:41], 0
                                        ; implicit-def: $sgpr38_sgpr39
	s_branch .LBB1191_181
.LBB1191_179:                           ;   in Loop: Header=BB1191_181 Depth=1
	global_load_ushort v16, v[12:13], off
	global_load_ushort v17, v[14:15], off
	v_add_co_u32_e32 v12, vcc, 2, v12
	v_addc_co_u32_e32 v13, vcc, 0, v13, vcc
	v_add_co_u32_e32 v14, vcc, 2, v14
	v_addc_co_u32_e32 v15, vcc, 0, v15, vcc
	s_add_u32 s40, s40, 1
	s_addc_u32 s41, s41, 0
	s_andn2_b64 s[38:39], s[38:39], exec
	s_waitcnt vmcnt(1)
	v_lshlrev_b32_e32 v16, 16, v16
	s_waitcnt vmcnt(0)
	v_lshlrev_b32_e32 v17, 16, v17
	v_cmp_neq_f32_e32 vcc, v17, v16
	s_and_b64 s[42:43], vcc, exec
	s_or_b64 s[38:39], s[38:39], s[42:43]
.LBB1191_180:                           ;   in Loop: Header=BB1191_181 Depth=1
	s_and_b64 s[42:43], exec, s[38:39]
	s_or_b64 s[2:3], s[42:43], s[2:3]
	v_pk_mov_b32 v[16:17], s[40:41], s[40:41] op_sel:[0,1]
	s_andn2_b64 exec, exec, s[2:3]
	s_cbranch_execz .LBB1191_183
.LBB1191_181:                           ; =>This Inner Loop Header: Depth=1
	s_or_b64 s[38:39], s[38:39], exec
	s_cmp_eq_u64 s[0:1], s[40:41]
	s_cbranch_scc0 .LBB1191_179
; %bb.182:                              ;   in Loop: Header=BB1191_181 Depth=1
                                        ; implicit-def: $vgpr12_vgpr13
                                        ; implicit-def: $vgpr14_vgpr15
	s_mov_b64 s[40:41], s[26:27]
	s_branch .LBB1191_180
.LBB1191_183:
	s_or_b64 exec, exec, s[2:3]
	v_cmp_gt_i64_e32 vcc, s[26:27], v[16:17]
	s_orn2_b64 s[38:39], vcc, exec
.LBB1191_184:
	s_or_b64 exec, exec, s[8:9]
.LBB1191_185:
	s_and_b64 s[8:9], s[38:39], exec
.LBB1191_186:
	s_or_b64 exec, exec, s[36:37]
	v_cmp_gt_u32_e32 vcc, s7, v25
	s_and_saveexec_b64 s[36:37], vcc
	s_cbranch_execz .LBB1191_197
; %bb.187:
	s_andn2_b64 vcc, exec, s[14:15]
	s_mov_b64 s[38:39], 0
	s_cbranch_vccnz .LBB1191_196
; %bb.188:
	v_mul_lo_u32 v14, v3, s26
	v_mul_lo_u32 v15, v2, s27
	v_mad_u64_u32 v[12:13], s[0:1], v2, s26, 0
	v_add3_u32 v13, v13, v15, v14
	v_mul_lo_u32 v14, v5, s26
	v_mul_lo_u32 v15, v4, s27
	v_mad_u64_u32 v[18:19], s[0:1], v4, s26, 0
	v_add3_u32 v19, v19, v15, v14
	v_lshlrev_b64 v[14:15], 1, v[12:13]
	v_mov_b32_e32 v12, s29
	v_add_co_u32_e32 v16, vcc, s28, v14
	v_addc_co_u32_e64 v17, s[0:1], v12, v15, vcc
	v_lshlrev_b64 v[12:13], 1, v[18:19]
	v_mov_b32_e32 v14, s29
	v_add_co_u32_e64 v18, s[0:1], s28, v12
	v_addc_co_u32_e64 v19, s[2:3], v14, v13, s[0:1]
	global_load_ushort v12, v[18:19], off
	global_load_ushort v14, v[16:17], off
	s_mov_b64 s[38:39], -1
	s_waitcnt vmcnt(1)
	v_lshlrev_b32_e32 v12, 16, v12
	s_waitcnt vmcnt(0)
	v_lshlrev_b32_e32 v14, 16, v14
	v_cmp_eq_f32_e64 s[2:3], v14, v12
	s_and_saveexec_b64 s[18:19], s[2:3]
	s_cbranch_execz .LBB1191_195
; %bb.189:
	v_mov_b32_e32 v12, s29
	v_addc_co_u32_e64 v13, s[0:1], v13, v12, s[0:1]
	v_add_co_u32_e64 v12, s[0:1], 2, v18
	v_mov_b32_e32 v14, s29
	v_addc_co_u32_e64 v13, s[0:1], 0, v13, s[0:1]
	v_addc_co_u32_e32 v15, vcc, v15, v14, vcc
	v_add_co_u32_e32 v14, vcc, 2, v16
	s_add_u32 s0, s26, -1
	v_addc_co_u32_e32 v15, vcc, 0, v15, vcc
	s_addc_u32 s1, s27, -1
	s_mov_b64 s[2:3], 0
	s_mov_b64 s[40:41], 0
                                        ; implicit-def: $sgpr38_sgpr39
	s_branch .LBB1191_192
.LBB1191_190:                           ;   in Loop: Header=BB1191_192 Depth=1
	global_load_ushort v16, v[12:13], off
	global_load_ushort v17, v[14:15], off
	v_add_co_u32_e32 v12, vcc, 2, v12
	v_addc_co_u32_e32 v13, vcc, 0, v13, vcc
	v_add_co_u32_e32 v14, vcc, 2, v14
	v_addc_co_u32_e32 v15, vcc, 0, v15, vcc
	s_add_u32 s40, s40, 1
	s_addc_u32 s41, s41, 0
	s_andn2_b64 s[38:39], s[38:39], exec
	s_waitcnt vmcnt(1)
	v_lshlrev_b32_e32 v16, 16, v16
	s_waitcnt vmcnt(0)
	v_lshlrev_b32_e32 v17, 16, v17
	v_cmp_neq_f32_e32 vcc, v17, v16
	s_and_b64 s[42:43], vcc, exec
	s_or_b64 s[38:39], s[38:39], s[42:43]
.LBB1191_191:                           ;   in Loop: Header=BB1191_192 Depth=1
	s_and_b64 s[42:43], exec, s[38:39]
	s_or_b64 s[2:3], s[42:43], s[2:3]
	v_pk_mov_b32 v[16:17], s[40:41], s[40:41] op_sel:[0,1]
	s_andn2_b64 exec, exec, s[2:3]
	s_cbranch_execz .LBB1191_194
.LBB1191_192:                           ; =>This Inner Loop Header: Depth=1
	s_or_b64 s[38:39], s[38:39], exec
	s_cmp_eq_u64 s[0:1], s[40:41]
	s_cbranch_scc0 .LBB1191_190
; %bb.193:                              ;   in Loop: Header=BB1191_192 Depth=1
                                        ; implicit-def: $vgpr12_vgpr13
                                        ; implicit-def: $vgpr14_vgpr15
	s_mov_b64 s[40:41], s[26:27]
	s_branch .LBB1191_191
.LBB1191_194:
	s_or_b64 exec, exec, s[2:3]
	v_cmp_gt_i64_e32 vcc, s[26:27], v[16:17]
	s_orn2_b64 s[38:39], vcc, exec
.LBB1191_195:
	s_or_b64 exec, exec, s[18:19]
.LBB1191_196:
	s_and_b64 s[18:19], s[38:39], exec
.LBB1191_197:
	s_or_b64 exec, exec, s[36:37]
	v_cmp_gt_u32_e32 vcc, s7, v22
	s_mov_b64 s[36:37], 0
	s_mov_b64 s[38:39], 0
	s_and_saveexec_b64 s[40:41], vcc
	s_cbranch_execz .LBB1191_208
; %bb.198:
	s_andn2_b64 vcc, exec, s[14:15]
	s_mov_b64 s[42:43], 0
	s_cbranch_vccnz .LBB1191_207
; %bb.199:
	v_mul_lo_u32 v14, v9, s26
	v_mul_lo_u32 v15, v8, s27
	v_mad_u64_u32 v[12:13], s[0:1], v8, s26, 0
	v_add3_u32 v13, v13, v15, v14
	v_mul_lo_u32 v14, v3, s26
	v_mul_lo_u32 v15, v2, s27
	v_mad_u64_u32 v[18:19], s[0:1], v2, s26, 0
	v_add3_u32 v19, v19, v15, v14
	v_lshlrev_b64 v[14:15], 1, v[12:13]
	v_mov_b32_e32 v12, s29
	v_add_co_u32_e32 v16, vcc, s28, v14
	v_addc_co_u32_e64 v17, s[0:1], v12, v15, vcc
	v_lshlrev_b64 v[12:13], 1, v[18:19]
	v_mov_b32_e32 v14, s29
	v_add_co_u32_e64 v18, s[0:1], s28, v12
	v_addc_co_u32_e64 v19, s[2:3], v14, v13, s[0:1]
	global_load_ushort v12, v[18:19], off
	global_load_ushort v14, v[16:17], off
	s_mov_b64 s[42:43], -1
	s_waitcnt vmcnt(1)
	v_lshlrev_b32_e32 v12, 16, v12
	s_waitcnt vmcnt(0)
	v_lshlrev_b32_e32 v14, 16, v14
	v_cmp_eq_f32_e64 s[2:3], v14, v12
	s_and_saveexec_b64 s[38:39], s[2:3]
	s_cbranch_execz .LBB1191_206
; %bb.200:
	v_mov_b32_e32 v12, s29
	v_addc_co_u32_e64 v13, s[0:1], v13, v12, s[0:1]
	v_add_co_u32_e64 v12, s[0:1], 2, v18
	v_mov_b32_e32 v14, s29
	v_addc_co_u32_e64 v13, s[0:1], 0, v13, s[0:1]
	v_addc_co_u32_e32 v15, vcc, v15, v14, vcc
	v_add_co_u32_e32 v14, vcc, 2, v16
	s_add_u32 s0, s26, -1
	v_addc_co_u32_e32 v15, vcc, 0, v15, vcc
	s_addc_u32 s1, s27, -1
	s_mov_b64 s[2:3], 0
	s_mov_b64 s[44:45], 0
                                        ; implicit-def: $sgpr42_sgpr43
	s_branch .LBB1191_203
.LBB1191_201:                           ;   in Loop: Header=BB1191_203 Depth=1
	global_load_ushort v16, v[12:13], off
	global_load_ushort v17, v[14:15], off
	v_add_co_u32_e32 v12, vcc, 2, v12
	v_addc_co_u32_e32 v13, vcc, 0, v13, vcc
	v_add_co_u32_e32 v14, vcc, 2, v14
	v_addc_co_u32_e32 v15, vcc, 0, v15, vcc
	s_add_u32 s44, s44, 1
	s_addc_u32 s45, s45, 0
	s_andn2_b64 s[42:43], s[42:43], exec
	s_waitcnt vmcnt(1)
	v_lshlrev_b32_e32 v16, 16, v16
	s_waitcnt vmcnt(0)
	v_lshlrev_b32_e32 v17, 16, v17
	v_cmp_neq_f32_e32 vcc, v17, v16
	s_and_b64 s[46:47], vcc, exec
	s_or_b64 s[42:43], s[42:43], s[46:47]
.LBB1191_202:                           ;   in Loop: Header=BB1191_203 Depth=1
	s_and_b64 s[46:47], exec, s[42:43]
	s_or_b64 s[2:3], s[46:47], s[2:3]
	v_pk_mov_b32 v[16:17], s[44:45], s[44:45] op_sel:[0,1]
	s_andn2_b64 exec, exec, s[2:3]
	s_cbranch_execz .LBB1191_205
.LBB1191_203:                           ; =>This Inner Loop Header: Depth=1
	s_or_b64 s[42:43], s[42:43], exec
	s_cmp_eq_u64 s[0:1], s[44:45]
	s_cbranch_scc0 .LBB1191_201
; %bb.204:                              ;   in Loop: Header=BB1191_203 Depth=1
                                        ; implicit-def: $vgpr12_vgpr13
                                        ; implicit-def: $vgpr14_vgpr15
	s_mov_b64 s[44:45], s[26:27]
	s_branch .LBB1191_202
.LBB1191_205:
	s_or_b64 exec, exec, s[2:3]
	v_cmp_gt_i64_e32 vcc, s[26:27], v[16:17]
	s_orn2_b64 s[42:43], vcc, exec
.LBB1191_206:
	s_or_b64 exec, exec, s[38:39]
.LBB1191_207:
	s_and_b64 s[38:39], s[42:43], exec
.LBB1191_208:
	s_or_b64 exec, exec, s[40:41]
	v_cmp_gt_u32_e32 vcc, s7, v24
	s_and_saveexec_b64 s[40:41], vcc
	s_cbranch_execz .LBB1191_219
; %bb.209:
	s_andn2_b64 vcc, exec, s[14:15]
	s_mov_b64 s[42:43], 0
	s_cbranch_vccnz .LBB1191_218
; %bb.210:
	v_mul_lo_u32 v14, v7, s26
	v_mul_lo_u32 v15, v6, s27
	v_mad_u64_u32 v[12:13], s[0:1], v6, s26, 0
	v_add3_u32 v13, v13, v15, v14
	v_mul_lo_u32 v14, v9, s26
	v_mul_lo_u32 v15, v8, s27
	v_mad_u64_u32 v[18:19], s[0:1], v8, s26, 0
	v_add3_u32 v19, v19, v15, v14
	v_lshlrev_b64 v[14:15], 1, v[12:13]
	v_mov_b32_e32 v12, s29
	v_add_co_u32_e32 v16, vcc, s28, v14
	v_addc_co_u32_e64 v17, s[0:1], v12, v15, vcc
	v_lshlrev_b64 v[12:13], 1, v[18:19]
	v_mov_b32_e32 v14, s29
	v_add_co_u32_e64 v18, s[0:1], s28, v12
	v_addc_co_u32_e64 v19, s[2:3], v14, v13, s[0:1]
	global_load_ushort v12, v[18:19], off
	global_load_ushort v14, v[16:17], off
	s_mov_b64 s[42:43], -1
	s_waitcnt vmcnt(1)
	v_lshlrev_b32_e32 v12, 16, v12
	s_waitcnt vmcnt(0)
	v_lshlrev_b32_e32 v14, 16, v14
	v_cmp_eq_f32_e64 s[2:3], v14, v12
	s_and_saveexec_b64 s[36:37], s[2:3]
	s_cbranch_execz .LBB1191_217
; %bb.211:
	v_mov_b32_e32 v12, s29
	v_addc_co_u32_e64 v13, s[0:1], v13, v12, s[0:1]
	v_add_co_u32_e64 v12, s[0:1], 2, v18
	v_mov_b32_e32 v14, s29
	v_addc_co_u32_e64 v13, s[0:1], 0, v13, s[0:1]
	v_addc_co_u32_e32 v15, vcc, v15, v14, vcc
	v_add_co_u32_e32 v14, vcc, 2, v16
	s_add_u32 s0, s26, -1
	v_addc_co_u32_e32 v15, vcc, 0, v15, vcc
	s_addc_u32 s1, s27, -1
	s_mov_b64 s[2:3], 0
	s_mov_b64 s[44:45], 0
                                        ; implicit-def: $sgpr42_sgpr43
	s_branch .LBB1191_214
.LBB1191_212:                           ;   in Loop: Header=BB1191_214 Depth=1
	global_load_ushort v16, v[12:13], off
	global_load_ushort v17, v[14:15], off
	v_add_co_u32_e32 v12, vcc, 2, v12
	v_addc_co_u32_e32 v13, vcc, 0, v13, vcc
	v_add_co_u32_e32 v14, vcc, 2, v14
	v_addc_co_u32_e32 v15, vcc, 0, v15, vcc
	s_add_u32 s44, s44, 1
	s_addc_u32 s45, s45, 0
	s_andn2_b64 s[42:43], s[42:43], exec
	s_waitcnt vmcnt(1)
	v_lshlrev_b32_e32 v16, 16, v16
	s_waitcnt vmcnt(0)
	v_lshlrev_b32_e32 v17, 16, v17
	v_cmp_neq_f32_e32 vcc, v17, v16
	s_and_b64 s[46:47], vcc, exec
	s_or_b64 s[42:43], s[42:43], s[46:47]
.LBB1191_213:                           ;   in Loop: Header=BB1191_214 Depth=1
	s_and_b64 s[46:47], exec, s[42:43]
	s_or_b64 s[2:3], s[46:47], s[2:3]
	v_pk_mov_b32 v[16:17], s[44:45], s[44:45] op_sel:[0,1]
	s_andn2_b64 exec, exec, s[2:3]
	s_cbranch_execz .LBB1191_216
.LBB1191_214:                           ; =>This Inner Loop Header: Depth=1
	s_or_b64 s[42:43], s[42:43], exec
	s_cmp_eq_u64 s[0:1], s[44:45]
	s_cbranch_scc0 .LBB1191_212
; %bb.215:                              ;   in Loop: Header=BB1191_214 Depth=1
                                        ; implicit-def: $vgpr12_vgpr13
                                        ; implicit-def: $vgpr14_vgpr15
	s_mov_b64 s[44:45], s[26:27]
	s_branch .LBB1191_213
.LBB1191_216:
	s_or_b64 exec, exec, s[2:3]
	v_cmp_gt_i64_e32 vcc, s[26:27], v[16:17]
	s_orn2_b64 s[42:43], vcc, exec
.LBB1191_217:
	s_or_b64 exec, exec, s[36:37]
.LBB1191_218:
	s_and_b64 s[36:37], s[42:43], exec
.LBB1191_219:
	s_or_b64 exec, exec, s[40:41]
	v_cndmask_b32_e64 v13, 0, 1, s[18:19]
	v_cndmask_b32_e64 v14, 0, 1, s[36:37]
	;; [unrolled: 1-line block ×3, first 2 shown]
	v_lshlrev_b16_e32 v14, 8, v14
	v_lshlrev_b16_e32 v13, 8, v13
	v_or_b32_e32 v14, 1, v14
	v_or_b32_sdwa v12, v12, v13 dst_sel:WORD_1 dst_unused:UNUSED_PAD src0_sel:DWORD src1_sel:DWORD
	v_or_b32_sdwa v12, v14, v12 dst_sel:DWORD dst_unused:UNUSED_PAD src0_sel:WORD_0 src1_sel:DWORD
	v_cndmask_b32_e64 v13, 0, 1, s[8:9]
	v_cmp_ne_u32_e32 vcc, 0, v0
	s_waitcnt lgkmcnt(0)
	s_barrier
	s_waitcnt lgkmcnt(0)
                                        ; implicit-def: $sgpr18_sgpr19
                                        ; implicit-def: $vgpr16
	s_and_saveexec_b64 s[8:9], vcc
	s_cbranch_execz .LBB1191_232
; %bb.220:
	v_cmp_gt_u32_e32 vcc, s7, v1
	s_mov_b32 s33, 0x3020104
	s_mov_b64 s[0:1], 0
	s_and_saveexec_b64 s[18:19], vcc
	s_cbranch_execz .LBB1191_231
; %bb.221:
	s_andn2_b64 vcc, exec, s[14:15]
	s_mov_b64 s[36:37], 0
	s_cbranch_vccnz .LBB1191_230
; %bb.222:
	v_add_u32_e32 v14, -8, v26
	ds_read_b64 v[14:15], v14
	v_mul_lo_u32 v16, v7, s26
	v_mad_u64_u32 v[20:21], s[0:1], v6, s26, 0
	s_mov_b64 s[36:37], -1
	s_waitcnt lgkmcnt(0)
	v_mul_lo_u32 v17, v15, s26
	v_mul_lo_u32 v18, v14, s27
	v_mad_u64_u32 v[14:15], s[0:1], v14, s26, 0
	v_add3_u32 v15, v15, v18, v17
	v_mul_lo_u32 v17, v6, s27
	v_add3_u32 v21, v21, v17, v16
	v_lshlrev_b64 v[16:17], 1, v[14:15]
	v_mov_b32_e32 v14, s29
	v_add_co_u32_e32 v18, vcc, s28, v16
	v_addc_co_u32_e64 v19, s[0:1], v14, v17, vcc
	v_lshlrev_b64 v[14:15], 1, v[20:21]
	v_mov_b32_e32 v16, s29
	v_add_co_u32_e64 v20, s[0:1], s28, v14
	v_addc_co_u32_e64 v21, s[2:3], v16, v15, s[0:1]
	global_load_ushort v14, v[20:21], off
	global_load_ushort v16, v[18:19], off
	s_waitcnt vmcnt(1)
	v_lshlrev_b32_e32 v14, 16, v14
	s_waitcnt vmcnt(0)
	v_lshlrev_b32_e32 v16, 16, v16
	v_cmp_eq_f32_e64 s[2:3], v16, v14
	s_and_saveexec_b64 s[14:15], s[2:3]
	s_cbranch_execz .LBB1191_229
; %bb.223:
	v_mov_b32_e32 v14, s29
	v_addc_co_u32_e64 v15, s[0:1], v15, v14, s[0:1]
	v_add_co_u32_e64 v14, s[0:1], 2, v20
	v_mov_b32_e32 v16, s29
	v_addc_co_u32_e64 v15, s[0:1], 0, v15, s[0:1]
	v_addc_co_u32_e32 v17, vcc, v17, v16, vcc
	v_add_co_u32_e32 v16, vcc, 2, v18
	s_add_u32 s0, s26, -1
	v_addc_co_u32_e32 v17, vcc, 0, v17, vcc
	s_addc_u32 s1, s27, -1
	s_mov_b64 s[2:3], 0
	s_mov_b64 s[36:37], 0
                                        ; implicit-def: $sgpr28_sgpr29
	s_branch .LBB1191_226
.LBB1191_224:                           ;   in Loop: Header=BB1191_226 Depth=1
	global_load_ushort v18, v[14:15], off
	global_load_ushort v19, v[16:17], off
	v_add_co_u32_e32 v14, vcc, 2, v14
	v_addc_co_u32_e32 v15, vcc, 0, v15, vcc
	v_add_co_u32_e32 v16, vcc, 2, v16
	v_addc_co_u32_e32 v17, vcc, 0, v17, vcc
	s_add_u32 s36, s36, 1
	s_addc_u32 s37, s37, 0
	s_andn2_b64 s[28:29], s[28:29], exec
	s_waitcnt vmcnt(1)
	v_lshlrev_b32_e32 v18, 16, v18
	s_waitcnt vmcnt(0)
	v_lshlrev_b32_e32 v19, 16, v19
	v_cmp_neq_f32_e32 vcc, v19, v18
	s_and_b64 s[38:39], vcc, exec
	s_or_b64 s[28:29], s[28:29], s[38:39]
.LBB1191_225:                           ;   in Loop: Header=BB1191_226 Depth=1
	s_and_b64 s[38:39], exec, s[28:29]
	s_or_b64 s[2:3], s[38:39], s[2:3]
	v_pk_mov_b32 v[18:19], s[36:37], s[36:37] op_sel:[0,1]
	s_andn2_b64 exec, exec, s[2:3]
	s_cbranch_execz .LBB1191_228
.LBB1191_226:                           ; =>This Inner Loop Header: Depth=1
	s_or_b64 s[28:29], s[28:29], exec
	s_cmp_eq_u64 s[0:1], s[36:37]
	s_cbranch_scc0 .LBB1191_224
; %bb.227:                              ;   in Loop: Header=BB1191_226 Depth=1
                                        ; implicit-def: $vgpr14_vgpr15
                                        ; implicit-def: $vgpr16_vgpr17
	s_mov_b64 s[36:37], s[26:27]
	s_branch .LBB1191_225
.LBB1191_228:
	s_or_b64 exec, exec, s[2:3]
	v_cmp_gt_i64_e32 vcc, s[26:27], v[18:19]
	s_orn2_b64 s[36:37], vcc, exec
.LBB1191_229:
	s_or_b64 exec, exec, s[14:15]
.LBB1191_230:
	s_and_b64 s[0:1], s[36:37], exec
.LBB1191_231:
	s_or_b64 exec, exec, s[18:19]
	v_perm_b32 v16, v12, v12, s33
	s_and_b64 s[18:19], s[0:1], exec
	s_or_b64 s[12:13], s[12:13], exec
.LBB1191_232:
	s_or_b64 exec, exec, s[8:9]
.LBB1191_233:
	s_and_saveexec_b64 s[0:1], s[12:13]
	s_cbranch_execz .LBB1191_235
; %bb.234:
	v_lshrrev_b32_e32 v14, 24, v16
	s_movk_i32 s2, 0xff
	v_lshlrev_b16_e32 v14, 8, v14
	v_and_b32_sdwa v15, v16, s2 dst_sel:DWORD dst_unused:UNUSED_PAD src0_sel:WORD_1 src1_sel:DWORD
	v_or_b32_sdwa v14, v15, v14 dst_sel:WORD_1 dst_unused:UNUSED_PAD src0_sel:DWORD src1_sel:DWORD
	v_mov_b32_e32 v15, 8
	v_cndmask_b32_e64 v12, 0, 1, s[18:19]
	v_lshrrev_b32_sdwa v15, v15, v16 dst_sel:BYTE_1 dst_unused:UNUSED_PAD src0_sel:DWORD src1_sel:DWORD
	v_or_b32_e32 v12, v12, v15
	s_mov_b32 s2, 0xffff
	v_or_b32_sdwa v12, v12, v14 dst_sel:DWORD dst_unused:UNUSED_PAD src0_sel:WORD_0 src1_sel:DWORD
	v_and_b32_sdwa v13, s2, v13 dst_sel:DWORD dst_unused:UNUSED_PAD src0_sel:DWORD src1_sel:BYTE_0
.LBB1191_235:
	s_or_b64 exec, exec, s[0:1]
	s_andn2_b64 vcc, exec, s[10:11]
	s_cbranch_vccnz .LBB1191_237
; %bb.236:
	v_cmp_gt_u32_e32 vcc, s7, v1
	v_cndmask_b32_e32 v1, 0, v12, vcc
	v_and_b32_e32 v1, 0xffff00ff, v1
	v_cmp_gt_u32_e64 s[0:1], s7, v24
	v_cndmask_b32_e64 v1, v1, v12, s[0:1]
	v_lshrrev_b32_e32 v14, 24, v1
	s_mov_b32 s2, 0x40c0100
	v_perm_b32 v1, v14, v1, s2
	v_cmp_gt_u32_e64 s[2:3], s7, v22
	v_cmp_gt_u32_e64 s[8:9], s7, v25
	v_cndmask_b32_e64 v1, v1, v12, s[2:3]
	s_or_b64 s[2:3], s[8:9], s[2:3]
	s_or_b64 s[0:1], s[2:3], s[0:1]
	s_or_b64 vcc, s[0:1], vcc
	v_and_b32_e32 v1, 0xffffff, v1
	v_cndmask_b32_e32 v14, 0, v13, vcc
	v_cndmask_b32_e64 v1, v1, v12, s[8:9]
	v_and_b32_e32 v14, 0xffffff00, v14
	v_cmp_gt_u32_e32 vcc, s7, v23
	v_cndmask_b32_e32 v1, v1, v12, vcc
	v_cndmask_b32_e32 v12, v14, v13, vcc
	s_mov_b32 s0, 0x3020104
	v_and_b32_e32 v13, 0xff, v12
	v_perm_b32 v12, v1, v1, s0
.LBB1191_237:
	v_and_b32_e32 v1, 0xff, v12
	v_bfe_u32 v25, v12, 8, 8
	v_bfe_u32 v27, v12, 16, 8
	v_alignbit_b32 v14, v13, v12, 24
	v_and_b32_e32 v28, 0xff, v14
	v_and_b32_e32 v14, 0xff, v13
	v_add3_u32 v15, v25, v1, v27
	v_add3_u32 v31, v15, v28, v14
	v_mbcnt_lo_u32_b32 v14, -1, 0
	v_mbcnt_hi_u32_b32 v29, -1, v14
	v_and_b32_e32 v14, 15, v29
	v_cmp_eq_u32_e64 s[14:15], 0, v14
	v_cmp_lt_u32_e64 s[12:13], 1, v14
	v_cmp_lt_u32_e64 s[10:11], 3, v14
	;; [unrolled: 1-line block ×3, first 2 shown]
	v_and_b32_e32 v14, 16, v29
	v_cmp_eq_u32_e64 s[18:19], 0, v14
	v_or_b32_e32 v14, 63, v0
	v_cmp_lt_u32_e64 s[0:1], 31, v29
	v_lshrrev_b32_e32 v30, 6, v0
	v_cmp_eq_u32_e64 s[2:3], v14, v0
	s_and_b64 vcc, exec, s[16:17]
	s_waitcnt lgkmcnt(0)
	s_barrier
	s_cbranch_vccz .LBB1191_268
; %bb.238:
	v_mov_b32_dpp v14, v31 row_shr:1 row_mask:0xf bank_mask:0xf
	v_cndmask_b32_e64 v14, v14, 0, s[14:15]
	v_add_u32_e32 v14, v14, v31
	s_nop 1
	v_mov_b32_dpp v15, v14 row_shr:2 row_mask:0xf bank_mask:0xf
	v_cndmask_b32_e64 v15, 0, v15, s[12:13]
	v_add_u32_e32 v14, v14, v15
	s_nop 1
	;; [unrolled: 4-line block ×4, first 2 shown]
	v_mov_b32_dpp v15, v14 row_bcast:15 row_mask:0xf bank_mask:0xf
	v_cndmask_b32_e64 v15, v15, 0, s[18:19]
	v_add_u32_e32 v14, v14, v15
	s_nop 1
	v_mov_b32_dpp v15, v14 row_bcast:31 row_mask:0xf bank_mask:0xf
	v_cndmask_b32_e64 v15, 0, v15, s[0:1]
	v_add_u32_e32 v14, v14, v15
	s_and_saveexec_b64 s[16:17], s[2:3]
	s_cbranch_execz .LBB1191_240
; %bb.239:
	v_lshlrev_b32_e32 v15, 2, v30
	ds_write_b32 v15, v14
.LBB1191_240:
	s_or_b64 exec, exec, s[16:17]
	v_cmp_gt_u32_e32 vcc, 4, v0
	s_waitcnt lgkmcnt(0)
	s_barrier
	s_and_saveexec_b64 s[16:17], vcc
	s_cbranch_execz .LBB1191_242
; %bb.241:
	v_lshlrev_b32_e32 v15, 2, v0
	ds_read_b32 v16, v15
	v_and_b32_e32 v17, 3, v29
	v_cmp_ne_u32_e32 vcc, 0, v17
	s_waitcnt lgkmcnt(0)
	v_mov_b32_dpp v18, v16 row_shr:1 row_mask:0xf bank_mask:0xf
	v_cndmask_b32_e32 v18, 0, v18, vcc
	v_add_u32_e32 v16, v18, v16
	v_cmp_lt_u32_e32 vcc, 1, v17
	s_nop 0
	v_mov_b32_dpp v18, v16 row_shr:2 row_mask:0xf bank_mask:0xf
	v_cndmask_b32_e32 v17, 0, v18, vcc
	v_add_u32_e32 v16, v16, v17
	ds_write_b32 v15, v16
.LBB1191_242:
	s_or_b64 exec, exec, s[16:17]
	v_cmp_gt_u32_e32 vcc, 64, v0
	v_cmp_lt_u32_e64 s[16:17], 63, v0
	s_waitcnt lgkmcnt(0)
	s_barrier
	s_waitcnt lgkmcnt(0)
                                        ; implicit-def: $vgpr24
	s_and_saveexec_b64 s[26:27], s[16:17]
	s_cbranch_execz .LBB1191_244
; %bb.243:
	v_lshl_add_u32 v15, v30, 2, -4
	ds_read_b32 v24, v15
	s_waitcnt lgkmcnt(0)
	v_add_u32_e32 v14, v24, v14
.LBB1191_244:
	s_or_b64 exec, exec, s[26:27]
	v_add_u32_e32 v15, -1, v29
	v_and_b32_e32 v16, 64, v29
	v_cmp_lt_i32_e64 s[16:17], v15, v16
	v_cndmask_b32_e64 v15, v15, v29, s[16:17]
	v_lshlrev_b32_e32 v15, 2, v15
	ds_bpermute_b32 v26, v15, v14
	v_cmp_eq_u32_e64 s[16:17], 0, v29
	s_and_saveexec_b64 s[26:27], vcc
	s_cbranch_execz .LBB1191_267
; %bb.245:
	v_mov_b32_e32 v23, 0
	ds_read_b32 v14, v23 offset:12
	s_and_saveexec_b64 s[28:29], s[16:17]
	s_cbranch_execz .LBB1191_247
; %bb.246:
	s_add_i32 s36, s6, 64
	s_mov_b32 s37, 0
	s_lshl_b64 s[36:37], s[36:37], 3
	s_add_u32 s36, s30, s36
	v_mov_b32_e32 v15, 1
	s_addc_u32 s37, s31, s37
	s_waitcnt lgkmcnt(0)
	global_store_dwordx2 v23, v[14:15], s[36:37]
.LBB1191_247:
	s_or_b64 exec, exec, s[28:29]
	v_xad_u32 v16, v29, -1, s6
	v_add_u32_e32 v22, 64, v16
	v_lshlrev_b64 v[18:19], 3, v[22:23]
	v_mov_b32_e32 v15, s31
	v_add_co_u32_e32 v18, vcc, s30, v18
	v_addc_co_u32_e32 v19, vcc, v15, v19, vcc
	global_load_dwordx2 v[20:21], v[18:19], off glc
	s_waitcnt vmcnt(0)
	v_cmp_eq_u16_sdwa s[36:37], v21, v23 src0_sel:BYTE_0 src1_sel:DWORD
	s_and_saveexec_b64 s[28:29], s[36:37]
	s_cbranch_execz .LBB1191_253
; %bb.248:
	s_mov_b32 s7, 1
	s_mov_b64 s[36:37], 0
	v_mov_b32_e32 v15, 0
.LBB1191_249:                           ; =>This Loop Header: Depth=1
                                        ;     Child Loop BB1191_250 Depth 2
	s_max_u32 s33, s7, 1
.LBB1191_250:                           ;   Parent Loop BB1191_249 Depth=1
                                        ; =>  This Inner Loop Header: Depth=2
	s_add_i32 s33, s33, -1
	s_cmp_eq_u32 s33, 0
	s_sleep 1
	s_cbranch_scc0 .LBB1191_250
; %bb.251:                              ;   in Loop: Header=BB1191_249 Depth=1
	global_load_dwordx2 v[20:21], v[18:19], off glc
	s_cmp_lt_u32 s7, 32
	s_cselect_b64 s[38:39], -1, 0
	s_cmp_lg_u64 s[38:39], 0
	s_addc_u32 s7, s7, 0
	s_waitcnt vmcnt(0)
	v_cmp_ne_u16_sdwa s[38:39], v21, v15 src0_sel:BYTE_0 src1_sel:DWORD
	s_or_b64 s[36:37], s[38:39], s[36:37]
	s_andn2_b64 exec, exec, s[36:37]
	s_cbranch_execnz .LBB1191_249
; %bb.252:
	s_or_b64 exec, exec, s[36:37]
.LBB1191_253:
	s_or_b64 exec, exec, s[28:29]
	v_and_b32_e32 v32, 63, v29
	v_mov_b32_e32 v15, 2
	v_cmp_ne_u32_e32 vcc, 63, v32
	v_cmp_eq_u16_sdwa s[28:29], v21, v15 src0_sel:BYTE_0 src1_sel:DWORD
	v_lshlrev_b64 v[18:19], v29, -1
	v_addc_co_u32_e32 v23, vcc, 0, v29, vcc
	v_and_b32_e32 v17, s29, v19
	v_lshlrev_b32_e32 v33, 2, v23
	v_or_b32_e32 v17, 0x80000000, v17
	ds_bpermute_b32 v23, v33, v20
	v_and_b32_e32 v22, s28, v18
	v_ffbl_b32_e32 v17, v17
	v_add_u32_e32 v17, 32, v17
	v_ffbl_b32_e32 v22, v22
	v_min_u32_e32 v17, v22, v17
	v_cmp_lt_u32_e32 vcc, v32, v17
	s_waitcnt lgkmcnt(0)
	v_cndmask_b32_e32 v22, 0, v23, vcc
	v_cmp_gt_u32_e32 vcc, 62, v32
	v_add_u32_e32 v20, v22, v20
	v_cndmask_b32_e64 v22, 0, 1, vcc
	v_lshlrev_b32_e32 v22, 1, v22
	v_add_lshl_u32 v34, v22, v29, 2
	ds_bpermute_b32 v22, v34, v20
	v_add_u32_e32 v35, 2, v32
	v_cmp_le_u32_e32 vcc, v35, v17
	v_add_u32_e32 v37, 4, v32
	v_add_u32_e32 v39, 8, v32
	s_waitcnt lgkmcnt(0)
	v_cndmask_b32_e32 v22, 0, v22, vcc
	v_cmp_gt_u32_e32 vcc, 60, v32
	v_add_u32_e32 v20, v20, v22
	v_cndmask_b32_e64 v22, 0, 1, vcc
	v_lshlrev_b32_e32 v22, 2, v22
	v_add_lshl_u32 v36, v22, v29, 2
	ds_bpermute_b32 v22, v36, v20
	v_cmp_le_u32_e32 vcc, v37, v17
	v_add_u32_e32 v42, 16, v32
	v_add_u32_e32 v44, 32, v32
	s_waitcnt lgkmcnt(0)
	v_cndmask_b32_e32 v22, 0, v22, vcc
	v_cmp_gt_u32_e32 vcc, 56, v32
	v_add_u32_e32 v20, v20, v22
	v_cndmask_b32_e64 v22, 0, 1, vcc
	v_lshlrev_b32_e32 v22, 3, v22
	v_add_lshl_u32 v38, v22, v29, 2
	ds_bpermute_b32 v22, v38, v20
	v_cmp_le_u32_e32 vcc, v39, v17
	s_waitcnt lgkmcnt(0)
	v_cndmask_b32_e32 v22, 0, v22, vcc
	v_cmp_gt_u32_e32 vcc, 48, v32
	v_add_u32_e32 v20, v20, v22
	v_cndmask_b32_e64 v22, 0, 1, vcc
	v_lshlrev_b32_e32 v22, 4, v22
	v_add_lshl_u32 v41, v22, v29, 2
	ds_bpermute_b32 v22, v41, v20
	v_cmp_le_u32_e32 vcc, v42, v17
	;; [unrolled: 9-line block ×3, first 2 shown]
	s_waitcnt lgkmcnt(0)
	v_cndmask_b32_e32 v17, 0, v22, vcc
	v_add_u32_e32 v20, v20, v17
	v_mov_b32_e32 v17, 0
	s_branch .LBB1191_255
.LBB1191_254:                           ;   in Loop: Header=BB1191_255 Depth=1
	s_or_b64 exec, exec, s[28:29]
	v_cmp_eq_u16_sdwa s[28:29], v21, v15 src0_sel:BYTE_0 src1_sel:DWORD
	v_and_b32_e32 v22, s29, v19
	v_or_b32_e32 v22, 0x80000000, v22
	ds_bpermute_b32 v45, v33, v20
	v_and_b32_e32 v23, s28, v18
	v_ffbl_b32_e32 v22, v22
	v_add_u32_e32 v22, 32, v22
	v_ffbl_b32_e32 v23, v23
	v_min_u32_e32 v22, v23, v22
	v_cmp_lt_u32_e32 vcc, v32, v22
	s_waitcnt lgkmcnt(0)
	v_cndmask_b32_e32 v23, 0, v45, vcc
	v_add_u32_e32 v20, v23, v20
	ds_bpermute_b32 v23, v34, v20
	v_cmp_le_u32_e32 vcc, v35, v22
	v_subrev_u32_e32 v16, 64, v16
	s_waitcnt lgkmcnt(0)
	v_cndmask_b32_e32 v23, 0, v23, vcc
	v_add_u32_e32 v20, v20, v23
	ds_bpermute_b32 v23, v36, v20
	v_cmp_le_u32_e32 vcc, v37, v22
	s_waitcnt lgkmcnt(0)
	v_cndmask_b32_e32 v23, 0, v23, vcc
	v_add_u32_e32 v20, v20, v23
	ds_bpermute_b32 v23, v38, v20
	v_cmp_le_u32_e32 vcc, v39, v22
	s_waitcnt lgkmcnt(0)
	v_cndmask_b32_e32 v23, 0, v23, vcc
	v_add_u32_e32 v20, v20, v23
	ds_bpermute_b32 v23, v41, v20
	v_cmp_le_u32_e32 vcc, v42, v22
	s_waitcnt lgkmcnt(0)
	v_cndmask_b32_e32 v23, 0, v23, vcc
	v_add_u32_e32 v20, v20, v23
	ds_bpermute_b32 v23, v43, v20
	v_cmp_le_u32_e32 vcc, v44, v22
	s_waitcnt lgkmcnt(0)
	v_cndmask_b32_e32 v22, 0, v23, vcc
	v_add3_u32 v20, v22, v40, v20
.LBB1191_255:                           ; =>This Loop Header: Depth=1
                                        ;     Child Loop BB1191_258 Depth 2
                                        ;       Child Loop BB1191_259 Depth 3
	v_cmp_ne_u16_sdwa s[28:29], v21, v15 src0_sel:BYTE_0 src1_sel:DWORD
	v_cndmask_b32_e64 v21, 0, 1, s[28:29]
	;;#ASMSTART
	;;#ASMEND
	v_cmp_ne_u32_e32 vcc, 0, v21
	s_cmp_lg_u64 vcc, exec
	v_mov_b32_e32 v40, v20
	s_cbranch_scc1 .LBB1191_262
; %bb.256:                              ;   in Loop: Header=BB1191_255 Depth=1
	v_lshlrev_b64 v[20:21], 3, v[16:17]
	v_mov_b32_e32 v23, s31
	v_add_co_u32_e32 v22, vcc, s30, v20
	v_addc_co_u32_e32 v23, vcc, v23, v21, vcc
	global_load_dwordx2 v[20:21], v[22:23], off glc
	s_waitcnt vmcnt(0)
	v_cmp_eq_u16_sdwa s[36:37], v21, v17 src0_sel:BYTE_0 src1_sel:DWORD
	s_and_saveexec_b64 s[28:29], s[36:37]
	s_cbranch_execz .LBB1191_254
; %bb.257:                              ;   in Loop: Header=BB1191_255 Depth=1
	s_mov_b32 s7, 1
	s_mov_b64 s[36:37], 0
.LBB1191_258:                           ;   Parent Loop BB1191_255 Depth=1
                                        ; =>  This Loop Header: Depth=2
                                        ;       Child Loop BB1191_259 Depth 3
	s_max_u32 s33, s7, 1
.LBB1191_259:                           ;   Parent Loop BB1191_255 Depth=1
                                        ;     Parent Loop BB1191_258 Depth=2
                                        ; =>    This Inner Loop Header: Depth=3
	s_add_i32 s33, s33, -1
	s_cmp_eq_u32 s33, 0
	s_sleep 1
	s_cbranch_scc0 .LBB1191_259
; %bb.260:                              ;   in Loop: Header=BB1191_258 Depth=2
	global_load_dwordx2 v[20:21], v[22:23], off glc
	s_cmp_lt_u32 s7, 32
	s_cselect_b64 s[38:39], -1, 0
	s_cmp_lg_u64 s[38:39], 0
	s_addc_u32 s7, s7, 0
	s_waitcnt vmcnt(0)
	v_cmp_ne_u16_sdwa s[38:39], v21, v17 src0_sel:BYTE_0 src1_sel:DWORD
	s_or_b64 s[36:37], s[38:39], s[36:37]
	s_andn2_b64 exec, exec, s[36:37]
	s_cbranch_execnz .LBB1191_258
; %bb.261:                              ;   in Loop: Header=BB1191_255 Depth=1
	s_or_b64 exec, exec, s[36:37]
	s_branch .LBB1191_254
.LBB1191_262:                           ;   in Loop: Header=BB1191_255 Depth=1
                                        ; implicit-def: $vgpr20
                                        ; implicit-def: $vgpr21
	s_cbranch_execz .LBB1191_255
; %bb.263:
	s_and_saveexec_b64 s[28:29], s[16:17]
	s_cbranch_execz .LBB1191_265
; %bb.264:
	s_add_i32 s6, s6, 64
	s_mov_b32 s7, 0
	s_lshl_b64 s[6:7], s[6:7], 3
	s_add_u32 s6, s30, s6
	v_add_u32_e32 v16, v40, v14
	v_mov_b32_e32 v17, 2
	s_addc_u32 s7, s31, s7
	v_mov_b32_e32 v15, 0
	global_store_dwordx2 v15, v[16:17], s[6:7]
	s_movk_i32 s6, 0x2800
	v_add_u32_e64 v15, s6, 0
	ds_write2_b32 v15, v14, v40 offset1:2
.LBB1191_265:
	s_or_b64 exec, exec, s[28:29]
	v_cmp_eq_u32_e32 vcc, 0, v0
	s_and_b64 exec, exec, vcc
	s_cbranch_execz .LBB1191_267
; %bb.266:
	v_mov_b32_e32 v14, 0
	ds_write_b32 v14, v40 offset:12
.LBB1191_267:
	s_or_b64 exec, exec, s[26:27]
	v_mov_b32_e32 v14, 0
	s_waitcnt lgkmcnt(0)
	s_barrier
	ds_read_b32 v14, v14 offset:12
	v_cndmask_b32_e64 v15, v26, v24, s[16:17]
	v_cmp_ne_u32_e32 vcc, 0, v0
	v_cndmask_b32_e32 v15, 0, v15, vcc
	s_movk_i32 s6, 0x2800
	s_waitcnt lgkmcnt(0)
	v_add_u32_e32 v26, v14, v15
	v_add_u32_e64 v14, s6, 0
	s_barrier
	ds_read2_b32 v[14:15], v14 offset1:2
	v_add_u32_e32 v24, v26, v1
	v_add_u32_e32 v22, v24, v25
	;; [unrolled: 1-line block ×4, first 2 shown]
	s_load_dwordx2 s[4:5], s[4:5], 0x28
	v_lshrrev_b64 v[16:17], 24, v[12:13]
	s_branch .LBB1191_278
.LBB1191_268:
                                        ; implicit-def: $vgpr18
                                        ; implicit-def: $vgpr20
                                        ; implicit-def: $vgpr22
                                        ; implicit-def: $vgpr24
                                        ; implicit-def: $vgpr26
                                        ; implicit-def: $vgpr15
	s_load_dwordx2 s[4:5], s[4:5], 0x28
	v_lshrrev_b64 v[16:17], 24, v[12:13]
	s_cbranch_execz .LBB1191_278
; %bb.269:
	s_waitcnt lgkmcnt(0)
	v_mov_b32_dpp v14, v31 row_shr:1 row_mask:0xf bank_mask:0xf
	v_cndmask_b32_e64 v14, v14, 0, s[14:15]
	v_add_u32_e32 v14, v14, v31
	s_nop 1
	v_mov_b32_dpp v15, v14 row_shr:2 row_mask:0xf bank_mask:0xf
	v_cndmask_b32_e64 v15, 0, v15, s[12:13]
	v_add_u32_e32 v14, v14, v15
	s_nop 1
	;; [unrolled: 4-line block ×4, first 2 shown]
	v_mov_b32_dpp v15, v14 row_bcast:15 row_mask:0xf bank_mask:0xf
	v_cndmask_b32_e64 v15, v15, 0, s[18:19]
	v_add_u32_e32 v14, v14, v15
	s_nop 1
	v_mov_b32_dpp v15, v14 row_bcast:31 row_mask:0xf bank_mask:0xf
	v_cndmask_b32_e64 v15, 0, v15, s[0:1]
	v_add_u32_e32 v14, v14, v15
	s_and_saveexec_b64 s[0:1], s[2:3]
	s_cbranch_execz .LBB1191_271
; %bb.270:
	v_lshlrev_b32_e32 v15, 2, v30
	ds_write_b32 v15, v14
.LBB1191_271:
	s_or_b64 exec, exec, s[0:1]
	v_cmp_gt_u32_e32 vcc, 4, v0
	s_waitcnt lgkmcnt(0)
	s_barrier
	s_and_saveexec_b64 s[0:1], vcc
	s_cbranch_execz .LBB1191_273
; %bb.272:
	v_lshlrev_b32_e32 v15, 2, v0
	ds_read_b32 v17, v15
	v_and_b32_e32 v18, 3, v29
	v_cmp_ne_u32_e32 vcc, 0, v18
	s_waitcnt lgkmcnt(0)
	v_mov_b32_dpp v19, v17 row_shr:1 row_mask:0xf bank_mask:0xf
	v_cndmask_b32_e32 v19, 0, v19, vcc
	v_add_u32_e32 v17, v19, v17
	v_cmp_lt_u32_e32 vcc, 1, v18
	s_nop 0
	v_mov_b32_dpp v19, v17 row_shr:2 row_mask:0xf bank_mask:0xf
	v_cndmask_b32_e32 v18, 0, v19, vcc
	v_add_u32_e32 v17, v17, v18
	ds_write_b32 v15, v17
.LBB1191_273:
	s_or_b64 exec, exec, s[0:1]
	v_cmp_lt_u32_e32 vcc, 63, v0
	v_mov_b32_e32 v15, 0
	v_mov_b32_e32 v17, 0
	s_waitcnt lgkmcnt(0)
	s_barrier
	s_and_saveexec_b64 s[0:1], vcc
	s_cbranch_execz .LBB1191_275
; %bb.274:
	v_lshl_add_u32 v17, v30, 2, -4
	ds_read_b32 v17, v17
.LBB1191_275:
	s_or_b64 exec, exec, s[0:1]
	v_add_u32_e32 v18, -1, v29
	v_and_b32_e32 v19, 64, v29
	v_cmp_lt_i32_e32 vcc, v18, v19
	v_cndmask_b32_e32 v18, v18, v29, vcc
	s_waitcnt lgkmcnt(0)
	v_add_u32_e32 v14, v17, v14
	v_lshlrev_b32_e32 v18, 2, v18
	ds_bpermute_b32 v18, v18, v14
	ds_read_b32 v14, v15 offset:12
	v_cmp_eq_u32_e32 vcc, 0, v0
	s_and_saveexec_b64 s[0:1], vcc
	s_cbranch_execz .LBB1191_277
; %bb.276:
	v_mov_b32_e32 v19, 0
	v_mov_b32_e32 v15, 2
	s_waitcnt lgkmcnt(0)
	global_store_dwordx2 v19, v[14:15], s[30:31] offset:512
.LBB1191_277:
	s_or_b64 exec, exec, s[0:1]
	v_cmp_eq_u32_e64 s[0:1], 0, v29
	s_waitcnt lgkmcnt(1)
	v_cndmask_b32_e64 v17, v18, v17, s[0:1]
	v_cndmask_b32_e64 v26, v17, 0, vcc
	v_add_u32_e32 v24, v26, v1
	v_add_u32_e32 v22, v24, v25
	;; [unrolled: 1-line block ×3, first 2 shown]
	v_mov_b32_e32 v15, 0
	v_add_u32_e32 v18, v20, v28
	s_waitcnt lgkmcnt(0)
	s_barrier
.LBB1191_278:
	s_movk_i32 s0, 0x101
	s_waitcnt lgkmcnt(0)
	v_cmp_gt_u32_e32 vcc, s0, v14
	v_lshrrev_b32_e32 v1, 8, v12
	s_mov_b64 s[0:1], -1
	s_cbranch_vccnz .LBB1191_282
; %bb.279:
	s_and_b64 vcc, exec, s[0:1]
	s_cbranch_vccnz .LBB1191_298
.LBB1191_280:
	v_cmp_eq_u32_e32 vcc, 0, v0
	s_and_b64 s[0:1], vcc, s[24:25]
	s_and_saveexec_b64 s[2:3], s[0:1]
	s_cbranch_execnz .LBB1191_312
.LBB1191_281:
	s_endpgm
.LBB1191_282:
	v_add_u32_e32 v17, v15, v14
	v_cmp_lt_u32_e32 vcc, v26, v17
	s_or_b64 s[2:3], s[34:35], vcc
	s_and_saveexec_b64 s[0:1], s[2:3]
	s_cbranch_execz .LBB1191_285
; %bb.283:
	v_and_b32_e32 v19, 1, v12
	v_cmp_eq_u32_e32 vcc, 1, v19
	s_and_b64 exec, exec, vcc
	s_cbranch_execz .LBB1191_285
; %bb.284:
	s_lshl_b64 s[2:3], s[22:23], 3
	s_add_u32 s2, s4, s2
	v_mov_b32_e32 v27, 0
	s_addc_u32 s3, s5, s3
	v_lshlrev_b64 v[28:29], 3, v[26:27]
	v_mov_b32_e32 v19, s3
	v_add_co_u32_e32 v28, vcc, s2, v28
	v_addc_co_u32_e32 v29, vcc, v19, v29, vcc
	global_store_dwordx2 v[28:29], v[6:7], off
.LBB1191_285:
	s_or_b64 exec, exec, s[0:1]
	v_cmp_lt_u32_e32 vcc, v24, v17
	s_or_b64 s[2:3], s[34:35], vcc
	s_and_saveexec_b64 s[0:1], s[2:3]
	s_cbranch_execz .LBB1191_288
; %bb.286:
	v_and_b32_e32 v19, 1, v1
	v_cmp_eq_u32_e32 vcc, 1, v19
	s_and_b64 exec, exec, vcc
	s_cbranch_execz .LBB1191_288
; %bb.287:
	s_lshl_b64 s[2:3], s[22:23], 3
	s_add_u32 s2, s4, s2
	v_mov_b32_e32 v25, 0
	s_addc_u32 s3, s5, s3
	v_lshlrev_b64 v[28:29], 3, v[24:25]
	v_mov_b32_e32 v19, s3
	v_add_co_u32_e32 v28, vcc, s2, v28
	v_addc_co_u32_e32 v29, vcc, v19, v29, vcc
	global_store_dwordx2 v[28:29], v[8:9], off
.LBB1191_288:
	s_or_b64 exec, exec, s[0:1]
	v_cmp_lt_u32_e32 vcc, v22, v17
	s_or_b64 s[2:3], s[34:35], vcc
	s_and_saveexec_b64 s[0:1], s[2:3]
	s_cbranch_execz .LBB1191_291
; %bb.289:
	v_mov_b32_e32 v19, 1
	v_and_b32_sdwa v19, v19, v12 dst_sel:DWORD dst_unused:UNUSED_PAD src0_sel:DWORD src1_sel:WORD_1
	v_cmp_eq_u32_e32 vcc, 1, v19
	s_and_b64 exec, exec, vcc
	s_cbranch_execz .LBB1191_291
; %bb.290:
	s_lshl_b64 s[2:3], s[22:23], 3
	s_add_u32 s2, s4, s2
	v_mov_b32_e32 v23, 0
	s_addc_u32 s3, s5, s3
	v_lshlrev_b64 v[28:29], 3, v[22:23]
	v_mov_b32_e32 v19, s3
	v_add_co_u32_e32 v28, vcc, s2, v28
	v_addc_co_u32_e32 v29, vcc, v19, v29, vcc
	global_store_dwordx2 v[28:29], v[2:3], off
.LBB1191_291:
	s_or_b64 exec, exec, s[0:1]
	v_cmp_lt_u32_e32 vcc, v20, v17
	s_or_b64 s[2:3], s[34:35], vcc
	s_and_saveexec_b64 s[0:1], s[2:3]
	s_cbranch_execz .LBB1191_294
; %bb.292:
	v_and_b32_e32 v19, 1, v16
	v_cmp_eq_u32_e32 vcc, 1, v19
	s_and_b64 exec, exec, vcc
	s_cbranch_execz .LBB1191_294
; %bb.293:
	s_lshl_b64 s[2:3], s[22:23], 3
	s_add_u32 s2, s4, s2
	v_mov_b32_e32 v21, 0
	s_addc_u32 s3, s5, s3
	v_lshlrev_b64 v[28:29], 3, v[20:21]
	v_mov_b32_e32 v19, s3
	v_add_co_u32_e32 v28, vcc, s2, v28
	v_addc_co_u32_e32 v29, vcc, v19, v29, vcc
	global_store_dwordx2 v[28:29], v[4:5], off
.LBB1191_294:
	s_or_b64 exec, exec, s[0:1]
	v_cmp_lt_u32_e32 vcc, v18, v17
	s_or_b64 s[2:3], s[34:35], vcc
	s_and_saveexec_b64 s[0:1], s[2:3]
	s_cbranch_execz .LBB1191_297
; %bb.295:
	v_and_b32_e32 v17, 1, v13
	v_cmp_eq_u32_e32 vcc, 1, v17
	s_and_b64 exec, exec, vcc
	s_cbranch_execz .LBB1191_297
; %bb.296:
	s_lshl_b64 s[2:3], s[22:23], 3
	s_add_u32 s2, s4, s2
	v_mov_b32_e32 v19, 0
	s_addc_u32 s3, s5, s3
	v_lshlrev_b64 v[28:29], 3, v[18:19]
	v_mov_b32_e32 v17, s3
	v_add_co_u32_e32 v28, vcc, s2, v28
	v_addc_co_u32_e32 v29, vcc, v17, v29, vcc
	global_store_dwordx2 v[28:29], v[10:11], off
.LBB1191_297:
	s_or_b64 exec, exec, s[0:1]
	s_branch .LBB1191_280
.LBB1191_298:
	v_and_b32_e32 v17, 1, v12
	v_cmp_eq_u32_e32 vcc, 1, v17
	s_and_saveexec_b64 s[0:1], vcc
	s_cbranch_execz .LBB1191_300
; %bb.299:
	v_sub_u32_e32 v17, v26, v15
	v_lshlrev_b32_e32 v17, 3, v17
	ds_write_b64 v17, v[6:7]
.LBB1191_300:
	s_or_b64 exec, exec, s[0:1]
	v_and_b32_e32 v1, 1, v1
	v_cmp_eq_u32_e32 vcc, 1, v1
	s_and_saveexec_b64 s[0:1], vcc
	s_cbranch_execz .LBB1191_302
; %bb.301:
	v_sub_u32_e32 v1, v24, v15
	v_lshlrev_b32_e32 v1, 3, v1
	ds_write_b64 v1, v[8:9]
.LBB1191_302:
	s_or_b64 exec, exec, s[0:1]
	v_mov_b32_e32 v1, 1
	v_and_b32_sdwa v1, v1, v12 dst_sel:DWORD dst_unused:UNUSED_PAD src0_sel:DWORD src1_sel:WORD_1
	v_cmp_eq_u32_e32 vcc, 1, v1
	s_and_saveexec_b64 s[0:1], vcc
	s_cbranch_execz .LBB1191_304
; %bb.303:
	v_sub_u32_e32 v1, v22, v15
	v_lshlrev_b32_e32 v1, 3, v1
	ds_write_b64 v1, v[2:3]
.LBB1191_304:
	s_or_b64 exec, exec, s[0:1]
	v_and_b32_e32 v1, 1, v16
	v_cmp_eq_u32_e32 vcc, 1, v1
	s_and_saveexec_b64 s[0:1], vcc
	s_cbranch_execz .LBB1191_306
; %bb.305:
	v_sub_u32_e32 v1, v20, v15
	v_lshlrev_b32_e32 v1, 3, v1
	ds_write_b64 v1, v[4:5]
.LBB1191_306:
	s_or_b64 exec, exec, s[0:1]
	v_and_b32_e32 v1, 1, v13
	v_cmp_eq_u32_e32 vcc, 1, v1
	s_and_saveexec_b64 s[0:1], vcc
	s_cbranch_execz .LBB1191_308
; %bb.307:
	v_sub_u32_e32 v1, v18, v15
	v_lshlrev_b32_e32 v1, 3, v1
	ds_write_b64 v1, v[10:11]
.LBB1191_308:
	s_or_b64 exec, exec, s[0:1]
	v_cmp_lt_u32_e32 vcc, v0, v14
	s_waitcnt lgkmcnt(0)
	s_barrier
	s_and_saveexec_b64 s[0:1], vcc
	s_cbranch_execz .LBB1191_311
; %bb.309:
	v_mov_b32_e32 v3, 0
	v_mov_b32_e32 v2, v15
	v_lshlrev_b64 v[4:5], 3, v[2:3]
	v_mov_b32_e32 v1, s5
	v_add_co_u32_e32 v2, vcc, s4, v4
	v_addc_co_u32_e32 v4, vcc, v1, v5, vcc
	s_lshl_b64 s[2:3], s[22:23], 3
	v_mov_b32_e32 v5, s3
	v_add_co_u32_e32 v1, vcc, s2, v2
	v_addc_co_u32_e32 v4, vcc, v4, v5, vcc
	v_lshlrev_b32_e32 v5, 3, v0
	s_mov_b64 s[2:3], 0
	v_mov_b32_e32 v2, v0
.LBB1191_310:                           ; =>This Inner Loop Header: Depth=1
	ds_read_b64 v[6:7], v5
	v_lshlrev_b64 v[8:9], 3, v[2:3]
	v_add_co_u32_e32 v8, vcc, v1, v8
	v_add_u32_e32 v2, 0x100, v2
	v_addc_co_u32_e32 v9, vcc, v4, v9, vcc
	v_cmp_ge_u32_e32 vcc, v2, v14
	v_add_u32_e32 v5, 0x800, v5
	s_or_b64 s[2:3], vcc, s[2:3]
	s_waitcnt lgkmcnt(0)
	global_store_dwordx2 v[8:9], v[6:7], off
	s_andn2_b64 exec, exec, s[2:3]
	s_cbranch_execnz .LBB1191_310
.LBB1191_311:
	s_or_b64 exec, exec, s[0:1]
	v_cmp_eq_u32_e32 vcc, 0, v0
	s_and_b64 s[0:1], vcc, s[24:25]
	s_and_saveexec_b64 s[2:3], s[0:1]
	s_cbranch_execz .LBB1191_281
.LBB1191_312:
	v_mov_b32_e32 v0, s23
	v_add_co_u32_e32 v1, vcc, s22, v14
	v_addc_co_u32_e32 v3, vcc, 0, v0, vcc
	v_add_co_u32_e32 v0, vcc, v1, v15
	v_mov_b32_e32 v2, 0
	v_addc_co_u32_e32 v1, vcc, 0, v3, vcc
	global_store_dwordx2 v2, v[0:1], s[20:21]
	s_endpgm
	.section	.rodata,"a",@progbits
	.p2align	6, 0x0
	.amdhsa_kernel _ZN7rocprim17ROCPRIM_400000_NS6detail17trampoline_kernelINS0_14default_configENS1_25partition_config_selectorILNS1_17partition_subalgoE8ElNS0_10empty_typeEbEEZZNS1_14partition_implILS5_8ELb0ES3_jPlPS6_PKS6_NS0_5tupleIJS9_S6_EEENSD_IJSA_SA_EEENS0_18inequality_wrapperIZN2at6native12_GLOBAL__N_124unique_dim_cuda_templateIN3c108BFloat16EEESt5tupleIJNSH_6TensorESO_SO_EERKSO_lbbbEUlllE0_EEPmJS6_EEE10hipError_tPvRmT3_T4_T5_T6_T7_T9_mT8_P12ihipStream_tbDpT10_ENKUlT_T0_E_clISt17integral_constantIbLb1EES1D_IbLb0EEEEDaS19_S1A_EUlS19_E_NS1_11comp_targetILNS1_3genE4ELNS1_11target_archE910ELNS1_3gpuE8ELNS1_3repE0EEENS1_30default_config_static_selectorELNS0_4arch9wavefront6targetE1EEEvT1_
		.amdhsa_group_segment_fixed_size 10252
		.amdhsa_private_segment_fixed_size 0
		.amdhsa_kernarg_size 120
		.amdhsa_user_sgpr_count 6
		.amdhsa_user_sgpr_private_segment_buffer 1
		.amdhsa_user_sgpr_dispatch_ptr 0
		.amdhsa_user_sgpr_queue_ptr 0
		.amdhsa_user_sgpr_kernarg_segment_ptr 1
		.amdhsa_user_sgpr_dispatch_id 0
		.amdhsa_user_sgpr_flat_scratch_init 0
		.amdhsa_user_sgpr_kernarg_preload_length 0
		.amdhsa_user_sgpr_kernarg_preload_offset 0
		.amdhsa_user_sgpr_private_segment_size 0
		.amdhsa_uses_dynamic_stack 0
		.amdhsa_system_sgpr_private_segment_wavefront_offset 0
		.amdhsa_system_sgpr_workgroup_id_x 1
		.amdhsa_system_sgpr_workgroup_id_y 0
		.amdhsa_system_sgpr_workgroup_id_z 0
		.amdhsa_system_sgpr_workgroup_info 0
		.amdhsa_system_vgpr_workitem_id 0
		.amdhsa_next_free_vgpr 46
		.amdhsa_next_free_sgpr 48
		.amdhsa_accum_offset 48
		.amdhsa_reserve_vcc 1
		.amdhsa_reserve_flat_scratch 0
		.amdhsa_float_round_mode_32 0
		.amdhsa_float_round_mode_16_64 0
		.amdhsa_float_denorm_mode_32 3
		.amdhsa_float_denorm_mode_16_64 3
		.amdhsa_dx10_clamp 1
		.amdhsa_ieee_mode 1
		.amdhsa_fp16_overflow 0
		.amdhsa_tg_split 0
		.amdhsa_exception_fp_ieee_invalid_op 0
		.amdhsa_exception_fp_denorm_src 0
		.amdhsa_exception_fp_ieee_div_zero 0
		.amdhsa_exception_fp_ieee_overflow 0
		.amdhsa_exception_fp_ieee_underflow 0
		.amdhsa_exception_fp_ieee_inexact 0
		.amdhsa_exception_int_div_zero 0
	.end_amdhsa_kernel
	.section	.text._ZN7rocprim17ROCPRIM_400000_NS6detail17trampoline_kernelINS0_14default_configENS1_25partition_config_selectorILNS1_17partition_subalgoE8ElNS0_10empty_typeEbEEZZNS1_14partition_implILS5_8ELb0ES3_jPlPS6_PKS6_NS0_5tupleIJS9_S6_EEENSD_IJSA_SA_EEENS0_18inequality_wrapperIZN2at6native12_GLOBAL__N_124unique_dim_cuda_templateIN3c108BFloat16EEESt5tupleIJNSH_6TensorESO_SO_EERKSO_lbbbEUlllE0_EEPmJS6_EEE10hipError_tPvRmT3_T4_T5_T6_T7_T9_mT8_P12ihipStream_tbDpT10_ENKUlT_T0_E_clISt17integral_constantIbLb1EES1D_IbLb0EEEEDaS19_S1A_EUlS19_E_NS1_11comp_targetILNS1_3genE4ELNS1_11target_archE910ELNS1_3gpuE8ELNS1_3repE0EEENS1_30default_config_static_selectorELNS0_4arch9wavefront6targetE1EEEvT1_,"axG",@progbits,_ZN7rocprim17ROCPRIM_400000_NS6detail17trampoline_kernelINS0_14default_configENS1_25partition_config_selectorILNS1_17partition_subalgoE8ElNS0_10empty_typeEbEEZZNS1_14partition_implILS5_8ELb0ES3_jPlPS6_PKS6_NS0_5tupleIJS9_S6_EEENSD_IJSA_SA_EEENS0_18inequality_wrapperIZN2at6native12_GLOBAL__N_124unique_dim_cuda_templateIN3c108BFloat16EEESt5tupleIJNSH_6TensorESO_SO_EERKSO_lbbbEUlllE0_EEPmJS6_EEE10hipError_tPvRmT3_T4_T5_T6_T7_T9_mT8_P12ihipStream_tbDpT10_ENKUlT_T0_E_clISt17integral_constantIbLb1EES1D_IbLb0EEEEDaS19_S1A_EUlS19_E_NS1_11comp_targetILNS1_3genE4ELNS1_11target_archE910ELNS1_3gpuE8ELNS1_3repE0EEENS1_30default_config_static_selectorELNS0_4arch9wavefront6targetE1EEEvT1_,comdat
.Lfunc_end1191:
	.size	_ZN7rocprim17ROCPRIM_400000_NS6detail17trampoline_kernelINS0_14default_configENS1_25partition_config_selectorILNS1_17partition_subalgoE8ElNS0_10empty_typeEbEEZZNS1_14partition_implILS5_8ELb0ES3_jPlPS6_PKS6_NS0_5tupleIJS9_S6_EEENSD_IJSA_SA_EEENS0_18inequality_wrapperIZN2at6native12_GLOBAL__N_124unique_dim_cuda_templateIN3c108BFloat16EEESt5tupleIJNSH_6TensorESO_SO_EERKSO_lbbbEUlllE0_EEPmJS6_EEE10hipError_tPvRmT3_T4_T5_T6_T7_T9_mT8_P12ihipStream_tbDpT10_ENKUlT_T0_E_clISt17integral_constantIbLb1EES1D_IbLb0EEEEDaS19_S1A_EUlS19_E_NS1_11comp_targetILNS1_3genE4ELNS1_11target_archE910ELNS1_3gpuE8ELNS1_3repE0EEENS1_30default_config_static_selectorELNS0_4arch9wavefront6targetE1EEEvT1_, .Lfunc_end1191-_ZN7rocprim17ROCPRIM_400000_NS6detail17trampoline_kernelINS0_14default_configENS1_25partition_config_selectorILNS1_17partition_subalgoE8ElNS0_10empty_typeEbEEZZNS1_14partition_implILS5_8ELb0ES3_jPlPS6_PKS6_NS0_5tupleIJS9_S6_EEENSD_IJSA_SA_EEENS0_18inequality_wrapperIZN2at6native12_GLOBAL__N_124unique_dim_cuda_templateIN3c108BFloat16EEESt5tupleIJNSH_6TensorESO_SO_EERKSO_lbbbEUlllE0_EEPmJS6_EEE10hipError_tPvRmT3_T4_T5_T6_T7_T9_mT8_P12ihipStream_tbDpT10_ENKUlT_T0_E_clISt17integral_constantIbLb1EES1D_IbLb0EEEEDaS19_S1A_EUlS19_E_NS1_11comp_targetILNS1_3genE4ELNS1_11target_archE910ELNS1_3gpuE8ELNS1_3repE0EEENS1_30default_config_static_selectorELNS0_4arch9wavefront6targetE1EEEvT1_
                                        ; -- End function
	.section	.AMDGPU.csdata,"",@progbits
; Kernel info:
; codeLenInByte = 11936
; NumSgprs: 52
; NumVgprs: 46
; NumAgprs: 0
; TotalNumVgprs: 46
; ScratchSize: 0
; MemoryBound: 0
; FloatMode: 240
; IeeeMode: 1
; LDSByteSize: 10252 bytes/workgroup (compile time only)
; SGPRBlocks: 6
; VGPRBlocks: 5
; NumSGPRsForWavesPerEU: 52
; NumVGPRsForWavesPerEU: 46
; AccumOffset: 48
; Occupancy: 6
; WaveLimiterHint : 1
; COMPUTE_PGM_RSRC2:SCRATCH_EN: 0
; COMPUTE_PGM_RSRC2:USER_SGPR: 6
; COMPUTE_PGM_RSRC2:TRAP_HANDLER: 0
; COMPUTE_PGM_RSRC2:TGID_X_EN: 1
; COMPUTE_PGM_RSRC2:TGID_Y_EN: 0
; COMPUTE_PGM_RSRC2:TGID_Z_EN: 0
; COMPUTE_PGM_RSRC2:TIDIG_COMP_CNT: 0
; COMPUTE_PGM_RSRC3_GFX90A:ACCUM_OFFSET: 11
; COMPUTE_PGM_RSRC3_GFX90A:TG_SPLIT: 0
	.section	.text._ZN7rocprim17ROCPRIM_400000_NS6detail17trampoline_kernelINS0_14default_configENS1_25partition_config_selectorILNS1_17partition_subalgoE8ElNS0_10empty_typeEbEEZZNS1_14partition_implILS5_8ELb0ES3_jPlPS6_PKS6_NS0_5tupleIJS9_S6_EEENSD_IJSA_SA_EEENS0_18inequality_wrapperIZN2at6native12_GLOBAL__N_124unique_dim_cuda_templateIN3c108BFloat16EEESt5tupleIJNSH_6TensorESO_SO_EERKSO_lbbbEUlllE0_EEPmJS6_EEE10hipError_tPvRmT3_T4_T5_T6_T7_T9_mT8_P12ihipStream_tbDpT10_ENKUlT_T0_E_clISt17integral_constantIbLb1EES1D_IbLb0EEEEDaS19_S1A_EUlS19_E_NS1_11comp_targetILNS1_3genE3ELNS1_11target_archE908ELNS1_3gpuE7ELNS1_3repE0EEENS1_30default_config_static_selectorELNS0_4arch9wavefront6targetE1EEEvT1_,"axG",@progbits,_ZN7rocprim17ROCPRIM_400000_NS6detail17trampoline_kernelINS0_14default_configENS1_25partition_config_selectorILNS1_17partition_subalgoE8ElNS0_10empty_typeEbEEZZNS1_14partition_implILS5_8ELb0ES3_jPlPS6_PKS6_NS0_5tupleIJS9_S6_EEENSD_IJSA_SA_EEENS0_18inequality_wrapperIZN2at6native12_GLOBAL__N_124unique_dim_cuda_templateIN3c108BFloat16EEESt5tupleIJNSH_6TensorESO_SO_EERKSO_lbbbEUlllE0_EEPmJS6_EEE10hipError_tPvRmT3_T4_T5_T6_T7_T9_mT8_P12ihipStream_tbDpT10_ENKUlT_T0_E_clISt17integral_constantIbLb1EES1D_IbLb0EEEEDaS19_S1A_EUlS19_E_NS1_11comp_targetILNS1_3genE3ELNS1_11target_archE908ELNS1_3gpuE7ELNS1_3repE0EEENS1_30default_config_static_selectorELNS0_4arch9wavefront6targetE1EEEvT1_,comdat
	.globl	_ZN7rocprim17ROCPRIM_400000_NS6detail17trampoline_kernelINS0_14default_configENS1_25partition_config_selectorILNS1_17partition_subalgoE8ElNS0_10empty_typeEbEEZZNS1_14partition_implILS5_8ELb0ES3_jPlPS6_PKS6_NS0_5tupleIJS9_S6_EEENSD_IJSA_SA_EEENS0_18inequality_wrapperIZN2at6native12_GLOBAL__N_124unique_dim_cuda_templateIN3c108BFloat16EEESt5tupleIJNSH_6TensorESO_SO_EERKSO_lbbbEUlllE0_EEPmJS6_EEE10hipError_tPvRmT3_T4_T5_T6_T7_T9_mT8_P12ihipStream_tbDpT10_ENKUlT_T0_E_clISt17integral_constantIbLb1EES1D_IbLb0EEEEDaS19_S1A_EUlS19_E_NS1_11comp_targetILNS1_3genE3ELNS1_11target_archE908ELNS1_3gpuE7ELNS1_3repE0EEENS1_30default_config_static_selectorELNS0_4arch9wavefront6targetE1EEEvT1_ ; -- Begin function _ZN7rocprim17ROCPRIM_400000_NS6detail17trampoline_kernelINS0_14default_configENS1_25partition_config_selectorILNS1_17partition_subalgoE8ElNS0_10empty_typeEbEEZZNS1_14partition_implILS5_8ELb0ES3_jPlPS6_PKS6_NS0_5tupleIJS9_S6_EEENSD_IJSA_SA_EEENS0_18inequality_wrapperIZN2at6native12_GLOBAL__N_124unique_dim_cuda_templateIN3c108BFloat16EEESt5tupleIJNSH_6TensorESO_SO_EERKSO_lbbbEUlllE0_EEPmJS6_EEE10hipError_tPvRmT3_T4_T5_T6_T7_T9_mT8_P12ihipStream_tbDpT10_ENKUlT_T0_E_clISt17integral_constantIbLb1EES1D_IbLb0EEEEDaS19_S1A_EUlS19_E_NS1_11comp_targetILNS1_3genE3ELNS1_11target_archE908ELNS1_3gpuE7ELNS1_3repE0EEENS1_30default_config_static_selectorELNS0_4arch9wavefront6targetE1EEEvT1_
	.p2align	8
	.type	_ZN7rocprim17ROCPRIM_400000_NS6detail17trampoline_kernelINS0_14default_configENS1_25partition_config_selectorILNS1_17partition_subalgoE8ElNS0_10empty_typeEbEEZZNS1_14partition_implILS5_8ELb0ES3_jPlPS6_PKS6_NS0_5tupleIJS9_S6_EEENSD_IJSA_SA_EEENS0_18inequality_wrapperIZN2at6native12_GLOBAL__N_124unique_dim_cuda_templateIN3c108BFloat16EEESt5tupleIJNSH_6TensorESO_SO_EERKSO_lbbbEUlllE0_EEPmJS6_EEE10hipError_tPvRmT3_T4_T5_T6_T7_T9_mT8_P12ihipStream_tbDpT10_ENKUlT_T0_E_clISt17integral_constantIbLb1EES1D_IbLb0EEEEDaS19_S1A_EUlS19_E_NS1_11comp_targetILNS1_3genE3ELNS1_11target_archE908ELNS1_3gpuE7ELNS1_3repE0EEENS1_30default_config_static_selectorELNS0_4arch9wavefront6targetE1EEEvT1_,@function
_ZN7rocprim17ROCPRIM_400000_NS6detail17trampoline_kernelINS0_14default_configENS1_25partition_config_selectorILNS1_17partition_subalgoE8ElNS0_10empty_typeEbEEZZNS1_14partition_implILS5_8ELb0ES3_jPlPS6_PKS6_NS0_5tupleIJS9_S6_EEENSD_IJSA_SA_EEENS0_18inequality_wrapperIZN2at6native12_GLOBAL__N_124unique_dim_cuda_templateIN3c108BFloat16EEESt5tupleIJNSH_6TensorESO_SO_EERKSO_lbbbEUlllE0_EEPmJS6_EEE10hipError_tPvRmT3_T4_T5_T6_T7_T9_mT8_P12ihipStream_tbDpT10_ENKUlT_T0_E_clISt17integral_constantIbLb1EES1D_IbLb0EEEEDaS19_S1A_EUlS19_E_NS1_11comp_targetILNS1_3genE3ELNS1_11target_archE908ELNS1_3gpuE7ELNS1_3repE0EEENS1_30default_config_static_selectorELNS0_4arch9wavefront6targetE1EEEvT1_: ; @_ZN7rocprim17ROCPRIM_400000_NS6detail17trampoline_kernelINS0_14default_configENS1_25partition_config_selectorILNS1_17partition_subalgoE8ElNS0_10empty_typeEbEEZZNS1_14partition_implILS5_8ELb0ES3_jPlPS6_PKS6_NS0_5tupleIJS9_S6_EEENSD_IJSA_SA_EEENS0_18inequality_wrapperIZN2at6native12_GLOBAL__N_124unique_dim_cuda_templateIN3c108BFloat16EEESt5tupleIJNSH_6TensorESO_SO_EERKSO_lbbbEUlllE0_EEPmJS6_EEE10hipError_tPvRmT3_T4_T5_T6_T7_T9_mT8_P12ihipStream_tbDpT10_ENKUlT_T0_E_clISt17integral_constantIbLb1EES1D_IbLb0EEEEDaS19_S1A_EUlS19_E_NS1_11comp_targetILNS1_3genE3ELNS1_11target_archE908ELNS1_3gpuE7ELNS1_3repE0EEENS1_30default_config_static_selectorELNS0_4arch9wavefront6targetE1EEEvT1_
; %bb.0:
	.section	.rodata,"a",@progbits
	.p2align	6, 0x0
	.amdhsa_kernel _ZN7rocprim17ROCPRIM_400000_NS6detail17trampoline_kernelINS0_14default_configENS1_25partition_config_selectorILNS1_17partition_subalgoE8ElNS0_10empty_typeEbEEZZNS1_14partition_implILS5_8ELb0ES3_jPlPS6_PKS6_NS0_5tupleIJS9_S6_EEENSD_IJSA_SA_EEENS0_18inequality_wrapperIZN2at6native12_GLOBAL__N_124unique_dim_cuda_templateIN3c108BFloat16EEESt5tupleIJNSH_6TensorESO_SO_EERKSO_lbbbEUlllE0_EEPmJS6_EEE10hipError_tPvRmT3_T4_T5_T6_T7_T9_mT8_P12ihipStream_tbDpT10_ENKUlT_T0_E_clISt17integral_constantIbLb1EES1D_IbLb0EEEEDaS19_S1A_EUlS19_E_NS1_11comp_targetILNS1_3genE3ELNS1_11target_archE908ELNS1_3gpuE7ELNS1_3repE0EEENS1_30default_config_static_selectorELNS0_4arch9wavefront6targetE1EEEvT1_
		.amdhsa_group_segment_fixed_size 0
		.amdhsa_private_segment_fixed_size 0
		.amdhsa_kernarg_size 120
		.amdhsa_user_sgpr_count 6
		.amdhsa_user_sgpr_private_segment_buffer 1
		.amdhsa_user_sgpr_dispatch_ptr 0
		.amdhsa_user_sgpr_queue_ptr 0
		.amdhsa_user_sgpr_kernarg_segment_ptr 1
		.amdhsa_user_sgpr_dispatch_id 0
		.amdhsa_user_sgpr_flat_scratch_init 0
		.amdhsa_user_sgpr_kernarg_preload_length 0
		.amdhsa_user_sgpr_kernarg_preload_offset 0
		.amdhsa_user_sgpr_private_segment_size 0
		.amdhsa_uses_dynamic_stack 0
		.amdhsa_system_sgpr_private_segment_wavefront_offset 0
		.amdhsa_system_sgpr_workgroup_id_x 1
		.amdhsa_system_sgpr_workgroup_id_y 0
		.amdhsa_system_sgpr_workgroup_id_z 0
		.amdhsa_system_sgpr_workgroup_info 0
		.amdhsa_system_vgpr_workitem_id 0
		.amdhsa_next_free_vgpr 1
		.amdhsa_next_free_sgpr 0
		.amdhsa_accum_offset 4
		.amdhsa_reserve_vcc 0
		.amdhsa_reserve_flat_scratch 0
		.amdhsa_float_round_mode_32 0
		.amdhsa_float_round_mode_16_64 0
		.amdhsa_float_denorm_mode_32 3
		.amdhsa_float_denorm_mode_16_64 3
		.amdhsa_dx10_clamp 1
		.amdhsa_ieee_mode 1
		.amdhsa_fp16_overflow 0
		.amdhsa_tg_split 0
		.amdhsa_exception_fp_ieee_invalid_op 0
		.amdhsa_exception_fp_denorm_src 0
		.amdhsa_exception_fp_ieee_div_zero 0
		.amdhsa_exception_fp_ieee_overflow 0
		.amdhsa_exception_fp_ieee_underflow 0
		.amdhsa_exception_fp_ieee_inexact 0
		.amdhsa_exception_int_div_zero 0
	.end_amdhsa_kernel
	.section	.text._ZN7rocprim17ROCPRIM_400000_NS6detail17trampoline_kernelINS0_14default_configENS1_25partition_config_selectorILNS1_17partition_subalgoE8ElNS0_10empty_typeEbEEZZNS1_14partition_implILS5_8ELb0ES3_jPlPS6_PKS6_NS0_5tupleIJS9_S6_EEENSD_IJSA_SA_EEENS0_18inequality_wrapperIZN2at6native12_GLOBAL__N_124unique_dim_cuda_templateIN3c108BFloat16EEESt5tupleIJNSH_6TensorESO_SO_EERKSO_lbbbEUlllE0_EEPmJS6_EEE10hipError_tPvRmT3_T4_T5_T6_T7_T9_mT8_P12ihipStream_tbDpT10_ENKUlT_T0_E_clISt17integral_constantIbLb1EES1D_IbLb0EEEEDaS19_S1A_EUlS19_E_NS1_11comp_targetILNS1_3genE3ELNS1_11target_archE908ELNS1_3gpuE7ELNS1_3repE0EEENS1_30default_config_static_selectorELNS0_4arch9wavefront6targetE1EEEvT1_,"axG",@progbits,_ZN7rocprim17ROCPRIM_400000_NS6detail17trampoline_kernelINS0_14default_configENS1_25partition_config_selectorILNS1_17partition_subalgoE8ElNS0_10empty_typeEbEEZZNS1_14partition_implILS5_8ELb0ES3_jPlPS6_PKS6_NS0_5tupleIJS9_S6_EEENSD_IJSA_SA_EEENS0_18inequality_wrapperIZN2at6native12_GLOBAL__N_124unique_dim_cuda_templateIN3c108BFloat16EEESt5tupleIJNSH_6TensorESO_SO_EERKSO_lbbbEUlllE0_EEPmJS6_EEE10hipError_tPvRmT3_T4_T5_T6_T7_T9_mT8_P12ihipStream_tbDpT10_ENKUlT_T0_E_clISt17integral_constantIbLb1EES1D_IbLb0EEEEDaS19_S1A_EUlS19_E_NS1_11comp_targetILNS1_3genE3ELNS1_11target_archE908ELNS1_3gpuE7ELNS1_3repE0EEENS1_30default_config_static_selectorELNS0_4arch9wavefront6targetE1EEEvT1_,comdat
.Lfunc_end1192:
	.size	_ZN7rocprim17ROCPRIM_400000_NS6detail17trampoline_kernelINS0_14default_configENS1_25partition_config_selectorILNS1_17partition_subalgoE8ElNS0_10empty_typeEbEEZZNS1_14partition_implILS5_8ELb0ES3_jPlPS6_PKS6_NS0_5tupleIJS9_S6_EEENSD_IJSA_SA_EEENS0_18inequality_wrapperIZN2at6native12_GLOBAL__N_124unique_dim_cuda_templateIN3c108BFloat16EEESt5tupleIJNSH_6TensorESO_SO_EERKSO_lbbbEUlllE0_EEPmJS6_EEE10hipError_tPvRmT3_T4_T5_T6_T7_T9_mT8_P12ihipStream_tbDpT10_ENKUlT_T0_E_clISt17integral_constantIbLb1EES1D_IbLb0EEEEDaS19_S1A_EUlS19_E_NS1_11comp_targetILNS1_3genE3ELNS1_11target_archE908ELNS1_3gpuE7ELNS1_3repE0EEENS1_30default_config_static_selectorELNS0_4arch9wavefront6targetE1EEEvT1_, .Lfunc_end1192-_ZN7rocprim17ROCPRIM_400000_NS6detail17trampoline_kernelINS0_14default_configENS1_25partition_config_selectorILNS1_17partition_subalgoE8ElNS0_10empty_typeEbEEZZNS1_14partition_implILS5_8ELb0ES3_jPlPS6_PKS6_NS0_5tupleIJS9_S6_EEENSD_IJSA_SA_EEENS0_18inequality_wrapperIZN2at6native12_GLOBAL__N_124unique_dim_cuda_templateIN3c108BFloat16EEESt5tupleIJNSH_6TensorESO_SO_EERKSO_lbbbEUlllE0_EEPmJS6_EEE10hipError_tPvRmT3_T4_T5_T6_T7_T9_mT8_P12ihipStream_tbDpT10_ENKUlT_T0_E_clISt17integral_constantIbLb1EES1D_IbLb0EEEEDaS19_S1A_EUlS19_E_NS1_11comp_targetILNS1_3genE3ELNS1_11target_archE908ELNS1_3gpuE7ELNS1_3repE0EEENS1_30default_config_static_selectorELNS0_4arch9wavefront6targetE1EEEvT1_
                                        ; -- End function
	.section	.AMDGPU.csdata,"",@progbits
; Kernel info:
; codeLenInByte = 0
; NumSgprs: 4
; NumVgprs: 0
; NumAgprs: 0
; TotalNumVgprs: 0
; ScratchSize: 0
; MemoryBound: 0
; FloatMode: 240
; IeeeMode: 1
; LDSByteSize: 0 bytes/workgroup (compile time only)
; SGPRBlocks: 0
; VGPRBlocks: 0
; NumSGPRsForWavesPerEU: 4
; NumVGPRsForWavesPerEU: 1
; AccumOffset: 4
; Occupancy: 8
; WaveLimiterHint : 0
; COMPUTE_PGM_RSRC2:SCRATCH_EN: 0
; COMPUTE_PGM_RSRC2:USER_SGPR: 6
; COMPUTE_PGM_RSRC2:TRAP_HANDLER: 0
; COMPUTE_PGM_RSRC2:TGID_X_EN: 1
; COMPUTE_PGM_RSRC2:TGID_Y_EN: 0
; COMPUTE_PGM_RSRC2:TGID_Z_EN: 0
; COMPUTE_PGM_RSRC2:TIDIG_COMP_CNT: 0
; COMPUTE_PGM_RSRC3_GFX90A:ACCUM_OFFSET: 0
; COMPUTE_PGM_RSRC3_GFX90A:TG_SPLIT: 0
	.section	.text._ZN7rocprim17ROCPRIM_400000_NS6detail17trampoline_kernelINS0_14default_configENS1_25partition_config_selectorILNS1_17partition_subalgoE8ElNS0_10empty_typeEbEEZZNS1_14partition_implILS5_8ELb0ES3_jPlPS6_PKS6_NS0_5tupleIJS9_S6_EEENSD_IJSA_SA_EEENS0_18inequality_wrapperIZN2at6native12_GLOBAL__N_124unique_dim_cuda_templateIN3c108BFloat16EEESt5tupleIJNSH_6TensorESO_SO_EERKSO_lbbbEUlllE0_EEPmJS6_EEE10hipError_tPvRmT3_T4_T5_T6_T7_T9_mT8_P12ihipStream_tbDpT10_ENKUlT_T0_E_clISt17integral_constantIbLb1EES1D_IbLb0EEEEDaS19_S1A_EUlS19_E_NS1_11comp_targetILNS1_3genE2ELNS1_11target_archE906ELNS1_3gpuE6ELNS1_3repE0EEENS1_30default_config_static_selectorELNS0_4arch9wavefront6targetE1EEEvT1_,"axG",@progbits,_ZN7rocprim17ROCPRIM_400000_NS6detail17trampoline_kernelINS0_14default_configENS1_25partition_config_selectorILNS1_17partition_subalgoE8ElNS0_10empty_typeEbEEZZNS1_14partition_implILS5_8ELb0ES3_jPlPS6_PKS6_NS0_5tupleIJS9_S6_EEENSD_IJSA_SA_EEENS0_18inequality_wrapperIZN2at6native12_GLOBAL__N_124unique_dim_cuda_templateIN3c108BFloat16EEESt5tupleIJNSH_6TensorESO_SO_EERKSO_lbbbEUlllE0_EEPmJS6_EEE10hipError_tPvRmT3_T4_T5_T6_T7_T9_mT8_P12ihipStream_tbDpT10_ENKUlT_T0_E_clISt17integral_constantIbLb1EES1D_IbLb0EEEEDaS19_S1A_EUlS19_E_NS1_11comp_targetILNS1_3genE2ELNS1_11target_archE906ELNS1_3gpuE6ELNS1_3repE0EEENS1_30default_config_static_selectorELNS0_4arch9wavefront6targetE1EEEvT1_,comdat
	.globl	_ZN7rocprim17ROCPRIM_400000_NS6detail17trampoline_kernelINS0_14default_configENS1_25partition_config_selectorILNS1_17partition_subalgoE8ElNS0_10empty_typeEbEEZZNS1_14partition_implILS5_8ELb0ES3_jPlPS6_PKS6_NS0_5tupleIJS9_S6_EEENSD_IJSA_SA_EEENS0_18inequality_wrapperIZN2at6native12_GLOBAL__N_124unique_dim_cuda_templateIN3c108BFloat16EEESt5tupleIJNSH_6TensorESO_SO_EERKSO_lbbbEUlllE0_EEPmJS6_EEE10hipError_tPvRmT3_T4_T5_T6_T7_T9_mT8_P12ihipStream_tbDpT10_ENKUlT_T0_E_clISt17integral_constantIbLb1EES1D_IbLb0EEEEDaS19_S1A_EUlS19_E_NS1_11comp_targetILNS1_3genE2ELNS1_11target_archE906ELNS1_3gpuE6ELNS1_3repE0EEENS1_30default_config_static_selectorELNS0_4arch9wavefront6targetE1EEEvT1_ ; -- Begin function _ZN7rocprim17ROCPRIM_400000_NS6detail17trampoline_kernelINS0_14default_configENS1_25partition_config_selectorILNS1_17partition_subalgoE8ElNS0_10empty_typeEbEEZZNS1_14partition_implILS5_8ELb0ES3_jPlPS6_PKS6_NS0_5tupleIJS9_S6_EEENSD_IJSA_SA_EEENS0_18inequality_wrapperIZN2at6native12_GLOBAL__N_124unique_dim_cuda_templateIN3c108BFloat16EEESt5tupleIJNSH_6TensorESO_SO_EERKSO_lbbbEUlllE0_EEPmJS6_EEE10hipError_tPvRmT3_T4_T5_T6_T7_T9_mT8_P12ihipStream_tbDpT10_ENKUlT_T0_E_clISt17integral_constantIbLb1EES1D_IbLb0EEEEDaS19_S1A_EUlS19_E_NS1_11comp_targetILNS1_3genE2ELNS1_11target_archE906ELNS1_3gpuE6ELNS1_3repE0EEENS1_30default_config_static_selectorELNS0_4arch9wavefront6targetE1EEEvT1_
	.p2align	8
	.type	_ZN7rocprim17ROCPRIM_400000_NS6detail17trampoline_kernelINS0_14default_configENS1_25partition_config_selectorILNS1_17partition_subalgoE8ElNS0_10empty_typeEbEEZZNS1_14partition_implILS5_8ELb0ES3_jPlPS6_PKS6_NS0_5tupleIJS9_S6_EEENSD_IJSA_SA_EEENS0_18inequality_wrapperIZN2at6native12_GLOBAL__N_124unique_dim_cuda_templateIN3c108BFloat16EEESt5tupleIJNSH_6TensorESO_SO_EERKSO_lbbbEUlllE0_EEPmJS6_EEE10hipError_tPvRmT3_T4_T5_T6_T7_T9_mT8_P12ihipStream_tbDpT10_ENKUlT_T0_E_clISt17integral_constantIbLb1EES1D_IbLb0EEEEDaS19_S1A_EUlS19_E_NS1_11comp_targetILNS1_3genE2ELNS1_11target_archE906ELNS1_3gpuE6ELNS1_3repE0EEENS1_30default_config_static_selectorELNS0_4arch9wavefront6targetE1EEEvT1_,@function
_ZN7rocprim17ROCPRIM_400000_NS6detail17trampoline_kernelINS0_14default_configENS1_25partition_config_selectorILNS1_17partition_subalgoE8ElNS0_10empty_typeEbEEZZNS1_14partition_implILS5_8ELb0ES3_jPlPS6_PKS6_NS0_5tupleIJS9_S6_EEENSD_IJSA_SA_EEENS0_18inequality_wrapperIZN2at6native12_GLOBAL__N_124unique_dim_cuda_templateIN3c108BFloat16EEESt5tupleIJNSH_6TensorESO_SO_EERKSO_lbbbEUlllE0_EEPmJS6_EEE10hipError_tPvRmT3_T4_T5_T6_T7_T9_mT8_P12ihipStream_tbDpT10_ENKUlT_T0_E_clISt17integral_constantIbLb1EES1D_IbLb0EEEEDaS19_S1A_EUlS19_E_NS1_11comp_targetILNS1_3genE2ELNS1_11target_archE906ELNS1_3gpuE6ELNS1_3repE0EEENS1_30default_config_static_selectorELNS0_4arch9wavefront6targetE1EEEvT1_: ; @_ZN7rocprim17ROCPRIM_400000_NS6detail17trampoline_kernelINS0_14default_configENS1_25partition_config_selectorILNS1_17partition_subalgoE8ElNS0_10empty_typeEbEEZZNS1_14partition_implILS5_8ELb0ES3_jPlPS6_PKS6_NS0_5tupleIJS9_S6_EEENSD_IJSA_SA_EEENS0_18inequality_wrapperIZN2at6native12_GLOBAL__N_124unique_dim_cuda_templateIN3c108BFloat16EEESt5tupleIJNSH_6TensorESO_SO_EERKSO_lbbbEUlllE0_EEPmJS6_EEE10hipError_tPvRmT3_T4_T5_T6_T7_T9_mT8_P12ihipStream_tbDpT10_ENKUlT_T0_E_clISt17integral_constantIbLb1EES1D_IbLb0EEEEDaS19_S1A_EUlS19_E_NS1_11comp_targetILNS1_3genE2ELNS1_11target_archE906ELNS1_3gpuE6ELNS1_3repE0EEENS1_30default_config_static_selectorELNS0_4arch9wavefront6targetE1EEEvT1_
; %bb.0:
	.section	.rodata,"a",@progbits
	.p2align	6, 0x0
	.amdhsa_kernel _ZN7rocprim17ROCPRIM_400000_NS6detail17trampoline_kernelINS0_14default_configENS1_25partition_config_selectorILNS1_17partition_subalgoE8ElNS0_10empty_typeEbEEZZNS1_14partition_implILS5_8ELb0ES3_jPlPS6_PKS6_NS0_5tupleIJS9_S6_EEENSD_IJSA_SA_EEENS0_18inequality_wrapperIZN2at6native12_GLOBAL__N_124unique_dim_cuda_templateIN3c108BFloat16EEESt5tupleIJNSH_6TensorESO_SO_EERKSO_lbbbEUlllE0_EEPmJS6_EEE10hipError_tPvRmT3_T4_T5_T6_T7_T9_mT8_P12ihipStream_tbDpT10_ENKUlT_T0_E_clISt17integral_constantIbLb1EES1D_IbLb0EEEEDaS19_S1A_EUlS19_E_NS1_11comp_targetILNS1_3genE2ELNS1_11target_archE906ELNS1_3gpuE6ELNS1_3repE0EEENS1_30default_config_static_selectorELNS0_4arch9wavefront6targetE1EEEvT1_
		.amdhsa_group_segment_fixed_size 0
		.amdhsa_private_segment_fixed_size 0
		.amdhsa_kernarg_size 120
		.amdhsa_user_sgpr_count 6
		.amdhsa_user_sgpr_private_segment_buffer 1
		.amdhsa_user_sgpr_dispatch_ptr 0
		.amdhsa_user_sgpr_queue_ptr 0
		.amdhsa_user_sgpr_kernarg_segment_ptr 1
		.amdhsa_user_sgpr_dispatch_id 0
		.amdhsa_user_sgpr_flat_scratch_init 0
		.amdhsa_user_sgpr_kernarg_preload_length 0
		.amdhsa_user_sgpr_kernarg_preload_offset 0
		.amdhsa_user_sgpr_private_segment_size 0
		.amdhsa_uses_dynamic_stack 0
		.amdhsa_system_sgpr_private_segment_wavefront_offset 0
		.amdhsa_system_sgpr_workgroup_id_x 1
		.amdhsa_system_sgpr_workgroup_id_y 0
		.amdhsa_system_sgpr_workgroup_id_z 0
		.amdhsa_system_sgpr_workgroup_info 0
		.amdhsa_system_vgpr_workitem_id 0
		.amdhsa_next_free_vgpr 1
		.amdhsa_next_free_sgpr 0
		.amdhsa_accum_offset 4
		.amdhsa_reserve_vcc 0
		.amdhsa_reserve_flat_scratch 0
		.amdhsa_float_round_mode_32 0
		.amdhsa_float_round_mode_16_64 0
		.amdhsa_float_denorm_mode_32 3
		.amdhsa_float_denorm_mode_16_64 3
		.amdhsa_dx10_clamp 1
		.amdhsa_ieee_mode 1
		.amdhsa_fp16_overflow 0
		.amdhsa_tg_split 0
		.amdhsa_exception_fp_ieee_invalid_op 0
		.amdhsa_exception_fp_denorm_src 0
		.amdhsa_exception_fp_ieee_div_zero 0
		.amdhsa_exception_fp_ieee_overflow 0
		.amdhsa_exception_fp_ieee_underflow 0
		.amdhsa_exception_fp_ieee_inexact 0
		.amdhsa_exception_int_div_zero 0
	.end_amdhsa_kernel
	.section	.text._ZN7rocprim17ROCPRIM_400000_NS6detail17trampoline_kernelINS0_14default_configENS1_25partition_config_selectorILNS1_17partition_subalgoE8ElNS0_10empty_typeEbEEZZNS1_14partition_implILS5_8ELb0ES3_jPlPS6_PKS6_NS0_5tupleIJS9_S6_EEENSD_IJSA_SA_EEENS0_18inequality_wrapperIZN2at6native12_GLOBAL__N_124unique_dim_cuda_templateIN3c108BFloat16EEESt5tupleIJNSH_6TensorESO_SO_EERKSO_lbbbEUlllE0_EEPmJS6_EEE10hipError_tPvRmT3_T4_T5_T6_T7_T9_mT8_P12ihipStream_tbDpT10_ENKUlT_T0_E_clISt17integral_constantIbLb1EES1D_IbLb0EEEEDaS19_S1A_EUlS19_E_NS1_11comp_targetILNS1_3genE2ELNS1_11target_archE906ELNS1_3gpuE6ELNS1_3repE0EEENS1_30default_config_static_selectorELNS0_4arch9wavefront6targetE1EEEvT1_,"axG",@progbits,_ZN7rocprim17ROCPRIM_400000_NS6detail17trampoline_kernelINS0_14default_configENS1_25partition_config_selectorILNS1_17partition_subalgoE8ElNS0_10empty_typeEbEEZZNS1_14partition_implILS5_8ELb0ES3_jPlPS6_PKS6_NS0_5tupleIJS9_S6_EEENSD_IJSA_SA_EEENS0_18inequality_wrapperIZN2at6native12_GLOBAL__N_124unique_dim_cuda_templateIN3c108BFloat16EEESt5tupleIJNSH_6TensorESO_SO_EERKSO_lbbbEUlllE0_EEPmJS6_EEE10hipError_tPvRmT3_T4_T5_T6_T7_T9_mT8_P12ihipStream_tbDpT10_ENKUlT_T0_E_clISt17integral_constantIbLb1EES1D_IbLb0EEEEDaS19_S1A_EUlS19_E_NS1_11comp_targetILNS1_3genE2ELNS1_11target_archE906ELNS1_3gpuE6ELNS1_3repE0EEENS1_30default_config_static_selectorELNS0_4arch9wavefront6targetE1EEEvT1_,comdat
.Lfunc_end1193:
	.size	_ZN7rocprim17ROCPRIM_400000_NS6detail17trampoline_kernelINS0_14default_configENS1_25partition_config_selectorILNS1_17partition_subalgoE8ElNS0_10empty_typeEbEEZZNS1_14partition_implILS5_8ELb0ES3_jPlPS6_PKS6_NS0_5tupleIJS9_S6_EEENSD_IJSA_SA_EEENS0_18inequality_wrapperIZN2at6native12_GLOBAL__N_124unique_dim_cuda_templateIN3c108BFloat16EEESt5tupleIJNSH_6TensorESO_SO_EERKSO_lbbbEUlllE0_EEPmJS6_EEE10hipError_tPvRmT3_T4_T5_T6_T7_T9_mT8_P12ihipStream_tbDpT10_ENKUlT_T0_E_clISt17integral_constantIbLb1EES1D_IbLb0EEEEDaS19_S1A_EUlS19_E_NS1_11comp_targetILNS1_3genE2ELNS1_11target_archE906ELNS1_3gpuE6ELNS1_3repE0EEENS1_30default_config_static_selectorELNS0_4arch9wavefront6targetE1EEEvT1_, .Lfunc_end1193-_ZN7rocprim17ROCPRIM_400000_NS6detail17trampoline_kernelINS0_14default_configENS1_25partition_config_selectorILNS1_17partition_subalgoE8ElNS0_10empty_typeEbEEZZNS1_14partition_implILS5_8ELb0ES3_jPlPS6_PKS6_NS0_5tupleIJS9_S6_EEENSD_IJSA_SA_EEENS0_18inequality_wrapperIZN2at6native12_GLOBAL__N_124unique_dim_cuda_templateIN3c108BFloat16EEESt5tupleIJNSH_6TensorESO_SO_EERKSO_lbbbEUlllE0_EEPmJS6_EEE10hipError_tPvRmT3_T4_T5_T6_T7_T9_mT8_P12ihipStream_tbDpT10_ENKUlT_T0_E_clISt17integral_constantIbLb1EES1D_IbLb0EEEEDaS19_S1A_EUlS19_E_NS1_11comp_targetILNS1_3genE2ELNS1_11target_archE906ELNS1_3gpuE6ELNS1_3repE0EEENS1_30default_config_static_selectorELNS0_4arch9wavefront6targetE1EEEvT1_
                                        ; -- End function
	.section	.AMDGPU.csdata,"",@progbits
; Kernel info:
; codeLenInByte = 0
; NumSgprs: 4
; NumVgprs: 0
; NumAgprs: 0
; TotalNumVgprs: 0
; ScratchSize: 0
; MemoryBound: 0
; FloatMode: 240
; IeeeMode: 1
; LDSByteSize: 0 bytes/workgroup (compile time only)
; SGPRBlocks: 0
; VGPRBlocks: 0
; NumSGPRsForWavesPerEU: 4
; NumVGPRsForWavesPerEU: 1
; AccumOffset: 4
; Occupancy: 8
; WaveLimiterHint : 0
; COMPUTE_PGM_RSRC2:SCRATCH_EN: 0
; COMPUTE_PGM_RSRC2:USER_SGPR: 6
; COMPUTE_PGM_RSRC2:TRAP_HANDLER: 0
; COMPUTE_PGM_RSRC2:TGID_X_EN: 1
; COMPUTE_PGM_RSRC2:TGID_Y_EN: 0
; COMPUTE_PGM_RSRC2:TGID_Z_EN: 0
; COMPUTE_PGM_RSRC2:TIDIG_COMP_CNT: 0
; COMPUTE_PGM_RSRC3_GFX90A:ACCUM_OFFSET: 0
; COMPUTE_PGM_RSRC3_GFX90A:TG_SPLIT: 0
	.section	.text._ZN7rocprim17ROCPRIM_400000_NS6detail17trampoline_kernelINS0_14default_configENS1_25partition_config_selectorILNS1_17partition_subalgoE8ElNS0_10empty_typeEbEEZZNS1_14partition_implILS5_8ELb0ES3_jPlPS6_PKS6_NS0_5tupleIJS9_S6_EEENSD_IJSA_SA_EEENS0_18inequality_wrapperIZN2at6native12_GLOBAL__N_124unique_dim_cuda_templateIN3c108BFloat16EEESt5tupleIJNSH_6TensorESO_SO_EERKSO_lbbbEUlllE0_EEPmJS6_EEE10hipError_tPvRmT3_T4_T5_T6_T7_T9_mT8_P12ihipStream_tbDpT10_ENKUlT_T0_E_clISt17integral_constantIbLb1EES1D_IbLb0EEEEDaS19_S1A_EUlS19_E_NS1_11comp_targetILNS1_3genE10ELNS1_11target_archE1200ELNS1_3gpuE4ELNS1_3repE0EEENS1_30default_config_static_selectorELNS0_4arch9wavefront6targetE1EEEvT1_,"axG",@progbits,_ZN7rocprim17ROCPRIM_400000_NS6detail17trampoline_kernelINS0_14default_configENS1_25partition_config_selectorILNS1_17partition_subalgoE8ElNS0_10empty_typeEbEEZZNS1_14partition_implILS5_8ELb0ES3_jPlPS6_PKS6_NS0_5tupleIJS9_S6_EEENSD_IJSA_SA_EEENS0_18inequality_wrapperIZN2at6native12_GLOBAL__N_124unique_dim_cuda_templateIN3c108BFloat16EEESt5tupleIJNSH_6TensorESO_SO_EERKSO_lbbbEUlllE0_EEPmJS6_EEE10hipError_tPvRmT3_T4_T5_T6_T7_T9_mT8_P12ihipStream_tbDpT10_ENKUlT_T0_E_clISt17integral_constantIbLb1EES1D_IbLb0EEEEDaS19_S1A_EUlS19_E_NS1_11comp_targetILNS1_3genE10ELNS1_11target_archE1200ELNS1_3gpuE4ELNS1_3repE0EEENS1_30default_config_static_selectorELNS0_4arch9wavefront6targetE1EEEvT1_,comdat
	.globl	_ZN7rocprim17ROCPRIM_400000_NS6detail17trampoline_kernelINS0_14default_configENS1_25partition_config_selectorILNS1_17partition_subalgoE8ElNS0_10empty_typeEbEEZZNS1_14partition_implILS5_8ELb0ES3_jPlPS6_PKS6_NS0_5tupleIJS9_S6_EEENSD_IJSA_SA_EEENS0_18inequality_wrapperIZN2at6native12_GLOBAL__N_124unique_dim_cuda_templateIN3c108BFloat16EEESt5tupleIJNSH_6TensorESO_SO_EERKSO_lbbbEUlllE0_EEPmJS6_EEE10hipError_tPvRmT3_T4_T5_T6_T7_T9_mT8_P12ihipStream_tbDpT10_ENKUlT_T0_E_clISt17integral_constantIbLb1EES1D_IbLb0EEEEDaS19_S1A_EUlS19_E_NS1_11comp_targetILNS1_3genE10ELNS1_11target_archE1200ELNS1_3gpuE4ELNS1_3repE0EEENS1_30default_config_static_selectorELNS0_4arch9wavefront6targetE1EEEvT1_ ; -- Begin function _ZN7rocprim17ROCPRIM_400000_NS6detail17trampoline_kernelINS0_14default_configENS1_25partition_config_selectorILNS1_17partition_subalgoE8ElNS0_10empty_typeEbEEZZNS1_14partition_implILS5_8ELb0ES3_jPlPS6_PKS6_NS0_5tupleIJS9_S6_EEENSD_IJSA_SA_EEENS0_18inequality_wrapperIZN2at6native12_GLOBAL__N_124unique_dim_cuda_templateIN3c108BFloat16EEESt5tupleIJNSH_6TensorESO_SO_EERKSO_lbbbEUlllE0_EEPmJS6_EEE10hipError_tPvRmT3_T4_T5_T6_T7_T9_mT8_P12ihipStream_tbDpT10_ENKUlT_T0_E_clISt17integral_constantIbLb1EES1D_IbLb0EEEEDaS19_S1A_EUlS19_E_NS1_11comp_targetILNS1_3genE10ELNS1_11target_archE1200ELNS1_3gpuE4ELNS1_3repE0EEENS1_30default_config_static_selectorELNS0_4arch9wavefront6targetE1EEEvT1_
	.p2align	8
	.type	_ZN7rocprim17ROCPRIM_400000_NS6detail17trampoline_kernelINS0_14default_configENS1_25partition_config_selectorILNS1_17partition_subalgoE8ElNS0_10empty_typeEbEEZZNS1_14partition_implILS5_8ELb0ES3_jPlPS6_PKS6_NS0_5tupleIJS9_S6_EEENSD_IJSA_SA_EEENS0_18inequality_wrapperIZN2at6native12_GLOBAL__N_124unique_dim_cuda_templateIN3c108BFloat16EEESt5tupleIJNSH_6TensorESO_SO_EERKSO_lbbbEUlllE0_EEPmJS6_EEE10hipError_tPvRmT3_T4_T5_T6_T7_T9_mT8_P12ihipStream_tbDpT10_ENKUlT_T0_E_clISt17integral_constantIbLb1EES1D_IbLb0EEEEDaS19_S1A_EUlS19_E_NS1_11comp_targetILNS1_3genE10ELNS1_11target_archE1200ELNS1_3gpuE4ELNS1_3repE0EEENS1_30default_config_static_selectorELNS0_4arch9wavefront6targetE1EEEvT1_,@function
_ZN7rocprim17ROCPRIM_400000_NS6detail17trampoline_kernelINS0_14default_configENS1_25partition_config_selectorILNS1_17partition_subalgoE8ElNS0_10empty_typeEbEEZZNS1_14partition_implILS5_8ELb0ES3_jPlPS6_PKS6_NS0_5tupleIJS9_S6_EEENSD_IJSA_SA_EEENS0_18inequality_wrapperIZN2at6native12_GLOBAL__N_124unique_dim_cuda_templateIN3c108BFloat16EEESt5tupleIJNSH_6TensorESO_SO_EERKSO_lbbbEUlllE0_EEPmJS6_EEE10hipError_tPvRmT3_T4_T5_T6_T7_T9_mT8_P12ihipStream_tbDpT10_ENKUlT_T0_E_clISt17integral_constantIbLb1EES1D_IbLb0EEEEDaS19_S1A_EUlS19_E_NS1_11comp_targetILNS1_3genE10ELNS1_11target_archE1200ELNS1_3gpuE4ELNS1_3repE0EEENS1_30default_config_static_selectorELNS0_4arch9wavefront6targetE1EEEvT1_: ; @_ZN7rocprim17ROCPRIM_400000_NS6detail17trampoline_kernelINS0_14default_configENS1_25partition_config_selectorILNS1_17partition_subalgoE8ElNS0_10empty_typeEbEEZZNS1_14partition_implILS5_8ELb0ES3_jPlPS6_PKS6_NS0_5tupleIJS9_S6_EEENSD_IJSA_SA_EEENS0_18inequality_wrapperIZN2at6native12_GLOBAL__N_124unique_dim_cuda_templateIN3c108BFloat16EEESt5tupleIJNSH_6TensorESO_SO_EERKSO_lbbbEUlllE0_EEPmJS6_EEE10hipError_tPvRmT3_T4_T5_T6_T7_T9_mT8_P12ihipStream_tbDpT10_ENKUlT_T0_E_clISt17integral_constantIbLb1EES1D_IbLb0EEEEDaS19_S1A_EUlS19_E_NS1_11comp_targetILNS1_3genE10ELNS1_11target_archE1200ELNS1_3gpuE4ELNS1_3repE0EEENS1_30default_config_static_selectorELNS0_4arch9wavefront6targetE1EEEvT1_
; %bb.0:
	.section	.rodata,"a",@progbits
	.p2align	6, 0x0
	.amdhsa_kernel _ZN7rocprim17ROCPRIM_400000_NS6detail17trampoline_kernelINS0_14default_configENS1_25partition_config_selectorILNS1_17partition_subalgoE8ElNS0_10empty_typeEbEEZZNS1_14partition_implILS5_8ELb0ES3_jPlPS6_PKS6_NS0_5tupleIJS9_S6_EEENSD_IJSA_SA_EEENS0_18inequality_wrapperIZN2at6native12_GLOBAL__N_124unique_dim_cuda_templateIN3c108BFloat16EEESt5tupleIJNSH_6TensorESO_SO_EERKSO_lbbbEUlllE0_EEPmJS6_EEE10hipError_tPvRmT3_T4_T5_T6_T7_T9_mT8_P12ihipStream_tbDpT10_ENKUlT_T0_E_clISt17integral_constantIbLb1EES1D_IbLb0EEEEDaS19_S1A_EUlS19_E_NS1_11comp_targetILNS1_3genE10ELNS1_11target_archE1200ELNS1_3gpuE4ELNS1_3repE0EEENS1_30default_config_static_selectorELNS0_4arch9wavefront6targetE1EEEvT1_
		.amdhsa_group_segment_fixed_size 0
		.amdhsa_private_segment_fixed_size 0
		.amdhsa_kernarg_size 120
		.amdhsa_user_sgpr_count 6
		.amdhsa_user_sgpr_private_segment_buffer 1
		.amdhsa_user_sgpr_dispatch_ptr 0
		.amdhsa_user_sgpr_queue_ptr 0
		.amdhsa_user_sgpr_kernarg_segment_ptr 1
		.amdhsa_user_sgpr_dispatch_id 0
		.amdhsa_user_sgpr_flat_scratch_init 0
		.amdhsa_user_sgpr_kernarg_preload_length 0
		.amdhsa_user_sgpr_kernarg_preload_offset 0
		.amdhsa_user_sgpr_private_segment_size 0
		.amdhsa_uses_dynamic_stack 0
		.amdhsa_system_sgpr_private_segment_wavefront_offset 0
		.amdhsa_system_sgpr_workgroup_id_x 1
		.amdhsa_system_sgpr_workgroup_id_y 0
		.amdhsa_system_sgpr_workgroup_id_z 0
		.amdhsa_system_sgpr_workgroup_info 0
		.amdhsa_system_vgpr_workitem_id 0
		.amdhsa_next_free_vgpr 1
		.amdhsa_next_free_sgpr 0
		.amdhsa_accum_offset 4
		.amdhsa_reserve_vcc 0
		.amdhsa_reserve_flat_scratch 0
		.amdhsa_float_round_mode_32 0
		.amdhsa_float_round_mode_16_64 0
		.amdhsa_float_denorm_mode_32 3
		.amdhsa_float_denorm_mode_16_64 3
		.amdhsa_dx10_clamp 1
		.amdhsa_ieee_mode 1
		.amdhsa_fp16_overflow 0
		.amdhsa_tg_split 0
		.amdhsa_exception_fp_ieee_invalid_op 0
		.amdhsa_exception_fp_denorm_src 0
		.amdhsa_exception_fp_ieee_div_zero 0
		.amdhsa_exception_fp_ieee_overflow 0
		.amdhsa_exception_fp_ieee_underflow 0
		.amdhsa_exception_fp_ieee_inexact 0
		.amdhsa_exception_int_div_zero 0
	.end_amdhsa_kernel
	.section	.text._ZN7rocprim17ROCPRIM_400000_NS6detail17trampoline_kernelINS0_14default_configENS1_25partition_config_selectorILNS1_17partition_subalgoE8ElNS0_10empty_typeEbEEZZNS1_14partition_implILS5_8ELb0ES3_jPlPS6_PKS6_NS0_5tupleIJS9_S6_EEENSD_IJSA_SA_EEENS0_18inequality_wrapperIZN2at6native12_GLOBAL__N_124unique_dim_cuda_templateIN3c108BFloat16EEESt5tupleIJNSH_6TensorESO_SO_EERKSO_lbbbEUlllE0_EEPmJS6_EEE10hipError_tPvRmT3_T4_T5_T6_T7_T9_mT8_P12ihipStream_tbDpT10_ENKUlT_T0_E_clISt17integral_constantIbLb1EES1D_IbLb0EEEEDaS19_S1A_EUlS19_E_NS1_11comp_targetILNS1_3genE10ELNS1_11target_archE1200ELNS1_3gpuE4ELNS1_3repE0EEENS1_30default_config_static_selectorELNS0_4arch9wavefront6targetE1EEEvT1_,"axG",@progbits,_ZN7rocprim17ROCPRIM_400000_NS6detail17trampoline_kernelINS0_14default_configENS1_25partition_config_selectorILNS1_17partition_subalgoE8ElNS0_10empty_typeEbEEZZNS1_14partition_implILS5_8ELb0ES3_jPlPS6_PKS6_NS0_5tupleIJS9_S6_EEENSD_IJSA_SA_EEENS0_18inequality_wrapperIZN2at6native12_GLOBAL__N_124unique_dim_cuda_templateIN3c108BFloat16EEESt5tupleIJNSH_6TensorESO_SO_EERKSO_lbbbEUlllE0_EEPmJS6_EEE10hipError_tPvRmT3_T4_T5_T6_T7_T9_mT8_P12ihipStream_tbDpT10_ENKUlT_T0_E_clISt17integral_constantIbLb1EES1D_IbLb0EEEEDaS19_S1A_EUlS19_E_NS1_11comp_targetILNS1_3genE10ELNS1_11target_archE1200ELNS1_3gpuE4ELNS1_3repE0EEENS1_30default_config_static_selectorELNS0_4arch9wavefront6targetE1EEEvT1_,comdat
.Lfunc_end1194:
	.size	_ZN7rocprim17ROCPRIM_400000_NS6detail17trampoline_kernelINS0_14default_configENS1_25partition_config_selectorILNS1_17partition_subalgoE8ElNS0_10empty_typeEbEEZZNS1_14partition_implILS5_8ELb0ES3_jPlPS6_PKS6_NS0_5tupleIJS9_S6_EEENSD_IJSA_SA_EEENS0_18inequality_wrapperIZN2at6native12_GLOBAL__N_124unique_dim_cuda_templateIN3c108BFloat16EEESt5tupleIJNSH_6TensorESO_SO_EERKSO_lbbbEUlllE0_EEPmJS6_EEE10hipError_tPvRmT3_T4_T5_T6_T7_T9_mT8_P12ihipStream_tbDpT10_ENKUlT_T0_E_clISt17integral_constantIbLb1EES1D_IbLb0EEEEDaS19_S1A_EUlS19_E_NS1_11comp_targetILNS1_3genE10ELNS1_11target_archE1200ELNS1_3gpuE4ELNS1_3repE0EEENS1_30default_config_static_selectorELNS0_4arch9wavefront6targetE1EEEvT1_, .Lfunc_end1194-_ZN7rocprim17ROCPRIM_400000_NS6detail17trampoline_kernelINS0_14default_configENS1_25partition_config_selectorILNS1_17partition_subalgoE8ElNS0_10empty_typeEbEEZZNS1_14partition_implILS5_8ELb0ES3_jPlPS6_PKS6_NS0_5tupleIJS9_S6_EEENSD_IJSA_SA_EEENS0_18inequality_wrapperIZN2at6native12_GLOBAL__N_124unique_dim_cuda_templateIN3c108BFloat16EEESt5tupleIJNSH_6TensorESO_SO_EERKSO_lbbbEUlllE0_EEPmJS6_EEE10hipError_tPvRmT3_T4_T5_T6_T7_T9_mT8_P12ihipStream_tbDpT10_ENKUlT_T0_E_clISt17integral_constantIbLb1EES1D_IbLb0EEEEDaS19_S1A_EUlS19_E_NS1_11comp_targetILNS1_3genE10ELNS1_11target_archE1200ELNS1_3gpuE4ELNS1_3repE0EEENS1_30default_config_static_selectorELNS0_4arch9wavefront6targetE1EEEvT1_
                                        ; -- End function
	.section	.AMDGPU.csdata,"",@progbits
; Kernel info:
; codeLenInByte = 0
; NumSgprs: 4
; NumVgprs: 0
; NumAgprs: 0
; TotalNumVgprs: 0
; ScratchSize: 0
; MemoryBound: 0
; FloatMode: 240
; IeeeMode: 1
; LDSByteSize: 0 bytes/workgroup (compile time only)
; SGPRBlocks: 0
; VGPRBlocks: 0
; NumSGPRsForWavesPerEU: 4
; NumVGPRsForWavesPerEU: 1
; AccumOffset: 4
; Occupancy: 8
; WaveLimiterHint : 0
; COMPUTE_PGM_RSRC2:SCRATCH_EN: 0
; COMPUTE_PGM_RSRC2:USER_SGPR: 6
; COMPUTE_PGM_RSRC2:TRAP_HANDLER: 0
; COMPUTE_PGM_RSRC2:TGID_X_EN: 1
; COMPUTE_PGM_RSRC2:TGID_Y_EN: 0
; COMPUTE_PGM_RSRC2:TGID_Z_EN: 0
; COMPUTE_PGM_RSRC2:TIDIG_COMP_CNT: 0
; COMPUTE_PGM_RSRC3_GFX90A:ACCUM_OFFSET: 0
; COMPUTE_PGM_RSRC3_GFX90A:TG_SPLIT: 0
	.section	.text._ZN7rocprim17ROCPRIM_400000_NS6detail17trampoline_kernelINS0_14default_configENS1_25partition_config_selectorILNS1_17partition_subalgoE8ElNS0_10empty_typeEbEEZZNS1_14partition_implILS5_8ELb0ES3_jPlPS6_PKS6_NS0_5tupleIJS9_S6_EEENSD_IJSA_SA_EEENS0_18inequality_wrapperIZN2at6native12_GLOBAL__N_124unique_dim_cuda_templateIN3c108BFloat16EEESt5tupleIJNSH_6TensorESO_SO_EERKSO_lbbbEUlllE0_EEPmJS6_EEE10hipError_tPvRmT3_T4_T5_T6_T7_T9_mT8_P12ihipStream_tbDpT10_ENKUlT_T0_E_clISt17integral_constantIbLb1EES1D_IbLb0EEEEDaS19_S1A_EUlS19_E_NS1_11comp_targetILNS1_3genE9ELNS1_11target_archE1100ELNS1_3gpuE3ELNS1_3repE0EEENS1_30default_config_static_selectorELNS0_4arch9wavefront6targetE1EEEvT1_,"axG",@progbits,_ZN7rocprim17ROCPRIM_400000_NS6detail17trampoline_kernelINS0_14default_configENS1_25partition_config_selectorILNS1_17partition_subalgoE8ElNS0_10empty_typeEbEEZZNS1_14partition_implILS5_8ELb0ES3_jPlPS6_PKS6_NS0_5tupleIJS9_S6_EEENSD_IJSA_SA_EEENS0_18inequality_wrapperIZN2at6native12_GLOBAL__N_124unique_dim_cuda_templateIN3c108BFloat16EEESt5tupleIJNSH_6TensorESO_SO_EERKSO_lbbbEUlllE0_EEPmJS6_EEE10hipError_tPvRmT3_T4_T5_T6_T7_T9_mT8_P12ihipStream_tbDpT10_ENKUlT_T0_E_clISt17integral_constantIbLb1EES1D_IbLb0EEEEDaS19_S1A_EUlS19_E_NS1_11comp_targetILNS1_3genE9ELNS1_11target_archE1100ELNS1_3gpuE3ELNS1_3repE0EEENS1_30default_config_static_selectorELNS0_4arch9wavefront6targetE1EEEvT1_,comdat
	.globl	_ZN7rocprim17ROCPRIM_400000_NS6detail17trampoline_kernelINS0_14default_configENS1_25partition_config_selectorILNS1_17partition_subalgoE8ElNS0_10empty_typeEbEEZZNS1_14partition_implILS5_8ELb0ES3_jPlPS6_PKS6_NS0_5tupleIJS9_S6_EEENSD_IJSA_SA_EEENS0_18inequality_wrapperIZN2at6native12_GLOBAL__N_124unique_dim_cuda_templateIN3c108BFloat16EEESt5tupleIJNSH_6TensorESO_SO_EERKSO_lbbbEUlllE0_EEPmJS6_EEE10hipError_tPvRmT3_T4_T5_T6_T7_T9_mT8_P12ihipStream_tbDpT10_ENKUlT_T0_E_clISt17integral_constantIbLb1EES1D_IbLb0EEEEDaS19_S1A_EUlS19_E_NS1_11comp_targetILNS1_3genE9ELNS1_11target_archE1100ELNS1_3gpuE3ELNS1_3repE0EEENS1_30default_config_static_selectorELNS0_4arch9wavefront6targetE1EEEvT1_ ; -- Begin function _ZN7rocprim17ROCPRIM_400000_NS6detail17trampoline_kernelINS0_14default_configENS1_25partition_config_selectorILNS1_17partition_subalgoE8ElNS0_10empty_typeEbEEZZNS1_14partition_implILS5_8ELb0ES3_jPlPS6_PKS6_NS0_5tupleIJS9_S6_EEENSD_IJSA_SA_EEENS0_18inequality_wrapperIZN2at6native12_GLOBAL__N_124unique_dim_cuda_templateIN3c108BFloat16EEESt5tupleIJNSH_6TensorESO_SO_EERKSO_lbbbEUlllE0_EEPmJS6_EEE10hipError_tPvRmT3_T4_T5_T6_T7_T9_mT8_P12ihipStream_tbDpT10_ENKUlT_T0_E_clISt17integral_constantIbLb1EES1D_IbLb0EEEEDaS19_S1A_EUlS19_E_NS1_11comp_targetILNS1_3genE9ELNS1_11target_archE1100ELNS1_3gpuE3ELNS1_3repE0EEENS1_30default_config_static_selectorELNS0_4arch9wavefront6targetE1EEEvT1_
	.p2align	8
	.type	_ZN7rocprim17ROCPRIM_400000_NS6detail17trampoline_kernelINS0_14default_configENS1_25partition_config_selectorILNS1_17partition_subalgoE8ElNS0_10empty_typeEbEEZZNS1_14partition_implILS5_8ELb0ES3_jPlPS6_PKS6_NS0_5tupleIJS9_S6_EEENSD_IJSA_SA_EEENS0_18inequality_wrapperIZN2at6native12_GLOBAL__N_124unique_dim_cuda_templateIN3c108BFloat16EEESt5tupleIJNSH_6TensorESO_SO_EERKSO_lbbbEUlllE0_EEPmJS6_EEE10hipError_tPvRmT3_T4_T5_T6_T7_T9_mT8_P12ihipStream_tbDpT10_ENKUlT_T0_E_clISt17integral_constantIbLb1EES1D_IbLb0EEEEDaS19_S1A_EUlS19_E_NS1_11comp_targetILNS1_3genE9ELNS1_11target_archE1100ELNS1_3gpuE3ELNS1_3repE0EEENS1_30default_config_static_selectorELNS0_4arch9wavefront6targetE1EEEvT1_,@function
_ZN7rocprim17ROCPRIM_400000_NS6detail17trampoline_kernelINS0_14default_configENS1_25partition_config_selectorILNS1_17partition_subalgoE8ElNS0_10empty_typeEbEEZZNS1_14partition_implILS5_8ELb0ES3_jPlPS6_PKS6_NS0_5tupleIJS9_S6_EEENSD_IJSA_SA_EEENS0_18inequality_wrapperIZN2at6native12_GLOBAL__N_124unique_dim_cuda_templateIN3c108BFloat16EEESt5tupleIJNSH_6TensorESO_SO_EERKSO_lbbbEUlllE0_EEPmJS6_EEE10hipError_tPvRmT3_T4_T5_T6_T7_T9_mT8_P12ihipStream_tbDpT10_ENKUlT_T0_E_clISt17integral_constantIbLb1EES1D_IbLb0EEEEDaS19_S1A_EUlS19_E_NS1_11comp_targetILNS1_3genE9ELNS1_11target_archE1100ELNS1_3gpuE3ELNS1_3repE0EEENS1_30default_config_static_selectorELNS0_4arch9wavefront6targetE1EEEvT1_: ; @_ZN7rocprim17ROCPRIM_400000_NS6detail17trampoline_kernelINS0_14default_configENS1_25partition_config_selectorILNS1_17partition_subalgoE8ElNS0_10empty_typeEbEEZZNS1_14partition_implILS5_8ELb0ES3_jPlPS6_PKS6_NS0_5tupleIJS9_S6_EEENSD_IJSA_SA_EEENS0_18inequality_wrapperIZN2at6native12_GLOBAL__N_124unique_dim_cuda_templateIN3c108BFloat16EEESt5tupleIJNSH_6TensorESO_SO_EERKSO_lbbbEUlllE0_EEPmJS6_EEE10hipError_tPvRmT3_T4_T5_T6_T7_T9_mT8_P12ihipStream_tbDpT10_ENKUlT_T0_E_clISt17integral_constantIbLb1EES1D_IbLb0EEEEDaS19_S1A_EUlS19_E_NS1_11comp_targetILNS1_3genE9ELNS1_11target_archE1100ELNS1_3gpuE3ELNS1_3repE0EEENS1_30default_config_static_selectorELNS0_4arch9wavefront6targetE1EEEvT1_
; %bb.0:
	.section	.rodata,"a",@progbits
	.p2align	6, 0x0
	.amdhsa_kernel _ZN7rocprim17ROCPRIM_400000_NS6detail17trampoline_kernelINS0_14default_configENS1_25partition_config_selectorILNS1_17partition_subalgoE8ElNS0_10empty_typeEbEEZZNS1_14partition_implILS5_8ELb0ES3_jPlPS6_PKS6_NS0_5tupleIJS9_S6_EEENSD_IJSA_SA_EEENS0_18inequality_wrapperIZN2at6native12_GLOBAL__N_124unique_dim_cuda_templateIN3c108BFloat16EEESt5tupleIJNSH_6TensorESO_SO_EERKSO_lbbbEUlllE0_EEPmJS6_EEE10hipError_tPvRmT3_T4_T5_T6_T7_T9_mT8_P12ihipStream_tbDpT10_ENKUlT_T0_E_clISt17integral_constantIbLb1EES1D_IbLb0EEEEDaS19_S1A_EUlS19_E_NS1_11comp_targetILNS1_3genE9ELNS1_11target_archE1100ELNS1_3gpuE3ELNS1_3repE0EEENS1_30default_config_static_selectorELNS0_4arch9wavefront6targetE1EEEvT1_
		.amdhsa_group_segment_fixed_size 0
		.amdhsa_private_segment_fixed_size 0
		.amdhsa_kernarg_size 120
		.amdhsa_user_sgpr_count 6
		.amdhsa_user_sgpr_private_segment_buffer 1
		.amdhsa_user_sgpr_dispatch_ptr 0
		.amdhsa_user_sgpr_queue_ptr 0
		.amdhsa_user_sgpr_kernarg_segment_ptr 1
		.amdhsa_user_sgpr_dispatch_id 0
		.amdhsa_user_sgpr_flat_scratch_init 0
		.amdhsa_user_sgpr_kernarg_preload_length 0
		.amdhsa_user_sgpr_kernarg_preload_offset 0
		.amdhsa_user_sgpr_private_segment_size 0
		.amdhsa_uses_dynamic_stack 0
		.amdhsa_system_sgpr_private_segment_wavefront_offset 0
		.amdhsa_system_sgpr_workgroup_id_x 1
		.amdhsa_system_sgpr_workgroup_id_y 0
		.amdhsa_system_sgpr_workgroup_id_z 0
		.amdhsa_system_sgpr_workgroup_info 0
		.amdhsa_system_vgpr_workitem_id 0
		.amdhsa_next_free_vgpr 1
		.amdhsa_next_free_sgpr 0
		.amdhsa_accum_offset 4
		.amdhsa_reserve_vcc 0
		.amdhsa_reserve_flat_scratch 0
		.amdhsa_float_round_mode_32 0
		.amdhsa_float_round_mode_16_64 0
		.amdhsa_float_denorm_mode_32 3
		.amdhsa_float_denorm_mode_16_64 3
		.amdhsa_dx10_clamp 1
		.amdhsa_ieee_mode 1
		.amdhsa_fp16_overflow 0
		.amdhsa_tg_split 0
		.amdhsa_exception_fp_ieee_invalid_op 0
		.amdhsa_exception_fp_denorm_src 0
		.amdhsa_exception_fp_ieee_div_zero 0
		.amdhsa_exception_fp_ieee_overflow 0
		.amdhsa_exception_fp_ieee_underflow 0
		.amdhsa_exception_fp_ieee_inexact 0
		.amdhsa_exception_int_div_zero 0
	.end_amdhsa_kernel
	.section	.text._ZN7rocprim17ROCPRIM_400000_NS6detail17trampoline_kernelINS0_14default_configENS1_25partition_config_selectorILNS1_17partition_subalgoE8ElNS0_10empty_typeEbEEZZNS1_14partition_implILS5_8ELb0ES3_jPlPS6_PKS6_NS0_5tupleIJS9_S6_EEENSD_IJSA_SA_EEENS0_18inequality_wrapperIZN2at6native12_GLOBAL__N_124unique_dim_cuda_templateIN3c108BFloat16EEESt5tupleIJNSH_6TensorESO_SO_EERKSO_lbbbEUlllE0_EEPmJS6_EEE10hipError_tPvRmT3_T4_T5_T6_T7_T9_mT8_P12ihipStream_tbDpT10_ENKUlT_T0_E_clISt17integral_constantIbLb1EES1D_IbLb0EEEEDaS19_S1A_EUlS19_E_NS1_11comp_targetILNS1_3genE9ELNS1_11target_archE1100ELNS1_3gpuE3ELNS1_3repE0EEENS1_30default_config_static_selectorELNS0_4arch9wavefront6targetE1EEEvT1_,"axG",@progbits,_ZN7rocprim17ROCPRIM_400000_NS6detail17trampoline_kernelINS0_14default_configENS1_25partition_config_selectorILNS1_17partition_subalgoE8ElNS0_10empty_typeEbEEZZNS1_14partition_implILS5_8ELb0ES3_jPlPS6_PKS6_NS0_5tupleIJS9_S6_EEENSD_IJSA_SA_EEENS0_18inequality_wrapperIZN2at6native12_GLOBAL__N_124unique_dim_cuda_templateIN3c108BFloat16EEESt5tupleIJNSH_6TensorESO_SO_EERKSO_lbbbEUlllE0_EEPmJS6_EEE10hipError_tPvRmT3_T4_T5_T6_T7_T9_mT8_P12ihipStream_tbDpT10_ENKUlT_T0_E_clISt17integral_constantIbLb1EES1D_IbLb0EEEEDaS19_S1A_EUlS19_E_NS1_11comp_targetILNS1_3genE9ELNS1_11target_archE1100ELNS1_3gpuE3ELNS1_3repE0EEENS1_30default_config_static_selectorELNS0_4arch9wavefront6targetE1EEEvT1_,comdat
.Lfunc_end1195:
	.size	_ZN7rocprim17ROCPRIM_400000_NS6detail17trampoline_kernelINS0_14default_configENS1_25partition_config_selectorILNS1_17partition_subalgoE8ElNS0_10empty_typeEbEEZZNS1_14partition_implILS5_8ELb0ES3_jPlPS6_PKS6_NS0_5tupleIJS9_S6_EEENSD_IJSA_SA_EEENS0_18inequality_wrapperIZN2at6native12_GLOBAL__N_124unique_dim_cuda_templateIN3c108BFloat16EEESt5tupleIJNSH_6TensorESO_SO_EERKSO_lbbbEUlllE0_EEPmJS6_EEE10hipError_tPvRmT3_T4_T5_T6_T7_T9_mT8_P12ihipStream_tbDpT10_ENKUlT_T0_E_clISt17integral_constantIbLb1EES1D_IbLb0EEEEDaS19_S1A_EUlS19_E_NS1_11comp_targetILNS1_3genE9ELNS1_11target_archE1100ELNS1_3gpuE3ELNS1_3repE0EEENS1_30default_config_static_selectorELNS0_4arch9wavefront6targetE1EEEvT1_, .Lfunc_end1195-_ZN7rocprim17ROCPRIM_400000_NS6detail17trampoline_kernelINS0_14default_configENS1_25partition_config_selectorILNS1_17partition_subalgoE8ElNS0_10empty_typeEbEEZZNS1_14partition_implILS5_8ELb0ES3_jPlPS6_PKS6_NS0_5tupleIJS9_S6_EEENSD_IJSA_SA_EEENS0_18inequality_wrapperIZN2at6native12_GLOBAL__N_124unique_dim_cuda_templateIN3c108BFloat16EEESt5tupleIJNSH_6TensorESO_SO_EERKSO_lbbbEUlllE0_EEPmJS6_EEE10hipError_tPvRmT3_T4_T5_T6_T7_T9_mT8_P12ihipStream_tbDpT10_ENKUlT_T0_E_clISt17integral_constantIbLb1EES1D_IbLb0EEEEDaS19_S1A_EUlS19_E_NS1_11comp_targetILNS1_3genE9ELNS1_11target_archE1100ELNS1_3gpuE3ELNS1_3repE0EEENS1_30default_config_static_selectorELNS0_4arch9wavefront6targetE1EEEvT1_
                                        ; -- End function
	.section	.AMDGPU.csdata,"",@progbits
; Kernel info:
; codeLenInByte = 0
; NumSgprs: 4
; NumVgprs: 0
; NumAgprs: 0
; TotalNumVgprs: 0
; ScratchSize: 0
; MemoryBound: 0
; FloatMode: 240
; IeeeMode: 1
; LDSByteSize: 0 bytes/workgroup (compile time only)
; SGPRBlocks: 0
; VGPRBlocks: 0
; NumSGPRsForWavesPerEU: 4
; NumVGPRsForWavesPerEU: 1
; AccumOffset: 4
; Occupancy: 8
; WaveLimiterHint : 0
; COMPUTE_PGM_RSRC2:SCRATCH_EN: 0
; COMPUTE_PGM_RSRC2:USER_SGPR: 6
; COMPUTE_PGM_RSRC2:TRAP_HANDLER: 0
; COMPUTE_PGM_RSRC2:TGID_X_EN: 1
; COMPUTE_PGM_RSRC2:TGID_Y_EN: 0
; COMPUTE_PGM_RSRC2:TGID_Z_EN: 0
; COMPUTE_PGM_RSRC2:TIDIG_COMP_CNT: 0
; COMPUTE_PGM_RSRC3_GFX90A:ACCUM_OFFSET: 0
; COMPUTE_PGM_RSRC3_GFX90A:TG_SPLIT: 0
	.section	.text._ZN7rocprim17ROCPRIM_400000_NS6detail17trampoline_kernelINS0_14default_configENS1_25partition_config_selectorILNS1_17partition_subalgoE8ElNS0_10empty_typeEbEEZZNS1_14partition_implILS5_8ELb0ES3_jPlPS6_PKS6_NS0_5tupleIJS9_S6_EEENSD_IJSA_SA_EEENS0_18inequality_wrapperIZN2at6native12_GLOBAL__N_124unique_dim_cuda_templateIN3c108BFloat16EEESt5tupleIJNSH_6TensorESO_SO_EERKSO_lbbbEUlllE0_EEPmJS6_EEE10hipError_tPvRmT3_T4_T5_T6_T7_T9_mT8_P12ihipStream_tbDpT10_ENKUlT_T0_E_clISt17integral_constantIbLb1EES1D_IbLb0EEEEDaS19_S1A_EUlS19_E_NS1_11comp_targetILNS1_3genE8ELNS1_11target_archE1030ELNS1_3gpuE2ELNS1_3repE0EEENS1_30default_config_static_selectorELNS0_4arch9wavefront6targetE1EEEvT1_,"axG",@progbits,_ZN7rocprim17ROCPRIM_400000_NS6detail17trampoline_kernelINS0_14default_configENS1_25partition_config_selectorILNS1_17partition_subalgoE8ElNS0_10empty_typeEbEEZZNS1_14partition_implILS5_8ELb0ES3_jPlPS6_PKS6_NS0_5tupleIJS9_S6_EEENSD_IJSA_SA_EEENS0_18inequality_wrapperIZN2at6native12_GLOBAL__N_124unique_dim_cuda_templateIN3c108BFloat16EEESt5tupleIJNSH_6TensorESO_SO_EERKSO_lbbbEUlllE0_EEPmJS6_EEE10hipError_tPvRmT3_T4_T5_T6_T7_T9_mT8_P12ihipStream_tbDpT10_ENKUlT_T0_E_clISt17integral_constantIbLb1EES1D_IbLb0EEEEDaS19_S1A_EUlS19_E_NS1_11comp_targetILNS1_3genE8ELNS1_11target_archE1030ELNS1_3gpuE2ELNS1_3repE0EEENS1_30default_config_static_selectorELNS0_4arch9wavefront6targetE1EEEvT1_,comdat
	.globl	_ZN7rocprim17ROCPRIM_400000_NS6detail17trampoline_kernelINS0_14default_configENS1_25partition_config_selectorILNS1_17partition_subalgoE8ElNS0_10empty_typeEbEEZZNS1_14partition_implILS5_8ELb0ES3_jPlPS6_PKS6_NS0_5tupleIJS9_S6_EEENSD_IJSA_SA_EEENS0_18inequality_wrapperIZN2at6native12_GLOBAL__N_124unique_dim_cuda_templateIN3c108BFloat16EEESt5tupleIJNSH_6TensorESO_SO_EERKSO_lbbbEUlllE0_EEPmJS6_EEE10hipError_tPvRmT3_T4_T5_T6_T7_T9_mT8_P12ihipStream_tbDpT10_ENKUlT_T0_E_clISt17integral_constantIbLb1EES1D_IbLb0EEEEDaS19_S1A_EUlS19_E_NS1_11comp_targetILNS1_3genE8ELNS1_11target_archE1030ELNS1_3gpuE2ELNS1_3repE0EEENS1_30default_config_static_selectorELNS0_4arch9wavefront6targetE1EEEvT1_ ; -- Begin function _ZN7rocprim17ROCPRIM_400000_NS6detail17trampoline_kernelINS0_14default_configENS1_25partition_config_selectorILNS1_17partition_subalgoE8ElNS0_10empty_typeEbEEZZNS1_14partition_implILS5_8ELb0ES3_jPlPS6_PKS6_NS0_5tupleIJS9_S6_EEENSD_IJSA_SA_EEENS0_18inequality_wrapperIZN2at6native12_GLOBAL__N_124unique_dim_cuda_templateIN3c108BFloat16EEESt5tupleIJNSH_6TensorESO_SO_EERKSO_lbbbEUlllE0_EEPmJS6_EEE10hipError_tPvRmT3_T4_T5_T6_T7_T9_mT8_P12ihipStream_tbDpT10_ENKUlT_T0_E_clISt17integral_constantIbLb1EES1D_IbLb0EEEEDaS19_S1A_EUlS19_E_NS1_11comp_targetILNS1_3genE8ELNS1_11target_archE1030ELNS1_3gpuE2ELNS1_3repE0EEENS1_30default_config_static_selectorELNS0_4arch9wavefront6targetE1EEEvT1_
	.p2align	8
	.type	_ZN7rocprim17ROCPRIM_400000_NS6detail17trampoline_kernelINS0_14default_configENS1_25partition_config_selectorILNS1_17partition_subalgoE8ElNS0_10empty_typeEbEEZZNS1_14partition_implILS5_8ELb0ES3_jPlPS6_PKS6_NS0_5tupleIJS9_S6_EEENSD_IJSA_SA_EEENS0_18inequality_wrapperIZN2at6native12_GLOBAL__N_124unique_dim_cuda_templateIN3c108BFloat16EEESt5tupleIJNSH_6TensorESO_SO_EERKSO_lbbbEUlllE0_EEPmJS6_EEE10hipError_tPvRmT3_T4_T5_T6_T7_T9_mT8_P12ihipStream_tbDpT10_ENKUlT_T0_E_clISt17integral_constantIbLb1EES1D_IbLb0EEEEDaS19_S1A_EUlS19_E_NS1_11comp_targetILNS1_3genE8ELNS1_11target_archE1030ELNS1_3gpuE2ELNS1_3repE0EEENS1_30default_config_static_selectorELNS0_4arch9wavefront6targetE1EEEvT1_,@function
_ZN7rocprim17ROCPRIM_400000_NS6detail17trampoline_kernelINS0_14default_configENS1_25partition_config_selectorILNS1_17partition_subalgoE8ElNS0_10empty_typeEbEEZZNS1_14partition_implILS5_8ELb0ES3_jPlPS6_PKS6_NS0_5tupleIJS9_S6_EEENSD_IJSA_SA_EEENS0_18inequality_wrapperIZN2at6native12_GLOBAL__N_124unique_dim_cuda_templateIN3c108BFloat16EEESt5tupleIJNSH_6TensorESO_SO_EERKSO_lbbbEUlllE0_EEPmJS6_EEE10hipError_tPvRmT3_T4_T5_T6_T7_T9_mT8_P12ihipStream_tbDpT10_ENKUlT_T0_E_clISt17integral_constantIbLb1EES1D_IbLb0EEEEDaS19_S1A_EUlS19_E_NS1_11comp_targetILNS1_3genE8ELNS1_11target_archE1030ELNS1_3gpuE2ELNS1_3repE0EEENS1_30default_config_static_selectorELNS0_4arch9wavefront6targetE1EEEvT1_: ; @_ZN7rocprim17ROCPRIM_400000_NS6detail17trampoline_kernelINS0_14default_configENS1_25partition_config_selectorILNS1_17partition_subalgoE8ElNS0_10empty_typeEbEEZZNS1_14partition_implILS5_8ELb0ES3_jPlPS6_PKS6_NS0_5tupleIJS9_S6_EEENSD_IJSA_SA_EEENS0_18inequality_wrapperIZN2at6native12_GLOBAL__N_124unique_dim_cuda_templateIN3c108BFloat16EEESt5tupleIJNSH_6TensorESO_SO_EERKSO_lbbbEUlllE0_EEPmJS6_EEE10hipError_tPvRmT3_T4_T5_T6_T7_T9_mT8_P12ihipStream_tbDpT10_ENKUlT_T0_E_clISt17integral_constantIbLb1EES1D_IbLb0EEEEDaS19_S1A_EUlS19_E_NS1_11comp_targetILNS1_3genE8ELNS1_11target_archE1030ELNS1_3gpuE2ELNS1_3repE0EEENS1_30default_config_static_selectorELNS0_4arch9wavefront6targetE1EEEvT1_
; %bb.0:
	.section	.rodata,"a",@progbits
	.p2align	6, 0x0
	.amdhsa_kernel _ZN7rocprim17ROCPRIM_400000_NS6detail17trampoline_kernelINS0_14default_configENS1_25partition_config_selectorILNS1_17partition_subalgoE8ElNS0_10empty_typeEbEEZZNS1_14partition_implILS5_8ELb0ES3_jPlPS6_PKS6_NS0_5tupleIJS9_S6_EEENSD_IJSA_SA_EEENS0_18inequality_wrapperIZN2at6native12_GLOBAL__N_124unique_dim_cuda_templateIN3c108BFloat16EEESt5tupleIJNSH_6TensorESO_SO_EERKSO_lbbbEUlllE0_EEPmJS6_EEE10hipError_tPvRmT3_T4_T5_T6_T7_T9_mT8_P12ihipStream_tbDpT10_ENKUlT_T0_E_clISt17integral_constantIbLb1EES1D_IbLb0EEEEDaS19_S1A_EUlS19_E_NS1_11comp_targetILNS1_3genE8ELNS1_11target_archE1030ELNS1_3gpuE2ELNS1_3repE0EEENS1_30default_config_static_selectorELNS0_4arch9wavefront6targetE1EEEvT1_
		.amdhsa_group_segment_fixed_size 0
		.amdhsa_private_segment_fixed_size 0
		.amdhsa_kernarg_size 120
		.amdhsa_user_sgpr_count 6
		.amdhsa_user_sgpr_private_segment_buffer 1
		.amdhsa_user_sgpr_dispatch_ptr 0
		.amdhsa_user_sgpr_queue_ptr 0
		.amdhsa_user_sgpr_kernarg_segment_ptr 1
		.amdhsa_user_sgpr_dispatch_id 0
		.amdhsa_user_sgpr_flat_scratch_init 0
		.amdhsa_user_sgpr_kernarg_preload_length 0
		.amdhsa_user_sgpr_kernarg_preload_offset 0
		.amdhsa_user_sgpr_private_segment_size 0
		.amdhsa_uses_dynamic_stack 0
		.amdhsa_system_sgpr_private_segment_wavefront_offset 0
		.amdhsa_system_sgpr_workgroup_id_x 1
		.amdhsa_system_sgpr_workgroup_id_y 0
		.amdhsa_system_sgpr_workgroup_id_z 0
		.amdhsa_system_sgpr_workgroup_info 0
		.amdhsa_system_vgpr_workitem_id 0
		.amdhsa_next_free_vgpr 1
		.amdhsa_next_free_sgpr 0
		.amdhsa_accum_offset 4
		.amdhsa_reserve_vcc 0
		.amdhsa_reserve_flat_scratch 0
		.amdhsa_float_round_mode_32 0
		.amdhsa_float_round_mode_16_64 0
		.amdhsa_float_denorm_mode_32 3
		.amdhsa_float_denorm_mode_16_64 3
		.amdhsa_dx10_clamp 1
		.amdhsa_ieee_mode 1
		.amdhsa_fp16_overflow 0
		.amdhsa_tg_split 0
		.amdhsa_exception_fp_ieee_invalid_op 0
		.amdhsa_exception_fp_denorm_src 0
		.amdhsa_exception_fp_ieee_div_zero 0
		.amdhsa_exception_fp_ieee_overflow 0
		.amdhsa_exception_fp_ieee_underflow 0
		.amdhsa_exception_fp_ieee_inexact 0
		.amdhsa_exception_int_div_zero 0
	.end_amdhsa_kernel
	.section	.text._ZN7rocprim17ROCPRIM_400000_NS6detail17trampoline_kernelINS0_14default_configENS1_25partition_config_selectorILNS1_17partition_subalgoE8ElNS0_10empty_typeEbEEZZNS1_14partition_implILS5_8ELb0ES3_jPlPS6_PKS6_NS0_5tupleIJS9_S6_EEENSD_IJSA_SA_EEENS0_18inequality_wrapperIZN2at6native12_GLOBAL__N_124unique_dim_cuda_templateIN3c108BFloat16EEESt5tupleIJNSH_6TensorESO_SO_EERKSO_lbbbEUlllE0_EEPmJS6_EEE10hipError_tPvRmT3_T4_T5_T6_T7_T9_mT8_P12ihipStream_tbDpT10_ENKUlT_T0_E_clISt17integral_constantIbLb1EES1D_IbLb0EEEEDaS19_S1A_EUlS19_E_NS1_11comp_targetILNS1_3genE8ELNS1_11target_archE1030ELNS1_3gpuE2ELNS1_3repE0EEENS1_30default_config_static_selectorELNS0_4arch9wavefront6targetE1EEEvT1_,"axG",@progbits,_ZN7rocprim17ROCPRIM_400000_NS6detail17trampoline_kernelINS0_14default_configENS1_25partition_config_selectorILNS1_17partition_subalgoE8ElNS0_10empty_typeEbEEZZNS1_14partition_implILS5_8ELb0ES3_jPlPS6_PKS6_NS0_5tupleIJS9_S6_EEENSD_IJSA_SA_EEENS0_18inequality_wrapperIZN2at6native12_GLOBAL__N_124unique_dim_cuda_templateIN3c108BFloat16EEESt5tupleIJNSH_6TensorESO_SO_EERKSO_lbbbEUlllE0_EEPmJS6_EEE10hipError_tPvRmT3_T4_T5_T6_T7_T9_mT8_P12ihipStream_tbDpT10_ENKUlT_T0_E_clISt17integral_constantIbLb1EES1D_IbLb0EEEEDaS19_S1A_EUlS19_E_NS1_11comp_targetILNS1_3genE8ELNS1_11target_archE1030ELNS1_3gpuE2ELNS1_3repE0EEENS1_30default_config_static_selectorELNS0_4arch9wavefront6targetE1EEEvT1_,comdat
.Lfunc_end1196:
	.size	_ZN7rocprim17ROCPRIM_400000_NS6detail17trampoline_kernelINS0_14default_configENS1_25partition_config_selectorILNS1_17partition_subalgoE8ElNS0_10empty_typeEbEEZZNS1_14partition_implILS5_8ELb0ES3_jPlPS6_PKS6_NS0_5tupleIJS9_S6_EEENSD_IJSA_SA_EEENS0_18inequality_wrapperIZN2at6native12_GLOBAL__N_124unique_dim_cuda_templateIN3c108BFloat16EEESt5tupleIJNSH_6TensorESO_SO_EERKSO_lbbbEUlllE0_EEPmJS6_EEE10hipError_tPvRmT3_T4_T5_T6_T7_T9_mT8_P12ihipStream_tbDpT10_ENKUlT_T0_E_clISt17integral_constantIbLb1EES1D_IbLb0EEEEDaS19_S1A_EUlS19_E_NS1_11comp_targetILNS1_3genE8ELNS1_11target_archE1030ELNS1_3gpuE2ELNS1_3repE0EEENS1_30default_config_static_selectorELNS0_4arch9wavefront6targetE1EEEvT1_, .Lfunc_end1196-_ZN7rocprim17ROCPRIM_400000_NS6detail17trampoline_kernelINS0_14default_configENS1_25partition_config_selectorILNS1_17partition_subalgoE8ElNS0_10empty_typeEbEEZZNS1_14partition_implILS5_8ELb0ES3_jPlPS6_PKS6_NS0_5tupleIJS9_S6_EEENSD_IJSA_SA_EEENS0_18inequality_wrapperIZN2at6native12_GLOBAL__N_124unique_dim_cuda_templateIN3c108BFloat16EEESt5tupleIJNSH_6TensorESO_SO_EERKSO_lbbbEUlllE0_EEPmJS6_EEE10hipError_tPvRmT3_T4_T5_T6_T7_T9_mT8_P12ihipStream_tbDpT10_ENKUlT_T0_E_clISt17integral_constantIbLb1EES1D_IbLb0EEEEDaS19_S1A_EUlS19_E_NS1_11comp_targetILNS1_3genE8ELNS1_11target_archE1030ELNS1_3gpuE2ELNS1_3repE0EEENS1_30default_config_static_selectorELNS0_4arch9wavefront6targetE1EEEvT1_
                                        ; -- End function
	.section	.AMDGPU.csdata,"",@progbits
; Kernel info:
; codeLenInByte = 0
; NumSgprs: 4
; NumVgprs: 0
; NumAgprs: 0
; TotalNumVgprs: 0
; ScratchSize: 0
; MemoryBound: 0
; FloatMode: 240
; IeeeMode: 1
; LDSByteSize: 0 bytes/workgroup (compile time only)
; SGPRBlocks: 0
; VGPRBlocks: 0
; NumSGPRsForWavesPerEU: 4
; NumVGPRsForWavesPerEU: 1
; AccumOffset: 4
; Occupancy: 8
; WaveLimiterHint : 0
; COMPUTE_PGM_RSRC2:SCRATCH_EN: 0
; COMPUTE_PGM_RSRC2:USER_SGPR: 6
; COMPUTE_PGM_RSRC2:TRAP_HANDLER: 0
; COMPUTE_PGM_RSRC2:TGID_X_EN: 1
; COMPUTE_PGM_RSRC2:TGID_Y_EN: 0
; COMPUTE_PGM_RSRC2:TGID_Z_EN: 0
; COMPUTE_PGM_RSRC2:TIDIG_COMP_CNT: 0
; COMPUTE_PGM_RSRC3_GFX90A:ACCUM_OFFSET: 0
; COMPUTE_PGM_RSRC3_GFX90A:TG_SPLIT: 0
	.section	.text._ZN7rocprim17ROCPRIM_400000_NS6detail17trampoline_kernelINS0_14default_configENS1_25partition_config_selectorILNS1_17partition_subalgoE8ElNS0_10empty_typeEbEEZZNS1_14partition_implILS5_8ELb0ES3_jPlPS6_PKS6_NS0_5tupleIJS9_S6_EEENSD_IJSA_SA_EEENS0_18inequality_wrapperIZN2at6native12_GLOBAL__N_124unique_dim_cuda_templateIN3c108BFloat16EEESt5tupleIJNSH_6TensorESO_SO_EERKSO_lbbbEUlllE0_EEPmJS6_EEE10hipError_tPvRmT3_T4_T5_T6_T7_T9_mT8_P12ihipStream_tbDpT10_ENKUlT_T0_E_clISt17integral_constantIbLb0EES1D_IbLb1EEEEDaS19_S1A_EUlS19_E_NS1_11comp_targetILNS1_3genE0ELNS1_11target_archE4294967295ELNS1_3gpuE0ELNS1_3repE0EEENS1_30default_config_static_selectorELNS0_4arch9wavefront6targetE1EEEvT1_,"axG",@progbits,_ZN7rocprim17ROCPRIM_400000_NS6detail17trampoline_kernelINS0_14default_configENS1_25partition_config_selectorILNS1_17partition_subalgoE8ElNS0_10empty_typeEbEEZZNS1_14partition_implILS5_8ELb0ES3_jPlPS6_PKS6_NS0_5tupleIJS9_S6_EEENSD_IJSA_SA_EEENS0_18inequality_wrapperIZN2at6native12_GLOBAL__N_124unique_dim_cuda_templateIN3c108BFloat16EEESt5tupleIJNSH_6TensorESO_SO_EERKSO_lbbbEUlllE0_EEPmJS6_EEE10hipError_tPvRmT3_T4_T5_T6_T7_T9_mT8_P12ihipStream_tbDpT10_ENKUlT_T0_E_clISt17integral_constantIbLb0EES1D_IbLb1EEEEDaS19_S1A_EUlS19_E_NS1_11comp_targetILNS1_3genE0ELNS1_11target_archE4294967295ELNS1_3gpuE0ELNS1_3repE0EEENS1_30default_config_static_selectorELNS0_4arch9wavefront6targetE1EEEvT1_,comdat
	.globl	_ZN7rocprim17ROCPRIM_400000_NS6detail17trampoline_kernelINS0_14default_configENS1_25partition_config_selectorILNS1_17partition_subalgoE8ElNS0_10empty_typeEbEEZZNS1_14partition_implILS5_8ELb0ES3_jPlPS6_PKS6_NS0_5tupleIJS9_S6_EEENSD_IJSA_SA_EEENS0_18inequality_wrapperIZN2at6native12_GLOBAL__N_124unique_dim_cuda_templateIN3c108BFloat16EEESt5tupleIJNSH_6TensorESO_SO_EERKSO_lbbbEUlllE0_EEPmJS6_EEE10hipError_tPvRmT3_T4_T5_T6_T7_T9_mT8_P12ihipStream_tbDpT10_ENKUlT_T0_E_clISt17integral_constantIbLb0EES1D_IbLb1EEEEDaS19_S1A_EUlS19_E_NS1_11comp_targetILNS1_3genE0ELNS1_11target_archE4294967295ELNS1_3gpuE0ELNS1_3repE0EEENS1_30default_config_static_selectorELNS0_4arch9wavefront6targetE1EEEvT1_ ; -- Begin function _ZN7rocprim17ROCPRIM_400000_NS6detail17trampoline_kernelINS0_14default_configENS1_25partition_config_selectorILNS1_17partition_subalgoE8ElNS0_10empty_typeEbEEZZNS1_14partition_implILS5_8ELb0ES3_jPlPS6_PKS6_NS0_5tupleIJS9_S6_EEENSD_IJSA_SA_EEENS0_18inequality_wrapperIZN2at6native12_GLOBAL__N_124unique_dim_cuda_templateIN3c108BFloat16EEESt5tupleIJNSH_6TensorESO_SO_EERKSO_lbbbEUlllE0_EEPmJS6_EEE10hipError_tPvRmT3_T4_T5_T6_T7_T9_mT8_P12ihipStream_tbDpT10_ENKUlT_T0_E_clISt17integral_constantIbLb0EES1D_IbLb1EEEEDaS19_S1A_EUlS19_E_NS1_11comp_targetILNS1_3genE0ELNS1_11target_archE4294967295ELNS1_3gpuE0ELNS1_3repE0EEENS1_30default_config_static_selectorELNS0_4arch9wavefront6targetE1EEEvT1_
	.p2align	8
	.type	_ZN7rocprim17ROCPRIM_400000_NS6detail17trampoline_kernelINS0_14default_configENS1_25partition_config_selectorILNS1_17partition_subalgoE8ElNS0_10empty_typeEbEEZZNS1_14partition_implILS5_8ELb0ES3_jPlPS6_PKS6_NS0_5tupleIJS9_S6_EEENSD_IJSA_SA_EEENS0_18inequality_wrapperIZN2at6native12_GLOBAL__N_124unique_dim_cuda_templateIN3c108BFloat16EEESt5tupleIJNSH_6TensorESO_SO_EERKSO_lbbbEUlllE0_EEPmJS6_EEE10hipError_tPvRmT3_T4_T5_T6_T7_T9_mT8_P12ihipStream_tbDpT10_ENKUlT_T0_E_clISt17integral_constantIbLb0EES1D_IbLb1EEEEDaS19_S1A_EUlS19_E_NS1_11comp_targetILNS1_3genE0ELNS1_11target_archE4294967295ELNS1_3gpuE0ELNS1_3repE0EEENS1_30default_config_static_selectorELNS0_4arch9wavefront6targetE1EEEvT1_,@function
_ZN7rocprim17ROCPRIM_400000_NS6detail17trampoline_kernelINS0_14default_configENS1_25partition_config_selectorILNS1_17partition_subalgoE8ElNS0_10empty_typeEbEEZZNS1_14partition_implILS5_8ELb0ES3_jPlPS6_PKS6_NS0_5tupleIJS9_S6_EEENSD_IJSA_SA_EEENS0_18inequality_wrapperIZN2at6native12_GLOBAL__N_124unique_dim_cuda_templateIN3c108BFloat16EEESt5tupleIJNSH_6TensorESO_SO_EERKSO_lbbbEUlllE0_EEPmJS6_EEE10hipError_tPvRmT3_T4_T5_T6_T7_T9_mT8_P12ihipStream_tbDpT10_ENKUlT_T0_E_clISt17integral_constantIbLb0EES1D_IbLb1EEEEDaS19_S1A_EUlS19_E_NS1_11comp_targetILNS1_3genE0ELNS1_11target_archE4294967295ELNS1_3gpuE0ELNS1_3repE0EEENS1_30default_config_static_selectorELNS0_4arch9wavefront6targetE1EEEvT1_: ; @_ZN7rocprim17ROCPRIM_400000_NS6detail17trampoline_kernelINS0_14default_configENS1_25partition_config_selectorILNS1_17partition_subalgoE8ElNS0_10empty_typeEbEEZZNS1_14partition_implILS5_8ELb0ES3_jPlPS6_PKS6_NS0_5tupleIJS9_S6_EEENSD_IJSA_SA_EEENS0_18inequality_wrapperIZN2at6native12_GLOBAL__N_124unique_dim_cuda_templateIN3c108BFloat16EEESt5tupleIJNSH_6TensorESO_SO_EERKSO_lbbbEUlllE0_EEPmJS6_EEE10hipError_tPvRmT3_T4_T5_T6_T7_T9_mT8_P12ihipStream_tbDpT10_ENKUlT_T0_E_clISt17integral_constantIbLb0EES1D_IbLb1EEEEDaS19_S1A_EUlS19_E_NS1_11comp_targetILNS1_3genE0ELNS1_11target_archE4294967295ELNS1_3gpuE0ELNS1_3repE0EEENS1_30default_config_static_selectorELNS0_4arch9wavefront6targetE1EEEvT1_
; %bb.0:
	.section	.rodata,"a",@progbits
	.p2align	6, 0x0
	.amdhsa_kernel _ZN7rocprim17ROCPRIM_400000_NS6detail17trampoline_kernelINS0_14default_configENS1_25partition_config_selectorILNS1_17partition_subalgoE8ElNS0_10empty_typeEbEEZZNS1_14partition_implILS5_8ELb0ES3_jPlPS6_PKS6_NS0_5tupleIJS9_S6_EEENSD_IJSA_SA_EEENS0_18inequality_wrapperIZN2at6native12_GLOBAL__N_124unique_dim_cuda_templateIN3c108BFloat16EEESt5tupleIJNSH_6TensorESO_SO_EERKSO_lbbbEUlllE0_EEPmJS6_EEE10hipError_tPvRmT3_T4_T5_T6_T7_T9_mT8_P12ihipStream_tbDpT10_ENKUlT_T0_E_clISt17integral_constantIbLb0EES1D_IbLb1EEEEDaS19_S1A_EUlS19_E_NS1_11comp_targetILNS1_3genE0ELNS1_11target_archE4294967295ELNS1_3gpuE0ELNS1_3repE0EEENS1_30default_config_static_selectorELNS0_4arch9wavefront6targetE1EEEvT1_
		.amdhsa_group_segment_fixed_size 0
		.amdhsa_private_segment_fixed_size 0
		.amdhsa_kernarg_size 136
		.amdhsa_user_sgpr_count 6
		.amdhsa_user_sgpr_private_segment_buffer 1
		.amdhsa_user_sgpr_dispatch_ptr 0
		.amdhsa_user_sgpr_queue_ptr 0
		.amdhsa_user_sgpr_kernarg_segment_ptr 1
		.amdhsa_user_sgpr_dispatch_id 0
		.amdhsa_user_sgpr_flat_scratch_init 0
		.amdhsa_user_sgpr_kernarg_preload_length 0
		.amdhsa_user_sgpr_kernarg_preload_offset 0
		.amdhsa_user_sgpr_private_segment_size 0
		.amdhsa_uses_dynamic_stack 0
		.amdhsa_system_sgpr_private_segment_wavefront_offset 0
		.amdhsa_system_sgpr_workgroup_id_x 1
		.amdhsa_system_sgpr_workgroup_id_y 0
		.amdhsa_system_sgpr_workgroup_id_z 0
		.amdhsa_system_sgpr_workgroup_info 0
		.amdhsa_system_vgpr_workitem_id 0
		.amdhsa_next_free_vgpr 1
		.amdhsa_next_free_sgpr 0
		.amdhsa_accum_offset 4
		.amdhsa_reserve_vcc 0
		.amdhsa_reserve_flat_scratch 0
		.amdhsa_float_round_mode_32 0
		.amdhsa_float_round_mode_16_64 0
		.amdhsa_float_denorm_mode_32 3
		.amdhsa_float_denorm_mode_16_64 3
		.amdhsa_dx10_clamp 1
		.amdhsa_ieee_mode 1
		.amdhsa_fp16_overflow 0
		.amdhsa_tg_split 0
		.amdhsa_exception_fp_ieee_invalid_op 0
		.amdhsa_exception_fp_denorm_src 0
		.amdhsa_exception_fp_ieee_div_zero 0
		.amdhsa_exception_fp_ieee_overflow 0
		.amdhsa_exception_fp_ieee_underflow 0
		.amdhsa_exception_fp_ieee_inexact 0
		.amdhsa_exception_int_div_zero 0
	.end_amdhsa_kernel
	.section	.text._ZN7rocprim17ROCPRIM_400000_NS6detail17trampoline_kernelINS0_14default_configENS1_25partition_config_selectorILNS1_17partition_subalgoE8ElNS0_10empty_typeEbEEZZNS1_14partition_implILS5_8ELb0ES3_jPlPS6_PKS6_NS0_5tupleIJS9_S6_EEENSD_IJSA_SA_EEENS0_18inequality_wrapperIZN2at6native12_GLOBAL__N_124unique_dim_cuda_templateIN3c108BFloat16EEESt5tupleIJNSH_6TensorESO_SO_EERKSO_lbbbEUlllE0_EEPmJS6_EEE10hipError_tPvRmT3_T4_T5_T6_T7_T9_mT8_P12ihipStream_tbDpT10_ENKUlT_T0_E_clISt17integral_constantIbLb0EES1D_IbLb1EEEEDaS19_S1A_EUlS19_E_NS1_11comp_targetILNS1_3genE0ELNS1_11target_archE4294967295ELNS1_3gpuE0ELNS1_3repE0EEENS1_30default_config_static_selectorELNS0_4arch9wavefront6targetE1EEEvT1_,"axG",@progbits,_ZN7rocprim17ROCPRIM_400000_NS6detail17trampoline_kernelINS0_14default_configENS1_25partition_config_selectorILNS1_17partition_subalgoE8ElNS0_10empty_typeEbEEZZNS1_14partition_implILS5_8ELb0ES3_jPlPS6_PKS6_NS0_5tupleIJS9_S6_EEENSD_IJSA_SA_EEENS0_18inequality_wrapperIZN2at6native12_GLOBAL__N_124unique_dim_cuda_templateIN3c108BFloat16EEESt5tupleIJNSH_6TensorESO_SO_EERKSO_lbbbEUlllE0_EEPmJS6_EEE10hipError_tPvRmT3_T4_T5_T6_T7_T9_mT8_P12ihipStream_tbDpT10_ENKUlT_T0_E_clISt17integral_constantIbLb0EES1D_IbLb1EEEEDaS19_S1A_EUlS19_E_NS1_11comp_targetILNS1_3genE0ELNS1_11target_archE4294967295ELNS1_3gpuE0ELNS1_3repE0EEENS1_30default_config_static_selectorELNS0_4arch9wavefront6targetE1EEEvT1_,comdat
.Lfunc_end1197:
	.size	_ZN7rocprim17ROCPRIM_400000_NS6detail17trampoline_kernelINS0_14default_configENS1_25partition_config_selectorILNS1_17partition_subalgoE8ElNS0_10empty_typeEbEEZZNS1_14partition_implILS5_8ELb0ES3_jPlPS6_PKS6_NS0_5tupleIJS9_S6_EEENSD_IJSA_SA_EEENS0_18inequality_wrapperIZN2at6native12_GLOBAL__N_124unique_dim_cuda_templateIN3c108BFloat16EEESt5tupleIJNSH_6TensorESO_SO_EERKSO_lbbbEUlllE0_EEPmJS6_EEE10hipError_tPvRmT3_T4_T5_T6_T7_T9_mT8_P12ihipStream_tbDpT10_ENKUlT_T0_E_clISt17integral_constantIbLb0EES1D_IbLb1EEEEDaS19_S1A_EUlS19_E_NS1_11comp_targetILNS1_3genE0ELNS1_11target_archE4294967295ELNS1_3gpuE0ELNS1_3repE0EEENS1_30default_config_static_selectorELNS0_4arch9wavefront6targetE1EEEvT1_, .Lfunc_end1197-_ZN7rocprim17ROCPRIM_400000_NS6detail17trampoline_kernelINS0_14default_configENS1_25partition_config_selectorILNS1_17partition_subalgoE8ElNS0_10empty_typeEbEEZZNS1_14partition_implILS5_8ELb0ES3_jPlPS6_PKS6_NS0_5tupleIJS9_S6_EEENSD_IJSA_SA_EEENS0_18inequality_wrapperIZN2at6native12_GLOBAL__N_124unique_dim_cuda_templateIN3c108BFloat16EEESt5tupleIJNSH_6TensorESO_SO_EERKSO_lbbbEUlllE0_EEPmJS6_EEE10hipError_tPvRmT3_T4_T5_T6_T7_T9_mT8_P12ihipStream_tbDpT10_ENKUlT_T0_E_clISt17integral_constantIbLb0EES1D_IbLb1EEEEDaS19_S1A_EUlS19_E_NS1_11comp_targetILNS1_3genE0ELNS1_11target_archE4294967295ELNS1_3gpuE0ELNS1_3repE0EEENS1_30default_config_static_selectorELNS0_4arch9wavefront6targetE1EEEvT1_
                                        ; -- End function
	.section	.AMDGPU.csdata,"",@progbits
; Kernel info:
; codeLenInByte = 0
; NumSgprs: 4
; NumVgprs: 0
; NumAgprs: 0
; TotalNumVgprs: 0
; ScratchSize: 0
; MemoryBound: 0
; FloatMode: 240
; IeeeMode: 1
; LDSByteSize: 0 bytes/workgroup (compile time only)
; SGPRBlocks: 0
; VGPRBlocks: 0
; NumSGPRsForWavesPerEU: 4
; NumVGPRsForWavesPerEU: 1
; AccumOffset: 4
; Occupancy: 8
; WaveLimiterHint : 0
; COMPUTE_PGM_RSRC2:SCRATCH_EN: 0
; COMPUTE_PGM_RSRC2:USER_SGPR: 6
; COMPUTE_PGM_RSRC2:TRAP_HANDLER: 0
; COMPUTE_PGM_RSRC2:TGID_X_EN: 1
; COMPUTE_PGM_RSRC2:TGID_Y_EN: 0
; COMPUTE_PGM_RSRC2:TGID_Z_EN: 0
; COMPUTE_PGM_RSRC2:TIDIG_COMP_CNT: 0
; COMPUTE_PGM_RSRC3_GFX90A:ACCUM_OFFSET: 0
; COMPUTE_PGM_RSRC3_GFX90A:TG_SPLIT: 0
	.section	.text._ZN7rocprim17ROCPRIM_400000_NS6detail17trampoline_kernelINS0_14default_configENS1_25partition_config_selectorILNS1_17partition_subalgoE8ElNS0_10empty_typeEbEEZZNS1_14partition_implILS5_8ELb0ES3_jPlPS6_PKS6_NS0_5tupleIJS9_S6_EEENSD_IJSA_SA_EEENS0_18inequality_wrapperIZN2at6native12_GLOBAL__N_124unique_dim_cuda_templateIN3c108BFloat16EEESt5tupleIJNSH_6TensorESO_SO_EERKSO_lbbbEUlllE0_EEPmJS6_EEE10hipError_tPvRmT3_T4_T5_T6_T7_T9_mT8_P12ihipStream_tbDpT10_ENKUlT_T0_E_clISt17integral_constantIbLb0EES1D_IbLb1EEEEDaS19_S1A_EUlS19_E_NS1_11comp_targetILNS1_3genE5ELNS1_11target_archE942ELNS1_3gpuE9ELNS1_3repE0EEENS1_30default_config_static_selectorELNS0_4arch9wavefront6targetE1EEEvT1_,"axG",@progbits,_ZN7rocprim17ROCPRIM_400000_NS6detail17trampoline_kernelINS0_14default_configENS1_25partition_config_selectorILNS1_17partition_subalgoE8ElNS0_10empty_typeEbEEZZNS1_14partition_implILS5_8ELb0ES3_jPlPS6_PKS6_NS0_5tupleIJS9_S6_EEENSD_IJSA_SA_EEENS0_18inequality_wrapperIZN2at6native12_GLOBAL__N_124unique_dim_cuda_templateIN3c108BFloat16EEESt5tupleIJNSH_6TensorESO_SO_EERKSO_lbbbEUlllE0_EEPmJS6_EEE10hipError_tPvRmT3_T4_T5_T6_T7_T9_mT8_P12ihipStream_tbDpT10_ENKUlT_T0_E_clISt17integral_constantIbLb0EES1D_IbLb1EEEEDaS19_S1A_EUlS19_E_NS1_11comp_targetILNS1_3genE5ELNS1_11target_archE942ELNS1_3gpuE9ELNS1_3repE0EEENS1_30default_config_static_selectorELNS0_4arch9wavefront6targetE1EEEvT1_,comdat
	.globl	_ZN7rocprim17ROCPRIM_400000_NS6detail17trampoline_kernelINS0_14default_configENS1_25partition_config_selectorILNS1_17partition_subalgoE8ElNS0_10empty_typeEbEEZZNS1_14partition_implILS5_8ELb0ES3_jPlPS6_PKS6_NS0_5tupleIJS9_S6_EEENSD_IJSA_SA_EEENS0_18inequality_wrapperIZN2at6native12_GLOBAL__N_124unique_dim_cuda_templateIN3c108BFloat16EEESt5tupleIJNSH_6TensorESO_SO_EERKSO_lbbbEUlllE0_EEPmJS6_EEE10hipError_tPvRmT3_T4_T5_T6_T7_T9_mT8_P12ihipStream_tbDpT10_ENKUlT_T0_E_clISt17integral_constantIbLb0EES1D_IbLb1EEEEDaS19_S1A_EUlS19_E_NS1_11comp_targetILNS1_3genE5ELNS1_11target_archE942ELNS1_3gpuE9ELNS1_3repE0EEENS1_30default_config_static_selectorELNS0_4arch9wavefront6targetE1EEEvT1_ ; -- Begin function _ZN7rocprim17ROCPRIM_400000_NS6detail17trampoline_kernelINS0_14default_configENS1_25partition_config_selectorILNS1_17partition_subalgoE8ElNS0_10empty_typeEbEEZZNS1_14partition_implILS5_8ELb0ES3_jPlPS6_PKS6_NS0_5tupleIJS9_S6_EEENSD_IJSA_SA_EEENS0_18inequality_wrapperIZN2at6native12_GLOBAL__N_124unique_dim_cuda_templateIN3c108BFloat16EEESt5tupleIJNSH_6TensorESO_SO_EERKSO_lbbbEUlllE0_EEPmJS6_EEE10hipError_tPvRmT3_T4_T5_T6_T7_T9_mT8_P12ihipStream_tbDpT10_ENKUlT_T0_E_clISt17integral_constantIbLb0EES1D_IbLb1EEEEDaS19_S1A_EUlS19_E_NS1_11comp_targetILNS1_3genE5ELNS1_11target_archE942ELNS1_3gpuE9ELNS1_3repE0EEENS1_30default_config_static_selectorELNS0_4arch9wavefront6targetE1EEEvT1_
	.p2align	8
	.type	_ZN7rocprim17ROCPRIM_400000_NS6detail17trampoline_kernelINS0_14default_configENS1_25partition_config_selectorILNS1_17partition_subalgoE8ElNS0_10empty_typeEbEEZZNS1_14partition_implILS5_8ELb0ES3_jPlPS6_PKS6_NS0_5tupleIJS9_S6_EEENSD_IJSA_SA_EEENS0_18inequality_wrapperIZN2at6native12_GLOBAL__N_124unique_dim_cuda_templateIN3c108BFloat16EEESt5tupleIJNSH_6TensorESO_SO_EERKSO_lbbbEUlllE0_EEPmJS6_EEE10hipError_tPvRmT3_T4_T5_T6_T7_T9_mT8_P12ihipStream_tbDpT10_ENKUlT_T0_E_clISt17integral_constantIbLb0EES1D_IbLb1EEEEDaS19_S1A_EUlS19_E_NS1_11comp_targetILNS1_3genE5ELNS1_11target_archE942ELNS1_3gpuE9ELNS1_3repE0EEENS1_30default_config_static_selectorELNS0_4arch9wavefront6targetE1EEEvT1_,@function
_ZN7rocprim17ROCPRIM_400000_NS6detail17trampoline_kernelINS0_14default_configENS1_25partition_config_selectorILNS1_17partition_subalgoE8ElNS0_10empty_typeEbEEZZNS1_14partition_implILS5_8ELb0ES3_jPlPS6_PKS6_NS0_5tupleIJS9_S6_EEENSD_IJSA_SA_EEENS0_18inequality_wrapperIZN2at6native12_GLOBAL__N_124unique_dim_cuda_templateIN3c108BFloat16EEESt5tupleIJNSH_6TensorESO_SO_EERKSO_lbbbEUlllE0_EEPmJS6_EEE10hipError_tPvRmT3_T4_T5_T6_T7_T9_mT8_P12ihipStream_tbDpT10_ENKUlT_T0_E_clISt17integral_constantIbLb0EES1D_IbLb1EEEEDaS19_S1A_EUlS19_E_NS1_11comp_targetILNS1_3genE5ELNS1_11target_archE942ELNS1_3gpuE9ELNS1_3repE0EEENS1_30default_config_static_selectorELNS0_4arch9wavefront6targetE1EEEvT1_: ; @_ZN7rocprim17ROCPRIM_400000_NS6detail17trampoline_kernelINS0_14default_configENS1_25partition_config_selectorILNS1_17partition_subalgoE8ElNS0_10empty_typeEbEEZZNS1_14partition_implILS5_8ELb0ES3_jPlPS6_PKS6_NS0_5tupleIJS9_S6_EEENSD_IJSA_SA_EEENS0_18inequality_wrapperIZN2at6native12_GLOBAL__N_124unique_dim_cuda_templateIN3c108BFloat16EEESt5tupleIJNSH_6TensorESO_SO_EERKSO_lbbbEUlllE0_EEPmJS6_EEE10hipError_tPvRmT3_T4_T5_T6_T7_T9_mT8_P12ihipStream_tbDpT10_ENKUlT_T0_E_clISt17integral_constantIbLb0EES1D_IbLb1EEEEDaS19_S1A_EUlS19_E_NS1_11comp_targetILNS1_3genE5ELNS1_11target_archE942ELNS1_3gpuE9ELNS1_3repE0EEENS1_30default_config_static_selectorELNS0_4arch9wavefront6targetE1EEEvT1_
; %bb.0:
	.section	.rodata,"a",@progbits
	.p2align	6, 0x0
	.amdhsa_kernel _ZN7rocprim17ROCPRIM_400000_NS6detail17trampoline_kernelINS0_14default_configENS1_25partition_config_selectorILNS1_17partition_subalgoE8ElNS0_10empty_typeEbEEZZNS1_14partition_implILS5_8ELb0ES3_jPlPS6_PKS6_NS0_5tupleIJS9_S6_EEENSD_IJSA_SA_EEENS0_18inequality_wrapperIZN2at6native12_GLOBAL__N_124unique_dim_cuda_templateIN3c108BFloat16EEESt5tupleIJNSH_6TensorESO_SO_EERKSO_lbbbEUlllE0_EEPmJS6_EEE10hipError_tPvRmT3_T4_T5_T6_T7_T9_mT8_P12ihipStream_tbDpT10_ENKUlT_T0_E_clISt17integral_constantIbLb0EES1D_IbLb1EEEEDaS19_S1A_EUlS19_E_NS1_11comp_targetILNS1_3genE5ELNS1_11target_archE942ELNS1_3gpuE9ELNS1_3repE0EEENS1_30default_config_static_selectorELNS0_4arch9wavefront6targetE1EEEvT1_
		.amdhsa_group_segment_fixed_size 0
		.amdhsa_private_segment_fixed_size 0
		.amdhsa_kernarg_size 136
		.amdhsa_user_sgpr_count 6
		.amdhsa_user_sgpr_private_segment_buffer 1
		.amdhsa_user_sgpr_dispatch_ptr 0
		.amdhsa_user_sgpr_queue_ptr 0
		.amdhsa_user_sgpr_kernarg_segment_ptr 1
		.amdhsa_user_sgpr_dispatch_id 0
		.amdhsa_user_sgpr_flat_scratch_init 0
		.amdhsa_user_sgpr_kernarg_preload_length 0
		.amdhsa_user_sgpr_kernarg_preload_offset 0
		.amdhsa_user_sgpr_private_segment_size 0
		.amdhsa_uses_dynamic_stack 0
		.amdhsa_system_sgpr_private_segment_wavefront_offset 0
		.amdhsa_system_sgpr_workgroup_id_x 1
		.amdhsa_system_sgpr_workgroup_id_y 0
		.amdhsa_system_sgpr_workgroup_id_z 0
		.amdhsa_system_sgpr_workgroup_info 0
		.amdhsa_system_vgpr_workitem_id 0
		.amdhsa_next_free_vgpr 1
		.amdhsa_next_free_sgpr 0
		.amdhsa_accum_offset 4
		.amdhsa_reserve_vcc 0
		.amdhsa_reserve_flat_scratch 0
		.amdhsa_float_round_mode_32 0
		.amdhsa_float_round_mode_16_64 0
		.amdhsa_float_denorm_mode_32 3
		.amdhsa_float_denorm_mode_16_64 3
		.amdhsa_dx10_clamp 1
		.amdhsa_ieee_mode 1
		.amdhsa_fp16_overflow 0
		.amdhsa_tg_split 0
		.amdhsa_exception_fp_ieee_invalid_op 0
		.amdhsa_exception_fp_denorm_src 0
		.amdhsa_exception_fp_ieee_div_zero 0
		.amdhsa_exception_fp_ieee_overflow 0
		.amdhsa_exception_fp_ieee_underflow 0
		.amdhsa_exception_fp_ieee_inexact 0
		.amdhsa_exception_int_div_zero 0
	.end_amdhsa_kernel
	.section	.text._ZN7rocprim17ROCPRIM_400000_NS6detail17trampoline_kernelINS0_14default_configENS1_25partition_config_selectorILNS1_17partition_subalgoE8ElNS0_10empty_typeEbEEZZNS1_14partition_implILS5_8ELb0ES3_jPlPS6_PKS6_NS0_5tupleIJS9_S6_EEENSD_IJSA_SA_EEENS0_18inequality_wrapperIZN2at6native12_GLOBAL__N_124unique_dim_cuda_templateIN3c108BFloat16EEESt5tupleIJNSH_6TensorESO_SO_EERKSO_lbbbEUlllE0_EEPmJS6_EEE10hipError_tPvRmT3_T4_T5_T6_T7_T9_mT8_P12ihipStream_tbDpT10_ENKUlT_T0_E_clISt17integral_constantIbLb0EES1D_IbLb1EEEEDaS19_S1A_EUlS19_E_NS1_11comp_targetILNS1_3genE5ELNS1_11target_archE942ELNS1_3gpuE9ELNS1_3repE0EEENS1_30default_config_static_selectorELNS0_4arch9wavefront6targetE1EEEvT1_,"axG",@progbits,_ZN7rocprim17ROCPRIM_400000_NS6detail17trampoline_kernelINS0_14default_configENS1_25partition_config_selectorILNS1_17partition_subalgoE8ElNS0_10empty_typeEbEEZZNS1_14partition_implILS5_8ELb0ES3_jPlPS6_PKS6_NS0_5tupleIJS9_S6_EEENSD_IJSA_SA_EEENS0_18inequality_wrapperIZN2at6native12_GLOBAL__N_124unique_dim_cuda_templateIN3c108BFloat16EEESt5tupleIJNSH_6TensorESO_SO_EERKSO_lbbbEUlllE0_EEPmJS6_EEE10hipError_tPvRmT3_T4_T5_T6_T7_T9_mT8_P12ihipStream_tbDpT10_ENKUlT_T0_E_clISt17integral_constantIbLb0EES1D_IbLb1EEEEDaS19_S1A_EUlS19_E_NS1_11comp_targetILNS1_3genE5ELNS1_11target_archE942ELNS1_3gpuE9ELNS1_3repE0EEENS1_30default_config_static_selectorELNS0_4arch9wavefront6targetE1EEEvT1_,comdat
.Lfunc_end1198:
	.size	_ZN7rocprim17ROCPRIM_400000_NS6detail17trampoline_kernelINS0_14default_configENS1_25partition_config_selectorILNS1_17partition_subalgoE8ElNS0_10empty_typeEbEEZZNS1_14partition_implILS5_8ELb0ES3_jPlPS6_PKS6_NS0_5tupleIJS9_S6_EEENSD_IJSA_SA_EEENS0_18inequality_wrapperIZN2at6native12_GLOBAL__N_124unique_dim_cuda_templateIN3c108BFloat16EEESt5tupleIJNSH_6TensorESO_SO_EERKSO_lbbbEUlllE0_EEPmJS6_EEE10hipError_tPvRmT3_T4_T5_T6_T7_T9_mT8_P12ihipStream_tbDpT10_ENKUlT_T0_E_clISt17integral_constantIbLb0EES1D_IbLb1EEEEDaS19_S1A_EUlS19_E_NS1_11comp_targetILNS1_3genE5ELNS1_11target_archE942ELNS1_3gpuE9ELNS1_3repE0EEENS1_30default_config_static_selectorELNS0_4arch9wavefront6targetE1EEEvT1_, .Lfunc_end1198-_ZN7rocprim17ROCPRIM_400000_NS6detail17trampoline_kernelINS0_14default_configENS1_25partition_config_selectorILNS1_17partition_subalgoE8ElNS0_10empty_typeEbEEZZNS1_14partition_implILS5_8ELb0ES3_jPlPS6_PKS6_NS0_5tupleIJS9_S6_EEENSD_IJSA_SA_EEENS0_18inequality_wrapperIZN2at6native12_GLOBAL__N_124unique_dim_cuda_templateIN3c108BFloat16EEESt5tupleIJNSH_6TensorESO_SO_EERKSO_lbbbEUlllE0_EEPmJS6_EEE10hipError_tPvRmT3_T4_T5_T6_T7_T9_mT8_P12ihipStream_tbDpT10_ENKUlT_T0_E_clISt17integral_constantIbLb0EES1D_IbLb1EEEEDaS19_S1A_EUlS19_E_NS1_11comp_targetILNS1_3genE5ELNS1_11target_archE942ELNS1_3gpuE9ELNS1_3repE0EEENS1_30default_config_static_selectorELNS0_4arch9wavefront6targetE1EEEvT1_
                                        ; -- End function
	.section	.AMDGPU.csdata,"",@progbits
; Kernel info:
; codeLenInByte = 0
; NumSgprs: 4
; NumVgprs: 0
; NumAgprs: 0
; TotalNumVgprs: 0
; ScratchSize: 0
; MemoryBound: 0
; FloatMode: 240
; IeeeMode: 1
; LDSByteSize: 0 bytes/workgroup (compile time only)
; SGPRBlocks: 0
; VGPRBlocks: 0
; NumSGPRsForWavesPerEU: 4
; NumVGPRsForWavesPerEU: 1
; AccumOffset: 4
; Occupancy: 8
; WaveLimiterHint : 0
; COMPUTE_PGM_RSRC2:SCRATCH_EN: 0
; COMPUTE_PGM_RSRC2:USER_SGPR: 6
; COMPUTE_PGM_RSRC2:TRAP_HANDLER: 0
; COMPUTE_PGM_RSRC2:TGID_X_EN: 1
; COMPUTE_PGM_RSRC2:TGID_Y_EN: 0
; COMPUTE_PGM_RSRC2:TGID_Z_EN: 0
; COMPUTE_PGM_RSRC2:TIDIG_COMP_CNT: 0
; COMPUTE_PGM_RSRC3_GFX90A:ACCUM_OFFSET: 0
; COMPUTE_PGM_RSRC3_GFX90A:TG_SPLIT: 0
	.section	.text._ZN7rocprim17ROCPRIM_400000_NS6detail17trampoline_kernelINS0_14default_configENS1_25partition_config_selectorILNS1_17partition_subalgoE8ElNS0_10empty_typeEbEEZZNS1_14partition_implILS5_8ELb0ES3_jPlPS6_PKS6_NS0_5tupleIJS9_S6_EEENSD_IJSA_SA_EEENS0_18inequality_wrapperIZN2at6native12_GLOBAL__N_124unique_dim_cuda_templateIN3c108BFloat16EEESt5tupleIJNSH_6TensorESO_SO_EERKSO_lbbbEUlllE0_EEPmJS6_EEE10hipError_tPvRmT3_T4_T5_T6_T7_T9_mT8_P12ihipStream_tbDpT10_ENKUlT_T0_E_clISt17integral_constantIbLb0EES1D_IbLb1EEEEDaS19_S1A_EUlS19_E_NS1_11comp_targetILNS1_3genE4ELNS1_11target_archE910ELNS1_3gpuE8ELNS1_3repE0EEENS1_30default_config_static_selectorELNS0_4arch9wavefront6targetE1EEEvT1_,"axG",@progbits,_ZN7rocprim17ROCPRIM_400000_NS6detail17trampoline_kernelINS0_14default_configENS1_25partition_config_selectorILNS1_17partition_subalgoE8ElNS0_10empty_typeEbEEZZNS1_14partition_implILS5_8ELb0ES3_jPlPS6_PKS6_NS0_5tupleIJS9_S6_EEENSD_IJSA_SA_EEENS0_18inequality_wrapperIZN2at6native12_GLOBAL__N_124unique_dim_cuda_templateIN3c108BFloat16EEESt5tupleIJNSH_6TensorESO_SO_EERKSO_lbbbEUlllE0_EEPmJS6_EEE10hipError_tPvRmT3_T4_T5_T6_T7_T9_mT8_P12ihipStream_tbDpT10_ENKUlT_T0_E_clISt17integral_constantIbLb0EES1D_IbLb1EEEEDaS19_S1A_EUlS19_E_NS1_11comp_targetILNS1_3genE4ELNS1_11target_archE910ELNS1_3gpuE8ELNS1_3repE0EEENS1_30default_config_static_selectorELNS0_4arch9wavefront6targetE1EEEvT1_,comdat
	.globl	_ZN7rocprim17ROCPRIM_400000_NS6detail17trampoline_kernelINS0_14default_configENS1_25partition_config_selectorILNS1_17partition_subalgoE8ElNS0_10empty_typeEbEEZZNS1_14partition_implILS5_8ELb0ES3_jPlPS6_PKS6_NS0_5tupleIJS9_S6_EEENSD_IJSA_SA_EEENS0_18inequality_wrapperIZN2at6native12_GLOBAL__N_124unique_dim_cuda_templateIN3c108BFloat16EEESt5tupleIJNSH_6TensorESO_SO_EERKSO_lbbbEUlllE0_EEPmJS6_EEE10hipError_tPvRmT3_T4_T5_T6_T7_T9_mT8_P12ihipStream_tbDpT10_ENKUlT_T0_E_clISt17integral_constantIbLb0EES1D_IbLb1EEEEDaS19_S1A_EUlS19_E_NS1_11comp_targetILNS1_3genE4ELNS1_11target_archE910ELNS1_3gpuE8ELNS1_3repE0EEENS1_30default_config_static_selectorELNS0_4arch9wavefront6targetE1EEEvT1_ ; -- Begin function _ZN7rocprim17ROCPRIM_400000_NS6detail17trampoline_kernelINS0_14default_configENS1_25partition_config_selectorILNS1_17partition_subalgoE8ElNS0_10empty_typeEbEEZZNS1_14partition_implILS5_8ELb0ES3_jPlPS6_PKS6_NS0_5tupleIJS9_S6_EEENSD_IJSA_SA_EEENS0_18inequality_wrapperIZN2at6native12_GLOBAL__N_124unique_dim_cuda_templateIN3c108BFloat16EEESt5tupleIJNSH_6TensorESO_SO_EERKSO_lbbbEUlllE0_EEPmJS6_EEE10hipError_tPvRmT3_T4_T5_T6_T7_T9_mT8_P12ihipStream_tbDpT10_ENKUlT_T0_E_clISt17integral_constantIbLb0EES1D_IbLb1EEEEDaS19_S1A_EUlS19_E_NS1_11comp_targetILNS1_3genE4ELNS1_11target_archE910ELNS1_3gpuE8ELNS1_3repE0EEENS1_30default_config_static_selectorELNS0_4arch9wavefront6targetE1EEEvT1_
	.p2align	8
	.type	_ZN7rocprim17ROCPRIM_400000_NS6detail17trampoline_kernelINS0_14default_configENS1_25partition_config_selectorILNS1_17partition_subalgoE8ElNS0_10empty_typeEbEEZZNS1_14partition_implILS5_8ELb0ES3_jPlPS6_PKS6_NS0_5tupleIJS9_S6_EEENSD_IJSA_SA_EEENS0_18inequality_wrapperIZN2at6native12_GLOBAL__N_124unique_dim_cuda_templateIN3c108BFloat16EEESt5tupleIJNSH_6TensorESO_SO_EERKSO_lbbbEUlllE0_EEPmJS6_EEE10hipError_tPvRmT3_T4_T5_T6_T7_T9_mT8_P12ihipStream_tbDpT10_ENKUlT_T0_E_clISt17integral_constantIbLb0EES1D_IbLb1EEEEDaS19_S1A_EUlS19_E_NS1_11comp_targetILNS1_3genE4ELNS1_11target_archE910ELNS1_3gpuE8ELNS1_3repE0EEENS1_30default_config_static_selectorELNS0_4arch9wavefront6targetE1EEEvT1_,@function
_ZN7rocprim17ROCPRIM_400000_NS6detail17trampoline_kernelINS0_14default_configENS1_25partition_config_selectorILNS1_17partition_subalgoE8ElNS0_10empty_typeEbEEZZNS1_14partition_implILS5_8ELb0ES3_jPlPS6_PKS6_NS0_5tupleIJS9_S6_EEENSD_IJSA_SA_EEENS0_18inequality_wrapperIZN2at6native12_GLOBAL__N_124unique_dim_cuda_templateIN3c108BFloat16EEESt5tupleIJNSH_6TensorESO_SO_EERKSO_lbbbEUlllE0_EEPmJS6_EEE10hipError_tPvRmT3_T4_T5_T6_T7_T9_mT8_P12ihipStream_tbDpT10_ENKUlT_T0_E_clISt17integral_constantIbLb0EES1D_IbLb1EEEEDaS19_S1A_EUlS19_E_NS1_11comp_targetILNS1_3genE4ELNS1_11target_archE910ELNS1_3gpuE8ELNS1_3repE0EEENS1_30default_config_static_selectorELNS0_4arch9wavefront6targetE1EEEvT1_: ; @_ZN7rocprim17ROCPRIM_400000_NS6detail17trampoline_kernelINS0_14default_configENS1_25partition_config_selectorILNS1_17partition_subalgoE8ElNS0_10empty_typeEbEEZZNS1_14partition_implILS5_8ELb0ES3_jPlPS6_PKS6_NS0_5tupleIJS9_S6_EEENSD_IJSA_SA_EEENS0_18inequality_wrapperIZN2at6native12_GLOBAL__N_124unique_dim_cuda_templateIN3c108BFloat16EEESt5tupleIJNSH_6TensorESO_SO_EERKSO_lbbbEUlllE0_EEPmJS6_EEE10hipError_tPvRmT3_T4_T5_T6_T7_T9_mT8_P12ihipStream_tbDpT10_ENKUlT_T0_E_clISt17integral_constantIbLb0EES1D_IbLb1EEEEDaS19_S1A_EUlS19_E_NS1_11comp_targetILNS1_3genE4ELNS1_11target_archE910ELNS1_3gpuE8ELNS1_3repE0EEENS1_30default_config_static_selectorELNS0_4arch9wavefront6targetE1EEEvT1_
; %bb.0:
	s_load_dwordx2 s[28:29], s[4:5], 0x28
	s_load_dwordx8 s[20:27], s[4:5], 0x40
	s_load_dwordx4 s[16:19], s[4:5], 0x60
	v_cmp_ne_u32_e64 s[2:3], 0, v0
	v_cmp_eq_u32_e64 s[0:1], 0, v0
	s_and_saveexec_b64 s[6:7], s[0:1]
	s_cbranch_execz .LBB1199_4
; %bb.1:
	s_mov_b64 s[10:11], exec
	v_mbcnt_lo_u32_b32 v1, s10, 0
	v_mbcnt_hi_u32_b32 v1, s11, v1
	v_cmp_eq_u32_e32 vcc, 0, v1
                                        ; implicit-def: $vgpr2
	s_and_saveexec_b64 s[8:9], vcc
	s_cbranch_execz .LBB1199_3
; %bb.2:
	s_load_dwordx2 s[12:13], s[4:5], 0x78
	s_bcnt1_i32_b64 s10, s[10:11]
	v_mov_b32_e32 v2, 0
	v_mov_b32_e32 v3, s10
	s_waitcnt lgkmcnt(0)
	global_atomic_add v2, v2, v3, s[12:13] glc
.LBB1199_3:
	s_or_b64 exec, exec, s[8:9]
	s_waitcnt vmcnt(0)
	v_readfirstlane_b32 s8, v2
	v_add_u32_e32 v1, s8, v1
	v_mov_b32_e32 v2, 0
	ds_write_b32 v2, v1
.LBB1199_4:
	s_or_b64 exec, exec, s[6:7]
	v_mov_b32_e32 v3, 0
	s_load_dwordx4 s[8:11], s[4:5], 0x8
	s_load_dword s12, s[4:5], 0x70
	s_waitcnt lgkmcnt(0)
	s_barrier
	ds_read_b32 v1, v3
	s_waitcnt lgkmcnt(0)
	s_barrier
	global_load_dwordx2 v[4:5], v3, s[22:23]
	s_lshl_b64 s[4:5], s[10:11], 3
	s_mul_i32 s14, s12, 0x500
	s_add_u32 s8, s8, s4
	s_addc_u32 s4, s9, s5
	s_add_i32 s5, s14, s10
	s_add_i32 s12, s12, -1
	s_sub_i32 s48, s24, s5
	v_mov_b32_e32 v8, s4
	s_add_u32 s4, s10, s14
	s_addc_u32 s5, s11, 0
	v_readfirstlane_b32 s33, v1
	v_mov_b32_e32 v6, s24
	v_mov_b32_e32 v7, s25
	s_movk_i32 s13, 0x500
	s_cmp_eq_u32 s33, s12
	v_mul_lo_u32 v2, v1, s13
	v_cmp_ge_u64_e32 vcc, s[4:5], v[6:7]
	s_cselect_b64 s[24:25], -1, 0
	v_lshlrev_b64 v[2:3], 3, v[2:3]
	s_and_b64 s[12:13], vcc, s[24:25]
	v_add_co_u32_e64 v18, s[4:5], s8, v2
	s_xor_b64 s[30:31], s[12:13], -1
	s_mov_b64 s[6:7], -1
	v_addc_co_u32_e64 v19, s[4:5], v8, v3, s[4:5]
	s_and_b64 vcc, exec, s[30:31]
	s_waitcnt vmcnt(0)
	v_readfirstlane_b32 s22, v4
	v_readfirstlane_b32 s23, v5
	s_cbranch_vccz .LBB1199_6
; %bb.5:
	v_lshlrev_b32_e32 v1, 3, v0
	v_add_co_u32_e32 v12, vcc, v18, v1
	v_addc_co_u32_e32 v13, vcc, 0, v19, vcc
	v_add_co_u32_e32 v2, vcc, 0x1000, v12
	v_readfirstlane_b32 s4, v18
	v_readfirstlane_b32 s5, v19
	v_addc_co_u32_e32 v3, vcc, 0, v13, vcc
	s_nop 3
	global_load_dwordx2 v[4:5], v1, s[4:5]
	global_load_dwordx2 v[6:7], v1, s[4:5] offset:2048
	global_load_dwordx2 v[8:9], v[2:3], off
	global_load_dwordx2 v[10:11], v[2:3], off offset:2048
	v_add_co_u32_e32 v2, vcc, 0x2000, v12
	v_addc_co_u32_e32 v3, vcc, 0, v13, vcc
	global_load_dwordx2 v[2:3], v[2:3], off
	s_mov_b64 s[6:7], 0
	s_waitcnt vmcnt(3)
	ds_write2st64_b64 v1, v[4:5], v[6:7] offset1:4
	s_waitcnt vmcnt(1)
	ds_write2st64_b64 v1, v[8:9], v[10:11] offset0:8 offset1:12
	s_waitcnt vmcnt(0)
	ds_write_b64 v1, v[2:3] offset:8192
	s_waitcnt lgkmcnt(0)
	s_barrier
.LBB1199_6:
	s_andn2_b64 vcc, exec, s[6:7]
	s_addk_i32 s48, 0x500
	s_cbranch_vccnz .LBB1199_18
; %bb.7:
	v_cmp_gt_u32_e32 vcc, s48, v0
                                        ; implicit-def: $vgpr2_vgpr3_vgpr4_vgpr5_vgpr6_vgpr7_vgpr8_vgpr9_vgpr10_vgpr11_vgpr12_vgpr13_vgpr14_vgpr15_vgpr16_vgpr17
	s_and_saveexec_b64 s[4:5], vcc
	s_cbranch_execz .LBB1199_9
; %bb.8:
	v_lshlrev_b32_e32 v1, 3, v0
	v_readfirstlane_b32 s6, v18
	v_readfirstlane_b32 s7, v19
	s_nop 4
	global_load_dwordx2 v[2:3], v1, s[6:7]
.LBB1199_9:
	s_or_b64 exec, exec, s[4:5]
	v_or_b32_e32 v1, 0x100, v0
	v_cmp_gt_u32_e32 vcc, s48, v1
	s_and_saveexec_b64 s[4:5], vcc
	s_cbranch_execz .LBB1199_11
; %bb.10:
	v_lshlrev_b32_e32 v1, 3, v0
	v_readfirstlane_b32 s6, v18
	v_readfirstlane_b32 s7, v19
	s_nop 4
	global_load_dwordx2 v[4:5], v1, s[6:7] offset:2048
.LBB1199_11:
	s_or_b64 exec, exec, s[4:5]
	v_or_b32_e32 v1, 0x200, v0
	v_cmp_gt_u32_e32 vcc, s48, v1
	s_and_saveexec_b64 s[4:5], vcc
	s_cbranch_execz .LBB1199_13
; %bb.12:
	v_lshlrev_b32_e32 v1, 3, v1
	v_readfirstlane_b32 s6, v18
	v_readfirstlane_b32 s7, v19
	s_nop 4
	global_load_dwordx2 v[6:7], v1, s[6:7]
.LBB1199_13:
	s_or_b64 exec, exec, s[4:5]
	v_or_b32_e32 v1, 0x300, v0
	v_cmp_gt_u32_e32 vcc, s48, v1
	s_and_saveexec_b64 s[4:5], vcc
	s_cbranch_execz .LBB1199_15
; %bb.14:
	v_lshlrev_b32_e32 v1, 3, v1
	v_readfirstlane_b32 s6, v18
	v_readfirstlane_b32 s7, v19
	s_nop 4
	global_load_dwordx2 v[8:9], v1, s[6:7]
.LBB1199_15:
	;; [unrolled: 12-line block ×3, first 2 shown]
	s_or_b64 exec, exec, s[4:5]
	v_lshlrev_b32_e32 v1, 3, v0
	s_waitcnt vmcnt(0)
	ds_write2st64_b64 v1, v[2:3], v[4:5] offset1:4
	ds_write2st64_b64 v1, v[6:7], v[8:9] offset0:8 offset1:12
	ds_write_b64 v1, v[10:11] offset:8192
	s_waitcnt lgkmcnt(0)
	s_barrier
.LBB1199_18:
	v_mul_u32_u24_e32 v1, 5, v0
	v_lshlrev_b32_e32 v26, 3, v1
	ds_read2_b64 v[6:9], v26 offset1:1
	ds_read2_b64 v[2:5], v26 offset0:2 offset1:3
	ds_read_b64 v[10:11], v26 offset:32
	s_cmp_lg_u32 s33, 0
	s_cselect_b64 s[34:35], -1, 0
	s_cmp_lg_u64 s[10:11], 0
	s_cselect_b64 s[4:5], -1, 0
	s_or_b64 s[4:5], s[4:5], s[34:35]
	v_mad_u32_u24 v24, v0, 5, 1
	v_mad_u32_u24 v22, v0, 5, 2
	;; [unrolled: 1-line block ×4, first 2 shown]
	s_mov_b64 s[14:15], 0
	s_and_b64 vcc, exec, s[4:5]
	v_cmp_gt_i64_e64 s[4:5], s[26:27], 0
	s_waitcnt lgkmcnt(0)
	s_barrier
	s_cbranch_vccz .LBB1199_27
; %bb.19:
	global_load_dwordx2 v[12:13], v[18:19], off offset:-8
	v_cndmask_b32_e64 v14, 0, 1, s[4:5]
	v_lshlrev_b32_e32 v27, 3, v0
	s_mov_b64 s[10:11], 0
	s_and_b64 vcc, exec, s[30:31]
	v_cmp_ne_u32_e64 s[4:5], 1, v14
	ds_write_b64 v27, v[10:11]
	s_cbranch_vccz .LBB1199_28
; %bb.20:
	v_mul_lo_u32 v16, v5, s26
	v_mul_lo_u32 v17, v4, s27
	v_mad_u64_u32 v[14:15], s[6:7], v4, s26, 0
	v_add3_u32 v15, v15, v17, v16
	s_and_b64 vcc, exec, s[4:5]
	v_lshlrev_b64 v[14:15], 1, v[14:15]
	s_cbranch_vccnz .LBB1199_31
; %bb.21:
	v_mul_lo_u32 v18, v11, s26
	v_mul_lo_u32 v19, v10, s27
	v_mad_u64_u32 v[16:17], s[6:7], v10, s26, 0
	v_add3_u32 v17, v17, v19, v18
	v_mov_b32_e32 v19, s17
	v_add_co_u32_e32 v18, vcc, s16, v14
	v_addc_co_u32_e64 v19, s[6:7], v19, v15, vcc
	v_lshlrev_b64 v[16:17], 1, v[16:17]
	v_mov_b32_e32 v21, s17
	v_add_co_u32_e64 v20, s[6:7], s16, v16
	v_addc_co_u32_e64 v21, s[8:9], v21, v17, s[6:7]
	global_load_ushort v16, v[20:21], off
	global_load_ushort v28, v[18:19], off
	s_mov_b64 s[10:11], -1
	s_waitcnt vmcnt(1)
	v_lshlrev_b32_e32 v16, 16, v16
	s_waitcnt vmcnt(0)
	v_lshlrev_b32_e32 v19, 16, v28
	v_cmp_eq_f32_e64 s[8:9], v19, v16
	s_and_saveexec_b64 s[14:15], s[8:9]
	s_cbranch_execz .LBB1199_30
; %bb.22:
	v_mov_b32_e32 v16, s17
	v_addc_co_u32_e64 v17, s[6:7], v17, v16, s[6:7]
	v_add_co_u32_e64 v16, s[6:7], 2, v20
	v_mov_b32_e32 v19, s17
	v_addc_co_u32_e64 v17, s[6:7], 0, v17, s[6:7]
	v_addc_co_u32_e32 v19, vcc, v15, v19, vcc
	v_add_co_u32_e32 v18, vcc, 2, v18
	s_add_u32 s6, s26, -1
	v_addc_co_u32_e32 v19, vcc, 0, v19, vcc
	s_addc_u32 s7, s27, -1
	s_mov_b64 s[8:9], 0
	s_mov_b64 s[36:37], 0
                                        ; implicit-def: $sgpr10_sgpr11
	s_branch .LBB1199_25
.LBB1199_23:                            ;   in Loop: Header=BB1199_25 Depth=1
	global_load_ushort v20, v[16:17], off
	global_load_ushort v21, v[18:19], off
	v_add_co_u32_e32 v16, vcc, 2, v16
	v_addc_co_u32_e32 v17, vcc, 0, v17, vcc
	v_add_co_u32_e32 v18, vcc, 2, v18
	v_addc_co_u32_e32 v19, vcc, 0, v19, vcc
	s_add_u32 s36, s36, 1
	s_addc_u32 s37, s37, 0
	s_andn2_b64 s[10:11], s[10:11], exec
	s_waitcnt vmcnt(1)
	v_lshlrev_b32_e32 v20, 16, v20
	s_waitcnt vmcnt(0)
	v_lshlrev_b32_e32 v21, 16, v21
	v_cmp_neq_f32_e32 vcc, v21, v20
	s_and_b64 s[38:39], vcc, exec
	s_or_b64 s[10:11], s[10:11], s[38:39]
.LBB1199_24:                            ;   in Loop: Header=BB1199_25 Depth=1
	s_and_b64 s[38:39], exec, s[10:11]
	s_or_b64 s[8:9], s[38:39], s[8:9]
	v_pk_mov_b32 v[20:21], s[36:37], s[36:37] op_sel:[0,1]
	s_andn2_b64 exec, exec, s[8:9]
	s_cbranch_execz .LBB1199_29
.LBB1199_25:                            ; =>This Inner Loop Header: Depth=1
	s_or_b64 s[10:11], s[10:11], exec
	s_cmp_eq_u64 s[6:7], s[36:37]
	s_cbranch_scc0 .LBB1199_23
; %bb.26:                               ;   in Loop: Header=BB1199_25 Depth=1
                                        ; implicit-def: $vgpr16_vgpr17
                                        ; implicit-def: $vgpr18_vgpr19
	s_mov_b64 s[36:37], s[26:27]
	s_branch .LBB1199_24
.LBB1199_27:
                                        ; implicit-def: $sgpr36_sgpr37
                                        ; implicit-def: $vgpr15
                                        ; implicit-def: $vgpr16
	s_branch .LBB1199_129
.LBB1199_28:
                                        ; implicit-def: $sgpr36_sgpr37
                                        ; implicit-def: $vgpr15
                                        ; implicit-def: $vgpr16
	s_cbranch_execnz .LBB1199_70
	s_branch .LBB1199_128
.LBB1199_29:
	s_or_b64 exec, exec, s[8:9]
	v_cmp_gt_i64_e32 vcc, s[26:27], v[20:21]
	s_orn2_b64 s[10:11], vcc, exec
.LBB1199_30:
	s_or_b64 exec, exec, s[14:15]
.LBB1199_31:
	v_mul_lo_u32 v18, v3, s26
	v_mul_lo_u32 v19, v2, s27
	v_mad_u64_u32 v[16:17], s[6:7], v2, s26, 0
	v_add3_u32 v17, v17, v19, v18
	s_mov_b64 s[14:15], 0
	s_and_b64 vcc, exec, s[4:5]
	v_lshlrev_b64 v[18:19], 1, v[16:17]
	s_mov_b64 s[36:37], 0
	s_cbranch_vccnz .LBB1199_40
; %bb.32:
	v_mov_b32_e32 v17, s17
	v_add_co_u32_e32 v16, vcc, s16, v18
	v_addc_co_u32_e64 v17, s[6:7], v17, v19, vcc
	v_mov_b32_e32 v21, s17
	v_add_co_u32_e64 v20, s[6:7], s16, v14
	v_addc_co_u32_e64 v21, s[8:9], v21, v15, s[6:7]
	global_load_ushort v14, v[20:21], off
	global_load_ushort v28, v[16:17], off
	s_mov_b64 s[36:37], -1
	s_waitcnt vmcnt(1)
	v_lshlrev_b32_e32 v14, 16, v14
	s_waitcnt vmcnt(0)
	v_lshlrev_b32_e32 v17, 16, v28
	v_cmp_eq_f32_e64 s[8:9], v17, v14
	s_and_saveexec_b64 s[38:39], s[8:9]
	s_cbranch_execz .LBB1199_39
; %bb.33:
	v_mov_b32_e32 v14, s17
	v_addc_co_u32_e64 v15, s[6:7], v15, v14, s[6:7]
	v_add_co_u32_e64 v14, s[6:7], 2, v20
	v_mov_b32_e32 v17, s17
	v_addc_co_u32_e64 v15, s[6:7], 0, v15, s[6:7]
	v_addc_co_u32_e32 v17, vcc, v19, v17, vcc
	v_add_co_u32_e32 v16, vcc, 2, v16
	s_add_u32 s6, s26, -1
	v_addc_co_u32_e32 v17, vcc, 0, v17, vcc
	s_addc_u32 s7, s27, -1
	s_mov_b64 s[8:9], 0
	s_mov_b64 s[40:41], 0
                                        ; implicit-def: $sgpr36_sgpr37
	s_branch .LBB1199_36
.LBB1199_34:                            ;   in Loop: Header=BB1199_36 Depth=1
	global_load_ushort v20, v[14:15], off
	global_load_ushort v21, v[16:17], off
	v_add_co_u32_e32 v14, vcc, 2, v14
	v_addc_co_u32_e32 v15, vcc, 0, v15, vcc
	v_add_co_u32_e32 v16, vcc, 2, v16
	v_addc_co_u32_e32 v17, vcc, 0, v17, vcc
	s_add_u32 s40, s40, 1
	s_addc_u32 s41, s41, 0
	s_andn2_b64 s[36:37], s[36:37], exec
	s_waitcnt vmcnt(1)
	v_lshlrev_b32_e32 v20, 16, v20
	s_waitcnt vmcnt(0)
	v_lshlrev_b32_e32 v21, 16, v21
	v_cmp_neq_f32_e32 vcc, v21, v20
	s_and_b64 s[42:43], vcc, exec
	s_or_b64 s[36:37], s[36:37], s[42:43]
.LBB1199_35:                            ;   in Loop: Header=BB1199_36 Depth=1
	s_and_b64 s[42:43], exec, s[36:37]
	s_or_b64 s[8:9], s[42:43], s[8:9]
	v_pk_mov_b32 v[20:21], s[40:41], s[40:41] op_sel:[0,1]
	s_andn2_b64 exec, exec, s[8:9]
	s_cbranch_execz .LBB1199_38
.LBB1199_36:                            ; =>This Inner Loop Header: Depth=1
	s_or_b64 s[36:37], s[36:37], exec
	s_cmp_eq_u64 s[6:7], s[40:41]
	s_cbranch_scc0 .LBB1199_34
; %bb.37:                               ;   in Loop: Header=BB1199_36 Depth=1
                                        ; implicit-def: $vgpr14_vgpr15
                                        ; implicit-def: $vgpr16_vgpr17
	s_mov_b64 s[40:41], s[26:27]
	s_branch .LBB1199_35
.LBB1199_38:
	s_or_b64 exec, exec, s[8:9]
	v_cmp_gt_i64_e32 vcc, s[26:27], v[20:21]
	s_orn2_b64 s[36:37], vcc, exec
.LBB1199_39:
	s_or_b64 exec, exec, s[38:39]
.LBB1199_40:
	v_mul_lo_u32 v16, v9, s26
	v_mul_lo_u32 v17, v8, s27
	v_mad_u64_u32 v[14:15], s[6:7], v8, s26, 0
	v_add3_u32 v15, v15, v17, v16
	s_and_b64 vcc, exec, s[4:5]
	v_lshlrev_b64 v[16:17], 1, v[14:15]
	s_cbranch_vccnz .LBB1199_49
; %bb.41:
	v_mov_b32_e32 v14, s17
	v_add_co_u32_e32 v20, vcc, s16, v16
	v_addc_co_u32_e64 v21, s[6:7], v14, v17, vcc
	v_mov_b32_e32 v15, s17
	v_add_co_u32_e64 v14, s[6:7], s16, v18
	v_addc_co_u32_e64 v15, s[8:9], v15, v19, s[6:7]
	global_load_ushort v18, v[14:15], off
	global_load_ushort v28, v[20:21], off
	s_mov_b64 s[14:15], -1
	s_waitcnt vmcnt(1)
	v_lshlrev_b32_e32 v15, 16, v18
	s_waitcnt vmcnt(0)
	v_lshlrev_b32_e32 v18, 16, v28
	v_cmp_eq_f32_e64 s[8:9], v18, v15
	s_and_saveexec_b64 s[38:39], s[8:9]
	s_cbranch_execz .LBB1199_48
; %bb.42:
	v_mov_b32_e32 v15, s17
	v_addc_co_u32_e64 v15, s[6:7], v19, v15, s[6:7]
	v_add_co_u32_e64 v14, s[6:7], 2, v14
	v_mov_b32_e32 v18, s17
	v_addc_co_u32_e64 v15, s[6:7], 0, v15, s[6:7]
	v_addc_co_u32_e32 v19, vcc, v17, v18, vcc
	v_add_co_u32_e32 v18, vcc, 2, v20
	s_add_u32 s6, s26, -1
	v_addc_co_u32_e32 v19, vcc, 0, v19, vcc
	s_addc_u32 s7, s27, -1
	s_mov_b64 s[8:9], 0
	s_mov_b64 s[40:41], 0
                                        ; implicit-def: $sgpr14_sgpr15
	s_branch .LBB1199_45
.LBB1199_43:                            ;   in Loop: Header=BB1199_45 Depth=1
	global_load_ushort v20, v[14:15], off
	global_load_ushort v21, v[18:19], off
	v_add_co_u32_e32 v14, vcc, 2, v14
	v_addc_co_u32_e32 v15, vcc, 0, v15, vcc
	v_add_co_u32_e32 v18, vcc, 2, v18
	v_addc_co_u32_e32 v19, vcc, 0, v19, vcc
	s_add_u32 s40, s40, 1
	s_addc_u32 s41, s41, 0
	s_andn2_b64 s[14:15], s[14:15], exec
	s_waitcnt vmcnt(1)
	v_lshlrev_b32_e32 v20, 16, v20
	s_waitcnt vmcnt(0)
	v_lshlrev_b32_e32 v21, 16, v21
	v_cmp_neq_f32_e32 vcc, v21, v20
	s_and_b64 s[42:43], vcc, exec
	s_or_b64 s[14:15], s[14:15], s[42:43]
.LBB1199_44:                            ;   in Loop: Header=BB1199_45 Depth=1
	s_and_b64 s[42:43], exec, s[14:15]
	s_or_b64 s[8:9], s[42:43], s[8:9]
	v_pk_mov_b32 v[20:21], s[40:41], s[40:41] op_sel:[0,1]
	s_andn2_b64 exec, exec, s[8:9]
	s_cbranch_execz .LBB1199_47
.LBB1199_45:                            ; =>This Inner Loop Header: Depth=1
	s_or_b64 s[14:15], s[14:15], exec
	s_cmp_eq_u64 s[6:7], s[40:41]
	s_cbranch_scc0 .LBB1199_43
; %bb.46:                               ;   in Loop: Header=BB1199_45 Depth=1
                                        ; implicit-def: $vgpr14_vgpr15
                                        ; implicit-def: $vgpr18_vgpr19
	s_mov_b64 s[40:41], s[26:27]
	s_branch .LBB1199_44
.LBB1199_47:
	s_or_b64 exec, exec, s[8:9]
	v_cmp_gt_i64_e32 vcc, s[26:27], v[20:21]
	s_orn2_b64 s[14:15], vcc, exec
.LBB1199_48:
	s_or_b64 exec, exec, s[38:39]
.LBB1199_49:
	v_mul_lo_u32 v18, v7, s26
	v_mul_lo_u32 v19, v6, s27
	v_mad_u64_u32 v[14:15], s[6:7], v6, s26, 0
	v_add3_u32 v15, v15, v19, v18
	s_mov_b64 s[40:41], 0
	s_and_b64 vcc, exec, s[4:5]
	v_lshlrev_b64 v[14:15], 1, v[14:15]
	s_cbranch_vccnz .LBB1199_58
; %bb.50:
	v_mov_b32_e32 v19, s17
	v_add_co_u32_e32 v18, vcc, s16, v14
	v_addc_co_u32_e64 v19, s[6:7], v19, v15, vcc
	v_mov_b32_e32 v21, s17
	v_add_co_u32_e64 v20, s[6:7], s16, v16
	v_addc_co_u32_e64 v21, s[8:9], v21, v17, s[6:7]
	global_load_ushort v16, v[20:21], off
	global_load_ushort v28, v[18:19], off
	s_mov_b64 s[40:41], -1
	s_waitcnt vmcnt(1)
	v_lshlrev_b32_e32 v16, 16, v16
	s_waitcnt vmcnt(0)
	v_lshlrev_b32_e32 v19, 16, v28
	v_cmp_eq_f32_e64 s[8:9], v19, v16
	s_and_saveexec_b64 s[38:39], s[8:9]
	s_cbranch_execz .LBB1199_57
; %bb.51:
	v_mov_b32_e32 v16, s17
	v_addc_co_u32_e64 v17, s[6:7], v17, v16, s[6:7]
	v_add_co_u32_e64 v16, s[6:7], 2, v20
	v_mov_b32_e32 v19, s17
	v_addc_co_u32_e64 v17, s[6:7], 0, v17, s[6:7]
	v_addc_co_u32_e32 v19, vcc, v15, v19, vcc
	v_add_co_u32_e32 v18, vcc, 2, v18
	s_add_u32 s6, s26, -1
	v_addc_co_u32_e32 v19, vcc, 0, v19, vcc
	s_addc_u32 s7, s27, -1
	s_mov_b64 s[8:9], 0
	s_mov_b64 s[42:43], 0
                                        ; implicit-def: $sgpr40_sgpr41
	s_branch .LBB1199_54
.LBB1199_52:                            ;   in Loop: Header=BB1199_54 Depth=1
	global_load_ushort v20, v[16:17], off
	global_load_ushort v21, v[18:19], off
	v_add_co_u32_e32 v16, vcc, 2, v16
	v_addc_co_u32_e32 v17, vcc, 0, v17, vcc
	v_add_co_u32_e32 v18, vcc, 2, v18
	v_addc_co_u32_e32 v19, vcc, 0, v19, vcc
	s_add_u32 s42, s42, 1
	s_addc_u32 s43, s43, 0
	s_andn2_b64 s[40:41], s[40:41], exec
	s_waitcnt vmcnt(1)
	v_lshlrev_b32_e32 v20, 16, v20
	s_waitcnt vmcnt(0)
	v_lshlrev_b32_e32 v21, 16, v21
	v_cmp_neq_f32_e32 vcc, v21, v20
	s_and_b64 s[44:45], vcc, exec
	s_or_b64 s[40:41], s[40:41], s[44:45]
.LBB1199_53:                            ;   in Loop: Header=BB1199_54 Depth=1
	s_and_b64 s[44:45], exec, s[40:41]
	s_or_b64 s[8:9], s[44:45], s[8:9]
	v_pk_mov_b32 v[20:21], s[42:43], s[42:43] op_sel:[0,1]
	s_andn2_b64 exec, exec, s[8:9]
	s_cbranch_execz .LBB1199_56
.LBB1199_54:                            ; =>This Inner Loop Header: Depth=1
	s_or_b64 s[40:41], s[40:41], exec
	s_cmp_eq_u64 s[6:7], s[42:43]
	s_cbranch_scc0 .LBB1199_52
; %bb.55:                               ;   in Loop: Header=BB1199_54 Depth=1
                                        ; implicit-def: $vgpr16_vgpr17
                                        ; implicit-def: $vgpr18_vgpr19
	s_mov_b64 s[42:43], s[26:27]
	s_branch .LBB1199_53
.LBB1199_56:
	s_or_b64 exec, exec, s[8:9]
	v_cmp_gt_i64_e32 vcc, s[26:27], v[20:21]
	s_orn2_b64 s[40:41], vcc, exec
.LBB1199_57:
	s_or_b64 exec, exec, s[38:39]
.LBB1199_58:
	s_waitcnt vmcnt(0)
	v_pk_mov_b32 v[16:17], v[12:13], v[12:13] op_sel:[0,1]
	s_waitcnt lgkmcnt(0)
	s_barrier
	s_and_saveexec_b64 s[6:7], s[2:3]
	s_cbranch_execz .LBB1199_60
; %bb.59:
	v_add_u32_e32 v16, -8, v27
	ds_read_b64 v[16:17], v16
.LBB1199_60:
	s_or_b64 exec, exec, s[6:7]
	v_cndmask_b32_e64 v19, 0, 1, s[36:37]
	v_cndmask_b32_e64 v18, 0, 1, s[14:15]
	;; [unrolled: 1-line block ×3, first 2 shown]
	v_lshlrev_b16_e32 v19, 8, v19
	v_lshlrev_b16_e32 v28, 8, v20
	v_or_b32_sdwa v29, v18, v19 dst_sel:WORD_1 dst_unused:UNUSED_PAD src0_sel:DWORD src1_sel:DWORD
	s_mov_b64 s[14:15], 0
	s_and_b64 vcc, exec, s[4:5]
	s_mov_b64 s[36:37], 0
	s_cbranch_vccnz .LBB1199_69
; %bb.61:
	s_waitcnt lgkmcnt(0)
	v_mul_lo_u32 v18, v17, s26
	v_mul_lo_u32 v19, v16, s27
	v_mad_u64_u32 v[16:17], s[6:7], v16, s26, 0
	v_add3_u32 v17, v17, v19, v18
	v_lshlrev_b64 v[16:17], 1, v[16:17]
	v_mov_b32_e32 v19, s17
	v_add_co_u32_e32 v18, vcc, s16, v16
	v_addc_co_u32_e64 v19, s[6:7], v19, v17, vcc
	v_mov_b32_e32 v16, s17
	v_add_co_u32_e64 v20, s[6:7], s16, v14
	v_addc_co_u32_e64 v21, s[8:9], v16, v15, s[6:7]
	global_load_ushort v14, v[18:19], off
	global_load_ushort v16, v[20:21], off
	s_mov_b64 s[36:37], -1
	s_waitcnt vmcnt(1)
	v_lshlrev_b32_e32 v14, 16, v14
	s_waitcnt vmcnt(0)
	v_lshlrev_b32_e32 v16, 16, v16
	v_cmp_eq_f32_e64 s[8:9], v14, v16
	s_and_saveexec_b64 s[38:39], s[8:9]
	s_cbranch_execz .LBB1199_68
; %bb.62:
	v_mov_b32_e32 v14, s17
	v_addc_co_u32_e64 v15, s[6:7], v15, v14, s[6:7]
	v_add_co_u32_e64 v14, s[6:7], 2, v20
	v_mov_b32_e32 v16, s17
	v_addc_co_u32_e64 v15, s[6:7], 0, v15, s[6:7]
	v_addc_co_u32_e32 v17, vcc, v17, v16, vcc
	v_add_co_u32_e32 v16, vcc, 2, v18
	s_add_u32 s6, s26, -1
	v_addc_co_u32_e32 v17, vcc, 0, v17, vcc
	s_addc_u32 s7, s27, -1
	s_mov_b64 s[8:9], 0
	s_mov_b64 s[40:41], 0
                                        ; implicit-def: $sgpr36_sgpr37
	s_branch .LBB1199_65
.LBB1199_63:                            ;   in Loop: Header=BB1199_65 Depth=1
	global_load_ushort v18, v[14:15], off
	global_load_ushort v19, v[16:17], off
	v_add_co_u32_e32 v14, vcc, 2, v14
	v_addc_co_u32_e32 v15, vcc, 0, v15, vcc
	v_add_co_u32_e32 v16, vcc, 2, v16
	v_addc_co_u32_e32 v17, vcc, 0, v17, vcc
	s_add_u32 s40, s40, 1
	s_addc_u32 s41, s41, 0
	s_andn2_b64 s[36:37], s[36:37], exec
	s_waitcnt vmcnt(1)
	v_lshlrev_b32_e32 v18, 16, v18
	s_waitcnt vmcnt(0)
	v_lshlrev_b32_e32 v19, 16, v19
	v_cmp_neq_f32_e32 vcc, v19, v18
	s_and_b64 s[42:43], vcc, exec
	s_or_b64 s[36:37], s[36:37], s[42:43]
.LBB1199_64:                            ;   in Loop: Header=BB1199_65 Depth=1
	s_and_b64 s[42:43], exec, s[36:37]
	s_or_b64 s[8:9], s[42:43], s[8:9]
	v_pk_mov_b32 v[18:19], s[40:41], s[40:41] op_sel:[0,1]
	s_andn2_b64 exec, exec, s[8:9]
	s_cbranch_execz .LBB1199_67
.LBB1199_65:                            ; =>This Inner Loop Header: Depth=1
	s_or_b64 s[36:37], s[36:37], exec
	s_cmp_eq_u64 s[6:7], s[40:41]
	s_cbranch_scc0 .LBB1199_63
; %bb.66:                               ;   in Loop: Header=BB1199_65 Depth=1
                                        ; implicit-def: $vgpr14_vgpr15
                                        ; implicit-def: $vgpr16_vgpr17
	s_mov_b64 s[40:41], s[26:27]
	s_branch .LBB1199_64
.LBB1199_67:
	s_or_b64 exec, exec, s[8:9]
	v_cmp_gt_i64_e32 vcc, s[26:27], v[18:19]
	s_orn2_b64 s[36:37], vcc, exec
.LBB1199_68:
	s_or_b64 exec, exec, s[38:39]
.LBB1199_69:
	v_cndmask_b32_e64 v15, 0, 1, s[10:11]
	s_waitcnt lgkmcnt(0)
	v_or_b32_e32 v16, v28, v29
	s_and_b64 vcc, exec, s[14:15]
	s_cbranch_vccz .LBB1199_128
.LBB1199_70:
	v_cmp_gt_u32_e32 vcc, s48, v23
	s_mov_b64 s[14:15], 0
	s_mov_b64 s[10:11], 0
	s_and_saveexec_b64 s[36:37], vcc
	s_cbranch_execz .LBB1199_81
; %bb.71:
	s_and_b64 vcc, exec, s[4:5]
	s_mov_b64 s[38:39], 0
	s_cbranch_vccnz .LBB1199_80
; %bb.72:
	v_mul_lo_u32 v16, v5, s26
	v_mul_lo_u32 v17, v4, s27
	v_mad_u64_u32 v[14:15], s[6:7], v4, s26, 0
	v_add3_u32 v15, v15, v17, v16
	v_mul_lo_u32 v16, v11, s26
	v_mul_lo_u32 v17, v10, s27
	v_mad_u64_u32 v[20:21], s[6:7], v10, s26, 0
	v_add3_u32 v21, v21, v17, v16
	v_lshlrev_b64 v[16:17], 1, v[14:15]
	v_mov_b32_e32 v14, s17
	v_add_co_u32_e32 v18, vcc, s16, v16
	v_addc_co_u32_e64 v19, s[6:7], v14, v17, vcc
	v_lshlrev_b64 v[14:15], 1, v[20:21]
	v_mov_b32_e32 v16, s17
	v_add_co_u32_e64 v20, s[6:7], s16, v14
	v_addc_co_u32_e64 v21, s[8:9], v16, v15, s[6:7]
	global_load_ushort v14, v[20:21], off
	global_load_ushort v16, v[18:19], off
	s_mov_b64 s[38:39], -1
	s_waitcnt vmcnt(1)
	v_lshlrev_b32_e32 v14, 16, v14
	s_waitcnt vmcnt(0)
	v_lshlrev_b32_e32 v16, 16, v16
	v_cmp_eq_f32_e64 s[8:9], v16, v14
	s_and_saveexec_b64 s[10:11], s[8:9]
	s_cbranch_execz .LBB1199_79
; %bb.73:
	v_mov_b32_e32 v14, s17
	v_addc_co_u32_e64 v15, s[6:7], v15, v14, s[6:7]
	v_add_co_u32_e64 v14, s[6:7], 2, v20
	v_mov_b32_e32 v16, s17
	v_addc_co_u32_e64 v15, s[6:7], 0, v15, s[6:7]
	v_addc_co_u32_e32 v17, vcc, v17, v16, vcc
	v_add_co_u32_e32 v16, vcc, 2, v18
	s_add_u32 s6, s26, -1
	v_addc_co_u32_e32 v17, vcc, 0, v17, vcc
	s_addc_u32 s7, s27, -1
	s_mov_b64 s[8:9], 0
	s_mov_b64 s[40:41], 0
                                        ; implicit-def: $sgpr38_sgpr39
	s_branch .LBB1199_76
.LBB1199_74:                            ;   in Loop: Header=BB1199_76 Depth=1
	global_load_ushort v18, v[14:15], off
	global_load_ushort v19, v[16:17], off
	v_add_co_u32_e32 v14, vcc, 2, v14
	v_addc_co_u32_e32 v15, vcc, 0, v15, vcc
	v_add_co_u32_e32 v16, vcc, 2, v16
	v_addc_co_u32_e32 v17, vcc, 0, v17, vcc
	s_add_u32 s40, s40, 1
	s_addc_u32 s41, s41, 0
	s_andn2_b64 s[38:39], s[38:39], exec
	s_waitcnt vmcnt(1)
	v_lshlrev_b32_e32 v18, 16, v18
	s_waitcnt vmcnt(0)
	v_lshlrev_b32_e32 v19, 16, v19
	v_cmp_neq_f32_e32 vcc, v19, v18
	s_and_b64 s[42:43], vcc, exec
	s_or_b64 s[38:39], s[38:39], s[42:43]
.LBB1199_75:                            ;   in Loop: Header=BB1199_76 Depth=1
	s_and_b64 s[42:43], exec, s[38:39]
	s_or_b64 s[8:9], s[42:43], s[8:9]
	v_pk_mov_b32 v[18:19], s[40:41], s[40:41] op_sel:[0,1]
	s_andn2_b64 exec, exec, s[8:9]
	s_cbranch_execz .LBB1199_78
.LBB1199_76:                            ; =>This Inner Loop Header: Depth=1
	s_or_b64 s[38:39], s[38:39], exec
	s_cmp_eq_u64 s[6:7], s[40:41]
	s_cbranch_scc0 .LBB1199_74
; %bb.77:                               ;   in Loop: Header=BB1199_76 Depth=1
                                        ; implicit-def: $vgpr14_vgpr15
                                        ; implicit-def: $vgpr16_vgpr17
	s_mov_b64 s[40:41], s[26:27]
	s_branch .LBB1199_75
.LBB1199_78:
	s_or_b64 exec, exec, s[8:9]
	v_cmp_gt_i64_e32 vcc, s[26:27], v[18:19]
	s_orn2_b64 s[38:39], vcc, exec
.LBB1199_79:
	s_or_b64 exec, exec, s[10:11]
.LBB1199_80:
	s_and_b64 s[10:11], s[38:39], exec
.LBB1199_81:
	s_or_b64 exec, exec, s[36:37]
	v_cmp_gt_u32_e32 vcc, s48, v25
	s_and_saveexec_b64 s[36:37], vcc
	s_cbranch_execz .LBB1199_92
; %bb.82:
	s_and_b64 vcc, exec, s[4:5]
	s_mov_b64 s[38:39], 0
	s_cbranch_vccnz .LBB1199_91
; %bb.83:
	v_mul_lo_u32 v16, v3, s26
	v_mul_lo_u32 v17, v2, s27
	v_mad_u64_u32 v[14:15], s[6:7], v2, s26, 0
	v_add3_u32 v15, v15, v17, v16
	v_mul_lo_u32 v16, v5, s26
	v_mul_lo_u32 v17, v4, s27
	v_mad_u64_u32 v[20:21], s[6:7], v4, s26, 0
	v_add3_u32 v21, v21, v17, v16
	v_lshlrev_b64 v[16:17], 1, v[14:15]
	v_mov_b32_e32 v14, s17
	v_add_co_u32_e32 v18, vcc, s16, v16
	v_addc_co_u32_e64 v19, s[6:7], v14, v17, vcc
	v_lshlrev_b64 v[14:15], 1, v[20:21]
	v_mov_b32_e32 v16, s17
	v_add_co_u32_e64 v20, s[6:7], s16, v14
	v_addc_co_u32_e64 v21, s[8:9], v16, v15, s[6:7]
	global_load_ushort v14, v[20:21], off
	global_load_ushort v16, v[18:19], off
	s_mov_b64 s[38:39], -1
	s_waitcnt vmcnt(1)
	v_lshlrev_b32_e32 v14, 16, v14
	s_waitcnt vmcnt(0)
	v_lshlrev_b32_e32 v16, 16, v16
	v_cmp_eq_f32_e64 s[8:9], v16, v14
	s_and_saveexec_b64 s[14:15], s[8:9]
	s_cbranch_execz .LBB1199_90
; %bb.84:
	v_mov_b32_e32 v14, s17
	v_addc_co_u32_e64 v15, s[6:7], v15, v14, s[6:7]
	v_add_co_u32_e64 v14, s[6:7], 2, v20
	v_mov_b32_e32 v16, s17
	v_addc_co_u32_e64 v15, s[6:7], 0, v15, s[6:7]
	v_addc_co_u32_e32 v17, vcc, v17, v16, vcc
	v_add_co_u32_e32 v16, vcc, 2, v18
	s_add_u32 s6, s26, -1
	v_addc_co_u32_e32 v17, vcc, 0, v17, vcc
	s_addc_u32 s7, s27, -1
	s_mov_b64 s[8:9], 0
	s_mov_b64 s[40:41], 0
                                        ; implicit-def: $sgpr38_sgpr39
	s_branch .LBB1199_87
.LBB1199_85:                            ;   in Loop: Header=BB1199_87 Depth=1
	global_load_ushort v18, v[14:15], off
	global_load_ushort v19, v[16:17], off
	v_add_co_u32_e32 v14, vcc, 2, v14
	v_addc_co_u32_e32 v15, vcc, 0, v15, vcc
	v_add_co_u32_e32 v16, vcc, 2, v16
	v_addc_co_u32_e32 v17, vcc, 0, v17, vcc
	s_add_u32 s40, s40, 1
	s_addc_u32 s41, s41, 0
	s_andn2_b64 s[38:39], s[38:39], exec
	s_waitcnt vmcnt(1)
	v_lshlrev_b32_e32 v18, 16, v18
	s_waitcnt vmcnt(0)
	v_lshlrev_b32_e32 v19, 16, v19
	v_cmp_neq_f32_e32 vcc, v19, v18
	s_and_b64 s[42:43], vcc, exec
	s_or_b64 s[38:39], s[38:39], s[42:43]
.LBB1199_86:                            ;   in Loop: Header=BB1199_87 Depth=1
	s_and_b64 s[42:43], exec, s[38:39]
	s_or_b64 s[8:9], s[42:43], s[8:9]
	v_pk_mov_b32 v[18:19], s[40:41], s[40:41] op_sel:[0,1]
	s_andn2_b64 exec, exec, s[8:9]
	s_cbranch_execz .LBB1199_89
.LBB1199_87:                            ; =>This Inner Loop Header: Depth=1
	s_or_b64 s[38:39], s[38:39], exec
	s_cmp_eq_u64 s[6:7], s[40:41]
	s_cbranch_scc0 .LBB1199_85
; %bb.88:                               ;   in Loop: Header=BB1199_87 Depth=1
                                        ; implicit-def: $vgpr14_vgpr15
                                        ; implicit-def: $vgpr16_vgpr17
	s_mov_b64 s[40:41], s[26:27]
	s_branch .LBB1199_86
.LBB1199_89:
	s_or_b64 exec, exec, s[8:9]
	v_cmp_gt_i64_e32 vcc, s[26:27], v[18:19]
	s_orn2_b64 s[38:39], vcc, exec
.LBB1199_90:
	s_or_b64 exec, exec, s[14:15]
.LBB1199_91:
	s_and_b64 s[14:15], s[38:39], exec
.LBB1199_92:
	s_or_b64 exec, exec, s[36:37]
	v_cmp_gt_u32_e32 vcc, s48, v22
	s_mov_b64 s[36:37], 0
	s_mov_b64 s[38:39], 0
	s_and_saveexec_b64 s[40:41], vcc
	s_cbranch_execz .LBB1199_103
; %bb.93:
	s_and_b64 vcc, exec, s[4:5]
	s_mov_b64 s[42:43], 0
	s_cbranch_vccnz .LBB1199_102
; %bb.94:
	v_mul_lo_u32 v16, v9, s26
	v_mul_lo_u32 v17, v8, s27
	v_mad_u64_u32 v[14:15], s[6:7], v8, s26, 0
	v_add3_u32 v15, v15, v17, v16
	v_mul_lo_u32 v16, v3, s26
	v_mul_lo_u32 v17, v2, s27
	v_mad_u64_u32 v[20:21], s[6:7], v2, s26, 0
	v_add3_u32 v21, v21, v17, v16
	v_lshlrev_b64 v[16:17], 1, v[14:15]
	v_mov_b32_e32 v14, s17
	v_add_co_u32_e32 v18, vcc, s16, v16
	v_addc_co_u32_e64 v19, s[6:7], v14, v17, vcc
	v_lshlrev_b64 v[14:15], 1, v[20:21]
	v_mov_b32_e32 v16, s17
	v_add_co_u32_e64 v20, s[6:7], s16, v14
	v_addc_co_u32_e64 v21, s[8:9], v16, v15, s[6:7]
	global_load_ushort v14, v[20:21], off
	global_load_ushort v16, v[18:19], off
	s_mov_b64 s[42:43], -1
	s_waitcnt vmcnt(1)
	v_lshlrev_b32_e32 v14, 16, v14
	s_waitcnt vmcnt(0)
	v_lshlrev_b32_e32 v16, 16, v16
	v_cmp_eq_f32_e64 s[8:9], v16, v14
	s_and_saveexec_b64 s[38:39], s[8:9]
	s_cbranch_execz .LBB1199_101
; %bb.95:
	v_mov_b32_e32 v14, s17
	v_addc_co_u32_e64 v15, s[6:7], v15, v14, s[6:7]
	v_add_co_u32_e64 v14, s[6:7], 2, v20
	v_mov_b32_e32 v16, s17
	v_addc_co_u32_e64 v15, s[6:7], 0, v15, s[6:7]
	v_addc_co_u32_e32 v17, vcc, v17, v16, vcc
	v_add_co_u32_e32 v16, vcc, 2, v18
	s_add_u32 s6, s26, -1
	v_addc_co_u32_e32 v17, vcc, 0, v17, vcc
	s_addc_u32 s7, s27, -1
	s_mov_b64 s[8:9], 0
	s_mov_b64 s[44:45], 0
                                        ; implicit-def: $sgpr42_sgpr43
	s_branch .LBB1199_98
.LBB1199_96:                            ;   in Loop: Header=BB1199_98 Depth=1
	global_load_ushort v18, v[14:15], off
	global_load_ushort v19, v[16:17], off
	v_add_co_u32_e32 v14, vcc, 2, v14
	v_addc_co_u32_e32 v15, vcc, 0, v15, vcc
	v_add_co_u32_e32 v16, vcc, 2, v16
	v_addc_co_u32_e32 v17, vcc, 0, v17, vcc
	s_add_u32 s44, s44, 1
	s_addc_u32 s45, s45, 0
	s_andn2_b64 s[42:43], s[42:43], exec
	s_waitcnt vmcnt(1)
	v_lshlrev_b32_e32 v18, 16, v18
	s_waitcnt vmcnt(0)
	v_lshlrev_b32_e32 v19, 16, v19
	v_cmp_neq_f32_e32 vcc, v19, v18
	s_and_b64 s[46:47], vcc, exec
	s_or_b64 s[42:43], s[42:43], s[46:47]
.LBB1199_97:                            ;   in Loop: Header=BB1199_98 Depth=1
	s_and_b64 s[46:47], exec, s[42:43]
	s_or_b64 s[8:9], s[46:47], s[8:9]
	v_pk_mov_b32 v[18:19], s[44:45], s[44:45] op_sel:[0,1]
	s_andn2_b64 exec, exec, s[8:9]
	s_cbranch_execz .LBB1199_100
.LBB1199_98:                            ; =>This Inner Loop Header: Depth=1
	s_or_b64 s[42:43], s[42:43], exec
	s_cmp_eq_u64 s[6:7], s[44:45]
	s_cbranch_scc0 .LBB1199_96
; %bb.99:                               ;   in Loop: Header=BB1199_98 Depth=1
                                        ; implicit-def: $vgpr14_vgpr15
                                        ; implicit-def: $vgpr16_vgpr17
	s_mov_b64 s[44:45], s[26:27]
	s_branch .LBB1199_97
.LBB1199_100:
	s_or_b64 exec, exec, s[8:9]
	v_cmp_gt_i64_e32 vcc, s[26:27], v[18:19]
	s_orn2_b64 s[42:43], vcc, exec
.LBB1199_101:
	s_or_b64 exec, exec, s[38:39]
.LBB1199_102:
	s_and_b64 s[38:39], s[42:43], exec
.LBB1199_103:
	s_or_b64 exec, exec, s[40:41]
	v_cmp_gt_u32_e32 vcc, s48, v24
	s_and_saveexec_b64 s[40:41], vcc
	s_cbranch_execz .LBB1199_114
; %bb.104:
	s_and_b64 vcc, exec, s[4:5]
	s_mov_b64 s[42:43], 0
	s_cbranch_vccnz .LBB1199_113
; %bb.105:
	v_mul_lo_u32 v16, v7, s26
	v_mul_lo_u32 v17, v6, s27
	v_mad_u64_u32 v[14:15], s[6:7], v6, s26, 0
	v_add3_u32 v15, v15, v17, v16
	v_mul_lo_u32 v16, v9, s26
	v_mul_lo_u32 v17, v8, s27
	v_mad_u64_u32 v[20:21], s[6:7], v8, s26, 0
	v_add3_u32 v21, v21, v17, v16
	v_lshlrev_b64 v[16:17], 1, v[14:15]
	v_mov_b32_e32 v14, s17
	v_add_co_u32_e32 v18, vcc, s16, v16
	v_addc_co_u32_e64 v19, s[6:7], v14, v17, vcc
	v_lshlrev_b64 v[14:15], 1, v[20:21]
	v_mov_b32_e32 v16, s17
	v_add_co_u32_e64 v20, s[6:7], s16, v14
	v_addc_co_u32_e64 v21, s[8:9], v16, v15, s[6:7]
	global_load_ushort v14, v[20:21], off
	global_load_ushort v16, v[18:19], off
	s_mov_b64 s[42:43], -1
	s_waitcnt vmcnt(1)
	v_lshlrev_b32_e32 v14, 16, v14
	s_waitcnt vmcnt(0)
	v_lshlrev_b32_e32 v16, 16, v16
	v_cmp_eq_f32_e64 s[8:9], v16, v14
	s_and_saveexec_b64 s[36:37], s[8:9]
	s_cbranch_execz .LBB1199_112
; %bb.106:
	v_mov_b32_e32 v14, s17
	v_addc_co_u32_e64 v15, s[6:7], v15, v14, s[6:7]
	v_add_co_u32_e64 v14, s[6:7], 2, v20
	v_mov_b32_e32 v16, s17
	v_addc_co_u32_e64 v15, s[6:7], 0, v15, s[6:7]
	v_addc_co_u32_e32 v17, vcc, v17, v16, vcc
	v_add_co_u32_e32 v16, vcc, 2, v18
	s_add_u32 s6, s26, -1
	v_addc_co_u32_e32 v17, vcc, 0, v17, vcc
	s_addc_u32 s7, s27, -1
	s_mov_b64 s[8:9], 0
	s_mov_b64 s[44:45], 0
                                        ; implicit-def: $sgpr42_sgpr43
	s_branch .LBB1199_109
.LBB1199_107:                           ;   in Loop: Header=BB1199_109 Depth=1
	global_load_ushort v18, v[14:15], off
	global_load_ushort v19, v[16:17], off
	v_add_co_u32_e32 v14, vcc, 2, v14
	v_addc_co_u32_e32 v15, vcc, 0, v15, vcc
	v_add_co_u32_e32 v16, vcc, 2, v16
	v_addc_co_u32_e32 v17, vcc, 0, v17, vcc
	s_add_u32 s44, s44, 1
	s_addc_u32 s45, s45, 0
	s_andn2_b64 s[42:43], s[42:43], exec
	s_waitcnt vmcnt(1)
	v_lshlrev_b32_e32 v18, 16, v18
	s_waitcnt vmcnt(0)
	v_lshlrev_b32_e32 v19, 16, v19
	v_cmp_neq_f32_e32 vcc, v19, v18
	s_and_b64 s[46:47], vcc, exec
	s_or_b64 s[42:43], s[42:43], s[46:47]
.LBB1199_108:                           ;   in Loop: Header=BB1199_109 Depth=1
	s_and_b64 s[46:47], exec, s[42:43]
	s_or_b64 s[8:9], s[46:47], s[8:9]
	v_pk_mov_b32 v[18:19], s[44:45], s[44:45] op_sel:[0,1]
	s_andn2_b64 exec, exec, s[8:9]
	s_cbranch_execz .LBB1199_111
.LBB1199_109:                           ; =>This Inner Loop Header: Depth=1
	s_or_b64 s[42:43], s[42:43], exec
	s_cmp_eq_u64 s[6:7], s[44:45]
	s_cbranch_scc0 .LBB1199_107
; %bb.110:                              ;   in Loop: Header=BB1199_109 Depth=1
                                        ; implicit-def: $vgpr14_vgpr15
                                        ; implicit-def: $vgpr16_vgpr17
	s_mov_b64 s[44:45], s[26:27]
	s_branch .LBB1199_108
.LBB1199_111:
	s_or_b64 exec, exec, s[8:9]
	v_cmp_gt_i64_e32 vcc, s[26:27], v[18:19]
	s_orn2_b64 s[42:43], vcc, exec
.LBB1199_112:
	s_or_b64 exec, exec, s[36:37]
.LBB1199_113:
	s_and_b64 s[36:37], s[42:43], exec
.LBB1199_114:
	s_or_b64 exec, exec, s[40:41]
	s_waitcnt lgkmcnt(0)
	s_barrier
	s_and_saveexec_b64 s[6:7], s[2:3]
	s_cbranch_execz .LBB1199_116
; %bb.115:
	s_waitcnt vmcnt(0)
	v_add_u32_e32 v12, -8, v27
	ds_read_b64 v[12:13], v12
.LBB1199_116:
	s_or_b64 exec, exec, s[6:7]
	v_cndmask_b32_e64 v15, 0, 1, s[14:15]
	v_cndmask_b32_e64 v14, 0, 1, s[38:39]
	;; [unrolled: 1-line block ×3, first 2 shown]
	v_lshlrev_b16_e32 v15, 8, v15
	v_cmp_gt_u32_e32 vcc, s48, v1
	v_lshlrev_b16_e32 v20, 8, v16
	v_or_b32_sdwa v21, v14, v15 dst_sel:WORD_1 dst_unused:UNUSED_PAD src0_sel:DWORD src1_sel:DWORD
	s_mov_b64 s[36:37], 0
	s_and_saveexec_b64 s[8:9], vcc
	s_cbranch_execz .LBB1199_127
; %bb.117:
	s_and_b64 vcc, exec, s[4:5]
	s_cbranch_vccnz .LBB1199_126
; %bb.118:
	s_waitcnt vmcnt(0) lgkmcnt(0)
	v_mul_lo_u32 v14, v13, s26
	v_mul_lo_u32 v15, v12, s27
	v_mad_u64_u32 v[12:13], s[4:5], v12, s26, 0
	v_add3_u32 v13, v13, v15, v14
	v_mul_lo_u32 v14, v7, s26
	v_mul_lo_u32 v15, v6, s27
	v_mad_u64_u32 v[18:19], s[4:5], v6, s26, 0
	v_add3_u32 v19, v19, v15, v14
	v_lshlrev_b64 v[14:15], 1, v[12:13]
	v_mov_b32_e32 v12, s17
	v_add_co_u32_e32 v16, vcc, s16, v14
	v_addc_co_u32_e64 v17, s[4:5], v12, v15, vcc
	v_lshlrev_b64 v[12:13], 1, v[18:19]
	v_mov_b32_e32 v14, s17
	v_add_co_u32_e64 v18, s[4:5], s16, v12
	v_addc_co_u32_e64 v19, s[6:7], v14, v13, s[4:5]
	global_load_ushort v12, v[18:19], off
	global_load_ushort v14, v[16:17], off
	s_mov_b64 s[36:37], -1
	s_waitcnt vmcnt(1)
	v_lshlrev_b32_e32 v12, 16, v12
	s_waitcnt vmcnt(0)
	v_lshlrev_b32_e32 v14, 16, v14
	v_cmp_eq_f32_e64 s[6:7], v14, v12
	s_and_saveexec_b64 s[14:15], s[6:7]
	s_cbranch_execz .LBB1199_125
; %bb.119:
	v_mov_b32_e32 v12, s17
	v_addc_co_u32_e64 v13, s[4:5], v13, v12, s[4:5]
	v_add_co_u32_e64 v12, s[4:5], 2, v18
	v_mov_b32_e32 v14, s17
	v_addc_co_u32_e64 v13, s[4:5], 0, v13, s[4:5]
	v_addc_co_u32_e32 v15, vcc, v15, v14, vcc
	v_add_co_u32_e32 v14, vcc, 2, v16
	s_add_u32 s4, s26, -1
	v_addc_co_u32_e32 v15, vcc, 0, v15, vcc
	s_addc_u32 s5, s27, -1
	s_mov_b64 s[6:7], 0
	s_mov_b64 s[38:39], 0
                                        ; implicit-def: $sgpr36_sgpr37
	s_branch .LBB1199_122
.LBB1199_120:                           ;   in Loop: Header=BB1199_122 Depth=1
	global_load_ushort v16, v[12:13], off
	global_load_ushort v17, v[14:15], off
	v_add_co_u32_e32 v12, vcc, 2, v12
	v_addc_co_u32_e32 v13, vcc, 0, v13, vcc
	v_add_co_u32_e32 v14, vcc, 2, v14
	v_addc_co_u32_e32 v15, vcc, 0, v15, vcc
	s_add_u32 s38, s38, 1
	s_addc_u32 s39, s39, 0
	s_andn2_b64 s[36:37], s[36:37], exec
	s_waitcnt vmcnt(1)
	v_lshlrev_b32_e32 v16, 16, v16
	s_waitcnt vmcnt(0)
	v_lshlrev_b32_e32 v17, 16, v17
	v_cmp_neq_f32_e32 vcc, v17, v16
	s_and_b64 s[40:41], vcc, exec
	s_or_b64 s[36:37], s[36:37], s[40:41]
.LBB1199_121:                           ;   in Loop: Header=BB1199_122 Depth=1
	s_and_b64 s[40:41], exec, s[36:37]
	s_or_b64 s[6:7], s[40:41], s[6:7]
	v_pk_mov_b32 v[16:17], s[38:39], s[38:39] op_sel:[0,1]
	s_andn2_b64 exec, exec, s[6:7]
	s_cbranch_execz .LBB1199_124
.LBB1199_122:                           ; =>This Inner Loop Header: Depth=1
	s_or_b64 s[36:37], s[36:37], exec
	s_cmp_eq_u64 s[4:5], s[38:39]
	s_cbranch_scc0 .LBB1199_120
; %bb.123:                              ;   in Loop: Header=BB1199_122 Depth=1
                                        ; implicit-def: $vgpr12_vgpr13
                                        ; implicit-def: $vgpr14_vgpr15
	s_mov_b64 s[38:39], s[26:27]
	s_branch .LBB1199_121
.LBB1199_124:
	s_or_b64 exec, exec, s[6:7]
	v_cmp_gt_i64_e32 vcc, s[26:27], v[16:17]
	s_orn2_b64 s[36:37], vcc, exec
.LBB1199_125:
	s_or_b64 exec, exec, s[14:15]
.LBB1199_126:
	s_and_b64 s[36:37], s[36:37], exec
.LBB1199_127:
	s_or_b64 exec, exec, s[8:9]
	v_cndmask_b32_e64 v15, 0, 1, s[10:11]
	v_or_b32_e32 v16, v20, v21
.LBB1199_128:
	s_mov_b64 s[14:15], -1
	s_cbranch_execnz .LBB1199_237
.LBB1199_129:
	s_waitcnt vmcnt(0) lgkmcnt(0)
	v_lshlrev_b32_e32 v12, 5, v0
	v_sub_u32_e32 v26, v26, v12
	s_mov_b64 s[36:37], 0
	v_cmp_gt_i64_e64 s[10:11], s[26:27], 0
	s_and_b64 vcc, exec, s[30:31]
	ds_write_b64 v26, v[10:11]
	s_cbranch_vccz .LBB1199_137
; %bb.130:
	v_mul_lo_u32 v14, v5, s26
	v_mul_lo_u32 v15, v4, s27
	v_mad_u64_u32 v[12:13], s[4:5], v4, s26, 0
	v_add3_u32 v13, v13, v15, v14
	v_cndmask_b32_e64 v14, 0, 1, s[10:11]
	v_cmp_ne_u32_e64 s[4:5], 1, v14
	s_andn2_b64 vcc, exec, s[10:11]
	v_lshlrev_b64 v[12:13], 1, v[12:13]
	s_cbranch_vccnz .LBB1199_140
; %bb.131:
	v_mul_lo_u32 v16, v11, s26
	v_mul_lo_u32 v17, v10, s27
	v_mad_u64_u32 v[14:15], s[6:7], v10, s26, 0
	v_add3_u32 v15, v15, v17, v16
	v_mov_b32_e32 v17, s17
	v_add_co_u32_e32 v16, vcc, s16, v12
	v_addc_co_u32_e64 v17, s[6:7], v17, v13, vcc
	v_lshlrev_b64 v[14:15], 1, v[14:15]
	v_mov_b32_e32 v19, s17
	v_add_co_u32_e64 v18, s[6:7], s16, v14
	v_addc_co_u32_e64 v19, s[8:9], v19, v15, s[6:7]
	global_load_ushort v14, v[18:19], off
	global_load_ushort v20, v[16:17], off
	s_mov_b64 s[36:37], -1
	s_waitcnt vmcnt(1)
	v_lshlrev_b32_e32 v14, 16, v14
	s_waitcnt vmcnt(0)
	v_lshlrev_b32_e32 v17, 16, v20
	v_cmp_eq_f32_e64 s[8:9], v17, v14
	s_and_saveexec_b64 s[38:39], s[8:9]
	s_cbranch_execz .LBB1199_139
; %bb.132:
	v_mov_b32_e32 v14, s17
	v_addc_co_u32_e64 v15, s[6:7], v15, v14, s[6:7]
	v_add_co_u32_e64 v14, s[6:7], 2, v18
	v_mov_b32_e32 v17, s17
	v_addc_co_u32_e64 v15, s[6:7], 0, v15, s[6:7]
	v_addc_co_u32_e32 v17, vcc, v13, v17, vcc
	v_add_co_u32_e32 v16, vcc, 2, v16
	s_add_u32 s6, s26, -1
	v_addc_co_u32_e32 v17, vcc, 0, v17, vcc
	s_addc_u32 s7, s27, -1
	s_mov_b64 s[8:9], 0
	s_mov_b64 s[40:41], 0
                                        ; implicit-def: $sgpr36_sgpr37
	s_branch .LBB1199_135
.LBB1199_133:                           ;   in Loop: Header=BB1199_135 Depth=1
	global_load_ushort v18, v[14:15], off
	global_load_ushort v19, v[16:17], off
	v_add_co_u32_e32 v14, vcc, 2, v14
	v_addc_co_u32_e32 v15, vcc, 0, v15, vcc
	v_add_co_u32_e32 v16, vcc, 2, v16
	v_addc_co_u32_e32 v17, vcc, 0, v17, vcc
	s_add_u32 s40, s40, 1
	s_addc_u32 s41, s41, 0
	s_andn2_b64 s[36:37], s[36:37], exec
	s_waitcnt vmcnt(1)
	v_lshlrev_b32_e32 v18, 16, v18
	s_waitcnt vmcnt(0)
	v_lshlrev_b32_e32 v19, 16, v19
	v_cmp_neq_f32_e32 vcc, v19, v18
	s_and_b64 s[42:43], vcc, exec
	s_or_b64 s[36:37], s[36:37], s[42:43]
.LBB1199_134:                           ;   in Loop: Header=BB1199_135 Depth=1
	s_and_b64 s[42:43], exec, s[36:37]
	s_or_b64 s[8:9], s[42:43], s[8:9]
	v_pk_mov_b32 v[18:19], s[40:41], s[40:41] op_sel:[0,1]
	s_andn2_b64 exec, exec, s[8:9]
	s_cbranch_execz .LBB1199_138
.LBB1199_135:                           ; =>This Inner Loop Header: Depth=1
	s_or_b64 s[36:37], s[36:37], exec
	s_cmp_eq_u64 s[6:7], s[40:41]
	s_cbranch_scc0 .LBB1199_133
; %bb.136:                              ;   in Loop: Header=BB1199_135 Depth=1
                                        ; implicit-def: $vgpr14_vgpr15
                                        ; implicit-def: $vgpr16_vgpr17
	s_mov_b64 s[40:41], s[26:27]
	s_branch .LBB1199_134
.LBB1199_137:
                                        ; implicit-def: $sgpr36_sgpr37
                                        ; implicit-def: $vgpr15
                                        ; implicit-def: $vgpr16
	s_cbranch_execnz .LBB1199_179
	s_branch .LBB1199_237
.LBB1199_138:
	s_or_b64 exec, exec, s[8:9]
	v_cmp_gt_i64_e32 vcc, s[26:27], v[18:19]
	s_orn2_b64 s[36:37], vcc, exec
.LBB1199_139:
	s_or_b64 exec, exec, s[38:39]
.LBB1199_140:
	v_mul_lo_u32 v16, v3, s26
	v_mul_lo_u32 v17, v2, s27
	v_mad_u64_u32 v[14:15], s[6:7], v2, s26, 0
	v_add3_u32 v15, v15, v17, v16
	s_mov_b64 s[38:39], 0
	s_and_b64 vcc, exec, s[4:5]
	v_lshlrev_b64 v[16:17], 1, v[14:15]
	s_mov_b64 s[40:41], 0
	s_cbranch_vccnz .LBB1199_149
; %bb.141:
	v_mov_b32_e32 v15, s17
	v_add_co_u32_e32 v14, vcc, s16, v16
	v_addc_co_u32_e64 v15, s[6:7], v15, v17, vcc
	v_mov_b32_e32 v19, s17
	v_add_co_u32_e64 v18, s[6:7], s16, v12
	v_addc_co_u32_e64 v19, s[8:9], v19, v13, s[6:7]
	global_load_ushort v12, v[18:19], off
	global_load_ushort v20, v[14:15], off
	s_mov_b64 s[40:41], -1
	s_waitcnt vmcnt(1)
	v_lshlrev_b32_e32 v12, 16, v12
	s_waitcnt vmcnt(0)
	v_lshlrev_b32_e32 v15, 16, v20
	v_cmp_eq_f32_e64 s[8:9], v15, v12
	s_and_saveexec_b64 s[42:43], s[8:9]
	s_cbranch_execz .LBB1199_148
; %bb.142:
	v_mov_b32_e32 v12, s17
	v_addc_co_u32_e64 v13, s[6:7], v13, v12, s[6:7]
	v_add_co_u32_e64 v12, s[6:7], 2, v18
	v_mov_b32_e32 v15, s17
	v_addc_co_u32_e64 v13, s[6:7], 0, v13, s[6:7]
	v_addc_co_u32_e32 v15, vcc, v17, v15, vcc
	v_add_co_u32_e32 v14, vcc, 2, v14
	s_add_u32 s6, s26, -1
	v_addc_co_u32_e32 v15, vcc, 0, v15, vcc
	s_addc_u32 s7, s27, -1
	s_mov_b64 s[8:9], 0
	s_mov_b64 s[44:45], 0
                                        ; implicit-def: $sgpr40_sgpr41
	s_branch .LBB1199_145
.LBB1199_143:                           ;   in Loop: Header=BB1199_145 Depth=1
	global_load_ushort v18, v[12:13], off
	global_load_ushort v19, v[14:15], off
	v_add_co_u32_e32 v12, vcc, 2, v12
	v_addc_co_u32_e32 v13, vcc, 0, v13, vcc
	v_add_co_u32_e32 v14, vcc, 2, v14
	v_addc_co_u32_e32 v15, vcc, 0, v15, vcc
	s_add_u32 s44, s44, 1
	s_addc_u32 s45, s45, 0
	s_andn2_b64 s[40:41], s[40:41], exec
	s_waitcnt vmcnt(1)
	v_lshlrev_b32_e32 v18, 16, v18
	s_waitcnt vmcnt(0)
	v_lshlrev_b32_e32 v19, 16, v19
	v_cmp_neq_f32_e32 vcc, v19, v18
	s_and_b64 s[46:47], vcc, exec
	s_or_b64 s[40:41], s[40:41], s[46:47]
.LBB1199_144:                           ;   in Loop: Header=BB1199_145 Depth=1
	s_and_b64 s[46:47], exec, s[40:41]
	s_or_b64 s[8:9], s[46:47], s[8:9]
	v_pk_mov_b32 v[18:19], s[44:45], s[44:45] op_sel:[0,1]
	s_andn2_b64 exec, exec, s[8:9]
	s_cbranch_execz .LBB1199_147
.LBB1199_145:                           ; =>This Inner Loop Header: Depth=1
	s_or_b64 s[40:41], s[40:41], exec
	s_cmp_eq_u64 s[6:7], s[44:45]
	s_cbranch_scc0 .LBB1199_143
; %bb.146:                              ;   in Loop: Header=BB1199_145 Depth=1
                                        ; implicit-def: $vgpr12_vgpr13
                                        ; implicit-def: $vgpr14_vgpr15
	s_mov_b64 s[44:45], s[26:27]
	s_branch .LBB1199_144
.LBB1199_147:
	s_or_b64 exec, exec, s[8:9]
	v_cmp_gt_i64_e32 vcc, s[26:27], v[18:19]
	s_orn2_b64 s[40:41], vcc, exec
.LBB1199_148:
	s_or_b64 exec, exec, s[42:43]
.LBB1199_149:
	v_mul_lo_u32 v14, v9, s26
	v_mul_lo_u32 v15, v8, s27
	v_mad_u64_u32 v[12:13], s[6:7], v8, s26, 0
	v_add3_u32 v13, v13, v15, v14
	s_and_b64 vcc, exec, s[4:5]
	v_lshlrev_b64 v[14:15], 1, v[12:13]
	s_cbranch_vccnz .LBB1199_158
; %bb.150:
	v_mov_b32_e32 v12, s17
	v_add_co_u32_e32 v18, vcc, s16, v14
	v_addc_co_u32_e64 v19, s[6:7], v12, v15, vcc
	v_mov_b32_e32 v13, s17
	v_add_co_u32_e64 v12, s[6:7], s16, v16
	v_addc_co_u32_e64 v13, s[8:9], v13, v17, s[6:7]
	global_load_ushort v16, v[12:13], off
	global_load_ushort v20, v[18:19], off
	s_mov_b64 s[38:39], -1
	s_waitcnt vmcnt(1)
	v_lshlrev_b32_e32 v13, 16, v16
	s_waitcnt vmcnt(0)
	v_lshlrev_b32_e32 v16, 16, v20
	v_cmp_eq_f32_e64 s[8:9], v16, v13
	s_and_saveexec_b64 s[42:43], s[8:9]
	s_cbranch_execz .LBB1199_157
; %bb.151:
	v_mov_b32_e32 v13, s17
	v_addc_co_u32_e64 v13, s[6:7], v17, v13, s[6:7]
	v_add_co_u32_e64 v12, s[6:7], 2, v12
	v_mov_b32_e32 v16, s17
	v_addc_co_u32_e64 v13, s[6:7], 0, v13, s[6:7]
	v_addc_co_u32_e32 v17, vcc, v15, v16, vcc
	v_add_co_u32_e32 v16, vcc, 2, v18
	s_add_u32 s6, s26, -1
	v_addc_co_u32_e32 v17, vcc, 0, v17, vcc
	s_addc_u32 s7, s27, -1
	s_mov_b64 s[8:9], 0
	s_mov_b64 s[44:45], 0
                                        ; implicit-def: $sgpr38_sgpr39
	s_branch .LBB1199_154
.LBB1199_152:                           ;   in Loop: Header=BB1199_154 Depth=1
	global_load_ushort v18, v[12:13], off
	global_load_ushort v19, v[16:17], off
	v_add_co_u32_e32 v12, vcc, 2, v12
	v_addc_co_u32_e32 v13, vcc, 0, v13, vcc
	v_add_co_u32_e32 v16, vcc, 2, v16
	v_addc_co_u32_e32 v17, vcc, 0, v17, vcc
	s_add_u32 s44, s44, 1
	s_addc_u32 s45, s45, 0
	s_andn2_b64 s[38:39], s[38:39], exec
	s_waitcnt vmcnt(1)
	v_lshlrev_b32_e32 v18, 16, v18
	s_waitcnt vmcnt(0)
	v_lshlrev_b32_e32 v19, 16, v19
	v_cmp_neq_f32_e32 vcc, v19, v18
	s_and_b64 s[46:47], vcc, exec
	s_or_b64 s[38:39], s[38:39], s[46:47]
.LBB1199_153:                           ;   in Loop: Header=BB1199_154 Depth=1
	s_and_b64 s[46:47], exec, s[38:39]
	s_or_b64 s[8:9], s[46:47], s[8:9]
	v_pk_mov_b32 v[18:19], s[44:45], s[44:45] op_sel:[0,1]
	s_andn2_b64 exec, exec, s[8:9]
	s_cbranch_execz .LBB1199_156
.LBB1199_154:                           ; =>This Inner Loop Header: Depth=1
	s_or_b64 s[38:39], s[38:39], exec
	s_cmp_eq_u64 s[6:7], s[44:45]
	s_cbranch_scc0 .LBB1199_152
; %bb.155:                              ;   in Loop: Header=BB1199_154 Depth=1
                                        ; implicit-def: $vgpr12_vgpr13
                                        ; implicit-def: $vgpr16_vgpr17
	s_mov_b64 s[44:45], s[26:27]
	s_branch .LBB1199_153
.LBB1199_156:
	s_or_b64 exec, exec, s[8:9]
	v_cmp_gt_i64_e32 vcc, s[26:27], v[18:19]
	s_orn2_b64 s[38:39], vcc, exec
.LBB1199_157:
	s_or_b64 exec, exec, s[42:43]
.LBB1199_158:
	v_mul_lo_u32 v16, v7, s26
	v_mul_lo_u32 v17, v6, s27
	v_mad_u64_u32 v[12:13], s[6:7], v6, s26, 0
	v_add3_u32 v13, v13, v17, v16
	s_and_b64 vcc, exec, s[4:5]
	s_mov_b64 s[44:45], 0
	s_cbranch_vccnz .LBB1199_167
; %bb.159:
	v_lshlrev_b64 v[16:17], 1, v[12:13]
	v_mov_b32_e32 v19, s17
	v_add_co_u32_e32 v18, vcc, s16, v16
	v_addc_co_u32_e64 v19, s[6:7], v19, v17, vcc
	v_mov_b32_e32 v16, s17
	v_add_co_u32_e64 v20, s[6:7], s16, v14
	v_addc_co_u32_e64 v21, s[8:9], v16, v15, s[6:7]
	global_load_ushort v14, v[20:21], off
	global_load_ushort v16, v[18:19], off
	s_mov_b64 s[44:45], -1
	s_waitcnt vmcnt(1)
	v_lshlrev_b32_e32 v14, 16, v14
	s_waitcnt vmcnt(0)
	v_lshlrev_b32_e32 v16, 16, v16
	v_cmp_eq_f32_e64 s[8:9], v16, v14
	s_and_saveexec_b64 s[42:43], s[8:9]
	s_cbranch_execz .LBB1199_166
; %bb.160:
	v_mov_b32_e32 v14, s17
	v_addc_co_u32_e64 v15, s[6:7], v15, v14, s[6:7]
	v_add_co_u32_e64 v14, s[6:7], 2, v20
	v_mov_b32_e32 v16, s17
	v_addc_co_u32_e64 v15, s[6:7], 0, v15, s[6:7]
	v_addc_co_u32_e32 v17, vcc, v17, v16, vcc
	v_add_co_u32_e32 v16, vcc, 2, v18
	s_add_u32 s6, s26, -1
	v_addc_co_u32_e32 v17, vcc, 0, v17, vcc
	s_addc_u32 s7, s27, -1
	s_mov_b64 s[8:9], 0
	s_mov_b64 s[46:47], 0
                                        ; implicit-def: $sgpr44_sgpr45
	s_branch .LBB1199_163
.LBB1199_161:                           ;   in Loop: Header=BB1199_163 Depth=1
	global_load_ushort v18, v[14:15], off
	global_load_ushort v19, v[16:17], off
	v_add_co_u32_e32 v14, vcc, 2, v14
	v_addc_co_u32_e32 v15, vcc, 0, v15, vcc
	v_add_co_u32_e32 v16, vcc, 2, v16
	v_addc_co_u32_e32 v17, vcc, 0, v17, vcc
	s_add_u32 s46, s46, 1
	s_addc_u32 s47, s47, 0
	s_andn2_b64 s[44:45], s[44:45], exec
	s_waitcnt vmcnt(1)
	v_lshlrev_b32_e32 v18, 16, v18
	s_waitcnt vmcnt(0)
	v_lshlrev_b32_e32 v19, 16, v19
	v_cmp_neq_f32_e32 vcc, v19, v18
	s_and_b64 s[50:51], vcc, exec
	s_or_b64 s[44:45], s[44:45], s[50:51]
.LBB1199_162:                           ;   in Loop: Header=BB1199_163 Depth=1
	s_and_b64 s[50:51], exec, s[44:45]
	s_or_b64 s[8:9], s[50:51], s[8:9]
	v_pk_mov_b32 v[18:19], s[46:47], s[46:47] op_sel:[0,1]
	s_andn2_b64 exec, exec, s[8:9]
	s_cbranch_execz .LBB1199_165
.LBB1199_163:                           ; =>This Inner Loop Header: Depth=1
	s_or_b64 s[44:45], s[44:45], exec
	s_cmp_eq_u64 s[6:7], s[46:47]
	s_cbranch_scc0 .LBB1199_161
; %bb.164:                              ;   in Loop: Header=BB1199_163 Depth=1
                                        ; implicit-def: $vgpr14_vgpr15
                                        ; implicit-def: $vgpr16_vgpr17
	s_mov_b64 s[46:47], s[26:27]
	s_branch .LBB1199_162
.LBB1199_165:
	s_or_b64 exec, exec, s[8:9]
	v_cmp_gt_i64_e32 vcc, s[26:27], v[18:19]
	s_orn2_b64 s[44:45], vcc, exec
.LBB1199_166:
	s_or_b64 exec, exec, s[42:43]
.LBB1199_167:
	v_cndmask_b32_e64 v15, 0, 1, s[40:41]
	v_cndmask_b32_e64 v16, 0, 1, s[44:45]
	;; [unrolled: 1-line block ×3, first 2 shown]
	v_lshlrev_b16_e32 v16, 8, v16
	v_lshlrev_b16_e32 v15, 8, v15
	v_or_b32_e32 v16, 1, v16
	v_or_b32_sdwa v14, v14, v15 dst_sel:WORD_1 dst_unused:UNUSED_PAD src0_sel:DWORD src1_sel:DWORD
	v_or_b32_sdwa v14, v16, v14 dst_sel:DWORD dst_unused:UNUSED_PAD src0_sel:WORD_0 src1_sel:DWORD
	v_cndmask_b32_e64 v15, 0, 1, s[36:37]
	s_waitcnt lgkmcnt(0)
	s_barrier
	s_waitcnt lgkmcnt(0)
                                        ; implicit-def: $sgpr36_sgpr37
                                        ; implicit-def: $vgpr16
	s_and_saveexec_b64 s[6:7], s[2:3]
	s_xor_b64 s[8:9], exec, s[6:7]
	s_cbranch_execz .LBB1199_178
; %bb.168:
	s_mov_b32 s42, 0x3020104
	s_and_b64 vcc, exec, s[4:5]
	s_mov_b64 s[38:39], 0
	s_cbranch_vccnz .LBB1199_177
; %bb.169:
	v_add_u32_e32 v16, -8, v26
	ds_read_b64 v[16:17], v16
	v_mov_b32_e32 v19, s17
	v_lshlrev_b64 v[12:13], 1, v[12:13]
	s_mov_b64 s[38:39], -1
	s_waitcnt lgkmcnt(0)
	v_mul_lo_u32 v18, v17, s26
	v_mul_lo_u32 v20, v16, s27
	v_mad_u64_u32 v[16:17], s[4:5], v16, s26, 0
	v_add3_u32 v17, v17, v20, v18
	v_lshlrev_b64 v[16:17], 1, v[16:17]
	v_add_co_u32_e32 v18, vcc, s16, v16
	v_addc_co_u32_e64 v19, s[4:5], v19, v17, vcc
	v_mov_b32_e32 v16, s17
	v_add_co_u32_e64 v20, s[4:5], s16, v12
	v_addc_co_u32_e64 v21, s[6:7], v16, v13, s[4:5]
	global_load_ushort v12, v[18:19], off
	global_load_ushort v16, v[20:21], off
	s_waitcnt vmcnt(1)
	v_lshlrev_b32_e32 v12, 16, v12
	s_waitcnt vmcnt(0)
	v_lshlrev_b32_e32 v16, 16, v16
	v_cmp_eq_f32_e64 s[6:7], v12, v16
	s_and_saveexec_b64 s[36:37], s[6:7]
	s_cbranch_execz .LBB1199_176
; %bb.170:
	v_mov_b32_e32 v12, s17
	v_addc_co_u32_e64 v13, s[4:5], v13, v12, s[4:5]
	v_add_co_u32_e64 v12, s[4:5], 2, v20
	v_mov_b32_e32 v16, s17
	v_addc_co_u32_e64 v13, s[4:5], 0, v13, s[4:5]
	v_addc_co_u32_e32 v17, vcc, v17, v16, vcc
	v_add_co_u32_e32 v16, vcc, 2, v18
	s_add_u32 s4, s26, -1
	v_addc_co_u32_e32 v17, vcc, 0, v17, vcc
	s_addc_u32 s5, s27, -1
	s_mov_b64 s[6:7], 0
	s_mov_b64 s[40:41], 0
                                        ; implicit-def: $sgpr38_sgpr39
	s_branch .LBB1199_173
.LBB1199_171:                           ;   in Loop: Header=BB1199_173 Depth=1
	global_load_ushort v18, v[12:13], off
	global_load_ushort v19, v[16:17], off
	v_add_co_u32_e32 v12, vcc, 2, v12
	v_addc_co_u32_e32 v13, vcc, 0, v13, vcc
	v_add_co_u32_e32 v16, vcc, 2, v16
	v_addc_co_u32_e32 v17, vcc, 0, v17, vcc
	s_add_u32 s40, s40, 1
	s_addc_u32 s41, s41, 0
	s_andn2_b64 s[38:39], s[38:39], exec
	s_waitcnt vmcnt(1)
	v_lshlrev_b32_e32 v18, 16, v18
	s_waitcnt vmcnt(0)
	v_lshlrev_b32_e32 v19, 16, v19
	v_cmp_neq_f32_e32 vcc, v19, v18
	s_and_b64 s[44:45], vcc, exec
	s_or_b64 s[38:39], s[38:39], s[44:45]
.LBB1199_172:                           ;   in Loop: Header=BB1199_173 Depth=1
	s_and_b64 s[44:45], exec, s[38:39]
	s_or_b64 s[6:7], s[44:45], s[6:7]
	v_pk_mov_b32 v[18:19], s[40:41], s[40:41] op_sel:[0,1]
	s_andn2_b64 exec, exec, s[6:7]
	s_cbranch_execz .LBB1199_175
.LBB1199_173:                           ; =>This Inner Loop Header: Depth=1
	s_or_b64 s[38:39], s[38:39], exec
	s_cmp_eq_u64 s[4:5], s[40:41]
	s_cbranch_scc0 .LBB1199_171
; %bb.174:                              ;   in Loop: Header=BB1199_173 Depth=1
                                        ; implicit-def: $vgpr12_vgpr13
                                        ; implicit-def: $vgpr16_vgpr17
	s_mov_b64 s[40:41], s[26:27]
	s_branch .LBB1199_172
.LBB1199_175:
	s_or_b64 exec, exec, s[6:7]
	v_cmp_gt_i64_e32 vcc, s[26:27], v[18:19]
	s_orn2_b64 s[38:39], vcc, exec
.LBB1199_176:
	s_or_b64 exec, exec, s[36:37]
.LBB1199_177:
	v_perm_b32 v16, v14, v14, s42
	s_and_b64 s[36:37], s[38:39], exec
	s_or_b64 s[14:15], s[14:15], exec
.LBB1199_178:
	s_or_b64 exec, exec, s[8:9]
	s_branch .LBB1199_237
.LBB1199_179:
	v_cmp_gt_u32_e32 vcc, s48, v23
	s_mov_b64 s[36:37], 0
	s_mov_b64 s[8:9], 0
	s_and_saveexec_b64 s[38:39], vcc
	s_cbranch_execz .LBB1199_190
; %bb.180:
	s_andn2_b64 vcc, exec, s[10:11]
	s_mov_b64 s[40:41], 0
	s_cbranch_vccnz .LBB1199_189
; %bb.181:
	v_mul_lo_u32 v14, v5, s26
	v_mul_lo_u32 v15, v4, s27
	v_mad_u64_u32 v[12:13], s[4:5], v4, s26, 0
	v_add3_u32 v13, v13, v15, v14
	v_mul_lo_u32 v14, v11, s26
	v_mul_lo_u32 v15, v10, s27
	v_mad_u64_u32 v[18:19], s[4:5], v10, s26, 0
	v_add3_u32 v19, v19, v15, v14
	v_lshlrev_b64 v[14:15], 1, v[12:13]
	v_mov_b32_e32 v12, s17
	v_add_co_u32_e32 v16, vcc, s16, v14
	v_addc_co_u32_e64 v17, s[4:5], v12, v15, vcc
	v_lshlrev_b64 v[12:13], 1, v[18:19]
	v_mov_b32_e32 v14, s17
	v_add_co_u32_e64 v18, s[4:5], s16, v12
	v_addc_co_u32_e64 v19, s[6:7], v14, v13, s[4:5]
	global_load_ushort v12, v[18:19], off
	global_load_ushort v14, v[16:17], off
	s_mov_b64 s[40:41], -1
	s_waitcnt vmcnt(1)
	v_lshlrev_b32_e32 v12, 16, v12
	s_waitcnt vmcnt(0)
	v_lshlrev_b32_e32 v14, 16, v14
	v_cmp_eq_f32_e64 s[6:7], v14, v12
	s_and_saveexec_b64 s[8:9], s[6:7]
	s_cbranch_execz .LBB1199_188
; %bb.182:
	v_mov_b32_e32 v12, s17
	v_addc_co_u32_e64 v13, s[4:5], v13, v12, s[4:5]
	v_add_co_u32_e64 v12, s[4:5], 2, v18
	v_mov_b32_e32 v14, s17
	v_addc_co_u32_e64 v13, s[4:5], 0, v13, s[4:5]
	v_addc_co_u32_e32 v15, vcc, v15, v14, vcc
	v_add_co_u32_e32 v14, vcc, 2, v16
	s_add_u32 s4, s26, -1
	v_addc_co_u32_e32 v15, vcc, 0, v15, vcc
	s_addc_u32 s5, s27, -1
	s_mov_b64 s[6:7], 0
	s_mov_b64 s[42:43], 0
                                        ; implicit-def: $sgpr40_sgpr41
	s_branch .LBB1199_185
.LBB1199_183:                           ;   in Loop: Header=BB1199_185 Depth=1
	global_load_ushort v16, v[12:13], off
	global_load_ushort v17, v[14:15], off
	v_add_co_u32_e32 v12, vcc, 2, v12
	v_addc_co_u32_e32 v13, vcc, 0, v13, vcc
	v_add_co_u32_e32 v14, vcc, 2, v14
	v_addc_co_u32_e32 v15, vcc, 0, v15, vcc
	s_add_u32 s42, s42, 1
	s_addc_u32 s43, s43, 0
	s_andn2_b64 s[40:41], s[40:41], exec
	s_waitcnt vmcnt(1)
	v_lshlrev_b32_e32 v16, 16, v16
	s_waitcnt vmcnt(0)
	v_lshlrev_b32_e32 v17, 16, v17
	v_cmp_neq_f32_e32 vcc, v17, v16
	s_and_b64 s[44:45], vcc, exec
	s_or_b64 s[40:41], s[40:41], s[44:45]
.LBB1199_184:                           ;   in Loop: Header=BB1199_185 Depth=1
	s_and_b64 s[44:45], exec, s[40:41]
	s_or_b64 s[6:7], s[44:45], s[6:7]
	v_pk_mov_b32 v[16:17], s[42:43], s[42:43] op_sel:[0,1]
	s_andn2_b64 exec, exec, s[6:7]
	s_cbranch_execz .LBB1199_187
.LBB1199_185:                           ; =>This Inner Loop Header: Depth=1
	s_or_b64 s[40:41], s[40:41], exec
	s_cmp_eq_u64 s[4:5], s[42:43]
	s_cbranch_scc0 .LBB1199_183
; %bb.186:                              ;   in Loop: Header=BB1199_185 Depth=1
                                        ; implicit-def: $vgpr12_vgpr13
                                        ; implicit-def: $vgpr14_vgpr15
	s_mov_b64 s[42:43], s[26:27]
	s_branch .LBB1199_184
.LBB1199_187:
	s_or_b64 exec, exec, s[6:7]
	v_cmp_gt_i64_e32 vcc, s[26:27], v[16:17]
	s_orn2_b64 s[40:41], vcc, exec
.LBB1199_188:
	s_or_b64 exec, exec, s[8:9]
.LBB1199_189:
	s_and_b64 s[8:9], s[40:41], exec
.LBB1199_190:
	s_or_b64 exec, exec, s[38:39]
	v_cmp_gt_u32_e32 vcc, s48, v25
	s_and_saveexec_b64 s[38:39], vcc
	s_cbranch_execz .LBB1199_201
; %bb.191:
	s_andn2_b64 vcc, exec, s[10:11]
	s_mov_b64 s[40:41], 0
	s_cbranch_vccnz .LBB1199_200
; %bb.192:
	v_mul_lo_u32 v14, v3, s26
	v_mul_lo_u32 v15, v2, s27
	v_mad_u64_u32 v[12:13], s[4:5], v2, s26, 0
	v_add3_u32 v13, v13, v15, v14
	v_mul_lo_u32 v14, v5, s26
	v_mul_lo_u32 v15, v4, s27
	v_mad_u64_u32 v[18:19], s[4:5], v4, s26, 0
	v_add3_u32 v19, v19, v15, v14
	v_lshlrev_b64 v[14:15], 1, v[12:13]
	v_mov_b32_e32 v12, s17
	v_add_co_u32_e32 v16, vcc, s16, v14
	v_addc_co_u32_e64 v17, s[4:5], v12, v15, vcc
	v_lshlrev_b64 v[12:13], 1, v[18:19]
	v_mov_b32_e32 v14, s17
	v_add_co_u32_e64 v18, s[4:5], s16, v12
	v_addc_co_u32_e64 v19, s[6:7], v14, v13, s[4:5]
	global_load_ushort v12, v[18:19], off
	global_load_ushort v14, v[16:17], off
	s_mov_b64 s[40:41], -1
	s_waitcnt vmcnt(1)
	v_lshlrev_b32_e32 v12, 16, v12
	s_waitcnt vmcnt(0)
	v_lshlrev_b32_e32 v14, 16, v14
	v_cmp_eq_f32_e64 s[6:7], v14, v12
	s_and_saveexec_b64 s[36:37], s[6:7]
	s_cbranch_execz .LBB1199_199
; %bb.193:
	v_mov_b32_e32 v12, s17
	v_addc_co_u32_e64 v13, s[4:5], v13, v12, s[4:5]
	v_add_co_u32_e64 v12, s[4:5], 2, v18
	v_mov_b32_e32 v14, s17
	v_addc_co_u32_e64 v13, s[4:5], 0, v13, s[4:5]
	v_addc_co_u32_e32 v15, vcc, v15, v14, vcc
	v_add_co_u32_e32 v14, vcc, 2, v16
	s_add_u32 s4, s26, -1
	v_addc_co_u32_e32 v15, vcc, 0, v15, vcc
	s_addc_u32 s5, s27, -1
	s_mov_b64 s[6:7], 0
	s_mov_b64 s[42:43], 0
                                        ; implicit-def: $sgpr40_sgpr41
	s_branch .LBB1199_196
.LBB1199_194:                           ;   in Loop: Header=BB1199_196 Depth=1
	global_load_ushort v16, v[12:13], off
	global_load_ushort v17, v[14:15], off
	v_add_co_u32_e32 v12, vcc, 2, v12
	v_addc_co_u32_e32 v13, vcc, 0, v13, vcc
	v_add_co_u32_e32 v14, vcc, 2, v14
	v_addc_co_u32_e32 v15, vcc, 0, v15, vcc
	s_add_u32 s42, s42, 1
	s_addc_u32 s43, s43, 0
	s_andn2_b64 s[40:41], s[40:41], exec
	s_waitcnt vmcnt(1)
	v_lshlrev_b32_e32 v16, 16, v16
	s_waitcnt vmcnt(0)
	v_lshlrev_b32_e32 v17, 16, v17
	v_cmp_neq_f32_e32 vcc, v17, v16
	s_and_b64 s[44:45], vcc, exec
	s_or_b64 s[40:41], s[40:41], s[44:45]
.LBB1199_195:                           ;   in Loop: Header=BB1199_196 Depth=1
	s_and_b64 s[44:45], exec, s[40:41]
	s_or_b64 s[6:7], s[44:45], s[6:7]
	v_pk_mov_b32 v[16:17], s[42:43], s[42:43] op_sel:[0,1]
	s_andn2_b64 exec, exec, s[6:7]
	s_cbranch_execz .LBB1199_198
.LBB1199_196:                           ; =>This Inner Loop Header: Depth=1
	s_or_b64 s[40:41], s[40:41], exec
	s_cmp_eq_u64 s[4:5], s[42:43]
	s_cbranch_scc0 .LBB1199_194
; %bb.197:                              ;   in Loop: Header=BB1199_196 Depth=1
                                        ; implicit-def: $vgpr12_vgpr13
                                        ; implicit-def: $vgpr14_vgpr15
	s_mov_b64 s[42:43], s[26:27]
	s_branch .LBB1199_195
.LBB1199_198:
	s_or_b64 exec, exec, s[6:7]
	v_cmp_gt_i64_e32 vcc, s[26:27], v[16:17]
	s_orn2_b64 s[40:41], vcc, exec
.LBB1199_199:
	s_or_b64 exec, exec, s[36:37]
.LBB1199_200:
	s_and_b64 s[36:37], s[40:41], exec
.LBB1199_201:
	s_or_b64 exec, exec, s[38:39]
	v_cmp_gt_u32_e32 vcc, s48, v22
	s_mov_b64 s[38:39], 0
	s_mov_b64 s[40:41], 0
	s_and_saveexec_b64 s[42:43], vcc
	s_cbranch_execz .LBB1199_212
; %bb.202:
	s_andn2_b64 vcc, exec, s[10:11]
	s_mov_b64 s[44:45], 0
	s_cbranch_vccnz .LBB1199_211
; %bb.203:
	v_mul_lo_u32 v14, v9, s26
	v_mul_lo_u32 v15, v8, s27
	v_mad_u64_u32 v[12:13], s[4:5], v8, s26, 0
	v_add3_u32 v13, v13, v15, v14
	v_mul_lo_u32 v14, v3, s26
	v_mul_lo_u32 v15, v2, s27
	v_mad_u64_u32 v[18:19], s[4:5], v2, s26, 0
	v_add3_u32 v19, v19, v15, v14
	v_lshlrev_b64 v[14:15], 1, v[12:13]
	v_mov_b32_e32 v12, s17
	v_add_co_u32_e32 v16, vcc, s16, v14
	v_addc_co_u32_e64 v17, s[4:5], v12, v15, vcc
	v_lshlrev_b64 v[12:13], 1, v[18:19]
	v_mov_b32_e32 v14, s17
	v_add_co_u32_e64 v18, s[4:5], s16, v12
	v_addc_co_u32_e64 v19, s[6:7], v14, v13, s[4:5]
	global_load_ushort v12, v[18:19], off
	global_load_ushort v14, v[16:17], off
	s_mov_b64 s[44:45], -1
	s_waitcnt vmcnt(1)
	v_lshlrev_b32_e32 v12, 16, v12
	s_waitcnt vmcnt(0)
	v_lshlrev_b32_e32 v14, 16, v14
	v_cmp_eq_f32_e64 s[6:7], v14, v12
	s_and_saveexec_b64 s[40:41], s[6:7]
	s_cbranch_execz .LBB1199_210
; %bb.204:
	v_mov_b32_e32 v12, s17
	v_addc_co_u32_e64 v13, s[4:5], v13, v12, s[4:5]
	v_add_co_u32_e64 v12, s[4:5], 2, v18
	v_mov_b32_e32 v14, s17
	v_addc_co_u32_e64 v13, s[4:5], 0, v13, s[4:5]
	v_addc_co_u32_e32 v15, vcc, v15, v14, vcc
	v_add_co_u32_e32 v14, vcc, 2, v16
	s_add_u32 s4, s26, -1
	v_addc_co_u32_e32 v15, vcc, 0, v15, vcc
	s_addc_u32 s5, s27, -1
	s_mov_b64 s[6:7], 0
	s_mov_b64 s[46:47], 0
                                        ; implicit-def: $sgpr44_sgpr45
	s_branch .LBB1199_207
.LBB1199_205:                           ;   in Loop: Header=BB1199_207 Depth=1
	global_load_ushort v16, v[12:13], off
	global_load_ushort v17, v[14:15], off
	v_add_co_u32_e32 v12, vcc, 2, v12
	v_addc_co_u32_e32 v13, vcc, 0, v13, vcc
	v_add_co_u32_e32 v14, vcc, 2, v14
	v_addc_co_u32_e32 v15, vcc, 0, v15, vcc
	s_add_u32 s46, s46, 1
	s_addc_u32 s47, s47, 0
	s_andn2_b64 s[44:45], s[44:45], exec
	s_waitcnt vmcnt(1)
	v_lshlrev_b32_e32 v16, 16, v16
	s_waitcnt vmcnt(0)
	v_lshlrev_b32_e32 v17, 16, v17
	v_cmp_neq_f32_e32 vcc, v17, v16
	s_and_b64 s[50:51], vcc, exec
	s_or_b64 s[44:45], s[44:45], s[50:51]
.LBB1199_206:                           ;   in Loop: Header=BB1199_207 Depth=1
	s_and_b64 s[50:51], exec, s[44:45]
	s_or_b64 s[6:7], s[50:51], s[6:7]
	v_pk_mov_b32 v[16:17], s[46:47], s[46:47] op_sel:[0,1]
	s_andn2_b64 exec, exec, s[6:7]
	s_cbranch_execz .LBB1199_209
.LBB1199_207:                           ; =>This Inner Loop Header: Depth=1
	s_or_b64 s[44:45], s[44:45], exec
	s_cmp_eq_u64 s[4:5], s[46:47]
	s_cbranch_scc0 .LBB1199_205
; %bb.208:                              ;   in Loop: Header=BB1199_207 Depth=1
                                        ; implicit-def: $vgpr12_vgpr13
                                        ; implicit-def: $vgpr14_vgpr15
	s_mov_b64 s[46:47], s[26:27]
	s_branch .LBB1199_206
.LBB1199_209:
	s_or_b64 exec, exec, s[6:7]
	v_cmp_gt_i64_e32 vcc, s[26:27], v[16:17]
	s_orn2_b64 s[44:45], vcc, exec
.LBB1199_210:
	s_or_b64 exec, exec, s[40:41]
.LBB1199_211:
	s_and_b64 s[40:41], s[44:45], exec
.LBB1199_212:
	s_or_b64 exec, exec, s[42:43]
	v_cmp_gt_u32_e32 vcc, s48, v24
	s_and_saveexec_b64 s[42:43], vcc
	s_cbranch_execz .LBB1199_223
; %bb.213:
	s_andn2_b64 vcc, exec, s[10:11]
	s_mov_b64 s[44:45], 0
	s_cbranch_vccnz .LBB1199_222
; %bb.214:
	v_mul_lo_u32 v14, v7, s26
	v_mul_lo_u32 v15, v6, s27
	v_mad_u64_u32 v[12:13], s[4:5], v6, s26, 0
	v_add3_u32 v13, v13, v15, v14
	v_mul_lo_u32 v14, v9, s26
	v_mul_lo_u32 v15, v8, s27
	v_mad_u64_u32 v[18:19], s[4:5], v8, s26, 0
	v_add3_u32 v19, v19, v15, v14
	v_lshlrev_b64 v[14:15], 1, v[12:13]
	v_mov_b32_e32 v12, s17
	v_add_co_u32_e32 v16, vcc, s16, v14
	v_addc_co_u32_e64 v17, s[4:5], v12, v15, vcc
	v_lshlrev_b64 v[12:13], 1, v[18:19]
	v_mov_b32_e32 v14, s17
	v_add_co_u32_e64 v18, s[4:5], s16, v12
	v_addc_co_u32_e64 v19, s[6:7], v14, v13, s[4:5]
	global_load_ushort v12, v[18:19], off
	global_load_ushort v14, v[16:17], off
	s_mov_b64 s[44:45], -1
	s_waitcnt vmcnt(1)
	v_lshlrev_b32_e32 v12, 16, v12
	s_waitcnt vmcnt(0)
	v_lshlrev_b32_e32 v14, 16, v14
	v_cmp_eq_f32_e64 s[6:7], v14, v12
	s_and_saveexec_b64 s[38:39], s[6:7]
	s_cbranch_execz .LBB1199_221
; %bb.215:
	v_mov_b32_e32 v12, s17
	v_addc_co_u32_e64 v13, s[4:5], v13, v12, s[4:5]
	v_add_co_u32_e64 v12, s[4:5], 2, v18
	v_mov_b32_e32 v14, s17
	v_addc_co_u32_e64 v13, s[4:5], 0, v13, s[4:5]
	v_addc_co_u32_e32 v15, vcc, v15, v14, vcc
	v_add_co_u32_e32 v14, vcc, 2, v16
	s_add_u32 s4, s26, -1
	v_addc_co_u32_e32 v15, vcc, 0, v15, vcc
	s_addc_u32 s5, s27, -1
	s_mov_b64 s[6:7], 0
	s_mov_b64 s[46:47], 0
                                        ; implicit-def: $sgpr44_sgpr45
	s_branch .LBB1199_218
.LBB1199_216:                           ;   in Loop: Header=BB1199_218 Depth=1
	global_load_ushort v16, v[12:13], off
	global_load_ushort v17, v[14:15], off
	v_add_co_u32_e32 v12, vcc, 2, v12
	v_addc_co_u32_e32 v13, vcc, 0, v13, vcc
	v_add_co_u32_e32 v14, vcc, 2, v14
	v_addc_co_u32_e32 v15, vcc, 0, v15, vcc
	s_add_u32 s46, s46, 1
	s_addc_u32 s47, s47, 0
	s_andn2_b64 s[44:45], s[44:45], exec
	s_waitcnt vmcnt(1)
	v_lshlrev_b32_e32 v16, 16, v16
	s_waitcnt vmcnt(0)
	v_lshlrev_b32_e32 v17, 16, v17
	v_cmp_neq_f32_e32 vcc, v17, v16
	s_and_b64 s[50:51], vcc, exec
	s_or_b64 s[44:45], s[44:45], s[50:51]
.LBB1199_217:                           ;   in Loop: Header=BB1199_218 Depth=1
	s_and_b64 s[50:51], exec, s[44:45]
	s_or_b64 s[6:7], s[50:51], s[6:7]
	v_pk_mov_b32 v[16:17], s[46:47], s[46:47] op_sel:[0,1]
	s_andn2_b64 exec, exec, s[6:7]
	s_cbranch_execz .LBB1199_220
.LBB1199_218:                           ; =>This Inner Loop Header: Depth=1
	s_or_b64 s[44:45], s[44:45], exec
	s_cmp_eq_u64 s[4:5], s[46:47]
	s_cbranch_scc0 .LBB1199_216
; %bb.219:                              ;   in Loop: Header=BB1199_218 Depth=1
                                        ; implicit-def: $vgpr12_vgpr13
                                        ; implicit-def: $vgpr14_vgpr15
	s_mov_b64 s[46:47], s[26:27]
	s_branch .LBB1199_217
.LBB1199_220:
	s_or_b64 exec, exec, s[6:7]
	v_cmp_gt_i64_e32 vcc, s[26:27], v[16:17]
	s_orn2_b64 s[44:45], vcc, exec
.LBB1199_221:
	s_or_b64 exec, exec, s[38:39]
.LBB1199_222:
	s_and_b64 s[38:39], s[44:45], exec
.LBB1199_223:
	s_or_b64 exec, exec, s[42:43]
	v_cndmask_b32_e64 v13, 0, 1, s[36:37]
	v_cndmask_b32_e64 v14, 0, 1, s[38:39]
	;; [unrolled: 1-line block ×3, first 2 shown]
	v_lshlrev_b16_e32 v14, 8, v14
	v_lshlrev_b16_e32 v13, 8, v13
	v_or_b32_e32 v14, 1, v14
	v_or_b32_sdwa v12, v12, v13 dst_sel:WORD_1 dst_unused:UNUSED_PAD src0_sel:DWORD src1_sel:DWORD
	v_or_b32_sdwa v14, v14, v12 dst_sel:DWORD dst_unused:UNUSED_PAD src0_sel:WORD_0 src1_sel:DWORD
	v_cndmask_b32_e64 v15, 0, 1, s[8:9]
	s_waitcnt lgkmcnt(0)
	s_barrier
	s_waitcnt lgkmcnt(0)
                                        ; implicit-def: $sgpr36_sgpr37
                                        ; implicit-def: $vgpr16
	s_and_saveexec_b64 s[6:7], s[2:3]
	s_cbranch_execz .LBB1199_236
; %bb.224:
	v_cmp_gt_u32_e32 vcc, s48, v1
	s_mov_b32 s38, 0x3020104
	s_mov_b64 s[2:3], 0
	s_and_saveexec_b64 s[8:9], vcc
	s_cbranch_execz .LBB1199_235
; %bb.225:
	s_andn2_b64 vcc, exec, s[10:11]
	s_mov_b64 s[36:37], 0
	s_cbranch_vccnz .LBB1199_234
; %bb.226:
	v_add_u32_e32 v12, -8, v26
	ds_read_b64 v[12:13], v12
	v_mul_lo_u32 v16, v7, s26
	v_mad_u64_u32 v[20:21], s[2:3], v6, s26, 0
	s_mov_b64 s[36:37], -1
	s_waitcnt lgkmcnt(0)
	v_mul_lo_u32 v17, v13, s26
	v_mul_lo_u32 v18, v12, s27
	v_mad_u64_u32 v[12:13], s[2:3], v12, s26, 0
	v_add3_u32 v13, v13, v18, v17
	v_mul_lo_u32 v17, v6, s27
	v_add3_u32 v21, v21, v17, v16
	v_lshlrev_b64 v[16:17], 1, v[12:13]
	v_mov_b32_e32 v12, s17
	v_add_co_u32_e32 v18, vcc, s16, v16
	v_addc_co_u32_e64 v19, s[2:3], v12, v17, vcc
	v_lshlrev_b64 v[12:13], 1, v[20:21]
	v_mov_b32_e32 v16, s17
	v_add_co_u32_e64 v20, s[2:3], s16, v12
	v_addc_co_u32_e64 v21, s[4:5], v16, v13, s[2:3]
	global_load_ushort v12, v[20:21], off
	global_load_ushort v16, v[18:19], off
	s_waitcnt vmcnt(1)
	v_lshlrev_b32_e32 v12, 16, v12
	s_waitcnt vmcnt(0)
	v_lshlrev_b32_e32 v16, 16, v16
	v_cmp_eq_f32_e64 s[4:5], v16, v12
	s_and_saveexec_b64 s[10:11], s[4:5]
	s_cbranch_execz .LBB1199_233
; %bb.227:
	v_mov_b32_e32 v12, s17
	v_addc_co_u32_e64 v13, s[2:3], v13, v12, s[2:3]
	v_add_co_u32_e64 v12, s[2:3], 2, v20
	v_mov_b32_e32 v16, s17
	v_addc_co_u32_e64 v13, s[2:3], 0, v13, s[2:3]
	v_addc_co_u32_e32 v17, vcc, v17, v16, vcc
	v_add_co_u32_e32 v16, vcc, 2, v18
	s_add_u32 s2, s26, -1
	v_addc_co_u32_e32 v17, vcc, 0, v17, vcc
	s_addc_u32 s3, s27, -1
	s_mov_b64 s[4:5], 0
	s_mov_b64 s[36:37], 0
                                        ; implicit-def: $sgpr16_sgpr17
	s_branch .LBB1199_230
.LBB1199_228:                           ;   in Loop: Header=BB1199_230 Depth=1
	global_load_ushort v18, v[12:13], off
	global_load_ushort v19, v[16:17], off
	v_add_co_u32_e32 v12, vcc, 2, v12
	v_addc_co_u32_e32 v13, vcc, 0, v13, vcc
	v_add_co_u32_e32 v16, vcc, 2, v16
	v_addc_co_u32_e32 v17, vcc, 0, v17, vcc
	s_add_u32 s36, s36, 1
	s_addc_u32 s37, s37, 0
	s_andn2_b64 s[16:17], s[16:17], exec
	s_waitcnt vmcnt(1)
	v_lshlrev_b32_e32 v18, 16, v18
	s_waitcnt vmcnt(0)
	v_lshlrev_b32_e32 v19, 16, v19
	v_cmp_neq_f32_e32 vcc, v19, v18
	s_and_b64 s[40:41], vcc, exec
	s_or_b64 s[16:17], s[16:17], s[40:41]
.LBB1199_229:                           ;   in Loop: Header=BB1199_230 Depth=1
	s_and_b64 s[40:41], exec, s[16:17]
	s_or_b64 s[4:5], s[40:41], s[4:5]
	v_pk_mov_b32 v[18:19], s[36:37], s[36:37] op_sel:[0,1]
	s_andn2_b64 exec, exec, s[4:5]
	s_cbranch_execz .LBB1199_232
.LBB1199_230:                           ; =>This Inner Loop Header: Depth=1
	s_or_b64 s[16:17], s[16:17], exec
	s_cmp_eq_u64 s[2:3], s[36:37]
	s_cbranch_scc0 .LBB1199_228
; %bb.231:                              ;   in Loop: Header=BB1199_230 Depth=1
                                        ; implicit-def: $vgpr12_vgpr13
                                        ; implicit-def: $vgpr16_vgpr17
	s_mov_b64 s[36:37], s[26:27]
	s_branch .LBB1199_229
.LBB1199_232:
	s_or_b64 exec, exec, s[4:5]
	v_cmp_gt_i64_e32 vcc, s[26:27], v[18:19]
	s_orn2_b64 s[36:37], vcc, exec
.LBB1199_233:
	s_or_b64 exec, exec, s[10:11]
.LBB1199_234:
	s_and_b64 s[2:3], s[36:37], exec
.LBB1199_235:
	s_or_b64 exec, exec, s[8:9]
	v_perm_b32 v16, v14, v14, s38
	s_and_b64 s[36:37], s[2:3], exec
	s_or_b64 s[14:15], s[14:15], exec
.LBB1199_236:
	s_or_b64 exec, exec, s[6:7]
.LBB1199_237:
	s_and_saveexec_b64 s[2:3], s[14:15]
	s_cbranch_execz .LBB1199_239
; %bb.238:
	s_waitcnt vmcnt(0) lgkmcnt(0)
	v_lshrrev_b32_e32 v13, 24, v16
	s_movk_i32 s4, 0xff
	v_lshlrev_b16_e32 v13, 8, v13
	v_and_b32_sdwa v14, v16, s4 dst_sel:DWORD dst_unused:UNUSED_PAD src0_sel:WORD_1 src1_sel:DWORD
	v_or_b32_sdwa v13, v14, v13 dst_sel:WORD_1 dst_unused:UNUSED_PAD src0_sel:DWORD src1_sel:DWORD
	v_mov_b32_e32 v14, 8
	v_cndmask_b32_e64 v12, 0, 1, s[36:37]
	v_lshrrev_b32_sdwa v14, v14, v16 dst_sel:BYTE_1 dst_unused:UNUSED_PAD src0_sel:DWORD src1_sel:DWORD
	v_or_b32_e32 v12, v12, v14
	s_mov_b32 s4, 0xffff
	v_or_b32_sdwa v14, v12, v13 dst_sel:DWORD dst_unused:UNUSED_PAD src0_sel:WORD_0 src1_sel:DWORD
	v_and_b32_sdwa v15, s4, v15 dst_sel:DWORD dst_unused:UNUSED_PAD src0_sel:DWORD src1_sel:BYTE_0
.LBB1199_239:
	s_or_b64 exec, exec, s[2:3]
	s_andn2_b64 vcc, exec, s[12:13]
	s_cbranch_vccnz .LBB1199_241
; %bb.240:
	v_cmp_gt_u32_e32 vcc, s48, v1
	v_cndmask_b32_e32 v1, 0, v14, vcc
	v_and_b32_e32 v1, 0xffff00ff, v1
	v_cmp_gt_u32_e64 s[2:3], s48, v24
	v_cndmask_b32_e64 v1, v1, v14, s[2:3]
	s_waitcnt vmcnt(0) lgkmcnt(0)
	v_lshrrev_b32_e32 v12, 24, v1
	s_mov_b32 s4, 0x40c0100
	v_perm_b32 v1, v12, v1, s4
	v_cmp_gt_u32_e64 s[4:5], s48, v22
	v_cmp_gt_u32_e64 s[6:7], s48, v25
	v_cndmask_b32_e64 v1, v1, v14, s[4:5]
	s_or_b64 s[4:5], s[6:7], s[4:5]
	s_or_b64 s[2:3], s[4:5], s[2:3]
	s_or_b64 vcc, s[2:3], vcc
	v_and_b32_e32 v1, 0xffffff, v1
	v_cndmask_b32_e32 v12, 0, v15, vcc
	v_cndmask_b32_e64 v1, v1, v14, s[6:7]
	v_and_b32_e32 v12, 0xffffff00, v12
	v_cmp_gt_u32_e32 vcc, s48, v23
	v_cndmask_b32_e32 v1, v1, v14, vcc
	v_cndmask_b32_e32 v12, v12, v15, vcc
	s_mov_b32 s2, 0x3020104
	v_and_b32_e32 v15, 0xff, v12
	v_perm_b32 v14, v1, v1, s2
.LBB1199_241:
	v_and_b32_e32 v1, 0xff, v14
	v_bfe_u32 v25, v14, 8, 8
	v_bfe_u32 v27, v14, 16, 8
	s_waitcnt vmcnt(0) lgkmcnt(0)
	v_alignbit_b32 v12, v15, v14, 24
	v_and_b32_e32 v28, 0xff, v12
	v_and_b32_e32 v12, 0xff, v15
	v_add3_u32 v13, v25, v1, v27
	v_add3_u32 v31, v13, v28, v12
	v_mbcnt_lo_u32_b32 v12, -1, 0
	v_mbcnt_hi_u32_b32 v29, -1, v12
	v_and_b32_e32 v12, 15, v29
	v_cmp_eq_u32_e64 s[14:15], 0, v12
	v_cmp_lt_u32_e64 s[12:13], 1, v12
	v_cmp_lt_u32_e64 s[10:11], 3, v12
	;; [unrolled: 1-line block ×3, first 2 shown]
	v_and_b32_e32 v12, 16, v29
	v_cmp_eq_u32_e64 s[6:7], 0, v12
	v_or_b32_e32 v12, 63, v0
	v_cmp_lt_u32_e64 s[2:3], 31, v29
	v_lshrrev_b32_e32 v30, 6, v0
	v_cmp_eq_u32_e64 s[4:5], v12, v0
	s_and_b64 vcc, exec, s[34:35]
	s_barrier
	s_cbranch_vccz .LBB1199_268
; %bb.242:
	v_mov_b32_dpp v12, v31 row_shr:1 row_mask:0xf bank_mask:0xf
	v_cndmask_b32_e64 v12, v12, 0, s[14:15]
	v_add_u32_e32 v12, v12, v31
	s_nop 1
	v_mov_b32_dpp v13, v12 row_shr:2 row_mask:0xf bank_mask:0xf
	v_cndmask_b32_e64 v13, 0, v13, s[12:13]
	v_add_u32_e32 v12, v12, v13
	s_nop 1
	;; [unrolled: 4-line block ×4, first 2 shown]
	v_mov_b32_dpp v13, v12 row_bcast:15 row_mask:0xf bank_mask:0xf
	v_cndmask_b32_e64 v13, v13, 0, s[6:7]
	v_add_u32_e32 v12, v12, v13
	s_nop 1
	v_mov_b32_dpp v13, v12 row_bcast:31 row_mask:0xf bank_mask:0xf
	v_cndmask_b32_e64 v13, 0, v13, s[2:3]
	v_add_u32_e32 v12, v12, v13
	s_and_saveexec_b64 s[16:17], s[4:5]
	s_cbranch_execz .LBB1199_244
; %bb.243:
	v_lshlrev_b32_e32 v13, 2, v30
	ds_write_b32 v13, v12
.LBB1199_244:
	s_or_b64 exec, exec, s[16:17]
	v_cmp_gt_u32_e32 vcc, 4, v0
	s_waitcnt lgkmcnt(0)
	s_barrier
	s_and_saveexec_b64 s[16:17], vcc
	s_cbranch_execz .LBB1199_246
; %bb.245:
	v_lshlrev_b32_e32 v13, 2, v0
	ds_read_b32 v16, v13
	v_and_b32_e32 v17, 3, v29
	v_cmp_ne_u32_e32 vcc, 0, v17
	s_waitcnt lgkmcnt(0)
	v_mov_b32_dpp v18, v16 row_shr:1 row_mask:0xf bank_mask:0xf
	v_cndmask_b32_e32 v18, 0, v18, vcc
	v_add_u32_e32 v16, v18, v16
	v_cmp_lt_u32_e32 vcc, 1, v17
	s_nop 0
	v_mov_b32_dpp v18, v16 row_shr:2 row_mask:0xf bank_mask:0xf
	v_cndmask_b32_e32 v17, 0, v18, vcc
	v_add_u32_e32 v16, v16, v17
	ds_write_b32 v13, v16
.LBB1199_246:
	s_or_b64 exec, exec, s[16:17]
	v_cmp_gt_u32_e32 vcc, 64, v0
	v_cmp_lt_u32_e64 s[16:17], 63, v0
	s_waitcnt lgkmcnt(0)
	s_barrier
	s_waitcnt lgkmcnt(0)
                                        ; implicit-def: $vgpr24
	s_and_saveexec_b64 s[26:27], s[16:17]
	s_cbranch_execz .LBB1199_248
; %bb.247:
	v_lshl_add_u32 v13, v30, 2, -4
	ds_read_b32 v24, v13
	s_waitcnt lgkmcnt(0)
	v_add_u32_e32 v12, v24, v12
.LBB1199_248:
	s_or_b64 exec, exec, s[26:27]
	v_add_u32_e32 v13, -1, v29
	v_and_b32_e32 v16, 64, v29
	v_cmp_lt_i32_e64 s[16:17], v13, v16
	v_cndmask_b32_e64 v13, v13, v29, s[16:17]
	v_lshlrev_b32_e32 v13, 2, v13
	ds_bpermute_b32 v26, v13, v12
	v_cmp_eq_u32_e64 s[16:17], 0, v29
	s_and_saveexec_b64 s[26:27], vcc
	s_cbranch_execz .LBB1199_267
; %bb.249:
	v_mov_b32_e32 v21, 0
	ds_read_b32 v12, v21 offset:12
	s_and_saveexec_b64 s[34:35], s[16:17]
	s_cbranch_execz .LBB1199_251
; %bb.250:
	s_add_i32 s36, s33, 64
	s_mov_b32 s37, 0
	s_lshl_b64 s[36:37], s[36:37], 3
	s_add_u32 s36, s18, s36
	v_mov_b32_e32 v13, 1
	s_addc_u32 s37, s19, s37
	s_waitcnt lgkmcnt(0)
	global_store_dwordx2 v21, v[12:13], s[36:37]
.LBB1199_251:
	s_or_b64 exec, exec, s[34:35]
	v_xad_u32 v16, v29, -1, s33
	v_add_u32_e32 v20, 64, v16
	v_lshlrev_b64 v[18:19], 3, v[20:21]
	v_mov_b32_e32 v13, s19
	v_add_co_u32_e32 v22, vcc, s18, v18
	v_addc_co_u32_e32 v23, vcc, v13, v19, vcc
	global_load_dwordx2 v[18:19], v[22:23], off glc
	s_waitcnt vmcnt(0)
	v_cmp_eq_u16_sdwa s[36:37], v19, v21 src0_sel:BYTE_0 src1_sel:DWORD
	s_and_saveexec_b64 s[34:35], s[36:37]
	s_cbranch_execz .LBB1199_255
; %bb.252:
	s_mov_b64 s[36:37], 0
	v_mov_b32_e32 v13, 0
.LBB1199_253:                           ; =>This Inner Loop Header: Depth=1
	global_load_dwordx2 v[18:19], v[22:23], off glc
	s_waitcnt vmcnt(0)
	v_cmp_ne_u16_sdwa s[38:39], v19, v13 src0_sel:BYTE_0 src1_sel:DWORD
	s_or_b64 s[36:37], s[38:39], s[36:37]
	s_andn2_b64 exec, exec, s[36:37]
	s_cbranch_execnz .LBB1199_253
; %bb.254:
	s_or_b64 exec, exec, s[36:37]
.LBB1199_255:
	s_or_b64 exec, exec, s[34:35]
	v_and_b32_e32 v32, 63, v29
	v_mov_b32_e32 v13, 2
	v_cmp_ne_u32_e32 vcc, 63, v32
	v_cmp_eq_u16_sdwa s[34:35], v19, v13 src0_sel:BYTE_0 src1_sel:DWORD
	v_lshlrev_b64 v[20:21], v29, -1
	v_addc_co_u32_e32 v23, vcc, 0, v29, vcc
	v_and_b32_e32 v17, s35, v21
	v_lshlrev_b32_e32 v33, 2, v23
	v_or_b32_e32 v17, 0x80000000, v17
	ds_bpermute_b32 v23, v33, v18
	v_and_b32_e32 v22, s34, v20
	v_ffbl_b32_e32 v17, v17
	v_add_u32_e32 v17, 32, v17
	v_ffbl_b32_e32 v22, v22
	v_min_u32_e32 v17, v22, v17
	v_cmp_lt_u32_e32 vcc, v32, v17
	s_waitcnt lgkmcnt(0)
	v_cndmask_b32_e32 v22, 0, v23, vcc
	v_cmp_gt_u32_e32 vcc, 62, v32
	v_add_u32_e32 v18, v22, v18
	v_cndmask_b32_e64 v22, 0, 1, vcc
	v_lshlrev_b32_e32 v22, 1, v22
	v_add_lshl_u32 v34, v22, v29, 2
	ds_bpermute_b32 v22, v34, v18
	v_add_u32_e32 v35, 2, v32
	v_cmp_le_u32_e32 vcc, v35, v17
	v_add_u32_e32 v37, 4, v32
	v_add_u32_e32 v39, 8, v32
	s_waitcnt lgkmcnt(0)
	v_cndmask_b32_e32 v22, 0, v22, vcc
	v_cmp_gt_u32_e32 vcc, 60, v32
	v_add_u32_e32 v18, v18, v22
	v_cndmask_b32_e64 v22, 0, 1, vcc
	v_lshlrev_b32_e32 v22, 2, v22
	v_add_lshl_u32 v36, v22, v29, 2
	ds_bpermute_b32 v22, v36, v18
	v_cmp_le_u32_e32 vcc, v37, v17
	v_add_u32_e32 v42, 16, v32
	v_add_u32_e32 v44, 32, v32
	s_waitcnt lgkmcnt(0)
	v_cndmask_b32_e32 v22, 0, v22, vcc
	v_cmp_gt_u32_e32 vcc, 56, v32
	v_add_u32_e32 v18, v18, v22
	v_cndmask_b32_e64 v22, 0, 1, vcc
	v_lshlrev_b32_e32 v22, 3, v22
	v_add_lshl_u32 v38, v22, v29, 2
	ds_bpermute_b32 v22, v38, v18
	v_cmp_le_u32_e32 vcc, v39, v17
	s_waitcnt lgkmcnt(0)
	v_cndmask_b32_e32 v22, 0, v22, vcc
	v_cmp_gt_u32_e32 vcc, 48, v32
	v_add_u32_e32 v18, v18, v22
	v_cndmask_b32_e64 v22, 0, 1, vcc
	v_lshlrev_b32_e32 v22, 4, v22
	v_add_lshl_u32 v41, v22, v29, 2
	ds_bpermute_b32 v22, v41, v18
	v_cmp_le_u32_e32 vcc, v42, v17
	;; [unrolled: 9-line block ×3, first 2 shown]
	s_waitcnt lgkmcnt(0)
	v_cndmask_b32_e32 v17, 0, v22, vcc
	v_add_u32_e32 v18, v18, v17
	v_mov_b32_e32 v17, 0
	s_branch .LBB1199_257
.LBB1199_256:                           ;   in Loop: Header=BB1199_257 Depth=1
	s_or_b64 exec, exec, s[34:35]
	v_cmp_eq_u16_sdwa s[34:35], v19, v13 src0_sel:BYTE_0 src1_sel:DWORD
	v_and_b32_e32 v22, s35, v21
	v_or_b32_e32 v22, 0x80000000, v22
	ds_bpermute_b32 v45, v33, v18
	v_and_b32_e32 v23, s34, v20
	v_ffbl_b32_e32 v22, v22
	v_add_u32_e32 v22, 32, v22
	v_ffbl_b32_e32 v23, v23
	v_min_u32_e32 v22, v23, v22
	v_cmp_lt_u32_e32 vcc, v32, v22
	s_waitcnt lgkmcnt(0)
	v_cndmask_b32_e32 v23, 0, v45, vcc
	v_add_u32_e32 v18, v23, v18
	ds_bpermute_b32 v23, v34, v18
	v_cmp_le_u32_e32 vcc, v35, v22
	v_subrev_u32_e32 v16, 64, v16
	s_waitcnt lgkmcnt(0)
	v_cndmask_b32_e32 v23, 0, v23, vcc
	v_add_u32_e32 v18, v18, v23
	ds_bpermute_b32 v23, v36, v18
	v_cmp_le_u32_e32 vcc, v37, v22
	s_waitcnt lgkmcnt(0)
	v_cndmask_b32_e32 v23, 0, v23, vcc
	v_add_u32_e32 v18, v18, v23
	ds_bpermute_b32 v23, v38, v18
	v_cmp_le_u32_e32 vcc, v39, v22
	;; [unrolled: 5-line block ×4, first 2 shown]
	s_waitcnt lgkmcnt(0)
	v_cndmask_b32_e32 v22, 0, v23, vcc
	v_add3_u32 v18, v22, v40, v18
.LBB1199_257:                           ; =>This Loop Header: Depth=1
                                        ;     Child Loop BB1199_260 Depth 2
	v_cmp_ne_u16_sdwa s[34:35], v19, v13 src0_sel:BYTE_0 src1_sel:DWORD
	v_cndmask_b32_e64 v19, 0, 1, s[34:35]
	;;#ASMSTART
	;;#ASMEND
	v_cmp_ne_u32_e32 vcc, 0, v19
	s_cmp_lg_u64 vcc, exec
	v_mov_b32_e32 v40, v18
	s_cbranch_scc1 .LBB1199_262
; %bb.258:                              ;   in Loop: Header=BB1199_257 Depth=1
	v_lshlrev_b64 v[18:19], 3, v[16:17]
	v_mov_b32_e32 v23, s19
	v_add_co_u32_e32 v22, vcc, s18, v18
	v_addc_co_u32_e32 v23, vcc, v23, v19, vcc
	global_load_dwordx2 v[18:19], v[22:23], off glc
	s_waitcnt vmcnt(0)
	v_cmp_eq_u16_sdwa s[36:37], v19, v17 src0_sel:BYTE_0 src1_sel:DWORD
	s_and_saveexec_b64 s[34:35], s[36:37]
	s_cbranch_execz .LBB1199_256
; %bb.259:                              ;   in Loop: Header=BB1199_257 Depth=1
	s_mov_b64 s[36:37], 0
.LBB1199_260:                           ;   Parent Loop BB1199_257 Depth=1
                                        ; =>  This Inner Loop Header: Depth=2
	global_load_dwordx2 v[18:19], v[22:23], off glc
	s_waitcnt vmcnt(0)
	v_cmp_ne_u16_sdwa s[38:39], v19, v17 src0_sel:BYTE_0 src1_sel:DWORD
	s_or_b64 s[36:37], s[38:39], s[36:37]
	s_andn2_b64 exec, exec, s[36:37]
	s_cbranch_execnz .LBB1199_260
; %bb.261:                              ;   in Loop: Header=BB1199_257 Depth=1
	s_or_b64 exec, exec, s[36:37]
	s_branch .LBB1199_256
.LBB1199_262:                           ;   in Loop: Header=BB1199_257 Depth=1
                                        ; implicit-def: $vgpr18
                                        ; implicit-def: $vgpr19
	s_cbranch_execz .LBB1199_257
; %bb.263:
	s_and_saveexec_b64 s[34:35], s[16:17]
	s_cbranch_execz .LBB1199_265
; %bb.264:
	s_add_i32 s36, s33, 64
	s_mov_b32 s37, 0
	s_lshl_b64 s[36:37], s[36:37], 3
	s_add_u32 s36, s18, s36
	v_add_u32_e32 v16, v40, v12
	v_mov_b32_e32 v17, 2
	s_addc_u32 s37, s19, s37
	v_mov_b32_e32 v13, 0
	s_movk_i32 s33, 0x2800
	global_store_dwordx2 v13, v[16:17], s[36:37]
	v_add_u32_e64 v13, s33, 0
	ds_write2_b32 v13, v12, v40 offset1:2
.LBB1199_265:
	s_or_b64 exec, exec, s[34:35]
	s_and_b64 exec, exec, s[0:1]
	s_cbranch_execz .LBB1199_267
; %bb.266:
	v_mov_b32_e32 v12, 0
	ds_write_b32 v12, v40 offset:12
.LBB1199_267:
	s_or_b64 exec, exec, s[26:27]
	v_mov_b32_e32 v12, 0
	s_waitcnt lgkmcnt(0)
	s_barrier
	ds_read_b32 v12, v12 offset:12
	v_cndmask_b32_e64 v13, v26, v24, s[16:17]
	v_cndmask_b32_e64 v13, v13, 0, s[0:1]
	s_movk_i32 s16, 0x2800
	s_waitcnt lgkmcnt(0)
	v_add_u32_e32 v26, v12, v13
	v_add_u32_e64 v12, s16, 0
	s_barrier
	ds_read2_b32 v[12:13], v12 offset1:2
	v_add_u32_e32 v24, v26, v1
	v_add_u32_e32 v22, v24, v25
	;; [unrolled: 1-line block ×4, first 2 shown]
	v_lshrrev_b64 v[16:17], 24, v[14:15]
	s_branch .LBB1199_278
.LBB1199_268:
                                        ; implicit-def: $vgpr18
                                        ; implicit-def: $vgpr20
                                        ; implicit-def: $vgpr22
                                        ; implicit-def: $vgpr24
                                        ; implicit-def: $vgpr26
                                        ; implicit-def: $vgpr13
	v_lshrrev_b64 v[16:17], 24, v[14:15]
	s_cbranch_execz .LBB1199_278
; %bb.269:
	s_waitcnt lgkmcnt(0)
	v_mov_b32_dpp v12, v31 row_shr:1 row_mask:0xf bank_mask:0xf
	v_cndmask_b32_e64 v12, v12, 0, s[14:15]
	v_add_u32_e32 v12, v12, v31
	s_nop 1
	v_mov_b32_dpp v13, v12 row_shr:2 row_mask:0xf bank_mask:0xf
	v_cndmask_b32_e64 v13, 0, v13, s[12:13]
	v_add_u32_e32 v12, v12, v13
	s_nop 1
	;; [unrolled: 4-line block ×4, first 2 shown]
	v_mov_b32_dpp v13, v12 row_bcast:15 row_mask:0xf bank_mask:0xf
	v_cndmask_b32_e64 v13, v13, 0, s[6:7]
	v_add_u32_e32 v12, v12, v13
	s_nop 1
	v_mov_b32_dpp v13, v12 row_bcast:31 row_mask:0xf bank_mask:0xf
	v_cndmask_b32_e64 v13, 0, v13, s[2:3]
	v_add_u32_e32 v12, v12, v13
	s_and_saveexec_b64 s[2:3], s[4:5]
	s_cbranch_execz .LBB1199_271
; %bb.270:
	v_lshlrev_b32_e32 v13, 2, v30
	ds_write_b32 v13, v12
.LBB1199_271:
	s_or_b64 exec, exec, s[2:3]
	v_cmp_gt_u32_e32 vcc, 4, v0
	s_waitcnt lgkmcnt(0)
	s_barrier
	s_and_saveexec_b64 s[2:3], vcc
	s_cbranch_execz .LBB1199_273
; %bb.272:
	v_lshlrev_b32_e32 v13, 2, v0
	ds_read_b32 v17, v13
	v_and_b32_e32 v18, 3, v29
	v_cmp_ne_u32_e32 vcc, 0, v18
	s_waitcnt lgkmcnt(0)
	v_mov_b32_dpp v19, v17 row_shr:1 row_mask:0xf bank_mask:0xf
	v_cndmask_b32_e32 v19, 0, v19, vcc
	v_add_u32_e32 v17, v19, v17
	v_cmp_lt_u32_e32 vcc, 1, v18
	s_nop 0
	v_mov_b32_dpp v19, v17 row_shr:2 row_mask:0xf bank_mask:0xf
	v_cndmask_b32_e32 v18, 0, v19, vcc
	v_add_u32_e32 v17, v17, v18
	ds_write_b32 v13, v17
.LBB1199_273:
	s_or_b64 exec, exec, s[2:3]
	v_cmp_lt_u32_e32 vcc, 63, v0
	v_mov_b32_e32 v13, 0
	v_mov_b32_e32 v17, 0
	s_waitcnt lgkmcnt(0)
	s_barrier
	s_and_saveexec_b64 s[2:3], vcc
	s_cbranch_execz .LBB1199_275
; %bb.274:
	v_lshl_add_u32 v17, v30, 2, -4
	ds_read_b32 v17, v17
.LBB1199_275:
	s_or_b64 exec, exec, s[2:3]
	v_add_u32_e32 v18, -1, v29
	v_and_b32_e32 v19, 64, v29
	v_cmp_lt_i32_e32 vcc, v18, v19
	v_cndmask_b32_e32 v18, v18, v29, vcc
	s_waitcnt lgkmcnt(0)
	v_add_u32_e32 v12, v17, v12
	v_lshlrev_b32_e32 v18, 2, v18
	ds_bpermute_b32 v18, v18, v12
	ds_read_b32 v12, v13 offset:12
	s_and_saveexec_b64 s[2:3], s[0:1]
	s_cbranch_execz .LBB1199_277
; %bb.276:
	v_mov_b32_e32 v19, 0
	v_mov_b32_e32 v13, 2
	s_waitcnt lgkmcnt(0)
	global_store_dwordx2 v19, v[12:13], s[18:19] offset:512
.LBB1199_277:
	s_or_b64 exec, exec, s[2:3]
	v_cmp_eq_u32_e32 vcc, 0, v29
	s_waitcnt lgkmcnt(1)
	v_cndmask_b32_e32 v17, v18, v17, vcc
	v_cndmask_b32_e64 v26, v17, 0, s[0:1]
	v_add_u32_e32 v24, v26, v1
	v_add_u32_e32 v22, v24, v25
	;; [unrolled: 1-line block ×3, first 2 shown]
	v_mov_b32_e32 v13, 0
	v_add_u32_e32 v18, v20, v28
	s_waitcnt lgkmcnt(0)
	s_barrier
.LBB1199_278:
	s_movk_i32 s2, 0x101
	s_waitcnt lgkmcnt(0)
	v_cmp_gt_u32_e32 vcc, s2, v12
	v_lshrrev_b32_e32 v1, 8, v14
	s_mov_b64 s[2:3], -1
	s_cbranch_vccnz .LBB1199_282
; %bb.279:
	s_and_b64 vcc, exec, s[2:3]
	s_cbranch_vccnz .LBB1199_298
.LBB1199_280:
	s_and_b64 s[0:1], s[0:1], s[24:25]
	s_and_saveexec_b64 s[2:3], s[0:1]
	s_cbranch_execnz .LBB1199_312
.LBB1199_281:
	s_endpgm
.LBB1199_282:
	v_add_u32_e32 v17, v13, v12
	v_cmp_lt_u32_e32 vcc, v26, v17
	s_or_b64 s[4:5], s[30:31], vcc
	s_and_saveexec_b64 s[2:3], s[4:5]
	s_cbranch_execz .LBB1199_285
; %bb.283:
	v_and_b32_e32 v19, 1, v14
	v_cmp_eq_u32_e32 vcc, 1, v19
	s_and_b64 exec, exec, vcc
	s_cbranch_execz .LBB1199_285
; %bb.284:
	s_lshl_b64 s[4:5], s[22:23], 3
	s_add_u32 s4, s28, s4
	v_mov_b32_e32 v27, 0
	s_addc_u32 s5, s29, s5
	v_lshlrev_b64 v[28:29], 3, v[26:27]
	v_mov_b32_e32 v19, s5
	v_add_co_u32_e32 v28, vcc, s4, v28
	v_addc_co_u32_e32 v29, vcc, v19, v29, vcc
	global_store_dwordx2 v[28:29], v[6:7], off
.LBB1199_285:
	s_or_b64 exec, exec, s[2:3]
	v_cmp_lt_u32_e32 vcc, v24, v17
	s_or_b64 s[4:5], s[30:31], vcc
	s_and_saveexec_b64 s[2:3], s[4:5]
	s_cbranch_execz .LBB1199_288
; %bb.286:
	v_and_b32_e32 v19, 1, v1
	v_cmp_eq_u32_e32 vcc, 1, v19
	s_and_b64 exec, exec, vcc
	s_cbranch_execz .LBB1199_288
; %bb.287:
	s_lshl_b64 s[4:5], s[22:23], 3
	s_add_u32 s4, s28, s4
	v_mov_b32_e32 v25, 0
	s_addc_u32 s5, s29, s5
	v_lshlrev_b64 v[28:29], 3, v[24:25]
	v_mov_b32_e32 v19, s5
	v_add_co_u32_e32 v28, vcc, s4, v28
	v_addc_co_u32_e32 v29, vcc, v19, v29, vcc
	global_store_dwordx2 v[28:29], v[8:9], off
.LBB1199_288:
	s_or_b64 exec, exec, s[2:3]
	v_cmp_lt_u32_e32 vcc, v22, v17
	s_or_b64 s[4:5], s[30:31], vcc
	s_and_saveexec_b64 s[2:3], s[4:5]
	s_cbranch_execz .LBB1199_291
; %bb.289:
	v_mov_b32_e32 v19, 1
	v_and_b32_sdwa v19, v19, v14 dst_sel:DWORD dst_unused:UNUSED_PAD src0_sel:DWORD src1_sel:WORD_1
	v_cmp_eq_u32_e32 vcc, 1, v19
	s_and_b64 exec, exec, vcc
	s_cbranch_execz .LBB1199_291
; %bb.290:
	s_lshl_b64 s[4:5], s[22:23], 3
	s_add_u32 s4, s28, s4
	v_mov_b32_e32 v23, 0
	s_addc_u32 s5, s29, s5
	v_lshlrev_b64 v[28:29], 3, v[22:23]
	v_mov_b32_e32 v19, s5
	v_add_co_u32_e32 v28, vcc, s4, v28
	v_addc_co_u32_e32 v29, vcc, v19, v29, vcc
	global_store_dwordx2 v[28:29], v[2:3], off
.LBB1199_291:
	s_or_b64 exec, exec, s[2:3]
	v_cmp_lt_u32_e32 vcc, v20, v17
	s_or_b64 s[4:5], s[30:31], vcc
	s_and_saveexec_b64 s[2:3], s[4:5]
	s_cbranch_execz .LBB1199_294
; %bb.292:
	v_and_b32_e32 v19, 1, v16
	v_cmp_eq_u32_e32 vcc, 1, v19
	s_and_b64 exec, exec, vcc
	s_cbranch_execz .LBB1199_294
; %bb.293:
	s_lshl_b64 s[4:5], s[22:23], 3
	s_add_u32 s4, s28, s4
	v_mov_b32_e32 v21, 0
	s_addc_u32 s5, s29, s5
	v_lshlrev_b64 v[28:29], 3, v[20:21]
	v_mov_b32_e32 v19, s5
	v_add_co_u32_e32 v28, vcc, s4, v28
	v_addc_co_u32_e32 v29, vcc, v19, v29, vcc
	global_store_dwordx2 v[28:29], v[4:5], off
.LBB1199_294:
	s_or_b64 exec, exec, s[2:3]
	v_cmp_lt_u32_e32 vcc, v18, v17
	s_or_b64 s[4:5], s[30:31], vcc
	s_and_saveexec_b64 s[2:3], s[4:5]
	s_cbranch_execz .LBB1199_297
; %bb.295:
	v_and_b32_e32 v17, 1, v15
	v_cmp_eq_u32_e32 vcc, 1, v17
	s_and_b64 exec, exec, vcc
	s_cbranch_execz .LBB1199_297
; %bb.296:
	s_lshl_b64 s[4:5], s[22:23], 3
	s_add_u32 s4, s28, s4
	v_mov_b32_e32 v19, 0
	s_addc_u32 s5, s29, s5
	v_lshlrev_b64 v[28:29], 3, v[18:19]
	v_mov_b32_e32 v17, s5
	v_add_co_u32_e32 v28, vcc, s4, v28
	v_addc_co_u32_e32 v29, vcc, v17, v29, vcc
	global_store_dwordx2 v[28:29], v[10:11], off
.LBB1199_297:
	s_or_b64 exec, exec, s[2:3]
	s_branch .LBB1199_280
.LBB1199_298:
	v_and_b32_e32 v17, 1, v14
	v_cmp_eq_u32_e32 vcc, 1, v17
	s_and_saveexec_b64 s[2:3], vcc
	s_cbranch_execz .LBB1199_300
; %bb.299:
	v_sub_u32_e32 v17, v26, v13
	v_lshlrev_b32_e32 v17, 3, v17
	ds_write_b64 v17, v[6:7]
.LBB1199_300:
	s_or_b64 exec, exec, s[2:3]
	v_and_b32_e32 v1, 1, v1
	v_cmp_eq_u32_e32 vcc, 1, v1
	s_and_saveexec_b64 s[2:3], vcc
	s_cbranch_execz .LBB1199_302
; %bb.301:
	v_sub_u32_e32 v1, v24, v13
	v_lshlrev_b32_e32 v1, 3, v1
	ds_write_b64 v1, v[8:9]
.LBB1199_302:
	s_or_b64 exec, exec, s[2:3]
	v_mov_b32_e32 v1, 1
	v_and_b32_sdwa v1, v1, v14 dst_sel:DWORD dst_unused:UNUSED_PAD src0_sel:DWORD src1_sel:WORD_1
	v_cmp_eq_u32_e32 vcc, 1, v1
	s_and_saveexec_b64 s[2:3], vcc
	s_cbranch_execz .LBB1199_304
; %bb.303:
	v_sub_u32_e32 v1, v22, v13
	v_lshlrev_b32_e32 v1, 3, v1
	ds_write_b64 v1, v[2:3]
.LBB1199_304:
	s_or_b64 exec, exec, s[2:3]
	v_and_b32_e32 v1, 1, v16
	v_cmp_eq_u32_e32 vcc, 1, v1
	s_and_saveexec_b64 s[2:3], vcc
	s_cbranch_execz .LBB1199_306
; %bb.305:
	v_sub_u32_e32 v1, v20, v13
	v_lshlrev_b32_e32 v1, 3, v1
	ds_write_b64 v1, v[4:5]
.LBB1199_306:
	s_or_b64 exec, exec, s[2:3]
	v_and_b32_e32 v1, 1, v15
	v_cmp_eq_u32_e32 vcc, 1, v1
	s_and_saveexec_b64 s[2:3], vcc
	s_cbranch_execz .LBB1199_308
; %bb.307:
	v_sub_u32_e32 v1, v18, v13
	v_lshlrev_b32_e32 v1, 3, v1
	ds_write_b64 v1, v[10:11]
.LBB1199_308:
	s_or_b64 exec, exec, s[2:3]
	v_cmp_lt_u32_e32 vcc, v0, v12
	s_waitcnt lgkmcnt(0)
	s_barrier
	s_and_saveexec_b64 s[2:3], vcc
	s_cbranch_execz .LBB1199_311
; %bb.309:
	v_mov_b32_e32 v1, 0
	v_mov_b32_e32 v2, v13
	;; [unrolled: 1-line block ×3, first 2 shown]
	v_lshlrev_b64 v[2:3], 3, v[2:3]
	v_mov_b32_e32 v4, s29
	v_add_co_u32_e32 v2, vcc, s28, v2
	v_addc_co_u32_e32 v3, vcc, v4, v3, vcc
	s_lshl_b64 s[4:5], s[22:23], 3
	v_mov_b32_e32 v4, s5
	v_add_co_u32_e32 v2, vcc, s4, v2
	v_addc_co_u32_e32 v3, vcc, v3, v4, vcc
	v_lshlrev_b32_e32 v4, 3, v0
	s_mov_b64 s[4:5], 0
.LBB1199_310:                           ; =>This Inner Loop Header: Depth=1
	ds_read_b64 v[6:7], v4
	v_lshlrev_b64 v[8:9], 3, v[0:1]
	v_add_co_u32_e32 v8, vcc, v2, v8
	v_add_u32_e32 v0, 0x100, v0
	v_addc_co_u32_e32 v9, vcc, v3, v9, vcc
	v_cmp_ge_u32_e32 vcc, v0, v12
	v_add_u32_e32 v4, 0x800, v4
	s_or_b64 s[4:5], vcc, s[4:5]
	s_waitcnt lgkmcnt(0)
	global_store_dwordx2 v[8:9], v[6:7], off
	s_andn2_b64 exec, exec, s[4:5]
	s_cbranch_execnz .LBB1199_310
.LBB1199_311:
	s_or_b64 exec, exec, s[2:3]
	s_and_b64 s[0:1], s[0:1], s[24:25]
	s_and_saveexec_b64 s[2:3], s[0:1]
	s_cbranch_execz .LBB1199_281
.LBB1199_312:
	v_mov_b32_e32 v0, s23
	v_add_co_u32_e32 v1, vcc, s22, v12
	v_addc_co_u32_e32 v3, vcc, 0, v0, vcc
	v_add_co_u32_e32 v0, vcc, v1, v13
	v_mov_b32_e32 v2, 0
	v_addc_co_u32_e32 v1, vcc, 0, v3, vcc
	global_store_dwordx2 v2, v[0:1], s[20:21]
	s_endpgm
	.section	.rodata,"a",@progbits
	.p2align	6, 0x0
	.amdhsa_kernel _ZN7rocprim17ROCPRIM_400000_NS6detail17trampoline_kernelINS0_14default_configENS1_25partition_config_selectorILNS1_17partition_subalgoE8ElNS0_10empty_typeEbEEZZNS1_14partition_implILS5_8ELb0ES3_jPlPS6_PKS6_NS0_5tupleIJS9_S6_EEENSD_IJSA_SA_EEENS0_18inequality_wrapperIZN2at6native12_GLOBAL__N_124unique_dim_cuda_templateIN3c108BFloat16EEESt5tupleIJNSH_6TensorESO_SO_EERKSO_lbbbEUlllE0_EEPmJS6_EEE10hipError_tPvRmT3_T4_T5_T6_T7_T9_mT8_P12ihipStream_tbDpT10_ENKUlT_T0_E_clISt17integral_constantIbLb0EES1D_IbLb1EEEEDaS19_S1A_EUlS19_E_NS1_11comp_targetILNS1_3genE4ELNS1_11target_archE910ELNS1_3gpuE8ELNS1_3repE0EEENS1_30default_config_static_selectorELNS0_4arch9wavefront6targetE1EEEvT1_
		.amdhsa_group_segment_fixed_size 10252
		.amdhsa_private_segment_fixed_size 0
		.amdhsa_kernarg_size 136
		.amdhsa_user_sgpr_count 6
		.amdhsa_user_sgpr_private_segment_buffer 1
		.amdhsa_user_sgpr_dispatch_ptr 0
		.amdhsa_user_sgpr_queue_ptr 0
		.amdhsa_user_sgpr_kernarg_segment_ptr 1
		.amdhsa_user_sgpr_dispatch_id 0
		.amdhsa_user_sgpr_flat_scratch_init 0
		.amdhsa_user_sgpr_kernarg_preload_length 0
		.amdhsa_user_sgpr_kernarg_preload_offset 0
		.amdhsa_user_sgpr_private_segment_size 0
		.amdhsa_uses_dynamic_stack 0
		.amdhsa_system_sgpr_private_segment_wavefront_offset 0
		.amdhsa_system_sgpr_workgroup_id_x 1
		.amdhsa_system_sgpr_workgroup_id_y 0
		.amdhsa_system_sgpr_workgroup_id_z 0
		.amdhsa_system_sgpr_workgroup_info 0
		.amdhsa_system_vgpr_workitem_id 0
		.amdhsa_next_free_vgpr 46
		.amdhsa_next_free_sgpr 52
		.amdhsa_accum_offset 48
		.amdhsa_reserve_vcc 1
		.amdhsa_reserve_flat_scratch 0
		.amdhsa_float_round_mode_32 0
		.amdhsa_float_round_mode_16_64 0
		.amdhsa_float_denorm_mode_32 3
		.amdhsa_float_denorm_mode_16_64 3
		.amdhsa_dx10_clamp 1
		.amdhsa_ieee_mode 1
		.amdhsa_fp16_overflow 0
		.amdhsa_tg_split 0
		.amdhsa_exception_fp_ieee_invalid_op 0
		.amdhsa_exception_fp_denorm_src 0
		.amdhsa_exception_fp_ieee_div_zero 0
		.amdhsa_exception_fp_ieee_overflow 0
		.amdhsa_exception_fp_ieee_underflow 0
		.amdhsa_exception_fp_ieee_inexact 0
		.amdhsa_exception_int_div_zero 0
	.end_amdhsa_kernel
	.section	.text._ZN7rocprim17ROCPRIM_400000_NS6detail17trampoline_kernelINS0_14default_configENS1_25partition_config_selectorILNS1_17partition_subalgoE8ElNS0_10empty_typeEbEEZZNS1_14partition_implILS5_8ELb0ES3_jPlPS6_PKS6_NS0_5tupleIJS9_S6_EEENSD_IJSA_SA_EEENS0_18inequality_wrapperIZN2at6native12_GLOBAL__N_124unique_dim_cuda_templateIN3c108BFloat16EEESt5tupleIJNSH_6TensorESO_SO_EERKSO_lbbbEUlllE0_EEPmJS6_EEE10hipError_tPvRmT3_T4_T5_T6_T7_T9_mT8_P12ihipStream_tbDpT10_ENKUlT_T0_E_clISt17integral_constantIbLb0EES1D_IbLb1EEEEDaS19_S1A_EUlS19_E_NS1_11comp_targetILNS1_3genE4ELNS1_11target_archE910ELNS1_3gpuE8ELNS1_3repE0EEENS1_30default_config_static_selectorELNS0_4arch9wavefront6targetE1EEEvT1_,"axG",@progbits,_ZN7rocprim17ROCPRIM_400000_NS6detail17trampoline_kernelINS0_14default_configENS1_25partition_config_selectorILNS1_17partition_subalgoE8ElNS0_10empty_typeEbEEZZNS1_14partition_implILS5_8ELb0ES3_jPlPS6_PKS6_NS0_5tupleIJS9_S6_EEENSD_IJSA_SA_EEENS0_18inequality_wrapperIZN2at6native12_GLOBAL__N_124unique_dim_cuda_templateIN3c108BFloat16EEESt5tupleIJNSH_6TensorESO_SO_EERKSO_lbbbEUlllE0_EEPmJS6_EEE10hipError_tPvRmT3_T4_T5_T6_T7_T9_mT8_P12ihipStream_tbDpT10_ENKUlT_T0_E_clISt17integral_constantIbLb0EES1D_IbLb1EEEEDaS19_S1A_EUlS19_E_NS1_11comp_targetILNS1_3genE4ELNS1_11target_archE910ELNS1_3gpuE8ELNS1_3repE0EEENS1_30default_config_static_selectorELNS0_4arch9wavefront6targetE1EEEvT1_,comdat
.Lfunc_end1199:
	.size	_ZN7rocprim17ROCPRIM_400000_NS6detail17trampoline_kernelINS0_14default_configENS1_25partition_config_selectorILNS1_17partition_subalgoE8ElNS0_10empty_typeEbEEZZNS1_14partition_implILS5_8ELb0ES3_jPlPS6_PKS6_NS0_5tupleIJS9_S6_EEENSD_IJSA_SA_EEENS0_18inequality_wrapperIZN2at6native12_GLOBAL__N_124unique_dim_cuda_templateIN3c108BFloat16EEESt5tupleIJNSH_6TensorESO_SO_EERKSO_lbbbEUlllE0_EEPmJS6_EEE10hipError_tPvRmT3_T4_T5_T6_T7_T9_mT8_P12ihipStream_tbDpT10_ENKUlT_T0_E_clISt17integral_constantIbLb0EES1D_IbLb1EEEEDaS19_S1A_EUlS19_E_NS1_11comp_targetILNS1_3genE4ELNS1_11target_archE910ELNS1_3gpuE8ELNS1_3repE0EEENS1_30default_config_static_selectorELNS0_4arch9wavefront6targetE1EEEvT1_, .Lfunc_end1199-_ZN7rocprim17ROCPRIM_400000_NS6detail17trampoline_kernelINS0_14default_configENS1_25partition_config_selectorILNS1_17partition_subalgoE8ElNS0_10empty_typeEbEEZZNS1_14partition_implILS5_8ELb0ES3_jPlPS6_PKS6_NS0_5tupleIJS9_S6_EEENSD_IJSA_SA_EEENS0_18inequality_wrapperIZN2at6native12_GLOBAL__N_124unique_dim_cuda_templateIN3c108BFloat16EEESt5tupleIJNSH_6TensorESO_SO_EERKSO_lbbbEUlllE0_EEPmJS6_EEE10hipError_tPvRmT3_T4_T5_T6_T7_T9_mT8_P12ihipStream_tbDpT10_ENKUlT_T0_E_clISt17integral_constantIbLb0EES1D_IbLb1EEEEDaS19_S1A_EUlS19_E_NS1_11comp_targetILNS1_3genE4ELNS1_11target_archE910ELNS1_3gpuE8ELNS1_3repE0EEENS1_30default_config_static_selectorELNS0_4arch9wavefront6targetE1EEEvT1_
                                        ; -- End function
	.section	.AMDGPU.csdata,"",@progbits
; Kernel info:
; codeLenInByte = 12032
; NumSgprs: 56
; NumVgprs: 46
; NumAgprs: 0
; TotalNumVgprs: 46
; ScratchSize: 0
; MemoryBound: 0
; FloatMode: 240
; IeeeMode: 1
; LDSByteSize: 10252 bytes/workgroup (compile time only)
; SGPRBlocks: 6
; VGPRBlocks: 5
; NumSGPRsForWavesPerEU: 56
; NumVGPRsForWavesPerEU: 46
; AccumOffset: 48
; Occupancy: 6
; WaveLimiterHint : 1
; COMPUTE_PGM_RSRC2:SCRATCH_EN: 0
; COMPUTE_PGM_RSRC2:USER_SGPR: 6
; COMPUTE_PGM_RSRC2:TRAP_HANDLER: 0
; COMPUTE_PGM_RSRC2:TGID_X_EN: 1
; COMPUTE_PGM_RSRC2:TGID_Y_EN: 0
; COMPUTE_PGM_RSRC2:TGID_Z_EN: 0
; COMPUTE_PGM_RSRC2:TIDIG_COMP_CNT: 0
; COMPUTE_PGM_RSRC3_GFX90A:ACCUM_OFFSET: 11
; COMPUTE_PGM_RSRC3_GFX90A:TG_SPLIT: 0
	.section	.text._ZN7rocprim17ROCPRIM_400000_NS6detail17trampoline_kernelINS0_14default_configENS1_25partition_config_selectorILNS1_17partition_subalgoE8ElNS0_10empty_typeEbEEZZNS1_14partition_implILS5_8ELb0ES3_jPlPS6_PKS6_NS0_5tupleIJS9_S6_EEENSD_IJSA_SA_EEENS0_18inequality_wrapperIZN2at6native12_GLOBAL__N_124unique_dim_cuda_templateIN3c108BFloat16EEESt5tupleIJNSH_6TensorESO_SO_EERKSO_lbbbEUlllE0_EEPmJS6_EEE10hipError_tPvRmT3_T4_T5_T6_T7_T9_mT8_P12ihipStream_tbDpT10_ENKUlT_T0_E_clISt17integral_constantIbLb0EES1D_IbLb1EEEEDaS19_S1A_EUlS19_E_NS1_11comp_targetILNS1_3genE3ELNS1_11target_archE908ELNS1_3gpuE7ELNS1_3repE0EEENS1_30default_config_static_selectorELNS0_4arch9wavefront6targetE1EEEvT1_,"axG",@progbits,_ZN7rocprim17ROCPRIM_400000_NS6detail17trampoline_kernelINS0_14default_configENS1_25partition_config_selectorILNS1_17partition_subalgoE8ElNS0_10empty_typeEbEEZZNS1_14partition_implILS5_8ELb0ES3_jPlPS6_PKS6_NS0_5tupleIJS9_S6_EEENSD_IJSA_SA_EEENS0_18inequality_wrapperIZN2at6native12_GLOBAL__N_124unique_dim_cuda_templateIN3c108BFloat16EEESt5tupleIJNSH_6TensorESO_SO_EERKSO_lbbbEUlllE0_EEPmJS6_EEE10hipError_tPvRmT3_T4_T5_T6_T7_T9_mT8_P12ihipStream_tbDpT10_ENKUlT_T0_E_clISt17integral_constantIbLb0EES1D_IbLb1EEEEDaS19_S1A_EUlS19_E_NS1_11comp_targetILNS1_3genE3ELNS1_11target_archE908ELNS1_3gpuE7ELNS1_3repE0EEENS1_30default_config_static_selectorELNS0_4arch9wavefront6targetE1EEEvT1_,comdat
	.globl	_ZN7rocprim17ROCPRIM_400000_NS6detail17trampoline_kernelINS0_14default_configENS1_25partition_config_selectorILNS1_17partition_subalgoE8ElNS0_10empty_typeEbEEZZNS1_14partition_implILS5_8ELb0ES3_jPlPS6_PKS6_NS0_5tupleIJS9_S6_EEENSD_IJSA_SA_EEENS0_18inequality_wrapperIZN2at6native12_GLOBAL__N_124unique_dim_cuda_templateIN3c108BFloat16EEESt5tupleIJNSH_6TensorESO_SO_EERKSO_lbbbEUlllE0_EEPmJS6_EEE10hipError_tPvRmT3_T4_T5_T6_T7_T9_mT8_P12ihipStream_tbDpT10_ENKUlT_T0_E_clISt17integral_constantIbLb0EES1D_IbLb1EEEEDaS19_S1A_EUlS19_E_NS1_11comp_targetILNS1_3genE3ELNS1_11target_archE908ELNS1_3gpuE7ELNS1_3repE0EEENS1_30default_config_static_selectorELNS0_4arch9wavefront6targetE1EEEvT1_ ; -- Begin function _ZN7rocprim17ROCPRIM_400000_NS6detail17trampoline_kernelINS0_14default_configENS1_25partition_config_selectorILNS1_17partition_subalgoE8ElNS0_10empty_typeEbEEZZNS1_14partition_implILS5_8ELb0ES3_jPlPS6_PKS6_NS0_5tupleIJS9_S6_EEENSD_IJSA_SA_EEENS0_18inequality_wrapperIZN2at6native12_GLOBAL__N_124unique_dim_cuda_templateIN3c108BFloat16EEESt5tupleIJNSH_6TensorESO_SO_EERKSO_lbbbEUlllE0_EEPmJS6_EEE10hipError_tPvRmT3_T4_T5_T6_T7_T9_mT8_P12ihipStream_tbDpT10_ENKUlT_T0_E_clISt17integral_constantIbLb0EES1D_IbLb1EEEEDaS19_S1A_EUlS19_E_NS1_11comp_targetILNS1_3genE3ELNS1_11target_archE908ELNS1_3gpuE7ELNS1_3repE0EEENS1_30default_config_static_selectorELNS0_4arch9wavefront6targetE1EEEvT1_
	.p2align	8
	.type	_ZN7rocprim17ROCPRIM_400000_NS6detail17trampoline_kernelINS0_14default_configENS1_25partition_config_selectorILNS1_17partition_subalgoE8ElNS0_10empty_typeEbEEZZNS1_14partition_implILS5_8ELb0ES3_jPlPS6_PKS6_NS0_5tupleIJS9_S6_EEENSD_IJSA_SA_EEENS0_18inequality_wrapperIZN2at6native12_GLOBAL__N_124unique_dim_cuda_templateIN3c108BFloat16EEESt5tupleIJNSH_6TensorESO_SO_EERKSO_lbbbEUlllE0_EEPmJS6_EEE10hipError_tPvRmT3_T4_T5_T6_T7_T9_mT8_P12ihipStream_tbDpT10_ENKUlT_T0_E_clISt17integral_constantIbLb0EES1D_IbLb1EEEEDaS19_S1A_EUlS19_E_NS1_11comp_targetILNS1_3genE3ELNS1_11target_archE908ELNS1_3gpuE7ELNS1_3repE0EEENS1_30default_config_static_selectorELNS0_4arch9wavefront6targetE1EEEvT1_,@function
_ZN7rocprim17ROCPRIM_400000_NS6detail17trampoline_kernelINS0_14default_configENS1_25partition_config_selectorILNS1_17partition_subalgoE8ElNS0_10empty_typeEbEEZZNS1_14partition_implILS5_8ELb0ES3_jPlPS6_PKS6_NS0_5tupleIJS9_S6_EEENSD_IJSA_SA_EEENS0_18inequality_wrapperIZN2at6native12_GLOBAL__N_124unique_dim_cuda_templateIN3c108BFloat16EEESt5tupleIJNSH_6TensorESO_SO_EERKSO_lbbbEUlllE0_EEPmJS6_EEE10hipError_tPvRmT3_T4_T5_T6_T7_T9_mT8_P12ihipStream_tbDpT10_ENKUlT_T0_E_clISt17integral_constantIbLb0EES1D_IbLb1EEEEDaS19_S1A_EUlS19_E_NS1_11comp_targetILNS1_3genE3ELNS1_11target_archE908ELNS1_3gpuE7ELNS1_3repE0EEENS1_30default_config_static_selectorELNS0_4arch9wavefront6targetE1EEEvT1_: ; @_ZN7rocprim17ROCPRIM_400000_NS6detail17trampoline_kernelINS0_14default_configENS1_25partition_config_selectorILNS1_17partition_subalgoE8ElNS0_10empty_typeEbEEZZNS1_14partition_implILS5_8ELb0ES3_jPlPS6_PKS6_NS0_5tupleIJS9_S6_EEENSD_IJSA_SA_EEENS0_18inequality_wrapperIZN2at6native12_GLOBAL__N_124unique_dim_cuda_templateIN3c108BFloat16EEESt5tupleIJNSH_6TensorESO_SO_EERKSO_lbbbEUlllE0_EEPmJS6_EEE10hipError_tPvRmT3_T4_T5_T6_T7_T9_mT8_P12ihipStream_tbDpT10_ENKUlT_T0_E_clISt17integral_constantIbLb0EES1D_IbLb1EEEEDaS19_S1A_EUlS19_E_NS1_11comp_targetILNS1_3genE3ELNS1_11target_archE908ELNS1_3gpuE7ELNS1_3repE0EEENS1_30default_config_static_selectorELNS0_4arch9wavefront6targetE1EEEvT1_
; %bb.0:
	.section	.rodata,"a",@progbits
	.p2align	6, 0x0
	.amdhsa_kernel _ZN7rocprim17ROCPRIM_400000_NS6detail17trampoline_kernelINS0_14default_configENS1_25partition_config_selectorILNS1_17partition_subalgoE8ElNS0_10empty_typeEbEEZZNS1_14partition_implILS5_8ELb0ES3_jPlPS6_PKS6_NS0_5tupleIJS9_S6_EEENSD_IJSA_SA_EEENS0_18inequality_wrapperIZN2at6native12_GLOBAL__N_124unique_dim_cuda_templateIN3c108BFloat16EEESt5tupleIJNSH_6TensorESO_SO_EERKSO_lbbbEUlllE0_EEPmJS6_EEE10hipError_tPvRmT3_T4_T5_T6_T7_T9_mT8_P12ihipStream_tbDpT10_ENKUlT_T0_E_clISt17integral_constantIbLb0EES1D_IbLb1EEEEDaS19_S1A_EUlS19_E_NS1_11comp_targetILNS1_3genE3ELNS1_11target_archE908ELNS1_3gpuE7ELNS1_3repE0EEENS1_30default_config_static_selectorELNS0_4arch9wavefront6targetE1EEEvT1_
		.amdhsa_group_segment_fixed_size 0
		.amdhsa_private_segment_fixed_size 0
		.amdhsa_kernarg_size 136
		.amdhsa_user_sgpr_count 6
		.amdhsa_user_sgpr_private_segment_buffer 1
		.amdhsa_user_sgpr_dispatch_ptr 0
		.amdhsa_user_sgpr_queue_ptr 0
		.amdhsa_user_sgpr_kernarg_segment_ptr 1
		.amdhsa_user_sgpr_dispatch_id 0
		.amdhsa_user_sgpr_flat_scratch_init 0
		.amdhsa_user_sgpr_kernarg_preload_length 0
		.amdhsa_user_sgpr_kernarg_preload_offset 0
		.amdhsa_user_sgpr_private_segment_size 0
		.amdhsa_uses_dynamic_stack 0
		.amdhsa_system_sgpr_private_segment_wavefront_offset 0
		.amdhsa_system_sgpr_workgroup_id_x 1
		.amdhsa_system_sgpr_workgroup_id_y 0
		.amdhsa_system_sgpr_workgroup_id_z 0
		.amdhsa_system_sgpr_workgroup_info 0
		.amdhsa_system_vgpr_workitem_id 0
		.amdhsa_next_free_vgpr 1
		.amdhsa_next_free_sgpr 0
		.amdhsa_accum_offset 4
		.amdhsa_reserve_vcc 0
		.amdhsa_reserve_flat_scratch 0
		.amdhsa_float_round_mode_32 0
		.amdhsa_float_round_mode_16_64 0
		.amdhsa_float_denorm_mode_32 3
		.amdhsa_float_denorm_mode_16_64 3
		.amdhsa_dx10_clamp 1
		.amdhsa_ieee_mode 1
		.amdhsa_fp16_overflow 0
		.amdhsa_tg_split 0
		.amdhsa_exception_fp_ieee_invalid_op 0
		.amdhsa_exception_fp_denorm_src 0
		.amdhsa_exception_fp_ieee_div_zero 0
		.amdhsa_exception_fp_ieee_overflow 0
		.amdhsa_exception_fp_ieee_underflow 0
		.amdhsa_exception_fp_ieee_inexact 0
		.amdhsa_exception_int_div_zero 0
	.end_amdhsa_kernel
	.section	.text._ZN7rocprim17ROCPRIM_400000_NS6detail17trampoline_kernelINS0_14default_configENS1_25partition_config_selectorILNS1_17partition_subalgoE8ElNS0_10empty_typeEbEEZZNS1_14partition_implILS5_8ELb0ES3_jPlPS6_PKS6_NS0_5tupleIJS9_S6_EEENSD_IJSA_SA_EEENS0_18inequality_wrapperIZN2at6native12_GLOBAL__N_124unique_dim_cuda_templateIN3c108BFloat16EEESt5tupleIJNSH_6TensorESO_SO_EERKSO_lbbbEUlllE0_EEPmJS6_EEE10hipError_tPvRmT3_T4_T5_T6_T7_T9_mT8_P12ihipStream_tbDpT10_ENKUlT_T0_E_clISt17integral_constantIbLb0EES1D_IbLb1EEEEDaS19_S1A_EUlS19_E_NS1_11comp_targetILNS1_3genE3ELNS1_11target_archE908ELNS1_3gpuE7ELNS1_3repE0EEENS1_30default_config_static_selectorELNS0_4arch9wavefront6targetE1EEEvT1_,"axG",@progbits,_ZN7rocprim17ROCPRIM_400000_NS6detail17trampoline_kernelINS0_14default_configENS1_25partition_config_selectorILNS1_17partition_subalgoE8ElNS0_10empty_typeEbEEZZNS1_14partition_implILS5_8ELb0ES3_jPlPS6_PKS6_NS0_5tupleIJS9_S6_EEENSD_IJSA_SA_EEENS0_18inequality_wrapperIZN2at6native12_GLOBAL__N_124unique_dim_cuda_templateIN3c108BFloat16EEESt5tupleIJNSH_6TensorESO_SO_EERKSO_lbbbEUlllE0_EEPmJS6_EEE10hipError_tPvRmT3_T4_T5_T6_T7_T9_mT8_P12ihipStream_tbDpT10_ENKUlT_T0_E_clISt17integral_constantIbLb0EES1D_IbLb1EEEEDaS19_S1A_EUlS19_E_NS1_11comp_targetILNS1_3genE3ELNS1_11target_archE908ELNS1_3gpuE7ELNS1_3repE0EEENS1_30default_config_static_selectorELNS0_4arch9wavefront6targetE1EEEvT1_,comdat
.Lfunc_end1200:
	.size	_ZN7rocprim17ROCPRIM_400000_NS6detail17trampoline_kernelINS0_14default_configENS1_25partition_config_selectorILNS1_17partition_subalgoE8ElNS0_10empty_typeEbEEZZNS1_14partition_implILS5_8ELb0ES3_jPlPS6_PKS6_NS0_5tupleIJS9_S6_EEENSD_IJSA_SA_EEENS0_18inequality_wrapperIZN2at6native12_GLOBAL__N_124unique_dim_cuda_templateIN3c108BFloat16EEESt5tupleIJNSH_6TensorESO_SO_EERKSO_lbbbEUlllE0_EEPmJS6_EEE10hipError_tPvRmT3_T4_T5_T6_T7_T9_mT8_P12ihipStream_tbDpT10_ENKUlT_T0_E_clISt17integral_constantIbLb0EES1D_IbLb1EEEEDaS19_S1A_EUlS19_E_NS1_11comp_targetILNS1_3genE3ELNS1_11target_archE908ELNS1_3gpuE7ELNS1_3repE0EEENS1_30default_config_static_selectorELNS0_4arch9wavefront6targetE1EEEvT1_, .Lfunc_end1200-_ZN7rocprim17ROCPRIM_400000_NS6detail17trampoline_kernelINS0_14default_configENS1_25partition_config_selectorILNS1_17partition_subalgoE8ElNS0_10empty_typeEbEEZZNS1_14partition_implILS5_8ELb0ES3_jPlPS6_PKS6_NS0_5tupleIJS9_S6_EEENSD_IJSA_SA_EEENS0_18inequality_wrapperIZN2at6native12_GLOBAL__N_124unique_dim_cuda_templateIN3c108BFloat16EEESt5tupleIJNSH_6TensorESO_SO_EERKSO_lbbbEUlllE0_EEPmJS6_EEE10hipError_tPvRmT3_T4_T5_T6_T7_T9_mT8_P12ihipStream_tbDpT10_ENKUlT_T0_E_clISt17integral_constantIbLb0EES1D_IbLb1EEEEDaS19_S1A_EUlS19_E_NS1_11comp_targetILNS1_3genE3ELNS1_11target_archE908ELNS1_3gpuE7ELNS1_3repE0EEENS1_30default_config_static_selectorELNS0_4arch9wavefront6targetE1EEEvT1_
                                        ; -- End function
	.section	.AMDGPU.csdata,"",@progbits
; Kernel info:
; codeLenInByte = 0
; NumSgprs: 4
; NumVgprs: 0
; NumAgprs: 0
; TotalNumVgprs: 0
; ScratchSize: 0
; MemoryBound: 0
; FloatMode: 240
; IeeeMode: 1
; LDSByteSize: 0 bytes/workgroup (compile time only)
; SGPRBlocks: 0
; VGPRBlocks: 0
; NumSGPRsForWavesPerEU: 4
; NumVGPRsForWavesPerEU: 1
; AccumOffset: 4
; Occupancy: 8
; WaveLimiterHint : 0
; COMPUTE_PGM_RSRC2:SCRATCH_EN: 0
; COMPUTE_PGM_RSRC2:USER_SGPR: 6
; COMPUTE_PGM_RSRC2:TRAP_HANDLER: 0
; COMPUTE_PGM_RSRC2:TGID_X_EN: 1
; COMPUTE_PGM_RSRC2:TGID_Y_EN: 0
; COMPUTE_PGM_RSRC2:TGID_Z_EN: 0
; COMPUTE_PGM_RSRC2:TIDIG_COMP_CNT: 0
; COMPUTE_PGM_RSRC3_GFX90A:ACCUM_OFFSET: 0
; COMPUTE_PGM_RSRC3_GFX90A:TG_SPLIT: 0
	.section	.text._ZN7rocprim17ROCPRIM_400000_NS6detail17trampoline_kernelINS0_14default_configENS1_25partition_config_selectorILNS1_17partition_subalgoE8ElNS0_10empty_typeEbEEZZNS1_14partition_implILS5_8ELb0ES3_jPlPS6_PKS6_NS0_5tupleIJS9_S6_EEENSD_IJSA_SA_EEENS0_18inequality_wrapperIZN2at6native12_GLOBAL__N_124unique_dim_cuda_templateIN3c108BFloat16EEESt5tupleIJNSH_6TensorESO_SO_EERKSO_lbbbEUlllE0_EEPmJS6_EEE10hipError_tPvRmT3_T4_T5_T6_T7_T9_mT8_P12ihipStream_tbDpT10_ENKUlT_T0_E_clISt17integral_constantIbLb0EES1D_IbLb1EEEEDaS19_S1A_EUlS19_E_NS1_11comp_targetILNS1_3genE2ELNS1_11target_archE906ELNS1_3gpuE6ELNS1_3repE0EEENS1_30default_config_static_selectorELNS0_4arch9wavefront6targetE1EEEvT1_,"axG",@progbits,_ZN7rocprim17ROCPRIM_400000_NS6detail17trampoline_kernelINS0_14default_configENS1_25partition_config_selectorILNS1_17partition_subalgoE8ElNS0_10empty_typeEbEEZZNS1_14partition_implILS5_8ELb0ES3_jPlPS6_PKS6_NS0_5tupleIJS9_S6_EEENSD_IJSA_SA_EEENS0_18inequality_wrapperIZN2at6native12_GLOBAL__N_124unique_dim_cuda_templateIN3c108BFloat16EEESt5tupleIJNSH_6TensorESO_SO_EERKSO_lbbbEUlllE0_EEPmJS6_EEE10hipError_tPvRmT3_T4_T5_T6_T7_T9_mT8_P12ihipStream_tbDpT10_ENKUlT_T0_E_clISt17integral_constantIbLb0EES1D_IbLb1EEEEDaS19_S1A_EUlS19_E_NS1_11comp_targetILNS1_3genE2ELNS1_11target_archE906ELNS1_3gpuE6ELNS1_3repE0EEENS1_30default_config_static_selectorELNS0_4arch9wavefront6targetE1EEEvT1_,comdat
	.globl	_ZN7rocprim17ROCPRIM_400000_NS6detail17trampoline_kernelINS0_14default_configENS1_25partition_config_selectorILNS1_17partition_subalgoE8ElNS0_10empty_typeEbEEZZNS1_14partition_implILS5_8ELb0ES3_jPlPS6_PKS6_NS0_5tupleIJS9_S6_EEENSD_IJSA_SA_EEENS0_18inequality_wrapperIZN2at6native12_GLOBAL__N_124unique_dim_cuda_templateIN3c108BFloat16EEESt5tupleIJNSH_6TensorESO_SO_EERKSO_lbbbEUlllE0_EEPmJS6_EEE10hipError_tPvRmT3_T4_T5_T6_T7_T9_mT8_P12ihipStream_tbDpT10_ENKUlT_T0_E_clISt17integral_constantIbLb0EES1D_IbLb1EEEEDaS19_S1A_EUlS19_E_NS1_11comp_targetILNS1_3genE2ELNS1_11target_archE906ELNS1_3gpuE6ELNS1_3repE0EEENS1_30default_config_static_selectorELNS0_4arch9wavefront6targetE1EEEvT1_ ; -- Begin function _ZN7rocprim17ROCPRIM_400000_NS6detail17trampoline_kernelINS0_14default_configENS1_25partition_config_selectorILNS1_17partition_subalgoE8ElNS0_10empty_typeEbEEZZNS1_14partition_implILS5_8ELb0ES3_jPlPS6_PKS6_NS0_5tupleIJS9_S6_EEENSD_IJSA_SA_EEENS0_18inequality_wrapperIZN2at6native12_GLOBAL__N_124unique_dim_cuda_templateIN3c108BFloat16EEESt5tupleIJNSH_6TensorESO_SO_EERKSO_lbbbEUlllE0_EEPmJS6_EEE10hipError_tPvRmT3_T4_T5_T6_T7_T9_mT8_P12ihipStream_tbDpT10_ENKUlT_T0_E_clISt17integral_constantIbLb0EES1D_IbLb1EEEEDaS19_S1A_EUlS19_E_NS1_11comp_targetILNS1_3genE2ELNS1_11target_archE906ELNS1_3gpuE6ELNS1_3repE0EEENS1_30default_config_static_selectorELNS0_4arch9wavefront6targetE1EEEvT1_
	.p2align	8
	.type	_ZN7rocprim17ROCPRIM_400000_NS6detail17trampoline_kernelINS0_14default_configENS1_25partition_config_selectorILNS1_17partition_subalgoE8ElNS0_10empty_typeEbEEZZNS1_14partition_implILS5_8ELb0ES3_jPlPS6_PKS6_NS0_5tupleIJS9_S6_EEENSD_IJSA_SA_EEENS0_18inequality_wrapperIZN2at6native12_GLOBAL__N_124unique_dim_cuda_templateIN3c108BFloat16EEESt5tupleIJNSH_6TensorESO_SO_EERKSO_lbbbEUlllE0_EEPmJS6_EEE10hipError_tPvRmT3_T4_T5_T6_T7_T9_mT8_P12ihipStream_tbDpT10_ENKUlT_T0_E_clISt17integral_constantIbLb0EES1D_IbLb1EEEEDaS19_S1A_EUlS19_E_NS1_11comp_targetILNS1_3genE2ELNS1_11target_archE906ELNS1_3gpuE6ELNS1_3repE0EEENS1_30default_config_static_selectorELNS0_4arch9wavefront6targetE1EEEvT1_,@function
_ZN7rocprim17ROCPRIM_400000_NS6detail17trampoline_kernelINS0_14default_configENS1_25partition_config_selectorILNS1_17partition_subalgoE8ElNS0_10empty_typeEbEEZZNS1_14partition_implILS5_8ELb0ES3_jPlPS6_PKS6_NS0_5tupleIJS9_S6_EEENSD_IJSA_SA_EEENS0_18inequality_wrapperIZN2at6native12_GLOBAL__N_124unique_dim_cuda_templateIN3c108BFloat16EEESt5tupleIJNSH_6TensorESO_SO_EERKSO_lbbbEUlllE0_EEPmJS6_EEE10hipError_tPvRmT3_T4_T5_T6_T7_T9_mT8_P12ihipStream_tbDpT10_ENKUlT_T0_E_clISt17integral_constantIbLb0EES1D_IbLb1EEEEDaS19_S1A_EUlS19_E_NS1_11comp_targetILNS1_3genE2ELNS1_11target_archE906ELNS1_3gpuE6ELNS1_3repE0EEENS1_30default_config_static_selectorELNS0_4arch9wavefront6targetE1EEEvT1_: ; @_ZN7rocprim17ROCPRIM_400000_NS6detail17trampoline_kernelINS0_14default_configENS1_25partition_config_selectorILNS1_17partition_subalgoE8ElNS0_10empty_typeEbEEZZNS1_14partition_implILS5_8ELb0ES3_jPlPS6_PKS6_NS0_5tupleIJS9_S6_EEENSD_IJSA_SA_EEENS0_18inequality_wrapperIZN2at6native12_GLOBAL__N_124unique_dim_cuda_templateIN3c108BFloat16EEESt5tupleIJNSH_6TensorESO_SO_EERKSO_lbbbEUlllE0_EEPmJS6_EEE10hipError_tPvRmT3_T4_T5_T6_T7_T9_mT8_P12ihipStream_tbDpT10_ENKUlT_T0_E_clISt17integral_constantIbLb0EES1D_IbLb1EEEEDaS19_S1A_EUlS19_E_NS1_11comp_targetILNS1_3genE2ELNS1_11target_archE906ELNS1_3gpuE6ELNS1_3repE0EEENS1_30default_config_static_selectorELNS0_4arch9wavefront6targetE1EEEvT1_
; %bb.0:
	.section	.rodata,"a",@progbits
	.p2align	6, 0x0
	.amdhsa_kernel _ZN7rocprim17ROCPRIM_400000_NS6detail17trampoline_kernelINS0_14default_configENS1_25partition_config_selectorILNS1_17partition_subalgoE8ElNS0_10empty_typeEbEEZZNS1_14partition_implILS5_8ELb0ES3_jPlPS6_PKS6_NS0_5tupleIJS9_S6_EEENSD_IJSA_SA_EEENS0_18inequality_wrapperIZN2at6native12_GLOBAL__N_124unique_dim_cuda_templateIN3c108BFloat16EEESt5tupleIJNSH_6TensorESO_SO_EERKSO_lbbbEUlllE0_EEPmJS6_EEE10hipError_tPvRmT3_T4_T5_T6_T7_T9_mT8_P12ihipStream_tbDpT10_ENKUlT_T0_E_clISt17integral_constantIbLb0EES1D_IbLb1EEEEDaS19_S1A_EUlS19_E_NS1_11comp_targetILNS1_3genE2ELNS1_11target_archE906ELNS1_3gpuE6ELNS1_3repE0EEENS1_30default_config_static_selectorELNS0_4arch9wavefront6targetE1EEEvT1_
		.amdhsa_group_segment_fixed_size 0
		.amdhsa_private_segment_fixed_size 0
		.amdhsa_kernarg_size 136
		.amdhsa_user_sgpr_count 6
		.amdhsa_user_sgpr_private_segment_buffer 1
		.amdhsa_user_sgpr_dispatch_ptr 0
		.amdhsa_user_sgpr_queue_ptr 0
		.amdhsa_user_sgpr_kernarg_segment_ptr 1
		.amdhsa_user_sgpr_dispatch_id 0
		.amdhsa_user_sgpr_flat_scratch_init 0
		.amdhsa_user_sgpr_kernarg_preload_length 0
		.amdhsa_user_sgpr_kernarg_preload_offset 0
		.amdhsa_user_sgpr_private_segment_size 0
		.amdhsa_uses_dynamic_stack 0
		.amdhsa_system_sgpr_private_segment_wavefront_offset 0
		.amdhsa_system_sgpr_workgroup_id_x 1
		.amdhsa_system_sgpr_workgroup_id_y 0
		.amdhsa_system_sgpr_workgroup_id_z 0
		.amdhsa_system_sgpr_workgroup_info 0
		.amdhsa_system_vgpr_workitem_id 0
		.amdhsa_next_free_vgpr 1
		.amdhsa_next_free_sgpr 0
		.amdhsa_accum_offset 4
		.amdhsa_reserve_vcc 0
		.amdhsa_reserve_flat_scratch 0
		.amdhsa_float_round_mode_32 0
		.amdhsa_float_round_mode_16_64 0
		.amdhsa_float_denorm_mode_32 3
		.amdhsa_float_denorm_mode_16_64 3
		.amdhsa_dx10_clamp 1
		.amdhsa_ieee_mode 1
		.amdhsa_fp16_overflow 0
		.amdhsa_tg_split 0
		.amdhsa_exception_fp_ieee_invalid_op 0
		.amdhsa_exception_fp_denorm_src 0
		.amdhsa_exception_fp_ieee_div_zero 0
		.amdhsa_exception_fp_ieee_overflow 0
		.amdhsa_exception_fp_ieee_underflow 0
		.amdhsa_exception_fp_ieee_inexact 0
		.amdhsa_exception_int_div_zero 0
	.end_amdhsa_kernel
	.section	.text._ZN7rocprim17ROCPRIM_400000_NS6detail17trampoline_kernelINS0_14default_configENS1_25partition_config_selectorILNS1_17partition_subalgoE8ElNS0_10empty_typeEbEEZZNS1_14partition_implILS5_8ELb0ES3_jPlPS6_PKS6_NS0_5tupleIJS9_S6_EEENSD_IJSA_SA_EEENS0_18inequality_wrapperIZN2at6native12_GLOBAL__N_124unique_dim_cuda_templateIN3c108BFloat16EEESt5tupleIJNSH_6TensorESO_SO_EERKSO_lbbbEUlllE0_EEPmJS6_EEE10hipError_tPvRmT3_T4_T5_T6_T7_T9_mT8_P12ihipStream_tbDpT10_ENKUlT_T0_E_clISt17integral_constantIbLb0EES1D_IbLb1EEEEDaS19_S1A_EUlS19_E_NS1_11comp_targetILNS1_3genE2ELNS1_11target_archE906ELNS1_3gpuE6ELNS1_3repE0EEENS1_30default_config_static_selectorELNS0_4arch9wavefront6targetE1EEEvT1_,"axG",@progbits,_ZN7rocprim17ROCPRIM_400000_NS6detail17trampoline_kernelINS0_14default_configENS1_25partition_config_selectorILNS1_17partition_subalgoE8ElNS0_10empty_typeEbEEZZNS1_14partition_implILS5_8ELb0ES3_jPlPS6_PKS6_NS0_5tupleIJS9_S6_EEENSD_IJSA_SA_EEENS0_18inequality_wrapperIZN2at6native12_GLOBAL__N_124unique_dim_cuda_templateIN3c108BFloat16EEESt5tupleIJNSH_6TensorESO_SO_EERKSO_lbbbEUlllE0_EEPmJS6_EEE10hipError_tPvRmT3_T4_T5_T6_T7_T9_mT8_P12ihipStream_tbDpT10_ENKUlT_T0_E_clISt17integral_constantIbLb0EES1D_IbLb1EEEEDaS19_S1A_EUlS19_E_NS1_11comp_targetILNS1_3genE2ELNS1_11target_archE906ELNS1_3gpuE6ELNS1_3repE0EEENS1_30default_config_static_selectorELNS0_4arch9wavefront6targetE1EEEvT1_,comdat
.Lfunc_end1201:
	.size	_ZN7rocprim17ROCPRIM_400000_NS6detail17trampoline_kernelINS0_14default_configENS1_25partition_config_selectorILNS1_17partition_subalgoE8ElNS0_10empty_typeEbEEZZNS1_14partition_implILS5_8ELb0ES3_jPlPS6_PKS6_NS0_5tupleIJS9_S6_EEENSD_IJSA_SA_EEENS0_18inequality_wrapperIZN2at6native12_GLOBAL__N_124unique_dim_cuda_templateIN3c108BFloat16EEESt5tupleIJNSH_6TensorESO_SO_EERKSO_lbbbEUlllE0_EEPmJS6_EEE10hipError_tPvRmT3_T4_T5_T6_T7_T9_mT8_P12ihipStream_tbDpT10_ENKUlT_T0_E_clISt17integral_constantIbLb0EES1D_IbLb1EEEEDaS19_S1A_EUlS19_E_NS1_11comp_targetILNS1_3genE2ELNS1_11target_archE906ELNS1_3gpuE6ELNS1_3repE0EEENS1_30default_config_static_selectorELNS0_4arch9wavefront6targetE1EEEvT1_, .Lfunc_end1201-_ZN7rocprim17ROCPRIM_400000_NS6detail17trampoline_kernelINS0_14default_configENS1_25partition_config_selectorILNS1_17partition_subalgoE8ElNS0_10empty_typeEbEEZZNS1_14partition_implILS5_8ELb0ES3_jPlPS6_PKS6_NS0_5tupleIJS9_S6_EEENSD_IJSA_SA_EEENS0_18inequality_wrapperIZN2at6native12_GLOBAL__N_124unique_dim_cuda_templateIN3c108BFloat16EEESt5tupleIJNSH_6TensorESO_SO_EERKSO_lbbbEUlllE0_EEPmJS6_EEE10hipError_tPvRmT3_T4_T5_T6_T7_T9_mT8_P12ihipStream_tbDpT10_ENKUlT_T0_E_clISt17integral_constantIbLb0EES1D_IbLb1EEEEDaS19_S1A_EUlS19_E_NS1_11comp_targetILNS1_3genE2ELNS1_11target_archE906ELNS1_3gpuE6ELNS1_3repE0EEENS1_30default_config_static_selectorELNS0_4arch9wavefront6targetE1EEEvT1_
                                        ; -- End function
	.section	.AMDGPU.csdata,"",@progbits
; Kernel info:
; codeLenInByte = 0
; NumSgprs: 4
; NumVgprs: 0
; NumAgprs: 0
; TotalNumVgprs: 0
; ScratchSize: 0
; MemoryBound: 0
; FloatMode: 240
; IeeeMode: 1
; LDSByteSize: 0 bytes/workgroup (compile time only)
; SGPRBlocks: 0
; VGPRBlocks: 0
; NumSGPRsForWavesPerEU: 4
; NumVGPRsForWavesPerEU: 1
; AccumOffset: 4
; Occupancy: 8
; WaveLimiterHint : 0
; COMPUTE_PGM_RSRC2:SCRATCH_EN: 0
; COMPUTE_PGM_RSRC2:USER_SGPR: 6
; COMPUTE_PGM_RSRC2:TRAP_HANDLER: 0
; COMPUTE_PGM_RSRC2:TGID_X_EN: 1
; COMPUTE_PGM_RSRC2:TGID_Y_EN: 0
; COMPUTE_PGM_RSRC2:TGID_Z_EN: 0
; COMPUTE_PGM_RSRC2:TIDIG_COMP_CNT: 0
; COMPUTE_PGM_RSRC3_GFX90A:ACCUM_OFFSET: 0
; COMPUTE_PGM_RSRC3_GFX90A:TG_SPLIT: 0
	.section	.text._ZN7rocprim17ROCPRIM_400000_NS6detail17trampoline_kernelINS0_14default_configENS1_25partition_config_selectorILNS1_17partition_subalgoE8ElNS0_10empty_typeEbEEZZNS1_14partition_implILS5_8ELb0ES3_jPlPS6_PKS6_NS0_5tupleIJS9_S6_EEENSD_IJSA_SA_EEENS0_18inequality_wrapperIZN2at6native12_GLOBAL__N_124unique_dim_cuda_templateIN3c108BFloat16EEESt5tupleIJNSH_6TensorESO_SO_EERKSO_lbbbEUlllE0_EEPmJS6_EEE10hipError_tPvRmT3_T4_T5_T6_T7_T9_mT8_P12ihipStream_tbDpT10_ENKUlT_T0_E_clISt17integral_constantIbLb0EES1D_IbLb1EEEEDaS19_S1A_EUlS19_E_NS1_11comp_targetILNS1_3genE10ELNS1_11target_archE1200ELNS1_3gpuE4ELNS1_3repE0EEENS1_30default_config_static_selectorELNS0_4arch9wavefront6targetE1EEEvT1_,"axG",@progbits,_ZN7rocprim17ROCPRIM_400000_NS6detail17trampoline_kernelINS0_14default_configENS1_25partition_config_selectorILNS1_17partition_subalgoE8ElNS0_10empty_typeEbEEZZNS1_14partition_implILS5_8ELb0ES3_jPlPS6_PKS6_NS0_5tupleIJS9_S6_EEENSD_IJSA_SA_EEENS0_18inequality_wrapperIZN2at6native12_GLOBAL__N_124unique_dim_cuda_templateIN3c108BFloat16EEESt5tupleIJNSH_6TensorESO_SO_EERKSO_lbbbEUlllE0_EEPmJS6_EEE10hipError_tPvRmT3_T4_T5_T6_T7_T9_mT8_P12ihipStream_tbDpT10_ENKUlT_T0_E_clISt17integral_constantIbLb0EES1D_IbLb1EEEEDaS19_S1A_EUlS19_E_NS1_11comp_targetILNS1_3genE10ELNS1_11target_archE1200ELNS1_3gpuE4ELNS1_3repE0EEENS1_30default_config_static_selectorELNS0_4arch9wavefront6targetE1EEEvT1_,comdat
	.globl	_ZN7rocprim17ROCPRIM_400000_NS6detail17trampoline_kernelINS0_14default_configENS1_25partition_config_selectorILNS1_17partition_subalgoE8ElNS0_10empty_typeEbEEZZNS1_14partition_implILS5_8ELb0ES3_jPlPS6_PKS6_NS0_5tupleIJS9_S6_EEENSD_IJSA_SA_EEENS0_18inequality_wrapperIZN2at6native12_GLOBAL__N_124unique_dim_cuda_templateIN3c108BFloat16EEESt5tupleIJNSH_6TensorESO_SO_EERKSO_lbbbEUlllE0_EEPmJS6_EEE10hipError_tPvRmT3_T4_T5_T6_T7_T9_mT8_P12ihipStream_tbDpT10_ENKUlT_T0_E_clISt17integral_constantIbLb0EES1D_IbLb1EEEEDaS19_S1A_EUlS19_E_NS1_11comp_targetILNS1_3genE10ELNS1_11target_archE1200ELNS1_3gpuE4ELNS1_3repE0EEENS1_30default_config_static_selectorELNS0_4arch9wavefront6targetE1EEEvT1_ ; -- Begin function _ZN7rocprim17ROCPRIM_400000_NS6detail17trampoline_kernelINS0_14default_configENS1_25partition_config_selectorILNS1_17partition_subalgoE8ElNS0_10empty_typeEbEEZZNS1_14partition_implILS5_8ELb0ES3_jPlPS6_PKS6_NS0_5tupleIJS9_S6_EEENSD_IJSA_SA_EEENS0_18inequality_wrapperIZN2at6native12_GLOBAL__N_124unique_dim_cuda_templateIN3c108BFloat16EEESt5tupleIJNSH_6TensorESO_SO_EERKSO_lbbbEUlllE0_EEPmJS6_EEE10hipError_tPvRmT3_T4_T5_T6_T7_T9_mT8_P12ihipStream_tbDpT10_ENKUlT_T0_E_clISt17integral_constantIbLb0EES1D_IbLb1EEEEDaS19_S1A_EUlS19_E_NS1_11comp_targetILNS1_3genE10ELNS1_11target_archE1200ELNS1_3gpuE4ELNS1_3repE0EEENS1_30default_config_static_selectorELNS0_4arch9wavefront6targetE1EEEvT1_
	.p2align	8
	.type	_ZN7rocprim17ROCPRIM_400000_NS6detail17trampoline_kernelINS0_14default_configENS1_25partition_config_selectorILNS1_17partition_subalgoE8ElNS0_10empty_typeEbEEZZNS1_14partition_implILS5_8ELb0ES3_jPlPS6_PKS6_NS0_5tupleIJS9_S6_EEENSD_IJSA_SA_EEENS0_18inequality_wrapperIZN2at6native12_GLOBAL__N_124unique_dim_cuda_templateIN3c108BFloat16EEESt5tupleIJNSH_6TensorESO_SO_EERKSO_lbbbEUlllE0_EEPmJS6_EEE10hipError_tPvRmT3_T4_T5_T6_T7_T9_mT8_P12ihipStream_tbDpT10_ENKUlT_T0_E_clISt17integral_constantIbLb0EES1D_IbLb1EEEEDaS19_S1A_EUlS19_E_NS1_11comp_targetILNS1_3genE10ELNS1_11target_archE1200ELNS1_3gpuE4ELNS1_3repE0EEENS1_30default_config_static_selectorELNS0_4arch9wavefront6targetE1EEEvT1_,@function
_ZN7rocprim17ROCPRIM_400000_NS6detail17trampoline_kernelINS0_14default_configENS1_25partition_config_selectorILNS1_17partition_subalgoE8ElNS0_10empty_typeEbEEZZNS1_14partition_implILS5_8ELb0ES3_jPlPS6_PKS6_NS0_5tupleIJS9_S6_EEENSD_IJSA_SA_EEENS0_18inequality_wrapperIZN2at6native12_GLOBAL__N_124unique_dim_cuda_templateIN3c108BFloat16EEESt5tupleIJNSH_6TensorESO_SO_EERKSO_lbbbEUlllE0_EEPmJS6_EEE10hipError_tPvRmT3_T4_T5_T6_T7_T9_mT8_P12ihipStream_tbDpT10_ENKUlT_T0_E_clISt17integral_constantIbLb0EES1D_IbLb1EEEEDaS19_S1A_EUlS19_E_NS1_11comp_targetILNS1_3genE10ELNS1_11target_archE1200ELNS1_3gpuE4ELNS1_3repE0EEENS1_30default_config_static_selectorELNS0_4arch9wavefront6targetE1EEEvT1_: ; @_ZN7rocprim17ROCPRIM_400000_NS6detail17trampoline_kernelINS0_14default_configENS1_25partition_config_selectorILNS1_17partition_subalgoE8ElNS0_10empty_typeEbEEZZNS1_14partition_implILS5_8ELb0ES3_jPlPS6_PKS6_NS0_5tupleIJS9_S6_EEENSD_IJSA_SA_EEENS0_18inequality_wrapperIZN2at6native12_GLOBAL__N_124unique_dim_cuda_templateIN3c108BFloat16EEESt5tupleIJNSH_6TensorESO_SO_EERKSO_lbbbEUlllE0_EEPmJS6_EEE10hipError_tPvRmT3_T4_T5_T6_T7_T9_mT8_P12ihipStream_tbDpT10_ENKUlT_T0_E_clISt17integral_constantIbLb0EES1D_IbLb1EEEEDaS19_S1A_EUlS19_E_NS1_11comp_targetILNS1_3genE10ELNS1_11target_archE1200ELNS1_3gpuE4ELNS1_3repE0EEENS1_30default_config_static_selectorELNS0_4arch9wavefront6targetE1EEEvT1_
; %bb.0:
	.section	.rodata,"a",@progbits
	.p2align	6, 0x0
	.amdhsa_kernel _ZN7rocprim17ROCPRIM_400000_NS6detail17trampoline_kernelINS0_14default_configENS1_25partition_config_selectorILNS1_17partition_subalgoE8ElNS0_10empty_typeEbEEZZNS1_14partition_implILS5_8ELb0ES3_jPlPS6_PKS6_NS0_5tupleIJS9_S6_EEENSD_IJSA_SA_EEENS0_18inequality_wrapperIZN2at6native12_GLOBAL__N_124unique_dim_cuda_templateIN3c108BFloat16EEESt5tupleIJNSH_6TensorESO_SO_EERKSO_lbbbEUlllE0_EEPmJS6_EEE10hipError_tPvRmT3_T4_T5_T6_T7_T9_mT8_P12ihipStream_tbDpT10_ENKUlT_T0_E_clISt17integral_constantIbLb0EES1D_IbLb1EEEEDaS19_S1A_EUlS19_E_NS1_11comp_targetILNS1_3genE10ELNS1_11target_archE1200ELNS1_3gpuE4ELNS1_3repE0EEENS1_30default_config_static_selectorELNS0_4arch9wavefront6targetE1EEEvT1_
		.amdhsa_group_segment_fixed_size 0
		.amdhsa_private_segment_fixed_size 0
		.amdhsa_kernarg_size 136
		.amdhsa_user_sgpr_count 6
		.amdhsa_user_sgpr_private_segment_buffer 1
		.amdhsa_user_sgpr_dispatch_ptr 0
		.amdhsa_user_sgpr_queue_ptr 0
		.amdhsa_user_sgpr_kernarg_segment_ptr 1
		.amdhsa_user_sgpr_dispatch_id 0
		.amdhsa_user_sgpr_flat_scratch_init 0
		.amdhsa_user_sgpr_kernarg_preload_length 0
		.amdhsa_user_sgpr_kernarg_preload_offset 0
		.amdhsa_user_sgpr_private_segment_size 0
		.amdhsa_uses_dynamic_stack 0
		.amdhsa_system_sgpr_private_segment_wavefront_offset 0
		.amdhsa_system_sgpr_workgroup_id_x 1
		.amdhsa_system_sgpr_workgroup_id_y 0
		.amdhsa_system_sgpr_workgroup_id_z 0
		.amdhsa_system_sgpr_workgroup_info 0
		.amdhsa_system_vgpr_workitem_id 0
		.amdhsa_next_free_vgpr 1
		.amdhsa_next_free_sgpr 0
		.amdhsa_accum_offset 4
		.amdhsa_reserve_vcc 0
		.amdhsa_reserve_flat_scratch 0
		.amdhsa_float_round_mode_32 0
		.amdhsa_float_round_mode_16_64 0
		.amdhsa_float_denorm_mode_32 3
		.amdhsa_float_denorm_mode_16_64 3
		.amdhsa_dx10_clamp 1
		.amdhsa_ieee_mode 1
		.amdhsa_fp16_overflow 0
		.amdhsa_tg_split 0
		.amdhsa_exception_fp_ieee_invalid_op 0
		.amdhsa_exception_fp_denorm_src 0
		.amdhsa_exception_fp_ieee_div_zero 0
		.amdhsa_exception_fp_ieee_overflow 0
		.amdhsa_exception_fp_ieee_underflow 0
		.amdhsa_exception_fp_ieee_inexact 0
		.amdhsa_exception_int_div_zero 0
	.end_amdhsa_kernel
	.section	.text._ZN7rocprim17ROCPRIM_400000_NS6detail17trampoline_kernelINS0_14default_configENS1_25partition_config_selectorILNS1_17partition_subalgoE8ElNS0_10empty_typeEbEEZZNS1_14partition_implILS5_8ELb0ES3_jPlPS6_PKS6_NS0_5tupleIJS9_S6_EEENSD_IJSA_SA_EEENS0_18inequality_wrapperIZN2at6native12_GLOBAL__N_124unique_dim_cuda_templateIN3c108BFloat16EEESt5tupleIJNSH_6TensorESO_SO_EERKSO_lbbbEUlllE0_EEPmJS6_EEE10hipError_tPvRmT3_T4_T5_T6_T7_T9_mT8_P12ihipStream_tbDpT10_ENKUlT_T0_E_clISt17integral_constantIbLb0EES1D_IbLb1EEEEDaS19_S1A_EUlS19_E_NS1_11comp_targetILNS1_3genE10ELNS1_11target_archE1200ELNS1_3gpuE4ELNS1_3repE0EEENS1_30default_config_static_selectorELNS0_4arch9wavefront6targetE1EEEvT1_,"axG",@progbits,_ZN7rocprim17ROCPRIM_400000_NS6detail17trampoline_kernelINS0_14default_configENS1_25partition_config_selectorILNS1_17partition_subalgoE8ElNS0_10empty_typeEbEEZZNS1_14partition_implILS5_8ELb0ES3_jPlPS6_PKS6_NS0_5tupleIJS9_S6_EEENSD_IJSA_SA_EEENS0_18inequality_wrapperIZN2at6native12_GLOBAL__N_124unique_dim_cuda_templateIN3c108BFloat16EEESt5tupleIJNSH_6TensorESO_SO_EERKSO_lbbbEUlllE0_EEPmJS6_EEE10hipError_tPvRmT3_T4_T5_T6_T7_T9_mT8_P12ihipStream_tbDpT10_ENKUlT_T0_E_clISt17integral_constantIbLb0EES1D_IbLb1EEEEDaS19_S1A_EUlS19_E_NS1_11comp_targetILNS1_3genE10ELNS1_11target_archE1200ELNS1_3gpuE4ELNS1_3repE0EEENS1_30default_config_static_selectorELNS0_4arch9wavefront6targetE1EEEvT1_,comdat
.Lfunc_end1202:
	.size	_ZN7rocprim17ROCPRIM_400000_NS6detail17trampoline_kernelINS0_14default_configENS1_25partition_config_selectorILNS1_17partition_subalgoE8ElNS0_10empty_typeEbEEZZNS1_14partition_implILS5_8ELb0ES3_jPlPS6_PKS6_NS0_5tupleIJS9_S6_EEENSD_IJSA_SA_EEENS0_18inequality_wrapperIZN2at6native12_GLOBAL__N_124unique_dim_cuda_templateIN3c108BFloat16EEESt5tupleIJNSH_6TensorESO_SO_EERKSO_lbbbEUlllE0_EEPmJS6_EEE10hipError_tPvRmT3_T4_T5_T6_T7_T9_mT8_P12ihipStream_tbDpT10_ENKUlT_T0_E_clISt17integral_constantIbLb0EES1D_IbLb1EEEEDaS19_S1A_EUlS19_E_NS1_11comp_targetILNS1_3genE10ELNS1_11target_archE1200ELNS1_3gpuE4ELNS1_3repE0EEENS1_30default_config_static_selectorELNS0_4arch9wavefront6targetE1EEEvT1_, .Lfunc_end1202-_ZN7rocprim17ROCPRIM_400000_NS6detail17trampoline_kernelINS0_14default_configENS1_25partition_config_selectorILNS1_17partition_subalgoE8ElNS0_10empty_typeEbEEZZNS1_14partition_implILS5_8ELb0ES3_jPlPS6_PKS6_NS0_5tupleIJS9_S6_EEENSD_IJSA_SA_EEENS0_18inequality_wrapperIZN2at6native12_GLOBAL__N_124unique_dim_cuda_templateIN3c108BFloat16EEESt5tupleIJNSH_6TensorESO_SO_EERKSO_lbbbEUlllE0_EEPmJS6_EEE10hipError_tPvRmT3_T4_T5_T6_T7_T9_mT8_P12ihipStream_tbDpT10_ENKUlT_T0_E_clISt17integral_constantIbLb0EES1D_IbLb1EEEEDaS19_S1A_EUlS19_E_NS1_11comp_targetILNS1_3genE10ELNS1_11target_archE1200ELNS1_3gpuE4ELNS1_3repE0EEENS1_30default_config_static_selectorELNS0_4arch9wavefront6targetE1EEEvT1_
                                        ; -- End function
	.section	.AMDGPU.csdata,"",@progbits
; Kernel info:
; codeLenInByte = 0
; NumSgprs: 4
; NumVgprs: 0
; NumAgprs: 0
; TotalNumVgprs: 0
; ScratchSize: 0
; MemoryBound: 0
; FloatMode: 240
; IeeeMode: 1
; LDSByteSize: 0 bytes/workgroup (compile time only)
; SGPRBlocks: 0
; VGPRBlocks: 0
; NumSGPRsForWavesPerEU: 4
; NumVGPRsForWavesPerEU: 1
; AccumOffset: 4
; Occupancy: 8
; WaveLimiterHint : 0
; COMPUTE_PGM_RSRC2:SCRATCH_EN: 0
; COMPUTE_PGM_RSRC2:USER_SGPR: 6
; COMPUTE_PGM_RSRC2:TRAP_HANDLER: 0
; COMPUTE_PGM_RSRC2:TGID_X_EN: 1
; COMPUTE_PGM_RSRC2:TGID_Y_EN: 0
; COMPUTE_PGM_RSRC2:TGID_Z_EN: 0
; COMPUTE_PGM_RSRC2:TIDIG_COMP_CNT: 0
; COMPUTE_PGM_RSRC3_GFX90A:ACCUM_OFFSET: 0
; COMPUTE_PGM_RSRC3_GFX90A:TG_SPLIT: 0
	.section	.text._ZN7rocprim17ROCPRIM_400000_NS6detail17trampoline_kernelINS0_14default_configENS1_25partition_config_selectorILNS1_17partition_subalgoE8ElNS0_10empty_typeEbEEZZNS1_14partition_implILS5_8ELb0ES3_jPlPS6_PKS6_NS0_5tupleIJS9_S6_EEENSD_IJSA_SA_EEENS0_18inequality_wrapperIZN2at6native12_GLOBAL__N_124unique_dim_cuda_templateIN3c108BFloat16EEESt5tupleIJNSH_6TensorESO_SO_EERKSO_lbbbEUlllE0_EEPmJS6_EEE10hipError_tPvRmT3_T4_T5_T6_T7_T9_mT8_P12ihipStream_tbDpT10_ENKUlT_T0_E_clISt17integral_constantIbLb0EES1D_IbLb1EEEEDaS19_S1A_EUlS19_E_NS1_11comp_targetILNS1_3genE9ELNS1_11target_archE1100ELNS1_3gpuE3ELNS1_3repE0EEENS1_30default_config_static_selectorELNS0_4arch9wavefront6targetE1EEEvT1_,"axG",@progbits,_ZN7rocprim17ROCPRIM_400000_NS6detail17trampoline_kernelINS0_14default_configENS1_25partition_config_selectorILNS1_17partition_subalgoE8ElNS0_10empty_typeEbEEZZNS1_14partition_implILS5_8ELb0ES3_jPlPS6_PKS6_NS0_5tupleIJS9_S6_EEENSD_IJSA_SA_EEENS0_18inequality_wrapperIZN2at6native12_GLOBAL__N_124unique_dim_cuda_templateIN3c108BFloat16EEESt5tupleIJNSH_6TensorESO_SO_EERKSO_lbbbEUlllE0_EEPmJS6_EEE10hipError_tPvRmT3_T4_T5_T6_T7_T9_mT8_P12ihipStream_tbDpT10_ENKUlT_T0_E_clISt17integral_constantIbLb0EES1D_IbLb1EEEEDaS19_S1A_EUlS19_E_NS1_11comp_targetILNS1_3genE9ELNS1_11target_archE1100ELNS1_3gpuE3ELNS1_3repE0EEENS1_30default_config_static_selectorELNS0_4arch9wavefront6targetE1EEEvT1_,comdat
	.globl	_ZN7rocprim17ROCPRIM_400000_NS6detail17trampoline_kernelINS0_14default_configENS1_25partition_config_selectorILNS1_17partition_subalgoE8ElNS0_10empty_typeEbEEZZNS1_14partition_implILS5_8ELb0ES3_jPlPS6_PKS6_NS0_5tupleIJS9_S6_EEENSD_IJSA_SA_EEENS0_18inequality_wrapperIZN2at6native12_GLOBAL__N_124unique_dim_cuda_templateIN3c108BFloat16EEESt5tupleIJNSH_6TensorESO_SO_EERKSO_lbbbEUlllE0_EEPmJS6_EEE10hipError_tPvRmT3_T4_T5_T6_T7_T9_mT8_P12ihipStream_tbDpT10_ENKUlT_T0_E_clISt17integral_constantIbLb0EES1D_IbLb1EEEEDaS19_S1A_EUlS19_E_NS1_11comp_targetILNS1_3genE9ELNS1_11target_archE1100ELNS1_3gpuE3ELNS1_3repE0EEENS1_30default_config_static_selectorELNS0_4arch9wavefront6targetE1EEEvT1_ ; -- Begin function _ZN7rocprim17ROCPRIM_400000_NS6detail17trampoline_kernelINS0_14default_configENS1_25partition_config_selectorILNS1_17partition_subalgoE8ElNS0_10empty_typeEbEEZZNS1_14partition_implILS5_8ELb0ES3_jPlPS6_PKS6_NS0_5tupleIJS9_S6_EEENSD_IJSA_SA_EEENS0_18inequality_wrapperIZN2at6native12_GLOBAL__N_124unique_dim_cuda_templateIN3c108BFloat16EEESt5tupleIJNSH_6TensorESO_SO_EERKSO_lbbbEUlllE0_EEPmJS6_EEE10hipError_tPvRmT3_T4_T5_T6_T7_T9_mT8_P12ihipStream_tbDpT10_ENKUlT_T0_E_clISt17integral_constantIbLb0EES1D_IbLb1EEEEDaS19_S1A_EUlS19_E_NS1_11comp_targetILNS1_3genE9ELNS1_11target_archE1100ELNS1_3gpuE3ELNS1_3repE0EEENS1_30default_config_static_selectorELNS0_4arch9wavefront6targetE1EEEvT1_
	.p2align	8
	.type	_ZN7rocprim17ROCPRIM_400000_NS6detail17trampoline_kernelINS0_14default_configENS1_25partition_config_selectorILNS1_17partition_subalgoE8ElNS0_10empty_typeEbEEZZNS1_14partition_implILS5_8ELb0ES3_jPlPS6_PKS6_NS0_5tupleIJS9_S6_EEENSD_IJSA_SA_EEENS0_18inequality_wrapperIZN2at6native12_GLOBAL__N_124unique_dim_cuda_templateIN3c108BFloat16EEESt5tupleIJNSH_6TensorESO_SO_EERKSO_lbbbEUlllE0_EEPmJS6_EEE10hipError_tPvRmT3_T4_T5_T6_T7_T9_mT8_P12ihipStream_tbDpT10_ENKUlT_T0_E_clISt17integral_constantIbLb0EES1D_IbLb1EEEEDaS19_S1A_EUlS19_E_NS1_11comp_targetILNS1_3genE9ELNS1_11target_archE1100ELNS1_3gpuE3ELNS1_3repE0EEENS1_30default_config_static_selectorELNS0_4arch9wavefront6targetE1EEEvT1_,@function
_ZN7rocprim17ROCPRIM_400000_NS6detail17trampoline_kernelINS0_14default_configENS1_25partition_config_selectorILNS1_17partition_subalgoE8ElNS0_10empty_typeEbEEZZNS1_14partition_implILS5_8ELb0ES3_jPlPS6_PKS6_NS0_5tupleIJS9_S6_EEENSD_IJSA_SA_EEENS0_18inequality_wrapperIZN2at6native12_GLOBAL__N_124unique_dim_cuda_templateIN3c108BFloat16EEESt5tupleIJNSH_6TensorESO_SO_EERKSO_lbbbEUlllE0_EEPmJS6_EEE10hipError_tPvRmT3_T4_T5_T6_T7_T9_mT8_P12ihipStream_tbDpT10_ENKUlT_T0_E_clISt17integral_constantIbLb0EES1D_IbLb1EEEEDaS19_S1A_EUlS19_E_NS1_11comp_targetILNS1_3genE9ELNS1_11target_archE1100ELNS1_3gpuE3ELNS1_3repE0EEENS1_30default_config_static_selectorELNS0_4arch9wavefront6targetE1EEEvT1_: ; @_ZN7rocprim17ROCPRIM_400000_NS6detail17trampoline_kernelINS0_14default_configENS1_25partition_config_selectorILNS1_17partition_subalgoE8ElNS0_10empty_typeEbEEZZNS1_14partition_implILS5_8ELb0ES3_jPlPS6_PKS6_NS0_5tupleIJS9_S6_EEENSD_IJSA_SA_EEENS0_18inequality_wrapperIZN2at6native12_GLOBAL__N_124unique_dim_cuda_templateIN3c108BFloat16EEESt5tupleIJNSH_6TensorESO_SO_EERKSO_lbbbEUlllE0_EEPmJS6_EEE10hipError_tPvRmT3_T4_T5_T6_T7_T9_mT8_P12ihipStream_tbDpT10_ENKUlT_T0_E_clISt17integral_constantIbLb0EES1D_IbLb1EEEEDaS19_S1A_EUlS19_E_NS1_11comp_targetILNS1_3genE9ELNS1_11target_archE1100ELNS1_3gpuE3ELNS1_3repE0EEENS1_30default_config_static_selectorELNS0_4arch9wavefront6targetE1EEEvT1_
; %bb.0:
	.section	.rodata,"a",@progbits
	.p2align	6, 0x0
	.amdhsa_kernel _ZN7rocprim17ROCPRIM_400000_NS6detail17trampoline_kernelINS0_14default_configENS1_25partition_config_selectorILNS1_17partition_subalgoE8ElNS0_10empty_typeEbEEZZNS1_14partition_implILS5_8ELb0ES3_jPlPS6_PKS6_NS0_5tupleIJS9_S6_EEENSD_IJSA_SA_EEENS0_18inequality_wrapperIZN2at6native12_GLOBAL__N_124unique_dim_cuda_templateIN3c108BFloat16EEESt5tupleIJNSH_6TensorESO_SO_EERKSO_lbbbEUlllE0_EEPmJS6_EEE10hipError_tPvRmT3_T4_T5_T6_T7_T9_mT8_P12ihipStream_tbDpT10_ENKUlT_T0_E_clISt17integral_constantIbLb0EES1D_IbLb1EEEEDaS19_S1A_EUlS19_E_NS1_11comp_targetILNS1_3genE9ELNS1_11target_archE1100ELNS1_3gpuE3ELNS1_3repE0EEENS1_30default_config_static_selectorELNS0_4arch9wavefront6targetE1EEEvT1_
		.amdhsa_group_segment_fixed_size 0
		.amdhsa_private_segment_fixed_size 0
		.amdhsa_kernarg_size 136
		.amdhsa_user_sgpr_count 6
		.amdhsa_user_sgpr_private_segment_buffer 1
		.amdhsa_user_sgpr_dispatch_ptr 0
		.amdhsa_user_sgpr_queue_ptr 0
		.amdhsa_user_sgpr_kernarg_segment_ptr 1
		.amdhsa_user_sgpr_dispatch_id 0
		.amdhsa_user_sgpr_flat_scratch_init 0
		.amdhsa_user_sgpr_kernarg_preload_length 0
		.amdhsa_user_sgpr_kernarg_preload_offset 0
		.amdhsa_user_sgpr_private_segment_size 0
		.amdhsa_uses_dynamic_stack 0
		.amdhsa_system_sgpr_private_segment_wavefront_offset 0
		.amdhsa_system_sgpr_workgroup_id_x 1
		.amdhsa_system_sgpr_workgroup_id_y 0
		.amdhsa_system_sgpr_workgroup_id_z 0
		.amdhsa_system_sgpr_workgroup_info 0
		.amdhsa_system_vgpr_workitem_id 0
		.amdhsa_next_free_vgpr 1
		.amdhsa_next_free_sgpr 0
		.amdhsa_accum_offset 4
		.amdhsa_reserve_vcc 0
		.amdhsa_reserve_flat_scratch 0
		.amdhsa_float_round_mode_32 0
		.amdhsa_float_round_mode_16_64 0
		.amdhsa_float_denorm_mode_32 3
		.amdhsa_float_denorm_mode_16_64 3
		.amdhsa_dx10_clamp 1
		.amdhsa_ieee_mode 1
		.amdhsa_fp16_overflow 0
		.amdhsa_tg_split 0
		.amdhsa_exception_fp_ieee_invalid_op 0
		.amdhsa_exception_fp_denorm_src 0
		.amdhsa_exception_fp_ieee_div_zero 0
		.amdhsa_exception_fp_ieee_overflow 0
		.amdhsa_exception_fp_ieee_underflow 0
		.amdhsa_exception_fp_ieee_inexact 0
		.amdhsa_exception_int_div_zero 0
	.end_amdhsa_kernel
	.section	.text._ZN7rocprim17ROCPRIM_400000_NS6detail17trampoline_kernelINS0_14default_configENS1_25partition_config_selectorILNS1_17partition_subalgoE8ElNS0_10empty_typeEbEEZZNS1_14partition_implILS5_8ELb0ES3_jPlPS6_PKS6_NS0_5tupleIJS9_S6_EEENSD_IJSA_SA_EEENS0_18inequality_wrapperIZN2at6native12_GLOBAL__N_124unique_dim_cuda_templateIN3c108BFloat16EEESt5tupleIJNSH_6TensorESO_SO_EERKSO_lbbbEUlllE0_EEPmJS6_EEE10hipError_tPvRmT3_T4_T5_T6_T7_T9_mT8_P12ihipStream_tbDpT10_ENKUlT_T0_E_clISt17integral_constantIbLb0EES1D_IbLb1EEEEDaS19_S1A_EUlS19_E_NS1_11comp_targetILNS1_3genE9ELNS1_11target_archE1100ELNS1_3gpuE3ELNS1_3repE0EEENS1_30default_config_static_selectorELNS0_4arch9wavefront6targetE1EEEvT1_,"axG",@progbits,_ZN7rocprim17ROCPRIM_400000_NS6detail17trampoline_kernelINS0_14default_configENS1_25partition_config_selectorILNS1_17partition_subalgoE8ElNS0_10empty_typeEbEEZZNS1_14partition_implILS5_8ELb0ES3_jPlPS6_PKS6_NS0_5tupleIJS9_S6_EEENSD_IJSA_SA_EEENS0_18inequality_wrapperIZN2at6native12_GLOBAL__N_124unique_dim_cuda_templateIN3c108BFloat16EEESt5tupleIJNSH_6TensorESO_SO_EERKSO_lbbbEUlllE0_EEPmJS6_EEE10hipError_tPvRmT3_T4_T5_T6_T7_T9_mT8_P12ihipStream_tbDpT10_ENKUlT_T0_E_clISt17integral_constantIbLb0EES1D_IbLb1EEEEDaS19_S1A_EUlS19_E_NS1_11comp_targetILNS1_3genE9ELNS1_11target_archE1100ELNS1_3gpuE3ELNS1_3repE0EEENS1_30default_config_static_selectorELNS0_4arch9wavefront6targetE1EEEvT1_,comdat
.Lfunc_end1203:
	.size	_ZN7rocprim17ROCPRIM_400000_NS6detail17trampoline_kernelINS0_14default_configENS1_25partition_config_selectorILNS1_17partition_subalgoE8ElNS0_10empty_typeEbEEZZNS1_14partition_implILS5_8ELb0ES3_jPlPS6_PKS6_NS0_5tupleIJS9_S6_EEENSD_IJSA_SA_EEENS0_18inequality_wrapperIZN2at6native12_GLOBAL__N_124unique_dim_cuda_templateIN3c108BFloat16EEESt5tupleIJNSH_6TensorESO_SO_EERKSO_lbbbEUlllE0_EEPmJS6_EEE10hipError_tPvRmT3_T4_T5_T6_T7_T9_mT8_P12ihipStream_tbDpT10_ENKUlT_T0_E_clISt17integral_constantIbLb0EES1D_IbLb1EEEEDaS19_S1A_EUlS19_E_NS1_11comp_targetILNS1_3genE9ELNS1_11target_archE1100ELNS1_3gpuE3ELNS1_3repE0EEENS1_30default_config_static_selectorELNS0_4arch9wavefront6targetE1EEEvT1_, .Lfunc_end1203-_ZN7rocprim17ROCPRIM_400000_NS6detail17trampoline_kernelINS0_14default_configENS1_25partition_config_selectorILNS1_17partition_subalgoE8ElNS0_10empty_typeEbEEZZNS1_14partition_implILS5_8ELb0ES3_jPlPS6_PKS6_NS0_5tupleIJS9_S6_EEENSD_IJSA_SA_EEENS0_18inequality_wrapperIZN2at6native12_GLOBAL__N_124unique_dim_cuda_templateIN3c108BFloat16EEESt5tupleIJNSH_6TensorESO_SO_EERKSO_lbbbEUlllE0_EEPmJS6_EEE10hipError_tPvRmT3_T4_T5_T6_T7_T9_mT8_P12ihipStream_tbDpT10_ENKUlT_T0_E_clISt17integral_constantIbLb0EES1D_IbLb1EEEEDaS19_S1A_EUlS19_E_NS1_11comp_targetILNS1_3genE9ELNS1_11target_archE1100ELNS1_3gpuE3ELNS1_3repE0EEENS1_30default_config_static_selectorELNS0_4arch9wavefront6targetE1EEEvT1_
                                        ; -- End function
	.section	.AMDGPU.csdata,"",@progbits
; Kernel info:
; codeLenInByte = 0
; NumSgprs: 4
; NumVgprs: 0
; NumAgprs: 0
; TotalNumVgprs: 0
; ScratchSize: 0
; MemoryBound: 0
; FloatMode: 240
; IeeeMode: 1
; LDSByteSize: 0 bytes/workgroup (compile time only)
; SGPRBlocks: 0
; VGPRBlocks: 0
; NumSGPRsForWavesPerEU: 4
; NumVGPRsForWavesPerEU: 1
; AccumOffset: 4
; Occupancy: 8
; WaveLimiterHint : 0
; COMPUTE_PGM_RSRC2:SCRATCH_EN: 0
; COMPUTE_PGM_RSRC2:USER_SGPR: 6
; COMPUTE_PGM_RSRC2:TRAP_HANDLER: 0
; COMPUTE_PGM_RSRC2:TGID_X_EN: 1
; COMPUTE_PGM_RSRC2:TGID_Y_EN: 0
; COMPUTE_PGM_RSRC2:TGID_Z_EN: 0
; COMPUTE_PGM_RSRC2:TIDIG_COMP_CNT: 0
; COMPUTE_PGM_RSRC3_GFX90A:ACCUM_OFFSET: 0
; COMPUTE_PGM_RSRC3_GFX90A:TG_SPLIT: 0
	.section	.text._ZN7rocprim17ROCPRIM_400000_NS6detail17trampoline_kernelINS0_14default_configENS1_25partition_config_selectorILNS1_17partition_subalgoE8ElNS0_10empty_typeEbEEZZNS1_14partition_implILS5_8ELb0ES3_jPlPS6_PKS6_NS0_5tupleIJS9_S6_EEENSD_IJSA_SA_EEENS0_18inequality_wrapperIZN2at6native12_GLOBAL__N_124unique_dim_cuda_templateIN3c108BFloat16EEESt5tupleIJNSH_6TensorESO_SO_EERKSO_lbbbEUlllE0_EEPmJS6_EEE10hipError_tPvRmT3_T4_T5_T6_T7_T9_mT8_P12ihipStream_tbDpT10_ENKUlT_T0_E_clISt17integral_constantIbLb0EES1D_IbLb1EEEEDaS19_S1A_EUlS19_E_NS1_11comp_targetILNS1_3genE8ELNS1_11target_archE1030ELNS1_3gpuE2ELNS1_3repE0EEENS1_30default_config_static_selectorELNS0_4arch9wavefront6targetE1EEEvT1_,"axG",@progbits,_ZN7rocprim17ROCPRIM_400000_NS6detail17trampoline_kernelINS0_14default_configENS1_25partition_config_selectorILNS1_17partition_subalgoE8ElNS0_10empty_typeEbEEZZNS1_14partition_implILS5_8ELb0ES3_jPlPS6_PKS6_NS0_5tupleIJS9_S6_EEENSD_IJSA_SA_EEENS0_18inequality_wrapperIZN2at6native12_GLOBAL__N_124unique_dim_cuda_templateIN3c108BFloat16EEESt5tupleIJNSH_6TensorESO_SO_EERKSO_lbbbEUlllE0_EEPmJS6_EEE10hipError_tPvRmT3_T4_T5_T6_T7_T9_mT8_P12ihipStream_tbDpT10_ENKUlT_T0_E_clISt17integral_constantIbLb0EES1D_IbLb1EEEEDaS19_S1A_EUlS19_E_NS1_11comp_targetILNS1_3genE8ELNS1_11target_archE1030ELNS1_3gpuE2ELNS1_3repE0EEENS1_30default_config_static_selectorELNS0_4arch9wavefront6targetE1EEEvT1_,comdat
	.globl	_ZN7rocprim17ROCPRIM_400000_NS6detail17trampoline_kernelINS0_14default_configENS1_25partition_config_selectorILNS1_17partition_subalgoE8ElNS0_10empty_typeEbEEZZNS1_14partition_implILS5_8ELb0ES3_jPlPS6_PKS6_NS0_5tupleIJS9_S6_EEENSD_IJSA_SA_EEENS0_18inequality_wrapperIZN2at6native12_GLOBAL__N_124unique_dim_cuda_templateIN3c108BFloat16EEESt5tupleIJNSH_6TensorESO_SO_EERKSO_lbbbEUlllE0_EEPmJS6_EEE10hipError_tPvRmT3_T4_T5_T6_T7_T9_mT8_P12ihipStream_tbDpT10_ENKUlT_T0_E_clISt17integral_constantIbLb0EES1D_IbLb1EEEEDaS19_S1A_EUlS19_E_NS1_11comp_targetILNS1_3genE8ELNS1_11target_archE1030ELNS1_3gpuE2ELNS1_3repE0EEENS1_30default_config_static_selectorELNS0_4arch9wavefront6targetE1EEEvT1_ ; -- Begin function _ZN7rocprim17ROCPRIM_400000_NS6detail17trampoline_kernelINS0_14default_configENS1_25partition_config_selectorILNS1_17partition_subalgoE8ElNS0_10empty_typeEbEEZZNS1_14partition_implILS5_8ELb0ES3_jPlPS6_PKS6_NS0_5tupleIJS9_S6_EEENSD_IJSA_SA_EEENS0_18inequality_wrapperIZN2at6native12_GLOBAL__N_124unique_dim_cuda_templateIN3c108BFloat16EEESt5tupleIJNSH_6TensorESO_SO_EERKSO_lbbbEUlllE0_EEPmJS6_EEE10hipError_tPvRmT3_T4_T5_T6_T7_T9_mT8_P12ihipStream_tbDpT10_ENKUlT_T0_E_clISt17integral_constantIbLb0EES1D_IbLb1EEEEDaS19_S1A_EUlS19_E_NS1_11comp_targetILNS1_3genE8ELNS1_11target_archE1030ELNS1_3gpuE2ELNS1_3repE0EEENS1_30default_config_static_selectorELNS0_4arch9wavefront6targetE1EEEvT1_
	.p2align	8
	.type	_ZN7rocprim17ROCPRIM_400000_NS6detail17trampoline_kernelINS0_14default_configENS1_25partition_config_selectorILNS1_17partition_subalgoE8ElNS0_10empty_typeEbEEZZNS1_14partition_implILS5_8ELb0ES3_jPlPS6_PKS6_NS0_5tupleIJS9_S6_EEENSD_IJSA_SA_EEENS0_18inequality_wrapperIZN2at6native12_GLOBAL__N_124unique_dim_cuda_templateIN3c108BFloat16EEESt5tupleIJNSH_6TensorESO_SO_EERKSO_lbbbEUlllE0_EEPmJS6_EEE10hipError_tPvRmT3_T4_T5_T6_T7_T9_mT8_P12ihipStream_tbDpT10_ENKUlT_T0_E_clISt17integral_constantIbLb0EES1D_IbLb1EEEEDaS19_S1A_EUlS19_E_NS1_11comp_targetILNS1_3genE8ELNS1_11target_archE1030ELNS1_3gpuE2ELNS1_3repE0EEENS1_30default_config_static_selectorELNS0_4arch9wavefront6targetE1EEEvT1_,@function
_ZN7rocprim17ROCPRIM_400000_NS6detail17trampoline_kernelINS0_14default_configENS1_25partition_config_selectorILNS1_17partition_subalgoE8ElNS0_10empty_typeEbEEZZNS1_14partition_implILS5_8ELb0ES3_jPlPS6_PKS6_NS0_5tupleIJS9_S6_EEENSD_IJSA_SA_EEENS0_18inequality_wrapperIZN2at6native12_GLOBAL__N_124unique_dim_cuda_templateIN3c108BFloat16EEESt5tupleIJNSH_6TensorESO_SO_EERKSO_lbbbEUlllE0_EEPmJS6_EEE10hipError_tPvRmT3_T4_T5_T6_T7_T9_mT8_P12ihipStream_tbDpT10_ENKUlT_T0_E_clISt17integral_constantIbLb0EES1D_IbLb1EEEEDaS19_S1A_EUlS19_E_NS1_11comp_targetILNS1_3genE8ELNS1_11target_archE1030ELNS1_3gpuE2ELNS1_3repE0EEENS1_30default_config_static_selectorELNS0_4arch9wavefront6targetE1EEEvT1_: ; @_ZN7rocprim17ROCPRIM_400000_NS6detail17trampoline_kernelINS0_14default_configENS1_25partition_config_selectorILNS1_17partition_subalgoE8ElNS0_10empty_typeEbEEZZNS1_14partition_implILS5_8ELb0ES3_jPlPS6_PKS6_NS0_5tupleIJS9_S6_EEENSD_IJSA_SA_EEENS0_18inequality_wrapperIZN2at6native12_GLOBAL__N_124unique_dim_cuda_templateIN3c108BFloat16EEESt5tupleIJNSH_6TensorESO_SO_EERKSO_lbbbEUlllE0_EEPmJS6_EEE10hipError_tPvRmT3_T4_T5_T6_T7_T9_mT8_P12ihipStream_tbDpT10_ENKUlT_T0_E_clISt17integral_constantIbLb0EES1D_IbLb1EEEEDaS19_S1A_EUlS19_E_NS1_11comp_targetILNS1_3genE8ELNS1_11target_archE1030ELNS1_3gpuE2ELNS1_3repE0EEENS1_30default_config_static_selectorELNS0_4arch9wavefront6targetE1EEEvT1_
; %bb.0:
	.section	.rodata,"a",@progbits
	.p2align	6, 0x0
	.amdhsa_kernel _ZN7rocprim17ROCPRIM_400000_NS6detail17trampoline_kernelINS0_14default_configENS1_25partition_config_selectorILNS1_17partition_subalgoE8ElNS0_10empty_typeEbEEZZNS1_14partition_implILS5_8ELb0ES3_jPlPS6_PKS6_NS0_5tupleIJS9_S6_EEENSD_IJSA_SA_EEENS0_18inequality_wrapperIZN2at6native12_GLOBAL__N_124unique_dim_cuda_templateIN3c108BFloat16EEESt5tupleIJNSH_6TensorESO_SO_EERKSO_lbbbEUlllE0_EEPmJS6_EEE10hipError_tPvRmT3_T4_T5_T6_T7_T9_mT8_P12ihipStream_tbDpT10_ENKUlT_T0_E_clISt17integral_constantIbLb0EES1D_IbLb1EEEEDaS19_S1A_EUlS19_E_NS1_11comp_targetILNS1_3genE8ELNS1_11target_archE1030ELNS1_3gpuE2ELNS1_3repE0EEENS1_30default_config_static_selectorELNS0_4arch9wavefront6targetE1EEEvT1_
		.amdhsa_group_segment_fixed_size 0
		.amdhsa_private_segment_fixed_size 0
		.amdhsa_kernarg_size 136
		.amdhsa_user_sgpr_count 6
		.amdhsa_user_sgpr_private_segment_buffer 1
		.amdhsa_user_sgpr_dispatch_ptr 0
		.amdhsa_user_sgpr_queue_ptr 0
		.amdhsa_user_sgpr_kernarg_segment_ptr 1
		.amdhsa_user_sgpr_dispatch_id 0
		.amdhsa_user_sgpr_flat_scratch_init 0
		.amdhsa_user_sgpr_kernarg_preload_length 0
		.amdhsa_user_sgpr_kernarg_preload_offset 0
		.amdhsa_user_sgpr_private_segment_size 0
		.amdhsa_uses_dynamic_stack 0
		.amdhsa_system_sgpr_private_segment_wavefront_offset 0
		.amdhsa_system_sgpr_workgroup_id_x 1
		.amdhsa_system_sgpr_workgroup_id_y 0
		.amdhsa_system_sgpr_workgroup_id_z 0
		.amdhsa_system_sgpr_workgroup_info 0
		.amdhsa_system_vgpr_workitem_id 0
		.amdhsa_next_free_vgpr 1
		.amdhsa_next_free_sgpr 0
		.amdhsa_accum_offset 4
		.amdhsa_reserve_vcc 0
		.amdhsa_reserve_flat_scratch 0
		.amdhsa_float_round_mode_32 0
		.amdhsa_float_round_mode_16_64 0
		.amdhsa_float_denorm_mode_32 3
		.amdhsa_float_denorm_mode_16_64 3
		.amdhsa_dx10_clamp 1
		.amdhsa_ieee_mode 1
		.amdhsa_fp16_overflow 0
		.amdhsa_tg_split 0
		.amdhsa_exception_fp_ieee_invalid_op 0
		.amdhsa_exception_fp_denorm_src 0
		.amdhsa_exception_fp_ieee_div_zero 0
		.amdhsa_exception_fp_ieee_overflow 0
		.amdhsa_exception_fp_ieee_underflow 0
		.amdhsa_exception_fp_ieee_inexact 0
		.amdhsa_exception_int_div_zero 0
	.end_amdhsa_kernel
	.section	.text._ZN7rocprim17ROCPRIM_400000_NS6detail17trampoline_kernelINS0_14default_configENS1_25partition_config_selectorILNS1_17partition_subalgoE8ElNS0_10empty_typeEbEEZZNS1_14partition_implILS5_8ELb0ES3_jPlPS6_PKS6_NS0_5tupleIJS9_S6_EEENSD_IJSA_SA_EEENS0_18inequality_wrapperIZN2at6native12_GLOBAL__N_124unique_dim_cuda_templateIN3c108BFloat16EEESt5tupleIJNSH_6TensorESO_SO_EERKSO_lbbbEUlllE0_EEPmJS6_EEE10hipError_tPvRmT3_T4_T5_T6_T7_T9_mT8_P12ihipStream_tbDpT10_ENKUlT_T0_E_clISt17integral_constantIbLb0EES1D_IbLb1EEEEDaS19_S1A_EUlS19_E_NS1_11comp_targetILNS1_3genE8ELNS1_11target_archE1030ELNS1_3gpuE2ELNS1_3repE0EEENS1_30default_config_static_selectorELNS0_4arch9wavefront6targetE1EEEvT1_,"axG",@progbits,_ZN7rocprim17ROCPRIM_400000_NS6detail17trampoline_kernelINS0_14default_configENS1_25partition_config_selectorILNS1_17partition_subalgoE8ElNS0_10empty_typeEbEEZZNS1_14partition_implILS5_8ELb0ES3_jPlPS6_PKS6_NS0_5tupleIJS9_S6_EEENSD_IJSA_SA_EEENS0_18inequality_wrapperIZN2at6native12_GLOBAL__N_124unique_dim_cuda_templateIN3c108BFloat16EEESt5tupleIJNSH_6TensorESO_SO_EERKSO_lbbbEUlllE0_EEPmJS6_EEE10hipError_tPvRmT3_T4_T5_T6_T7_T9_mT8_P12ihipStream_tbDpT10_ENKUlT_T0_E_clISt17integral_constantIbLb0EES1D_IbLb1EEEEDaS19_S1A_EUlS19_E_NS1_11comp_targetILNS1_3genE8ELNS1_11target_archE1030ELNS1_3gpuE2ELNS1_3repE0EEENS1_30default_config_static_selectorELNS0_4arch9wavefront6targetE1EEEvT1_,comdat
.Lfunc_end1204:
	.size	_ZN7rocprim17ROCPRIM_400000_NS6detail17trampoline_kernelINS0_14default_configENS1_25partition_config_selectorILNS1_17partition_subalgoE8ElNS0_10empty_typeEbEEZZNS1_14partition_implILS5_8ELb0ES3_jPlPS6_PKS6_NS0_5tupleIJS9_S6_EEENSD_IJSA_SA_EEENS0_18inequality_wrapperIZN2at6native12_GLOBAL__N_124unique_dim_cuda_templateIN3c108BFloat16EEESt5tupleIJNSH_6TensorESO_SO_EERKSO_lbbbEUlllE0_EEPmJS6_EEE10hipError_tPvRmT3_T4_T5_T6_T7_T9_mT8_P12ihipStream_tbDpT10_ENKUlT_T0_E_clISt17integral_constantIbLb0EES1D_IbLb1EEEEDaS19_S1A_EUlS19_E_NS1_11comp_targetILNS1_3genE8ELNS1_11target_archE1030ELNS1_3gpuE2ELNS1_3repE0EEENS1_30default_config_static_selectorELNS0_4arch9wavefront6targetE1EEEvT1_, .Lfunc_end1204-_ZN7rocprim17ROCPRIM_400000_NS6detail17trampoline_kernelINS0_14default_configENS1_25partition_config_selectorILNS1_17partition_subalgoE8ElNS0_10empty_typeEbEEZZNS1_14partition_implILS5_8ELb0ES3_jPlPS6_PKS6_NS0_5tupleIJS9_S6_EEENSD_IJSA_SA_EEENS0_18inequality_wrapperIZN2at6native12_GLOBAL__N_124unique_dim_cuda_templateIN3c108BFloat16EEESt5tupleIJNSH_6TensorESO_SO_EERKSO_lbbbEUlllE0_EEPmJS6_EEE10hipError_tPvRmT3_T4_T5_T6_T7_T9_mT8_P12ihipStream_tbDpT10_ENKUlT_T0_E_clISt17integral_constantIbLb0EES1D_IbLb1EEEEDaS19_S1A_EUlS19_E_NS1_11comp_targetILNS1_3genE8ELNS1_11target_archE1030ELNS1_3gpuE2ELNS1_3repE0EEENS1_30default_config_static_selectorELNS0_4arch9wavefront6targetE1EEEvT1_
                                        ; -- End function
	.section	.AMDGPU.csdata,"",@progbits
; Kernel info:
; codeLenInByte = 0
; NumSgprs: 4
; NumVgprs: 0
; NumAgprs: 0
; TotalNumVgprs: 0
; ScratchSize: 0
; MemoryBound: 0
; FloatMode: 240
; IeeeMode: 1
; LDSByteSize: 0 bytes/workgroup (compile time only)
; SGPRBlocks: 0
; VGPRBlocks: 0
; NumSGPRsForWavesPerEU: 4
; NumVGPRsForWavesPerEU: 1
; AccumOffset: 4
; Occupancy: 8
; WaveLimiterHint : 0
; COMPUTE_PGM_RSRC2:SCRATCH_EN: 0
; COMPUTE_PGM_RSRC2:USER_SGPR: 6
; COMPUTE_PGM_RSRC2:TRAP_HANDLER: 0
; COMPUTE_PGM_RSRC2:TGID_X_EN: 1
; COMPUTE_PGM_RSRC2:TGID_Y_EN: 0
; COMPUTE_PGM_RSRC2:TGID_Z_EN: 0
; COMPUTE_PGM_RSRC2:TIDIG_COMP_CNT: 0
; COMPUTE_PGM_RSRC3_GFX90A:ACCUM_OFFSET: 0
; COMPUTE_PGM_RSRC3_GFX90A:TG_SPLIT: 0
	.section	.text._ZN7rocprim17ROCPRIM_400000_NS6detail17trampoline_kernelINS0_14default_configENS1_25partition_config_selectorILNS1_17partition_subalgoE9EllbEEZZNS1_14partition_implILS5_9ELb0ES3_jPlS8_PNS0_10empty_typeENS0_5tupleIJS8_S9_EEENSB_IJS8_SA_EEENS0_18inequality_wrapperIZN2at6native12_GLOBAL__N_124unique_dim_cuda_templateIN3c108BFloat16EEESt5tupleIJNSF_6TensorESM_SM_EERKSM_lbbbEUlllE0_EEPmJS9_EEE10hipError_tPvRmT3_T4_T5_T6_T7_T9_mT8_P12ihipStream_tbDpT10_ENKUlT_T0_E_clISt17integral_constantIbLb0EES1C_EEDaS17_S18_EUlS17_E_NS1_11comp_targetILNS1_3genE0ELNS1_11target_archE4294967295ELNS1_3gpuE0ELNS1_3repE0EEENS1_30default_config_static_selectorELNS0_4arch9wavefront6targetE1EEEvT1_,"axG",@progbits,_ZN7rocprim17ROCPRIM_400000_NS6detail17trampoline_kernelINS0_14default_configENS1_25partition_config_selectorILNS1_17partition_subalgoE9EllbEEZZNS1_14partition_implILS5_9ELb0ES3_jPlS8_PNS0_10empty_typeENS0_5tupleIJS8_S9_EEENSB_IJS8_SA_EEENS0_18inequality_wrapperIZN2at6native12_GLOBAL__N_124unique_dim_cuda_templateIN3c108BFloat16EEESt5tupleIJNSF_6TensorESM_SM_EERKSM_lbbbEUlllE0_EEPmJS9_EEE10hipError_tPvRmT3_T4_T5_T6_T7_T9_mT8_P12ihipStream_tbDpT10_ENKUlT_T0_E_clISt17integral_constantIbLb0EES1C_EEDaS17_S18_EUlS17_E_NS1_11comp_targetILNS1_3genE0ELNS1_11target_archE4294967295ELNS1_3gpuE0ELNS1_3repE0EEENS1_30default_config_static_selectorELNS0_4arch9wavefront6targetE1EEEvT1_,comdat
	.globl	_ZN7rocprim17ROCPRIM_400000_NS6detail17trampoline_kernelINS0_14default_configENS1_25partition_config_selectorILNS1_17partition_subalgoE9EllbEEZZNS1_14partition_implILS5_9ELb0ES3_jPlS8_PNS0_10empty_typeENS0_5tupleIJS8_S9_EEENSB_IJS8_SA_EEENS0_18inequality_wrapperIZN2at6native12_GLOBAL__N_124unique_dim_cuda_templateIN3c108BFloat16EEESt5tupleIJNSF_6TensorESM_SM_EERKSM_lbbbEUlllE0_EEPmJS9_EEE10hipError_tPvRmT3_T4_T5_T6_T7_T9_mT8_P12ihipStream_tbDpT10_ENKUlT_T0_E_clISt17integral_constantIbLb0EES1C_EEDaS17_S18_EUlS17_E_NS1_11comp_targetILNS1_3genE0ELNS1_11target_archE4294967295ELNS1_3gpuE0ELNS1_3repE0EEENS1_30default_config_static_selectorELNS0_4arch9wavefront6targetE1EEEvT1_ ; -- Begin function _ZN7rocprim17ROCPRIM_400000_NS6detail17trampoline_kernelINS0_14default_configENS1_25partition_config_selectorILNS1_17partition_subalgoE9EllbEEZZNS1_14partition_implILS5_9ELb0ES3_jPlS8_PNS0_10empty_typeENS0_5tupleIJS8_S9_EEENSB_IJS8_SA_EEENS0_18inequality_wrapperIZN2at6native12_GLOBAL__N_124unique_dim_cuda_templateIN3c108BFloat16EEESt5tupleIJNSF_6TensorESM_SM_EERKSM_lbbbEUlllE0_EEPmJS9_EEE10hipError_tPvRmT3_T4_T5_T6_T7_T9_mT8_P12ihipStream_tbDpT10_ENKUlT_T0_E_clISt17integral_constantIbLb0EES1C_EEDaS17_S18_EUlS17_E_NS1_11comp_targetILNS1_3genE0ELNS1_11target_archE4294967295ELNS1_3gpuE0ELNS1_3repE0EEENS1_30default_config_static_selectorELNS0_4arch9wavefront6targetE1EEEvT1_
	.p2align	8
	.type	_ZN7rocprim17ROCPRIM_400000_NS6detail17trampoline_kernelINS0_14default_configENS1_25partition_config_selectorILNS1_17partition_subalgoE9EllbEEZZNS1_14partition_implILS5_9ELb0ES3_jPlS8_PNS0_10empty_typeENS0_5tupleIJS8_S9_EEENSB_IJS8_SA_EEENS0_18inequality_wrapperIZN2at6native12_GLOBAL__N_124unique_dim_cuda_templateIN3c108BFloat16EEESt5tupleIJNSF_6TensorESM_SM_EERKSM_lbbbEUlllE0_EEPmJS9_EEE10hipError_tPvRmT3_T4_T5_T6_T7_T9_mT8_P12ihipStream_tbDpT10_ENKUlT_T0_E_clISt17integral_constantIbLb0EES1C_EEDaS17_S18_EUlS17_E_NS1_11comp_targetILNS1_3genE0ELNS1_11target_archE4294967295ELNS1_3gpuE0ELNS1_3repE0EEENS1_30default_config_static_selectorELNS0_4arch9wavefront6targetE1EEEvT1_,@function
_ZN7rocprim17ROCPRIM_400000_NS6detail17trampoline_kernelINS0_14default_configENS1_25partition_config_selectorILNS1_17partition_subalgoE9EllbEEZZNS1_14partition_implILS5_9ELb0ES3_jPlS8_PNS0_10empty_typeENS0_5tupleIJS8_S9_EEENSB_IJS8_SA_EEENS0_18inequality_wrapperIZN2at6native12_GLOBAL__N_124unique_dim_cuda_templateIN3c108BFloat16EEESt5tupleIJNSF_6TensorESM_SM_EERKSM_lbbbEUlllE0_EEPmJS9_EEE10hipError_tPvRmT3_T4_T5_T6_T7_T9_mT8_P12ihipStream_tbDpT10_ENKUlT_T0_E_clISt17integral_constantIbLb0EES1C_EEDaS17_S18_EUlS17_E_NS1_11comp_targetILNS1_3genE0ELNS1_11target_archE4294967295ELNS1_3gpuE0ELNS1_3repE0EEENS1_30default_config_static_selectorELNS0_4arch9wavefront6targetE1EEEvT1_: ; @_ZN7rocprim17ROCPRIM_400000_NS6detail17trampoline_kernelINS0_14default_configENS1_25partition_config_selectorILNS1_17partition_subalgoE9EllbEEZZNS1_14partition_implILS5_9ELb0ES3_jPlS8_PNS0_10empty_typeENS0_5tupleIJS8_S9_EEENSB_IJS8_SA_EEENS0_18inequality_wrapperIZN2at6native12_GLOBAL__N_124unique_dim_cuda_templateIN3c108BFloat16EEESt5tupleIJNSF_6TensorESM_SM_EERKSM_lbbbEUlllE0_EEPmJS9_EEE10hipError_tPvRmT3_T4_T5_T6_T7_T9_mT8_P12ihipStream_tbDpT10_ENKUlT_T0_E_clISt17integral_constantIbLb0EES1C_EEDaS17_S18_EUlS17_E_NS1_11comp_targetILNS1_3genE0ELNS1_11target_archE4294967295ELNS1_3gpuE0ELNS1_3repE0EEENS1_30default_config_static_selectorELNS0_4arch9wavefront6targetE1EEEvT1_
; %bb.0:
	.section	.rodata,"a",@progbits
	.p2align	6, 0x0
	.amdhsa_kernel _ZN7rocprim17ROCPRIM_400000_NS6detail17trampoline_kernelINS0_14default_configENS1_25partition_config_selectorILNS1_17partition_subalgoE9EllbEEZZNS1_14partition_implILS5_9ELb0ES3_jPlS8_PNS0_10empty_typeENS0_5tupleIJS8_S9_EEENSB_IJS8_SA_EEENS0_18inequality_wrapperIZN2at6native12_GLOBAL__N_124unique_dim_cuda_templateIN3c108BFloat16EEESt5tupleIJNSF_6TensorESM_SM_EERKSM_lbbbEUlllE0_EEPmJS9_EEE10hipError_tPvRmT3_T4_T5_T6_T7_T9_mT8_P12ihipStream_tbDpT10_ENKUlT_T0_E_clISt17integral_constantIbLb0EES1C_EEDaS17_S18_EUlS17_E_NS1_11comp_targetILNS1_3genE0ELNS1_11target_archE4294967295ELNS1_3gpuE0ELNS1_3repE0EEENS1_30default_config_static_selectorELNS0_4arch9wavefront6targetE1EEEvT1_
		.amdhsa_group_segment_fixed_size 0
		.amdhsa_private_segment_fixed_size 0
		.amdhsa_kernarg_size 120
		.amdhsa_user_sgpr_count 6
		.amdhsa_user_sgpr_private_segment_buffer 1
		.amdhsa_user_sgpr_dispatch_ptr 0
		.amdhsa_user_sgpr_queue_ptr 0
		.amdhsa_user_sgpr_kernarg_segment_ptr 1
		.amdhsa_user_sgpr_dispatch_id 0
		.amdhsa_user_sgpr_flat_scratch_init 0
		.amdhsa_user_sgpr_kernarg_preload_length 0
		.amdhsa_user_sgpr_kernarg_preload_offset 0
		.amdhsa_user_sgpr_private_segment_size 0
		.amdhsa_uses_dynamic_stack 0
		.amdhsa_system_sgpr_private_segment_wavefront_offset 0
		.amdhsa_system_sgpr_workgroup_id_x 1
		.amdhsa_system_sgpr_workgroup_id_y 0
		.amdhsa_system_sgpr_workgroup_id_z 0
		.amdhsa_system_sgpr_workgroup_info 0
		.amdhsa_system_vgpr_workitem_id 0
		.amdhsa_next_free_vgpr 1
		.amdhsa_next_free_sgpr 0
		.amdhsa_accum_offset 4
		.amdhsa_reserve_vcc 0
		.amdhsa_reserve_flat_scratch 0
		.amdhsa_float_round_mode_32 0
		.amdhsa_float_round_mode_16_64 0
		.amdhsa_float_denorm_mode_32 3
		.amdhsa_float_denorm_mode_16_64 3
		.amdhsa_dx10_clamp 1
		.amdhsa_ieee_mode 1
		.amdhsa_fp16_overflow 0
		.amdhsa_tg_split 0
		.amdhsa_exception_fp_ieee_invalid_op 0
		.amdhsa_exception_fp_denorm_src 0
		.amdhsa_exception_fp_ieee_div_zero 0
		.amdhsa_exception_fp_ieee_overflow 0
		.amdhsa_exception_fp_ieee_underflow 0
		.amdhsa_exception_fp_ieee_inexact 0
		.amdhsa_exception_int_div_zero 0
	.end_amdhsa_kernel
	.section	.text._ZN7rocprim17ROCPRIM_400000_NS6detail17trampoline_kernelINS0_14default_configENS1_25partition_config_selectorILNS1_17partition_subalgoE9EllbEEZZNS1_14partition_implILS5_9ELb0ES3_jPlS8_PNS0_10empty_typeENS0_5tupleIJS8_S9_EEENSB_IJS8_SA_EEENS0_18inequality_wrapperIZN2at6native12_GLOBAL__N_124unique_dim_cuda_templateIN3c108BFloat16EEESt5tupleIJNSF_6TensorESM_SM_EERKSM_lbbbEUlllE0_EEPmJS9_EEE10hipError_tPvRmT3_T4_T5_T6_T7_T9_mT8_P12ihipStream_tbDpT10_ENKUlT_T0_E_clISt17integral_constantIbLb0EES1C_EEDaS17_S18_EUlS17_E_NS1_11comp_targetILNS1_3genE0ELNS1_11target_archE4294967295ELNS1_3gpuE0ELNS1_3repE0EEENS1_30default_config_static_selectorELNS0_4arch9wavefront6targetE1EEEvT1_,"axG",@progbits,_ZN7rocprim17ROCPRIM_400000_NS6detail17trampoline_kernelINS0_14default_configENS1_25partition_config_selectorILNS1_17partition_subalgoE9EllbEEZZNS1_14partition_implILS5_9ELb0ES3_jPlS8_PNS0_10empty_typeENS0_5tupleIJS8_S9_EEENSB_IJS8_SA_EEENS0_18inequality_wrapperIZN2at6native12_GLOBAL__N_124unique_dim_cuda_templateIN3c108BFloat16EEESt5tupleIJNSF_6TensorESM_SM_EERKSM_lbbbEUlllE0_EEPmJS9_EEE10hipError_tPvRmT3_T4_T5_T6_T7_T9_mT8_P12ihipStream_tbDpT10_ENKUlT_T0_E_clISt17integral_constantIbLb0EES1C_EEDaS17_S18_EUlS17_E_NS1_11comp_targetILNS1_3genE0ELNS1_11target_archE4294967295ELNS1_3gpuE0ELNS1_3repE0EEENS1_30default_config_static_selectorELNS0_4arch9wavefront6targetE1EEEvT1_,comdat
.Lfunc_end1205:
	.size	_ZN7rocprim17ROCPRIM_400000_NS6detail17trampoline_kernelINS0_14default_configENS1_25partition_config_selectorILNS1_17partition_subalgoE9EllbEEZZNS1_14partition_implILS5_9ELb0ES3_jPlS8_PNS0_10empty_typeENS0_5tupleIJS8_S9_EEENSB_IJS8_SA_EEENS0_18inequality_wrapperIZN2at6native12_GLOBAL__N_124unique_dim_cuda_templateIN3c108BFloat16EEESt5tupleIJNSF_6TensorESM_SM_EERKSM_lbbbEUlllE0_EEPmJS9_EEE10hipError_tPvRmT3_T4_T5_T6_T7_T9_mT8_P12ihipStream_tbDpT10_ENKUlT_T0_E_clISt17integral_constantIbLb0EES1C_EEDaS17_S18_EUlS17_E_NS1_11comp_targetILNS1_3genE0ELNS1_11target_archE4294967295ELNS1_3gpuE0ELNS1_3repE0EEENS1_30default_config_static_selectorELNS0_4arch9wavefront6targetE1EEEvT1_, .Lfunc_end1205-_ZN7rocprim17ROCPRIM_400000_NS6detail17trampoline_kernelINS0_14default_configENS1_25partition_config_selectorILNS1_17partition_subalgoE9EllbEEZZNS1_14partition_implILS5_9ELb0ES3_jPlS8_PNS0_10empty_typeENS0_5tupleIJS8_S9_EEENSB_IJS8_SA_EEENS0_18inequality_wrapperIZN2at6native12_GLOBAL__N_124unique_dim_cuda_templateIN3c108BFloat16EEESt5tupleIJNSF_6TensorESM_SM_EERKSM_lbbbEUlllE0_EEPmJS9_EEE10hipError_tPvRmT3_T4_T5_T6_T7_T9_mT8_P12ihipStream_tbDpT10_ENKUlT_T0_E_clISt17integral_constantIbLb0EES1C_EEDaS17_S18_EUlS17_E_NS1_11comp_targetILNS1_3genE0ELNS1_11target_archE4294967295ELNS1_3gpuE0ELNS1_3repE0EEENS1_30default_config_static_selectorELNS0_4arch9wavefront6targetE1EEEvT1_
                                        ; -- End function
	.section	.AMDGPU.csdata,"",@progbits
; Kernel info:
; codeLenInByte = 0
; NumSgprs: 4
; NumVgprs: 0
; NumAgprs: 0
; TotalNumVgprs: 0
; ScratchSize: 0
; MemoryBound: 0
; FloatMode: 240
; IeeeMode: 1
; LDSByteSize: 0 bytes/workgroup (compile time only)
; SGPRBlocks: 0
; VGPRBlocks: 0
; NumSGPRsForWavesPerEU: 4
; NumVGPRsForWavesPerEU: 1
; AccumOffset: 4
; Occupancy: 8
; WaveLimiterHint : 0
; COMPUTE_PGM_RSRC2:SCRATCH_EN: 0
; COMPUTE_PGM_RSRC2:USER_SGPR: 6
; COMPUTE_PGM_RSRC2:TRAP_HANDLER: 0
; COMPUTE_PGM_RSRC2:TGID_X_EN: 1
; COMPUTE_PGM_RSRC2:TGID_Y_EN: 0
; COMPUTE_PGM_RSRC2:TGID_Z_EN: 0
; COMPUTE_PGM_RSRC2:TIDIG_COMP_CNT: 0
; COMPUTE_PGM_RSRC3_GFX90A:ACCUM_OFFSET: 0
; COMPUTE_PGM_RSRC3_GFX90A:TG_SPLIT: 0
	.section	.text._ZN7rocprim17ROCPRIM_400000_NS6detail17trampoline_kernelINS0_14default_configENS1_25partition_config_selectorILNS1_17partition_subalgoE9EllbEEZZNS1_14partition_implILS5_9ELb0ES3_jPlS8_PNS0_10empty_typeENS0_5tupleIJS8_S9_EEENSB_IJS8_SA_EEENS0_18inequality_wrapperIZN2at6native12_GLOBAL__N_124unique_dim_cuda_templateIN3c108BFloat16EEESt5tupleIJNSF_6TensorESM_SM_EERKSM_lbbbEUlllE0_EEPmJS9_EEE10hipError_tPvRmT3_T4_T5_T6_T7_T9_mT8_P12ihipStream_tbDpT10_ENKUlT_T0_E_clISt17integral_constantIbLb0EES1C_EEDaS17_S18_EUlS17_E_NS1_11comp_targetILNS1_3genE5ELNS1_11target_archE942ELNS1_3gpuE9ELNS1_3repE0EEENS1_30default_config_static_selectorELNS0_4arch9wavefront6targetE1EEEvT1_,"axG",@progbits,_ZN7rocprim17ROCPRIM_400000_NS6detail17trampoline_kernelINS0_14default_configENS1_25partition_config_selectorILNS1_17partition_subalgoE9EllbEEZZNS1_14partition_implILS5_9ELb0ES3_jPlS8_PNS0_10empty_typeENS0_5tupleIJS8_S9_EEENSB_IJS8_SA_EEENS0_18inequality_wrapperIZN2at6native12_GLOBAL__N_124unique_dim_cuda_templateIN3c108BFloat16EEESt5tupleIJNSF_6TensorESM_SM_EERKSM_lbbbEUlllE0_EEPmJS9_EEE10hipError_tPvRmT3_T4_T5_T6_T7_T9_mT8_P12ihipStream_tbDpT10_ENKUlT_T0_E_clISt17integral_constantIbLb0EES1C_EEDaS17_S18_EUlS17_E_NS1_11comp_targetILNS1_3genE5ELNS1_11target_archE942ELNS1_3gpuE9ELNS1_3repE0EEENS1_30default_config_static_selectorELNS0_4arch9wavefront6targetE1EEEvT1_,comdat
	.globl	_ZN7rocprim17ROCPRIM_400000_NS6detail17trampoline_kernelINS0_14default_configENS1_25partition_config_selectorILNS1_17partition_subalgoE9EllbEEZZNS1_14partition_implILS5_9ELb0ES3_jPlS8_PNS0_10empty_typeENS0_5tupleIJS8_S9_EEENSB_IJS8_SA_EEENS0_18inequality_wrapperIZN2at6native12_GLOBAL__N_124unique_dim_cuda_templateIN3c108BFloat16EEESt5tupleIJNSF_6TensorESM_SM_EERKSM_lbbbEUlllE0_EEPmJS9_EEE10hipError_tPvRmT3_T4_T5_T6_T7_T9_mT8_P12ihipStream_tbDpT10_ENKUlT_T0_E_clISt17integral_constantIbLb0EES1C_EEDaS17_S18_EUlS17_E_NS1_11comp_targetILNS1_3genE5ELNS1_11target_archE942ELNS1_3gpuE9ELNS1_3repE0EEENS1_30default_config_static_selectorELNS0_4arch9wavefront6targetE1EEEvT1_ ; -- Begin function _ZN7rocprim17ROCPRIM_400000_NS6detail17trampoline_kernelINS0_14default_configENS1_25partition_config_selectorILNS1_17partition_subalgoE9EllbEEZZNS1_14partition_implILS5_9ELb0ES3_jPlS8_PNS0_10empty_typeENS0_5tupleIJS8_S9_EEENSB_IJS8_SA_EEENS0_18inequality_wrapperIZN2at6native12_GLOBAL__N_124unique_dim_cuda_templateIN3c108BFloat16EEESt5tupleIJNSF_6TensorESM_SM_EERKSM_lbbbEUlllE0_EEPmJS9_EEE10hipError_tPvRmT3_T4_T5_T6_T7_T9_mT8_P12ihipStream_tbDpT10_ENKUlT_T0_E_clISt17integral_constantIbLb0EES1C_EEDaS17_S18_EUlS17_E_NS1_11comp_targetILNS1_3genE5ELNS1_11target_archE942ELNS1_3gpuE9ELNS1_3repE0EEENS1_30default_config_static_selectorELNS0_4arch9wavefront6targetE1EEEvT1_
	.p2align	8
	.type	_ZN7rocprim17ROCPRIM_400000_NS6detail17trampoline_kernelINS0_14default_configENS1_25partition_config_selectorILNS1_17partition_subalgoE9EllbEEZZNS1_14partition_implILS5_9ELb0ES3_jPlS8_PNS0_10empty_typeENS0_5tupleIJS8_S9_EEENSB_IJS8_SA_EEENS0_18inequality_wrapperIZN2at6native12_GLOBAL__N_124unique_dim_cuda_templateIN3c108BFloat16EEESt5tupleIJNSF_6TensorESM_SM_EERKSM_lbbbEUlllE0_EEPmJS9_EEE10hipError_tPvRmT3_T4_T5_T6_T7_T9_mT8_P12ihipStream_tbDpT10_ENKUlT_T0_E_clISt17integral_constantIbLb0EES1C_EEDaS17_S18_EUlS17_E_NS1_11comp_targetILNS1_3genE5ELNS1_11target_archE942ELNS1_3gpuE9ELNS1_3repE0EEENS1_30default_config_static_selectorELNS0_4arch9wavefront6targetE1EEEvT1_,@function
_ZN7rocprim17ROCPRIM_400000_NS6detail17trampoline_kernelINS0_14default_configENS1_25partition_config_selectorILNS1_17partition_subalgoE9EllbEEZZNS1_14partition_implILS5_9ELb0ES3_jPlS8_PNS0_10empty_typeENS0_5tupleIJS8_S9_EEENSB_IJS8_SA_EEENS0_18inequality_wrapperIZN2at6native12_GLOBAL__N_124unique_dim_cuda_templateIN3c108BFloat16EEESt5tupleIJNSF_6TensorESM_SM_EERKSM_lbbbEUlllE0_EEPmJS9_EEE10hipError_tPvRmT3_T4_T5_T6_T7_T9_mT8_P12ihipStream_tbDpT10_ENKUlT_T0_E_clISt17integral_constantIbLb0EES1C_EEDaS17_S18_EUlS17_E_NS1_11comp_targetILNS1_3genE5ELNS1_11target_archE942ELNS1_3gpuE9ELNS1_3repE0EEENS1_30default_config_static_selectorELNS0_4arch9wavefront6targetE1EEEvT1_: ; @_ZN7rocprim17ROCPRIM_400000_NS6detail17trampoline_kernelINS0_14default_configENS1_25partition_config_selectorILNS1_17partition_subalgoE9EllbEEZZNS1_14partition_implILS5_9ELb0ES3_jPlS8_PNS0_10empty_typeENS0_5tupleIJS8_S9_EEENSB_IJS8_SA_EEENS0_18inequality_wrapperIZN2at6native12_GLOBAL__N_124unique_dim_cuda_templateIN3c108BFloat16EEESt5tupleIJNSF_6TensorESM_SM_EERKSM_lbbbEUlllE0_EEPmJS9_EEE10hipError_tPvRmT3_T4_T5_T6_T7_T9_mT8_P12ihipStream_tbDpT10_ENKUlT_T0_E_clISt17integral_constantIbLb0EES1C_EEDaS17_S18_EUlS17_E_NS1_11comp_targetILNS1_3genE5ELNS1_11target_archE942ELNS1_3gpuE9ELNS1_3repE0EEENS1_30default_config_static_selectorELNS0_4arch9wavefront6targetE1EEEvT1_
; %bb.0:
	.section	.rodata,"a",@progbits
	.p2align	6, 0x0
	.amdhsa_kernel _ZN7rocprim17ROCPRIM_400000_NS6detail17trampoline_kernelINS0_14default_configENS1_25partition_config_selectorILNS1_17partition_subalgoE9EllbEEZZNS1_14partition_implILS5_9ELb0ES3_jPlS8_PNS0_10empty_typeENS0_5tupleIJS8_S9_EEENSB_IJS8_SA_EEENS0_18inequality_wrapperIZN2at6native12_GLOBAL__N_124unique_dim_cuda_templateIN3c108BFloat16EEESt5tupleIJNSF_6TensorESM_SM_EERKSM_lbbbEUlllE0_EEPmJS9_EEE10hipError_tPvRmT3_T4_T5_T6_T7_T9_mT8_P12ihipStream_tbDpT10_ENKUlT_T0_E_clISt17integral_constantIbLb0EES1C_EEDaS17_S18_EUlS17_E_NS1_11comp_targetILNS1_3genE5ELNS1_11target_archE942ELNS1_3gpuE9ELNS1_3repE0EEENS1_30default_config_static_selectorELNS0_4arch9wavefront6targetE1EEEvT1_
		.amdhsa_group_segment_fixed_size 0
		.amdhsa_private_segment_fixed_size 0
		.amdhsa_kernarg_size 120
		.amdhsa_user_sgpr_count 6
		.amdhsa_user_sgpr_private_segment_buffer 1
		.amdhsa_user_sgpr_dispatch_ptr 0
		.amdhsa_user_sgpr_queue_ptr 0
		.amdhsa_user_sgpr_kernarg_segment_ptr 1
		.amdhsa_user_sgpr_dispatch_id 0
		.amdhsa_user_sgpr_flat_scratch_init 0
		.amdhsa_user_sgpr_kernarg_preload_length 0
		.amdhsa_user_sgpr_kernarg_preload_offset 0
		.amdhsa_user_sgpr_private_segment_size 0
		.amdhsa_uses_dynamic_stack 0
		.amdhsa_system_sgpr_private_segment_wavefront_offset 0
		.amdhsa_system_sgpr_workgroup_id_x 1
		.amdhsa_system_sgpr_workgroup_id_y 0
		.amdhsa_system_sgpr_workgroup_id_z 0
		.amdhsa_system_sgpr_workgroup_info 0
		.amdhsa_system_vgpr_workitem_id 0
		.amdhsa_next_free_vgpr 1
		.amdhsa_next_free_sgpr 0
		.amdhsa_accum_offset 4
		.amdhsa_reserve_vcc 0
		.amdhsa_reserve_flat_scratch 0
		.amdhsa_float_round_mode_32 0
		.amdhsa_float_round_mode_16_64 0
		.amdhsa_float_denorm_mode_32 3
		.amdhsa_float_denorm_mode_16_64 3
		.amdhsa_dx10_clamp 1
		.amdhsa_ieee_mode 1
		.amdhsa_fp16_overflow 0
		.amdhsa_tg_split 0
		.amdhsa_exception_fp_ieee_invalid_op 0
		.amdhsa_exception_fp_denorm_src 0
		.amdhsa_exception_fp_ieee_div_zero 0
		.amdhsa_exception_fp_ieee_overflow 0
		.amdhsa_exception_fp_ieee_underflow 0
		.amdhsa_exception_fp_ieee_inexact 0
		.amdhsa_exception_int_div_zero 0
	.end_amdhsa_kernel
	.section	.text._ZN7rocprim17ROCPRIM_400000_NS6detail17trampoline_kernelINS0_14default_configENS1_25partition_config_selectorILNS1_17partition_subalgoE9EllbEEZZNS1_14partition_implILS5_9ELb0ES3_jPlS8_PNS0_10empty_typeENS0_5tupleIJS8_S9_EEENSB_IJS8_SA_EEENS0_18inequality_wrapperIZN2at6native12_GLOBAL__N_124unique_dim_cuda_templateIN3c108BFloat16EEESt5tupleIJNSF_6TensorESM_SM_EERKSM_lbbbEUlllE0_EEPmJS9_EEE10hipError_tPvRmT3_T4_T5_T6_T7_T9_mT8_P12ihipStream_tbDpT10_ENKUlT_T0_E_clISt17integral_constantIbLb0EES1C_EEDaS17_S18_EUlS17_E_NS1_11comp_targetILNS1_3genE5ELNS1_11target_archE942ELNS1_3gpuE9ELNS1_3repE0EEENS1_30default_config_static_selectorELNS0_4arch9wavefront6targetE1EEEvT1_,"axG",@progbits,_ZN7rocprim17ROCPRIM_400000_NS6detail17trampoline_kernelINS0_14default_configENS1_25partition_config_selectorILNS1_17partition_subalgoE9EllbEEZZNS1_14partition_implILS5_9ELb0ES3_jPlS8_PNS0_10empty_typeENS0_5tupleIJS8_S9_EEENSB_IJS8_SA_EEENS0_18inequality_wrapperIZN2at6native12_GLOBAL__N_124unique_dim_cuda_templateIN3c108BFloat16EEESt5tupleIJNSF_6TensorESM_SM_EERKSM_lbbbEUlllE0_EEPmJS9_EEE10hipError_tPvRmT3_T4_T5_T6_T7_T9_mT8_P12ihipStream_tbDpT10_ENKUlT_T0_E_clISt17integral_constantIbLb0EES1C_EEDaS17_S18_EUlS17_E_NS1_11comp_targetILNS1_3genE5ELNS1_11target_archE942ELNS1_3gpuE9ELNS1_3repE0EEENS1_30default_config_static_selectorELNS0_4arch9wavefront6targetE1EEEvT1_,comdat
.Lfunc_end1206:
	.size	_ZN7rocprim17ROCPRIM_400000_NS6detail17trampoline_kernelINS0_14default_configENS1_25partition_config_selectorILNS1_17partition_subalgoE9EllbEEZZNS1_14partition_implILS5_9ELb0ES3_jPlS8_PNS0_10empty_typeENS0_5tupleIJS8_S9_EEENSB_IJS8_SA_EEENS0_18inequality_wrapperIZN2at6native12_GLOBAL__N_124unique_dim_cuda_templateIN3c108BFloat16EEESt5tupleIJNSF_6TensorESM_SM_EERKSM_lbbbEUlllE0_EEPmJS9_EEE10hipError_tPvRmT3_T4_T5_T6_T7_T9_mT8_P12ihipStream_tbDpT10_ENKUlT_T0_E_clISt17integral_constantIbLb0EES1C_EEDaS17_S18_EUlS17_E_NS1_11comp_targetILNS1_3genE5ELNS1_11target_archE942ELNS1_3gpuE9ELNS1_3repE0EEENS1_30default_config_static_selectorELNS0_4arch9wavefront6targetE1EEEvT1_, .Lfunc_end1206-_ZN7rocprim17ROCPRIM_400000_NS6detail17trampoline_kernelINS0_14default_configENS1_25partition_config_selectorILNS1_17partition_subalgoE9EllbEEZZNS1_14partition_implILS5_9ELb0ES3_jPlS8_PNS0_10empty_typeENS0_5tupleIJS8_S9_EEENSB_IJS8_SA_EEENS0_18inequality_wrapperIZN2at6native12_GLOBAL__N_124unique_dim_cuda_templateIN3c108BFloat16EEESt5tupleIJNSF_6TensorESM_SM_EERKSM_lbbbEUlllE0_EEPmJS9_EEE10hipError_tPvRmT3_T4_T5_T6_T7_T9_mT8_P12ihipStream_tbDpT10_ENKUlT_T0_E_clISt17integral_constantIbLb0EES1C_EEDaS17_S18_EUlS17_E_NS1_11comp_targetILNS1_3genE5ELNS1_11target_archE942ELNS1_3gpuE9ELNS1_3repE0EEENS1_30default_config_static_selectorELNS0_4arch9wavefront6targetE1EEEvT1_
                                        ; -- End function
	.section	.AMDGPU.csdata,"",@progbits
; Kernel info:
; codeLenInByte = 0
; NumSgprs: 4
; NumVgprs: 0
; NumAgprs: 0
; TotalNumVgprs: 0
; ScratchSize: 0
; MemoryBound: 0
; FloatMode: 240
; IeeeMode: 1
; LDSByteSize: 0 bytes/workgroup (compile time only)
; SGPRBlocks: 0
; VGPRBlocks: 0
; NumSGPRsForWavesPerEU: 4
; NumVGPRsForWavesPerEU: 1
; AccumOffset: 4
; Occupancy: 8
; WaveLimiterHint : 0
; COMPUTE_PGM_RSRC2:SCRATCH_EN: 0
; COMPUTE_PGM_RSRC2:USER_SGPR: 6
; COMPUTE_PGM_RSRC2:TRAP_HANDLER: 0
; COMPUTE_PGM_RSRC2:TGID_X_EN: 1
; COMPUTE_PGM_RSRC2:TGID_Y_EN: 0
; COMPUTE_PGM_RSRC2:TGID_Z_EN: 0
; COMPUTE_PGM_RSRC2:TIDIG_COMP_CNT: 0
; COMPUTE_PGM_RSRC3_GFX90A:ACCUM_OFFSET: 0
; COMPUTE_PGM_RSRC3_GFX90A:TG_SPLIT: 0
	.section	.text._ZN7rocprim17ROCPRIM_400000_NS6detail17trampoline_kernelINS0_14default_configENS1_25partition_config_selectorILNS1_17partition_subalgoE9EllbEEZZNS1_14partition_implILS5_9ELb0ES3_jPlS8_PNS0_10empty_typeENS0_5tupleIJS8_S9_EEENSB_IJS8_SA_EEENS0_18inequality_wrapperIZN2at6native12_GLOBAL__N_124unique_dim_cuda_templateIN3c108BFloat16EEESt5tupleIJNSF_6TensorESM_SM_EERKSM_lbbbEUlllE0_EEPmJS9_EEE10hipError_tPvRmT3_T4_T5_T6_T7_T9_mT8_P12ihipStream_tbDpT10_ENKUlT_T0_E_clISt17integral_constantIbLb0EES1C_EEDaS17_S18_EUlS17_E_NS1_11comp_targetILNS1_3genE4ELNS1_11target_archE910ELNS1_3gpuE8ELNS1_3repE0EEENS1_30default_config_static_selectorELNS0_4arch9wavefront6targetE1EEEvT1_,"axG",@progbits,_ZN7rocprim17ROCPRIM_400000_NS6detail17trampoline_kernelINS0_14default_configENS1_25partition_config_selectorILNS1_17partition_subalgoE9EllbEEZZNS1_14partition_implILS5_9ELb0ES3_jPlS8_PNS0_10empty_typeENS0_5tupleIJS8_S9_EEENSB_IJS8_SA_EEENS0_18inequality_wrapperIZN2at6native12_GLOBAL__N_124unique_dim_cuda_templateIN3c108BFloat16EEESt5tupleIJNSF_6TensorESM_SM_EERKSM_lbbbEUlllE0_EEPmJS9_EEE10hipError_tPvRmT3_T4_T5_T6_T7_T9_mT8_P12ihipStream_tbDpT10_ENKUlT_T0_E_clISt17integral_constantIbLb0EES1C_EEDaS17_S18_EUlS17_E_NS1_11comp_targetILNS1_3genE4ELNS1_11target_archE910ELNS1_3gpuE8ELNS1_3repE0EEENS1_30default_config_static_selectorELNS0_4arch9wavefront6targetE1EEEvT1_,comdat
	.globl	_ZN7rocprim17ROCPRIM_400000_NS6detail17trampoline_kernelINS0_14default_configENS1_25partition_config_selectorILNS1_17partition_subalgoE9EllbEEZZNS1_14partition_implILS5_9ELb0ES3_jPlS8_PNS0_10empty_typeENS0_5tupleIJS8_S9_EEENSB_IJS8_SA_EEENS0_18inequality_wrapperIZN2at6native12_GLOBAL__N_124unique_dim_cuda_templateIN3c108BFloat16EEESt5tupleIJNSF_6TensorESM_SM_EERKSM_lbbbEUlllE0_EEPmJS9_EEE10hipError_tPvRmT3_T4_T5_T6_T7_T9_mT8_P12ihipStream_tbDpT10_ENKUlT_T0_E_clISt17integral_constantIbLb0EES1C_EEDaS17_S18_EUlS17_E_NS1_11comp_targetILNS1_3genE4ELNS1_11target_archE910ELNS1_3gpuE8ELNS1_3repE0EEENS1_30default_config_static_selectorELNS0_4arch9wavefront6targetE1EEEvT1_ ; -- Begin function _ZN7rocprim17ROCPRIM_400000_NS6detail17trampoline_kernelINS0_14default_configENS1_25partition_config_selectorILNS1_17partition_subalgoE9EllbEEZZNS1_14partition_implILS5_9ELb0ES3_jPlS8_PNS0_10empty_typeENS0_5tupleIJS8_S9_EEENSB_IJS8_SA_EEENS0_18inequality_wrapperIZN2at6native12_GLOBAL__N_124unique_dim_cuda_templateIN3c108BFloat16EEESt5tupleIJNSF_6TensorESM_SM_EERKSM_lbbbEUlllE0_EEPmJS9_EEE10hipError_tPvRmT3_T4_T5_T6_T7_T9_mT8_P12ihipStream_tbDpT10_ENKUlT_T0_E_clISt17integral_constantIbLb0EES1C_EEDaS17_S18_EUlS17_E_NS1_11comp_targetILNS1_3genE4ELNS1_11target_archE910ELNS1_3gpuE8ELNS1_3repE0EEENS1_30default_config_static_selectorELNS0_4arch9wavefront6targetE1EEEvT1_
	.p2align	8
	.type	_ZN7rocprim17ROCPRIM_400000_NS6detail17trampoline_kernelINS0_14default_configENS1_25partition_config_selectorILNS1_17partition_subalgoE9EllbEEZZNS1_14partition_implILS5_9ELb0ES3_jPlS8_PNS0_10empty_typeENS0_5tupleIJS8_S9_EEENSB_IJS8_SA_EEENS0_18inequality_wrapperIZN2at6native12_GLOBAL__N_124unique_dim_cuda_templateIN3c108BFloat16EEESt5tupleIJNSF_6TensorESM_SM_EERKSM_lbbbEUlllE0_EEPmJS9_EEE10hipError_tPvRmT3_T4_T5_T6_T7_T9_mT8_P12ihipStream_tbDpT10_ENKUlT_T0_E_clISt17integral_constantIbLb0EES1C_EEDaS17_S18_EUlS17_E_NS1_11comp_targetILNS1_3genE4ELNS1_11target_archE910ELNS1_3gpuE8ELNS1_3repE0EEENS1_30default_config_static_selectorELNS0_4arch9wavefront6targetE1EEEvT1_,@function
_ZN7rocprim17ROCPRIM_400000_NS6detail17trampoline_kernelINS0_14default_configENS1_25partition_config_selectorILNS1_17partition_subalgoE9EllbEEZZNS1_14partition_implILS5_9ELb0ES3_jPlS8_PNS0_10empty_typeENS0_5tupleIJS8_S9_EEENSB_IJS8_SA_EEENS0_18inequality_wrapperIZN2at6native12_GLOBAL__N_124unique_dim_cuda_templateIN3c108BFloat16EEESt5tupleIJNSF_6TensorESM_SM_EERKSM_lbbbEUlllE0_EEPmJS9_EEE10hipError_tPvRmT3_T4_T5_T6_T7_T9_mT8_P12ihipStream_tbDpT10_ENKUlT_T0_E_clISt17integral_constantIbLb0EES1C_EEDaS17_S18_EUlS17_E_NS1_11comp_targetILNS1_3genE4ELNS1_11target_archE910ELNS1_3gpuE8ELNS1_3repE0EEENS1_30default_config_static_selectorELNS0_4arch9wavefront6targetE1EEEvT1_: ; @_ZN7rocprim17ROCPRIM_400000_NS6detail17trampoline_kernelINS0_14default_configENS1_25partition_config_selectorILNS1_17partition_subalgoE9EllbEEZZNS1_14partition_implILS5_9ELb0ES3_jPlS8_PNS0_10empty_typeENS0_5tupleIJS8_S9_EEENSB_IJS8_SA_EEENS0_18inequality_wrapperIZN2at6native12_GLOBAL__N_124unique_dim_cuda_templateIN3c108BFloat16EEESt5tupleIJNSF_6TensorESM_SM_EERKSM_lbbbEUlllE0_EEPmJS9_EEE10hipError_tPvRmT3_T4_T5_T6_T7_T9_mT8_P12ihipStream_tbDpT10_ENKUlT_T0_E_clISt17integral_constantIbLb0EES1C_EEDaS17_S18_EUlS17_E_NS1_11comp_targetILNS1_3genE4ELNS1_11target_archE910ELNS1_3gpuE8ELNS1_3repE0EEENS1_30default_config_static_selectorELNS0_4arch9wavefront6targetE1EEEvT1_
; %bb.0:
	s_load_dwordx8 s[20:27], s[4:5], 0x40
	s_load_dwordx4 s[0:3], s[4:5], 0x8
	s_load_dwordx2 s[12:13], s[4:5], 0x18
	s_load_dword s9, s[4:5], 0x70
	v_lshrrev_b32_e32 v18, 2, v0
	s_waitcnt lgkmcnt(0)
	v_mov_b32_e32 v2, s24
	s_lshl_b64 s[14:15], s[2:3], 3
	s_add_u32 s18, s0, s14
	s_addc_u32 s19, s1, s15
	s_add_i32 s10, s9, -1
	s_lshl_b32 s0, s10, 9
	s_add_i32 s0, s2, s0
	s_lshl_b32 s8, s6, 9
	s_sub_i32 s7, s24, s0
	s_lshl_b32 s0, s9, 9
	s_add_u32 s0, s2, s0
	s_addc_u32 s1, s3, 0
	v_mov_b32_e32 v3, s25
	s_cmp_eq_u32 s6, s10
	s_load_dwordx2 s[22:23], s[22:23], 0x0
	v_cmp_ge_u64_e32 vcc, s[0:1], v[2:3]
	s_cselect_b64 s[24:25], -1, 0
	s_mov_b32 s9, 0
	s_and_b64 s[10:11], s[24:25], vcc
	s_xor_b64 s[34:35], s[10:11], -1
	s_lshl_b64 s[16:17], s[8:9], 3
	s_add_u32 s8, s18, s16
	s_mov_b64 s[0:1], -1
	s_addc_u32 s9, s19, s17
	s_and_b64 vcc, exec, s[34:35]
	s_cbranch_vccz .LBB1207_2
; %bb.1:
	v_lshlrev_b32_e32 v1, 3, v0
	global_load_dwordx2 v[2:3], v1, s[8:9]
	global_load_dwordx2 v[4:5], v1, s[8:9] offset:1024
	global_load_dwordx2 v[6:7], v1, s[8:9] offset:2048
	;; [unrolled: 1-line block ×3, first 2 shown]
	v_or_b32_e32 v11, 0x80, v0
	v_or_b32_e32 v12, 0x100, v0
	;; [unrolled: 1-line block ×3, first 2 shown]
	v_and_b32_e32 v10, 24, v18
	v_lshrrev_b32_e32 v11, 2, v11
	v_lshrrev_b32_e32 v12, 2, v12
	;; [unrolled: 1-line block ×3, first 2 shown]
	v_add_u32_e32 v10, v10, v1
	v_and_b32_e32 v11, 56, v11
	v_and_b32_e32 v12, 0x58, v12
	;; [unrolled: 1-line block ×3, first 2 shown]
	v_add_u32_e32 v11, v11, v1
	v_add_u32_e32 v12, v12, v1
	;; [unrolled: 1-line block ×3, first 2 shown]
	s_mov_b64 s[0:1], 0
	s_waitcnt vmcnt(3)
	ds_write_b64 v10, v[2:3]
	s_waitcnt vmcnt(2)
	ds_write_b64 v11, v[4:5] offset:1024
	s_waitcnt vmcnt(1)
	ds_write_b64 v12, v[6:7] offset:2048
	;; [unrolled: 2-line block ×3, first 2 shown]
	s_waitcnt lgkmcnt(0)
	s_barrier
.LBB1207_2:
	s_load_dwordx4 s[28:31], s[4:5], 0x60
	s_andn2_b64 vcc, exec, s[0:1]
	v_cmp_gt_u32_e64 s[0:1], s7, v0
	s_cbranch_vccnz .LBB1207_12
; %bb.3:
                                        ; implicit-def: $vgpr2_vgpr3_vgpr4_vgpr5_vgpr6_vgpr7_vgpr8_vgpr9
	s_and_saveexec_b64 s[18:19], s[0:1]
	s_cbranch_execz .LBB1207_5
; %bb.4:
	v_lshlrev_b32_e32 v1, 3, v0
	global_load_dwordx2 v[2:3], v1, s[8:9]
.LBB1207_5:
	s_or_b64 exec, exec, s[18:19]
	v_or_b32_e32 v1, 0x80, v0
	v_cmp_gt_u32_e32 vcc, s7, v1
	s_and_saveexec_b64 s[0:1], vcc
	s_cbranch_execz .LBB1207_7
; %bb.6:
	v_lshlrev_b32_e32 v4, 3, v0
	global_load_dwordx2 v[4:5], v4, s[8:9] offset:1024
.LBB1207_7:
	s_or_b64 exec, exec, s[0:1]
	v_or_b32_e32 v10, 0x100, v0
	v_cmp_gt_u32_e32 vcc, s7, v10
	s_and_saveexec_b64 s[0:1], vcc
	s_cbranch_execz .LBB1207_9
; %bb.8:
	v_lshlrev_b32_e32 v6, 3, v0
	global_load_dwordx2 v[6:7], v6, s[8:9] offset:2048
.LBB1207_9:
	;; [unrolled: 9-line block ×3, first 2 shown]
	s_or_b64 exec, exec, s[0:1]
	v_lshrrev_b32_e32 v1, 2, v1
	v_lshlrev_b32_e32 v13, 3, v0
	v_and_b32_e32 v1, 56, v1
	v_add_u32_e32 v1, v1, v13
	s_waitcnt vmcnt(0)
	ds_write_b64 v1, v[4:5] offset:1024
	v_lshrrev_b32_e32 v1, 2, v10
	v_and_b32_e32 v1, 0x78, v1
	v_add_u32_e32 v1, v1, v13
	ds_write_b64 v1, v[6:7] offset:2048
	v_lshrrev_b32_e32 v1, 2, v11
	v_and_b32_e32 v12, 24, v18
	v_and_b32_e32 v1, 0x78, v1
	v_add_u32_e32 v12, v12, v13
	v_add_u32_e32 v1, v1, v13
	ds_write_b64 v12, v[2:3]
	ds_write_b64 v1, v[8:9] offset:3072
	s_waitcnt lgkmcnt(0)
	s_barrier
.LBB1207_12:
	v_lshlrev_b32_e32 v1, 2, v0
	v_lshrrev_b32_e32 v2, 3, v0
	v_add_lshl_u32 v19, v2, v1, 3
	s_waitcnt lgkmcnt(0)
	ds_read2_b64 v[14:17], v19 offset1:1
	ds_read2_b64 v[10:13], v19 offset0:2 offset1:3
	s_add_u32 s0, s12, s14
	s_addc_u32 s1, s13, s15
	s_add_u32 s0, s0, s16
	s_addc_u32 s1, s1, s17
	s_mov_b64 s[12:13], -1
	s_and_b64 vcc, exec, s[34:35]
	s_waitcnt lgkmcnt(0)
	s_barrier
	s_cbranch_vccz .LBB1207_14
; %bb.13:
	v_lshlrev_b32_e32 v20, 3, v0
	global_load_dwordx2 v[2:3], v20, s[0:1]
	global_load_dwordx2 v[4:5], v20, s[0:1] offset:1024
	global_load_dwordx2 v[6:7], v20, s[0:1] offset:2048
	;; [unrolled: 1-line block ×3, first 2 shown]
	v_or_b32_e32 v22, 0x80, v0
	v_or_b32_e32 v23, 0x100, v0
	;; [unrolled: 1-line block ×3, first 2 shown]
	v_and_b32_e32 v21, 24, v18
	v_lshrrev_b32_e32 v22, 2, v22
	v_lshrrev_b32_e32 v23, 2, v23
	;; [unrolled: 1-line block ×3, first 2 shown]
	v_add_u32_e32 v21, v21, v20
	v_and_b32_e32 v22, 56, v22
	v_and_b32_e32 v23, 0x58, v23
	;; [unrolled: 1-line block ×3, first 2 shown]
	v_add_u32_e32 v22, v22, v20
	v_add_u32_e32 v23, v23, v20
	;; [unrolled: 1-line block ×3, first 2 shown]
	s_mov_b64 s[12:13], 0
	s_waitcnt vmcnt(3)
	ds_write_b64 v21, v[2:3]
	s_waitcnt vmcnt(2)
	ds_write_b64 v22, v[4:5] offset:1024
	s_waitcnt vmcnt(1)
	ds_write_b64 v23, v[6:7] offset:2048
	;; [unrolled: 2-line block ×3, first 2 shown]
	s_waitcnt lgkmcnt(0)
	s_barrier
.LBB1207_14:
	s_andn2_b64 vcc, exec, s[12:13]
	s_cbranch_vccnz .LBB1207_24
; %bb.15:
	v_cmp_gt_u32_e32 vcc, s7, v0
                                        ; implicit-def: $vgpr2_vgpr3
	s_and_saveexec_b64 s[12:13], vcc
	s_cbranch_execz .LBB1207_17
; %bb.16:
	v_lshlrev_b32_e32 v2, 3, v0
	global_load_dwordx2 v[2:3], v2, s[0:1]
.LBB1207_17:
	s_or_b64 exec, exec, s[12:13]
	v_or_b32_e32 v20, 0x80, v0
	v_cmp_gt_u32_e32 vcc, s7, v20
                                        ; implicit-def: $vgpr4_vgpr5
	s_and_saveexec_b64 s[12:13], vcc
	s_cbranch_execz .LBB1207_19
; %bb.18:
	v_lshlrev_b32_e32 v4, 3, v0
	global_load_dwordx2 v[4:5], v4, s[0:1] offset:1024
.LBB1207_19:
	s_or_b64 exec, exec, s[12:13]
	v_or_b32_e32 v21, 0x100, v0
	v_cmp_gt_u32_e32 vcc, s7, v21
                                        ; implicit-def: $vgpr6_vgpr7
	s_and_saveexec_b64 s[12:13], vcc
	s_cbranch_execz .LBB1207_21
; %bb.20:
	v_lshlrev_b32_e32 v6, 3, v0
	global_load_dwordx2 v[6:7], v6, s[0:1] offset:2048
.LBB1207_21:
	s_or_b64 exec, exec, s[12:13]
	v_or_b32_e32 v22, 0x180, v0
	v_cmp_gt_u32_e32 vcc, s7, v22
                                        ; implicit-def: $vgpr8_vgpr9
	s_and_saveexec_b64 s[12:13], vcc
	s_cbranch_execz .LBB1207_23
; %bb.22:
	v_lshlrev_b32_e32 v8, 3, v0
	global_load_dwordx2 v[8:9], v8, s[0:1] offset:3072
.LBB1207_23:
	s_or_b64 exec, exec, s[12:13]
	v_and_b32_e32 v18, 24, v18
	v_lshlrev_b32_e32 v23, 3, v0
	v_add_u32_e32 v18, v18, v23
	s_waitcnt vmcnt(0)
	ds_write_b64 v18, v[2:3]
	v_lshrrev_b32_e32 v2, 2, v20
	v_and_b32_e32 v2, 56, v2
	v_add_u32_e32 v2, v2, v23
	ds_write_b64 v2, v[4:5] offset:1024
	v_lshrrev_b32_e32 v2, 2, v21
	v_and_b32_e32 v2, 0x78, v2
	v_add_u32_e32 v2, v2, v23
	ds_write_b64 v2, v[6:7] offset:2048
	;; [unrolled: 4-line block ×3, first 2 shown]
	s_waitcnt lgkmcnt(0)
	s_barrier
.LBB1207_24:
	ds_read2_b64 v[6:9], v19 offset1:1
	ds_read2_b64 v[2:5], v19 offset0:2 offset1:3
	s_cmp_lg_u32 s6, 0
	s_cselect_b64 s[16:17], -1, 0
	s_cmp_lg_u64 s[2:3], 0
	s_cselect_b64 s[0:1], -1, 0
	s_or_b64 s[0:1], s[16:17], s[0:1]
	s_mov_b64 s[12:13], 0
	s_and_b64 vcc, exec, s[0:1]
	v_cmp_gt_i64_e64 s[0:1], s[26:27], 0
	s_waitcnt lgkmcnt(0)
	s_barrier
	s_cbranch_vccz .LBB1207_33
; %bb.25:
	s_add_u32 s2, s8, -8
	s_addc_u32 s3, s9, -1
	s_load_dwordx2 s[12:13], s[2:3], 0x0
	v_cndmask_b32_e64 v18, 0, 1, s[0:1]
	v_lshlrev_b32_e32 v26, 3, v0
	s_mov_b64 s[14:15], 0
	s_and_b64 vcc, exec, s[34:35]
	v_cmp_ne_u32_e64 s[0:1], 1, v18
	ds_write_b64 v26, v[12:13]
	s_cbranch_vccz .LBB1207_34
; %bb.26:
	v_mul_lo_u32 v20, v11, s26
	v_mul_lo_u32 v21, v10, s27
	v_mad_u64_u32 v[18:19], s[2:3], v10, s26, 0
	v_add3_u32 v19, v19, v21, v20
	s_and_b64 vcc, exec, s[0:1]
	v_lshlrev_b64 v[18:19], 1, v[18:19]
	s_cbranch_vccnz .LBB1207_37
; %bb.27:
	v_mul_lo_u32 v22, v13, s26
	v_mul_lo_u32 v23, v12, s27
	v_mad_u64_u32 v[20:21], s[2:3], v12, s26, 0
	v_add3_u32 v21, v21, v23, v22
	v_mov_b32_e32 v23, s29
	v_add_co_u32_e32 v22, vcc, s28, v18
	v_addc_co_u32_e64 v23, s[2:3], v23, v19, vcc
	v_lshlrev_b64 v[20:21], 1, v[20:21]
	v_mov_b32_e32 v25, s29
	v_add_co_u32_e64 v24, s[2:3], s28, v20
	v_addc_co_u32_e64 v25, s[8:9], v25, v21, s[2:3]
	global_load_ushort v20, v[24:25], off
	global_load_ushort v27, v[22:23], off
	s_mov_b64 s[14:15], -1
	s_waitcnt vmcnt(1)
	v_lshlrev_b32_e32 v20, 16, v20
	s_waitcnt vmcnt(0)
	v_lshlrev_b32_e32 v23, 16, v27
	v_cmp_eq_f32_e64 s[8:9], v23, v20
	s_and_saveexec_b64 s[18:19], s[8:9]
	s_cbranch_execz .LBB1207_36
; %bb.28:
	v_mov_b32_e32 v20, s29
	v_addc_co_u32_e64 v21, s[2:3], v21, v20, s[2:3]
	v_add_co_u32_e64 v20, s[2:3], 2, v24
	v_mov_b32_e32 v23, s29
	v_addc_co_u32_e64 v21, s[2:3], 0, v21, s[2:3]
	v_addc_co_u32_e32 v23, vcc, v19, v23, vcc
	v_add_co_u32_e32 v22, vcc, 2, v22
	s_add_u32 s2, s26, -1
	v_addc_co_u32_e32 v23, vcc, 0, v23, vcc
	s_addc_u32 s3, s27, -1
	s_mov_b64 s[8:9], 0
	s_mov_b64 s[36:37], 0
                                        ; implicit-def: $sgpr14_sgpr15
	s_branch .LBB1207_31
.LBB1207_29:                            ;   in Loop: Header=BB1207_31 Depth=1
	global_load_ushort v24, v[20:21], off
	global_load_ushort v25, v[22:23], off
	v_add_co_u32_e32 v20, vcc, 2, v20
	v_addc_co_u32_e32 v21, vcc, 0, v21, vcc
	v_add_co_u32_e32 v22, vcc, 2, v22
	v_addc_co_u32_e32 v23, vcc, 0, v23, vcc
	s_add_u32 s36, s36, 1
	s_addc_u32 s37, s37, 0
	s_andn2_b64 s[14:15], s[14:15], exec
	s_waitcnt vmcnt(1)
	v_lshlrev_b32_e32 v24, 16, v24
	s_waitcnt vmcnt(0)
	v_lshlrev_b32_e32 v25, 16, v25
	v_cmp_neq_f32_e32 vcc, v25, v24
	s_and_b64 s[38:39], vcc, exec
	s_or_b64 s[14:15], s[14:15], s[38:39]
.LBB1207_30:                            ;   in Loop: Header=BB1207_31 Depth=1
	s_and_b64 s[38:39], exec, s[14:15]
	s_or_b64 s[8:9], s[38:39], s[8:9]
	v_pk_mov_b32 v[24:25], s[36:37], s[36:37] op_sel:[0,1]
	s_andn2_b64 exec, exec, s[8:9]
	s_cbranch_execz .LBB1207_35
.LBB1207_31:                            ; =>This Inner Loop Header: Depth=1
	s_or_b64 s[14:15], s[14:15], exec
	s_cmp_eq_u64 s[2:3], s[36:37]
	s_cbranch_scc0 .LBB1207_29
; %bb.32:                               ;   in Loop: Header=BB1207_31 Depth=1
                                        ; implicit-def: $vgpr20_vgpr21
                                        ; implicit-def: $vgpr22_vgpr23
	s_mov_b64 s[36:37], s[26:27]
	s_branch .LBB1207_30
.LBB1207_33:
                                        ; implicit-def: $sgpr18_sgpr19
                                        ; implicit-def: $vgpr28
	s_branch .LBB1207_115
.LBB1207_34:
                                        ; implicit-def: $sgpr18_sgpr19
                                        ; implicit-def: $vgpr28
	s_cbranch_execnz .LBB1207_67
	s_branch .LBB1207_114
.LBB1207_35:
	s_or_b64 exec, exec, s[8:9]
	v_cmp_gt_i64_e32 vcc, s[26:27], v[24:25]
	s_orn2_b64 s[14:15], vcc, exec
.LBB1207_36:
	s_or_b64 exec, exec, s[18:19]
.LBB1207_37:
	v_mul_lo_u32 v22, v17, s26
	v_mul_lo_u32 v23, v16, s27
	v_mad_u64_u32 v[20:21], s[2:3], v16, s26, 0
	v_add3_u32 v21, v21, v23, v22
	s_mov_b64 s[18:19], 0
	s_and_b64 vcc, exec, s[0:1]
	v_lshlrev_b64 v[20:21], 1, v[20:21]
	s_mov_b64 s[36:37], 0
	s_cbranch_vccnz .LBB1207_46
; %bb.38:
	v_mov_b32_e32 v23, s29
	v_add_co_u32_e32 v22, vcc, s28, v20
	v_addc_co_u32_e64 v23, s[2:3], v23, v21, vcc
	v_mov_b32_e32 v25, s29
	v_add_co_u32_e64 v24, s[2:3], s28, v18
	v_addc_co_u32_e64 v25, s[8:9], v25, v19, s[2:3]
	global_load_ushort v18, v[24:25], off
	global_load_ushort v27, v[22:23], off
	s_mov_b64 s[36:37], -1
	s_waitcnt vmcnt(1)
	v_lshlrev_b32_e32 v18, 16, v18
	s_waitcnt vmcnt(0)
	v_lshlrev_b32_e32 v23, 16, v27
	v_cmp_eq_f32_e64 s[8:9], v23, v18
	s_and_saveexec_b64 s[38:39], s[8:9]
	s_cbranch_execz .LBB1207_45
; %bb.39:
	v_mov_b32_e32 v18, s29
	v_addc_co_u32_e64 v19, s[2:3], v19, v18, s[2:3]
	v_add_co_u32_e64 v18, s[2:3], 2, v24
	v_mov_b32_e32 v23, s29
	v_addc_co_u32_e64 v19, s[2:3], 0, v19, s[2:3]
	v_addc_co_u32_e32 v23, vcc, v21, v23, vcc
	v_add_co_u32_e32 v22, vcc, 2, v22
	s_add_u32 s2, s26, -1
	v_addc_co_u32_e32 v23, vcc, 0, v23, vcc
	s_addc_u32 s3, s27, -1
	s_mov_b64 s[8:9], 0
	s_mov_b64 s[40:41], 0
                                        ; implicit-def: $sgpr36_sgpr37
	s_branch .LBB1207_42
.LBB1207_40:                            ;   in Loop: Header=BB1207_42 Depth=1
	global_load_ushort v24, v[18:19], off
	global_load_ushort v25, v[22:23], off
	v_add_co_u32_e32 v18, vcc, 2, v18
	v_addc_co_u32_e32 v19, vcc, 0, v19, vcc
	v_add_co_u32_e32 v22, vcc, 2, v22
	v_addc_co_u32_e32 v23, vcc, 0, v23, vcc
	s_add_u32 s40, s40, 1
	s_addc_u32 s41, s41, 0
	s_andn2_b64 s[36:37], s[36:37], exec
	s_waitcnt vmcnt(1)
	v_lshlrev_b32_e32 v24, 16, v24
	s_waitcnt vmcnt(0)
	v_lshlrev_b32_e32 v25, 16, v25
	v_cmp_neq_f32_e32 vcc, v25, v24
	s_and_b64 s[42:43], vcc, exec
	s_or_b64 s[36:37], s[36:37], s[42:43]
.LBB1207_41:                            ;   in Loop: Header=BB1207_42 Depth=1
	s_and_b64 s[42:43], exec, s[36:37]
	s_or_b64 s[8:9], s[42:43], s[8:9]
	v_pk_mov_b32 v[24:25], s[40:41], s[40:41] op_sel:[0,1]
	s_andn2_b64 exec, exec, s[8:9]
	s_cbranch_execz .LBB1207_44
.LBB1207_42:                            ; =>This Inner Loop Header: Depth=1
	s_or_b64 s[36:37], s[36:37], exec
	s_cmp_eq_u64 s[2:3], s[40:41]
	s_cbranch_scc0 .LBB1207_40
; %bb.43:                               ;   in Loop: Header=BB1207_42 Depth=1
                                        ; implicit-def: $vgpr18_vgpr19
                                        ; implicit-def: $vgpr22_vgpr23
	s_mov_b64 s[40:41], s[26:27]
	s_branch .LBB1207_41
.LBB1207_44:
	s_or_b64 exec, exec, s[8:9]
	v_cmp_gt_i64_e32 vcc, s[26:27], v[24:25]
	s_orn2_b64 s[36:37], vcc, exec
.LBB1207_45:
	s_or_b64 exec, exec, s[38:39]
.LBB1207_46:
	v_mul_lo_u32 v22, v15, s26
	v_mul_lo_u32 v23, v14, s27
	v_mad_u64_u32 v[18:19], s[2:3], v14, s26, 0
	v_add3_u32 v19, v19, v23, v22
	s_and_b64 vcc, exec, s[0:1]
	v_lshlrev_b64 v[18:19], 1, v[18:19]
	s_cbranch_vccnz .LBB1207_55
; %bb.47:
	v_mov_b32_e32 v23, s29
	v_add_co_u32_e32 v22, vcc, s28, v18
	v_addc_co_u32_e64 v23, s[2:3], v23, v19, vcc
	v_mov_b32_e32 v25, s29
	v_add_co_u32_e64 v24, s[2:3], s28, v20
	v_addc_co_u32_e64 v25, s[8:9], v25, v21, s[2:3]
	global_load_ushort v20, v[24:25], off
	global_load_ushort v27, v[22:23], off
	s_mov_b64 s[18:19], -1
	s_waitcnt vmcnt(1)
	v_lshlrev_b32_e32 v20, 16, v20
	s_waitcnt vmcnt(0)
	v_lshlrev_b32_e32 v23, 16, v27
	v_cmp_eq_f32_e64 s[8:9], v23, v20
	s_and_saveexec_b64 s[38:39], s[8:9]
	s_cbranch_execz .LBB1207_54
; %bb.48:
	v_mov_b32_e32 v20, s29
	v_addc_co_u32_e64 v21, s[2:3], v21, v20, s[2:3]
	v_add_co_u32_e64 v20, s[2:3], 2, v24
	v_mov_b32_e32 v23, s29
	v_addc_co_u32_e64 v21, s[2:3], 0, v21, s[2:3]
	v_addc_co_u32_e32 v23, vcc, v19, v23, vcc
	v_add_co_u32_e32 v22, vcc, 2, v22
	s_add_u32 s2, s26, -1
	v_addc_co_u32_e32 v23, vcc, 0, v23, vcc
	s_addc_u32 s3, s27, -1
	s_mov_b64 s[8:9], 0
	s_mov_b64 s[40:41], 0
                                        ; implicit-def: $sgpr18_sgpr19
	s_branch .LBB1207_51
.LBB1207_49:                            ;   in Loop: Header=BB1207_51 Depth=1
	global_load_ushort v24, v[20:21], off
	global_load_ushort v25, v[22:23], off
	v_add_co_u32_e32 v20, vcc, 2, v20
	v_addc_co_u32_e32 v21, vcc, 0, v21, vcc
	v_add_co_u32_e32 v22, vcc, 2, v22
	v_addc_co_u32_e32 v23, vcc, 0, v23, vcc
	s_add_u32 s40, s40, 1
	s_addc_u32 s41, s41, 0
	s_andn2_b64 s[18:19], s[18:19], exec
	s_waitcnt vmcnt(1)
	v_lshlrev_b32_e32 v24, 16, v24
	s_waitcnt vmcnt(0)
	v_lshlrev_b32_e32 v25, 16, v25
	v_cmp_neq_f32_e32 vcc, v25, v24
	s_and_b64 s[42:43], vcc, exec
	s_or_b64 s[18:19], s[18:19], s[42:43]
.LBB1207_50:                            ;   in Loop: Header=BB1207_51 Depth=1
	s_and_b64 s[42:43], exec, s[18:19]
	s_or_b64 s[8:9], s[42:43], s[8:9]
	v_pk_mov_b32 v[24:25], s[40:41], s[40:41] op_sel:[0,1]
	s_andn2_b64 exec, exec, s[8:9]
	s_cbranch_execz .LBB1207_53
.LBB1207_51:                            ; =>This Inner Loop Header: Depth=1
	s_or_b64 s[18:19], s[18:19], exec
	s_cmp_eq_u64 s[2:3], s[40:41]
	s_cbranch_scc0 .LBB1207_49
; %bb.52:                               ;   in Loop: Header=BB1207_51 Depth=1
                                        ; implicit-def: $vgpr20_vgpr21
                                        ; implicit-def: $vgpr22_vgpr23
	s_mov_b64 s[40:41], s[26:27]
	s_branch .LBB1207_50
.LBB1207_53:
	s_or_b64 exec, exec, s[8:9]
	v_cmp_gt_i64_e32 vcc, s[26:27], v[24:25]
	s_orn2_b64 s[18:19], vcc, exec
.LBB1207_54:
	s_or_b64 exec, exec, s[38:39]
.LBB1207_55:
	v_cmp_ne_u32_e32 vcc, 0, v0
	s_waitcnt lgkmcnt(0)
	v_pk_mov_b32 v[20:21], s[12:13], s[12:13] op_sel:[0,1]
	s_barrier
	s_and_saveexec_b64 s[2:3], vcc
	s_cbranch_execz .LBB1207_57
; %bb.56:
	v_add_u32_e32 v20, -8, v26
	ds_read_b64 v[20:21], v20
.LBB1207_57:
	s_or_b64 exec, exec, s[2:3]
	v_cndmask_b32_e64 v23, 0, 1, s[14:15]
	v_cndmask_b32_e64 v22, 0, 1, s[36:37]
	;; [unrolled: 1-line block ×3, first 2 shown]
	v_lshlrev_b16_e32 v23, 8, v23
	v_lshlrev_b16_e32 v27, 8, v24
	v_or_b32_sdwa v28, v22, v23 dst_sel:WORD_1 dst_unused:UNUSED_PAD src0_sel:DWORD src1_sel:DWORD
	s_mov_b64 s[14:15], 0
	s_and_b64 vcc, exec, s[0:1]
	s_mov_b64 s[18:19], 0
	s_cbranch_vccnz .LBB1207_66
; %bb.58:
	s_waitcnt lgkmcnt(0)
	v_mul_lo_u32 v22, v21, s26
	v_mul_lo_u32 v23, v20, s27
	v_mad_u64_u32 v[20:21], s[2:3], v20, s26, 0
	v_add3_u32 v21, v21, v23, v22
	v_lshlrev_b64 v[20:21], 1, v[20:21]
	v_mov_b32_e32 v23, s29
	v_add_co_u32_e32 v22, vcc, s28, v20
	v_addc_co_u32_e64 v23, s[2:3], v23, v21, vcc
	v_mov_b32_e32 v20, s29
	v_add_co_u32_e64 v24, s[2:3], s28, v18
	v_addc_co_u32_e64 v25, s[8:9], v20, v19, s[2:3]
	global_load_ushort v18, v[22:23], off
	global_load_ushort v20, v[24:25], off
	s_mov_b64 s[18:19], -1
	s_waitcnt vmcnt(1)
	v_lshlrev_b32_e32 v18, 16, v18
	s_waitcnt vmcnt(0)
	v_lshlrev_b32_e32 v20, 16, v20
	v_cmp_eq_f32_e64 s[8:9], v18, v20
	s_and_saveexec_b64 s[36:37], s[8:9]
	s_cbranch_execz .LBB1207_65
; %bb.59:
	v_mov_b32_e32 v18, s29
	v_addc_co_u32_e64 v19, s[2:3], v19, v18, s[2:3]
	v_add_co_u32_e64 v18, s[2:3], 2, v24
	v_mov_b32_e32 v20, s29
	v_addc_co_u32_e64 v19, s[2:3], 0, v19, s[2:3]
	v_addc_co_u32_e32 v21, vcc, v21, v20, vcc
	v_add_co_u32_e32 v20, vcc, 2, v22
	s_add_u32 s2, s26, -1
	v_addc_co_u32_e32 v21, vcc, 0, v21, vcc
	s_addc_u32 s3, s27, -1
	s_mov_b64 s[8:9], 0
	s_mov_b64 s[38:39], 0
                                        ; implicit-def: $sgpr18_sgpr19
	s_branch .LBB1207_62
.LBB1207_60:                            ;   in Loop: Header=BB1207_62 Depth=1
	global_load_ushort v22, v[18:19], off
	global_load_ushort v23, v[20:21], off
	v_add_co_u32_e32 v18, vcc, 2, v18
	v_addc_co_u32_e32 v19, vcc, 0, v19, vcc
	v_add_co_u32_e32 v20, vcc, 2, v20
	v_addc_co_u32_e32 v21, vcc, 0, v21, vcc
	s_add_u32 s38, s38, 1
	s_addc_u32 s39, s39, 0
	s_andn2_b64 s[18:19], s[18:19], exec
	s_waitcnt vmcnt(1)
	v_lshlrev_b32_e32 v22, 16, v22
	s_waitcnt vmcnt(0)
	v_lshlrev_b32_e32 v23, 16, v23
	v_cmp_neq_f32_e32 vcc, v23, v22
	s_and_b64 s[40:41], vcc, exec
	s_or_b64 s[18:19], s[18:19], s[40:41]
.LBB1207_61:                            ;   in Loop: Header=BB1207_62 Depth=1
	s_and_b64 s[40:41], exec, s[18:19]
	s_or_b64 s[8:9], s[40:41], s[8:9]
	v_pk_mov_b32 v[22:23], s[38:39], s[38:39] op_sel:[0,1]
	s_andn2_b64 exec, exec, s[8:9]
	s_cbranch_execz .LBB1207_64
.LBB1207_62:                            ; =>This Inner Loop Header: Depth=1
	s_or_b64 s[18:19], s[18:19], exec
	s_cmp_eq_u64 s[2:3], s[38:39]
	s_cbranch_scc0 .LBB1207_60
; %bb.63:                               ;   in Loop: Header=BB1207_62 Depth=1
                                        ; implicit-def: $vgpr18_vgpr19
                                        ; implicit-def: $vgpr20_vgpr21
	s_mov_b64 s[38:39], s[26:27]
	s_branch .LBB1207_61
.LBB1207_64:
	s_or_b64 exec, exec, s[8:9]
	v_cmp_gt_i64_e32 vcc, s[26:27], v[22:23]
	s_orn2_b64 s[18:19], vcc, exec
.LBB1207_65:
	s_or_b64 exec, exec, s[36:37]
.LBB1207_66:
	v_or_b32_e32 v28, v27, v28
	s_and_b64 vcc, exec, s[14:15]
	s_cbranch_vccz .LBB1207_114
.LBB1207_67:
	v_or_b32_e32 v18, 3, v1
	v_cmp_gt_u32_e32 vcc, s7, v18
	s_mov_b64 s[18:19], 0
	s_mov_b64 s[14:15], 0
	s_and_saveexec_b64 s[36:37], vcc
	s_cbranch_execz .LBB1207_78
; %bb.68:
	s_and_b64 vcc, exec, s[0:1]
	s_mov_b64 s[38:39], 0
	s_cbranch_vccnz .LBB1207_77
; %bb.69:
	s_waitcnt lgkmcnt(0)
	v_mul_lo_u32 v20, v11, s26
	v_mul_lo_u32 v21, v10, s27
	v_mad_u64_u32 v[18:19], s[2:3], v10, s26, 0
	v_add3_u32 v19, v19, v21, v20
	v_mul_lo_u32 v20, v13, s26
	v_mul_lo_u32 v21, v12, s27
	v_mad_u64_u32 v[24:25], s[2:3], v12, s26, 0
	v_add3_u32 v25, v25, v21, v20
	v_lshlrev_b64 v[20:21], 1, v[18:19]
	v_mov_b32_e32 v18, s29
	v_add_co_u32_e32 v22, vcc, s28, v20
	v_addc_co_u32_e64 v23, s[2:3], v18, v21, vcc
	v_lshlrev_b64 v[18:19], 1, v[24:25]
	v_mov_b32_e32 v20, s29
	v_add_co_u32_e64 v24, s[2:3], s28, v18
	v_addc_co_u32_e64 v25, s[8:9], v20, v19, s[2:3]
	global_load_ushort v18, v[24:25], off
	global_load_ushort v20, v[22:23], off
	s_mov_b64 s[38:39], -1
	s_waitcnt vmcnt(1)
	v_lshlrev_b32_e32 v18, 16, v18
	s_waitcnt vmcnt(0)
	v_lshlrev_b32_e32 v20, 16, v20
	v_cmp_eq_f32_e64 s[8:9], v20, v18
	s_and_saveexec_b64 s[14:15], s[8:9]
	s_cbranch_execz .LBB1207_76
; %bb.70:
	v_mov_b32_e32 v18, s29
	v_addc_co_u32_e64 v19, s[2:3], v19, v18, s[2:3]
	v_add_co_u32_e64 v18, s[2:3], 2, v24
	v_mov_b32_e32 v20, s29
	v_addc_co_u32_e64 v19, s[2:3], 0, v19, s[2:3]
	v_addc_co_u32_e32 v21, vcc, v21, v20, vcc
	v_add_co_u32_e32 v20, vcc, 2, v22
	s_add_u32 s2, s26, -1
	v_addc_co_u32_e32 v21, vcc, 0, v21, vcc
	s_addc_u32 s3, s27, -1
	s_mov_b64 s[8:9], 0
	s_mov_b64 s[40:41], 0
                                        ; implicit-def: $sgpr38_sgpr39
	s_branch .LBB1207_73
.LBB1207_71:                            ;   in Loop: Header=BB1207_73 Depth=1
	global_load_ushort v22, v[18:19], off
	global_load_ushort v23, v[20:21], off
	v_add_co_u32_e32 v18, vcc, 2, v18
	v_addc_co_u32_e32 v19, vcc, 0, v19, vcc
	v_add_co_u32_e32 v20, vcc, 2, v20
	v_addc_co_u32_e32 v21, vcc, 0, v21, vcc
	s_add_u32 s40, s40, 1
	s_addc_u32 s41, s41, 0
	s_andn2_b64 s[38:39], s[38:39], exec
	s_waitcnt vmcnt(1)
	v_lshlrev_b32_e32 v22, 16, v22
	s_waitcnt vmcnt(0)
	v_lshlrev_b32_e32 v23, 16, v23
	v_cmp_neq_f32_e32 vcc, v23, v22
	s_and_b64 s[42:43], vcc, exec
	s_or_b64 s[38:39], s[38:39], s[42:43]
.LBB1207_72:                            ;   in Loop: Header=BB1207_73 Depth=1
	s_and_b64 s[42:43], exec, s[38:39]
	s_or_b64 s[8:9], s[42:43], s[8:9]
	v_pk_mov_b32 v[22:23], s[40:41], s[40:41] op_sel:[0,1]
	s_andn2_b64 exec, exec, s[8:9]
	s_cbranch_execz .LBB1207_75
.LBB1207_73:                            ; =>This Inner Loop Header: Depth=1
	s_or_b64 s[38:39], s[38:39], exec
	s_cmp_eq_u64 s[2:3], s[40:41]
	s_cbranch_scc0 .LBB1207_71
; %bb.74:                               ;   in Loop: Header=BB1207_73 Depth=1
                                        ; implicit-def: $vgpr18_vgpr19
                                        ; implicit-def: $vgpr20_vgpr21
	s_mov_b64 s[40:41], s[26:27]
	s_branch .LBB1207_72
.LBB1207_75:
	s_or_b64 exec, exec, s[8:9]
	v_cmp_gt_i64_e32 vcc, s[26:27], v[22:23]
	s_orn2_b64 s[38:39], vcc, exec
.LBB1207_76:
	s_or_b64 exec, exec, s[14:15]
.LBB1207_77:
	s_and_b64 s[14:15], s[38:39], exec
.LBB1207_78:
	s_or_b64 exec, exec, s[36:37]
	v_or_b32_e32 v18, 2, v1
	v_cmp_gt_u32_e32 vcc, s7, v18
	s_and_saveexec_b64 s[36:37], vcc
	s_cbranch_execz .LBB1207_89
; %bb.79:
	s_and_b64 vcc, exec, s[0:1]
	s_mov_b64 s[38:39], 0
	s_cbranch_vccnz .LBB1207_88
; %bb.80:
	s_waitcnt lgkmcnt(0)
	v_mul_lo_u32 v20, v17, s26
	v_mul_lo_u32 v21, v16, s27
	v_mad_u64_u32 v[18:19], s[2:3], v16, s26, 0
	v_add3_u32 v19, v19, v21, v20
	v_mul_lo_u32 v20, v11, s26
	v_mul_lo_u32 v21, v10, s27
	v_mad_u64_u32 v[24:25], s[2:3], v10, s26, 0
	v_add3_u32 v25, v25, v21, v20
	v_lshlrev_b64 v[20:21], 1, v[18:19]
	v_mov_b32_e32 v18, s29
	v_add_co_u32_e32 v22, vcc, s28, v20
	v_addc_co_u32_e64 v23, s[2:3], v18, v21, vcc
	v_lshlrev_b64 v[18:19], 1, v[24:25]
	v_mov_b32_e32 v20, s29
	v_add_co_u32_e64 v24, s[2:3], s28, v18
	v_addc_co_u32_e64 v25, s[8:9], v20, v19, s[2:3]
	global_load_ushort v18, v[24:25], off
	global_load_ushort v20, v[22:23], off
	s_mov_b64 s[38:39], -1
	s_waitcnt vmcnt(1)
	v_lshlrev_b32_e32 v18, 16, v18
	s_waitcnt vmcnt(0)
	v_lshlrev_b32_e32 v20, 16, v20
	v_cmp_eq_f32_e64 s[8:9], v20, v18
	s_and_saveexec_b64 s[18:19], s[8:9]
	s_cbranch_execz .LBB1207_87
; %bb.81:
	v_mov_b32_e32 v18, s29
	v_addc_co_u32_e64 v19, s[2:3], v19, v18, s[2:3]
	v_add_co_u32_e64 v18, s[2:3], 2, v24
	v_mov_b32_e32 v20, s29
	v_addc_co_u32_e64 v19, s[2:3], 0, v19, s[2:3]
	v_addc_co_u32_e32 v21, vcc, v21, v20, vcc
	v_add_co_u32_e32 v20, vcc, 2, v22
	s_add_u32 s2, s26, -1
	v_addc_co_u32_e32 v21, vcc, 0, v21, vcc
	s_addc_u32 s3, s27, -1
	s_mov_b64 s[8:9], 0
	s_mov_b64 s[40:41], 0
                                        ; implicit-def: $sgpr38_sgpr39
	s_branch .LBB1207_84
.LBB1207_82:                            ;   in Loop: Header=BB1207_84 Depth=1
	global_load_ushort v22, v[18:19], off
	global_load_ushort v23, v[20:21], off
	v_add_co_u32_e32 v18, vcc, 2, v18
	v_addc_co_u32_e32 v19, vcc, 0, v19, vcc
	v_add_co_u32_e32 v20, vcc, 2, v20
	v_addc_co_u32_e32 v21, vcc, 0, v21, vcc
	s_add_u32 s40, s40, 1
	s_addc_u32 s41, s41, 0
	s_andn2_b64 s[38:39], s[38:39], exec
	s_waitcnt vmcnt(1)
	v_lshlrev_b32_e32 v22, 16, v22
	s_waitcnt vmcnt(0)
	v_lshlrev_b32_e32 v23, 16, v23
	v_cmp_neq_f32_e32 vcc, v23, v22
	s_and_b64 s[42:43], vcc, exec
	s_or_b64 s[38:39], s[38:39], s[42:43]
.LBB1207_83:                            ;   in Loop: Header=BB1207_84 Depth=1
	s_and_b64 s[42:43], exec, s[38:39]
	s_or_b64 s[8:9], s[42:43], s[8:9]
	v_pk_mov_b32 v[22:23], s[40:41], s[40:41] op_sel:[0,1]
	s_andn2_b64 exec, exec, s[8:9]
	s_cbranch_execz .LBB1207_86
.LBB1207_84:                            ; =>This Inner Loop Header: Depth=1
	s_or_b64 s[38:39], s[38:39], exec
	s_cmp_eq_u64 s[2:3], s[40:41]
	s_cbranch_scc0 .LBB1207_82
; %bb.85:                               ;   in Loop: Header=BB1207_84 Depth=1
                                        ; implicit-def: $vgpr18_vgpr19
                                        ; implicit-def: $vgpr20_vgpr21
	s_mov_b64 s[40:41], s[26:27]
	s_branch .LBB1207_83
.LBB1207_86:
	s_or_b64 exec, exec, s[8:9]
	v_cmp_gt_i64_e32 vcc, s[26:27], v[22:23]
	s_orn2_b64 s[38:39], vcc, exec
.LBB1207_87:
	s_or_b64 exec, exec, s[18:19]
.LBB1207_88:
	s_and_b64 s[18:19], s[38:39], exec
.LBB1207_89:
	s_or_b64 exec, exec, s[36:37]
	v_or_b32_e32 v18, 1, v1
	v_cmp_gt_u32_e32 vcc, s7, v18
	s_mov_b64 s[2:3], 0
	s_and_saveexec_b64 s[36:37], vcc
	s_cbranch_execz .LBB1207_100
; %bb.90:
	s_and_b64 vcc, exec, s[0:1]
	s_mov_b64 s[40:41], 0
	s_cbranch_vccnz .LBB1207_99
; %bb.91:
	s_waitcnt lgkmcnt(0)
	v_mul_lo_u32 v20, v15, s26
	v_mul_lo_u32 v21, v14, s27
	v_mad_u64_u32 v[18:19], s[2:3], v14, s26, 0
	v_add3_u32 v19, v19, v21, v20
	v_mul_lo_u32 v20, v17, s26
	v_mul_lo_u32 v21, v16, s27
	v_mad_u64_u32 v[24:25], s[2:3], v16, s26, 0
	v_add3_u32 v25, v25, v21, v20
	v_lshlrev_b64 v[20:21], 1, v[18:19]
	v_mov_b32_e32 v18, s29
	v_add_co_u32_e32 v22, vcc, s28, v20
	v_addc_co_u32_e64 v23, s[2:3], v18, v21, vcc
	v_lshlrev_b64 v[18:19], 1, v[24:25]
	v_mov_b32_e32 v20, s29
	v_add_co_u32_e64 v24, s[2:3], s28, v18
	v_addc_co_u32_e64 v25, s[8:9], v20, v19, s[2:3]
	global_load_ushort v18, v[24:25], off
	global_load_ushort v20, v[22:23], off
	s_mov_b64 s[40:41], -1
	s_waitcnt vmcnt(1)
	v_lshlrev_b32_e32 v18, 16, v18
	s_waitcnt vmcnt(0)
	v_lshlrev_b32_e32 v20, 16, v20
	v_cmp_eq_f32_e64 s[8:9], v20, v18
	s_and_saveexec_b64 s[38:39], s[8:9]
	s_cbranch_execz .LBB1207_98
; %bb.92:
	v_mov_b32_e32 v18, s29
	v_addc_co_u32_e64 v19, s[2:3], v19, v18, s[2:3]
	v_add_co_u32_e64 v18, s[2:3], 2, v24
	v_mov_b32_e32 v20, s29
	v_addc_co_u32_e64 v19, s[2:3], 0, v19, s[2:3]
	v_addc_co_u32_e32 v21, vcc, v21, v20, vcc
	v_add_co_u32_e32 v20, vcc, 2, v22
	s_add_u32 s2, s26, -1
	v_addc_co_u32_e32 v21, vcc, 0, v21, vcc
	s_addc_u32 s3, s27, -1
	s_mov_b64 s[8:9], 0
	s_mov_b64 s[42:43], 0
                                        ; implicit-def: $sgpr40_sgpr41
	s_branch .LBB1207_95
.LBB1207_93:                            ;   in Loop: Header=BB1207_95 Depth=1
	global_load_ushort v22, v[18:19], off
	global_load_ushort v23, v[20:21], off
	v_add_co_u32_e32 v18, vcc, 2, v18
	v_addc_co_u32_e32 v19, vcc, 0, v19, vcc
	v_add_co_u32_e32 v20, vcc, 2, v20
	v_addc_co_u32_e32 v21, vcc, 0, v21, vcc
	s_add_u32 s42, s42, 1
	s_addc_u32 s43, s43, 0
	s_andn2_b64 s[40:41], s[40:41], exec
	s_waitcnt vmcnt(1)
	v_lshlrev_b32_e32 v22, 16, v22
	s_waitcnt vmcnt(0)
	v_lshlrev_b32_e32 v23, 16, v23
	v_cmp_neq_f32_e32 vcc, v23, v22
	s_and_b64 s[44:45], vcc, exec
	s_or_b64 s[40:41], s[40:41], s[44:45]
.LBB1207_94:                            ;   in Loop: Header=BB1207_95 Depth=1
	s_and_b64 s[44:45], exec, s[40:41]
	s_or_b64 s[8:9], s[44:45], s[8:9]
	v_pk_mov_b32 v[22:23], s[42:43], s[42:43] op_sel:[0,1]
	s_andn2_b64 exec, exec, s[8:9]
	s_cbranch_execz .LBB1207_97
.LBB1207_95:                            ; =>This Inner Loop Header: Depth=1
	s_or_b64 s[40:41], s[40:41], exec
	s_cmp_eq_u64 s[2:3], s[42:43]
	s_cbranch_scc0 .LBB1207_93
; %bb.96:                               ;   in Loop: Header=BB1207_95 Depth=1
                                        ; implicit-def: $vgpr18_vgpr19
                                        ; implicit-def: $vgpr20_vgpr21
	s_mov_b64 s[42:43], s[26:27]
	s_branch .LBB1207_94
.LBB1207_97:
	s_or_b64 exec, exec, s[8:9]
	v_cmp_gt_i64_e32 vcc, s[26:27], v[22:23]
	s_orn2_b64 s[40:41], vcc, exec
.LBB1207_98:
	s_or_b64 exec, exec, s[38:39]
.LBB1207_99:
	s_and_b64 s[2:3], s[40:41], exec
.LBB1207_100:
	s_or_b64 exec, exec, s[36:37]
	v_cmp_ne_u32_e32 vcc, 0, v0
	s_waitcnt lgkmcnt(0)
	v_pk_mov_b32 v[18:19], s[12:13], s[12:13] op_sel:[0,1]
	s_barrier
	s_and_saveexec_b64 s[8:9], vcc
	s_cbranch_execz .LBB1207_102
; %bb.101:
	v_add_u32_e32 v18, -8, v26
	ds_read_b64 v[18:19], v18
.LBB1207_102:
	s_or_b64 exec, exec, s[8:9]
	v_cndmask_b32_e64 v21, 0, 1, s[14:15]
	v_cndmask_b32_e64 v20, 0, 1, s[18:19]
	;; [unrolled: 1-line block ×3, first 2 shown]
	v_lshlrev_b16_e32 v21, 8, v21
	v_lshlrev_b16_e32 v26, 8, v22
	v_or_b32_sdwa v27, v20, v21 dst_sel:WORD_1 dst_unused:UNUSED_PAD src0_sel:DWORD src1_sel:DWORD
	v_cmp_gt_u32_e32 vcc, s7, v1
	s_mov_b64 s[18:19], 0
	s_and_saveexec_b64 s[8:9], vcc
	s_cbranch_execz .LBB1207_113
; %bb.103:
	s_and_b64 vcc, exec, s[0:1]
	s_mov_b64 s[14:15], 0
	s_cbranch_vccnz .LBB1207_112
; %bb.104:
	s_waitcnt lgkmcnt(0)
	v_mul_lo_u32 v20, v19, s26
	v_mul_lo_u32 v21, v18, s27
	v_mad_u64_u32 v[18:19], s[0:1], v18, s26, 0
	v_add3_u32 v19, v19, v21, v20
	v_mul_lo_u32 v20, v15, s26
	v_mul_lo_u32 v21, v14, s27
	v_mad_u64_u32 v[24:25], s[0:1], v14, s26, 0
	v_add3_u32 v25, v25, v21, v20
	v_lshlrev_b64 v[20:21], 1, v[18:19]
	v_mov_b32_e32 v18, s29
	v_add_co_u32_e32 v22, vcc, s28, v20
	v_addc_co_u32_e64 v23, s[0:1], v18, v21, vcc
	v_lshlrev_b64 v[18:19], 1, v[24:25]
	v_mov_b32_e32 v20, s29
	v_add_co_u32_e64 v24, s[0:1], s28, v18
	v_addc_co_u32_e64 v25, s[2:3], v20, v19, s[0:1]
	global_load_ushort v18, v[24:25], off
	global_load_ushort v20, v[22:23], off
	s_mov_b64 s[14:15], -1
	s_waitcnt vmcnt(1)
	v_lshlrev_b32_e32 v18, 16, v18
	s_waitcnt vmcnt(0)
	v_lshlrev_b32_e32 v20, 16, v20
	v_cmp_eq_f32_e64 s[2:3], v20, v18
	s_and_saveexec_b64 s[12:13], s[2:3]
	s_cbranch_execz .LBB1207_111
; %bb.105:
	v_mov_b32_e32 v18, s29
	v_addc_co_u32_e64 v19, s[0:1], v19, v18, s[0:1]
	v_add_co_u32_e64 v18, s[0:1], 2, v24
	v_mov_b32_e32 v20, s29
	v_addc_co_u32_e64 v19, s[0:1], 0, v19, s[0:1]
	v_addc_co_u32_e32 v21, vcc, v21, v20, vcc
	v_add_co_u32_e32 v20, vcc, 2, v22
	s_add_u32 s0, s26, -1
	v_addc_co_u32_e32 v21, vcc, 0, v21, vcc
	s_addc_u32 s1, s27, -1
	s_mov_b64 s[2:3], 0
                                        ; implicit-def: $sgpr14_sgpr15
	s_branch .LBB1207_108
.LBB1207_106:                           ;   in Loop: Header=BB1207_108 Depth=1
	global_load_ushort v22, v[18:19], off
	global_load_ushort v23, v[20:21], off
	v_add_co_u32_e32 v18, vcc, 2, v18
	v_addc_co_u32_e32 v19, vcc, 0, v19, vcc
	v_add_co_u32_e32 v20, vcc, 2, v20
	v_addc_co_u32_e32 v21, vcc, 0, v21, vcc
	s_add_u32 s18, s18, 1
	s_addc_u32 s19, s19, 0
	s_andn2_b64 s[14:15], s[14:15], exec
	s_waitcnt vmcnt(1)
	v_lshlrev_b32_e32 v22, 16, v22
	s_waitcnt vmcnt(0)
	v_lshlrev_b32_e32 v23, 16, v23
	v_cmp_neq_f32_e32 vcc, v23, v22
	s_and_b64 s[36:37], vcc, exec
	s_or_b64 s[14:15], s[14:15], s[36:37]
.LBB1207_107:                           ;   in Loop: Header=BB1207_108 Depth=1
	s_and_b64 s[36:37], exec, s[14:15]
	s_or_b64 s[2:3], s[36:37], s[2:3]
	v_pk_mov_b32 v[22:23], s[18:19], s[18:19] op_sel:[0,1]
	s_andn2_b64 exec, exec, s[2:3]
	s_cbranch_execz .LBB1207_110
.LBB1207_108:                           ; =>This Inner Loop Header: Depth=1
	s_or_b64 s[14:15], s[14:15], exec
	s_cmp_eq_u64 s[0:1], s[18:19]
	s_cbranch_scc0 .LBB1207_106
; %bb.109:                              ;   in Loop: Header=BB1207_108 Depth=1
                                        ; implicit-def: $vgpr18_vgpr19
                                        ; implicit-def: $vgpr20_vgpr21
	s_mov_b64 s[18:19], s[26:27]
	s_branch .LBB1207_107
.LBB1207_110:
	s_or_b64 exec, exec, s[2:3]
	v_cmp_gt_i64_e32 vcc, s[26:27], v[22:23]
	s_orn2_b64 s[14:15], vcc, exec
.LBB1207_111:
	s_or_b64 exec, exec, s[12:13]
.LBB1207_112:
	s_and_b64 s[18:19], s[14:15], exec
.LBB1207_113:
	s_or_b64 exec, exec, s[8:9]
	v_or_b32_e32 v28, v26, v27
.LBB1207_114:
	s_waitcnt lgkmcnt(0)
	s_mov_b64 s[12:13], -1
	s_cbranch_execnz .LBB1207_203
.LBB1207_115:
	v_lshlrev_b32_e32 v29, 3, v0
	s_mov_b64 s[18:19], 0
	v_cmp_gt_i64_e64 s[14:15], s[26:27], 0
	s_and_b64 vcc, exec, s[34:35]
	ds_write_b64 v29, v[12:13]
	s_cbranch_vccz .LBB1207_123
; %bb.116:
	v_mul_lo_u32 v20, v11, s26
	v_mul_lo_u32 v21, v10, s27
	v_mad_u64_u32 v[18:19], s[0:1], v10, s26, 0
	v_add3_u32 v19, v19, v21, v20
	v_cndmask_b32_e64 v20, 0, 1, s[14:15]
	v_cmp_ne_u32_e64 s[0:1], 1, v20
	s_andn2_b64 vcc, exec, s[14:15]
	v_lshlrev_b64 v[18:19], 1, v[18:19]
	s_cbranch_vccnz .LBB1207_126
; %bb.117:
	v_mul_lo_u32 v22, v13, s26
	v_mul_lo_u32 v23, v12, s27
	v_mad_u64_u32 v[20:21], s[2:3], v12, s26, 0
	v_add3_u32 v21, v21, v23, v22
	v_mov_b32_e32 v23, s29
	v_add_co_u32_e32 v22, vcc, s28, v18
	v_addc_co_u32_e64 v23, s[2:3], v23, v19, vcc
	v_lshlrev_b64 v[20:21], 1, v[20:21]
	v_mov_b32_e32 v25, s29
	v_add_co_u32_e64 v24, s[2:3], s28, v20
	v_addc_co_u32_e64 v25, s[8:9], v25, v21, s[2:3]
	global_load_ushort v20, v[24:25], off
	global_load_ushort v26, v[22:23], off
	s_mov_b64 s[18:19], -1
	s_waitcnt vmcnt(1)
	v_lshlrev_b32_e32 v20, 16, v20
	s_waitcnt vmcnt(0)
	v_lshlrev_b32_e32 v23, 16, v26
	v_cmp_eq_f32_e64 s[8:9], v23, v20
	s_and_saveexec_b64 s[36:37], s[8:9]
	s_cbranch_execz .LBB1207_125
; %bb.118:
	v_mov_b32_e32 v20, s29
	v_addc_co_u32_e64 v21, s[2:3], v21, v20, s[2:3]
	v_add_co_u32_e64 v20, s[2:3], 2, v24
	v_mov_b32_e32 v23, s29
	v_addc_co_u32_e64 v21, s[2:3], 0, v21, s[2:3]
	v_addc_co_u32_e32 v23, vcc, v19, v23, vcc
	v_add_co_u32_e32 v22, vcc, 2, v22
	s_add_u32 s2, s26, -1
	v_addc_co_u32_e32 v23, vcc, 0, v23, vcc
	s_addc_u32 s3, s27, -1
	s_mov_b64 s[8:9], 0
	s_mov_b64 s[38:39], 0
                                        ; implicit-def: $sgpr18_sgpr19
	s_branch .LBB1207_121
.LBB1207_119:                           ;   in Loop: Header=BB1207_121 Depth=1
	global_load_ushort v24, v[20:21], off
	global_load_ushort v25, v[22:23], off
	v_add_co_u32_e32 v20, vcc, 2, v20
	v_addc_co_u32_e32 v21, vcc, 0, v21, vcc
	v_add_co_u32_e32 v22, vcc, 2, v22
	v_addc_co_u32_e32 v23, vcc, 0, v23, vcc
	s_add_u32 s38, s38, 1
	s_addc_u32 s39, s39, 0
	s_andn2_b64 s[18:19], s[18:19], exec
	s_waitcnt vmcnt(1)
	v_lshlrev_b32_e32 v24, 16, v24
	s_waitcnt vmcnt(0)
	v_lshlrev_b32_e32 v25, 16, v25
	v_cmp_neq_f32_e32 vcc, v25, v24
	s_and_b64 s[40:41], vcc, exec
	s_or_b64 s[18:19], s[18:19], s[40:41]
.LBB1207_120:                           ;   in Loop: Header=BB1207_121 Depth=1
	s_and_b64 s[40:41], exec, s[18:19]
	s_or_b64 s[8:9], s[40:41], s[8:9]
	v_pk_mov_b32 v[24:25], s[38:39], s[38:39] op_sel:[0,1]
	s_andn2_b64 exec, exec, s[8:9]
	s_cbranch_execz .LBB1207_124
.LBB1207_121:                           ; =>This Inner Loop Header: Depth=1
	s_or_b64 s[18:19], s[18:19], exec
	s_cmp_eq_u64 s[2:3], s[38:39]
	s_cbranch_scc0 .LBB1207_119
; %bb.122:                              ;   in Loop: Header=BB1207_121 Depth=1
                                        ; implicit-def: $vgpr20_vgpr21
                                        ; implicit-def: $vgpr22_vgpr23
	s_mov_b64 s[38:39], s[26:27]
	s_branch .LBB1207_120
.LBB1207_123:
                                        ; implicit-def: $sgpr18_sgpr19
                                        ; implicit-def: $vgpr28
	s_cbranch_execnz .LBB1207_156
	s_branch .LBB1207_203
.LBB1207_124:
	s_or_b64 exec, exec, s[8:9]
	v_cmp_gt_i64_e32 vcc, s[26:27], v[24:25]
	s_orn2_b64 s[18:19], vcc, exec
.LBB1207_125:
	s_or_b64 exec, exec, s[36:37]
.LBB1207_126:
	v_mul_lo_u32 v22, v17, s26
	v_mul_lo_u32 v23, v16, s27
	v_mad_u64_u32 v[20:21], s[2:3], v16, s26, 0
	v_add3_u32 v21, v21, v23, v22
	s_mov_b64 s[36:37], 0
	s_and_b64 vcc, exec, s[0:1]
	v_lshlrev_b64 v[20:21], 1, v[20:21]
	s_mov_b64 s[38:39], 0
	s_cbranch_vccnz .LBB1207_135
; %bb.127:
	v_mov_b32_e32 v23, s29
	v_add_co_u32_e32 v22, vcc, s28, v20
	v_addc_co_u32_e64 v23, s[2:3], v23, v21, vcc
	v_mov_b32_e32 v25, s29
	v_add_co_u32_e64 v24, s[2:3], s28, v18
	v_addc_co_u32_e64 v25, s[8:9], v25, v19, s[2:3]
	global_load_ushort v18, v[24:25], off
	global_load_ushort v26, v[22:23], off
	s_mov_b64 s[38:39], -1
	s_waitcnt vmcnt(1)
	v_lshlrev_b32_e32 v18, 16, v18
	s_waitcnt vmcnt(0)
	v_lshlrev_b32_e32 v23, 16, v26
	v_cmp_eq_f32_e64 s[8:9], v23, v18
	s_and_saveexec_b64 s[40:41], s[8:9]
	s_cbranch_execz .LBB1207_134
; %bb.128:
	v_mov_b32_e32 v18, s29
	v_addc_co_u32_e64 v19, s[2:3], v19, v18, s[2:3]
	v_add_co_u32_e64 v18, s[2:3], 2, v24
	v_mov_b32_e32 v23, s29
	v_addc_co_u32_e64 v19, s[2:3], 0, v19, s[2:3]
	v_addc_co_u32_e32 v23, vcc, v21, v23, vcc
	v_add_co_u32_e32 v22, vcc, 2, v22
	s_add_u32 s2, s26, -1
	v_addc_co_u32_e32 v23, vcc, 0, v23, vcc
	s_addc_u32 s3, s27, -1
	s_mov_b64 s[8:9], 0
	s_mov_b64 s[42:43], 0
                                        ; implicit-def: $sgpr38_sgpr39
	s_branch .LBB1207_131
.LBB1207_129:                           ;   in Loop: Header=BB1207_131 Depth=1
	global_load_ushort v24, v[18:19], off
	global_load_ushort v25, v[22:23], off
	v_add_co_u32_e32 v18, vcc, 2, v18
	v_addc_co_u32_e32 v19, vcc, 0, v19, vcc
	v_add_co_u32_e32 v22, vcc, 2, v22
	v_addc_co_u32_e32 v23, vcc, 0, v23, vcc
	s_add_u32 s42, s42, 1
	s_addc_u32 s43, s43, 0
	s_andn2_b64 s[38:39], s[38:39], exec
	s_waitcnt vmcnt(1)
	v_lshlrev_b32_e32 v24, 16, v24
	s_waitcnt vmcnt(0)
	v_lshlrev_b32_e32 v25, 16, v25
	v_cmp_neq_f32_e32 vcc, v25, v24
	s_and_b64 s[44:45], vcc, exec
	s_or_b64 s[38:39], s[38:39], s[44:45]
.LBB1207_130:                           ;   in Loop: Header=BB1207_131 Depth=1
	s_and_b64 s[44:45], exec, s[38:39]
	s_or_b64 s[8:9], s[44:45], s[8:9]
	v_pk_mov_b32 v[24:25], s[42:43], s[42:43] op_sel:[0,1]
	s_andn2_b64 exec, exec, s[8:9]
	s_cbranch_execz .LBB1207_133
.LBB1207_131:                           ; =>This Inner Loop Header: Depth=1
	s_or_b64 s[38:39], s[38:39], exec
	s_cmp_eq_u64 s[2:3], s[42:43]
	s_cbranch_scc0 .LBB1207_129
; %bb.132:                              ;   in Loop: Header=BB1207_131 Depth=1
                                        ; implicit-def: $vgpr18_vgpr19
                                        ; implicit-def: $vgpr22_vgpr23
	s_mov_b64 s[42:43], s[26:27]
	s_branch .LBB1207_130
.LBB1207_133:
	s_or_b64 exec, exec, s[8:9]
	v_cmp_gt_i64_e32 vcc, s[26:27], v[24:25]
	s_orn2_b64 s[38:39], vcc, exec
.LBB1207_134:
	s_or_b64 exec, exec, s[40:41]
.LBB1207_135:
	v_mul_lo_u32 v22, v15, s26
	v_mul_lo_u32 v23, v14, s27
	v_mad_u64_u32 v[18:19], s[2:3], v14, s26, 0
	s_and_b64 vcc, exec, s[0:1]
	v_add3_u32 v19, v19, v23, v22
	s_cbranch_vccnz .LBB1207_144
; %bb.136:
	v_lshlrev_b64 v[22:23], 1, v[18:19]
	v_mov_b32_e32 v25, s29
	v_add_co_u32_e32 v24, vcc, s28, v22
	v_addc_co_u32_e64 v25, s[2:3], v25, v23, vcc
	v_mov_b32_e32 v22, s29
	v_add_co_u32_e64 v26, s[2:3], s28, v20
	v_addc_co_u32_e64 v27, s[8:9], v22, v21, s[2:3]
	global_load_ushort v20, v[26:27], off
	global_load_ushort v22, v[24:25], off
	s_mov_b64 s[36:37], -1
	s_waitcnt vmcnt(1)
	v_lshlrev_b32_e32 v20, 16, v20
	s_waitcnt vmcnt(0)
	v_lshlrev_b32_e32 v22, 16, v22
	v_cmp_eq_f32_e64 s[8:9], v22, v20
	s_and_saveexec_b64 s[40:41], s[8:9]
	s_cbranch_execz .LBB1207_143
; %bb.137:
	v_mov_b32_e32 v20, s29
	v_addc_co_u32_e64 v21, s[2:3], v21, v20, s[2:3]
	v_add_co_u32_e64 v20, s[2:3], 2, v26
	v_mov_b32_e32 v22, s29
	v_addc_co_u32_e64 v21, s[2:3], 0, v21, s[2:3]
	v_addc_co_u32_e32 v23, vcc, v23, v22, vcc
	v_add_co_u32_e32 v22, vcc, 2, v24
	s_add_u32 s2, s26, -1
	v_addc_co_u32_e32 v23, vcc, 0, v23, vcc
	s_addc_u32 s3, s27, -1
	s_mov_b64 s[8:9], 0
	s_mov_b64 s[42:43], 0
                                        ; implicit-def: $sgpr36_sgpr37
	s_branch .LBB1207_140
.LBB1207_138:                           ;   in Loop: Header=BB1207_140 Depth=1
	global_load_ushort v24, v[20:21], off
	global_load_ushort v25, v[22:23], off
	v_add_co_u32_e32 v20, vcc, 2, v20
	v_addc_co_u32_e32 v21, vcc, 0, v21, vcc
	v_add_co_u32_e32 v22, vcc, 2, v22
	v_addc_co_u32_e32 v23, vcc, 0, v23, vcc
	s_add_u32 s42, s42, 1
	s_addc_u32 s43, s43, 0
	s_andn2_b64 s[36:37], s[36:37], exec
	s_waitcnt vmcnt(1)
	v_lshlrev_b32_e32 v24, 16, v24
	s_waitcnt vmcnt(0)
	v_lshlrev_b32_e32 v25, 16, v25
	v_cmp_neq_f32_e32 vcc, v25, v24
	s_and_b64 s[44:45], vcc, exec
	s_or_b64 s[36:37], s[36:37], s[44:45]
.LBB1207_139:                           ;   in Loop: Header=BB1207_140 Depth=1
	s_and_b64 s[44:45], exec, s[36:37]
	s_or_b64 s[8:9], s[44:45], s[8:9]
	v_pk_mov_b32 v[24:25], s[42:43], s[42:43] op_sel:[0,1]
	s_andn2_b64 exec, exec, s[8:9]
	s_cbranch_execz .LBB1207_142
.LBB1207_140:                           ; =>This Inner Loop Header: Depth=1
	s_or_b64 s[36:37], s[36:37], exec
	s_cmp_eq_u64 s[2:3], s[42:43]
	s_cbranch_scc0 .LBB1207_138
; %bb.141:                              ;   in Loop: Header=BB1207_140 Depth=1
                                        ; implicit-def: $vgpr20_vgpr21
                                        ; implicit-def: $vgpr22_vgpr23
	s_mov_b64 s[42:43], s[26:27]
	s_branch .LBB1207_139
.LBB1207_142:
	s_or_b64 exec, exec, s[8:9]
	v_cmp_gt_i64_e32 vcc, s[26:27], v[24:25]
	s_orn2_b64 s[36:37], vcc, exec
.LBB1207_143:
	s_or_b64 exec, exec, s[40:41]
.LBB1207_144:
	v_cndmask_b32_e64 v21, 0, 1, s[18:19]
	v_cndmask_b32_e64 v22, 0, 1, s[36:37]
	;; [unrolled: 1-line block ×3, first 2 shown]
	v_lshlrev_b16_e32 v22, 8, v22
	v_lshlrev_b16_e32 v21, 8, v21
	v_or_b32_e32 v22, 1, v22
	v_or_b32_sdwa v20, v20, v21 dst_sel:WORD_1 dst_unused:UNUSED_PAD src0_sel:DWORD src1_sel:DWORD
	v_or_b32_sdwa v28, v22, v20 dst_sel:DWORD dst_unused:UNUSED_PAD src0_sel:WORD_0 src1_sel:DWORD
	v_cmp_ne_u32_e32 vcc, 0, v0
	s_waitcnt lgkmcnt(0)
	s_barrier
	s_waitcnt lgkmcnt(0)
                                        ; implicit-def: $sgpr18_sgpr19
	s_and_saveexec_b64 s[2:3], vcc
	s_xor_b64 s[8:9], exec, s[2:3]
	s_cbranch_execz .LBB1207_155
; %bb.145:
	s_and_b64 vcc, exec, s[0:1]
	s_mov_b64 s[36:37], 0
	s_cbranch_vccnz .LBB1207_154
; %bb.146:
	v_add_u32_e32 v20, -8, v29
	ds_read_b64 v[20:21], v20
	v_mov_b32_e32 v23, s29
	v_lshlrev_b64 v[18:19], 1, v[18:19]
	s_mov_b64 s[36:37], -1
	s_waitcnt lgkmcnt(0)
	v_mul_lo_u32 v22, v21, s26
	v_mul_lo_u32 v24, v20, s27
	v_mad_u64_u32 v[20:21], s[0:1], v20, s26, 0
	v_add3_u32 v21, v21, v24, v22
	v_lshlrev_b64 v[20:21], 1, v[20:21]
	v_add_co_u32_e32 v22, vcc, s28, v20
	v_addc_co_u32_e64 v23, s[0:1], v23, v21, vcc
	v_mov_b32_e32 v20, s29
	v_add_co_u32_e64 v24, s[0:1], s28, v18
	v_addc_co_u32_e64 v25, s[2:3], v20, v19, s[0:1]
	global_load_ushort v18, v[22:23], off
	global_load_ushort v20, v[24:25], off
	s_waitcnt vmcnt(1)
	v_lshlrev_b32_e32 v18, 16, v18
	s_waitcnt vmcnt(0)
	v_lshlrev_b32_e32 v20, 16, v20
	v_cmp_eq_f32_e64 s[2:3], v18, v20
	s_and_saveexec_b64 s[18:19], s[2:3]
	s_cbranch_execz .LBB1207_153
; %bb.147:
	v_mov_b32_e32 v18, s29
	v_addc_co_u32_e64 v19, s[0:1], v19, v18, s[0:1]
	v_add_co_u32_e64 v18, s[0:1], 2, v24
	v_mov_b32_e32 v20, s29
	v_addc_co_u32_e64 v19, s[0:1], 0, v19, s[0:1]
	v_addc_co_u32_e32 v21, vcc, v21, v20, vcc
	v_add_co_u32_e32 v20, vcc, 2, v22
	s_add_u32 s0, s26, -1
	v_addc_co_u32_e32 v21, vcc, 0, v21, vcc
	s_addc_u32 s1, s27, -1
	s_mov_b64 s[2:3], 0
	s_mov_b64 s[38:39], 0
                                        ; implicit-def: $sgpr36_sgpr37
	s_branch .LBB1207_150
.LBB1207_148:                           ;   in Loop: Header=BB1207_150 Depth=1
	global_load_ushort v22, v[18:19], off
	global_load_ushort v23, v[20:21], off
	v_add_co_u32_e32 v18, vcc, 2, v18
	v_addc_co_u32_e32 v19, vcc, 0, v19, vcc
	v_add_co_u32_e32 v20, vcc, 2, v20
	v_addc_co_u32_e32 v21, vcc, 0, v21, vcc
	s_add_u32 s38, s38, 1
	s_addc_u32 s39, s39, 0
	s_andn2_b64 s[36:37], s[36:37], exec
	s_waitcnt vmcnt(1)
	v_lshlrev_b32_e32 v22, 16, v22
	s_waitcnt vmcnt(0)
	v_lshlrev_b32_e32 v23, 16, v23
	v_cmp_neq_f32_e32 vcc, v23, v22
	s_and_b64 s[40:41], vcc, exec
	s_or_b64 s[36:37], s[36:37], s[40:41]
.LBB1207_149:                           ;   in Loop: Header=BB1207_150 Depth=1
	s_and_b64 s[40:41], exec, s[36:37]
	s_or_b64 s[2:3], s[40:41], s[2:3]
	v_pk_mov_b32 v[22:23], s[38:39], s[38:39] op_sel:[0,1]
	s_andn2_b64 exec, exec, s[2:3]
	s_cbranch_execz .LBB1207_152
.LBB1207_150:                           ; =>This Inner Loop Header: Depth=1
	s_or_b64 s[36:37], s[36:37], exec
	s_cmp_eq_u64 s[0:1], s[38:39]
	s_cbranch_scc0 .LBB1207_148
; %bb.151:                              ;   in Loop: Header=BB1207_150 Depth=1
                                        ; implicit-def: $vgpr18_vgpr19
                                        ; implicit-def: $vgpr20_vgpr21
	s_mov_b64 s[38:39], s[26:27]
	s_branch .LBB1207_149
.LBB1207_152:
	s_or_b64 exec, exec, s[2:3]
	v_cmp_gt_i64_e32 vcc, s[26:27], v[22:23]
	s_orn2_b64 s[36:37], vcc, exec
.LBB1207_153:
	s_or_b64 exec, exec, s[18:19]
.LBB1207_154:
	s_and_b64 s[18:19], s[36:37], exec
	s_or_b64 s[12:13], s[12:13], exec
.LBB1207_155:
	s_or_b64 exec, exec, s[8:9]
	s_branch .LBB1207_203
.LBB1207_156:
	v_or_b32_e32 v18, 3, v1
	v_cmp_gt_u32_e32 vcc, s7, v18
	s_mov_b64 s[18:19], 0
	s_mov_b64 s[8:9], 0
	s_and_saveexec_b64 s[36:37], vcc
	s_cbranch_execz .LBB1207_167
; %bb.157:
	s_andn2_b64 vcc, exec, s[14:15]
	s_mov_b64 s[38:39], 0
	s_cbranch_vccnz .LBB1207_166
; %bb.158:
	v_mul_lo_u32 v20, v11, s26
	v_mul_lo_u32 v21, v10, s27
	v_mad_u64_u32 v[18:19], s[0:1], v10, s26, 0
	v_add3_u32 v19, v19, v21, v20
	v_mul_lo_u32 v20, v13, s26
	v_mul_lo_u32 v21, v12, s27
	v_mad_u64_u32 v[24:25], s[0:1], v12, s26, 0
	v_add3_u32 v25, v25, v21, v20
	v_lshlrev_b64 v[20:21], 1, v[18:19]
	v_mov_b32_e32 v18, s29
	v_add_co_u32_e32 v22, vcc, s28, v20
	v_addc_co_u32_e64 v23, s[0:1], v18, v21, vcc
	v_lshlrev_b64 v[18:19], 1, v[24:25]
	v_mov_b32_e32 v20, s29
	v_add_co_u32_e64 v24, s[0:1], s28, v18
	v_addc_co_u32_e64 v25, s[2:3], v20, v19, s[0:1]
	global_load_ushort v18, v[24:25], off
	global_load_ushort v20, v[22:23], off
	s_mov_b64 s[38:39], -1
	s_waitcnt vmcnt(1)
	v_lshlrev_b32_e32 v18, 16, v18
	s_waitcnt vmcnt(0)
	v_lshlrev_b32_e32 v20, 16, v20
	v_cmp_eq_f32_e64 s[2:3], v20, v18
	s_and_saveexec_b64 s[8:9], s[2:3]
	s_cbranch_execz .LBB1207_165
; %bb.159:
	v_mov_b32_e32 v18, s29
	v_addc_co_u32_e64 v19, s[0:1], v19, v18, s[0:1]
	v_add_co_u32_e64 v18, s[0:1], 2, v24
	v_mov_b32_e32 v20, s29
	v_addc_co_u32_e64 v19, s[0:1], 0, v19, s[0:1]
	v_addc_co_u32_e32 v21, vcc, v21, v20, vcc
	v_add_co_u32_e32 v20, vcc, 2, v22
	s_add_u32 s0, s26, -1
	v_addc_co_u32_e32 v21, vcc, 0, v21, vcc
	s_addc_u32 s1, s27, -1
	s_mov_b64 s[2:3], 0
	s_mov_b64 s[40:41], 0
                                        ; implicit-def: $sgpr38_sgpr39
	s_branch .LBB1207_162
.LBB1207_160:                           ;   in Loop: Header=BB1207_162 Depth=1
	global_load_ushort v22, v[18:19], off
	global_load_ushort v23, v[20:21], off
	v_add_co_u32_e32 v18, vcc, 2, v18
	v_addc_co_u32_e32 v19, vcc, 0, v19, vcc
	v_add_co_u32_e32 v20, vcc, 2, v20
	v_addc_co_u32_e32 v21, vcc, 0, v21, vcc
	s_add_u32 s40, s40, 1
	s_addc_u32 s41, s41, 0
	s_andn2_b64 s[38:39], s[38:39], exec
	s_waitcnt vmcnt(1)
	v_lshlrev_b32_e32 v22, 16, v22
	s_waitcnt vmcnt(0)
	v_lshlrev_b32_e32 v23, 16, v23
	v_cmp_neq_f32_e32 vcc, v23, v22
	s_and_b64 s[42:43], vcc, exec
	s_or_b64 s[38:39], s[38:39], s[42:43]
.LBB1207_161:                           ;   in Loop: Header=BB1207_162 Depth=1
	s_and_b64 s[42:43], exec, s[38:39]
	s_or_b64 s[2:3], s[42:43], s[2:3]
	v_pk_mov_b32 v[22:23], s[40:41], s[40:41] op_sel:[0,1]
	s_andn2_b64 exec, exec, s[2:3]
	s_cbranch_execz .LBB1207_164
.LBB1207_162:                           ; =>This Inner Loop Header: Depth=1
	s_or_b64 s[38:39], s[38:39], exec
	s_cmp_eq_u64 s[0:1], s[40:41]
	s_cbranch_scc0 .LBB1207_160
; %bb.163:                              ;   in Loop: Header=BB1207_162 Depth=1
                                        ; implicit-def: $vgpr18_vgpr19
                                        ; implicit-def: $vgpr20_vgpr21
	s_mov_b64 s[40:41], s[26:27]
	s_branch .LBB1207_161
.LBB1207_164:
	s_or_b64 exec, exec, s[2:3]
	v_cmp_gt_i64_e32 vcc, s[26:27], v[22:23]
	s_orn2_b64 s[38:39], vcc, exec
.LBB1207_165:
	s_or_b64 exec, exec, s[8:9]
.LBB1207_166:
	s_and_b64 s[8:9], s[38:39], exec
.LBB1207_167:
	s_or_b64 exec, exec, s[36:37]
	v_or_b32_e32 v18, 2, v1
	v_cmp_gt_u32_e32 vcc, s7, v18
	s_and_saveexec_b64 s[36:37], vcc
	s_cbranch_execz .LBB1207_178
; %bb.168:
	s_andn2_b64 vcc, exec, s[14:15]
	s_mov_b64 s[38:39], 0
	s_cbranch_vccnz .LBB1207_177
; %bb.169:
	v_mul_lo_u32 v20, v17, s26
	v_mul_lo_u32 v21, v16, s27
	v_mad_u64_u32 v[18:19], s[0:1], v16, s26, 0
	v_add3_u32 v19, v19, v21, v20
	v_mul_lo_u32 v20, v11, s26
	v_mul_lo_u32 v21, v10, s27
	v_mad_u64_u32 v[24:25], s[0:1], v10, s26, 0
	v_add3_u32 v25, v25, v21, v20
	v_lshlrev_b64 v[20:21], 1, v[18:19]
	v_mov_b32_e32 v18, s29
	v_add_co_u32_e32 v22, vcc, s28, v20
	v_addc_co_u32_e64 v23, s[0:1], v18, v21, vcc
	v_lshlrev_b64 v[18:19], 1, v[24:25]
	v_mov_b32_e32 v20, s29
	v_add_co_u32_e64 v24, s[0:1], s28, v18
	v_addc_co_u32_e64 v25, s[2:3], v20, v19, s[0:1]
	global_load_ushort v18, v[24:25], off
	global_load_ushort v20, v[22:23], off
	s_mov_b64 s[38:39], -1
	s_waitcnt vmcnt(1)
	v_lshlrev_b32_e32 v18, 16, v18
	s_waitcnt vmcnt(0)
	v_lshlrev_b32_e32 v20, 16, v20
	v_cmp_eq_f32_e64 s[2:3], v20, v18
	s_and_saveexec_b64 s[18:19], s[2:3]
	s_cbranch_execz .LBB1207_176
; %bb.170:
	v_mov_b32_e32 v18, s29
	v_addc_co_u32_e64 v19, s[0:1], v19, v18, s[0:1]
	v_add_co_u32_e64 v18, s[0:1], 2, v24
	v_mov_b32_e32 v20, s29
	v_addc_co_u32_e64 v19, s[0:1], 0, v19, s[0:1]
	v_addc_co_u32_e32 v21, vcc, v21, v20, vcc
	v_add_co_u32_e32 v20, vcc, 2, v22
	s_add_u32 s0, s26, -1
	v_addc_co_u32_e32 v21, vcc, 0, v21, vcc
	s_addc_u32 s1, s27, -1
	s_mov_b64 s[2:3], 0
	s_mov_b64 s[40:41], 0
                                        ; implicit-def: $sgpr38_sgpr39
	s_branch .LBB1207_173
.LBB1207_171:                           ;   in Loop: Header=BB1207_173 Depth=1
	global_load_ushort v22, v[18:19], off
	global_load_ushort v23, v[20:21], off
	v_add_co_u32_e32 v18, vcc, 2, v18
	v_addc_co_u32_e32 v19, vcc, 0, v19, vcc
	v_add_co_u32_e32 v20, vcc, 2, v20
	v_addc_co_u32_e32 v21, vcc, 0, v21, vcc
	s_add_u32 s40, s40, 1
	s_addc_u32 s41, s41, 0
	s_andn2_b64 s[38:39], s[38:39], exec
	s_waitcnt vmcnt(1)
	v_lshlrev_b32_e32 v22, 16, v22
	s_waitcnt vmcnt(0)
	v_lshlrev_b32_e32 v23, 16, v23
	v_cmp_neq_f32_e32 vcc, v23, v22
	s_and_b64 s[42:43], vcc, exec
	s_or_b64 s[38:39], s[38:39], s[42:43]
.LBB1207_172:                           ;   in Loop: Header=BB1207_173 Depth=1
	s_and_b64 s[42:43], exec, s[38:39]
	s_or_b64 s[2:3], s[42:43], s[2:3]
	v_pk_mov_b32 v[22:23], s[40:41], s[40:41] op_sel:[0,1]
	s_andn2_b64 exec, exec, s[2:3]
	s_cbranch_execz .LBB1207_175
.LBB1207_173:                           ; =>This Inner Loop Header: Depth=1
	s_or_b64 s[38:39], s[38:39], exec
	s_cmp_eq_u64 s[0:1], s[40:41]
	s_cbranch_scc0 .LBB1207_171
; %bb.174:                              ;   in Loop: Header=BB1207_173 Depth=1
                                        ; implicit-def: $vgpr18_vgpr19
                                        ; implicit-def: $vgpr20_vgpr21
	s_mov_b64 s[40:41], s[26:27]
	s_branch .LBB1207_172
.LBB1207_175:
	s_or_b64 exec, exec, s[2:3]
	v_cmp_gt_i64_e32 vcc, s[26:27], v[22:23]
	s_orn2_b64 s[38:39], vcc, exec
.LBB1207_176:
	s_or_b64 exec, exec, s[18:19]
.LBB1207_177:
	s_and_b64 s[18:19], s[38:39], exec
.LBB1207_178:
	s_or_b64 exec, exec, s[36:37]
	v_or_b32_e32 v18, 1, v1
	v_cmp_gt_u32_e32 vcc, s7, v18
	s_mov_b64 s[0:1], 0
	s_and_saveexec_b64 s[36:37], vcc
	s_cbranch_execz .LBB1207_189
; %bb.179:
	s_andn2_b64 vcc, exec, s[14:15]
	s_mov_b64 s[40:41], 0
	s_cbranch_vccnz .LBB1207_188
; %bb.180:
	v_mul_lo_u32 v20, v15, s26
	v_mul_lo_u32 v21, v14, s27
	v_mad_u64_u32 v[18:19], s[0:1], v14, s26, 0
	v_add3_u32 v19, v19, v21, v20
	v_mul_lo_u32 v20, v17, s26
	v_mul_lo_u32 v21, v16, s27
	v_mad_u64_u32 v[24:25], s[0:1], v16, s26, 0
	v_add3_u32 v25, v25, v21, v20
	v_lshlrev_b64 v[20:21], 1, v[18:19]
	v_mov_b32_e32 v18, s29
	v_add_co_u32_e32 v22, vcc, s28, v20
	v_addc_co_u32_e64 v23, s[0:1], v18, v21, vcc
	v_lshlrev_b64 v[18:19], 1, v[24:25]
	v_mov_b32_e32 v20, s29
	v_add_co_u32_e64 v24, s[0:1], s28, v18
	v_addc_co_u32_e64 v25, s[2:3], v20, v19, s[0:1]
	global_load_ushort v18, v[24:25], off
	global_load_ushort v20, v[22:23], off
	s_mov_b64 s[40:41], -1
	s_waitcnt vmcnt(1)
	v_lshlrev_b32_e32 v18, 16, v18
	s_waitcnt vmcnt(0)
	v_lshlrev_b32_e32 v20, 16, v20
	v_cmp_eq_f32_e64 s[2:3], v20, v18
	s_and_saveexec_b64 s[38:39], s[2:3]
	s_cbranch_execz .LBB1207_187
; %bb.181:
	v_mov_b32_e32 v18, s29
	v_addc_co_u32_e64 v19, s[0:1], v19, v18, s[0:1]
	v_add_co_u32_e64 v18, s[0:1], 2, v24
	v_mov_b32_e32 v20, s29
	v_addc_co_u32_e64 v19, s[0:1], 0, v19, s[0:1]
	v_addc_co_u32_e32 v21, vcc, v21, v20, vcc
	v_add_co_u32_e32 v20, vcc, 2, v22
	s_add_u32 s0, s26, -1
	v_addc_co_u32_e32 v21, vcc, 0, v21, vcc
	s_addc_u32 s1, s27, -1
	s_mov_b64 s[2:3], 0
	s_mov_b64 s[42:43], 0
                                        ; implicit-def: $sgpr40_sgpr41
	s_branch .LBB1207_184
.LBB1207_182:                           ;   in Loop: Header=BB1207_184 Depth=1
	global_load_ushort v22, v[18:19], off
	global_load_ushort v23, v[20:21], off
	v_add_co_u32_e32 v18, vcc, 2, v18
	v_addc_co_u32_e32 v19, vcc, 0, v19, vcc
	v_add_co_u32_e32 v20, vcc, 2, v20
	v_addc_co_u32_e32 v21, vcc, 0, v21, vcc
	s_add_u32 s42, s42, 1
	s_addc_u32 s43, s43, 0
	s_andn2_b64 s[40:41], s[40:41], exec
	s_waitcnt vmcnt(1)
	v_lshlrev_b32_e32 v22, 16, v22
	s_waitcnt vmcnt(0)
	v_lshlrev_b32_e32 v23, 16, v23
	v_cmp_neq_f32_e32 vcc, v23, v22
	s_and_b64 s[44:45], vcc, exec
	s_or_b64 s[40:41], s[40:41], s[44:45]
.LBB1207_183:                           ;   in Loop: Header=BB1207_184 Depth=1
	s_and_b64 s[44:45], exec, s[40:41]
	s_or_b64 s[2:3], s[44:45], s[2:3]
	v_pk_mov_b32 v[22:23], s[42:43], s[42:43] op_sel:[0,1]
	s_andn2_b64 exec, exec, s[2:3]
	s_cbranch_execz .LBB1207_186
.LBB1207_184:                           ; =>This Inner Loop Header: Depth=1
	s_or_b64 s[40:41], s[40:41], exec
	s_cmp_eq_u64 s[0:1], s[42:43]
	s_cbranch_scc0 .LBB1207_182
; %bb.185:                              ;   in Loop: Header=BB1207_184 Depth=1
                                        ; implicit-def: $vgpr18_vgpr19
                                        ; implicit-def: $vgpr20_vgpr21
	s_mov_b64 s[42:43], s[26:27]
	s_branch .LBB1207_183
.LBB1207_186:
	s_or_b64 exec, exec, s[2:3]
	v_cmp_gt_i64_e32 vcc, s[26:27], v[22:23]
	s_orn2_b64 s[40:41], vcc, exec
.LBB1207_187:
	s_or_b64 exec, exec, s[38:39]
.LBB1207_188:
	s_and_b64 s[0:1], s[40:41], exec
.LBB1207_189:
	s_or_b64 exec, exec, s[36:37]
	v_cndmask_b32_e64 v19, 0, 1, s[8:9]
	v_cndmask_b32_e64 v20, 0, 1, s[0:1]
	;; [unrolled: 1-line block ×3, first 2 shown]
	v_lshlrev_b16_e32 v20, 8, v20
	v_lshlrev_b16_e32 v19, 8, v19
	v_or_b32_e32 v20, 1, v20
	v_or_b32_sdwa v18, v18, v19 dst_sel:WORD_1 dst_unused:UNUSED_PAD src0_sel:DWORD src1_sel:DWORD
	v_or_b32_sdwa v28, v20, v18 dst_sel:DWORD dst_unused:UNUSED_PAD src0_sel:WORD_0 src1_sel:DWORD
	v_cmp_ne_u32_e32 vcc, 0, v0
	s_waitcnt lgkmcnt(0)
	s_barrier
	s_waitcnt lgkmcnt(0)
                                        ; implicit-def: $sgpr18_sgpr19
	s_and_saveexec_b64 s[8:9], vcc
	s_cbranch_execz .LBB1207_202
; %bb.190:
	v_cmp_gt_u32_e32 vcc, s7, v1
	s_mov_b64 s[0:1], 0
	s_and_saveexec_b64 s[18:19], vcc
	s_cbranch_execz .LBB1207_201
; %bb.191:
	s_andn2_b64 vcc, exec, s[14:15]
	s_mov_b64 s[36:37], 0
	s_cbranch_vccnz .LBB1207_200
; %bb.192:
	v_add_u32_e32 v18, -8, v29
	ds_read_b64 v[18:19], v18
	v_mul_lo_u32 v20, v15, s26
	v_mad_u64_u32 v[24:25], s[0:1], v14, s26, 0
	s_mov_b64 s[36:37], -1
	s_waitcnt lgkmcnt(0)
	v_mul_lo_u32 v21, v19, s26
	v_mul_lo_u32 v22, v18, s27
	v_mad_u64_u32 v[18:19], s[0:1], v18, s26, 0
	v_add3_u32 v19, v19, v22, v21
	v_mul_lo_u32 v21, v14, s27
	v_add3_u32 v25, v25, v21, v20
	v_lshlrev_b64 v[20:21], 1, v[18:19]
	v_mov_b32_e32 v18, s29
	v_add_co_u32_e32 v22, vcc, s28, v20
	v_addc_co_u32_e64 v23, s[0:1], v18, v21, vcc
	v_lshlrev_b64 v[18:19], 1, v[24:25]
	v_mov_b32_e32 v20, s29
	v_add_co_u32_e64 v24, s[0:1], s28, v18
	v_addc_co_u32_e64 v25, s[2:3], v20, v19, s[0:1]
	global_load_ushort v18, v[24:25], off
	global_load_ushort v20, v[22:23], off
	s_waitcnt vmcnt(1)
	v_lshlrev_b32_e32 v18, 16, v18
	s_waitcnt vmcnt(0)
	v_lshlrev_b32_e32 v20, 16, v20
	v_cmp_eq_f32_e64 s[2:3], v20, v18
	s_and_saveexec_b64 s[14:15], s[2:3]
	s_cbranch_execz .LBB1207_199
; %bb.193:
	v_mov_b32_e32 v18, s29
	v_addc_co_u32_e64 v19, s[0:1], v19, v18, s[0:1]
	v_add_co_u32_e64 v18, s[0:1], 2, v24
	v_mov_b32_e32 v20, s29
	v_addc_co_u32_e64 v19, s[0:1], 0, v19, s[0:1]
	v_addc_co_u32_e32 v21, vcc, v21, v20, vcc
	v_add_co_u32_e32 v20, vcc, 2, v22
	s_add_u32 s0, s26, -1
	v_addc_co_u32_e32 v21, vcc, 0, v21, vcc
	s_addc_u32 s1, s27, -1
	s_mov_b64 s[2:3], 0
	s_mov_b64 s[36:37], 0
                                        ; implicit-def: $sgpr28_sgpr29
	s_branch .LBB1207_196
.LBB1207_194:                           ;   in Loop: Header=BB1207_196 Depth=1
	global_load_ushort v22, v[18:19], off
	global_load_ushort v23, v[20:21], off
	v_add_co_u32_e32 v18, vcc, 2, v18
	v_addc_co_u32_e32 v19, vcc, 0, v19, vcc
	v_add_co_u32_e32 v20, vcc, 2, v20
	v_addc_co_u32_e32 v21, vcc, 0, v21, vcc
	s_add_u32 s36, s36, 1
	s_addc_u32 s37, s37, 0
	s_andn2_b64 s[28:29], s[28:29], exec
	s_waitcnt vmcnt(1)
	v_lshlrev_b32_e32 v22, 16, v22
	s_waitcnt vmcnt(0)
	v_lshlrev_b32_e32 v23, 16, v23
	v_cmp_neq_f32_e32 vcc, v23, v22
	s_and_b64 s[38:39], vcc, exec
	s_or_b64 s[28:29], s[28:29], s[38:39]
.LBB1207_195:                           ;   in Loop: Header=BB1207_196 Depth=1
	s_and_b64 s[38:39], exec, s[28:29]
	s_or_b64 s[2:3], s[38:39], s[2:3]
	v_pk_mov_b32 v[22:23], s[36:37], s[36:37] op_sel:[0,1]
	s_andn2_b64 exec, exec, s[2:3]
	s_cbranch_execz .LBB1207_198
.LBB1207_196:                           ; =>This Inner Loop Header: Depth=1
	s_or_b64 s[28:29], s[28:29], exec
	s_cmp_eq_u64 s[0:1], s[36:37]
	s_cbranch_scc0 .LBB1207_194
; %bb.197:                              ;   in Loop: Header=BB1207_196 Depth=1
                                        ; implicit-def: $vgpr18_vgpr19
                                        ; implicit-def: $vgpr20_vgpr21
	s_mov_b64 s[36:37], s[26:27]
	s_branch .LBB1207_195
.LBB1207_198:
	s_or_b64 exec, exec, s[2:3]
	v_cmp_gt_i64_e32 vcc, s[26:27], v[22:23]
	s_orn2_b64 s[36:37], vcc, exec
.LBB1207_199:
	s_or_b64 exec, exec, s[14:15]
.LBB1207_200:
	s_and_b64 s[0:1], s[36:37], exec
.LBB1207_201:
	s_or_b64 exec, exec, s[18:19]
	s_and_b64 s[18:19], s[0:1], exec
	s_or_b64 s[12:13], s[12:13], exec
.LBB1207_202:
	s_or_b64 exec, exec, s[8:9]
.LBB1207_203:
	s_and_saveexec_b64 s[0:1], s[12:13]
; %bb.204:
	v_and_b32_e32 v18, 0xffffff00, v28
	v_cndmask_b32_e64 v19, 0, 1, s[18:19]
	v_or_b32_e32 v18, v19, v18
	v_and_b32_e32 v18, 0xffff, v18
	s_mov_b32 s2, 0xffff0000
	v_and_or_b32 v28, v28, s2, v18
; %bb.205:
	s_or_b64 exec, exec, s[0:1]
	s_andn2_b64 vcc, exec, s[10:11]
	s_cbranch_vccnz .LBB1207_207
; %bb.206:
	v_cmp_gt_u32_e32 vcc, s7, v1
	v_cndmask_b32_e32 v18, 0, v28, vcc
	v_or_b32_e32 v19, 1, v1
	v_and_b32_e32 v18, 0xff, v18
	v_cmp_gt_u32_e32 vcc, s7, v19
	v_cndmask_b32_e32 v18, v18, v28, vcc
	v_or_b32_e32 v19, 2, v1
	v_and_b32_e32 v18, 0xffff, v18
	;; [unrolled: 4-line block ×3, first 2 shown]
	v_cmp_gt_u32_e32 vcc, s7, v19
	v_cndmask_b32_e32 v28, v18, v28, vcc
.LBB1207_207:
	v_bfe_u32 v30, v28, 16, 8
	v_lshrrev_b32_e32 v29, 24, v28
	v_add_u32_sdwa v18, v28, v28 dst_sel:DWORD dst_unused:UNUSED_PAD src0_sel:BYTE_1 src1_sel:BYTE_0
	v_add3_u32 v33, v18, v30, v29
	v_mbcnt_lo_u32_b32 v18, -1, 0
	v_mbcnt_hi_u32_b32 v31, -1, v18
	v_and_b32_e32 v18, 15, v31
	v_cmp_eq_u32_e64 s[14:15], 0, v18
	v_cmp_lt_u32_e64 s[12:13], 1, v18
	v_cmp_lt_u32_e64 s[10:11], 3, v18
	;; [unrolled: 1-line block ×3, first 2 shown]
	v_and_b32_e32 v18, 16, v31
	v_cmp_eq_u32_e64 s[18:19], 0, v18
	v_or_b32_e32 v18, 63, v0
	v_cmp_lt_u32_e64 s[0:1], 31, v31
	v_lshrrev_b32_e32 v32, 6, v0
	v_cmp_eq_u32_e64 s[2:3], v18, v0
	s_and_b64 vcc, exec, s[16:17]
	s_waitcnt lgkmcnt(0)
	s_barrier
	s_cbranch_vccz .LBB1207_234
; %bb.208:
	v_mov_b32_dpp v18, v33 row_shr:1 row_mask:0xf bank_mask:0xf
	v_cndmask_b32_e64 v18, v18, 0, s[14:15]
	v_add_u32_e32 v18, v18, v33
	s_nop 1
	v_mov_b32_dpp v19, v18 row_shr:2 row_mask:0xf bank_mask:0xf
	v_cndmask_b32_e64 v19, 0, v19, s[12:13]
	v_add_u32_e32 v18, v18, v19
	s_nop 1
	;; [unrolled: 4-line block ×4, first 2 shown]
	v_mov_b32_dpp v19, v18 row_bcast:15 row_mask:0xf bank_mask:0xf
	v_cndmask_b32_e64 v19, v19, 0, s[18:19]
	v_add_u32_e32 v18, v18, v19
	s_nop 1
	v_mov_b32_dpp v19, v18 row_bcast:31 row_mask:0xf bank_mask:0xf
	v_cndmask_b32_e64 v19, 0, v19, s[0:1]
	v_add_u32_e32 v18, v18, v19
	s_and_saveexec_b64 s[16:17], s[2:3]
	s_cbranch_execz .LBB1207_210
; %bb.209:
	v_lshlrev_b32_e32 v19, 2, v32
	ds_write_b32 v19, v18
.LBB1207_210:
	s_or_b64 exec, exec, s[16:17]
	v_cmp_gt_u32_e32 vcc, 2, v0
	s_waitcnt lgkmcnt(0)
	s_barrier
	s_and_saveexec_b64 s[16:17], vcc
	s_cbranch_execz .LBB1207_212
; %bb.211:
	ds_read_b32 v19, v1
	v_bfe_i32 v20, v31, 0, 1
	s_waitcnt lgkmcnt(0)
	v_mov_b32_dpp v21, v19 row_shr:1 row_mask:0xf bank_mask:0xf
	v_and_b32_e32 v20, v20, v21
	v_add_u32_e32 v19, v20, v19
	ds_write_b32 v1, v19
.LBB1207_212:
	s_or_b64 exec, exec, s[16:17]
	v_cmp_gt_u32_e32 vcc, 64, v0
	v_cmp_lt_u32_e64 s[16:17], 63, v0
	s_waitcnt lgkmcnt(0)
	s_barrier
	s_waitcnt lgkmcnt(0)
                                        ; implicit-def: $vgpr34
	s_and_saveexec_b64 s[26:27], s[16:17]
	s_cbranch_execz .LBB1207_214
; %bb.213:
	v_lshl_add_u32 v19, v32, 2, -4
	ds_read_b32 v34, v19
	s_waitcnt lgkmcnt(0)
	v_add_u32_e32 v18, v34, v18
.LBB1207_214:
	s_or_b64 exec, exec, s[26:27]
	v_add_u32_e32 v19, -1, v31
	v_and_b32_e32 v20, 64, v31
	v_cmp_lt_i32_e64 s[16:17], v19, v20
	v_cndmask_b32_e64 v19, v19, v31, s[16:17]
	v_lshlrev_b32_e32 v19, 2, v19
	ds_bpermute_b32 v35, v19, v18
	v_cmp_eq_u32_e64 s[16:17], 0, v31
	s_and_saveexec_b64 s[26:27], vcc
	s_cbranch_execz .LBB1207_233
; %bb.215:
	v_mov_b32_e32 v25, 0
	ds_read_b32 v18, v25 offset:4
	s_and_saveexec_b64 s[28:29], s[16:17]
	s_cbranch_execz .LBB1207_217
; %bb.216:
	s_add_i32 s36, s6, 64
	s_mov_b32 s37, 0
	s_lshl_b64 s[36:37], s[36:37], 3
	s_add_u32 s36, s30, s36
	v_mov_b32_e32 v19, 1
	s_addc_u32 s37, s31, s37
	s_waitcnt lgkmcnt(0)
	global_store_dwordx2 v25, v[18:19], s[36:37]
.LBB1207_217:
	s_or_b64 exec, exec, s[28:29]
	v_xad_u32 v20, v31, -1, s6
	v_add_u32_e32 v24, 64, v20
	v_lshlrev_b64 v[22:23], 3, v[24:25]
	v_mov_b32_e32 v19, s31
	v_add_co_u32_e32 v26, vcc, s30, v22
	v_addc_co_u32_e32 v27, vcc, v19, v23, vcc
	global_load_dwordx2 v[22:23], v[26:27], off glc
	s_waitcnt vmcnt(0)
	v_cmp_eq_u16_sdwa s[36:37], v23, v25 src0_sel:BYTE_0 src1_sel:DWORD
	s_and_saveexec_b64 s[28:29], s[36:37]
	s_cbranch_execz .LBB1207_221
; %bb.218:
	s_mov_b64 s[36:37], 0
	v_mov_b32_e32 v19, 0
.LBB1207_219:                           ; =>This Inner Loop Header: Depth=1
	global_load_dwordx2 v[22:23], v[26:27], off glc
	s_waitcnt vmcnt(0)
	v_cmp_ne_u16_sdwa s[38:39], v23, v19 src0_sel:BYTE_0 src1_sel:DWORD
	s_or_b64 s[36:37], s[38:39], s[36:37]
	s_andn2_b64 exec, exec, s[36:37]
	s_cbranch_execnz .LBB1207_219
; %bb.220:
	s_or_b64 exec, exec, s[36:37]
.LBB1207_221:
	s_or_b64 exec, exec, s[28:29]
	v_and_b32_e32 v36, 63, v31
	v_mov_b32_e32 v19, 2
	v_cmp_ne_u32_e32 vcc, 63, v36
	v_cmp_eq_u16_sdwa s[28:29], v23, v19 src0_sel:BYTE_0 src1_sel:DWORD
	v_lshlrev_b64 v[24:25], v31, -1
	v_addc_co_u32_e32 v27, vcc, 0, v31, vcc
	v_and_b32_e32 v21, s29, v25
	v_lshlrev_b32_e32 v37, 2, v27
	v_or_b32_e32 v21, 0x80000000, v21
	ds_bpermute_b32 v27, v37, v22
	v_and_b32_e32 v26, s28, v24
	v_ffbl_b32_e32 v21, v21
	v_add_u32_e32 v21, 32, v21
	v_ffbl_b32_e32 v26, v26
	v_min_u32_e32 v21, v26, v21
	v_cmp_lt_u32_e32 vcc, v36, v21
	s_waitcnt lgkmcnt(0)
	v_cndmask_b32_e32 v26, 0, v27, vcc
	v_cmp_gt_u32_e32 vcc, 62, v36
	v_add_u32_e32 v22, v26, v22
	v_cndmask_b32_e64 v26, 0, 1, vcc
	v_lshlrev_b32_e32 v26, 1, v26
	v_add_lshl_u32 v38, v26, v31, 2
	ds_bpermute_b32 v26, v38, v22
	v_add_u32_e32 v39, 2, v36
	v_cmp_le_u32_e32 vcc, v39, v21
	v_add_u32_e32 v41, 4, v36
	v_add_u32_e32 v43, 8, v36
	s_waitcnt lgkmcnt(0)
	v_cndmask_b32_e32 v26, 0, v26, vcc
	v_cmp_gt_u32_e32 vcc, 60, v36
	v_add_u32_e32 v22, v22, v26
	v_cndmask_b32_e64 v26, 0, 1, vcc
	v_lshlrev_b32_e32 v26, 2, v26
	v_add_lshl_u32 v40, v26, v31, 2
	ds_bpermute_b32 v26, v40, v22
	v_cmp_le_u32_e32 vcc, v41, v21
	v_add_u32_e32 v46, 16, v36
	v_add_u32_e32 v48, 32, v36
	s_waitcnt lgkmcnt(0)
	v_cndmask_b32_e32 v26, 0, v26, vcc
	v_cmp_gt_u32_e32 vcc, 56, v36
	v_add_u32_e32 v22, v22, v26
	v_cndmask_b32_e64 v26, 0, 1, vcc
	v_lshlrev_b32_e32 v26, 3, v26
	v_add_lshl_u32 v42, v26, v31, 2
	ds_bpermute_b32 v26, v42, v22
	v_cmp_le_u32_e32 vcc, v43, v21
	s_waitcnt lgkmcnt(0)
	v_cndmask_b32_e32 v26, 0, v26, vcc
	v_cmp_gt_u32_e32 vcc, 48, v36
	v_add_u32_e32 v22, v22, v26
	v_cndmask_b32_e64 v26, 0, 1, vcc
	v_lshlrev_b32_e32 v26, 4, v26
	v_add_lshl_u32 v45, v26, v31, 2
	ds_bpermute_b32 v26, v45, v22
	v_cmp_le_u32_e32 vcc, v46, v21
	;; [unrolled: 9-line block ×3, first 2 shown]
	s_waitcnt lgkmcnt(0)
	v_cndmask_b32_e32 v21, 0, v26, vcc
	v_add_u32_e32 v22, v22, v21
	v_mov_b32_e32 v21, 0
	s_branch .LBB1207_223
.LBB1207_222:                           ;   in Loop: Header=BB1207_223 Depth=1
	s_or_b64 exec, exec, s[28:29]
	v_cmp_eq_u16_sdwa s[28:29], v23, v19 src0_sel:BYTE_0 src1_sel:DWORD
	v_and_b32_e32 v26, s29, v25
	v_or_b32_e32 v26, 0x80000000, v26
	ds_bpermute_b32 v49, v37, v22
	v_and_b32_e32 v27, s28, v24
	v_ffbl_b32_e32 v26, v26
	v_add_u32_e32 v26, 32, v26
	v_ffbl_b32_e32 v27, v27
	v_min_u32_e32 v26, v27, v26
	v_cmp_lt_u32_e32 vcc, v36, v26
	s_waitcnt lgkmcnt(0)
	v_cndmask_b32_e32 v27, 0, v49, vcc
	v_add_u32_e32 v22, v27, v22
	ds_bpermute_b32 v27, v38, v22
	v_cmp_le_u32_e32 vcc, v39, v26
	v_subrev_u32_e32 v20, 64, v20
	s_waitcnt lgkmcnt(0)
	v_cndmask_b32_e32 v27, 0, v27, vcc
	v_add_u32_e32 v22, v22, v27
	ds_bpermute_b32 v27, v40, v22
	v_cmp_le_u32_e32 vcc, v41, v26
	s_waitcnt lgkmcnt(0)
	v_cndmask_b32_e32 v27, 0, v27, vcc
	v_add_u32_e32 v22, v22, v27
	ds_bpermute_b32 v27, v42, v22
	v_cmp_le_u32_e32 vcc, v43, v26
	;; [unrolled: 5-line block ×4, first 2 shown]
	s_waitcnt lgkmcnt(0)
	v_cndmask_b32_e32 v26, 0, v27, vcc
	v_add3_u32 v22, v26, v44, v22
.LBB1207_223:                           ; =>This Loop Header: Depth=1
                                        ;     Child Loop BB1207_226 Depth 2
	v_cmp_ne_u16_sdwa s[28:29], v23, v19 src0_sel:BYTE_0 src1_sel:DWORD
	v_cndmask_b32_e64 v23, 0, 1, s[28:29]
	;;#ASMSTART
	;;#ASMEND
	v_cmp_ne_u32_e32 vcc, 0, v23
	s_cmp_lg_u64 vcc, exec
	v_mov_b32_e32 v44, v22
	s_cbranch_scc1 .LBB1207_228
; %bb.224:                              ;   in Loop: Header=BB1207_223 Depth=1
	v_lshlrev_b64 v[22:23], 3, v[20:21]
	v_mov_b32_e32 v27, s31
	v_add_co_u32_e32 v26, vcc, s30, v22
	v_addc_co_u32_e32 v27, vcc, v27, v23, vcc
	global_load_dwordx2 v[22:23], v[26:27], off glc
	s_waitcnt vmcnt(0)
	v_cmp_eq_u16_sdwa s[36:37], v23, v21 src0_sel:BYTE_0 src1_sel:DWORD
	s_and_saveexec_b64 s[28:29], s[36:37]
	s_cbranch_execz .LBB1207_222
; %bb.225:                              ;   in Loop: Header=BB1207_223 Depth=1
	s_mov_b64 s[36:37], 0
.LBB1207_226:                           ;   Parent Loop BB1207_223 Depth=1
                                        ; =>  This Inner Loop Header: Depth=2
	global_load_dwordx2 v[22:23], v[26:27], off glc
	s_waitcnt vmcnt(0)
	v_cmp_ne_u16_sdwa s[38:39], v23, v21 src0_sel:BYTE_0 src1_sel:DWORD
	s_or_b64 s[36:37], s[38:39], s[36:37]
	s_andn2_b64 exec, exec, s[36:37]
	s_cbranch_execnz .LBB1207_226
; %bb.227:                              ;   in Loop: Header=BB1207_223 Depth=1
	s_or_b64 exec, exec, s[36:37]
	s_branch .LBB1207_222
.LBB1207_228:                           ;   in Loop: Header=BB1207_223 Depth=1
                                        ; implicit-def: $vgpr22
                                        ; implicit-def: $vgpr23
	s_cbranch_execz .LBB1207_223
; %bb.229:
	s_and_saveexec_b64 s[28:29], s[16:17]
	s_cbranch_execz .LBB1207_231
; %bb.230:
	s_add_i32 s6, s6, 64
	s_mov_b32 s7, 0
	s_lshl_b64 s[6:7], s[6:7], 3
	s_add_u32 s6, s30, s6
	v_add_u32_e32 v20, v44, v18
	v_mov_b32_e32 v21, 2
	s_addc_u32 s7, s31, s7
	v_mov_b32_e32 v19, 0
	global_store_dwordx2 v19, v[20:21], s[6:7]
	s_movk_i32 s6, 0x1000
	v_add_u32_e64 v19, s6, 0
	ds_write2_b32 v19, v18, v44 offset0:32 offset1:34
.LBB1207_231:
	s_or_b64 exec, exec, s[28:29]
	v_cmp_eq_u32_e32 vcc, 0, v0
	s_and_b64 exec, exec, vcc
	s_cbranch_execz .LBB1207_233
; %bb.232:
	v_mov_b32_e32 v18, 0
	ds_write_b32 v18, v44 offset:4
.LBB1207_233:
	s_or_b64 exec, exec, s[26:27]
	v_mov_b32_e32 v19, 0
	s_waitcnt lgkmcnt(0)
	s_barrier
	ds_read_b32 v19, v19 offset:4
	s_movk_i32 s6, 0x1000
	v_add_u32_e64 v20, s6, 0
	v_cndmask_b32_e64 v18, v35, v34, s[16:17]
	v_cmp_ne_u32_e32 vcc, 0, v0
	s_waitcnt lgkmcnt(0)
	s_barrier
	ds_read2_b32 v[26:27], v20 offset0:32 offset1:34
	v_cndmask_b32_e32 v18, 0, v18, vcc
	v_add_u32_e32 v24, v19, v18
	v_add_u32_sdwa v22, v24, v28 dst_sel:DWORD dst_unused:UNUSED_PAD src0_sel:DWORD src1_sel:BYTE_0
	v_add_u32_sdwa v20, v22, v28 dst_sel:DWORD dst_unused:UNUSED_PAD src0_sel:DWORD src1_sel:BYTE_1
	v_add_u32_e32 v18, v20, v30
	s_waitcnt lgkmcnt(0)
	v_readfirstlane_b32 s26, v26
	v_readfirstlane_b32 s16, v27
	s_branch .LBB1207_244
.LBB1207_234:
                                        ; implicit-def: $vgpr18
                                        ; implicit-def: $vgpr20
                                        ; implicit-def: $vgpr22
                                        ; implicit-def: $vgpr24
                                        ; implicit-def: $sgpr16
                                        ; implicit-def: $sgpr26
	s_cbranch_execz .LBB1207_244
; %bb.235:
	s_nop 0
	v_mov_b32_dpp v18, v33 row_shr:1 row_mask:0xf bank_mask:0xf
	v_cndmask_b32_e64 v18, v18, 0, s[14:15]
	v_add_u32_e32 v18, v18, v33
	s_nop 1
	v_mov_b32_dpp v19, v18 row_shr:2 row_mask:0xf bank_mask:0xf
	v_cndmask_b32_e64 v19, 0, v19, s[12:13]
	v_add_u32_e32 v18, v18, v19
	;; [unrolled: 4-line block ×4, first 2 shown]
	s_nop 1
	v_mov_b32_dpp v19, v18 row_bcast:15 row_mask:0xf bank_mask:0xf
	v_cndmask_b32_e64 v19, v19, 0, s[18:19]
	v_add_u32_e32 v18, v18, v19
	s_nop 1
	v_mov_b32_dpp v19, v18 row_bcast:31 row_mask:0xf bank_mask:0xf
	v_cndmask_b32_e64 v19, 0, v19, s[0:1]
	v_add_u32_e32 v18, v18, v19
	s_and_saveexec_b64 s[0:1], s[2:3]
	s_cbranch_execz .LBB1207_237
; %bb.236:
	v_lshlrev_b32_e32 v19, 2, v32
	ds_write_b32 v19, v18
.LBB1207_237:
	s_or_b64 exec, exec, s[0:1]
	v_cmp_gt_u32_e32 vcc, 2, v0
	s_waitcnt lgkmcnt(0)
	s_barrier
	s_and_saveexec_b64 s[0:1], vcc
	s_cbranch_execz .LBB1207_239
; %bb.238:
	ds_read_b32 v19, v1
	v_bfe_i32 v20, v31, 0, 1
	s_waitcnt lgkmcnt(0)
	v_mov_b32_dpp v21, v19 row_shr:1 row_mask:0xf bank_mask:0xf
	v_and_b32_e32 v20, v20, v21
	v_add_u32_e32 v19, v20, v19
	ds_write_b32 v1, v19
.LBB1207_239:
	s_or_b64 exec, exec, s[0:1]
	v_cmp_lt_u32_e32 vcc, 63, v0
	v_mov_b32_e32 v19, 0
	v_mov_b32_e32 v1, 0
	s_waitcnt lgkmcnt(0)
	s_barrier
	s_and_saveexec_b64 s[0:1], vcc
	s_cbranch_execz .LBB1207_241
; %bb.240:
	v_lshl_add_u32 v1, v32, 2, -4
	ds_read_b32 v1, v1
.LBB1207_241:
	s_or_b64 exec, exec, s[0:1]
	v_add_u32_e32 v20, -1, v31
	v_and_b32_e32 v21, 64, v31
	v_cmp_lt_i32_e32 vcc, v20, v21
	v_cndmask_b32_e32 v20, v20, v31, vcc
	s_waitcnt lgkmcnt(0)
	v_add_u32_e32 v18, v1, v18
	v_lshlrev_b32_e32 v20, 2, v20
	ds_read_b32 v19, v19 offset:4
	ds_bpermute_b32 v18, v20, v18
	s_mov_b32 s16, 0
	v_cmp_eq_u32_e32 vcc, 0, v0
	s_waitcnt lgkmcnt(1)
	v_readfirstlane_b32 s26, v19
	s_and_saveexec_b64 s[0:1], vcc
	s_cbranch_execz .LBB1207_243
; %bb.242:
	v_mov_b32_e32 v19, 0
	v_mov_b32_e32 v20, s26
	;; [unrolled: 1-line block ×3, first 2 shown]
	global_store_dwordx2 v19, v[20:21], s[30:31] offset:512
.LBB1207_243:
	s_or_b64 exec, exec, s[0:1]
	v_cmp_eq_u32_e64 s[0:1], 0, v31
	s_waitcnt lgkmcnt(0)
	v_cndmask_b32_e64 v1, v18, v1, s[0:1]
	v_cndmask_b32_e64 v24, v1, 0, vcc
	v_add_u32_sdwa v22, v24, v28 dst_sel:DWORD dst_unused:UNUSED_PAD src0_sel:DWORD src1_sel:BYTE_0
	v_add_u32_sdwa v20, v22, v28 dst_sel:DWORD dst_unused:UNUSED_PAD src0_sel:DWORD src1_sel:BYTE_1
	v_add_u32_e32 v18, v20, v30
	s_barrier
.LBB1207_244:
	s_load_dwordx4 s[4:7], s[4:5], 0x28
	s_cmpk_lt_u32 s26, 0x81
	s_cselect_b64 s[2:3], -1, 0
	v_lshrrev_b32_e32 v1, 8, v28
	s_mov_b64 s[0:1], -1
	s_and_b64 vcc, exec, s[2:3]
	s_cbranch_vccz .LBB1207_258
; %bb.245:
	s_add_i32 s8, s16, s26
	v_cmp_gt_u32_e32 vcc, s8, v24
	s_or_b64 s[10:11], s[34:35], vcc
	s_and_saveexec_b64 s[0:1], s[10:11]
	s_cbranch_execz .LBB1207_248
; %bb.246:
	v_and_b32_e32 v19, 1, v28
	v_cmp_eq_u32_e32 vcc, 1, v19
	s_and_b64 exec, exec, vcc
	s_cbranch_execz .LBB1207_248
; %bb.247:
	s_lshl_b64 s[10:11], s[22:23], 3
	s_waitcnt lgkmcnt(0)
	s_add_u32 s9, s4, s10
	v_mov_b32_e32 v25, 0
	s_addc_u32 s10, s5, s11
	v_lshlrev_b64 v[26:27], 3, v[24:25]
	v_mov_b32_e32 v19, s10
	v_add_co_u32_e32 v26, vcc, s9, v26
	v_addc_co_u32_e32 v27, vcc, v19, v27, vcc
	global_store_dwordx2 v[26:27], v[14:15], off
.LBB1207_248:
	s_or_b64 exec, exec, s[0:1]
	v_cmp_gt_u32_e32 vcc, s8, v22
	s_or_b64 s[10:11], s[34:35], vcc
	s_and_saveexec_b64 s[0:1], s[10:11]
	s_cbranch_execz .LBB1207_251
; %bb.249:
	v_and_b32_e32 v19, 1, v1
	v_cmp_eq_u32_e32 vcc, 1, v19
	s_and_b64 exec, exec, vcc
	s_cbranch_execz .LBB1207_251
; %bb.250:
	s_lshl_b64 s[10:11], s[22:23], 3
	s_waitcnt lgkmcnt(0)
	s_add_u32 s9, s4, s10
	v_mov_b32_e32 v23, 0
	s_addc_u32 s10, s5, s11
	v_lshlrev_b64 v[26:27], 3, v[22:23]
	v_mov_b32_e32 v19, s10
	v_add_co_u32_e32 v26, vcc, s9, v26
	v_addc_co_u32_e32 v27, vcc, v19, v27, vcc
	global_store_dwordx2 v[26:27], v[16:17], off
.LBB1207_251:
	s_or_b64 exec, exec, s[0:1]
	v_cmp_gt_u32_e32 vcc, s8, v20
	s_or_b64 s[10:11], s[34:35], vcc
	s_and_saveexec_b64 s[0:1], s[10:11]
	s_cbranch_execz .LBB1207_254
; %bb.252:
	v_mov_b32_e32 v19, 1
	v_and_b32_sdwa v19, v19, v28 dst_sel:DWORD dst_unused:UNUSED_PAD src0_sel:DWORD src1_sel:WORD_1
	v_cmp_eq_u32_e32 vcc, 1, v19
	s_and_b64 exec, exec, vcc
	s_cbranch_execz .LBB1207_254
; %bb.253:
	s_lshl_b64 s[10:11], s[22:23], 3
	s_waitcnt lgkmcnt(0)
	s_add_u32 s9, s4, s10
	v_mov_b32_e32 v21, 0
	s_addc_u32 s10, s5, s11
	v_lshlrev_b64 v[26:27], 3, v[20:21]
	v_mov_b32_e32 v19, s10
	v_add_co_u32_e32 v26, vcc, s9, v26
	v_addc_co_u32_e32 v27, vcc, v19, v27, vcc
	global_store_dwordx2 v[26:27], v[10:11], off
.LBB1207_254:
	s_or_b64 exec, exec, s[0:1]
	v_cmp_gt_u32_e32 vcc, s8, v18
	s_or_b64 s[8:9], s[34:35], vcc
	s_and_saveexec_b64 s[0:1], s[8:9]
	s_cbranch_execz .LBB1207_257
; %bb.255:
	v_and_b32_e32 v19, 1, v29
	v_cmp_eq_u32_e32 vcc, 1, v19
	s_and_b64 exec, exec, vcc
	s_cbranch_execz .LBB1207_257
; %bb.256:
	s_lshl_b64 s[8:9], s[22:23], 3
	s_waitcnt lgkmcnt(0)
	s_add_u32 s8, s4, s8
	v_mov_b32_e32 v19, 0
	s_addc_u32 s9, s5, s9
	v_lshlrev_b64 v[26:27], 3, v[18:19]
	v_mov_b32_e32 v19, s9
	v_add_co_u32_e32 v26, vcc, s8, v26
	v_addc_co_u32_e32 v27, vcc, v19, v27, vcc
	global_store_dwordx2 v[26:27], v[12:13], off
.LBB1207_257:
	s_or_b64 exec, exec, s[0:1]
	s_mov_b64 s[0:1], 0
.LBB1207_258:
	v_and_b32_e32 v26, 1, v28
	s_and_b64 vcc, exec, s[0:1]
	v_cmp_eq_u32_e64 s[0:1], 1, v26
	s_cbranch_vccz .LBB1207_271
; %bb.259:
	s_and_saveexec_b64 s[8:9], s[0:1]
	s_cbranch_execz .LBB1207_261
; %bb.260:
	v_subrev_u32_e32 v19, s16, v24
	v_lshlrev_b32_e32 v19, 3, v19
	ds_write_b64 v19, v[14:15]
.LBB1207_261:
	s_or_b64 exec, exec, s[8:9]
	v_and_b32_e32 v14, 1, v1
	v_cmp_eq_u32_e32 vcc, 1, v14
	s_and_saveexec_b64 s[0:1], vcc
	s_cbranch_execz .LBB1207_263
; %bb.262:
	v_subrev_u32_e32 v14, s16, v22
	v_lshlrev_b32_e32 v14, 3, v14
	ds_write_b64 v14, v[16:17]
.LBB1207_263:
	s_or_b64 exec, exec, s[0:1]
	v_mov_b32_e32 v14, 1
	v_and_b32_sdwa v14, v14, v28 dst_sel:DWORD dst_unused:UNUSED_PAD src0_sel:DWORD src1_sel:WORD_1
	v_cmp_eq_u32_e32 vcc, 1, v14
	s_and_saveexec_b64 s[0:1], vcc
	s_cbranch_execz .LBB1207_265
; %bb.264:
	v_subrev_u32_e32 v14, s16, v20
	v_lshlrev_b32_e32 v14, 3, v14
	ds_write_b64 v14, v[10:11]
.LBB1207_265:
	s_or_b64 exec, exec, s[0:1]
	v_and_b32_e32 v10, 1, v29
	v_cmp_eq_u32_e32 vcc, 1, v10
	s_and_saveexec_b64 s[0:1], vcc
	s_cbranch_execz .LBB1207_267
; %bb.266:
	v_subrev_u32_e32 v10, s16, v18
	v_lshlrev_b32_e32 v10, 3, v10
	ds_write_b64 v10, v[12:13]
.LBB1207_267:
	s_or_b64 exec, exec, s[0:1]
	v_cmp_gt_u32_e32 vcc, s26, v0
	s_waitcnt lgkmcnt(0)
	s_barrier
	s_and_saveexec_b64 s[0:1], vcc
	s_cbranch_execz .LBB1207_270
; %bb.268:
	s_mov_b32 s17, 0
	s_lshl_b64 s[8:9], s[16:17], 3
	s_add_u32 s8, s4, s8
	s_addc_u32 s9, s5, s9
	s_lshl_b64 s[4:5], s[22:23], 3
	s_add_u32 s8, s8, s4
	s_addc_u32 s9, s9, s5
	v_lshlrev_b32_e32 v12, 3, v0
	s_mov_b64 s[4:5], 0
	v_mov_b32_e32 v11, 0
	v_mov_b32_e32 v13, s9
	;; [unrolled: 1-line block ×3, first 2 shown]
.LBB1207_269:                           ; =>This Inner Loop Header: Depth=1
	ds_read_b64 v[14:15], v12
	v_lshlrev_b64 v[16:17], 3, v[10:11]
	v_add_co_u32_e32 v16, vcc, s8, v16
	v_add_u32_e32 v10, 0x80, v10
	v_addc_co_u32_e32 v17, vcc, v13, v17, vcc
	v_cmp_le_u32_e32 vcc, s26, v10
	v_add_u32_e32 v12, 0x400, v12
	s_or_b64 s[4:5], vcc, s[4:5]
	s_waitcnt lgkmcnt(0)
	global_store_dwordx2 v[16:17], v[14:15], off
	s_andn2_b64 exec, exec, s[4:5]
	s_cbranch_execnz .LBB1207_269
.LBB1207_270:
	s_or_b64 exec, exec, s[0:1]
.LBB1207_271:
	s_mov_b64 s[0:1], -1
	s_and_b64 vcc, exec, s[2:3]
	s_waitcnt lgkmcnt(0)
	s_barrier
	s_cbranch_vccnz .LBB1207_275
; %bb.272:
	s_and_b64 vcc, exec, s[0:1]
	s_cbranch_vccnz .LBB1207_288
.LBB1207_273:
	v_cmp_eq_u32_e32 vcc, 0, v0
	s_and_b64 s[0:1], vcc, s[24:25]
	s_and_saveexec_b64 s[2:3], s[0:1]
	s_cbranch_execnz .LBB1207_300
.LBB1207_274:
	s_endpgm
.LBB1207_275:
	s_add_i32 s2, s16, s26
	v_cmp_gt_u32_e32 vcc, s2, v24
	s_or_b64 s[4:5], s[34:35], vcc
	s_and_saveexec_b64 s[0:1], s[4:5]
	s_cbranch_execz .LBB1207_278
; %bb.276:
	v_cmp_eq_u32_e32 vcc, 1, v26
	s_and_b64 exec, exec, vcc
	s_cbranch_execz .LBB1207_278
; %bb.277:
	s_lshl_b64 s[4:5], s[22:23], 3
	s_add_u32 s3, s6, s4
	v_mov_b32_e32 v25, 0
	s_addc_u32 s4, s7, s5
	v_lshlrev_b64 v[10:11], 3, v[24:25]
	v_mov_b32_e32 v12, s4
	v_add_co_u32_e32 v10, vcc, s3, v10
	v_addc_co_u32_e32 v11, vcc, v12, v11, vcc
	global_store_dwordx2 v[10:11], v[6:7], off
.LBB1207_278:
	s_or_b64 exec, exec, s[0:1]
	v_cmp_gt_u32_e32 vcc, s2, v22
	s_or_b64 s[4:5], s[34:35], vcc
	s_and_saveexec_b64 s[0:1], s[4:5]
	s_cbranch_execz .LBB1207_281
; %bb.279:
	v_and_b32_e32 v10, 1, v1
	v_cmp_eq_u32_e32 vcc, 1, v10
	s_and_b64 exec, exec, vcc
	s_cbranch_execz .LBB1207_281
; %bb.280:
	s_lshl_b64 s[4:5], s[22:23], 3
	s_add_u32 s3, s6, s4
	v_mov_b32_e32 v23, 0
	s_addc_u32 s4, s7, s5
	v_lshlrev_b64 v[10:11], 3, v[22:23]
	v_mov_b32_e32 v12, s4
	v_add_co_u32_e32 v10, vcc, s3, v10
	v_addc_co_u32_e32 v11, vcc, v12, v11, vcc
	global_store_dwordx2 v[10:11], v[8:9], off
.LBB1207_281:
	s_or_b64 exec, exec, s[0:1]
	v_cmp_gt_u32_e32 vcc, s2, v20
	s_or_b64 s[4:5], s[34:35], vcc
	s_and_saveexec_b64 s[0:1], s[4:5]
	s_cbranch_execz .LBB1207_284
; %bb.282:
	v_mov_b32_e32 v10, 1
	v_and_b32_sdwa v10, v10, v28 dst_sel:DWORD dst_unused:UNUSED_PAD src0_sel:DWORD src1_sel:WORD_1
	v_cmp_eq_u32_e32 vcc, 1, v10
	s_and_b64 exec, exec, vcc
	s_cbranch_execz .LBB1207_284
; %bb.283:
	s_lshl_b64 s[4:5], s[22:23], 3
	s_add_u32 s3, s6, s4
	v_mov_b32_e32 v21, 0
	s_addc_u32 s4, s7, s5
	v_lshlrev_b64 v[10:11], 3, v[20:21]
	v_mov_b32_e32 v12, s4
	v_add_co_u32_e32 v10, vcc, s3, v10
	v_addc_co_u32_e32 v11, vcc, v12, v11, vcc
	global_store_dwordx2 v[10:11], v[2:3], off
.LBB1207_284:
	s_or_b64 exec, exec, s[0:1]
	v_cmp_gt_u32_e32 vcc, s2, v18
	s_or_b64 s[2:3], s[34:35], vcc
	s_and_saveexec_b64 s[0:1], s[2:3]
	s_cbranch_execz .LBB1207_287
; %bb.285:
	v_and_b32_e32 v10, 1, v29
	v_cmp_eq_u32_e32 vcc, 1, v10
	s_and_b64 exec, exec, vcc
	s_cbranch_execz .LBB1207_287
; %bb.286:
	s_lshl_b64 s[2:3], s[22:23], 3
	s_add_u32 s2, s6, s2
	v_mov_b32_e32 v19, 0
	s_addc_u32 s3, s7, s3
	v_lshlrev_b64 v[10:11], 3, v[18:19]
	v_mov_b32_e32 v12, s3
	v_add_co_u32_e32 v10, vcc, s2, v10
	v_addc_co_u32_e32 v11, vcc, v12, v11, vcc
	global_store_dwordx2 v[10:11], v[4:5], off
.LBB1207_287:
	s_or_b64 exec, exec, s[0:1]
	s_branch .LBB1207_273
.LBB1207_288:
	v_cmp_eq_u32_e32 vcc, 1, v26
	s_and_saveexec_b64 s[0:1], vcc
	s_cbranch_execz .LBB1207_290
; %bb.289:
	v_subrev_u32_e32 v10, s16, v24
	v_lshlrev_b32_e32 v10, 3, v10
	ds_write_b64 v10, v[6:7]
.LBB1207_290:
	s_or_b64 exec, exec, s[0:1]
	v_and_b32_e32 v1, 1, v1
	v_cmp_eq_u32_e32 vcc, 1, v1
	s_and_saveexec_b64 s[0:1], vcc
	s_cbranch_execz .LBB1207_292
; %bb.291:
	v_subrev_u32_e32 v1, s16, v22
	v_lshlrev_b32_e32 v1, 3, v1
	ds_write_b64 v1, v[8:9]
.LBB1207_292:
	s_or_b64 exec, exec, s[0:1]
	v_mov_b32_e32 v1, 1
	v_and_b32_sdwa v1, v1, v28 dst_sel:DWORD dst_unused:UNUSED_PAD src0_sel:DWORD src1_sel:WORD_1
	v_cmp_eq_u32_e32 vcc, 1, v1
	s_and_saveexec_b64 s[0:1], vcc
	s_cbranch_execz .LBB1207_294
; %bb.293:
	v_subrev_u32_e32 v1, s16, v20
	v_lshlrev_b32_e32 v1, 3, v1
	ds_write_b64 v1, v[2:3]
.LBB1207_294:
	s_or_b64 exec, exec, s[0:1]
	v_and_b32_e32 v1, 1, v29
	v_cmp_eq_u32_e32 vcc, 1, v1
	s_and_saveexec_b64 s[0:1], vcc
	s_cbranch_execz .LBB1207_296
; %bb.295:
	v_subrev_u32_e32 v1, s16, v18
	v_lshlrev_b32_e32 v1, 3, v1
	ds_write_b64 v1, v[4:5]
.LBB1207_296:
	s_or_b64 exec, exec, s[0:1]
	v_cmp_gt_u32_e32 vcc, s26, v0
	s_waitcnt lgkmcnt(0)
	s_barrier
	s_and_saveexec_b64 s[0:1], vcc
	s_cbranch_execz .LBB1207_299
; %bb.297:
	s_mov_b32 s17, 0
	s_lshl_b64 s[2:3], s[16:17], 3
	s_add_u32 s4, s6, s2
	s_addc_u32 s5, s7, s3
	s_lshl_b64 s[2:3], s[22:23], 3
	s_add_u32 s4, s4, s2
	s_addc_u32 s5, s5, s3
	v_lshlrev_b32_e32 v1, 3, v0
	s_mov_b64 s[2:3], 0
	v_mov_b32_e32 v3, 0
	v_mov_b32_e32 v4, s5
	;; [unrolled: 1-line block ×3, first 2 shown]
.LBB1207_298:                           ; =>This Inner Loop Header: Depth=1
	ds_read_b64 v[6:7], v1
	v_lshlrev_b64 v[8:9], 3, v[2:3]
	v_add_co_u32_e32 v8, vcc, s4, v8
	v_add_u32_e32 v2, 0x80, v2
	v_addc_co_u32_e32 v9, vcc, v4, v9, vcc
	v_cmp_le_u32_e32 vcc, s26, v2
	v_add_u32_e32 v1, 0x400, v1
	s_or_b64 s[2:3], vcc, s[2:3]
	s_waitcnt lgkmcnt(0)
	global_store_dwordx2 v[8:9], v[6:7], off
	s_andn2_b64 exec, exec, s[2:3]
	s_cbranch_execnz .LBB1207_298
.LBB1207_299:
	s_or_b64 exec, exec, s[0:1]
	v_cmp_eq_u32_e32 vcc, 0, v0
	s_and_b64 s[0:1], vcc, s[24:25]
	s_and_saveexec_b64 s[2:3], s[0:1]
	s_cbranch_execz .LBB1207_274
.LBB1207_300:
	s_add_u32 s0, s22, s26
	s_addc_u32 s1, s23, 0
	s_add_u32 s0, s0, s16
	s_addc_u32 s1, s1, 0
	v_mov_b32_e32 v2, 0
	v_pk_mov_b32 v[0:1], s[0:1], s[0:1] op_sel:[0,1]
	global_store_dwordx2 v2, v[0:1], s[20:21]
	s_endpgm
	.section	.rodata,"a",@progbits
	.p2align	6, 0x0
	.amdhsa_kernel _ZN7rocprim17ROCPRIM_400000_NS6detail17trampoline_kernelINS0_14default_configENS1_25partition_config_selectorILNS1_17partition_subalgoE9EllbEEZZNS1_14partition_implILS5_9ELb0ES3_jPlS8_PNS0_10empty_typeENS0_5tupleIJS8_S9_EEENSB_IJS8_SA_EEENS0_18inequality_wrapperIZN2at6native12_GLOBAL__N_124unique_dim_cuda_templateIN3c108BFloat16EEESt5tupleIJNSF_6TensorESM_SM_EERKSM_lbbbEUlllE0_EEPmJS9_EEE10hipError_tPvRmT3_T4_T5_T6_T7_T9_mT8_P12ihipStream_tbDpT10_ENKUlT_T0_E_clISt17integral_constantIbLb0EES1C_EEDaS17_S18_EUlS17_E_NS1_11comp_targetILNS1_3genE4ELNS1_11target_archE910ELNS1_3gpuE8ELNS1_3repE0EEENS1_30default_config_static_selectorELNS0_4arch9wavefront6targetE1EEEvT1_
		.amdhsa_group_segment_fixed_size 4236
		.amdhsa_private_segment_fixed_size 0
		.amdhsa_kernarg_size 120
		.amdhsa_user_sgpr_count 6
		.amdhsa_user_sgpr_private_segment_buffer 1
		.amdhsa_user_sgpr_dispatch_ptr 0
		.amdhsa_user_sgpr_queue_ptr 0
		.amdhsa_user_sgpr_kernarg_segment_ptr 1
		.amdhsa_user_sgpr_dispatch_id 0
		.amdhsa_user_sgpr_flat_scratch_init 0
		.amdhsa_user_sgpr_kernarg_preload_length 0
		.amdhsa_user_sgpr_kernarg_preload_offset 0
		.amdhsa_user_sgpr_private_segment_size 0
		.amdhsa_uses_dynamic_stack 0
		.amdhsa_system_sgpr_private_segment_wavefront_offset 0
		.amdhsa_system_sgpr_workgroup_id_x 1
		.amdhsa_system_sgpr_workgroup_id_y 0
		.amdhsa_system_sgpr_workgroup_id_z 0
		.amdhsa_system_sgpr_workgroup_info 0
		.amdhsa_system_vgpr_workitem_id 0
		.amdhsa_next_free_vgpr 50
		.amdhsa_next_free_sgpr 46
		.amdhsa_accum_offset 52
		.amdhsa_reserve_vcc 1
		.amdhsa_reserve_flat_scratch 0
		.amdhsa_float_round_mode_32 0
		.amdhsa_float_round_mode_16_64 0
		.amdhsa_float_denorm_mode_32 3
		.amdhsa_float_denorm_mode_16_64 3
		.amdhsa_dx10_clamp 1
		.amdhsa_ieee_mode 1
		.amdhsa_fp16_overflow 0
		.amdhsa_tg_split 0
		.amdhsa_exception_fp_ieee_invalid_op 0
		.amdhsa_exception_fp_denorm_src 0
		.amdhsa_exception_fp_ieee_div_zero 0
		.amdhsa_exception_fp_ieee_overflow 0
		.amdhsa_exception_fp_ieee_underflow 0
		.amdhsa_exception_fp_ieee_inexact 0
		.amdhsa_exception_int_div_zero 0
	.end_amdhsa_kernel
	.section	.text._ZN7rocprim17ROCPRIM_400000_NS6detail17trampoline_kernelINS0_14default_configENS1_25partition_config_selectorILNS1_17partition_subalgoE9EllbEEZZNS1_14partition_implILS5_9ELb0ES3_jPlS8_PNS0_10empty_typeENS0_5tupleIJS8_S9_EEENSB_IJS8_SA_EEENS0_18inequality_wrapperIZN2at6native12_GLOBAL__N_124unique_dim_cuda_templateIN3c108BFloat16EEESt5tupleIJNSF_6TensorESM_SM_EERKSM_lbbbEUlllE0_EEPmJS9_EEE10hipError_tPvRmT3_T4_T5_T6_T7_T9_mT8_P12ihipStream_tbDpT10_ENKUlT_T0_E_clISt17integral_constantIbLb0EES1C_EEDaS17_S18_EUlS17_E_NS1_11comp_targetILNS1_3genE4ELNS1_11target_archE910ELNS1_3gpuE8ELNS1_3repE0EEENS1_30default_config_static_selectorELNS0_4arch9wavefront6targetE1EEEvT1_,"axG",@progbits,_ZN7rocprim17ROCPRIM_400000_NS6detail17trampoline_kernelINS0_14default_configENS1_25partition_config_selectorILNS1_17partition_subalgoE9EllbEEZZNS1_14partition_implILS5_9ELb0ES3_jPlS8_PNS0_10empty_typeENS0_5tupleIJS8_S9_EEENSB_IJS8_SA_EEENS0_18inequality_wrapperIZN2at6native12_GLOBAL__N_124unique_dim_cuda_templateIN3c108BFloat16EEESt5tupleIJNSF_6TensorESM_SM_EERKSM_lbbbEUlllE0_EEPmJS9_EEE10hipError_tPvRmT3_T4_T5_T6_T7_T9_mT8_P12ihipStream_tbDpT10_ENKUlT_T0_E_clISt17integral_constantIbLb0EES1C_EEDaS17_S18_EUlS17_E_NS1_11comp_targetILNS1_3genE4ELNS1_11target_archE910ELNS1_3gpuE8ELNS1_3repE0EEENS1_30default_config_static_selectorELNS0_4arch9wavefront6targetE1EEEvT1_,comdat
.Lfunc_end1207:
	.size	_ZN7rocprim17ROCPRIM_400000_NS6detail17trampoline_kernelINS0_14default_configENS1_25partition_config_selectorILNS1_17partition_subalgoE9EllbEEZZNS1_14partition_implILS5_9ELb0ES3_jPlS8_PNS0_10empty_typeENS0_5tupleIJS8_S9_EEENSB_IJS8_SA_EEENS0_18inequality_wrapperIZN2at6native12_GLOBAL__N_124unique_dim_cuda_templateIN3c108BFloat16EEESt5tupleIJNSF_6TensorESM_SM_EERKSM_lbbbEUlllE0_EEPmJS9_EEE10hipError_tPvRmT3_T4_T5_T6_T7_T9_mT8_P12ihipStream_tbDpT10_ENKUlT_T0_E_clISt17integral_constantIbLb0EES1C_EEDaS17_S18_EUlS17_E_NS1_11comp_targetILNS1_3genE4ELNS1_11target_archE910ELNS1_3gpuE8ELNS1_3repE0EEENS1_30default_config_static_selectorELNS0_4arch9wavefront6targetE1EEEvT1_, .Lfunc_end1207-_ZN7rocprim17ROCPRIM_400000_NS6detail17trampoline_kernelINS0_14default_configENS1_25partition_config_selectorILNS1_17partition_subalgoE9EllbEEZZNS1_14partition_implILS5_9ELb0ES3_jPlS8_PNS0_10empty_typeENS0_5tupleIJS8_S9_EEENSB_IJS8_SA_EEENS0_18inequality_wrapperIZN2at6native12_GLOBAL__N_124unique_dim_cuda_templateIN3c108BFloat16EEESt5tupleIJNSF_6TensorESM_SM_EERKSM_lbbbEUlllE0_EEPmJS9_EEE10hipError_tPvRmT3_T4_T5_T6_T7_T9_mT8_P12ihipStream_tbDpT10_ENKUlT_T0_E_clISt17integral_constantIbLb0EES1C_EEDaS17_S18_EUlS17_E_NS1_11comp_targetILNS1_3genE4ELNS1_11target_archE910ELNS1_3gpuE8ELNS1_3repE0EEENS1_30default_config_static_selectorELNS0_4arch9wavefront6targetE1EEEvT1_
                                        ; -- End function
	.section	.AMDGPU.csdata,"",@progbits
; Kernel info:
; codeLenInByte = 11180
; NumSgprs: 50
; NumVgprs: 50
; NumAgprs: 0
; TotalNumVgprs: 50
; ScratchSize: 0
; MemoryBound: 0
; FloatMode: 240
; IeeeMode: 1
; LDSByteSize: 4236 bytes/workgroup (compile time only)
; SGPRBlocks: 6
; VGPRBlocks: 6
; NumSGPRsForWavesPerEU: 50
; NumVGPRsForWavesPerEU: 50
; AccumOffset: 52
; Occupancy: 8
; WaveLimiterHint : 1
; COMPUTE_PGM_RSRC2:SCRATCH_EN: 0
; COMPUTE_PGM_RSRC2:USER_SGPR: 6
; COMPUTE_PGM_RSRC2:TRAP_HANDLER: 0
; COMPUTE_PGM_RSRC2:TGID_X_EN: 1
; COMPUTE_PGM_RSRC2:TGID_Y_EN: 0
; COMPUTE_PGM_RSRC2:TGID_Z_EN: 0
; COMPUTE_PGM_RSRC2:TIDIG_COMP_CNT: 0
; COMPUTE_PGM_RSRC3_GFX90A:ACCUM_OFFSET: 12
; COMPUTE_PGM_RSRC3_GFX90A:TG_SPLIT: 0
	.section	.text._ZN7rocprim17ROCPRIM_400000_NS6detail17trampoline_kernelINS0_14default_configENS1_25partition_config_selectorILNS1_17partition_subalgoE9EllbEEZZNS1_14partition_implILS5_9ELb0ES3_jPlS8_PNS0_10empty_typeENS0_5tupleIJS8_S9_EEENSB_IJS8_SA_EEENS0_18inequality_wrapperIZN2at6native12_GLOBAL__N_124unique_dim_cuda_templateIN3c108BFloat16EEESt5tupleIJNSF_6TensorESM_SM_EERKSM_lbbbEUlllE0_EEPmJS9_EEE10hipError_tPvRmT3_T4_T5_T6_T7_T9_mT8_P12ihipStream_tbDpT10_ENKUlT_T0_E_clISt17integral_constantIbLb0EES1C_EEDaS17_S18_EUlS17_E_NS1_11comp_targetILNS1_3genE3ELNS1_11target_archE908ELNS1_3gpuE7ELNS1_3repE0EEENS1_30default_config_static_selectorELNS0_4arch9wavefront6targetE1EEEvT1_,"axG",@progbits,_ZN7rocprim17ROCPRIM_400000_NS6detail17trampoline_kernelINS0_14default_configENS1_25partition_config_selectorILNS1_17partition_subalgoE9EllbEEZZNS1_14partition_implILS5_9ELb0ES3_jPlS8_PNS0_10empty_typeENS0_5tupleIJS8_S9_EEENSB_IJS8_SA_EEENS0_18inequality_wrapperIZN2at6native12_GLOBAL__N_124unique_dim_cuda_templateIN3c108BFloat16EEESt5tupleIJNSF_6TensorESM_SM_EERKSM_lbbbEUlllE0_EEPmJS9_EEE10hipError_tPvRmT3_T4_T5_T6_T7_T9_mT8_P12ihipStream_tbDpT10_ENKUlT_T0_E_clISt17integral_constantIbLb0EES1C_EEDaS17_S18_EUlS17_E_NS1_11comp_targetILNS1_3genE3ELNS1_11target_archE908ELNS1_3gpuE7ELNS1_3repE0EEENS1_30default_config_static_selectorELNS0_4arch9wavefront6targetE1EEEvT1_,comdat
	.globl	_ZN7rocprim17ROCPRIM_400000_NS6detail17trampoline_kernelINS0_14default_configENS1_25partition_config_selectorILNS1_17partition_subalgoE9EllbEEZZNS1_14partition_implILS5_9ELb0ES3_jPlS8_PNS0_10empty_typeENS0_5tupleIJS8_S9_EEENSB_IJS8_SA_EEENS0_18inequality_wrapperIZN2at6native12_GLOBAL__N_124unique_dim_cuda_templateIN3c108BFloat16EEESt5tupleIJNSF_6TensorESM_SM_EERKSM_lbbbEUlllE0_EEPmJS9_EEE10hipError_tPvRmT3_T4_T5_T6_T7_T9_mT8_P12ihipStream_tbDpT10_ENKUlT_T0_E_clISt17integral_constantIbLb0EES1C_EEDaS17_S18_EUlS17_E_NS1_11comp_targetILNS1_3genE3ELNS1_11target_archE908ELNS1_3gpuE7ELNS1_3repE0EEENS1_30default_config_static_selectorELNS0_4arch9wavefront6targetE1EEEvT1_ ; -- Begin function _ZN7rocprim17ROCPRIM_400000_NS6detail17trampoline_kernelINS0_14default_configENS1_25partition_config_selectorILNS1_17partition_subalgoE9EllbEEZZNS1_14partition_implILS5_9ELb0ES3_jPlS8_PNS0_10empty_typeENS0_5tupleIJS8_S9_EEENSB_IJS8_SA_EEENS0_18inequality_wrapperIZN2at6native12_GLOBAL__N_124unique_dim_cuda_templateIN3c108BFloat16EEESt5tupleIJNSF_6TensorESM_SM_EERKSM_lbbbEUlllE0_EEPmJS9_EEE10hipError_tPvRmT3_T4_T5_T6_T7_T9_mT8_P12ihipStream_tbDpT10_ENKUlT_T0_E_clISt17integral_constantIbLb0EES1C_EEDaS17_S18_EUlS17_E_NS1_11comp_targetILNS1_3genE3ELNS1_11target_archE908ELNS1_3gpuE7ELNS1_3repE0EEENS1_30default_config_static_selectorELNS0_4arch9wavefront6targetE1EEEvT1_
	.p2align	8
	.type	_ZN7rocprim17ROCPRIM_400000_NS6detail17trampoline_kernelINS0_14default_configENS1_25partition_config_selectorILNS1_17partition_subalgoE9EllbEEZZNS1_14partition_implILS5_9ELb0ES3_jPlS8_PNS0_10empty_typeENS0_5tupleIJS8_S9_EEENSB_IJS8_SA_EEENS0_18inequality_wrapperIZN2at6native12_GLOBAL__N_124unique_dim_cuda_templateIN3c108BFloat16EEESt5tupleIJNSF_6TensorESM_SM_EERKSM_lbbbEUlllE0_EEPmJS9_EEE10hipError_tPvRmT3_T4_T5_T6_T7_T9_mT8_P12ihipStream_tbDpT10_ENKUlT_T0_E_clISt17integral_constantIbLb0EES1C_EEDaS17_S18_EUlS17_E_NS1_11comp_targetILNS1_3genE3ELNS1_11target_archE908ELNS1_3gpuE7ELNS1_3repE0EEENS1_30default_config_static_selectorELNS0_4arch9wavefront6targetE1EEEvT1_,@function
_ZN7rocprim17ROCPRIM_400000_NS6detail17trampoline_kernelINS0_14default_configENS1_25partition_config_selectorILNS1_17partition_subalgoE9EllbEEZZNS1_14partition_implILS5_9ELb0ES3_jPlS8_PNS0_10empty_typeENS0_5tupleIJS8_S9_EEENSB_IJS8_SA_EEENS0_18inequality_wrapperIZN2at6native12_GLOBAL__N_124unique_dim_cuda_templateIN3c108BFloat16EEESt5tupleIJNSF_6TensorESM_SM_EERKSM_lbbbEUlllE0_EEPmJS9_EEE10hipError_tPvRmT3_T4_T5_T6_T7_T9_mT8_P12ihipStream_tbDpT10_ENKUlT_T0_E_clISt17integral_constantIbLb0EES1C_EEDaS17_S18_EUlS17_E_NS1_11comp_targetILNS1_3genE3ELNS1_11target_archE908ELNS1_3gpuE7ELNS1_3repE0EEENS1_30default_config_static_selectorELNS0_4arch9wavefront6targetE1EEEvT1_: ; @_ZN7rocprim17ROCPRIM_400000_NS6detail17trampoline_kernelINS0_14default_configENS1_25partition_config_selectorILNS1_17partition_subalgoE9EllbEEZZNS1_14partition_implILS5_9ELb0ES3_jPlS8_PNS0_10empty_typeENS0_5tupleIJS8_S9_EEENSB_IJS8_SA_EEENS0_18inequality_wrapperIZN2at6native12_GLOBAL__N_124unique_dim_cuda_templateIN3c108BFloat16EEESt5tupleIJNSF_6TensorESM_SM_EERKSM_lbbbEUlllE0_EEPmJS9_EEE10hipError_tPvRmT3_T4_T5_T6_T7_T9_mT8_P12ihipStream_tbDpT10_ENKUlT_T0_E_clISt17integral_constantIbLb0EES1C_EEDaS17_S18_EUlS17_E_NS1_11comp_targetILNS1_3genE3ELNS1_11target_archE908ELNS1_3gpuE7ELNS1_3repE0EEENS1_30default_config_static_selectorELNS0_4arch9wavefront6targetE1EEEvT1_
; %bb.0:
	.section	.rodata,"a",@progbits
	.p2align	6, 0x0
	.amdhsa_kernel _ZN7rocprim17ROCPRIM_400000_NS6detail17trampoline_kernelINS0_14default_configENS1_25partition_config_selectorILNS1_17partition_subalgoE9EllbEEZZNS1_14partition_implILS5_9ELb0ES3_jPlS8_PNS0_10empty_typeENS0_5tupleIJS8_S9_EEENSB_IJS8_SA_EEENS0_18inequality_wrapperIZN2at6native12_GLOBAL__N_124unique_dim_cuda_templateIN3c108BFloat16EEESt5tupleIJNSF_6TensorESM_SM_EERKSM_lbbbEUlllE0_EEPmJS9_EEE10hipError_tPvRmT3_T4_T5_T6_T7_T9_mT8_P12ihipStream_tbDpT10_ENKUlT_T0_E_clISt17integral_constantIbLb0EES1C_EEDaS17_S18_EUlS17_E_NS1_11comp_targetILNS1_3genE3ELNS1_11target_archE908ELNS1_3gpuE7ELNS1_3repE0EEENS1_30default_config_static_selectorELNS0_4arch9wavefront6targetE1EEEvT1_
		.amdhsa_group_segment_fixed_size 0
		.amdhsa_private_segment_fixed_size 0
		.amdhsa_kernarg_size 120
		.amdhsa_user_sgpr_count 6
		.amdhsa_user_sgpr_private_segment_buffer 1
		.amdhsa_user_sgpr_dispatch_ptr 0
		.amdhsa_user_sgpr_queue_ptr 0
		.amdhsa_user_sgpr_kernarg_segment_ptr 1
		.amdhsa_user_sgpr_dispatch_id 0
		.amdhsa_user_sgpr_flat_scratch_init 0
		.amdhsa_user_sgpr_kernarg_preload_length 0
		.amdhsa_user_sgpr_kernarg_preload_offset 0
		.amdhsa_user_sgpr_private_segment_size 0
		.amdhsa_uses_dynamic_stack 0
		.amdhsa_system_sgpr_private_segment_wavefront_offset 0
		.amdhsa_system_sgpr_workgroup_id_x 1
		.amdhsa_system_sgpr_workgroup_id_y 0
		.amdhsa_system_sgpr_workgroup_id_z 0
		.amdhsa_system_sgpr_workgroup_info 0
		.amdhsa_system_vgpr_workitem_id 0
		.amdhsa_next_free_vgpr 1
		.amdhsa_next_free_sgpr 0
		.amdhsa_accum_offset 4
		.amdhsa_reserve_vcc 0
		.amdhsa_reserve_flat_scratch 0
		.amdhsa_float_round_mode_32 0
		.amdhsa_float_round_mode_16_64 0
		.amdhsa_float_denorm_mode_32 3
		.amdhsa_float_denorm_mode_16_64 3
		.amdhsa_dx10_clamp 1
		.amdhsa_ieee_mode 1
		.amdhsa_fp16_overflow 0
		.amdhsa_tg_split 0
		.amdhsa_exception_fp_ieee_invalid_op 0
		.amdhsa_exception_fp_denorm_src 0
		.amdhsa_exception_fp_ieee_div_zero 0
		.amdhsa_exception_fp_ieee_overflow 0
		.amdhsa_exception_fp_ieee_underflow 0
		.amdhsa_exception_fp_ieee_inexact 0
		.amdhsa_exception_int_div_zero 0
	.end_amdhsa_kernel
	.section	.text._ZN7rocprim17ROCPRIM_400000_NS6detail17trampoline_kernelINS0_14default_configENS1_25partition_config_selectorILNS1_17partition_subalgoE9EllbEEZZNS1_14partition_implILS5_9ELb0ES3_jPlS8_PNS0_10empty_typeENS0_5tupleIJS8_S9_EEENSB_IJS8_SA_EEENS0_18inequality_wrapperIZN2at6native12_GLOBAL__N_124unique_dim_cuda_templateIN3c108BFloat16EEESt5tupleIJNSF_6TensorESM_SM_EERKSM_lbbbEUlllE0_EEPmJS9_EEE10hipError_tPvRmT3_T4_T5_T6_T7_T9_mT8_P12ihipStream_tbDpT10_ENKUlT_T0_E_clISt17integral_constantIbLb0EES1C_EEDaS17_S18_EUlS17_E_NS1_11comp_targetILNS1_3genE3ELNS1_11target_archE908ELNS1_3gpuE7ELNS1_3repE0EEENS1_30default_config_static_selectorELNS0_4arch9wavefront6targetE1EEEvT1_,"axG",@progbits,_ZN7rocprim17ROCPRIM_400000_NS6detail17trampoline_kernelINS0_14default_configENS1_25partition_config_selectorILNS1_17partition_subalgoE9EllbEEZZNS1_14partition_implILS5_9ELb0ES3_jPlS8_PNS0_10empty_typeENS0_5tupleIJS8_S9_EEENSB_IJS8_SA_EEENS0_18inequality_wrapperIZN2at6native12_GLOBAL__N_124unique_dim_cuda_templateIN3c108BFloat16EEESt5tupleIJNSF_6TensorESM_SM_EERKSM_lbbbEUlllE0_EEPmJS9_EEE10hipError_tPvRmT3_T4_T5_T6_T7_T9_mT8_P12ihipStream_tbDpT10_ENKUlT_T0_E_clISt17integral_constantIbLb0EES1C_EEDaS17_S18_EUlS17_E_NS1_11comp_targetILNS1_3genE3ELNS1_11target_archE908ELNS1_3gpuE7ELNS1_3repE0EEENS1_30default_config_static_selectorELNS0_4arch9wavefront6targetE1EEEvT1_,comdat
.Lfunc_end1208:
	.size	_ZN7rocprim17ROCPRIM_400000_NS6detail17trampoline_kernelINS0_14default_configENS1_25partition_config_selectorILNS1_17partition_subalgoE9EllbEEZZNS1_14partition_implILS5_9ELb0ES3_jPlS8_PNS0_10empty_typeENS0_5tupleIJS8_S9_EEENSB_IJS8_SA_EEENS0_18inequality_wrapperIZN2at6native12_GLOBAL__N_124unique_dim_cuda_templateIN3c108BFloat16EEESt5tupleIJNSF_6TensorESM_SM_EERKSM_lbbbEUlllE0_EEPmJS9_EEE10hipError_tPvRmT3_T4_T5_T6_T7_T9_mT8_P12ihipStream_tbDpT10_ENKUlT_T0_E_clISt17integral_constantIbLb0EES1C_EEDaS17_S18_EUlS17_E_NS1_11comp_targetILNS1_3genE3ELNS1_11target_archE908ELNS1_3gpuE7ELNS1_3repE0EEENS1_30default_config_static_selectorELNS0_4arch9wavefront6targetE1EEEvT1_, .Lfunc_end1208-_ZN7rocprim17ROCPRIM_400000_NS6detail17trampoline_kernelINS0_14default_configENS1_25partition_config_selectorILNS1_17partition_subalgoE9EllbEEZZNS1_14partition_implILS5_9ELb0ES3_jPlS8_PNS0_10empty_typeENS0_5tupleIJS8_S9_EEENSB_IJS8_SA_EEENS0_18inequality_wrapperIZN2at6native12_GLOBAL__N_124unique_dim_cuda_templateIN3c108BFloat16EEESt5tupleIJNSF_6TensorESM_SM_EERKSM_lbbbEUlllE0_EEPmJS9_EEE10hipError_tPvRmT3_T4_T5_T6_T7_T9_mT8_P12ihipStream_tbDpT10_ENKUlT_T0_E_clISt17integral_constantIbLb0EES1C_EEDaS17_S18_EUlS17_E_NS1_11comp_targetILNS1_3genE3ELNS1_11target_archE908ELNS1_3gpuE7ELNS1_3repE0EEENS1_30default_config_static_selectorELNS0_4arch9wavefront6targetE1EEEvT1_
                                        ; -- End function
	.section	.AMDGPU.csdata,"",@progbits
; Kernel info:
; codeLenInByte = 0
; NumSgprs: 4
; NumVgprs: 0
; NumAgprs: 0
; TotalNumVgprs: 0
; ScratchSize: 0
; MemoryBound: 0
; FloatMode: 240
; IeeeMode: 1
; LDSByteSize: 0 bytes/workgroup (compile time only)
; SGPRBlocks: 0
; VGPRBlocks: 0
; NumSGPRsForWavesPerEU: 4
; NumVGPRsForWavesPerEU: 1
; AccumOffset: 4
; Occupancy: 8
; WaveLimiterHint : 0
; COMPUTE_PGM_RSRC2:SCRATCH_EN: 0
; COMPUTE_PGM_RSRC2:USER_SGPR: 6
; COMPUTE_PGM_RSRC2:TRAP_HANDLER: 0
; COMPUTE_PGM_RSRC2:TGID_X_EN: 1
; COMPUTE_PGM_RSRC2:TGID_Y_EN: 0
; COMPUTE_PGM_RSRC2:TGID_Z_EN: 0
; COMPUTE_PGM_RSRC2:TIDIG_COMP_CNT: 0
; COMPUTE_PGM_RSRC3_GFX90A:ACCUM_OFFSET: 0
; COMPUTE_PGM_RSRC3_GFX90A:TG_SPLIT: 0
	.section	.text._ZN7rocprim17ROCPRIM_400000_NS6detail17trampoline_kernelINS0_14default_configENS1_25partition_config_selectorILNS1_17partition_subalgoE9EllbEEZZNS1_14partition_implILS5_9ELb0ES3_jPlS8_PNS0_10empty_typeENS0_5tupleIJS8_S9_EEENSB_IJS8_SA_EEENS0_18inequality_wrapperIZN2at6native12_GLOBAL__N_124unique_dim_cuda_templateIN3c108BFloat16EEESt5tupleIJNSF_6TensorESM_SM_EERKSM_lbbbEUlllE0_EEPmJS9_EEE10hipError_tPvRmT3_T4_T5_T6_T7_T9_mT8_P12ihipStream_tbDpT10_ENKUlT_T0_E_clISt17integral_constantIbLb0EES1C_EEDaS17_S18_EUlS17_E_NS1_11comp_targetILNS1_3genE2ELNS1_11target_archE906ELNS1_3gpuE6ELNS1_3repE0EEENS1_30default_config_static_selectorELNS0_4arch9wavefront6targetE1EEEvT1_,"axG",@progbits,_ZN7rocprim17ROCPRIM_400000_NS6detail17trampoline_kernelINS0_14default_configENS1_25partition_config_selectorILNS1_17partition_subalgoE9EllbEEZZNS1_14partition_implILS5_9ELb0ES3_jPlS8_PNS0_10empty_typeENS0_5tupleIJS8_S9_EEENSB_IJS8_SA_EEENS0_18inequality_wrapperIZN2at6native12_GLOBAL__N_124unique_dim_cuda_templateIN3c108BFloat16EEESt5tupleIJNSF_6TensorESM_SM_EERKSM_lbbbEUlllE0_EEPmJS9_EEE10hipError_tPvRmT3_T4_T5_T6_T7_T9_mT8_P12ihipStream_tbDpT10_ENKUlT_T0_E_clISt17integral_constantIbLb0EES1C_EEDaS17_S18_EUlS17_E_NS1_11comp_targetILNS1_3genE2ELNS1_11target_archE906ELNS1_3gpuE6ELNS1_3repE0EEENS1_30default_config_static_selectorELNS0_4arch9wavefront6targetE1EEEvT1_,comdat
	.globl	_ZN7rocprim17ROCPRIM_400000_NS6detail17trampoline_kernelINS0_14default_configENS1_25partition_config_selectorILNS1_17partition_subalgoE9EllbEEZZNS1_14partition_implILS5_9ELb0ES3_jPlS8_PNS0_10empty_typeENS0_5tupleIJS8_S9_EEENSB_IJS8_SA_EEENS0_18inequality_wrapperIZN2at6native12_GLOBAL__N_124unique_dim_cuda_templateIN3c108BFloat16EEESt5tupleIJNSF_6TensorESM_SM_EERKSM_lbbbEUlllE0_EEPmJS9_EEE10hipError_tPvRmT3_T4_T5_T6_T7_T9_mT8_P12ihipStream_tbDpT10_ENKUlT_T0_E_clISt17integral_constantIbLb0EES1C_EEDaS17_S18_EUlS17_E_NS1_11comp_targetILNS1_3genE2ELNS1_11target_archE906ELNS1_3gpuE6ELNS1_3repE0EEENS1_30default_config_static_selectorELNS0_4arch9wavefront6targetE1EEEvT1_ ; -- Begin function _ZN7rocprim17ROCPRIM_400000_NS6detail17trampoline_kernelINS0_14default_configENS1_25partition_config_selectorILNS1_17partition_subalgoE9EllbEEZZNS1_14partition_implILS5_9ELb0ES3_jPlS8_PNS0_10empty_typeENS0_5tupleIJS8_S9_EEENSB_IJS8_SA_EEENS0_18inequality_wrapperIZN2at6native12_GLOBAL__N_124unique_dim_cuda_templateIN3c108BFloat16EEESt5tupleIJNSF_6TensorESM_SM_EERKSM_lbbbEUlllE0_EEPmJS9_EEE10hipError_tPvRmT3_T4_T5_T6_T7_T9_mT8_P12ihipStream_tbDpT10_ENKUlT_T0_E_clISt17integral_constantIbLb0EES1C_EEDaS17_S18_EUlS17_E_NS1_11comp_targetILNS1_3genE2ELNS1_11target_archE906ELNS1_3gpuE6ELNS1_3repE0EEENS1_30default_config_static_selectorELNS0_4arch9wavefront6targetE1EEEvT1_
	.p2align	8
	.type	_ZN7rocprim17ROCPRIM_400000_NS6detail17trampoline_kernelINS0_14default_configENS1_25partition_config_selectorILNS1_17partition_subalgoE9EllbEEZZNS1_14partition_implILS5_9ELb0ES3_jPlS8_PNS0_10empty_typeENS0_5tupleIJS8_S9_EEENSB_IJS8_SA_EEENS0_18inequality_wrapperIZN2at6native12_GLOBAL__N_124unique_dim_cuda_templateIN3c108BFloat16EEESt5tupleIJNSF_6TensorESM_SM_EERKSM_lbbbEUlllE0_EEPmJS9_EEE10hipError_tPvRmT3_T4_T5_T6_T7_T9_mT8_P12ihipStream_tbDpT10_ENKUlT_T0_E_clISt17integral_constantIbLb0EES1C_EEDaS17_S18_EUlS17_E_NS1_11comp_targetILNS1_3genE2ELNS1_11target_archE906ELNS1_3gpuE6ELNS1_3repE0EEENS1_30default_config_static_selectorELNS0_4arch9wavefront6targetE1EEEvT1_,@function
_ZN7rocprim17ROCPRIM_400000_NS6detail17trampoline_kernelINS0_14default_configENS1_25partition_config_selectorILNS1_17partition_subalgoE9EllbEEZZNS1_14partition_implILS5_9ELb0ES3_jPlS8_PNS0_10empty_typeENS0_5tupleIJS8_S9_EEENSB_IJS8_SA_EEENS0_18inequality_wrapperIZN2at6native12_GLOBAL__N_124unique_dim_cuda_templateIN3c108BFloat16EEESt5tupleIJNSF_6TensorESM_SM_EERKSM_lbbbEUlllE0_EEPmJS9_EEE10hipError_tPvRmT3_T4_T5_T6_T7_T9_mT8_P12ihipStream_tbDpT10_ENKUlT_T0_E_clISt17integral_constantIbLb0EES1C_EEDaS17_S18_EUlS17_E_NS1_11comp_targetILNS1_3genE2ELNS1_11target_archE906ELNS1_3gpuE6ELNS1_3repE0EEENS1_30default_config_static_selectorELNS0_4arch9wavefront6targetE1EEEvT1_: ; @_ZN7rocprim17ROCPRIM_400000_NS6detail17trampoline_kernelINS0_14default_configENS1_25partition_config_selectorILNS1_17partition_subalgoE9EllbEEZZNS1_14partition_implILS5_9ELb0ES3_jPlS8_PNS0_10empty_typeENS0_5tupleIJS8_S9_EEENSB_IJS8_SA_EEENS0_18inequality_wrapperIZN2at6native12_GLOBAL__N_124unique_dim_cuda_templateIN3c108BFloat16EEESt5tupleIJNSF_6TensorESM_SM_EERKSM_lbbbEUlllE0_EEPmJS9_EEE10hipError_tPvRmT3_T4_T5_T6_T7_T9_mT8_P12ihipStream_tbDpT10_ENKUlT_T0_E_clISt17integral_constantIbLb0EES1C_EEDaS17_S18_EUlS17_E_NS1_11comp_targetILNS1_3genE2ELNS1_11target_archE906ELNS1_3gpuE6ELNS1_3repE0EEENS1_30default_config_static_selectorELNS0_4arch9wavefront6targetE1EEEvT1_
; %bb.0:
	.section	.rodata,"a",@progbits
	.p2align	6, 0x0
	.amdhsa_kernel _ZN7rocprim17ROCPRIM_400000_NS6detail17trampoline_kernelINS0_14default_configENS1_25partition_config_selectorILNS1_17partition_subalgoE9EllbEEZZNS1_14partition_implILS5_9ELb0ES3_jPlS8_PNS0_10empty_typeENS0_5tupleIJS8_S9_EEENSB_IJS8_SA_EEENS0_18inequality_wrapperIZN2at6native12_GLOBAL__N_124unique_dim_cuda_templateIN3c108BFloat16EEESt5tupleIJNSF_6TensorESM_SM_EERKSM_lbbbEUlllE0_EEPmJS9_EEE10hipError_tPvRmT3_T4_T5_T6_T7_T9_mT8_P12ihipStream_tbDpT10_ENKUlT_T0_E_clISt17integral_constantIbLb0EES1C_EEDaS17_S18_EUlS17_E_NS1_11comp_targetILNS1_3genE2ELNS1_11target_archE906ELNS1_3gpuE6ELNS1_3repE0EEENS1_30default_config_static_selectorELNS0_4arch9wavefront6targetE1EEEvT1_
		.amdhsa_group_segment_fixed_size 0
		.amdhsa_private_segment_fixed_size 0
		.amdhsa_kernarg_size 120
		.amdhsa_user_sgpr_count 6
		.amdhsa_user_sgpr_private_segment_buffer 1
		.amdhsa_user_sgpr_dispatch_ptr 0
		.amdhsa_user_sgpr_queue_ptr 0
		.amdhsa_user_sgpr_kernarg_segment_ptr 1
		.amdhsa_user_sgpr_dispatch_id 0
		.amdhsa_user_sgpr_flat_scratch_init 0
		.amdhsa_user_sgpr_kernarg_preload_length 0
		.amdhsa_user_sgpr_kernarg_preload_offset 0
		.amdhsa_user_sgpr_private_segment_size 0
		.amdhsa_uses_dynamic_stack 0
		.amdhsa_system_sgpr_private_segment_wavefront_offset 0
		.amdhsa_system_sgpr_workgroup_id_x 1
		.amdhsa_system_sgpr_workgroup_id_y 0
		.amdhsa_system_sgpr_workgroup_id_z 0
		.amdhsa_system_sgpr_workgroup_info 0
		.amdhsa_system_vgpr_workitem_id 0
		.amdhsa_next_free_vgpr 1
		.amdhsa_next_free_sgpr 0
		.amdhsa_accum_offset 4
		.amdhsa_reserve_vcc 0
		.amdhsa_reserve_flat_scratch 0
		.amdhsa_float_round_mode_32 0
		.amdhsa_float_round_mode_16_64 0
		.amdhsa_float_denorm_mode_32 3
		.amdhsa_float_denorm_mode_16_64 3
		.amdhsa_dx10_clamp 1
		.amdhsa_ieee_mode 1
		.amdhsa_fp16_overflow 0
		.amdhsa_tg_split 0
		.amdhsa_exception_fp_ieee_invalid_op 0
		.amdhsa_exception_fp_denorm_src 0
		.amdhsa_exception_fp_ieee_div_zero 0
		.amdhsa_exception_fp_ieee_overflow 0
		.amdhsa_exception_fp_ieee_underflow 0
		.amdhsa_exception_fp_ieee_inexact 0
		.amdhsa_exception_int_div_zero 0
	.end_amdhsa_kernel
	.section	.text._ZN7rocprim17ROCPRIM_400000_NS6detail17trampoline_kernelINS0_14default_configENS1_25partition_config_selectorILNS1_17partition_subalgoE9EllbEEZZNS1_14partition_implILS5_9ELb0ES3_jPlS8_PNS0_10empty_typeENS0_5tupleIJS8_S9_EEENSB_IJS8_SA_EEENS0_18inequality_wrapperIZN2at6native12_GLOBAL__N_124unique_dim_cuda_templateIN3c108BFloat16EEESt5tupleIJNSF_6TensorESM_SM_EERKSM_lbbbEUlllE0_EEPmJS9_EEE10hipError_tPvRmT3_T4_T5_T6_T7_T9_mT8_P12ihipStream_tbDpT10_ENKUlT_T0_E_clISt17integral_constantIbLb0EES1C_EEDaS17_S18_EUlS17_E_NS1_11comp_targetILNS1_3genE2ELNS1_11target_archE906ELNS1_3gpuE6ELNS1_3repE0EEENS1_30default_config_static_selectorELNS0_4arch9wavefront6targetE1EEEvT1_,"axG",@progbits,_ZN7rocprim17ROCPRIM_400000_NS6detail17trampoline_kernelINS0_14default_configENS1_25partition_config_selectorILNS1_17partition_subalgoE9EllbEEZZNS1_14partition_implILS5_9ELb0ES3_jPlS8_PNS0_10empty_typeENS0_5tupleIJS8_S9_EEENSB_IJS8_SA_EEENS0_18inequality_wrapperIZN2at6native12_GLOBAL__N_124unique_dim_cuda_templateIN3c108BFloat16EEESt5tupleIJNSF_6TensorESM_SM_EERKSM_lbbbEUlllE0_EEPmJS9_EEE10hipError_tPvRmT3_T4_T5_T6_T7_T9_mT8_P12ihipStream_tbDpT10_ENKUlT_T0_E_clISt17integral_constantIbLb0EES1C_EEDaS17_S18_EUlS17_E_NS1_11comp_targetILNS1_3genE2ELNS1_11target_archE906ELNS1_3gpuE6ELNS1_3repE0EEENS1_30default_config_static_selectorELNS0_4arch9wavefront6targetE1EEEvT1_,comdat
.Lfunc_end1209:
	.size	_ZN7rocprim17ROCPRIM_400000_NS6detail17trampoline_kernelINS0_14default_configENS1_25partition_config_selectorILNS1_17partition_subalgoE9EllbEEZZNS1_14partition_implILS5_9ELb0ES3_jPlS8_PNS0_10empty_typeENS0_5tupleIJS8_S9_EEENSB_IJS8_SA_EEENS0_18inequality_wrapperIZN2at6native12_GLOBAL__N_124unique_dim_cuda_templateIN3c108BFloat16EEESt5tupleIJNSF_6TensorESM_SM_EERKSM_lbbbEUlllE0_EEPmJS9_EEE10hipError_tPvRmT3_T4_T5_T6_T7_T9_mT8_P12ihipStream_tbDpT10_ENKUlT_T0_E_clISt17integral_constantIbLb0EES1C_EEDaS17_S18_EUlS17_E_NS1_11comp_targetILNS1_3genE2ELNS1_11target_archE906ELNS1_3gpuE6ELNS1_3repE0EEENS1_30default_config_static_selectorELNS0_4arch9wavefront6targetE1EEEvT1_, .Lfunc_end1209-_ZN7rocprim17ROCPRIM_400000_NS6detail17trampoline_kernelINS0_14default_configENS1_25partition_config_selectorILNS1_17partition_subalgoE9EllbEEZZNS1_14partition_implILS5_9ELb0ES3_jPlS8_PNS0_10empty_typeENS0_5tupleIJS8_S9_EEENSB_IJS8_SA_EEENS0_18inequality_wrapperIZN2at6native12_GLOBAL__N_124unique_dim_cuda_templateIN3c108BFloat16EEESt5tupleIJNSF_6TensorESM_SM_EERKSM_lbbbEUlllE0_EEPmJS9_EEE10hipError_tPvRmT3_T4_T5_T6_T7_T9_mT8_P12ihipStream_tbDpT10_ENKUlT_T0_E_clISt17integral_constantIbLb0EES1C_EEDaS17_S18_EUlS17_E_NS1_11comp_targetILNS1_3genE2ELNS1_11target_archE906ELNS1_3gpuE6ELNS1_3repE0EEENS1_30default_config_static_selectorELNS0_4arch9wavefront6targetE1EEEvT1_
                                        ; -- End function
	.section	.AMDGPU.csdata,"",@progbits
; Kernel info:
; codeLenInByte = 0
; NumSgprs: 4
; NumVgprs: 0
; NumAgprs: 0
; TotalNumVgprs: 0
; ScratchSize: 0
; MemoryBound: 0
; FloatMode: 240
; IeeeMode: 1
; LDSByteSize: 0 bytes/workgroup (compile time only)
; SGPRBlocks: 0
; VGPRBlocks: 0
; NumSGPRsForWavesPerEU: 4
; NumVGPRsForWavesPerEU: 1
; AccumOffset: 4
; Occupancy: 8
; WaveLimiterHint : 0
; COMPUTE_PGM_RSRC2:SCRATCH_EN: 0
; COMPUTE_PGM_RSRC2:USER_SGPR: 6
; COMPUTE_PGM_RSRC2:TRAP_HANDLER: 0
; COMPUTE_PGM_RSRC2:TGID_X_EN: 1
; COMPUTE_PGM_RSRC2:TGID_Y_EN: 0
; COMPUTE_PGM_RSRC2:TGID_Z_EN: 0
; COMPUTE_PGM_RSRC2:TIDIG_COMP_CNT: 0
; COMPUTE_PGM_RSRC3_GFX90A:ACCUM_OFFSET: 0
; COMPUTE_PGM_RSRC3_GFX90A:TG_SPLIT: 0
	.section	.text._ZN7rocprim17ROCPRIM_400000_NS6detail17trampoline_kernelINS0_14default_configENS1_25partition_config_selectorILNS1_17partition_subalgoE9EllbEEZZNS1_14partition_implILS5_9ELb0ES3_jPlS8_PNS0_10empty_typeENS0_5tupleIJS8_S9_EEENSB_IJS8_SA_EEENS0_18inequality_wrapperIZN2at6native12_GLOBAL__N_124unique_dim_cuda_templateIN3c108BFloat16EEESt5tupleIJNSF_6TensorESM_SM_EERKSM_lbbbEUlllE0_EEPmJS9_EEE10hipError_tPvRmT3_T4_T5_T6_T7_T9_mT8_P12ihipStream_tbDpT10_ENKUlT_T0_E_clISt17integral_constantIbLb0EES1C_EEDaS17_S18_EUlS17_E_NS1_11comp_targetILNS1_3genE10ELNS1_11target_archE1200ELNS1_3gpuE4ELNS1_3repE0EEENS1_30default_config_static_selectorELNS0_4arch9wavefront6targetE1EEEvT1_,"axG",@progbits,_ZN7rocprim17ROCPRIM_400000_NS6detail17trampoline_kernelINS0_14default_configENS1_25partition_config_selectorILNS1_17partition_subalgoE9EllbEEZZNS1_14partition_implILS5_9ELb0ES3_jPlS8_PNS0_10empty_typeENS0_5tupleIJS8_S9_EEENSB_IJS8_SA_EEENS0_18inequality_wrapperIZN2at6native12_GLOBAL__N_124unique_dim_cuda_templateIN3c108BFloat16EEESt5tupleIJNSF_6TensorESM_SM_EERKSM_lbbbEUlllE0_EEPmJS9_EEE10hipError_tPvRmT3_T4_T5_T6_T7_T9_mT8_P12ihipStream_tbDpT10_ENKUlT_T0_E_clISt17integral_constantIbLb0EES1C_EEDaS17_S18_EUlS17_E_NS1_11comp_targetILNS1_3genE10ELNS1_11target_archE1200ELNS1_3gpuE4ELNS1_3repE0EEENS1_30default_config_static_selectorELNS0_4arch9wavefront6targetE1EEEvT1_,comdat
	.globl	_ZN7rocprim17ROCPRIM_400000_NS6detail17trampoline_kernelINS0_14default_configENS1_25partition_config_selectorILNS1_17partition_subalgoE9EllbEEZZNS1_14partition_implILS5_9ELb0ES3_jPlS8_PNS0_10empty_typeENS0_5tupleIJS8_S9_EEENSB_IJS8_SA_EEENS0_18inequality_wrapperIZN2at6native12_GLOBAL__N_124unique_dim_cuda_templateIN3c108BFloat16EEESt5tupleIJNSF_6TensorESM_SM_EERKSM_lbbbEUlllE0_EEPmJS9_EEE10hipError_tPvRmT3_T4_T5_T6_T7_T9_mT8_P12ihipStream_tbDpT10_ENKUlT_T0_E_clISt17integral_constantIbLb0EES1C_EEDaS17_S18_EUlS17_E_NS1_11comp_targetILNS1_3genE10ELNS1_11target_archE1200ELNS1_3gpuE4ELNS1_3repE0EEENS1_30default_config_static_selectorELNS0_4arch9wavefront6targetE1EEEvT1_ ; -- Begin function _ZN7rocprim17ROCPRIM_400000_NS6detail17trampoline_kernelINS0_14default_configENS1_25partition_config_selectorILNS1_17partition_subalgoE9EllbEEZZNS1_14partition_implILS5_9ELb0ES3_jPlS8_PNS0_10empty_typeENS0_5tupleIJS8_S9_EEENSB_IJS8_SA_EEENS0_18inequality_wrapperIZN2at6native12_GLOBAL__N_124unique_dim_cuda_templateIN3c108BFloat16EEESt5tupleIJNSF_6TensorESM_SM_EERKSM_lbbbEUlllE0_EEPmJS9_EEE10hipError_tPvRmT3_T4_T5_T6_T7_T9_mT8_P12ihipStream_tbDpT10_ENKUlT_T0_E_clISt17integral_constantIbLb0EES1C_EEDaS17_S18_EUlS17_E_NS1_11comp_targetILNS1_3genE10ELNS1_11target_archE1200ELNS1_3gpuE4ELNS1_3repE0EEENS1_30default_config_static_selectorELNS0_4arch9wavefront6targetE1EEEvT1_
	.p2align	8
	.type	_ZN7rocprim17ROCPRIM_400000_NS6detail17trampoline_kernelINS0_14default_configENS1_25partition_config_selectorILNS1_17partition_subalgoE9EllbEEZZNS1_14partition_implILS5_9ELb0ES3_jPlS8_PNS0_10empty_typeENS0_5tupleIJS8_S9_EEENSB_IJS8_SA_EEENS0_18inequality_wrapperIZN2at6native12_GLOBAL__N_124unique_dim_cuda_templateIN3c108BFloat16EEESt5tupleIJNSF_6TensorESM_SM_EERKSM_lbbbEUlllE0_EEPmJS9_EEE10hipError_tPvRmT3_T4_T5_T6_T7_T9_mT8_P12ihipStream_tbDpT10_ENKUlT_T0_E_clISt17integral_constantIbLb0EES1C_EEDaS17_S18_EUlS17_E_NS1_11comp_targetILNS1_3genE10ELNS1_11target_archE1200ELNS1_3gpuE4ELNS1_3repE0EEENS1_30default_config_static_selectorELNS0_4arch9wavefront6targetE1EEEvT1_,@function
_ZN7rocprim17ROCPRIM_400000_NS6detail17trampoline_kernelINS0_14default_configENS1_25partition_config_selectorILNS1_17partition_subalgoE9EllbEEZZNS1_14partition_implILS5_9ELb0ES3_jPlS8_PNS0_10empty_typeENS0_5tupleIJS8_S9_EEENSB_IJS8_SA_EEENS0_18inequality_wrapperIZN2at6native12_GLOBAL__N_124unique_dim_cuda_templateIN3c108BFloat16EEESt5tupleIJNSF_6TensorESM_SM_EERKSM_lbbbEUlllE0_EEPmJS9_EEE10hipError_tPvRmT3_T4_T5_T6_T7_T9_mT8_P12ihipStream_tbDpT10_ENKUlT_T0_E_clISt17integral_constantIbLb0EES1C_EEDaS17_S18_EUlS17_E_NS1_11comp_targetILNS1_3genE10ELNS1_11target_archE1200ELNS1_3gpuE4ELNS1_3repE0EEENS1_30default_config_static_selectorELNS0_4arch9wavefront6targetE1EEEvT1_: ; @_ZN7rocprim17ROCPRIM_400000_NS6detail17trampoline_kernelINS0_14default_configENS1_25partition_config_selectorILNS1_17partition_subalgoE9EllbEEZZNS1_14partition_implILS5_9ELb0ES3_jPlS8_PNS0_10empty_typeENS0_5tupleIJS8_S9_EEENSB_IJS8_SA_EEENS0_18inequality_wrapperIZN2at6native12_GLOBAL__N_124unique_dim_cuda_templateIN3c108BFloat16EEESt5tupleIJNSF_6TensorESM_SM_EERKSM_lbbbEUlllE0_EEPmJS9_EEE10hipError_tPvRmT3_T4_T5_T6_T7_T9_mT8_P12ihipStream_tbDpT10_ENKUlT_T0_E_clISt17integral_constantIbLb0EES1C_EEDaS17_S18_EUlS17_E_NS1_11comp_targetILNS1_3genE10ELNS1_11target_archE1200ELNS1_3gpuE4ELNS1_3repE0EEENS1_30default_config_static_selectorELNS0_4arch9wavefront6targetE1EEEvT1_
; %bb.0:
	.section	.rodata,"a",@progbits
	.p2align	6, 0x0
	.amdhsa_kernel _ZN7rocprim17ROCPRIM_400000_NS6detail17trampoline_kernelINS0_14default_configENS1_25partition_config_selectorILNS1_17partition_subalgoE9EllbEEZZNS1_14partition_implILS5_9ELb0ES3_jPlS8_PNS0_10empty_typeENS0_5tupleIJS8_S9_EEENSB_IJS8_SA_EEENS0_18inequality_wrapperIZN2at6native12_GLOBAL__N_124unique_dim_cuda_templateIN3c108BFloat16EEESt5tupleIJNSF_6TensorESM_SM_EERKSM_lbbbEUlllE0_EEPmJS9_EEE10hipError_tPvRmT3_T4_T5_T6_T7_T9_mT8_P12ihipStream_tbDpT10_ENKUlT_T0_E_clISt17integral_constantIbLb0EES1C_EEDaS17_S18_EUlS17_E_NS1_11comp_targetILNS1_3genE10ELNS1_11target_archE1200ELNS1_3gpuE4ELNS1_3repE0EEENS1_30default_config_static_selectorELNS0_4arch9wavefront6targetE1EEEvT1_
		.amdhsa_group_segment_fixed_size 0
		.amdhsa_private_segment_fixed_size 0
		.amdhsa_kernarg_size 120
		.amdhsa_user_sgpr_count 6
		.amdhsa_user_sgpr_private_segment_buffer 1
		.amdhsa_user_sgpr_dispatch_ptr 0
		.amdhsa_user_sgpr_queue_ptr 0
		.amdhsa_user_sgpr_kernarg_segment_ptr 1
		.amdhsa_user_sgpr_dispatch_id 0
		.amdhsa_user_sgpr_flat_scratch_init 0
		.amdhsa_user_sgpr_kernarg_preload_length 0
		.amdhsa_user_sgpr_kernarg_preload_offset 0
		.amdhsa_user_sgpr_private_segment_size 0
		.amdhsa_uses_dynamic_stack 0
		.amdhsa_system_sgpr_private_segment_wavefront_offset 0
		.amdhsa_system_sgpr_workgroup_id_x 1
		.amdhsa_system_sgpr_workgroup_id_y 0
		.amdhsa_system_sgpr_workgroup_id_z 0
		.amdhsa_system_sgpr_workgroup_info 0
		.amdhsa_system_vgpr_workitem_id 0
		.amdhsa_next_free_vgpr 1
		.amdhsa_next_free_sgpr 0
		.amdhsa_accum_offset 4
		.amdhsa_reserve_vcc 0
		.amdhsa_reserve_flat_scratch 0
		.amdhsa_float_round_mode_32 0
		.amdhsa_float_round_mode_16_64 0
		.amdhsa_float_denorm_mode_32 3
		.amdhsa_float_denorm_mode_16_64 3
		.amdhsa_dx10_clamp 1
		.amdhsa_ieee_mode 1
		.amdhsa_fp16_overflow 0
		.amdhsa_tg_split 0
		.amdhsa_exception_fp_ieee_invalid_op 0
		.amdhsa_exception_fp_denorm_src 0
		.amdhsa_exception_fp_ieee_div_zero 0
		.amdhsa_exception_fp_ieee_overflow 0
		.amdhsa_exception_fp_ieee_underflow 0
		.amdhsa_exception_fp_ieee_inexact 0
		.amdhsa_exception_int_div_zero 0
	.end_amdhsa_kernel
	.section	.text._ZN7rocprim17ROCPRIM_400000_NS6detail17trampoline_kernelINS0_14default_configENS1_25partition_config_selectorILNS1_17partition_subalgoE9EllbEEZZNS1_14partition_implILS5_9ELb0ES3_jPlS8_PNS0_10empty_typeENS0_5tupleIJS8_S9_EEENSB_IJS8_SA_EEENS0_18inequality_wrapperIZN2at6native12_GLOBAL__N_124unique_dim_cuda_templateIN3c108BFloat16EEESt5tupleIJNSF_6TensorESM_SM_EERKSM_lbbbEUlllE0_EEPmJS9_EEE10hipError_tPvRmT3_T4_T5_T6_T7_T9_mT8_P12ihipStream_tbDpT10_ENKUlT_T0_E_clISt17integral_constantIbLb0EES1C_EEDaS17_S18_EUlS17_E_NS1_11comp_targetILNS1_3genE10ELNS1_11target_archE1200ELNS1_3gpuE4ELNS1_3repE0EEENS1_30default_config_static_selectorELNS0_4arch9wavefront6targetE1EEEvT1_,"axG",@progbits,_ZN7rocprim17ROCPRIM_400000_NS6detail17trampoline_kernelINS0_14default_configENS1_25partition_config_selectorILNS1_17partition_subalgoE9EllbEEZZNS1_14partition_implILS5_9ELb0ES3_jPlS8_PNS0_10empty_typeENS0_5tupleIJS8_S9_EEENSB_IJS8_SA_EEENS0_18inequality_wrapperIZN2at6native12_GLOBAL__N_124unique_dim_cuda_templateIN3c108BFloat16EEESt5tupleIJNSF_6TensorESM_SM_EERKSM_lbbbEUlllE0_EEPmJS9_EEE10hipError_tPvRmT3_T4_T5_T6_T7_T9_mT8_P12ihipStream_tbDpT10_ENKUlT_T0_E_clISt17integral_constantIbLb0EES1C_EEDaS17_S18_EUlS17_E_NS1_11comp_targetILNS1_3genE10ELNS1_11target_archE1200ELNS1_3gpuE4ELNS1_3repE0EEENS1_30default_config_static_selectorELNS0_4arch9wavefront6targetE1EEEvT1_,comdat
.Lfunc_end1210:
	.size	_ZN7rocprim17ROCPRIM_400000_NS6detail17trampoline_kernelINS0_14default_configENS1_25partition_config_selectorILNS1_17partition_subalgoE9EllbEEZZNS1_14partition_implILS5_9ELb0ES3_jPlS8_PNS0_10empty_typeENS0_5tupleIJS8_S9_EEENSB_IJS8_SA_EEENS0_18inequality_wrapperIZN2at6native12_GLOBAL__N_124unique_dim_cuda_templateIN3c108BFloat16EEESt5tupleIJNSF_6TensorESM_SM_EERKSM_lbbbEUlllE0_EEPmJS9_EEE10hipError_tPvRmT3_T4_T5_T6_T7_T9_mT8_P12ihipStream_tbDpT10_ENKUlT_T0_E_clISt17integral_constantIbLb0EES1C_EEDaS17_S18_EUlS17_E_NS1_11comp_targetILNS1_3genE10ELNS1_11target_archE1200ELNS1_3gpuE4ELNS1_3repE0EEENS1_30default_config_static_selectorELNS0_4arch9wavefront6targetE1EEEvT1_, .Lfunc_end1210-_ZN7rocprim17ROCPRIM_400000_NS6detail17trampoline_kernelINS0_14default_configENS1_25partition_config_selectorILNS1_17partition_subalgoE9EllbEEZZNS1_14partition_implILS5_9ELb0ES3_jPlS8_PNS0_10empty_typeENS0_5tupleIJS8_S9_EEENSB_IJS8_SA_EEENS0_18inequality_wrapperIZN2at6native12_GLOBAL__N_124unique_dim_cuda_templateIN3c108BFloat16EEESt5tupleIJNSF_6TensorESM_SM_EERKSM_lbbbEUlllE0_EEPmJS9_EEE10hipError_tPvRmT3_T4_T5_T6_T7_T9_mT8_P12ihipStream_tbDpT10_ENKUlT_T0_E_clISt17integral_constantIbLb0EES1C_EEDaS17_S18_EUlS17_E_NS1_11comp_targetILNS1_3genE10ELNS1_11target_archE1200ELNS1_3gpuE4ELNS1_3repE0EEENS1_30default_config_static_selectorELNS0_4arch9wavefront6targetE1EEEvT1_
                                        ; -- End function
	.section	.AMDGPU.csdata,"",@progbits
; Kernel info:
; codeLenInByte = 0
; NumSgprs: 4
; NumVgprs: 0
; NumAgprs: 0
; TotalNumVgprs: 0
; ScratchSize: 0
; MemoryBound: 0
; FloatMode: 240
; IeeeMode: 1
; LDSByteSize: 0 bytes/workgroup (compile time only)
; SGPRBlocks: 0
; VGPRBlocks: 0
; NumSGPRsForWavesPerEU: 4
; NumVGPRsForWavesPerEU: 1
; AccumOffset: 4
; Occupancy: 8
; WaveLimiterHint : 0
; COMPUTE_PGM_RSRC2:SCRATCH_EN: 0
; COMPUTE_PGM_RSRC2:USER_SGPR: 6
; COMPUTE_PGM_RSRC2:TRAP_HANDLER: 0
; COMPUTE_PGM_RSRC2:TGID_X_EN: 1
; COMPUTE_PGM_RSRC2:TGID_Y_EN: 0
; COMPUTE_PGM_RSRC2:TGID_Z_EN: 0
; COMPUTE_PGM_RSRC2:TIDIG_COMP_CNT: 0
; COMPUTE_PGM_RSRC3_GFX90A:ACCUM_OFFSET: 0
; COMPUTE_PGM_RSRC3_GFX90A:TG_SPLIT: 0
	.section	.text._ZN7rocprim17ROCPRIM_400000_NS6detail17trampoline_kernelINS0_14default_configENS1_25partition_config_selectorILNS1_17partition_subalgoE9EllbEEZZNS1_14partition_implILS5_9ELb0ES3_jPlS8_PNS0_10empty_typeENS0_5tupleIJS8_S9_EEENSB_IJS8_SA_EEENS0_18inequality_wrapperIZN2at6native12_GLOBAL__N_124unique_dim_cuda_templateIN3c108BFloat16EEESt5tupleIJNSF_6TensorESM_SM_EERKSM_lbbbEUlllE0_EEPmJS9_EEE10hipError_tPvRmT3_T4_T5_T6_T7_T9_mT8_P12ihipStream_tbDpT10_ENKUlT_T0_E_clISt17integral_constantIbLb0EES1C_EEDaS17_S18_EUlS17_E_NS1_11comp_targetILNS1_3genE9ELNS1_11target_archE1100ELNS1_3gpuE3ELNS1_3repE0EEENS1_30default_config_static_selectorELNS0_4arch9wavefront6targetE1EEEvT1_,"axG",@progbits,_ZN7rocprim17ROCPRIM_400000_NS6detail17trampoline_kernelINS0_14default_configENS1_25partition_config_selectorILNS1_17partition_subalgoE9EllbEEZZNS1_14partition_implILS5_9ELb0ES3_jPlS8_PNS0_10empty_typeENS0_5tupleIJS8_S9_EEENSB_IJS8_SA_EEENS0_18inequality_wrapperIZN2at6native12_GLOBAL__N_124unique_dim_cuda_templateIN3c108BFloat16EEESt5tupleIJNSF_6TensorESM_SM_EERKSM_lbbbEUlllE0_EEPmJS9_EEE10hipError_tPvRmT3_T4_T5_T6_T7_T9_mT8_P12ihipStream_tbDpT10_ENKUlT_T0_E_clISt17integral_constantIbLb0EES1C_EEDaS17_S18_EUlS17_E_NS1_11comp_targetILNS1_3genE9ELNS1_11target_archE1100ELNS1_3gpuE3ELNS1_3repE0EEENS1_30default_config_static_selectorELNS0_4arch9wavefront6targetE1EEEvT1_,comdat
	.globl	_ZN7rocprim17ROCPRIM_400000_NS6detail17trampoline_kernelINS0_14default_configENS1_25partition_config_selectorILNS1_17partition_subalgoE9EllbEEZZNS1_14partition_implILS5_9ELb0ES3_jPlS8_PNS0_10empty_typeENS0_5tupleIJS8_S9_EEENSB_IJS8_SA_EEENS0_18inequality_wrapperIZN2at6native12_GLOBAL__N_124unique_dim_cuda_templateIN3c108BFloat16EEESt5tupleIJNSF_6TensorESM_SM_EERKSM_lbbbEUlllE0_EEPmJS9_EEE10hipError_tPvRmT3_T4_T5_T6_T7_T9_mT8_P12ihipStream_tbDpT10_ENKUlT_T0_E_clISt17integral_constantIbLb0EES1C_EEDaS17_S18_EUlS17_E_NS1_11comp_targetILNS1_3genE9ELNS1_11target_archE1100ELNS1_3gpuE3ELNS1_3repE0EEENS1_30default_config_static_selectorELNS0_4arch9wavefront6targetE1EEEvT1_ ; -- Begin function _ZN7rocprim17ROCPRIM_400000_NS6detail17trampoline_kernelINS0_14default_configENS1_25partition_config_selectorILNS1_17partition_subalgoE9EllbEEZZNS1_14partition_implILS5_9ELb0ES3_jPlS8_PNS0_10empty_typeENS0_5tupleIJS8_S9_EEENSB_IJS8_SA_EEENS0_18inequality_wrapperIZN2at6native12_GLOBAL__N_124unique_dim_cuda_templateIN3c108BFloat16EEESt5tupleIJNSF_6TensorESM_SM_EERKSM_lbbbEUlllE0_EEPmJS9_EEE10hipError_tPvRmT3_T4_T5_T6_T7_T9_mT8_P12ihipStream_tbDpT10_ENKUlT_T0_E_clISt17integral_constantIbLb0EES1C_EEDaS17_S18_EUlS17_E_NS1_11comp_targetILNS1_3genE9ELNS1_11target_archE1100ELNS1_3gpuE3ELNS1_3repE0EEENS1_30default_config_static_selectorELNS0_4arch9wavefront6targetE1EEEvT1_
	.p2align	8
	.type	_ZN7rocprim17ROCPRIM_400000_NS6detail17trampoline_kernelINS0_14default_configENS1_25partition_config_selectorILNS1_17partition_subalgoE9EllbEEZZNS1_14partition_implILS5_9ELb0ES3_jPlS8_PNS0_10empty_typeENS0_5tupleIJS8_S9_EEENSB_IJS8_SA_EEENS0_18inequality_wrapperIZN2at6native12_GLOBAL__N_124unique_dim_cuda_templateIN3c108BFloat16EEESt5tupleIJNSF_6TensorESM_SM_EERKSM_lbbbEUlllE0_EEPmJS9_EEE10hipError_tPvRmT3_T4_T5_T6_T7_T9_mT8_P12ihipStream_tbDpT10_ENKUlT_T0_E_clISt17integral_constantIbLb0EES1C_EEDaS17_S18_EUlS17_E_NS1_11comp_targetILNS1_3genE9ELNS1_11target_archE1100ELNS1_3gpuE3ELNS1_3repE0EEENS1_30default_config_static_selectorELNS0_4arch9wavefront6targetE1EEEvT1_,@function
_ZN7rocprim17ROCPRIM_400000_NS6detail17trampoline_kernelINS0_14default_configENS1_25partition_config_selectorILNS1_17partition_subalgoE9EllbEEZZNS1_14partition_implILS5_9ELb0ES3_jPlS8_PNS0_10empty_typeENS0_5tupleIJS8_S9_EEENSB_IJS8_SA_EEENS0_18inequality_wrapperIZN2at6native12_GLOBAL__N_124unique_dim_cuda_templateIN3c108BFloat16EEESt5tupleIJNSF_6TensorESM_SM_EERKSM_lbbbEUlllE0_EEPmJS9_EEE10hipError_tPvRmT3_T4_T5_T6_T7_T9_mT8_P12ihipStream_tbDpT10_ENKUlT_T0_E_clISt17integral_constantIbLb0EES1C_EEDaS17_S18_EUlS17_E_NS1_11comp_targetILNS1_3genE9ELNS1_11target_archE1100ELNS1_3gpuE3ELNS1_3repE0EEENS1_30default_config_static_selectorELNS0_4arch9wavefront6targetE1EEEvT1_: ; @_ZN7rocprim17ROCPRIM_400000_NS6detail17trampoline_kernelINS0_14default_configENS1_25partition_config_selectorILNS1_17partition_subalgoE9EllbEEZZNS1_14partition_implILS5_9ELb0ES3_jPlS8_PNS0_10empty_typeENS0_5tupleIJS8_S9_EEENSB_IJS8_SA_EEENS0_18inequality_wrapperIZN2at6native12_GLOBAL__N_124unique_dim_cuda_templateIN3c108BFloat16EEESt5tupleIJNSF_6TensorESM_SM_EERKSM_lbbbEUlllE0_EEPmJS9_EEE10hipError_tPvRmT3_T4_T5_T6_T7_T9_mT8_P12ihipStream_tbDpT10_ENKUlT_T0_E_clISt17integral_constantIbLb0EES1C_EEDaS17_S18_EUlS17_E_NS1_11comp_targetILNS1_3genE9ELNS1_11target_archE1100ELNS1_3gpuE3ELNS1_3repE0EEENS1_30default_config_static_selectorELNS0_4arch9wavefront6targetE1EEEvT1_
; %bb.0:
	.section	.rodata,"a",@progbits
	.p2align	6, 0x0
	.amdhsa_kernel _ZN7rocprim17ROCPRIM_400000_NS6detail17trampoline_kernelINS0_14default_configENS1_25partition_config_selectorILNS1_17partition_subalgoE9EllbEEZZNS1_14partition_implILS5_9ELb0ES3_jPlS8_PNS0_10empty_typeENS0_5tupleIJS8_S9_EEENSB_IJS8_SA_EEENS0_18inequality_wrapperIZN2at6native12_GLOBAL__N_124unique_dim_cuda_templateIN3c108BFloat16EEESt5tupleIJNSF_6TensorESM_SM_EERKSM_lbbbEUlllE0_EEPmJS9_EEE10hipError_tPvRmT3_T4_T5_T6_T7_T9_mT8_P12ihipStream_tbDpT10_ENKUlT_T0_E_clISt17integral_constantIbLb0EES1C_EEDaS17_S18_EUlS17_E_NS1_11comp_targetILNS1_3genE9ELNS1_11target_archE1100ELNS1_3gpuE3ELNS1_3repE0EEENS1_30default_config_static_selectorELNS0_4arch9wavefront6targetE1EEEvT1_
		.amdhsa_group_segment_fixed_size 0
		.amdhsa_private_segment_fixed_size 0
		.amdhsa_kernarg_size 120
		.amdhsa_user_sgpr_count 6
		.amdhsa_user_sgpr_private_segment_buffer 1
		.amdhsa_user_sgpr_dispatch_ptr 0
		.amdhsa_user_sgpr_queue_ptr 0
		.amdhsa_user_sgpr_kernarg_segment_ptr 1
		.amdhsa_user_sgpr_dispatch_id 0
		.amdhsa_user_sgpr_flat_scratch_init 0
		.amdhsa_user_sgpr_kernarg_preload_length 0
		.amdhsa_user_sgpr_kernarg_preload_offset 0
		.amdhsa_user_sgpr_private_segment_size 0
		.amdhsa_uses_dynamic_stack 0
		.amdhsa_system_sgpr_private_segment_wavefront_offset 0
		.amdhsa_system_sgpr_workgroup_id_x 1
		.amdhsa_system_sgpr_workgroup_id_y 0
		.amdhsa_system_sgpr_workgroup_id_z 0
		.amdhsa_system_sgpr_workgroup_info 0
		.amdhsa_system_vgpr_workitem_id 0
		.amdhsa_next_free_vgpr 1
		.amdhsa_next_free_sgpr 0
		.amdhsa_accum_offset 4
		.amdhsa_reserve_vcc 0
		.amdhsa_reserve_flat_scratch 0
		.amdhsa_float_round_mode_32 0
		.amdhsa_float_round_mode_16_64 0
		.amdhsa_float_denorm_mode_32 3
		.amdhsa_float_denorm_mode_16_64 3
		.amdhsa_dx10_clamp 1
		.amdhsa_ieee_mode 1
		.amdhsa_fp16_overflow 0
		.amdhsa_tg_split 0
		.amdhsa_exception_fp_ieee_invalid_op 0
		.amdhsa_exception_fp_denorm_src 0
		.amdhsa_exception_fp_ieee_div_zero 0
		.amdhsa_exception_fp_ieee_overflow 0
		.amdhsa_exception_fp_ieee_underflow 0
		.amdhsa_exception_fp_ieee_inexact 0
		.amdhsa_exception_int_div_zero 0
	.end_amdhsa_kernel
	.section	.text._ZN7rocprim17ROCPRIM_400000_NS6detail17trampoline_kernelINS0_14default_configENS1_25partition_config_selectorILNS1_17partition_subalgoE9EllbEEZZNS1_14partition_implILS5_9ELb0ES3_jPlS8_PNS0_10empty_typeENS0_5tupleIJS8_S9_EEENSB_IJS8_SA_EEENS0_18inequality_wrapperIZN2at6native12_GLOBAL__N_124unique_dim_cuda_templateIN3c108BFloat16EEESt5tupleIJNSF_6TensorESM_SM_EERKSM_lbbbEUlllE0_EEPmJS9_EEE10hipError_tPvRmT3_T4_T5_T6_T7_T9_mT8_P12ihipStream_tbDpT10_ENKUlT_T0_E_clISt17integral_constantIbLb0EES1C_EEDaS17_S18_EUlS17_E_NS1_11comp_targetILNS1_3genE9ELNS1_11target_archE1100ELNS1_3gpuE3ELNS1_3repE0EEENS1_30default_config_static_selectorELNS0_4arch9wavefront6targetE1EEEvT1_,"axG",@progbits,_ZN7rocprim17ROCPRIM_400000_NS6detail17trampoline_kernelINS0_14default_configENS1_25partition_config_selectorILNS1_17partition_subalgoE9EllbEEZZNS1_14partition_implILS5_9ELb0ES3_jPlS8_PNS0_10empty_typeENS0_5tupleIJS8_S9_EEENSB_IJS8_SA_EEENS0_18inequality_wrapperIZN2at6native12_GLOBAL__N_124unique_dim_cuda_templateIN3c108BFloat16EEESt5tupleIJNSF_6TensorESM_SM_EERKSM_lbbbEUlllE0_EEPmJS9_EEE10hipError_tPvRmT3_T4_T5_T6_T7_T9_mT8_P12ihipStream_tbDpT10_ENKUlT_T0_E_clISt17integral_constantIbLb0EES1C_EEDaS17_S18_EUlS17_E_NS1_11comp_targetILNS1_3genE9ELNS1_11target_archE1100ELNS1_3gpuE3ELNS1_3repE0EEENS1_30default_config_static_selectorELNS0_4arch9wavefront6targetE1EEEvT1_,comdat
.Lfunc_end1211:
	.size	_ZN7rocprim17ROCPRIM_400000_NS6detail17trampoline_kernelINS0_14default_configENS1_25partition_config_selectorILNS1_17partition_subalgoE9EllbEEZZNS1_14partition_implILS5_9ELb0ES3_jPlS8_PNS0_10empty_typeENS0_5tupleIJS8_S9_EEENSB_IJS8_SA_EEENS0_18inequality_wrapperIZN2at6native12_GLOBAL__N_124unique_dim_cuda_templateIN3c108BFloat16EEESt5tupleIJNSF_6TensorESM_SM_EERKSM_lbbbEUlllE0_EEPmJS9_EEE10hipError_tPvRmT3_T4_T5_T6_T7_T9_mT8_P12ihipStream_tbDpT10_ENKUlT_T0_E_clISt17integral_constantIbLb0EES1C_EEDaS17_S18_EUlS17_E_NS1_11comp_targetILNS1_3genE9ELNS1_11target_archE1100ELNS1_3gpuE3ELNS1_3repE0EEENS1_30default_config_static_selectorELNS0_4arch9wavefront6targetE1EEEvT1_, .Lfunc_end1211-_ZN7rocprim17ROCPRIM_400000_NS6detail17trampoline_kernelINS0_14default_configENS1_25partition_config_selectorILNS1_17partition_subalgoE9EllbEEZZNS1_14partition_implILS5_9ELb0ES3_jPlS8_PNS0_10empty_typeENS0_5tupleIJS8_S9_EEENSB_IJS8_SA_EEENS0_18inequality_wrapperIZN2at6native12_GLOBAL__N_124unique_dim_cuda_templateIN3c108BFloat16EEESt5tupleIJNSF_6TensorESM_SM_EERKSM_lbbbEUlllE0_EEPmJS9_EEE10hipError_tPvRmT3_T4_T5_T6_T7_T9_mT8_P12ihipStream_tbDpT10_ENKUlT_T0_E_clISt17integral_constantIbLb0EES1C_EEDaS17_S18_EUlS17_E_NS1_11comp_targetILNS1_3genE9ELNS1_11target_archE1100ELNS1_3gpuE3ELNS1_3repE0EEENS1_30default_config_static_selectorELNS0_4arch9wavefront6targetE1EEEvT1_
                                        ; -- End function
	.section	.AMDGPU.csdata,"",@progbits
; Kernel info:
; codeLenInByte = 0
; NumSgprs: 4
; NumVgprs: 0
; NumAgprs: 0
; TotalNumVgprs: 0
; ScratchSize: 0
; MemoryBound: 0
; FloatMode: 240
; IeeeMode: 1
; LDSByteSize: 0 bytes/workgroup (compile time only)
; SGPRBlocks: 0
; VGPRBlocks: 0
; NumSGPRsForWavesPerEU: 4
; NumVGPRsForWavesPerEU: 1
; AccumOffset: 4
; Occupancy: 8
; WaveLimiterHint : 0
; COMPUTE_PGM_RSRC2:SCRATCH_EN: 0
; COMPUTE_PGM_RSRC2:USER_SGPR: 6
; COMPUTE_PGM_RSRC2:TRAP_HANDLER: 0
; COMPUTE_PGM_RSRC2:TGID_X_EN: 1
; COMPUTE_PGM_RSRC2:TGID_Y_EN: 0
; COMPUTE_PGM_RSRC2:TGID_Z_EN: 0
; COMPUTE_PGM_RSRC2:TIDIG_COMP_CNT: 0
; COMPUTE_PGM_RSRC3_GFX90A:ACCUM_OFFSET: 0
; COMPUTE_PGM_RSRC3_GFX90A:TG_SPLIT: 0
	.section	.text._ZN7rocprim17ROCPRIM_400000_NS6detail17trampoline_kernelINS0_14default_configENS1_25partition_config_selectorILNS1_17partition_subalgoE9EllbEEZZNS1_14partition_implILS5_9ELb0ES3_jPlS8_PNS0_10empty_typeENS0_5tupleIJS8_S9_EEENSB_IJS8_SA_EEENS0_18inequality_wrapperIZN2at6native12_GLOBAL__N_124unique_dim_cuda_templateIN3c108BFloat16EEESt5tupleIJNSF_6TensorESM_SM_EERKSM_lbbbEUlllE0_EEPmJS9_EEE10hipError_tPvRmT3_T4_T5_T6_T7_T9_mT8_P12ihipStream_tbDpT10_ENKUlT_T0_E_clISt17integral_constantIbLb0EES1C_EEDaS17_S18_EUlS17_E_NS1_11comp_targetILNS1_3genE8ELNS1_11target_archE1030ELNS1_3gpuE2ELNS1_3repE0EEENS1_30default_config_static_selectorELNS0_4arch9wavefront6targetE1EEEvT1_,"axG",@progbits,_ZN7rocprim17ROCPRIM_400000_NS6detail17trampoline_kernelINS0_14default_configENS1_25partition_config_selectorILNS1_17partition_subalgoE9EllbEEZZNS1_14partition_implILS5_9ELb0ES3_jPlS8_PNS0_10empty_typeENS0_5tupleIJS8_S9_EEENSB_IJS8_SA_EEENS0_18inequality_wrapperIZN2at6native12_GLOBAL__N_124unique_dim_cuda_templateIN3c108BFloat16EEESt5tupleIJNSF_6TensorESM_SM_EERKSM_lbbbEUlllE0_EEPmJS9_EEE10hipError_tPvRmT3_T4_T5_T6_T7_T9_mT8_P12ihipStream_tbDpT10_ENKUlT_T0_E_clISt17integral_constantIbLb0EES1C_EEDaS17_S18_EUlS17_E_NS1_11comp_targetILNS1_3genE8ELNS1_11target_archE1030ELNS1_3gpuE2ELNS1_3repE0EEENS1_30default_config_static_selectorELNS0_4arch9wavefront6targetE1EEEvT1_,comdat
	.globl	_ZN7rocprim17ROCPRIM_400000_NS6detail17trampoline_kernelINS0_14default_configENS1_25partition_config_selectorILNS1_17partition_subalgoE9EllbEEZZNS1_14partition_implILS5_9ELb0ES3_jPlS8_PNS0_10empty_typeENS0_5tupleIJS8_S9_EEENSB_IJS8_SA_EEENS0_18inequality_wrapperIZN2at6native12_GLOBAL__N_124unique_dim_cuda_templateIN3c108BFloat16EEESt5tupleIJNSF_6TensorESM_SM_EERKSM_lbbbEUlllE0_EEPmJS9_EEE10hipError_tPvRmT3_T4_T5_T6_T7_T9_mT8_P12ihipStream_tbDpT10_ENKUlT_T0_E_clISt17integral_constantIbLb0EES1C_EEDaS17_S18_EUlS17_E_NS1_11comp_targetILNS1_3genE8ELNS1_11target_archE1030ELNS1_3gpuE2ELNS1_3repE0EEENS1_30default_config_static_selectorELNS0_4arch9wavefront6targetE1EEEvT1_ ; -- Begin function _ZN7rocprim17ROCPRIM_400000_NS6detail17trampoline_kernelINS0_14default_configENS1_25partition_config_selectorILNS1_17partition_subalgoE9EllbEEZZNS1_14partition_implILS5_9ELb0ES3_jPlS8_PNS0_10empty_typeENS0_5tupleIJS8_S9_EEENSB_IJS8_SA_EEENS0_18inequality_wrapperIZN2at6native12_GLOBAL__N_124unique_dim_cuda_templateIN3c108BFloat16EEESt5tupleIJNSF_6TensorESM_SM_EERKSM_lbbbEUlllE0_EEPmJS9_EEE10hipError_tPvRmT3_T4_T5_T6_T7_T9_mT8_P12ihipStream_tbDpT10_ENKUlT_T0_E_clISt17integral_constantIbLb0EES1C_EEDaS17_S18_EUlS17_E_NS1_11comp_targetILNS1_3genE8ELNS1_11target_archE1030ELNS1_3gpuE2ELNS1_3repE0EEENS1_30default_config_static_selectorELNS0_4arch9wavefront6targetE1EEEvT1_
	.p2align	8
	.type	_ZN7rocprim17ROCPRIM_400000_NS6detail17trampoline_kernelINS0_14default_configENS1_25partition_config_selectorILNS1_17partition_subalgoE9EllbEEZZNS1_14partition_implILS5_9ELb0ES3_jPlS8_PNS0_10empty_typeENS0_5tupleIJS8_S9_EEENSB_IJS8_SA_EEENS0_18inequality_wrapperIZN2at6native12_GLOBAL__N_124unique_dim_cuda_templateIN3c108BFloat16EEESt5tupleIJNSF_6TensorESM_SM_EERKSM_lbbbEUlllE0_EEPmJS9_EEE10hipError_tPvRmT3_T4_T5_T6_T7_T9_mT8_P12ihipStream_tbDpT10_ENKUlT_T0_E_clISt17integral_constantIbLb0EES1C_EEDaS17_S18_EUlS17_E_NS1_11comp_targetILNS1_3genE8ELNS1_11target_archE1030ELNS1_3gpuE2ELNS1_3repE0EEENS1_30default_config_static_selectorELNS0_4arch9wavefront6targetE1EEEvT1_,@function
_ZN7rocprim17ROCPRIM_400000_NS6detail17trampoline_kernelINS0_14default_configENS1_25partition_config_selectorILNS1_17partition_subalgoE9EllbEEZZNS1_14partition_implILS5_9ELb0ES3_jPlS8_PNS0_10empty_typeENS0_5tupleIJS8_S9_EEENSB_IJS8_SA_EEENS0_18inequality_wrapperIZN2at6native12_GLOBAL__N_124unique_dim_cuda_templateIN3c108BFloat16EEESt5tupleIJNSF_6TensorESM_SM_EERKSM_lbbbEUlllE0_EEPmJS9_EEE10hipError_tPvRmT3_T4_T5_T6_T7_T9_mT8_P12ihipStream_tbDpT10_ENKUlT_T0_E_clISt17integral_constantIbLb0EES1C_EEDaS17_S18_EUlS17_E_NS1_11comp_targetILNS1_3genE8ELNS1_11target_archE1030ELNS1_3gpuE2ELNS1_3repE0EEENS1_30default_config_static_selectorELNS0_4arch9wavefront6targetE1EEEvT1_: ; @_ZN7rocprim17ROCPRIM_400000_NS6detail17trampoline_kernelINS0_14default_configENS1_25partition_config_selectorILNS1_17partition_subalgoE9EllbEEZZNS1_14partition_implILS5_9ELb0ES3_jPlS8_PNS0_10empty_typeENS0_5tupleIJS8_S9_EEENSB_IJS8_SA_EEENS0_18inequality_wrapperIZN2at6native12_GLOBAL__N_124unique_dim_cuda_templateIN3c108BFloat16EEESt5tupleIJNSF_6TensorESM_SM_EERKSM_lbbbEUlllE0_EEPmJS9_EEE10hipError_tPvRmT3_T4_T5_T6_T7_T9_mT8_P12ihipStream_tbDpT10_ENKUlT_T0_E_clISt17integral_constantIbLb0EES1C_EEDaS17_S18_EUlS17_E_NS1_11comp_targetILNS1_3genE8ELNS1_11target_archE1030ELNS1_3gpuE2ELNS1_3repE0EEENS1_30default_config_static_selectorELNS0_4arch9wavefront6targetE1EEEvT1_
; %bb.0:
	.section	.rodata,"a",@progbits
	.p2align	6, 0x0
	.amdhsa_kernel _ZN7rocprim17ROCPRIM_400000_NS6detail17trampoline_kernelINS0_14default_configENS1_25partition_config_selectorILNS1_17partition_subalgoE9EllbEEZZNS1_14partition_implILS5_9ELb0ES3_jPlS8_PNS0_10empty_typeENS0_5tupleIJS8_S9_EEENSB_IJS8_SA_EEENS0_18inequality_wrapperIZN2at6native12_GLOBAL__N_124unique_dim_cuda_templateIN3c108BFloat16EEESt5tupleIJNSF_6TensorESM_SM_EERKSM_lbbbEUlllE0_EEPmJS9_EEE10hipError_tPvRmT3_T4_T5_T6_T7_T9_mT8_P12ihipStream_tbDpT10_ENKUlT_T0_E_clISt17integral_constantIbLb0EES1C_EEDaS17_S18_EUlS17_E_NS1_11comp_targetILNS1_3genE8ELNS1_11target_archE1030ELNS1_3gpuE2ELNS1_3repE0EEENS1_30default_config_static_selectorELNS0_4arch9wavefront6targetE1EEEvT1_
		.amdhsa_group_segment_fixed_size 0
		.amdhsa_private_segment_fixed_size 0
		.amdhsa_kernarg_size 120
		.amdhsa_user_sgpr_count 6
		.amdhsa_user_sgpr_private_segment_buffer 1
		.amdhsa_user_sgpr_dispatch_ptr 0
		.amdhsa_user_sgpr_queue_ptr 0
		.amdhsa_user_sgpr_kernarg_segment_ptr 1
		.amdhsa_user_sgpr_dispatch_id 0
		.amdhsa_user_sgpr_flat_scratch_init 0
		.amdhsa_user_sgpr_kernarg_preload_length 0
		.amdhsa_user_sgpr_kernarg_preload_offset 0
		.amdhsa_user_sgpr_private_segment_size 0
		.amdhsa_uses_dynamic_stack 0
		.amdhsa_system_sgpr_private_segment_wavefront_offset 0
		.amdhsa_system_sgpr_workgroup_id_x 1
		.amdhsa_system_sgpr_workgroup_id_y 0
		.amdhsa_system_sgpr_workgroup_id_z 0
		.amdhsa_system_sgpr_workgroup_info 0
		.amdhsa_system_vgpr_workitem_id 0
		.amdhsa_next_free_vgpr 1
		.amdhsa_next_free_sgpr 0
		.amdhsa_accum_offset 4
		.amdhsa_reserve_vcc 0
		.amdhsa_reserve_flat_scratch 0
		.amdhsa_float_round_mode_32 0
		.amdhsa_float_round_mode_16_64 0
		.amdhsa_float_denorm_mode_32 3
		.amdhsa_float_denorm_mode_16_64 3
		.amdhsa_dx10_clamp 1
		.amdhsa_ieee_mode 1
		.amdhsa_fp16_overflow 0
		.amdhsa_tg_split 0
		.amdhsa_exception_fp_ieee_invalid_op 0
		.amdhsa_exception_fp_denorm_src 0
		.amdhsa_exception_fp_ieee_div_zero 0
		.amdhsa_exception_fp_ieee_overflow 0
		.amdhsa_exception_fp_ieee_underflow 0
		.amdhsa_exception_fp_ieee_inexact 0
		.amdhsa_exception_int_div_zero 0
	.end_amdhsa_kernel
	.section	.text._ZN7rocprim17ROCPRIM_400000_NS6detail17trampoline_kernelINS0_14default_configENS1_25partition_config_selectorILNS1_17partition_subalgoE9EllbEEZZNS1_14partition_implILS5_9ELb0ES3_jPlS8_PNS0_10empty_typeENS0_5tupleIJS8_S9_EEENSB_IJS8_SA_EEENS0_18inequality_wrapperIZN2at6native12_GLOBAL__N_124unique_dim_cuda_templateIN3c108BFloat16EEESt5tupleIJNSF_6TensorESM_SM_EERKSM_lbbbEUlllE0_EEPmJS9_EEE10hipError_tPvRmT3_T4_T5_T6_T7_T9_mT8_P12ihipStream_tbDpT10_ENKUlT_T0_E_clISt17integral_constantIbLb0EES1C_EEDaS17_S18_EUlS17_E_NS1_11comp_targetILNS1_3genE8ELNS1_11target_archE1030ELNS1_3gpuE2ELNS1_3repE0EEENS1_30default_config_static_selectorELNS0_4arch9wavefront6targetE1EEEvT1_,"axG",@progbits,_ZN7rocprim17ROCPRIM_400000_NS6detail17trampoline_kernelINS0_14default_configENS1_25partition_config_selectorILNS1_17partition_subalgoE9EllbEEZZNS1_14partition_implILS5_9ELb0ES3_jPlS8_PNS0_10empty_typeENS0_5tupleIJS8_S9_EEENSB_IJS8_SA_EEENS0_18inequality_wrapperIZN2at6native12_GLOBAL__N_124unique_dim_cuda_templateIN3c108BFloat16EEESt5tupleIJNSF_6TensorESM_SM_EERKSM_lbbbEUlllE0_EEPmJS9_EEE10hipError_tPvRmT3_T4_T5_T6_T7_T9_mT8_P12ihipStream_tbDpT10_ENKUlT_T0_E_clISt17integral_constantIbLb0EES1C_EEDaS17_S18_EUlS17_E_NS1_11comp_targetILNS1_3genE8ELNS1_11target_archE1030ELNS1_3gpuE2ELNS1_3repE0EEENS1_30default_config_static_selectorELNS0_4arch9wavefront6targetE1EEEvT1_,comdat
.Lfunc_end1212:
	.size	_ZN7rocprim17ROCPRIM_400000_NS6detail17trampoline_kernelINS0_14default_configENS1_25partition_config_selectorILNS1_17partition_subalgoE9EllbEEZZNS1_14partition_implILS5_9ELb0ES3_jPlS8_PNS0_10empty_typeENS0_5tupleIJS8_S9_EEENSB_IJS8_SA_EEENS0_18inequality_wrapperIZN2at6native12_GLOBAL__N_124unique_dim_cuda_templateIN3c108BFloat16EEESt5tupleIJNSF_6TensorESM_SM_EERKSM_lbbbEUlllE0_EEPmJS9_EEE10hipError_tPvRmT3_T4_T5_T6_T7_T9_mT8_P12ihipStream_tbDpT10_ENKUlT_T0_E_clISt17integral_constantIbLb0EES1C_EEDaS17_S18_EUlS17_E_NS1_11comp_targetILNS1_3genE8ELNS1_11target_archE1030ELNS1_3gpuE2ELNS1_3repE0EEENS1_30default_config_static_selectorELNS0_4arch9wavefront6targetE1EEEvT1_, .Lfunc_end1212-_ZN7rocprim17ROCPRIM_400000_NS6detail17trampoline_kernelINS0_14default_configENS1_25partition_config_selectorILNS1_17partition_subalgoE9EllbEEZZNS1_14partition_implILS5_9ELb0ES3_jPlS8_PNS0_10empty_typeENS0_5tupleIJS8_S9_EEENSB_IJS8_SA_EEENS0_18inequality_wrapperIZN2at6native12_GLOBAL__N_124unique_dim_cuda_templateIN3c108BFloat16EEESt5tupleIJNSF_6TensorESM_SM_EERKSM_lbbbEUlllE0_EEPmJS9_EEE10hipError_tPvRmT3_T4_T5_T6_T7_T9_mT8_P12ihipStream_tbDpT10_ENKUlT_T0_E_clISt17integral_constantIbLb0EES1C_EEDaS17_S18_EUlS17_E_NS1_11comp_targetILNS1_3genE8ELNS1_11target_archE1030ELNS1_3gpuE2ELNS1_3repE0EEENS1_30default_config_static_selectorELNS0_4arch9wavefront6targetE1EEEvT1_
                                        ; -- End function
	.section	.AMDGPU.csdata,"",@progbits
; Kernel info:
; codeLenInByte = 0
; NumSgprs: 4
; NumVgprs: 0
; NumAgprs: 0
; TotalNumVgprs: 0
; ScratchSize: 0
; MemoryBound: 0
; FloatMode: 240
; IeeeMode: 1
; LDSByteSize: 0 bytes/workgroup (compile time only)
; SGPRBlocks: 0
; VGPRBlocks: 0
; NumSGPRsForWavesPerEU: 4
; NumVGPRsForWavesPerEU: 1
; AccumOffset: 4
; Occupancy: 8
; WaveLimiterHint : 0
; COMPUTE_PGM_RSRC2:SCRATCH_EN: 0
; COMPUTE_PGM_RSRC2:USER_SGPR: 6
; COMPUTE_PGM_RSRC2:TRAP_HANDLER: 0
; COMPUTE_PGM_RSRC2:TGID_X_EN: 1
; COMPUTE_PGM_RSRC2:TGID_Y_EN: 0
; COMPUTE_PGM_RSRC2:TGID_Z_EN: 0
; COMPUTE_PGM_RSRC2:TIDIG_COMP_CNT: 0
; COMPUTE_PGM_RSRC3_GFX90A:ACCUM_OFFSET: 0
; COMPUTE_PGM_RSRC3_GFX90A:TG_SPLIT: 0
	.section	.text._ZN7rocprim17ROCPRIM_400000_NS6detail17trampoline_kernelINS0_14default_configENS1_25partition_config_selectorILNS1_17partition_subalgoE9EllbEEZZNS1_14partition_implILS5_9ELb0ES3_jPlS8_PNS0_10empty_typeENS0_5tupleIJS8_S9_EEENSB_IJS8_SA_EEENS0_18inequality_wrapperIZN2at6native12_GLOBAL__N_124unique_dim_cuda_templateIN3c108BFloat16EEESt5tupleIJNSF_6TensorESM_SM_EERKSM_lbbbEUlllE0_EEPmJS9_EEE10hipError_tPvRmT3_T4_T5_T6_T7_T9_mT8_P12ihipStream_tbDpT10_ENKUlT_T0_E_clISt17integral_constantIbLb1EES1C_EEDaS17_S18_EUlS17_E_NS1_11comp_targetILNS1_3genE0ELNS1_11target_archE4294967295ELNS1_3gpuE0ELNS1_3repE0EEENS1_30default_config_static_selectorELNS0_4arch9wavefront6targetE1EEEvT1_,"axG",@progbits,_ZN7rocprim17ROCPRIM_400000_NS6detail17trampoline_kernelINS0_14default_configENS1_25partition_config_selectorILNS1_17partition_subalgoE9EllbEEZZNS1_14partition_implILS5_9ELb0ES3_jPlS8_PNS0_10empty_typeENS0_5tupleIJS8_S9_EEENSB_IJS8_SA_EEENS0_18inequality_wrapperIZN2at6native12_GLOBAL__N_124unique_dim_cuda_templateIN3c108BFloat16EEESt5tupleIJNSF_6TensorESM_SM_EERKSM_lbbbEUlllE0_EEPmJS9_EEE10hipError_tPvRmT3_T4_T5_T6_T7_T9_mT8_P12ihipStream_tbDpT10_ENKUlT_T0_E_clISt17integral_constantIbLb1EES1C_EEDaS17_S18_EUlS17_E_NS1_11comp_targetILNS1_3genE0ELNS1_11target_archE4294967295ELNS1_3gpuE0ELNS1_3repE0EEENS1_30default_config_static_selectorELNS0_4arch9wavefront6targetE1EEEvT1_,comdat
	.globl	_ZN7rocprim17ROCPRIM_400000_NS6detail17trampoline_kernelINS0_14default_configENS1_25partition_config_selectorILNS1_17partition_subalgoE9EllbEEZZNS1_14partition_implILS5_9ELb0ES3_jPlS8_PNS0_10empty_typeENS0_5tupleIJS8_S9_EEENSB_IJS8_SA_EEENS0_18inequality_wrapperIZN2at6native12_GLOBAL__N_124unique_dim_cuda_templateIN3c108BFloat16EEESt5tupleIJNSF_6TensorESM_SM_EERKSM_lbbbEUlllE0_EEPmJS9_EEE10hipError_tPvRmT3_T4_T5_T6_T7_T9_mT8_P12ihipStream_tbDpT10_ENKUlT_T0_E_clISt17integral_constantIbLb1EES1C_EEDaS17_S18_EUlS17_E_NS1_11comp_targetILNS1_3genE0ELNS1_11target_archE4294967295ELNS1_3gpuE0ELNS1_3repE0EEENS1_30default_config_static_selectorELNS0_4arch9wavefront6targetE1EEEvT1_ ; -- Begin function _ZN7rocprim17ROCPRIM_400000_NS6detail17trampoline_kernelINS0_14default_configENS1_25partition_config_selectorILNS1_17partition_subalgoE9EllbEEZZNS1_14partition_implILS5_9ELb0ES3_jPlS8_PNS0_10empty_typeENS0_5tupleIJS8_S9_EEENSB_IJS8_SA_EEENS0_18inequality_wrapperIZN2at6native12_GLOBAL__N_124unique_dim_cuda_templateIN3c108BFloat16EEESt5tupleIJNSF_6TensorESM_SM_EERKSM_lbbbEUlllE0_EEPmJS9_EEE10hipError_tPvRmT3_T4_T5_T6_T7_T9_mT8_P12ihipStream_tbDpT10_ENKUlT_T0_E_clISt17integral_constantIbLb1EES1C_EEDaS17_S18_EUlS17_E_NS1_11comp_targetILNS1_3genE0ELNS1_11target_archE4294967295ELNS1_3gpuE0ELNS1_3repE0EEENS1_30default_config_static_selectorELNS0_4arch9wavefront6targetE1EEEvT1_
	.p2align	8
	.type	_ZN7rocprim17ROCPRIM_400000_NS6detail17trampoline_kernelINS0_14default_configENS1_25partition_config_selectorILNS1_17partition_subalgoE9EllbEEZZNS1_14partition_implILS5_9ELb0ES3_jPlS8_PNS0_10empty_typeENS0_5tupleIJS8_S9_EEENSB_IJS8_SA_EEENS0_18inequality_wrapperIZN2at6native12_GLOBAL__N_124unique_dim_cuda_templateIN3c108BFloat16EEESt5tupleIJNSF_6TensorESM_SM_EERKSM_lbbbEUlllE0_EEPmJS9_EEE10hipError_tPvRmT3_T4_T5_T6_T7_T9_mT8_P12ihipStream_tbDpT10_ENKUlT_T0_E_clISt17integral_constantIbLb1EES1C_EEDaS17_S18_EUlS17_E_NS1_11comp_targetILNS1_3genE0ELNS1_11target_archE4294967295ELNS1_3gpuE0ELNS1_3repE0EEENS1_30default_config_static_selectorELNS0_4arch9wavefront6targetE1EEEvT1_,@function
_ZN7rocprim17ROCPRIM_400000_NS6detail17trampoline_kernelINS0_14default_configENS1_25partition_config_selectorILNS1_17partition_subalgoE9EllbEEZZNS1_14partition_implILS5_9ELb0ES3_jPlS8_PNS0_10empty_typeENS0_5tupleIJS8_S9_EEENSB_IJS8_SA_EEENS0_18inequality_wrapperIZN2at6native12_GLOBAL__N_124unique_dim_cuda_templateIN3c108BFloat16EEESt5tupleIJNSF_6TensorESM_SM_EERKSM_lbbbEUlllE0_EEPmJS9_EEE10hipError_tPvRmT3_T4_T5_T6_T7_T9_mT8_P12ihipStream_tbDpT10_ENKUlT_T0_E_clISt17integral_constantIbLb1EES1C_EEDaS17_S18_EUlS17_E_NS1_11comp_targetILNS1_3genE0ELNS1_11target_archE4294967295ELNS1_3gpuE0ELNS1_3repE0EEENS1_30default_config_static_selectorELNS0_4arch9wavefront6targetE1EEEvT1_: ; @_ZN7rocprim17ROCPRIM_400000_NS6detail17trampoline_kernelINS0_14default_configENS1_25partition_config_selectorILNS1_17partition_subalgoE9EllbEEZZNS1_14partition_implILS5_9ELb0ES3_jPlS8_PNS0_10empty_typeENS0_5tupleIJS8_S9_EEENSB_IJS8_SA_EEENS0_18inequality_wrapperIZN2at6native12_GLOBAL__N_124unique_dim_cuda_templateIN3c108BFloat16EEESt5tupleIJNSF_6TensorESM_SM_EERKSM_lbbbEUlllE0_EEPmJS9_EEE10hipError_tPvRmT3_T4_T5_T6_T7_T9_mT8_P12ihipStream_tbDpT10_ENKUlT_T0_E_clISt17integral_constantIbLb1EES1C_EEDaS17_S18_EUlS17_E_NS1_11comp_targetILNS1_3genE0ELNS1_11target_archE4294967295ELNS1_3gpuE0ELNS1_3repE0EEENS1_30default_config_static_selectorELNS0_4arch9wavefront6targetE1EEEvT1_
; %bb.0:
	.section	.rodata,"a",@progbits
	.p2align	6, 0x0
	.amdhsa_kernel _ZN7rocprim17ROCPRIM_400000_NS6detail17trampoline_kernelINS0_14default_configENS1_25partition_config_selectorILNS1_17partition_subalgoE9EllbEEZZNS1_14partition_implILS5_9ELb0ES3_jPlS8_PNS0_10empty_typeENS0_5tupleIJS8_S9_EEENSB_IJS8_SA_EEENS0_18inequality_wrapperIZN2at6native12_GLOBAL__N_124unique_dim_cuda_templateIN3c108BFloat16EEESt5tupleIJNSF_6TensorESM_SM_EERKSM_lbbbEUlllE0_EEPmJS9_EEE10hipError_tPvRmT3_T4_T5_T6_T7_T9_mT8_P12ihipStream_tbDpT10_ENKUlT_T0_E_clISt17integral_constantIbLb1EES1C_EEDaS17_S18_EUlS17_E_NS1_11comp_targetILNS1_3genE0ELNS1_11target_archE4294967295ELNS1_3gpuE0ELNS1_3repE0EEENS1_30default_config_static_selectorELNS0_4arch9wavefront6targetE1EEEvT1_
		.amdhsa_group_segment_fixed_size 0
		.amdhsa_private_segment_fixed_size 0
		.amdhsa_kernarg_size 136
		.amdhsa_user_sgpr_count 6
		.amdhsa_user_sgpr_private_segment_buffer 1
		.amdhsa_user_sgpr_dispatch_ptr 0
		.amdhsa_user_sgpr_queue_ptr 0
		.amdhsa_user_sgpr_kernarg_segment_ptr 1
		.amdhsa_user_sgpr_dispatch_id 0
		.amdhsa_user_sgpr_flat_scratch_init 0
		.amdhsa_user_sgpr_kernarg_preload_length 0
		.amdhsa_user_sgpr_kernarg_preload_offset 0
		.amdhsa_user_sgpr_private_segment_size 0
		.amdhsa_uses_dynamic_stack 0
		.amdhsa_system_sgpr_private_segment_wavefront_offset 0
		.amdhsa_system_sgpr_workgroup_id_x 1
		.amdhsa_system_sgpr_workgroup_id_y 0
		.amdhsa_system_sgpr_workgroup_id_z 0
		.amdhsa_system_sgpr_workgroup_info 0
		.amdhsa_system_vgpr_workitem_id 0
		.amdhsa_next_free_vgpr 1
		.amdhsa_next_free_sgpr 0
		.amdhsa_accum_offset 4
		.amdhsa_reserve_vcc 0
		.amdhsa_reserve_flat_scratch 0
		.amdhsa_float_round_mode_32 0
		.amdhsa_float_round_mode_16_64 0
		.amdhsa_float_denorm_mode_32 3
		.amdhsa_float_denorm_mode_16_64 3
		.amdhsa_dx10_clamp 1
		.amdhsa_ieee_mode 1
		.amdhsa_fp16_overflow 0
		.amdhsa_tg_split 0
		.amdhsa_exception_fp_ieee_invalid_op 0
		.amdhsa_exception_fp_denorm_src 0
		.amdhsa_exception_fp_ieee_div_zero 0
		.amdhsa_exception_fp_ieee_overflow 0
		.amdhsa_exception_fp_ieee_underflow 0
		.amdhsa_exception_fp_ieee_inexact 0
		.amdhsa_exception_int_div_zero 0
	.end_amdhsa_kernel
	.section	.text._ZN7rocprim17ROCPRIM_400000_NS6detail17trampoline_kernelINS0_14default_configENS1_25partition_config_selectorILNS1_17partition_subalgoE9EllbEEZZNS1_14partition_implILS5_9ELb0ES3_jPlS8_PNS0_10empty_typeENS0_5tupleIJS8_S9_EEENSB_IJS8_SA_EEENS0_18inequality_wrapperIZN2at6native12_GLOBAL__N_124unique_dim_cuda_templateIN3c108BFloat16EEESt5tupleIJNSF_6TensorESM_SM_EERKSM_lbbbEUlllE0_EEPmJS9_EEE10hipError_tPvRmT3_T4_T5_T6_T7_T9_mT8_P12ihipStream_tbDpT10_ENKUlT_T0_E_clISt17integral_constantIbLb1EES1C_EEDaS17_S18_EUlS17_E_NS1_11comp_targetILNS1_3genE0ELNS1_11target_archE4294967295ELNS1_3gpuE0ELNS1_3repE0EEENS1_30default_config_static_selectorELNS0_4arch9wavefront6targetE1EEEvT1_,"axG",@progbits,_ZN7rocprim17ROCPRIM_400000_NS6detail17trampoline_kernelINS0_14default_configENS1_25partition_config_selectorILNS1_17partition_subalgoE9EllbEEZZNS1_14partition_implILS5_9ELb0ES3_jPlS8_PNS0_10empty_typeENS0_5tupleIJS8_S9_EEENSB_IJS8_SA_EEENS0_18inequality_wrapperIZN2at6native12_GLOBAL__N_124unique_dim_cuda_templateIN3c108BFloat16EEESt5tupleIJNSF_6TensorESM_SM_EERKSM_lbbbEUlllE0_EEPmJS9_EEE10hipError_tPvRmT3_T4_T5_T6_T7_T9_mT8_P12ihipStream_tbDpT10_ENKUlT_T0_E_clISt17integral_constantIbLb1EES1C_EEDaS17_S18_EUlS17_E_NS1_11comp_targetILNS1_3genE0ELNS1_11target_archE4294967295ELNS1_3gpuE0ELNS1_3repE0EEENS1_30default_config_static_selectorELNS0_4arch9wavefront6targetE1EEEvT1_,comdat
.Lfunc_end1213:
	.size	_ZN7rocprim17ROCPRIM_400000_NS6detail17trampoline_kernelINS0_14default_configENS1_25partition_config_selectorILNS1_17partition_subalgoE9EllbEEZZNS1_14partition_implILS5_9ELb0ES3_jPlS8_PNS0_10empty_typeENS0_5tupleIJS8_S9_EEENSB_IJS8_SA_EEENS0_18inequality_wrapperIZN2at6native12_GLOBAL__N_124unique_dim_cuda_templateIN3c108BFloat16EEESt5tupleIJNSF_6TensorESM_SM_EERKSM_lbbbEUlllE0_EEPmJS9_EEE10hipError_tPvRmT3_T4_T5_T6_T7_T9_mT8_P12ihipStream_tbDpT10_ENKUlT_T0_E_clISt17integral_constantIbLb1EES1C_EEDaS17_S18_EUlS17_E_NS1_11comp_targetILNS1_3genE0ELNS1_11target_archE4294967295ELNS1_3gpuE0ELNS1_3repE0EEENS1_30default_config_static_selectorELNS0_4arch9wavefront6targetE1EEEvT1_, .Lfunc_end1213-_ZN7rocprim17ROCPRIM_400000_NS6detail17trampoline_kernelINS0_14default_configENS1_25partition_config_selectorILNS1_17partition_subalgoE9EllbEEZZNS1_14partition_implILS5_9ELb0ES3_jPlS8_PNS0_10empty_typeENS0_5tupleIJS8_S9_EEENSB_IJS8_SA_EEENS0_18inequality_wrapperIZN2at6native12_GLOBAL__N_124unique_dim_cuda_templateIN3c108BFloat16EEESt5tupleIJNSF_6TensorESM_SM_EERKSM_lbbbEUlllE0_EEPmJS9_EEE10hipError_tPvRmT3_T4_T5_T6_T7_T9_mT8_P12ihipStream_tbDpT10_ENKUlT_T0_E_clISt17integral_constantIbLb1EES1C_EEDaS17_S18_EUlS17_E_NS1_11comp_targetILNS1_3genE0ELNS1_11target_archE4294967295ELNS1_3gpuE0ELNS1_3repE0EEENS1_30default_config_static_selectorELNS0_4arch9wavefront6targetE1EEEvT1_
                                        ; -- End function
	.section	.AMDGPU.csdata,"",@progbits
; Kernel info:
; codeLenInByte = 0
; NumSgprs: 4
; NumVgprs: 0
; NumAgprs: 0
; TotalNumVgprs: 0
; ScratchSize: 0
; MemoryBound: 0
; FloatMode: 240
; IeeeMode: 1
; LDSByteSize: 0 bytes/workgroup (compile time only)
; SGPRBlocks: 0
; VGPRBlocks: 0
; NumSGPRsForWavesPerEU: 4
; NumVGPRsForWavesPerEU: 1
; AccumOffset: 4
; Occupancy: 8
; WaveLimiterHint : 0
; COMPUTE_PGM_RSRC2:SCRATCH_EN: 0
; COMPUTE_PGM_RSRC2:USER_SGPR: 6
; COMPUTE_PGM_RSRC2:TRAP_HANDLER: 0
; COMPUTE_PGM_RSRC2:TGID_X_EN: 1
; COMPUTE_PGM_RSRC2:TGID_Y_EN: 0
; COMPUTE_PGM_RSRC2:TGID_Z_EN: 0
; COMPUTE_PGM_RSRC2:TIDIG_COMP_CNT: 0
; COMPUTE_PGM_RSRC3_GFX90A:ACCUM_OFFSET: 0
; COMPUTE_PGM_RSRC3_GFX90A:TG_SPLIT: 0
	.section	.text._ZN7rocprim17ROCPRIM_400000_NS6detail17trampoline_kernelINS0_14default_configENS1_25partition_config_selectorILNS1_17partition_subalgoE9EllbEEZZNS1_14partition_implILS5_9ELb0ES3_jPlS8_PNS0_10empty_typeENS0_5tupleIJS8_S9_EEENSB_IJS8_SA_EEENS0_18inequality_wrapperIZN2at6native12_GLOBAL__N_124unique_dim_cuda_templateIN3c108BFloat16EEESt5tupleIJNSF_6TensorESM_SM_EERKSM_lbbbEUlllE0_EEPmJS9_EEE10hipError_tPvRmT3_T4_T5_T6_T7_T9_mT8_P12ihipStream_tbDpT10_ENKUlT_T0_E_clISt17integral_constantIbLb1EES1C_EEDaS17_S18_EUlS17_E_NS1_11comp_targetILNS1_3genE5ELNS1_11target_archE942ELNS1_3gpuE9ELNS1_3repE0EEENS1_30default_config_static_selectorELNS0_4arch9wavefront6targetE1EEEvT1_,"axG",@progbits,_ZN7rocprim17ROCPRIM_400000_NS6detail17trampoline_kernelINS0_14default_configENS1_25partition_config_selectorILNS1_17partition_subalgoE9EllbEEZZNS1_14partition_implILS5_9ELb0ES3_jPlS8_PNS0_10empty_typeENS0_5tupleIJS8_S9_EEENSB_IJS8_SA_EEENS0_18inequality_wrapperIZN2at6native12_GLOBAL__N_124unique_dim_cuda_templateIN3c108BFloat16EEESt5tupleIJNSF_6TensorESM_SM_EERKSM_lbbbEUlllE0_EEPmJS9_EEE10hipError_tPvRmT3_T4_T5_T6_T7_T9_mT8_P12ihipStream_tbDpT10_ENKUlT_T0_E_clISt17integral_constantIbLb1EES1C_EEDaS17_S18_EUlS17_E_NS1_11comp_targetILNS1_3genE5ELNS1_11target_archE942ELNS1_3gpuE9ELNS1_3repE0EEENS1_30default_config_static_selectorELNS0_4arch9wavefront6targetE1EEEvT1_,comdat
	.globl	_ZN7rocprim17ROCPRIM_400000_NS6detail17trampoline_kernelINS0_14default_configENS1_25partition_config_selectorILNS1_17partition_subalgoE9EllbEEZZNS1_14partition_implILS5_9ELb0ES3_jPlS8_PNS0_10empty_typeENS0_5tupleIJS8_S9_EEENSB_IJS8_SA_EEENS0_18inequality_wrapperIZN2at6native12_GLOBAL__N_124unique_dim_cuda_templateIN3c108BFloat16EEESt5tupleIJNSF_6TensorESM_SM_EERKSM_lbbbEUlllE0_EEPmJS9_EEE10hipError_tPvRmT3_T4_T5_T6_T7_T9_mT8_P12ihipStream_tbDpT10_ENKUlT_T0_E_clISt17integral_constantIbLb1EES1C_EEDaS17_S18_EUlS17_E_NS1_11comp_targetILNS1_3genE5ELNS1_11target_archE942ELNS1_3gpuE9ELNS1_3repE0EEENS1_30default_config_static_selectorELNS0_4arch9wavefront6targetE1EEEvT1_ ; -- Begin function _ZN7rocprim17ROCPRIM_400000_NS6detail17trampoline_kernelINS0_14default_configENS1_25partition_config_selectorILNS1_17partition_subalgoE9EllbEEZZNS1_14partition_implILS5_9ELb0ES3_jPlS8_PNS0_10empty_typeENS0_5tupleIJS8_S9_EEENSB_IJS8_SA_EEENS0_18inequality_wrapperIZN2at6native12_GLOBAL__N_124unique_dim_cuda_templateIN3c108BFloat16EEESt5tupleIJNSF_6TensorESM_SM_EERKSM_lbbbEUlllE0_EEPmJS9_EEE10hipError_tPvRmT3_T4_T5_T6_T7_T9_mT8_P12ihipStream_tbDpT10_ENKUlT_T0_E_clISt17integral_constantIbLb1EES1C_EEDaS17_S18_EUlS17_E_NS1_11comp_targetILNS1_3genE5ELNS1_11target_archE942ELNS1_3gpuE9ELNS1_3repE0EEENS1_30default_config_static_selectorELNS0_4arch9wavefront6targetE1EEEvT1_
	.p2align	8
	.type	_ZN7rocprim17ROCPRIM_400000_NS6detail17trampoline_kernelINS0_14default_configENS1_25partition_config_selectorILNS1_17partition_subalgoE9EllbEEZZNS1_14partition_implILS5_9ELb0ES3_jPlS8_PNS0_10empty_typeENS0_5tupleIJS8_S9_EEENSB_IJS8_SA_EEENS0_18inequality_wrapperIZN2at6native12_GLOBAL__N_124unique_dim_cuda_templateIN3c108BFloat16EEESt5tupleIJNSF_6TensorESM_SM_EERKSM_lbbbEUlllE0_EEPmJS9_EEE10hipError_tPvRmT3_T4_T5_T6_T7_T9_mT8_P12ihipStream_tbDpT10_ENKUlT_T0_E_clISt17integral_constantIbLb1EES1C_EEDaS17_S18_EUlS17_E_NS1_11comp_targetILNS1_3genE5ELNS1_11target_archE942ELNS1_3gpuE9ELNS1_3repE0EEENS1_30default_config_static_selectorELNS0_4arch9wavefront6targetE1EEEvT1_,@function
_ZN7rocprim17ROCPRIM_400000_NS6detail17trampoline_kernelINS0_14default_configENS1_25partition_config_selectorILNS1_17partition_subalgoE9EllbEEZZNS1_14partition_implILS5_9ELb0ES3_jPlS8_PNS0_10empty_typeENS0_5tupleIJS8_S9_EEENSB_IJS8_SA_EEENS0_18inequality_wrapperIZN2at6native12_GLOBAL__N_124unique_dim_cuda_templateIN3c108BFloat16EEESt5tupleIJNSF_6TensorESM_SM_EERKSM_lbbbEUlllE0_EEPmJS9_EEE10hipError_tPvRmT3_T4_T5_T6_T7_T9_mT8_P12ihipStream_tbDpT10_ENKUlT_T0_E_clISt17integral_constantIbLb1EES1C_EEDaS17_S18_EUlS17_E_NS1_11comp_targetILNS1_3genE5ELNS1_11target_archE942ELNS1_3gpuE9ELNS1_3repE0EEENS1_30default_config_static_selectorELNS0_4arch9wavefront6targetE1EEEvT1_: ; @_ZN7rocprim17ROCPRIM_400000_NS6detail17trampoline_kernelINS0_14default_configENS1_25partition_config_selectorILNS1_17partition_subalgoE9EllbEEZZNS1_14partition_implILS5_9ELb0ES3_jPlS8_PNS0_10empty_typeENS0_5tupleIJS8_S9_EEENSB_IJS8_SA_EEENS0_18inequality_wrapperIZN2at6native12_GLOBAL__N_124unique_dim_cuda_templateIN3c108BFloat16EEESt5tupleIJNSF_6TensorESM_SM_EERKSM_lbbbEUlllE0_EEPmJS9_EEE10hipError_tPvRmT3_T4_T5_T6_T7_T9_mT8_P12ihipStream_tbDpT10_ENKUlT_T0_E_clISt17integral_constantIbLb1EES1C_EEDaS17_S18_EUlS17_E_NS1_11comp_targetILNS1_3genE5ELNS1_11target_archE942ELNS1_3gpuE9ELNS1_3repE0EEENS1_30default_config_static_selectorELNS0_4arch9wavefront6targetE1EEEvT1_
; %bb.0:
	.section	.rodata,"a",@progbits
	.p2align	6, 0x0
	.amdhsa_kernel _ZN7rocprim17ROCPRIM_400000_NS6detail17trampoline_kernelINS0_14default_configENS1_25partition_config_selectorILNS1_17partition_subalgoE9EllbEEZZNS1_14partition_implILS5_9ELb0ES3_jPlS8_PNS0_10empty_typeENS0_5tupleIJS8_S9_EEENSB_IJS8_SA_EEENS0_18inequality_wrapperIZN2at6native12_GLOBAL__N_124unique_dim_cuda_templateIN3c108BFloat16EEESt5tupleIJNSF_6TensorESM_SM_EERKSM_lbbbEUlllE0_EEPmJS9_EEE10hipError_tPvRmT3_T4_T5_T6_T7_T9_mT8_P12ihipStream_tbDpT10_ENKUlT_T0_E_clISt17integral_constantIbLb1EES1C_EEDaS17_S18_EUlS17_E_NS1_11comp_targetILNS1_3genE5ELNS1_11target_archE942ELNS1_3gpuE9ELNS1_3repE0EEENS1_30default_config_static_selectorELNS0_4arch9wavefront6targetE1EEEvT1_
		.amdhsa_group_segment_fixed_size 0
		.amdhsa_private_segment_fixed_size 0
		.amdhsa_kernarg_size 136
		.amdhsa_user_sgpr_count 6
		.amdhsa_user_sgpr_private_segment_buffer 1
		.amdhsa_user_sgpr_dispatch_ptr 0
		.amdhsa_user_sgpr_queue_ptr 0
		.amdhsa_user_sgpr_kernarg_segment_ptr 1
		.amdhsa_user_sgpr_dispatch_id 0
		.amdhsa_user_sgpr_flat_scratch_init 0
		.amdhsa_user_sgpr_kernarg_preload_length 0
		.amdhsa_user_sgpr_kernarg_preload_offset 0
		.amdhsa_user_sgpr_private_segment_size 0
		.amdhsa_uses_dynamic_stack 0
		.amdhsa_system_sgpr_private_segment_wavefront_offset 0
		.amdhsa_system_sgpr_workgroup_id_x 1
		.amdhsa_system_sgpr_workgroup_id_y 0
		.amdhsa_system_sgpr_workgroup_id_z 0
		.amdhsa_system_sgpr_workgroup_info 0
		.amdhsa_system_vgpr_workitem_id 0
		.amdhsa_next_free_vgpr 1
		.amdhsa_next_free_sgpr 0
		.amdhsa_accum_offset 4
		.amdhsa_reserve_vcc 0
		.amdhsa_reserve_flat_scratch 0
		.amdhsa_float_round_mode_32 0
		.amdhsa_float_round_mode_16_64 0
		.amdhsa_float_denorm_mode_32 3
		.amdhsa_float_denorm_mode_16_64 3
		.amdhsa_dx10_clamp 1
		.amdhsa_ieee_mode 1
		.amdhsa_fp16_overflow 0
		.amdhsa_tg_split 0
		.amdhsa_exception_fp_ieee_invalid_op 0
		.amdhsa_exception_fp_denorm_src 0
		.amdhsa_exception_fp_ieee_div_zero 0
		.amdhsa_exception_fp_ieee_overflow 0
		.amdhsa_exception_fp_ieee_underflow 0
		.amdhsa_exception_fp_ieee_inexact 0
		.amdhsa_exception_int_div_zero 0
	.end_amdhsa_kernel
	.section	.text._ZN7rocprim17ROCPRIM_400000_NS6detail17trampoline_kernelINS0_14default_configENS1_25partition_config_selectorILNS1_17partition_subalgoE9EllbEEZZNS1_14partition_implILS5_9ELb0ES3_jPlS8_PNS0_10empty_typeENS0_5tupleIJS8_S9_EEENSB_IJS8_SA_EEENS0_18inequality_wrapperIZN2at6native12_GLOBAL__N_124unique_dim_cuda_templateIN3c108BFloat16EEESt5tupleIJNSF_6TensorESM_SM_EERKSM_lbbbEUlllE0_EEPmJS9_EEE10hipError_tPvRmT3_T4_T5_T6_T7_T9_mT8_P12ihipStream_tbDpT10_ENKUlT_T0_E_clISt17integral_constantIbLb1EES1C_EEDaS17_S18_EUlS17_E_NS1_11comp_targetILNS1_3genE5ELNS1_11target_archE942ELNS1_3gpuE9ELNS1_3repE0EEENS1_30default_config_static_selectorELNS0_4arch9wavefront6targetE1EEEvT1_,"axG",@progbits,_ZN7rocprim17ROCPRIM_400000_NS6detail17trampoline_kernelINS0_14default_configENS1_25partition_config_selectorILNS1_17partition_subalgoE9EllbEEZZNS1_14partition_implILS5_9ELb0ES3_jPlS8_PNS0_10empty_typeENS0_5tupleIJS8_S9_EEENSB_IJS8_SA_EEENS0_18inequality_wrapperIZN2at6native12_GLOBAL__N_124unique_dim_cuda_templateIN3c108BFloat16EEESt5tupleIJNSF_6TensorESM_SM_EERKSM_lbbbEUlllE0_EEPmJS9_EEE10hipError_tPvRmT3_T4_T5_T6_T7_T9_mT8_P12ihipStream_tbDpT10_ENKUlT_T0_E_clISt17integral_constantIbLb1EES1C_EEDaS17_S18_EUlS17_E_NS1_11comp_targetILNS1_3genE5ELNS1_11target_archE942ELNS1_3gpuE9ELNS1_3repE0EEENS1_30default_config_static_selectorELNS0_4arch9wavefront6targetE1EEEvT1_,comdat
.Lfunc_end1214:
	.size	_ZN7rocprim17ROCPRIM_400000_NS6detail17trampoline_kernelINS0_14default_configENS1_25partition_config_selectorILNS1_17partition_subalgoE9EllbEEZZNS1_14partition_implILS5_9ELb0ES3_jPlS8_PNS0_10empty_typeENS0_5tupleIJS8_S9_EEENSB_IJS8_SA_EEENS0_18inequality_wrapperIZN2at6native12_GLOBAL__N_124unique_dim_cuda_templateIN3c108BFloat16EEESt5tupleIJNSF_6TensorESM_SM_EERKSM_lbbbEUlllE0_EEPmJS9_EEE10hipError_tPvRmT3_T4_T5_T6_T7_T9_mT8_P12ihipStream_tbDpT10_ENKUlT_T0_E_clISt17integral_constantIbLb1EES1C_EEDaS17_S18_EUlS17_E_NS1_11comp_targetILNS1_3genE5ELNS1_11target_archE942ELNS1_3gpuE9ELNS1_3repE0EEENS1_30default_config_static_selectorELNS0_4arch9wavefront6targetE1EEEvT1_, .Lfunc_end1214-_ZN7rocprim17ROCPRIM_400000_NS6detail17trampoline_kernelINS0_14default_configENS1_25partition_config_selectorILNS1_17partition_subalgoE9EllbEEZZNS1_14partition_implILS5_9ELb0ES3_jPlS8_PNS0_10empty_typeENS0_5tupleIJS8_S9_EEENSB_IJS8_SA_EEENS0_18inequality_wrapperIZN2at6native12_GLOBAL__N_124unique_dim_cuda_templateIN3c108BFloat16EEESt5tupleIJNSF_6TensorESM_SM_EERKSM_lbbbEUlllE0_EEPmJS9_EEE10hipError_tPvRmT3_T4_T5_T6_T7_T9_mT8_P12ihipStream_tbDpT10_ENKUlT_T0_E_clISt17integral_constantIbLb1EES1C_EEDaS17_S18_EUlS17_E_NS1_11comp_targetILNS1_3genE5ELNS1_11target_archE942ELNS1_3gpuE9ELNS1_3repE0EEENS1_30default_config_static_selectorELNS0_4arch9wavefront6targetE1EEEvT1_
                                        ; -- End function
	.section	.AMDGPU.csdata,"",@progbits
; Kernel info:
; codeLenInByte = 0
; NumSgprs: 4
; NumVgprs: 0
; NumAgprs: 0
; TotalNumVgprs: 0
; ScratchSize: 0
; MemoryBound: 0
; FloatMode: 240
; IeeeMode: 1
; LDSByteSize: 0 bytes/workgroup (compile time only)
; SGPRBlocks: 0
; VGPRBlocks: 0
; NumSGPRsForWavesPerEU: 4
; NumVGPRsForWavesPerEU: 1
; AccumOffset: 4
; Occupancy: 8
; WaveLimiterHint : 0
; COMPUTE_PGM_RSRC2:SCRATCH_EN: 0
; COMPUTE_PGM_RSRC2:USER_SGPR: 6
; COMPUTE_PGM_RSRC2:TRAP_HANDLER: 0
; COMPUTE_PGM_RSRC2:TGID_X_EN: 1
; COMPUTE_PGM_RSRC2:TGID_Y_EN: 0
; COMPUTE_PGM_RSRC2:TGID_Z_EN: 0
; COMPUTE_PGM_RSRC2:TIDIG_COMP_CNT: 0
; COMPUTE_PGM_RSRC3_GFX90A:ACCUM_OFFSET: 0
; COMPUTE_PGM_RSRC3_GFX90A:TG_SPLIT: 0
	.section	.text._ZN7rocprim17ROCPRIM_400000_NS6detail17trampoline_kernelINS0_14default_configENS1_25partition_config_selectorILNS1_17partition_subalgoE9EllbEEZZNS1_14partition_implILS5_9ELb0ES3_jPlS8_PNS0_10empty_typeENS0_5tupleIJS8_S9_EEENSB_IJS8_SA_EEENS0_18inequality_wrapperIZN2at6native12_GLOBAL__N_124unique_dim_cuda_templateIN3c108BFloat16EEESt5tupleIJNSF_6TensorESM_SM_EERKSM_lbbbEUlllE0_EEPmJS9_EEE10hipError_tPvRmT3_T4_T5_T6_T7_T9_mT8_P12ihipStream_tbDpT10_ENKUlT_T0_E_clISt17integral_constantIbLb1EES1C_EEDaS17_S18_EUlS17_E_NS1_11comp_targetILNS1_3genE4ELNS1_11target_archE910ELNS1_3gpuE8ELNS1_3repE0EEENS1_30default_config_static_selectorELNS0_4arch9wavefront6targetE1EEEvT1_,"axG",@progbits,_ZN7rocprim17ROCPRIM_400000_NS6detail17trampoline_kernelINS0_14default_configENS1_25partition_config_selectorILNS1_17partition_subalgoE9EllbEEZZNS1_14partition_implILS5_9ELb0ES3_jPlS8_PNS0_10empty_typeENS0_5tupleIJS8_S9_EEENSB_IJS8_SA_EEENS0_18inequality_wrapperIZN2at6native12_GLOBAL__N_124unique_dim_cuda_templateIN3c108BFloat16EEESt5tupleIJNSF_6TensorESM_SM_EERKSM_lbbbEUlllE0_EEPmJS9_EEE10hipError_tPvRmT3_T4_T5_T6_T7_T9_mT8_P12ihipStream_tbDpT10_ENKUlT_T0_E_clISt17integral_constantIbLb1EES1C_EEDaS17_S18_EUlS17_E_NS1_11comp_targetILNS1_3genE4ELNS1_11target_archE910ELNS1_3gpuE8ELNS1_3repE0EEENS1_30default_config_static_selectorELNS0_4arch9wavefront6targetE1EEEvT1_,comdat
	.globl	_ZN7rocprim17ROCPRIM_400000_NS6detail17trampoline_kernelINS0_14default_configENS1_25partition_config_selectorILNS1_17partition_subalgoE9EllbEEZZNS1_14partition_implILS5_9ELb0ES3_jPlS8_PNS0_10empty_typeENS0_5tupleIJS8_S9_EEENSB_IJS8_SA_EEENS0_18inequality_wrapperIZN2at6native12_GLOBAL__N_124unique_dim_cuda_templateIN3c108BFloat16EEESt5tupleIJNSF_6TensorESM_SM_EERKSM_lbbbEUlllE0_EEPmJS9_EEE10hipError_tPvRmT3_T4_T5_T6_T7_T9_mT8_P12ihipStream_tbDpT10_ENKUlT_T0_E_clISt17integral_constantIbLb1EES1C_EEDaS17_S18_EUlS17_E_NS1_11comp_targetILNS1_3genE4ELNS1_11target_archE910ELNS1_3gpuE8ELNS1_3repE0EEENS1_30default_config_static_selectorELNS0_4arch9wavefront6targetE1EEEvT1_ ; -- Begin function _ZN7rocprim17ROCPRIM_400000_NS6detail17trampoline_kernelINS0_14default_configENS1_25partition_config_selectorILNS1_17partition_subalgoE9EllbEEZZNS1_14partition_implILS5_9ELb0ES3_jPlS8_PNS0_10empty_typeENS0_5tupleIJS8_S9_EEENSB_IJS8_SA_EEENS0_18inequality_wrapperIZN2at6native12_GLOBAL__N_124unique_dim_cuda_templateIN3c108BFloat16EEESt5tupleIJNSF_6TensorESM_SM_EERKSM_lbbbEUlllE0_EEPmJS9_EEE10hipError_tPvRmT3_T4_T5_T6_T7_T9_mT8_P12ihipStream_tbDpT10_ENKUlT_T0_E_clISt17integral_constantIbLb1EES1C_EEDaS17_S18_EUlS17_E_NS1_11comp_targetILNS1_3genE4ELNS1_11target_archE910ELNS1_3gpuE8ELNS1_3repE0EEENS1_30default_config_static_selectorELNS0_4arch9wavefront6targetE1EEEvT1_
	.p2align	8
	.type	_ZN7rocprim17ROCPRIM_400000_NS6detail17trampoline_kernelINS0_14default_configENS1_25partition_config_selectorILNS1_17partition_subalgoE9EllbEEZZNS1_14partition_implILS5_9ELb0ES3_jPlS8_PNS0_10empty_typeENS0_5tupleIJS8_S9_EEENSB_IJS8_SA_EEENS0_18inequality_wrapperIZN2at6native12_GLOBAL__N_124unique_dim_cuda_templateIN3c108BFloat16EEESt5tupleIJNSF_6TensorESM_SM_EERKSM_lbbbEUlllE0_EEPmJS9_EEE10hipError_tPvRmT3_T4_T5_T6_T7_T9_mT8_P12ihipStream_tbDpT10_ENKUlT_T0_E_clISt17integral_constantIbLb1EES1C_EEDaS17_S18_EUlS17_E_NS1_11comp_targetILNS1_3genE4ELNS1_11target_archE910ELNS1_3gpuE8ELNS1_3repE0EEENS1_30default_config_static_selectorELNS0_4arch9wavefront6targetE1EEEvT1_,@function
_ZN7rocprim17ROCPRIM_400000_NS6detail17trampoline_kernelINS0_14default_configENS1_25partition_config_selectorILNS1_17partition_subalgoE9EllbEEZZNS1_14partition_implILS5_9ELb0ES3_jPlS8_PNS0_10empty_typeENS0_5tupleIJS8_S9_EEENSB_IJS8_SA_EEENS0_18inequality_wrapperIZN2at6native12_GLOBAL__N_124unique_dim_cuda_templateIN3c108BFloat16EEESt5tupleIJNSF_6TensorESM_SM_EERKSM_lbbbEUlllE0_EEPmJS9_EEE10hipError_tPvRmT3_T4_T5_T6_T7_T9_mT8_P12ihipStream_tbDpT10_ENKUlT_T0_E_clISt17integral_constantIbLb1EES1C_EEDaS17_S18_EUlS17_E_NS1_11comp_targetILNS1_3genE4ELNS1_11target_archE910ELNS1_3gpuE8ELNS1_3repE0EEENS1_30default_config_static_selectorELNS0_4arch9wavefront6targetE1EEEvT1_: ; @_ZN7rocprim17ROCPRIM_400000_NS6detail17trampoline_kernelINS0_14default_configENS1_25partition_config_selectorILNS1_17partition_subalgoE9EllbEEZZNS1_14partition_implILS5_9ELb0ES3_jPlS8_PNS0_10empty_typeENS0_5tupleIJS8_S9_EEENSB_IJS8_SA_EEENS0_18inequality_wrapperIZN2at6native12_GLOBAL__N_124unique_dim_cuda_templateIN3c108BFloat16EEESt5tupleIJNSF_6TensorESM_SM_EERKSM_lbbbEUlllE0_EEPmJS9_EEE10hipError_tPvRmT3_T4_T5_T6_T7_T9_mT8_P12ihipStream_tbDpT10_ENKUlT_T0_E_clISt17integral_constantIbLb1EES1C_EEDaS17_S18_EUlS17_E_NS1_11comp_targetILNS1_3genE4ELNS1_11target_archE910ELNS1_3gpuE8ELNS1_3repE0EEENS1_30default_config_static_selectorELNS0_4arch9wavefront6targetE1EEEvT1_
; %bb.0:
	s_load_dwordx4 s[8:11], s[4:5], 0x8
	s_load_dwordx2 s[14:15], s[4:5], 0x18
	s_load_dwordx8 s[20:27], s[4:5], 0x40
	s_load_dwordx4 s[16:19], s[4:5], 0x60
	v_cmp_ne_u32_e64 s[2:3], 0, v0
	v_cmp_eq_u32_e64 s[0:1], 0, v0
	s_and_saveexec_b64 s[6:7], s[0:1]
	s_cbranch_execz .LBB1215_4
; %bb.1:
	s_mov_b64 s[28:29], exec
	v_mbcnt_lo_u32_b32 v1, s28, 0
	v_mbcnt_hi_u32_b32 v1, s29, v1
	v_cmp_eq_u32_e32 vcc, 0, v1
                                        ; implicit-def: $vgpr2
	s_and_saveexec_b64 s[12:13], vcc
	s_cbranch_execz .LBB1215_3
; %bb.2:
	s_load_dwordx2 s[30:31], s[4:5], 0x78
	s_bcnt1_i32_b64 s28, s[28:29]
	v_mov_b32_e32 v2, 0
	v_mov_b32_e32 v3, s28
	s_waitcnt lgkmcnt(0)
	global_atomic_add v2, v2, v3, s[30:31] glc
.LBB1215_3:
	s_or_b64 exec, exec, s[12:13]
	s_waitcnt vmcnt(0)
	v_readfirstlane_b32 s12, v2
	v_add_u32_e32 v1, s12, v1
	v_mov_b32_e32 v2, 0
	ds_write_b32 v2, v1
.LBB1215_4:
	s_or_b64 exec, exec, s[6:7]
	v_mov_b32_e32 v1, 0
	s_load_dwordx4 s[28:31], s[4:5], 0x28
	s_load_dword s6, s[4:5], 0x70
	s_waitcnt lgkmcnt(0)
	s_barrier
	ds_read_b32 v6, v1
	s_waitcnt lgkmcnt(0)
	s_barrier
	global_load_dwordx2 v[2:3], v1, s[22:23]
	s_lshl_b64 s[36:37], s[10:11], 3
	s_add_u32 s22, s8, s36
	s_addc_u32 s23, s9, s37
	s_add_i32 s12, s6, -1
	s_lshl_b32 s8, s6, 9
	s_lshl_b32 s6, s12, 9
	s_add_i32 s6, s10, s6
	v_readfirstlane_b32 s33, v6
	s_sub_i32 s48, s24, s6
	s_lshl_b32 s6, s33, 9
	s_add_u32 s8, s10, s8
	s_addc_u32 s9, s11, 0
	v_mov_b32_e32 v4, s24
	v_mov_b32_e32 v5, s25
	s_cmp_eq_u32 s33, s12
	v_cmp_ge_u64_e32 vcc, s[8:9], v[4:5]
	s_cselect_b64 s[24:25], -1, 0
	s_mov_b32 s7, 0
	s_and_b64 s[12:13], vcc, s[24:25]
	s_lshl_b64 s[8:9], s[6:7], 3
	s_xor_b64 s[34:35], s[12:13], -1
	s_add_u32 s6, s22, s8
	s_mov_b64 s[4:5], -1
	v_lshrrev_b32_e32 v18, 2, v0
	s_addc_u32 s7, s23, s9
	s_and_b64 vcc, exec, s[34:35]
	s_waitcnt vmcnt(0)
	v_readfirstlane_b32 s22, v2
	v_readfirstlane_b32 s23, v3
	s_cbranch_vccz .LBB1215_6
; %bb.5:
	v_lshlrev_b32_e32 v1, 3, v0
	global_load_dwordx2 v[2:3], v1, s[6:7]
	global_load_dwordx2 v[4:5], v1, s[6:7] offset:1024
	global_load_dwordx2 v[6:7], v1, s[6:7] offset:2048
	;; [unrolled: 1-line block ×3, first 2 shown]
	v_or_b32_e32 v11, 0x80, v0
	v_or_b32_e32 v12, 0x100, v0
	;; [unrolled: 1-line block ×3, first 2 shown]
	v_and_b32_e32 v10, 24, v18
	v_lshrrev_b32_e32 v11, 2, v11
	v_lshrrev_b32_e32 v12, 2, v12
	;; [unrolled: 1-line block ×3, first 2 shown]
	v_add_u32_e32 v10, v10, v1
	v_and_b32_e32 v11, 56, v11
	v_and_b32_e32 v12, 0x58, v12
	;; [unrolled: 1-line block ×3, first 2 shown]
	v_add_u32_e32 v11, v11, v1
	v_add_u32_e32 v12, v12, v1
	;; [unrolled: 1-line block ×3, first 2 shown]
	s_mov_b64 s[4:5], 0
	s_waitcnt vmcnt(3)
	ds_write_b64 v10, v[2:3]
	s_waitcnt vmcnt(2)
	ds_write_b64 v11, v[4:5] offset:1024
	s_waitcnt vmcnt(1)
	ds_write_b64 v12, v[6:7] offset:2048
	;; [unrolled: 2-line block ×3, first 2 shown]
	s_waitcnt lgkmcnt(0)
	s_barrier
.LBB1215_6:
	s_andn2_b64 vcc, exec, s[4:5]
	v_cmp_gt_u32_e64 s[4:5], s48, v0
	s_cbranch_vccnz .LBB1215_16
; %bb.7:
                                        ; implicit-def: $vgpr2_vgpr3_vgpr4_vgpr5_vgpr6_vgpr7_vgpr8_vgpr9
	s_and_saveexec_b64 s[38:39], s[4:5]
	s_cbranch_execz .LBB1215_9
; %bb.8:
	v_lshlrev_b32_e32 v1, 3, v0
	global_load_dwordx2 v[2:3], v1, s[6:7]
.LBB1215_9:
	s_or_b64 exec, exec, s[38:39]
	v_or_b32_e32 v1, 0x80, v0
	v_cmp_gt_u32_e32 vcc, s48, v1
	s_and_saveexec_b64 s[4:5], vcc
	s_cbranch_execz .LBB1215_11
; %bb.10:
	v_lshlrev_b32_e32 v4, 3, v0
	global_load_dwordx2 v[4:5], v4, s[6:7] offset:1024
.LBB1215_11:
	s_or_b64 exec, exec, s[4:5]
	v_or_b32_e32 v10, 0x100, v0
	v_cmp_gt_u32_e32 vcc, s48, v10
	s_and_saveexec_b64 s[4:5], vcc
	s_cbranch_execz .LBB1215_13
; %bb.12:
	v_lshlrev_b32_e32 v6, 3, v0
	global_load_dwordx2 v[6:7], v6, s[6:7] offset:2048
.LBB1215_13:
	;; [unrolled: 9-line block ×3, first 2 shown]
	s_or_b64 exec, exec, s[4:5]
	v_lshrrev_b32_e32 v1, 2, v1
	v_lshlrev_b32_e32 v13, 3, v0
	v_and_b32_e32 v1, 56, v1
	v_add_u32_e32 v1, v1, v13
	s_waitcnt vmcnt(0)
	ds_write_b64 v1, v[4:5] offset:1024
	v_lshrrev_b32_e32 v1, 2, v10
	v_and_b32_e32 v1, 0x78, v1
	v_add_u32_e32 v1, v1, v13
	ds_write_b64 v1, v[6:7] offset:2048
	v_lshrrev_b32_e32 v1, 2, v11
	v_and_b32_e32 v12, 24, v18
	v_and_b32_e32 v1, 0x78, v1
	v_add_u32_e32 v12, v12, v13
	v_add_u32_e32 v1, v1, v13
	ds_write_b64 v12, v[2:3]
	ds_write_b64 v1, v[8:9] offset:3072
	s_waitcnt lgkmcnt(0)
	s_barrier
.LBB1215_16:
	v_lshlrev_b32_e32 v1, 2, v0
	v_lshrrev_b32_e32 v2, 3, v0
	v_add_lshl_u32 v19, v2, v1, 3
	ds_read2_b64 v[14:17], v19 offset1:1
	ds_read2_b64 v[10:13], v19 offset0:2 offset1:3
	s_add_u32 s4, s14, s36
	s_addc_u32 s5, s15, s37
	s_add_u32 s4, s4, s8
	s_addc_u32 s5, s5, s9
	s_mov_b64 s[8:9], -1
	s_and_b64 vcc, exec, s[34:35]
	s_waitcnt lgkmcnt(0)
	s_barrier
	s_cbranch_vccz .LBB1215_18
; %bb.17:
	v_lshlrev_b32_e32 v20, 3, v0
	global_load_dwordx2 v[2:3], v20, s[4:5]
	global_load_dwordx2 v[4:5], v20, s[4:5] offset:1024
	global_load_dwordx2 v[6:7], v20, s[4:5] offset:2048
	;; [unrolled: 1-line block ×3, first 2 shown]
	v_or_b32_e32 v22, 0x80, v0
	v_or_b32_e32 v23, 0x100, v0
	;; [unrolled: 1-line block ×3, first 2 shown]
	v_and_b32_e32 v21, 24, v18
	v_lshrrev_b32_e32 v22, 2, v22
	v_lshrrev_b32_e32 v23, 2, v23
	;; [unrolled: 1-line block ×3, first 2 shown]
	v_add_u32_e32 v21, v21, v20
	v_and_b32_e32 v22, 56, v22
	v_and_b32_e32 v23, 0x58, v23
	v_and_b32_e32 v24, 0x78, v24
	v_add_u32_e32 v22, v22, v20
	v_add_u32_e32 v23, v23, v20
	;; [unrolled: 1-line block ×3, first 2 shown]
	s_mov_b64 s[8:9], 0
	s_waitcnt vmcnt(3)
	ds_write_b64 v21, v[2:3]
	s_waitcnt vmcnt(2)
	ds_write_b64 v22, v[4:5] offset:1024
	s_waitcnt vmcnt(1)
	ds_write_b64 v23, v[6:7] offset:2048
	;; [unrolled: 2-line block ×3, first 2 shown]
	s_waitcnt lgkmcnt(0)
	s_barrier
.LBB1215_18:
	s_andn2_b64 vcc, exec, s[8:9]
	s_cbranch_vccnz .LBB1215_28
; %bb.19:
	v_cmp_gt_u32_e32 vcc, s48, v0
                                        ; implicit-def: $vgpr2_vgpr3
	s_and_saveexec_b64 s[8:9], vcc
	s_cbranch_execz .LBB1215_21
; %bb.20:
	v_lshlrev_b32_e32 v2, 3, v0
	global_load_dwordx2 v[2:3], v2, s[4:5]
.LBB1215_21:
	s_or_b64 exec, exec, s[8:9]
	v_or_b32_e32 v20, 0x80, v0
	v_cmp_gt_u32_e32 vcc, s48, v20
                                        ; implicit-def: $vgpr4_vgpr5
	s_and_saveexec_b64 s[8:9], vcc
	s_cbranch_execz .LBB1215_23
; %bb.22:
	v_lshlrev_b32_e32 v4, 3, v0
	global_load_dwordx2 v[4:5], v4, s[4:5] offset:1024
.LBB1215_23:
	s_or_b64 exec, exec, s[8:9]
	v_or_b32_e32 v21, 0x100, v0
	v_cmp_gt_u32_e32 vcc, s48, v21
                                        ; implicit-def: $vgpr6_vgpr7
	s_and_saveexec_b64 s[8:9], vcc
	s_cbranch_execz .LBB1215_25
; %bb.24:
	v_lshlrev_b32_e32 v6, 3, v0
	global_load_dwordx2 v[6:7], v6, s[4:5] offset:2048
.LBB1215_25:
	s_or_b64 exec, exec, s[8:9]
	v_or_b32_e32 v22, 0x180, v0
	v_cmp_gt_u32_e32 vcc, s48, v22
                                        ; implicit-def: $vgpr8_vgpr9
	s_and_saveexec_b64 s[8:9], vcc
	s_cbranch_execz .LBB1215_27
; %bb.26:
	v_lshlrev_b32_e32 v8, 3, v0
	global_load_dwordx2 v[8:9], v8, s[4:5] offset:3072
.LBB1215_27:
	s_or_b64 exec, exec, s[8:9]
	v_and_b32_e32 v18, 24, v18
	v_lshlrev_b32_e32 v23, 3, v0
	v_add_u32_e32 v18, v18, v23
	s_waitcnt vmcnt(0)
	ds_write_b64 v18, v[2:3]
	v_lshrrev_b32_e32 v2, 2, v20
	v_and_b32_e32 v2, 56, v2
	v_add_u32_e32 v2, v2, v23
	ds_write_b64 v2, v[4:5] offset:1024
	v_lshrrev_b32_e32 v2, 2, v21
	v_and_b32_e32 v2, 0x78, v2
	v_add_u32_e32 v2, v2, v23
	ds_write_b64 v2, v[6:7] offset:2048
	;; [unrolled: 4-line block ×3, first 2 shown]
	s_waitcnt lgkmcnt(0)
	s_barrier
.LBB1215_28:
	ds_read2_b64 v[6:9], v19 offset1:1
	ds_read2_b64 v[2:5], v19 offset0:2 offset1:3
	s_cmp_lg_u32 s33, 0
	s_cselect_b64 s[36:37], -1, 0
	s_cmp_lg_u64 s[10:11], 0
	s_cselect_b64 s[4:5], -1, 0
	s_or_b64 s[4:5], s[4:5], s[36:37]
	s_mov_b64 s[14:15], 0
	s_and_b64 vcc, exec, s[4:5]
	v_cmp_gt_i64_e64 s[4:5], s[26:27], 0
	s_waitcnt lgkmcnt(0)
	s_barrier
	s_cbranch_vccz .LBB1215_37
; %bb.29:
	v_mov_b32_e32 v18, 0
	global_load_dwordx2 v[18:19], v18, s[6:7] offset:-8
	v_cndmask_b32_e64 v20, 0, 1, s[4:5]
	v_lshlrev_b32_e32 v29, 3, v0
	s_mov_b64 s[10:11], 0
	s_and_b64 vcc, exec, s[34:35]
	v_cmp_ne_u32_e64 s[4:5], 1, v20
	ds_write_b64 v29, v[12:13]
	s_cbranch_vccz .LBB1215_38
; %bb.30:
	v_mul_lo_u32 v22, v11, s26
	v_mul_lo_u32 v23, v10, s27
	v_mad_u64_u32 v[20:21], s[6:7], v10, s26, 0
	v_add3_u32 v21, v21, v23, v22
	s_and_b64 vcc, exec, s[4:5]
	v_lshlrev_b64 v[20:21], 1, v[20:21]
	s_cbranch_vccnz .LBB1215_41
; %bb.31:
	v_mul_lo_u32 v24, v13, s26
	v_mul_lo_u32 v25, v12, s27
	v_mad_u64_u32 v[22:23], s[6:7], v12, s26, 0
	v_add3_u32 v23, v23, v25, v24
	v_mov_b32_e32 v25, s17
	v_add_co_u32_e32 v24, vcc, s16, v20
	v_addc_co_u32_e64 v25, s[6:7], v25, v21, vcc
	v_lshlrev_b64 v[22:23], 1, v[22:23]
	v_mov_b32_e32 v27, s17
	v_add_co_u32_e64 v26, s[6:7], s16, v22
	v_addc_co_u32_e64 v27, s[8:9], v27, v23, s[6:7]
	global_load_ushort v22, v[26:27], off
	global_load_ushort v28, v[24:25], off
	s_mov_b64 s[10:11], -1
	s_waitcnt vmcnt(1)
	v_lshlrev_b32_e32 v22, 16, v22
	s_waitcnt vmcnt(0)
	v_lshlrev_b32_e32 v25, 16, v28
	v_cmp_eq_f32_e64 s[8:9], v25, v22
	s_and_saveexec_b64 s[14:15], s[8:9]
	s_cbranch_execz .LBB1215_40
; %bb.32:
	v_mov_b32_e32 v22, s17
	v_addc_co_u32_e64 v23, s[6:7], v23, v22, s[6:7]
	v_add_co_u32_e64 v22, s[6:7], 2, v26
	v_mov_b32_e32 v25, s17
	v_addc_co_u32_e64 v23, s[6:7], 0, v23, s[6:7]
	v_addc_co_u32_e32 v25, vcc, v21, v25, vcc
	v_add_co_u32_e32 v24, vcc, 2, v24
	s_add_u32 s6, s26, -1
	v_addc_co_u32_e32 v25, vcc, 0, v25, vcc
	s_addc_u32 s7, s27, -1
	s_mov_b64 s[8:9], 0
	s_mov_b64 s[38:39], 0
                                        ; implicit-def: $sgpr10_sgpr11
	s_branch .LBB1215_35
.LBB1215_33:                            ;   in Loop: Header=BB1215_35 Depth=1
	global_load_ushort v26, v[22:23], off
	global_load_ushort v27, v[24:25], off
	v_add_co_u32_e32 v22, vcc, 2, v22
	v_addc_co_u32_e32 v23, vcc, 0, v23, vcc
	v_add_co_u32_e32 v24, vcc, 2, v24
	v_addc_co_u32_e32 v25, vcc, 0, v25, vcc
	s_add_u32 s38, s38, 1
	s_addc_u32 s39, s39, 0
	s_andn2_b64 s[10:11], s[10:11], exec
	s_waitcnt vmcnt(1)
	v_lshlrev_b32_e32 v26, 16, v26
	s_waitcnt vmcnt(0)
	v_lshlrev_b32_e32 v27, 16, v27
	v_cmp_neq_f32_e32 vcc, v27, v26
	s_and_b64 s[40:41], vcc, exec
	s_or_b64 s[10:11], s[10:11], s[40:41]
.LBB1215_34:                            ;   in Loop: Header=BB1215_35 Depth=1
	s_and_b64 s[40:41], exec, s[10:11]
	s_or_b64 s[8:9], s[40:41], s[8:9]
	v_pk_mov_b32 v[26:27], s[38:39], s[38:39] op_sel:[0,1]
	s_andn2_b64 exec, exec, s[8:9]
	s_cbranch_execz .LBB1215_39
.LBB1215_35:                            ; =>This Inner Loop Header: Depth=1
	s_or_b64 s[10:11], s[10:11], exec
	s_cmp_eq_u64 s[6:7], s[38:39]
	s_cbranch_scc0 .LBB1215_33
; %bb.36:                               ;   in Loop: Header=BB1215_35 Depth=1
                                        ; implicit-def: $vgpr22_vgpr23
                                        ; implicit-def: $vgpr24_vgpr25
	s_mov_b64 s[38:39], s[26:27]
	s_branch .LBB1215_34
.LBB1215_37:
                                        ; implicit-def: $sgpr38_sgpr39
                                        ; implicit-def: $vgpr28
	s_branch .LBB1215_119
.LBB1215_38:
                                        ; implicit-def: $sgpr38_sgpr39
                                        ; implicit-def: $vgpr28
	s_cbranch_execnz .LBB1215_71
	s_branch .LBB1215_118
.LBB1215_39:
	s_or_b64 exec, exec, s[8:9]
	v_cmp_gt_i64_e32 vcc, s[26:27], v[26:27]
	s_orn2_b64 s[10:11], vcc, exec
.LBB1215_40:
	s_or_b64 exec, exec, s[14:15]
.LBB1215_41:
	v_mul_lo_u32 v24, v17, s26
	v_mul_lo_u32 v25, v16, s27
	v_mad_u64_u32 v[22:23], s[6:7], v16, s26, 0
	v_add3_u32 v23, v23, v25, v24
	s_mov_b64 s[14:15], 0
	s_and_b64 vcc, exec, s[4:5]
	v_lshlrev_b64 v[22:23], 1, v[22:23]
	s_mov_b64 s[38:39], 0
	s_cbranch_vccnz .LBB1215_50
; %bb.42:
	v_mov_b32_e32 v25, s17
	v_add_co_u32_e32 v24, vcc, s16, v22
	v_addc_co_u32_e64 v25, s[6:7], v25, v23, vcc
	v_mov_b32_e32 v27, s17
	v_add_co_u32_e64 v26, s[6:7], s16, v20
	v_addc_co_u32_e64 v27, s[8:9], v27, v21, s[6:7]
	global_load_ushort v20, v[26:27], off
	global_load_ushort v28, v[24:25], off
	s_mov_b64 s[38:39], -1
	s_waitcnt vmcnt(1)
	v_lshlrev_b32_e32 v20, 16, v20
	s_waitcnt vmcnt(0)
	v_lshlrev_b32_e32 v25, 16, v28
	v_cmp_eq_f32_e64 s[8:9], v25, v20
	s_and_saveexec_b64 s[40:41], s[8:9]
	s_cbranch_execz .LBB1215_49
; %bb.43:
	v_mov_b32_e32 v20, s17
	v_addc_co_u32_e64 v21, s[6:7], v21, v20, s[6:7]
	v_add_co_u32_e64 v20, s[6:7], 2, v26
	v_mov_b32_e32 v25, s17
	v_addc_co_u32_e64 v21, s[6:7], 0, v21, s[6:7]
	v_addc_co_u32_e32 v25, vcc, v23, v25, vcc
	v_add_co_u32_e32 v24, vcc, 2, v24
	s_add_u32 s6, s26, -1
	v_addc_co_u32_e32 v25, vcc, 0, v25, vcc
	s_addc_u32 s7, s27, -1
	s_mov_b64 s[8:9], 0
	s_mov_b64 s[42:43], 0
                                        ; implicit-def: $sgpr38_sgpr39
	s_branch .LBB1215_46
.LBB1215_44:                            ;   in Loop: Header=BB1215_46 Depth=1
	global_load_ushort v26, v[20:21], off
	global_load_ushort v27, v[24:25], off
	v_add_co_u32_e32 v20, vcc, 2, v20
	v_addc_co_u32_e32 v21, vcc, 0, v21, vcc
	v_add_co_u32_e32 v24, vcc, 2, v24
	v_addc_co_u32_e32 v25, vcc, 0, v25, vcc
	s_add_u32 s42, s42, 1
	s_addc_u32 s43, s43, 0
	s_andn2_b64 s[38:39], s[38:39], exec
	s_waitcnt vmcnt(1)
	v_lshlrev_b32_e32 v26, 16, v26
	s_waitcnt vmcnt(0)
	v_lshlrev_b32_e32 v27, 16, v27
	v_cmp_neq_f32_e32 vcc, v27, v26
	s_and_b64 s[44:45], vcc, exec
	s_or_b64 s[38:39], s[38:39], s[44:45]
.LBB1215_45:                            ;   in Loop: Header=BB1215_46 Depth=1
	s_and_b64 s[44:45], exec, s[38:39]
	s_or_b64 s[8:9], s[44:45], s[8:9]
	v_pk_mov_b32 v[26:27], s[42:43], s[42:43] op_sel:[0,1]
	s_andn2_b64 exec, exec, s[8:9]
	s_cbranch_execz .LBB1215_48
.LBB1215_46:                            ; =>This Inner Loop Header: Depth=1
	s_or_b64 s[38:39], s[38:39], exec
	s_cmp_eq_u64 s[6:7], s[42:43]
	s_cbranch_scc0 .LBB1215_44
; %bb.47:                               ;   in Loop: Header=BB1215_46 Depth=1
                                        ; implicit-def: $vgpr20_vgpr21
                                        ; implicit-def: $vgpr24_vgpr25
	s_mov_b64 s[42:43], s[26:27]
	s_branch .LBB1215_45
.LBB1215_48:
	s_or_b64 exec, exec, s[8:9]
	v_cmp_gt_i64_e32 vcc, s[26:27], v[26:27]
	s_orn2_b64 s[38:39], vcc, exec
.LBB1215_49:
	s_or_b64 exec, exec, s[40:41]
.LBB1215_50:
	v_mul_lo_u32 v24, v15, s26
	v_mul_lo_u32 v25, v14, s27
	v_mad_u64_u32 v[20:21], s[6:7], v14, s26, 0
	v_add3_u32 v21, v21, v25, v24
	s_and_b64 vcc, exec, s[4:5]
	v_lshlrev_b64 v[20:21], 1, v[20:21]
	s_cbranch_vccnz .LBB1215_59
; %bb.51:
	v_mov_b32_e32 v25, s17
	v_add_co_u32_e32 v24, vcc, s16, v20
	v_addc_co_u32_e64 v25, s[6:7], v25, v21, vcc
	v_mov_b32_e32 v27, s17
	v_add_co_u32_e64 v26, s[6:7], s16, v22
	v_addc_co_u32_e64 v27, s[8:9], v27, v23, s[6:7]
	global_load_ushort v22, v[26:27], off
	global_load_ushort v28, v[24:25], off
	s_mov_b64 s[14:15], -1
	s_waitcnt vmcnt(1)
	v_lshlrev_b32_e32 v22, 16, v22
	s_waitcnt vmcnt(0)
	v_lshlrev_b32_e32 v25, 16, v28
	v_cmp_eq_f32_e64 s[8:9], v25, v22
	s_and_saveexec_b64 s[40:41], s[8:9]
	s_cbranch_execz .LBB1215_58
; %bb.52:
	v_mov_b32_e32 v22, s17
	v_addc_co_u32_e64 v23, s[6:7], v23, v22, s[6:7]
	v_add_co_u32_e64 v22, s[6:7], 2, v26
	v_mov_b32_e32 v25, s17
	v_addc_co_u32_e64 v23, s[6:7], 0, v23, s[6:7]
	v_addc_co_u32_e32 v25, vcc, v21, v25, vcc
	v_add_co_u32_e32 v24, vcc, 2, v24
	s_add_u32 s6, s26, -1
	v_addc_co_u32_e32 v25, vcc, 0, v25, vcc
	s_addc_u32 s7, s27, -1
	s_mov_b64 s[8:9], 0
	s_mov_b64 s[42:43], 0
                                        ; implicit-def: $sgpr14_sgpr15
	s_branch .LBB1215_55
.LBB1215_53:                            ;   in Loop: Header=BB1215_55 Depth=1
	global_load_ushort v26, v[22:23], off
	global_load_ushort v27, v[24:25], off
	v_add_co_u32_e32 v22, vcc, 2, v22
	v_addc_co_u32_e32 v23, vcc, 0, v23, vcc
	v_add_co_u32_e32 v24, vcc, 2, v24
	v_addc_co_u32_e32 v25, vcc, 0, v25, vcc
	s_add_u32 s42, s42, 1
	s_addc_u32 s43, s43, 0
	s_andn2_b64 s[14:15], s[14:15], exec
	s_waitcnt vmcnt(1)
	v_lshlrev_b32_e32 v26, 16, v26
	s_waitcnt vmcnt(0)
	v_lshlrev_b32_e32 v27, 16, v27
	v_cmp_neq_f32_e32 vcc, v27, v26
	s_and_b64 s[44:45], vcc, exec
	s_or_b64 s[14:15], s[14:15], s[44:45]
.LBB1215_54:                            ;   in Loop: Header=BB1215_55 Depth=1
	s_and_b64 s[44:45], exec, s[14:15]
	s_or_b64 s[8:9], s[44:45], s[8:9]
	v_pk_mov_b32 v[26:27], s[42:43], s[42:43] op_sel:[0,1]
	s_andn2_b64 exec, exec, s[8:9]
	s_cbranch_execz .LBB1215_57
.LBB1215_55:                            ; =>This Inner Loop Header: Depth=1
	s_or_b64 s[14:15], s[14:15], exec
	s_cmp_eq_u64 s[6:7], s[42:43]
	s_cbranch_scc0 .LBB1215_53
; %bb.56:                               ;   in Loop: Header=BB1215_55 Depth=1
                                        ; implicit-def: $vgpr22_vgpr23
                                        ; implicit-def: $vgpr24_vgpr25
	s_mov_b64 s[42:43], s[26:27]
	s_branch .LBB1215_54
.LBB1215_57:
	s_or_b64 exec, exec, s[8:9]
	v_cmp_gt_i64_e32 vcc, s[26:27], v[26:27]
	s_orn2_b64 s[14:15], vcc, exec
.LBB1215_58:
	s_or_b64 exec, exec, s[40:41]
.LBB1215_59:
	s_waitcnt vmcnt(0)
	v_pk_mov_b32 v[22:23], v[18:19], v[18:19] op_sel:[0,1]
	s_waitcnt lgkmcnt(0)
	s_barrier
	s_and_saveexec_b64 s[6:7], s[2:3]
	s_cbranch_execz .LBB1215_61
; %bb.60:
	v_add_u32_e32 v22, -8, v29
	ds_read_b64 v[22:23], v22
.LBB1215_61:
	s_or_b64 exec, exec, s[6:7]
	v_cndmask_b32_e64 v25, 0, 1, s[10:11]
	v_cndmask_b32_e64 v24, 0, 1, s[38:39]
	;; [unrolled: 1-line block ×3, first 2 shown]
	v_lshlrev_b16_e32 v25, 8, v25
	v_lshlrev_b16_e32 v28, 8, v26
	v_or_b32_sdwa v30, v24, v25 dst_sel:WORD_1 dst_unused:UNUSED_PAD src0_sel:DWORD src1_sel:DWORD
	s_mov_b64 s[10:11], 0
	s_and_b64 vcc, exec, s[4:5]
	s_mov_b64 s[38:39], 0
	s_cbranch_vccnz .LBB1215_70
; %bb.62:
	s_waitcnt lgkmcnt(0)
	v_mul_lo_u32 v24, v23, s26
	v_mul_lo_u32 v25, v22, s27
	v_mad_u64_u32 v[22:23], s[6:7], v22, s26, 0
	v_add3_u32 v23, v23, v25, v24
	v_lshlrev_b64 v[22:23], 1, v[22:23]
	v_mov_b32_e32 v25, s17
	v_add_co_u32_e32 v24, vcc, s16, v22
	v_addc_co_u32_e64 v25, s[6:7], v25, v23, vcc
	v_mov_b32_e32 v22, s17
	v_add_co_u32_e64 v26, s[6:7], s16, v20
	v_addc_co_u32_e64 v27, s[8:9], v22, v21, s[6:7]
	global_load_ushort v20, v[24:25], off
	global_load_ushort v22, v[26:27], off
	s_mov_b64 s[38:39], -1
	s_waitcnt vmcnt(1)
	v_lshlrev_b32_e32 v20, 16, v20
	s_waitcnt vmcnt(0)
	v_lshlrev_b32_e32 v22, 16, v22
	v_cmp_eq_f32_e64 s[8:9], v20, v22
	s_and_saveexec_b64 s[14:15], s[8:9]
	s_cbranch_execz .LBB1215_69
; %bb.63:
	v_mov_b32_e32 v20, s17
	v_addc_co_u32_e64 v21, s[6:7], v21, v20, s[6:7]
	v_add_co_u32_e64 v20, s[6:7], 2, v26
	v_mov_b32_e32 v22, s17
	v_addc_co_u32_e64 v21, s[6:7], 0, v21, s[6:7]
	v_addc_co_u32_e32 v23, vcc, v23, v22, vcc
	v_add_co_u32_e32 v22, vcc, 2, v24
	s_add_u32 s6, s26, -1
	v_addc_co_u32_e32 v23, vcc, 0, v23, vcc
	s_addc_u32 s7, s27, -1
	s_mov_b64 s[8:9], 0
	s_mov_b64 s[40:41], 0
                                        ; implicit-def: $sgpr38_sgpr39
	s_branch .LBB1215_66
.LBB1215_64:                            ;   in Loop: Header=BB1215_66 Depth=1
	global_load_ushort v24, v[20:21], off
	global_load_ushort v25, v[22:23], off
	v_add_co_u32_e32 v20, vcc, 2, v20
	v_addc_co_u32_e32 v21, vcc, 0, v21, vcc
	v_add_co_u32_e32 v22, vcc, 2, v22
	v_addc_co_u32_e32 v23, vcc, 0, v23, vcc
	s_add_u32 s40, s40, 1
	s_addc_u32 s41, s41, 0
	s_andn2_b64 s[38:39], s[38:39], exec
	s_waitcnt vmcnt(1)
	v_lshlrev_b32_e32 v24, 16, v24
	s_waitcnt vmcnt(0)
	v_lshlrev_b32_e32 v25, 16, v25
	v_cmp_neq_f32_e32 vcc, v25, v24
	s_and_b64 s[42:43], vcc, exec
	s_or_b64 s[38:39], s[38:39], s[42:43]
.LBB1215_65:                            ;   in Loop: Header=BB1215_66 Depth=1
	s_and_b64 s[42:43], exec, s[38:39]
	s_or_b64 s[8:9], s[42:43], s[8:9]
	v_pk_mov_b32 v[24:25], s[40:41], s[40:41] op_sel:[0,1]
	s_andn2_b64 exec, exec, s[8:9]
	s_cbranch_execz .LBB1215_68
.LBB1215_66:                            ; =>This Inner Loop Header: Depth=1
	s_or_b64 s[38:39], s[38:39], exec
	s_cmp_eq_u64 s[6:7], s[40:41]
	s_cbranch_scc0 .LBB1215_64
; %bb.67:                               ;   in Loop: Header=BB1215_66 Depth=1
                                        ; implicit-def: $vgpr20_vgpr21
                                        ; implicit-def: $vgpr22_vgpr23
	s_mov_b64 s[40:41], s[26:27]
	s_branch .LBB1215_65
.LBB1215_68:
	s_or_b64 exec, exec, s[8:9]
	v_cmp_gt_i64_e32 vcc, s[26:27], v[24:25]
	s_orn2_b64 s[38:39], vcc, exec
.LBB1215_69:
	s_or_b64 exec, exec, s[14:15]
.LBB1215_70:
	v_or_b32_e32 v28, v28, v30
	s_and_b64 vcc, exec, s[10:11]
	s_cbranch_vccz .LBB1215_118
.LBB1215_71:
	v_or_b32_e32 v20, 3, v1
	v_cmp_gt_u32_e32 vcc, s48, v20
	s_mov_b64 s[14:15], 0
	s_mov_b64 s[10:11], 0
	s_and_saveexec_b64 s[38:39], vcc
	s_cbranch_execz .LBB1215_82
; %bb.72:
	s_and_b64 vcc, exec, s[4:5]
	s_mov_b64 s[40:41], 0
	s_cbranch_vccnz .LBB1215_81
; %bb.73:
	s_waitcnt lgkmcnt(0)
	v_mul_lo_u32 v22, v11, s26
	v_mul_lo_u32 v23, v10, s27
	v_mad_u64_u32 v[20:21], s[6:7], v10, s26, 0
	v_add3_u32 v21, v21, v23, v22
	v_mul_lo_u32 v22, v13, s26
	v_mul_lo_u32 v23, v12, s27
	v_mad_u64_u32 v[26:27], s[6:7], v12, s26, 0
	v_add3_u32 v27, v27, v23, v22
	v_lshlrev_b64 v[22:23], 1, v[20:21]
	v_mov_b32_e32 v20, s17
	v_add_co_u32_e32 v24, vcc, s16, v22
	v_addc_co_u32_e64 v25, s[6:7], v20, v23, vcc
	v_lshlrev_b64 v[20:21], 1, v[26:27]
	v_mov_b32_e32 v22, s17
	v_add_co_u32_e64 v26, s[6:7], s16, v20
	v_addc_co_u32_e64 v27, s[8:9], v22, v21, s[6:7]
	global_load_ushort v20, v[26:27], off
	global_load_ushort v22, v[24:25], off
	s_mov_b64 s[40:41], -1
	s_waitcnt vmcnt(1)
	v_lshlrev_b32_e32 v20, 16, v20
	s_waitcnt vmcnt(0)
	v_lshlrev_b32_e32 v22, 16, v22
	v_cmp_eq_f32_e64 s[8:9], v22, v20
	s_and_saveexec_b64 s[10:11], s[8:9]
	s_cbranch_execz .LBB1215_80
; %bb.74:
	v_mov_b32_e32 v20, s17
	v_addc_co_u32_e64 v21, s[6:7], v21, v20, s[6:7]
	v_add_co_u32_e64 v20, s[6:7], 2, v26
	v_mov_b32_e32 v22, s17
	v_addc_co_u32_e64 v21, s[6:7], 0, v21, s[6:7]
	v_addc_co_u32_e32 v23, vcc, v23, v22, vcc
	v_add_co_u32_e32 v22, vcc, 2, v24
	s_add_u32 s6, s26, -1
	v_addc_co_u32_e32 v23, vcc, 0, v23, vcc
	s_addc_u32 s7, s27, -1
	s_mov_b64 s[8:9], 0
	s_mov_b64 s[42:43], 0
                                        ; implicit-def: $sgpr40_sgpr41
	s_branch .LBB1215_77
.LBB1215_75:                            ;   in Loop: Header=BB1215_77 Depth=1
	global_load_ushort v24, v[20:21], off
	global_load_ushort v25, v[22:23], off
	v_add_co_u32_e32 v20, vcc, 2, v20
	v_addc_co_u32_e32 v21, vcc, 0, v21, vcc
	v_add_co_u32_e32 v22, vcc, 2, v22
	v_addc_co_u32_e32 v23, vcc, 0, v23, vcc
	s_add_u32 s42, s42, 1
	s_addc_u32 s43, s43, 0
	s_andn2_b64 s[40:41], s[40:41], exec
	s_waitcnt vmcnt(1)
	v_lshlrev_b32_e32 v24, 16, v24
	s_waitcnt vmcnt(0)
	v_lshlrev_b32_e32 v25, 16, v25
	v_cmp_neq_f32_e32 vcc, v25, v24
	s_and_b64 s[44:45], vcc, exec
	s_or_b64 s[40:41], s[40:41], s[44:45]
.LBB1215_76:                            ;   in Loop: Header=BB1215_77 Depth=1
	s_and_b64 s[44:45], exec, s[40:41]
	s_or_b64 s[8:9], s[44:45], s[8:9]
	v_pk_mov_b32 v[24:25], s[42:43], s[42:43] op_sel:[0,1]
	s_andn2_b64 exec, exec, s[8:9]
	s_cbranch_execz .LBB1215_79
.LBB1215_77:                            ; =>This Inner Loop Header: Depth=1
	s_or_b64 s[40:41], s[40:41], exec
	s_cmp_eq_u64 s[6:7], s[42:43]
	s_cbranch_scc0 .LBB1215_75
; %bb.78:                               ;   in Loop: Header=BB1215_77 Depth=1
                                        ; implicit-def: $vgpr20_vgpr21
                                        ; implicit-def: $vgpr22_vgpr23
	s_mov_b64 s[42:43], s[26:27]
	s_branch .LBB1215_76
.LBB1215_79:
	s_or_b64 exec, exec, s[8:9]
	v_cmp_gt_i64_e32 vcc, s[26:27], v[24:25]
	s_orn2_b64 s[40:41], vcc, exec
.LBB1215_80:
	s_or_b64 exec, exec, s[10:11]
.LBB1215_81:
	s_and_b64 s[10:11], s[40:41], exec
.LBB1215_82:
	s_or_b64 exec, exec, s[38:39]
	v_or_b32_e32 v20, 2, v1
	v_cmp_gt_u32_e32 vcc, s48, v20
	s_and_saveexec_b64 s[38:39], vcc
	s_cbranch_execz .LBB1215_93
; %bb.83:
	s_and_b64 vcc, exec, s[4:5]
	s_mov_b64 s[40:41], 0
	s_cbranch_vccnz .LBB1215_92
; %bb.84:
	s_waitcnt lgkmcnt(0)
	v_mul_lo_u32 v22, v17, s26
	v_mul_lo_u32 v23, v16, s27
	v_mad_u64_u32 v[20:21], s[6:7], v16, s26, 0
	v_add3_u32 v21, v21, v23, v22
	v_mul_lo_u32 v22, v11, s26
	v_mul_lo_u32 v23, v10, s27
	v_mad_u64_u32 v[26:27], s[6:7], v10, s26, 0
	v_add3_u32 v27, v27, v23, v22
	v_lshlrev_b64 v[22:23], 1, v[20:21]
	v_mov_b32_e32 v20, s17
	v_add_co_u32_e32 v24, vcc, s16, v22
	v_addc_co_u32_e64 v25, s[6:7], v20, v23, vcc
	v_lshlrev_b64 v[20:21], 1, v[26:27]
	v_mov_b32_e32 v22, s17
	v_add_co_u32_e64 v26, s[6:7], s16, v20
	v_addc_co_u32_e64 v27, s[8:9], v22, v21, s[6:7]
	global_load_ushort v20, v[26:27], off
	global_load_ushort v22, v[24:25], off
	s_mov_b64 s[40:41], -1
	s_waitcnt vmcnt(1)
	v_lshlrev_b32_e32 v20, 16, v20
	s_waitcnt vmcnt(0)
	v_lshlrev_b32_e32 v22, 16, v22
	v_cmp_eq_f32_e64 s[8:9], v22, v20
	s_and_saveexec_b64 s[14:15], s[8:9]
	s_cbranch_execz .LBB1215_91
; %bb.85:
	v_mov_b32_e32 v20, s17
	v_addc_co_u32_e64 v21, s[6:7], v21, v20, s[6:7]
	v_add_co_u32_e64 v20, s[6:7], 2, v26
	v_mov_b32_e32 v22, s17
	v_addc_co_u32_e64 v21, s[6:7], 0, v21, s[6:7]
	v_addc_co_u32_e32 v23, vcc, v23, v22, vcc
	v_add_co_u32_e32 v22, vcc, 2, v24
	s_add_u32 s6, s26, -1
	v_addc_co_u32_e32 v23, vcc, 0, v23, vcc
	s_addc_u32 s7, s27, -1
	s_mov_b64 s[8:9], 0
	s_mov_b64 s[42:43], 0
                                        ; implicit-def: $sgpr40_sgpr41
	s_branch .LBB1215_88
.LBB1215_86:                            ;   in Loop: Header=BB1215_88 Depth=1
	global_load_ushort v24, v[20:21], off
	global_load_ushort v25, v[22:23], off
	v_add_co_u32_e32 v20, vcc, 2, v20
	v_addc_co_u32_e32 v21, vcc, 0, v21, vcc
	v_add_co_u32_e32 v22, vcc, 2, v22
	v_addc_co_u32_e32 v23, vcc, 0, v23, vcc
	s_add_u32 s42, s42, 1
	s_addc_u32 s43, s43, 0
	s_andn2_b64 s[40:41], s[40:41], exec
	s_waitcnt vmcnt(1)
	v_lshlrev_b32_e32 v24, 16, v24
	s_waitcnt vmcnt(0)
	v_lshlrev_b32_e32 v25, 16, v25
	v_cmp_neq_f32_e32 vcc, v25, v24
	s_and_b64 s[44:45], vcc, exec
	s_or_b64 s[40:41], s[40:41], s[44:45]
.LBB1215_87:                            ;   in Loop: Header=BB1215_88 Depth=1
	s_and_b64 s[44:45], exec, s[40:41]
	s_or_b64 s[8:9], s[44:45], s[8:9]
	v_pk_mov_b32 v[24:25], s[42:43], s[42:43] op_sel:[0,1]
	s_andn2_b64 exec, exec, s[8:9]
	s_cbranch_execz .LBB1215_90
.LBB1215_88:                            ; =>This Inner Loop Header: Depth=1
	s_or_b64 s[40:41], s[40:41], exec
	s_cmp_eq_u64 s[6:7], s[42:43]
	s_cbranch_scc0 .LBB1215_86
; %bb.89:                               ;   in Loop: Header=BB1215_88 Depth=1
                                        ; implicit-def: $vgpr20_vgpr21
                                        ; implicit-def: $vgpr22_vgpr23
	s_mov_b64 s[42:43], s[26:27]
	s_branch .LBB1215_87
.LBB1215_90:
	s_or_b64 exec, exec, s[8:9]
	v_cmp_gt_i64_e32 vcc, s[26:27], v[24:25]
	s_orn2_b64 s[40:41], vcc, exec
.LBB1215_91:
	s_or_b64 exec, exec, s[14:15]
.LBB1215_92:
	s_and_b64 s[14:15], s[40:41], exec
.LBB1215_93:
	s_or_b64 exec, exec, s[38:39]
	v_or_b32_e32 v20, 1, v1
	v_cmp_gt_u32_e32 vcc, s48, v20
	s_mov_b64 s[6:7], 0
	s_and_saveexec_b64 s[38:39], vcc
	s_cbranch_execz .LBB1215_104
; %bb.94:
	s_and_b64 vcc, exec, s[4:5]
	s_mov_b64 s[42:43], 0
	s_cbranch_vccnz .LBB1215_103
; %bb.95:
	s_waitcnt lgkmcnt(0)
	v_mul_lo_u32 v22, v15, s26
	v_mul_lo_u32 v23, v14, s27
	v_mad_u64_u32 v[20:21], s[6:7], v14, s26, 0
	v_add3_u32 v21, v21, v23, v22
	v_mul_lo_u32 v22, v17, s26
	v_mul_lo_u32 v23, v16, s27
	v_mad_u64_u32 v[26:27], s[6:7], v16, s26, 0
	v_add3_u32 v27, v27, v23, v22
	v_lshlrev_b64 v[22:23], 1, v[20:21]
	v_mov_b32_e32 v20, s17
	v_add_co_u32_e32 v24, vcc, s16, v22
	v_addc_co_u32_e64 v25, s[6:7], v20, v23, vcc
	v_lshlrev_b64 v[20:21], 1, v[26:27]
	v_mov_b32_e32 v22, s17
	v_add_co_u32_e64 v26, s[6:7], s16, v20
	v_addc_co_u32_e64 v27, s[8:9], v22, v21, s[6:7]
	global_load_ushort v20, v[26:27], off
	global_load_ushort v22, v[24:25], off
	s_mov_b64 s[42:43], -1
	s_waitcnt vmcnt(1)
	v_lshlrev_b32_e32 v20, 16, v20
	s_waitcnt vmcnt(0)
	v_lshlrev_b32_e32 v22, 16, v22
	v_cmp_eq_f32_e64 s[8:9], v22, v20
	s_and_saveexec_b64 s[40:41], s[8:9]
	s_cbranch_execz .LBB1215_102
; %bb.96:
	v_mov_b32_e32 v20, s17
	v_addc_co_u32_e64 v21, s[6:7], v21, v20, s[6:7]
	v_add_co_u32_e64 v20, s[6:7], 2, v26
	v_mov_b32_e32 v22, s17
	v_addc_co_u32_e64 v21, s[6:7], 0, v21, s[6:7]
	v_addc_co_u32_e32 v23, vcc, v23, v22, vcc
	v_add_co_u32_e32 v22, vcc, 2, v24
	s_add_u32 s6, s26, -1
	v_addc_co_u32_e32 v23, vcc, 0, v23, vcc
	s_addc_u32 s7, s27, -1
	s_mov_b64 s[8:9], 0
	s_mov_b64 s[44:45], 0
                                        ; implicit-def: $sgpr42_sgpr43
	s_branch .LBB1215_99
.LBB1215_97:                            ;   in Loop: Header=BB1215_99 Depth=1
	global_load_ushort v24, v[20:21], off
	global_load_ushort v25, v[22:23], off
	v_add_co_u32_e32 v20, vcc, 2, v20
	v_addc_co_u32_e32 v21, vcc, 0, v21, vcc
	v_add_co_u32_e32 v22, vcc, 2, v22
	v_addc_co_u32_e32 v23, vcc, 0, v23, vcc
	s_add_u32 s44, s44, 1
	s_addc_u32 s45, s45, 0
	s_andn2_b64 s[42:43], s[42:43], exec
	s_waitcnt vmcnt(1)
	v_lshlrev_b32_e32 v24, 16, v24
	s_waitcnt vmcnt(0)
	v_lshlrev_b32_e32 v25, 16, v25
	v_cmp_neq_f32_e32 vcc, v25, v24
	s_and_b64 s[46:47], vcc, exec
	s_or_b64 s[42:43], s[42:43], s[46:47]
.LBB1215_98:                            ;   in Loop: Header=BB1215_99 Depth=1
	s_and_b64 s[46:47], exec, s[42:43]
	s_or_b64 s[8:9], s[46:47], s[8:9]
	v_pk_mov_b32 v[24:25], s[44:45], s[44:45] op_sel:[0,1]
	s_andn2_b64 exec, exec, s[8:9]
	s_cbranch_execz .LBB1215_101
.LBB1215_99:                            ; =>This Inner Loop Header: Depth=1
	s_or_b64 s[42:43], s[42:43], exec
	s_cmp_eq_u64 s[6:7], s[44:45]
	s_cbranch_scc0 .LBB1215_97
; %bb.100:                              ;   in Loop: Header=BB1215_99 Depth=1
                                        ; implicit-def: $vgpr20_vgpr21
                                        ; implicit-def: $vgpr22_vgpr23
	s_mov_b64 s[44:45], s[26:27]
	s_branch .LBB1215_98
.LBB1215_101:
	s_or_b64 exec, exec, s[8:9]
	v_cmp_gt_i64_e32 vcc, s[26:27], v[24:25]
	s_orn2_b64 s[42:43], vcc, exec
.LBB1215_102:
	s_or_b64 exec, exec, s[40:41]
.LBB1215_103:
	s_and_b64 s[6:7], s[42:43], exec
.LBB1215_104:
	s_or_b64 exec, exec, s[38:39]
	s_waitcnt lgkmcnt(0)
	s_barrier
	s_and_saveexec_b64 s[8:9], s[2:3]
	s_cbranch_execz .LBB1215_106
; %bb.105:
	s_waitcnt vmcnt(0)
	v_add_u32_e32 v18, -8, v29
	ds_read_b64 v[18:19], v18
.LBB1215_106:
	s_or_b64 exec, exec, s[8:9]
	v_cndmask_b32_e64 v21, 0, 1, s[10:11]
	v_cndmask_b32_e64 v20, 0, 1, s[14:15]
	;; [unrolled: 1-line block ×3, first 2 shown]
	v_lshlrev_b16_e32 v21, 8, v21
	v_lshlrev_b16_e32 v26, 8, v22
	v_or_b32_sdwa v27, v20, v21 dst_sel:WORD_1 dst_unused:UNUSED_PAD src0_sel:DWORD src1_sel:DWORD
	v_cmp_gt_u32_e32 vcc, s48, v1
	s_mov_b64 s[38:39], 0
	s_and_saveexec_b64 s[8:9], vcc
	s_cbranch_execz .LBB1215_117
; %bb.107:
	s_and_b64 vcc, exec, s[4:5]
	s_mov_b64 s[14:15], 0
	s_cbranch_vccnz .LBB1215_116
; %bb.108:
	s_waitcnt vmcnt(0) lgkmcnt(0)
	v_mul_lo_u32 v20, v19, s26
	v_mul_lo_u32 v21, v18, s27
	v_mad_u64_u32 v[18:19], s[4:5], v18, s26, 0
	v_add3_u32 v19, v19, v21, v20
	v_mul_lo_u32 v20, v15, s26
	v_mul_lo_u32 v21, v14, s27
	v_mad_u64_u32 v[24:25], s[4:5], v14, s26, 0
	v_add3_u32 v25, v25, v21, v20
	v_lshlrev_b64 v[20:21], 1, v[18:19]
	v_mov_b32_e32 v18, s17
	v_add_co_u32_e32 v22, vcc, s16, v20
	v_addc_co_u32_e64 v23, s[4:5], v18, v21, vcc
	v_lshlrev_b64 v[18:19], 1, v[24:25]
	v_mov_b32_e32 v20, s17
	v_add_co_u32_e64 v24, s[4:5], s16, v18
	v_addc_co_u32_e64 v25, s[6:7], v20, v19, s[4:5]
	global_load_ushort v18, v[24:25], off
	global_load_ushort v20, v[22:23], off
	s_mov_b64 s[14:15], -1
	s_waitcnt vmcnt(1)
	v_lshlrev_b32_e32 v18, 16, v18
	s_waitcnt vmcnt(0)
	v_lshlrev_b32_e32 v20, 16, v20
	v_cmp_eq_f32_e64 s[6:7], v20, v18
	s_and_saveexec_b64 s[10:11], s[6:7]
	s_cbranch_execz .LBB1215_115
; %bb.109:
	v_mov_b32_e32 v18, s17
	v_addc_co_u32_e64 v19, s[4:5], v19, v18, s[4:5]
	v_add_co_u32_e64 v18, s[4:5], 2, v24
	v_mov_b32_e32 v20, s17
	v_addc_co_u32_e64 v19, s[4:5], 0, v19, s[4:5]
	v_addc_co_u32_e32 v21, vcc, v21, v20, vcc
	v_add_co_u32_e32 v20, vcc, 2, v22
	s_add_u32 s4, s26, -1
	v_addc_co_u32_e32 v21, vcc, 0, v21, vcc
	s_addc_u32 s5, s27, -1
	s_mov_b64 s[6:7], 0
                                        ; implicit-def: $sgpr14_sgpr15
	s_branch .LBB1215_112
.LBB1215_110:                           ;   in Loop: Header=BB1215_112 Depth=1
	global_load_ushort v22, v[18:19], off
	global_load_ushort v23, v[20:21], off
	v_add_co_u32_e32 v18, vcc, 2, v18
	v_addc_co_u32_e32 v19, vcc, 0, v19, vcc
	v_add_co_u32_e32 v20, vcc, 2, v20
	v_addc_co_u32_e32 v21, vcc, 0, v21, vcc
	s_add_u32 s38, s38, 1
	s_addc_u32 s39, s39, 0
	s_andn2_b64 s[14:15], s[14:15], exec
	s_waitcnt vmcnt(1)
	v_lshlrev_b32_e32 v22, 16, v22
	s_waitcnt vmcnt(0)
	v_lshlrev_b32_e32 v23, 16, v23
	v_cmp_neq_f32_e32 vcc, v23, v22
	s_and_b64 s[40:41], vcc, exec
	s_or_b64 s[14:15], s[14:15], s[40:41]
.LBB1215_111:                           ;   in Loop: Header=BB1215_112 Depth=1
	s_and_b64 s[40:41], exec, s[14:15]
	s_or_b64 s[6:7], s[40:41], s[6:7]
	v_pk_mov_b32 v[22:23], s[38:39], s[38:39] op_sel:[0,1]
	s_andn2_b64 exec, exec, s[6:7]
	s_cbranch_execz .LBB1215_114
.LBB1215_112:                           ; =>This Inner Loop Header: Depth=1
	s_or_b64 s[14:15], s[14:15], exec
	s_cmp_eq_u64 s[4:5], s[38:39]
	s_cbranch_scc0 .LBB1215_110
; %bb.113:                              ;   in Loop: Header=BB1215_112 Depth=1
                                        ; implicit-def: $vgpr18_vgpr19
                                        ; implicit-def: $vgpr20_vgpr21
	s_mov_b64 s[38:39], s[26:27]
	s_branch .LBB1215_111
.LBB1215_114:
	s_or_b64 exec, exec, s[6:7]
	v_cmp_gt_i64_e32 vcc, s[26:27], v[22:23]
	s_orn2_b64 s[14:15], vcc, exec
.LBB1215_115:
	s_or_b64 exec, exec, s[10:11]
.LBB1215_116:
	s_and_b64 s[38:39], s[14:15], exec
.LBB1215_117:
	s_or_b64 exec, exec, s[8:9]
	v_or_b32_e32 v28, v26, v27
.LBB1215_118:
	s_mov_b64 s[14:15], -1
	s_cbranch_execnz .LBB1215_207
.LBB1215_119:
	v_lshlrev_b32_e32 v29, 3, v0
	s_mov_b64 s[38:39], 0
	v_cmp_gt_i64_e64 s[10:11], s[26:27], 0
	s_and_b64 vcc, exec, s[34:35]
	ds_write_b64 v29, v[12:13]
	s_cbranch_vccz .LBB1215_127
; %bb.120:
	v_mul_lo_u32 v20, v11, s26
	v_mul_lo_u32 v21, v10, s27
	s_waitcnt vmcnt(0) lgkmcnt(1)
	v_mad_u64_u32 v[18:19], s[4:5], v10, s26, 0
	v_add3_u32 v19, v19, v21, v20
	v_cndmask_b32_e64 v20, 0, 1, s[10:11]
	v_cmp_ne_u32_e64 s[4:5], 1, v20
	s_andn2_b64 vcc, exec, s[10:11]
	v_lshlrev_b64 v[18:19], 1, v[18:19]
	s_cbranch_vccnz .LBB1215_130
; %bb.121:
	v_mul_lo_u32 v22, v13, s26
	v_mul_lo_u32 v23, v12, s27
	v_mad_u64_u32 v[20:21], s[6:7], v12, s26, 0
	v_add3_u32 v21, v21, v23, v22
	v_mov_b32_e32 v23, s17
	v_add_co_u32_e32 v22, vcc, s16, v18
	v_addc_co_u32_e64 v23, s[6:7], v23, v19, vcc
	v_lshlrev_b64 v[20:21], 1, v[20:21]
	v_mov_b32_e32 v25, s17
	v_add_co_u32_e64 v24, s[6:7], s16, v20
	v_addc_co_u32_e64 v25, s[8:9], v25, v21, s[6:7]
	global_load_ushort v20, v[24:25], off
	global_load_ushort v26, v[22:23], off
	s_mov_b64 s[38:39], -1
	s_waitcnt vmcnt(1)
	v_lshlrev_b32_e32 v20, 16, v20
	s_waitcnt vmcnt(0)
	v_lshlrev_b32_e32 v23, 16, v26
	v_cmp_eq_f32_e64 s[8:9], v23, v20
	s_and_saveexec_b64 s[40:41], s[8:9]
	s_cbranch_execz .LBB1215_129
; %bb.122:
	v_mov_b32_e32 v20, s17
	v_addc_co_u32_e64 v21, s[6:7], v21, v20, s[6:7]
	v_add_co_u32_e64 v20, s[6:7], 2, v24
	v_mov_b32_e32 v23, s17
	v_addc_co_u32_e64 v21, s[6:7], 0, v21, s[6:7]
	v_addc_co_u32_e32 v23, vcc, v19, v23, vcc
	v_add_co_u32_e32 v22, vcc, 2, v22
	s_add_u32 s6, s26, -1
	v_addc_co_u32_e32 v23, vcc, 0, v23, vcc
	s_addc_u32 s7, s27, -1
	s_mov_b64 s[8:9], 0
	s_mov_b64 s[42:43], 0
                                        ; implicit-def: $sgpr38_sgpr39
	s_branch .LBB1215_125
.LBB1215_123:                           ;   in Loop: Header=BB1215_125 Depth=1
	global_load_ushort v24, v[20:21], off
	global_load_ushort v25, v[22:23], off
	v_add_co_u32_e32 v20, vcc, 2, v20
	v_addc_co_u32_e32 v21, vcc, 0, v21, vcc
	v_add_co_u32_e32 v22, vcc, 2, v22
	v_addc_co_u32_e32 v23, vcc, 0, v23, vcc
	s_add_u32 s42, s42, 1
	s_addc_u32 s43, s43, 0
	s_andn2_b64 s[38:39], s[38:39], exec
	s_waitcnt vmcnt(1)
	v_lshlrev_b32_e32 v24, 16, v24
	s_waitcnt vmcnt(0)
	v_lshlrev_b32_e32 v25, 16, v25
	v_cmp_neq_f32_e32 vcc, v25, v24
	s_and_b64 s[44:45], vcc, exec
	s_or_b64 s[38:39], s[38:39], s[44:45]
.LBB1215_124:                           ;   in Loop: Header=BB1215_125 Depth=1
	s_and_b64 s[44:45], exec, s[38:39]
	s_or_b64 s[8:9], s[44:45], s[8:9]
	v_pk_mov_b32 v[24:25], s[42:43], s[42:43] op_sel:[0,1]
	s_andn2_b64 exec, exec, s[8:9]
	s_cbranch_execz .LBB1215_128
.LBB1215_125:                           ; =>This Inner Loop Header: Depth=1
	s_or_b64 s[38:39], s[38:39], exec
	s_cmp_eq_u64 s[6:7], s[42:43]
	s_cbranch_scc0 .LBB1215_123
; %bb.126:                              ;   in Loop: Header=BB1215_125 Depth=1
                                        ; implicit-def: $vgpr20_vgpr21
                                        ; implicit-def: $vgpr22_vgpr23
	s_mov_b64 s[42:43], s[26:27]
	s_branch .LBB1215_124
.LBB1215_127:
                                        ; implicit-def: $sgpr38_sgpr39
                                        ; implicit-def: $vgpr28
	s_cbranch_execnz .LBB1215_160
	s_branch .LBB1215_207
.LBB1215_128:
	s_or_b64 exec, exec, s[8:9]
	v_cmp_gt_i64_e32 vcc, s[26:27], v[24:25]
	s_orn2_b64 s[38:39], vcc, exec
.LBB1215_129:
	s_or_b64 exec, exec, s[40:41]
.LBB1215_130:
	v_mul_lo_u32 v22, v17, s26
	v_mul_lo_u32 v23, v16, s27
	v_mad_u64_u32 v[20:21], s[6:7], v16, s26, 0
	v_add3_u32 v21, v21, v23, v22
	s_mov_b64 s[40:41], 0
	s_and_b64 vcc, exec, s[4:5]
	v_lshlrev_b64 v[20:21], 1, v[20:21]
	s_mov_b64 s[42:43], 0
	s_cbranch_vccnz .LBB1215_139
; %bb.131:
	v_mov_b32_e32 v23, s17
	v_add_co_u32_e32 v22, vcc, s16, v20
	v_addc_co_u32_e64 v23, s[6:7], v23, v21, vcc
	v_mov_b32_e32 v25, s17
	v_add_co_u32_e64 v24, s[6:7], s16, v18
	v_addc_co_u32_e64 v25, s[8:9], v25, v19, s[6:7]
	global_load_ushort v18, v[24:25], off
	global_load_ushort v26, v[22:23], off
	s_mov_b64 s[42:43], -1
	s_waitcnt vmcnt(1)
	v_lshlrev_b32_e32 v18, 16, v18
	s_waitcnt vmcnt(0)
	v_lshlrev_b32_e32 v23, 16, v26
	v_cmp_eq_f32_e64 s[8:9], v23, v18
	s_and_saveexec_b64 s[44:45], s[8:9]
	s_cbranch_execz .LBB1215_138
; %bb.132:
	v_mov_b32_e32 v18, s17
	v_addc_co_u32_e64 v19, s[6:7], v19, v18, s[6:7]
	v_add_co_u32_e64 v18, s[6:7], 2, v24
	v_mov_b32_e32 v23, s17
	v_addc_co_u32_e64 v19, s[6:7], 0, v19, s[6:7]
	v_addc_co_u32_e32 v23, vcc, v21, v23, vcc
	v_add_co_u32_e32 v22, vcc, 2, v22
	s_add_u32 s6, s26, -1
	v_addc_co_u32_e32 v23, vcc, 0, v23, vcc
	s_addc_u32 s7, s27, -1
	s_mov_b64 s[8:9], 0
	s_mov_b64 s[46:47], 0
                                        ; implicit-def: $sgpr42_sgpr43
	s_branch .LBB1215_135
.LBB1215_133:                           ;   in Loop: Header=BB1215_135 Depth=1
	global_load_ushort v24, v[18:19], off
	global_load_ushort v25, v[22:23], off
	v_add_co_u32_e32 v18, vcc, 2, v18
	v_addc_co_u32_e32 v19, vcc, 0, v19, vcc
	v_add_co_u32_e32 v22, vcc, 2, v22
	v_addc_co_u32_e32 v23, vcc, 0, v23, vcc
	s_add_u32 s46, s46, 1
	s_addc_u32 s47, s47, 0
	s_andn2_b64 s[42:43], s[42:43], exec
	s_waitcnt vmcnt(1)
	v_lshlrev_b32_e32 v24, 16, v24
	s_waitcnt vmcnt(0)
	v_lshlrev_b32_e32 v25, 16, v25
	v_cmp_neq_f32_e32 vcc, v25, v24
	s_and_b64 s[50:51], vcc, exec
	s_or_b64 s[42:43], s[42:43], s[50:51]
.LBB1215_134:                           ;   in Loop: Header=BB1215_135 Depth=1
	s_and_b64 s[50:51], exec, s[42:43]
	s_or_b64 s[8:9], s[50:51], s[8:9]
	v_pk_mov_b32 v[24:25], s[46:47], s[46:47] op_sel:[0,1]
	s_andn2_b64 exec, exec, s[8:9]
	s_cbranch_execz .LBB1215_137
.LBB1215_135:                           ; =>This Inner Loop Header: Depth=1
	s_or_b64 s[42:43], s[42:43], exec
	s_cmp_eq_u64 s[6:7], s[46:47]
	s_cbranch_scc0 .LBB1215_133
; %bb.136:                              ;   in Loop: Header=BB1215_135 Depth=1
                                        ; implicit-def: $vgpr18_vgpr19
                                        ; implicit-def: $vgpr22_vgpr23
	s_mov_b64 s[46:47], s[26:27]
	s_branch .LBB1215_134
.LBB1215_137:
	s_or_b64 exec, exec, s[8:9]
	v_cmp_gt_i64_e32 vcc, s[26:27], v[24:25]
	s_orn2_b64 s[42:43], vcc, exec
.LBB1215_138:
	s_or_b64 exec, exec, s[44:45]
.LBB1215_139:
	v_mul_lo_u32 v22, v15, s26
	v_mul_lo_u32 v23, v14, s27
	v_mad_u64_u32 v[18:19], s[6:7], v14, s26, 0
	s_and_b64 vcc, exec, s[4:5]
	v_add3_u32 v19, v19, v23, v22
	s_cbranch_vccnz .LBB1215_148
; %bb.140:
	v_lshlrev_b64 v[22:23], 1, v[18:19]
	v_mov_b32_e32 v25, s17
	v_add_co_u32_e32 v24, vcc, s16, v22
	v_addc_co_u32_e64 v25, s[6:7], v25, v23, vcc
	v_mov_b32_e32 v22, s17
	v_add_co_u32_e64 v26, s[6:7], s16, v20
	v_addc_co_u32_e64 v27, s[8:9], v22, v21, s[6:7]
	global_load_ushort v20, v[26:27], off
	global_load_ushort v22, v[24:25], off
	s_mov_b64 s[40:41], -1
	s_waitcnt vmcnt(1)
	v_lshlrev_b32_e32 v20, 16, v20
	s_waitcnt vmcnt(0)
	v_lshlrev_b32_e32 v22, 16, v22
	v_cmp_eq_f32_e64 s[8:9], v22, v20
	s_and_saveexec_b64 s[44:45], s[8:9]
	s_cbranch_execz .LBB1215_147
; %bb.141:
	v_mov_b32_e32 v20, s17
	v_addc_co_u32_e64 v21, s[6:7], v21, v20, s[6:7]
	v_add_co_u32_e64 v20, s[6:7], 2, v26
	v_mov_b32_e32 v22, s17
	v_addc_co_u32_e64 v21, s[6:7], 0, v21, s[6:7]
	v_addc_co_u32_e32 v23, vcc, v23, v22, vcc
	v_add_co_u32_e32 v22, vcc, 2, v24
	s_add_u32 s6, s26, -1
	v_addc_co_u32_e32 v23, vcc, 0, v23, vcc
	s_addc_u32 s7, s27, -1
	s_mov_b64 s[8:9], 0
	s_mov_b64 s[46:47], 0
                                        ; implicit-def: $sgpr40_sgpr41
	s_branch .LBB1215_144
.LBB1215_142:                           ;   in Loop: Header=BB1215_144 Depth=1
	global_load_ushort v24, v[20:21], off
	global_load_ushort v25, v[22:23], off
	v_add_co_u32_e32 v20, vcc, 2, v20
	v_addc_co_u32_e32 v21, vcc, 0, v21, vcc
	v_add_co_u32_e32 v22, vcc, 2, v22
	v_addc_co_u32_e32 v23, vcc, 0, v23, vcc
	s_add_u32 s46, s46, 1
	s_addc_u32 s47, s47, 0
	s_andn2_b64 s[40:41], s[40:41], exec
	s_waitcnt vmcnt(1)
	v_lshlrev_b32_e32 v24, 16, v24
	s_waitcnt vmcnt(0)
	v_lshlrev_b32_e32 v25, 16, v25
	v_cmp_neq_f32_e32 vcc, v25, v24
	s_and_b64 s[50:51], vcc, exec
	s_or_b64 s[40:41], s[40:41], s[50:51]
.LBB1215_143:                           ;   in Loop: Header=BB1215_144 Depth=1
	s_and_b64 s[50:51], exec, s[40:41]
	s_or_b64 s[8:9], s[50:51], s[8:9]
	v_pk_mov_b32 v[24:25], s[46:47], s[46:47] op_sel:[0,1]
	s_andn2_b64 exec, exec, s[8:9]
	s_cbranch_execz .LBB1215_146
.LBB1215_144:                           ; =>This Inner Loop Header: Depth=1
	s_or_b64 s[40:41], s[40:41], exec
	s_cmp_eq_u64 s[6:7], s[46:47]
	s_cbranch_scc0 .LBB1215_142
; %bb.145:                              ;   in Loop: Header=BB1215_144 Depth=1
                                        ; implicit-def: $vgpr20_vgpr21
                                        ; implicit-def: $vgpr22_vgpr23
	s_mov_b64 s[46:47], s[26:27]
	s_branch .LBB1215_143
.LBB1215_146:
	s_or_b64 exec, exec, s[8:9]
	v_cmp_gt_i64_e32 vcc, s[26:27], v[24:25]
	s_orn2_b64 s[40:41], vcc, exec
.LBB1215_147:
	s_or_b64 exec, exec, s[44:45]
.LBB1215_148:
	v_cndmask_b32_e64 v21, 0, 1, s[38:39]
	v_cndmask_b32_e64 v22, 0, 1, s[40:41]
	;; [unrolled: 1-line block ×3, first 2 shown]
	v_lshlrev_b16_e32 v22, 8, v22
	v_lshlrev_b16_e32 v21, 8, v21
	v_or_b32_e32 v22, 1, v22
	v_or_b32_sdwa v20, v20, v21 dst_sel:WORD_1 dst_unused:UNUSED_PAD src0_sel:DWORD src1_sel:DWORD
	v_or_b32_sdwa v28, v22, v20 dst_sel:DWORD dst_unused:UNUSED_PAD src0_sel:WORD_0 src1_sel:DWORD
	s_waitcnt lgkmcnt(0)
	s_barrier
	s_waitcnt lgkmcnt(0)
                                        ; implicit-def: $sgpr38_sgpr39
	s_and_saveexec_b64 s[6:7], s[2:3]
	s_xor_b64 s[8:9], exec, s[6:7]
	s_cbranch_execz .LBB1215_159
; %bb.149:
	s_and_b64 vcc, exec, s[4:5]
	s_mov_b64 s[40:41], 0
	s_cbranch_vccnz .LBB1215_158
; %bb.150:
	v_add_u32_e32 v20, -8, v29
	ds_read_b64 v[20:21], v20
	v_mov_b32_e32 v23, s17
	v_lshlrev_b64 v[18:19], 1, v[18:19]
	s_mov_b64 s[40:41], -1
	s_waitcnt lgkmcnt(0)
	v_mul_lo_u32 v22, v21, s26
	v_mul_lo_u32 v24, v20, s27
	v_mad_u64_u32 v[20:21], s[4:5], v20, s26, 0
	v_add3_u32 v21, v21, v24, v22
	v_lshlrev_b64 v[20:21], 1, v[20:21]
	v_add_co_u32_e32 v22, vcc, s16, v20
	v_addc_co_u32_e64 v23, s[4:5], v23, v21, vcc
	v_mov_b32_e32 v20, s17
	v_add_co_u32_e64 v24, s[4:5], s16, v18
	v_addc_co_u32_e64 v25, s[6:7], v20, v19, s[4:5]
	global_load_ushort v18, v[22:23], off
	global_load_ushort v20, v[24:25], off
	s_waitcnt vmcnt(1)
	v_lshlrev_b32_e32 v18, 16, v18
	s_waitcnt vmcnt(0)
	v_lshlrev_b32_e32 v20, 16, v20
	v_cmp_eq_f32_e64 s[6:7], v18, v20
	s_and_saveexec_b64 s[38:39], s[6:7]
	s_cbranch_execz .LBB1215_157
; %bb.151:
	v_mov_b32_e32 v18, s17
	v_addc_co_u32_e64 v19, s[4:5], v19, v18, s[4:5]
	v_add_co_u32_e64 v18, s[4:5], 2, v24
	v_mov_b32_e32 v20, s17
	v_addc_co_u32_e64 v19, s[4:5], 0, v19, s[4:5]
	v_addc_co_u32_e32 v21, vcc, v21, v20, vcc
	v_add_co_u32_e32 v20, vcc, 2, v22
	s_add_u32 s4, s26, -1
	v_addc_co_u32_e32 v21, vcc, 0, v21, vcc
	s_addc_u32 s5, s27, -1
	s_mov_b64 s[6:7], 0
	s_mov_b64 s[42:43], 0
                                        ; implicit-def: $sgpr40_sgpr41
	s_branch .LBB1215_154
.LBB1215_152:                           ;   in Loop: Header=BB1215_154 Depth=1
	global_load_ushort v22, v[18:19], off
	global_load_ushort v23, v[20:21], off
	v_add_co_u32_e32 v18, vcc, 2, v18
	v_addc_co_u32_e32 v19, vcc, 0, v19, vcc
	v_add_co_u32_e32 v20, vcc, 2, v20
	v_addc_co_u32_e32 v21, vcc, 0, v21, vcc
	s_add_u32 s42, s42, 1
	s_addc_u32 s43, s43, 0
	s_andn2_b64 s[40:41], s[40:41], exec
	s_waitcnt vmcnt(1)
	v_lshlrev_b32_e32 v22, 16, v22
	s_waitcnt vmcnt(0)
	v_lshlrev_b32_e32 v23, 16, v23
	v_cmp_neq_f32_e32 vcc, v23, v22
	s_and_b64 s[44:45], vcc, exec
	s_or_b64 s[40:41], s[40:41], s[44:45]
.LBB1215_153:                           ;   in Loop: Header=BB1215_154 Depth=1
	s_and_b64 s[44:45], exec, s[40:41]
	s_or_b64 s[6:7], s[44:45], s[6:7]
	v_pk_mov_b32 v[22:23], s[42:43], s[42:43] op_sel:[0,1]
	s_andn2_b64 exec, exec, s[6:7]
	s_cbranch_execz .LBB1215_156
.LBB1215_154:                           ; =>This Inner Loop Header: Depth=1
	s_or_b64 s[40:41], s[40:41], exec
	s_cmp_eq_u64 s[4:5], s[42:43]
	s_cbranch_scc0 .LBB1215_152
; %bb.155:                              ;   in Loop: Header=BB1215_154 Depth=1
                                        ; implicit-def: $vgpr18_vgpr19
                                        ; implicit-def: $vgpr20_vgpr21
	s_mov_b64 s[42:43], s[26:27]
	s_branch .LBB1215_153
.LBB1215_156:
	s_or_b64 exec, exec, s[6:7]
	v_cmp_gt_i64_e32 vcc, s[26:27], v[22:23]
	s_orn2_b64 s[40:41], vcc, exec
.LBB1215_157:
	s_or_b64 exec, exec, s[38:39]
.LBB1215_158:
	s_and_b64 s[38:39], s[40:41], exec
	s_or_b64 s[14:15], s[14:15], exec
.LBB1215_159:
	s_or_b64 exec, exec, s[8:9]
	s_branch .LBB1215_207
.LBB1215_160:
	s_waitcnt vmcnt(0) lgkmcnt(1)
	v_or_b32_e32 v18, 3, v1
	v_cmp_gt_u32_e32 vcc, s48, v18
	s_mov_b64 s[38:39], 0
	s_mov_b64 s[8:9], 0
	s_and_saveexec_b64 s[40:41], vcc
	s_cbranch_execz .LBB1215_171
; %bb.161:
	s_andn2_b64 vcc, exec, s[10:11]
	s_mov_b64 s[42:43], 0
	s_cbranch_vccnz .LBB1215_170
; %bb.162:
	v_mul_lo_u32 v20, v11, s26
	v_mul_lo_u32 v21, v10, s27
	v_mad_u64_u32 v[18:19], s[4:5], v10, s26, 0
	v_add3_u32 v19, v19, v21, v20
	v_mul_lo_u32 v20, v13, s26
	v_mul_lo_u32 v21, v12, s27
	v_mad_u64_u32 v[24:25], s[4:5], v12, s26, 0
	v_add3_u32 v25, v25, v21, v20
	v_lshlrev_b64 v[20:21], 1, v[18:19]
	v_mov_b32_e32 v18, s17
	v_add_co_u32_e32 v22, vcc, s16, v20
	v_addc_co_u32_e64 v23, s[4:5], v18, v21, vcc
	v_lshlrev_b64 v[18:19], 1, v[24:25]
	v_mov_b32_e32 v20, s17
	v_add_co_u32_e64 v24, s[4:5], s16, v18
	v_addc_co_u32_e64 v25, s[6:7], v20, v19, s[4:5]
	global_load_ushort v18, v[24:25], off
	global_load_ushort v20, v[22:23], off
	s_mov_b64 s[42:43], -1
	s_waitcnt vmcnt(1)
	v_lshlrev_b32_e32 v18, 16, v18
	s_waitcnt vmcnt(0)
	v_lshlrev_b32_e32 v20, 16, v20
	v_cmp_eq_f32_e64 s[6:7], v20, v18
	s_and_saveexec_b64 s[8:9], s[6:7]
	s_cbranch_execz .LBB1215_169
; %bb.163:
	v_mov_b32_e32 v18, s17
	v_addc_co_u32_e64 v19, s[4:5], v19, v18, s[4:5]
	v_add_co_u32_e64 v18, s[4:5], 2, v24
	v_mov_b32_e32 v20, s17
	v_addc_co_u32_e64 v19, s[4:5], 0, v19, s[4:5]
	v_addc_co_u32_e32 v21, vcc, v21, v20, vcc
	v_add_co_u32_e32 v20, vcc, 2, v22
	s_add_u32 s4, s26, -1
	v_addc_co_u32_e32 v21, vcc, 0, v21, vcc
	s_addc_u32 s5, s27, -1
	s_mov_b64 s[6:7], 0
	s_mov_b64 s[44:45], 0
                                        ; implicit-def: $sgpr42_sgpr43
	s_branch .LBB1215_166
.LBB1215_164:                           ;   in Loop: Header=BB1215_166 Depth=1
	global_load_ushort v22, v[18:19], off
	global_load_ushort v23, v[20:21], off
	v_add_co_u32_e32 v18, vcc, 2, v18
	v_addc_co_u32_e32 v19, vcc, 0, v19, vcc
	v_add_co_u32_e32 v20, vcc, 2, v20
	v_addc_co_u32_e32 v21, vcc, 0, v21, vcc
	s_add_u32 s44, s44, 1
	s_addc_u32 s45, s45, 0
	s_andn2_b64 s[42:43], s[42:43], exec
	s_waitcnt vmcnt(1)
	v_lshlrev_b32_e32 v22, 16, v22
	s_waitcnt vmcnt(0)
	v_lshlrev_b32_e32 v23, 16, v23
	v_cmp_neq_f32_e32 vcc, v23, v22
	s_and_b64 s[46:47], vcc, exec
	s_or_b64 s[42:43], s[42:43], s[46:47]
.LBB1215_165:                           ;   in Loop: Header=BB1215_166 Depth=1
	s_and_b64 s[46:47], exec, s[42:43]
	s_or_b64 s[6:7], s[46:47], s[6:7]
	v_pk_mov_b32 v[22:23], s[44:45], s[44:45] op_sel:[0,1]
	s_andn2_b64 exec, exec, s[6:7]
	s_cbranch_execz .LBB1215_168
.LBB1215_166:                           ; =>This Inner Loop Header: Depth=1
	s_or_b64 s[42:43], s[42:43], exec
	s_cmp_eq_u64 s[4:5], s[44:45]
	s_cbranch_scc0 .LBB1215_164
; %bb.167:                              ;   in Loop: Header=BB1215_166 Depth=1
                                        ; implicit-def: $vgpr18_vgpr19
                                        ; implicit-def: $vgpr20_vgpr21
	s_mov_b64 s[44:45], s[26:27]
	s_branch .LBB1215_165
.LBB1215_168:
	s_or_b64 exec, exec, s[6:7]
	v_cmp_gt_i64_e32 vcc, s[26:27], v[22:23]
	s_orn2_b64 s[42:43], vcc, exec
.LBB1215_169:
	s_or_b64 exec, exec, s[8:9]
.LBB1215_170:
	s_and_b64 s[8:9], s[42:43], exec
.LBB1215_171:
	s_or_b64 exec, exec, s[40:41]
	v_or_b32_e32 v18, 2, v1
	v_cmp_gt_u32_e32 vcc, s48, v18
	s_and_saveexec_b64 s[40:41], vcc
	s_cbranch_execz .LBB1215_182
; %bb.172:
	s_andn2_b64 vcc, exec, s[10:11]
	s_mov_b64 s[42:43], 0
	s_cbranch_vccnz .LBB1215_181
; %bb.173:
	v_mul_lo_u32 v20, v17, s26
	v_mul_lo_u32 v21, v16, s27
	v_mad_u64_u32 v[18:19], s[4:5], v16, s26, 0
	v_add3_u32 v19, v19, v21, v20
	v_mul_lo_u32 v20, v11, s26
	v_mul_lo_u32 v21, v10, s27
	v_mad_u64_u32 v[24:25], s[4:5], v10, s26, 0
	v_add3_u32 v25, v25, v21, v20
	v_lshlrev_b64 v[20:21], 1, v[18:19]
	v_mov_b32_e32 v18, s17
	v_add_co_u32_e32 v22, vcc, s16, v20
	v_addc_co_u32_e64 v23, s[4:5], v18, v21, vcc
	v_lshlrev_b64 v[18:19], 1, v[24:25]
	v_mov_b32_e32 v20, s17
	v_add_co_u32_e64 v24, s[4:5], s16, v18
	v_addc_co_u32_e64 v25, s[6:7], v20, v19, s[4:5]
	global_load_ushort v18, v[24:25], off
	global_load_ushort v20, v[22:23], off
	s_mov_b64 s[42:43], -1
	s_waitcnt vmcnt(1)
	v_lshlrev_b32_e32 v18, 16, v18
	s_waitcnt vmcnt(0)
	v_lshlrev_b32_e32 v20, 16, v20
	v_cmp_eq_f32_e64 s[6:7], v20, v18
	s_and_saveexec_b64 s[38:39], s[6:7]
	s_cbranch_execz .LBB1215_180
; %bb.174:
	v_mov_b32_e32 v18, s17
	v_addc_co_u32_e64 v19, s[4:5], v19, v18, s[4:5]
	v_add_co_u32_e64 v18, s[4:5], 2, v24
	v_mov_b32_e32 v20, s17
	v_addc_co_u32_e64 v19, s[4:5], 0, v19, s[4:5]
	v_addc_co_u32_e32 v21, vcc, v21, v20, vcc
	v_add_co_u32_e32 v20, vcc, 2, v22
	s_add_u32 s4, s26, -1
	v_addc_co_u32_e32 v21, vcc, 0, v21, vcc
	s_addc_u32 s5, s27, -1
	s_mov_b64 s[6:7], 0
	s_mov_b64 s[44:45], 0
                                        ; implicit-def: $sgpr42_sgpr43
	s_branch .LBB1215_177
.LBB1215_175:                           ;   in Loop: Header=BB1215_177 Depth=1
	global_load_ushort v22, v[18:19], off
	global_load_ushort v23, v[20:21], off
	v_add_co_u32_e32 v18, vcc, 2, v18
	v_addc_co_u32_e32 v19, vcc, 0, v19, vcc
	v_add_co_u32_e32 v20, vcc, 2, v20
	v_addc_co_u32_e32 v21, vcc, 0, v21, vcc
	s_add_u32 s44, s44, 1
	s_addc_u32 s45, s45, 0
	s_andn2_b64 s[42:43], s[42:43], exec
	s_waitcnt vmcnt(1)
	v_lshlrev_b32_e32 v22, 16, v22
	s_waitcnt vmcnt(0)
	v_lshlrev_b32_e32 v23, 16, v23
	v_cmp_neq_f32_e32 vcc, v23, v22
	s_and_b64 s[46:47], vcc, exec
	s_or_b64 s[42:43], s[42:43], s[46:47]
.LBB1215_176:                           ;   in Loop: Header=BB1215_177 Depth=1
	s_and_b64 s[46:47], exec, s[42:43]
	s_or_b64 s[6:7], s[46:47], s[6:7]
	v_pk_mov_b32 v[22:23], s[44:45], s[44:45] op_sel:[0,1]
	s_andn2_b64 exec, exec, s[6:7]
	s_cbranch_execz .LBB1215_179
.LBB1215_177:                           ; =>This Inner Loop Header: Depth=1
	s_or_b64 s[42:43], s[42:43], exec
	s_cmp_eq_u64 s[4:5], s[44:45]
	s_cbranch_scc0 .LBB1215_175
; %bb.178:                              ;   in Loop: Header=BB1215_177 Depth=1
                                        ; implicit-def: $vgpr18_vgpr19
                                        ; implicit-def: $vgpr20_vgpr21
	s_mov_b64 s[44:45], s[26:27]
	s_branch .LBB1215_176
.LBB1215_179:
	s_or_b64 exec, exec, s[6:7]
	v_cmp_gt_i64_e32 vcc, s[26:27], v[22:23]
	s_orn2_b64 s[42:43], vcc, exec
.LBB1215_180:
	s_or_b64 exec, exec, s[38:39]
.LBB1215_181:
	s_and_b64 s[38:39], s[42:43], exec
.LBB1215_182:
	s_or_b64 exec, exec, s[40:41]
	v_or_b32_e32 v18, 1, v1
	v_cmp_gt_u32_e32 vcc, s48, v18
	s_mov_b64 s[4:5], 0
	s_and_saveexec_b64 s[40:41], vcc
	s_cbranch_execz .LBB1215_193
; %bb.183:
	s_andn2_b64 vcc, exec, s[10:11]
	s_mov_b64 s[44:45], 0
	s_cbranch_vccnz .LBB1215_192
; %bb.184:
	v_mul_lo_u32 v20, v15, s26
	v_mul_lo_u32 v21, v14, s27
	v_mad_u64_u32 v[18:19], s[4:5], v14, s26, 0
	v_add3_u32 v19, v19, v21, v20
	v_mul_lo_u32 v20, v17, s26
	v_mul_lo_u32 v21, v16, s27
	v_mad_u64_u32 v[24:25], s[4:5], v16, s26, 0
	v_add3_u32 v25, v25, v21, v20
	v_lshlrev_b64 v[20:21], 1, v[18:19]
	v_mov_b32_e32 v18, s17
	v_add_co_u32_e32 v22, vcc, s16, v20
	v_addc_co_u32_e64 v23, s[4:5], v18, v21, vcc
	v_lshlrev_b64 v[18:19], 1, v[24:25]
	v_mov_b32_e32 v20, s17
	v_add_co_u32_e64 v24, s[4:5], s16, v18
	v_addc_co_u32_e64 v25, s[6:7], v20, v19, s[4:5]
	global_load_ushort v18, v[24:25], off
	global_load_ushort v20, v[22:23], off
	s_mov_b64 s[44:45], -1
	s_waitcnt vmcnt(1)
	v_lshlrev_b32_e32 v18, 16, v18
	s_waitcnt vmcnt(0)
	v_lshlrev_b32_e32 v20, 16, v20
	v_cmp_eq_f32_e64 s[6:7], v20, v18
	s_and_saveexec_b64 s[42:43], s[6:7]
	s_cbranch_execz .LBB1215_191
; %bb.185:
	v_mov_b32_e32 v18, s17
	v_addc_co_u32_e64 v19, s[4:5], v19, v18, s[4:5]
	v_add_co_u32_e64 v18, s[4:5], 2, v24
	v_mov_b32_e32 v20, s17
	v_addc_co_u32_e64 v19, s[4:5], 0, v19, s[4:5]
	v_addc_co_u32_e32 v21, vcc, v21, v20, vcc
	v_add_co_u32_e32 v20, vcc, 2, v22
	s_add_u32 s4, s26, -1
	v_addc_co_u32_e32 v21, vcc, 0, v21, vcc
	s_addc_u32 s5, s27, -1
	s_mov_b64 s[6:7], 0
	s_mov_b64 s[46:47], 0
                                        ; implicit-def: $sgpr44_sgpr45
	s_branch .LBB1215_188
.LBB1215_186:                           ;   in Loop: Header=BB1215_188 Depth=1
	global_load_ushort v22, v[18:19], off
	global_load_ushort v23, v[20:21], off
	v_add_co_u32_e32 v18, vcc, 2, v18
	v_addc_co_u32_e32 v19, vcc, 0, v19, vcc
	v_add_co_u32_e32 v20, vcc, 2, v20
	v_addc_co_u32_e32 v21, vcc, 0, v21, vcc
	s_add_u32 s46, s46, 1
	s_addc_u32 s47, s47, 0
	s_andn2_b64 s[44:45], s[44:45], exec
	s_waitcnt vmcnt(1)
	v_lshlrev_b32_e32 v22, 16, v22
	s_waitcnt vmcnt(0)
	v_lshlrev_b32_e32 v23, 16, v23
	v_cmp_neq_f32_e32 vcc, v23, v22
	s_and_b64 s[50:51], vcc, exec
	s_or_b64 s[44:45], s[44:45], s[50:51]
.LBB1215_187:                           ;   in Loop: Header=BB1215_188 Depth=1
	s_and_b64 s[50:51], exec, s[44:45]
	s_or_b64 s[6:7], s[50:51], s[6:7]
	v_pk_mov_b32 v[22:23], s[46:47], s[46:47] op_sel:[0,1]
	s_andn2_b64 exec, exec, s[6:7]
	s_cbranch_execz .LBB1215_190
.LBB1215_188:                           ; =>This Inner Loop Header: Depth=1
	s_or_b64 s[44:45], s[44:45], exec
	s_cmp_eq_u64 s[4:5], s[46:47]
	s_cbranch_scc0 .LBB1215_186
; %bb.189:                              ;   in Loop: Header=BB1215_188 Depth=1
                                        ; implicit-def: $vgpr18_vgpr19
                                        ; implicit-def: $vgpr20_vgpr21
	s_mov_b64 s[46:47], s[26:27]
	s_branch .LBB1215_187
.LBB1215_190:
	s_or_b64 exec, exec, s[6:7]
	v_cmp_gt_i64_e32 vcc, s[26:27], v[22:23]
	s_orn2_b64 s[44:45], vcc, exec
.LBB1215_191:
	s_or_b64 exec, exec, s[42:43]
.LBB1215_192:
	s_and_b64 s[4:5], s[44:45], exec
.LBB1215_193:
	s_or_b64 exec, exec, s[40:41]
	v_cndmask_b32_e64 v19, 0, 1, s[8:9]
	v_cndmask_b32_e64 v20, 0, 1, s[4:5]
	v_cndmask_b32_e64 v18, 0, 1, s[38:39]
	v_lshlrev_b16_e32 v20, 8, v20
	v_lshlrev_b16_e32 v19, 8, v19
	v_or_b32_e32 v20, 1, v20
	v_or_b32_sdwa v18, v18, v19 dst_sel:WORD_1 dst_unused:UNUSED_PAD src0_sel:DWORD src1_sel:DWORD
	v_or_b32_sdwa v28, v20, v18 dst_sel:DWORD dst_unused:UNUSED_PAD src0_sel:WORD_0 src1_sel:DWORD
	s_waitcnt lgkmcnt(0)
	s_barrier
	s_waitcnt lgkmcnt(0)
                                        ; implicit-def: $sgpr38_sgpr39
	s_and_saveexec_b64 s[6:7], s[2:3]
	s_cbranch_execz .LBB1215_206
; %bb.194:
	v_cmp_gt_u32_e32 vcc, s48, v1
	s_mov_b64 s[2:3], 0
	s_and_saveexec_b64 s[8:9], vcc
	s_cbranch_execz .LBB1215_205
; %bb.195:
	s_andn2_b64 vcc, exec, s[10:11]
	s_mov_b64 s[38:39], 0
	s_cbranch_vccnz .LBB1215_204
; %bb.196:
	v_add_u32_e32 v18, -8, v29
	ds_read_b64 v[18:19], v18
	v_mul_lo_u32 v20, v15, s26
	v_mad_u64_u32 v[24:25], s[2:3], v14, s26, 0
	s_mov_b64 s[38:39], -1
	s_waitcnt lgkmcnt(0)
	v_mul_lo_u32 v21, v19, s26
	v_mul_lo_u32 v22, v18, s27
	v_mad_u64_u32 v[18:19], s[2:3], v18, s26, 0
	v_add3_u32 v19, v19, v22, v21
	v_mul_lo_u32 v21, v14, s27
	v_add3_u32 v25, v25, v21, v20
	v_lshlrev_b64 v[20:21], 1, v[18:19]
	v_mov_b32_e32 v18, s17
	v_add_co_u32_e32 v22, vcc, s16, v20
	v_addc_co_u32_e64 v23, s[2:3], v18, v21, vcc
	v_lshlrev_b64 v[18:19], 1, v[24:25]
	v_mov_b32_e32 v20, s17
	v_add_co_u32_e64 v24, s[2:3], s16, v18
	v_addc_co_u32_e64 v25, s[4:5], v20, v19, s[2:3]
	global_load_ushort v18, v[24:25], off
	global_load_ushort v20, v[22:23], off
	s_waitcnt vmcnt(1)
	v_lshlrev_b32_e32 v18, 16, v18
	s_waitcnt vmcnt(0)
	v_lshlrev_b32_e32 v20, 16, v20
	v_cmp_eq_f32_e64 s[4:5], v20, v18
	s_and_saveexec_b64 s[10:11], s[4:5]
	s_cbranch_execz .LBB1215_203
; %bb.197:
	v_mov_b32_e32 v18, s17
	v_addc_co_u32_e64 v19, s[2:3], v19, v18, s[2:3]
	v_add_co_u32_e64 v18, s[2:3], 2, v24
	v_mov_b32_e32 v20, s17
	v_addc_co_u32_e64 v19, s[2:3], 0, v19, s[2:3]
	v_addc_co_u32_e32 v21, vcc, v21, v20, vcc
	v_add_co_u32_e32 v20, vcc, 2, v22
	s_add_u32 s2, s26, -1
	v_addc_co_u32_e32 v21, vcc, 0, v21, vcc
	s_addc_u32 s3, s27, -1
	s_mov_b64 s[4:5], 0
	s_mov_b64 s[38:39], 0
                                        ; implicit-def: $sgpr16_sgpr17
	s_branch .LBB1215_200
.LBB1215_198:                           ;   in Loop: Header=BB1215_200 Depth=1
	global_load_ushort v22, v[18:19], off
	global_load_ushort v23, v[20:21], off
	v_add_co_u32_e32 v18, vcc, 2, v18
	v_addc_co_u32_e32 v19, vcc, 0, v19, vcc
	v_add_co_u32_e32 v20, vcc, 2, v20
	v_addc_co_u32_e32 v21, vcc, 0, v21, vcc
	s_add_u32 s38, s38, 1
	s_addc_u32 s39, s39, 0
	s_andn2_b64 s[16:17], s[16:17], exec
	s_waitcnt vmcnt(1)
	v_lshlrev_b32_e32 v22, 16, v22
	s_waitcnt vmcnt(0)
	v_lshlrev_b32_e32 v23, 16, v23
	v_cmp_neq_f32_e32 vcc, v23, v22
	s_and_b64 s[40:41], vcc, exec
	s_or_b64 s[16:17], s[16:17], s[40:41]
.LBB1215_199:                           ;   in Loop: Header=BB1215_200 Depth=1
	s_and_b64 s[40:41], exec, s[16:17]
	s_or_b64 s[4:5], s[40:41], s[4:5]
	v_pk_mov_b32 v[22:23], s[38:39], s[38:39] op_sel:[0,1]
	s_andn2_b64 exec, exec, s[4:5]
	s_cbranch_execz .LBB1215_202
.LBB1215_200:                           ; =>This Inner Loop Header: Depth=1
	s_or_b64 s[16:17], s[16:17], exec
	s_cmp_eq_u64 s[2:3], s[38:39]
	s_cbranch_scc0 .LBB1215_198
; %bb.201:                              ;   in Loop: Header=BB1215_200 Depth=1
                                        ; implicit-def: $vgpr18_vgpr19
                                        ; implicit-def: $vgpr20_vgpr21
	s_mov_b64 s[38:39], s[26:27]
	s_branch .LBB1215_199
.LBB1215_202:
	s_or_b64 exec, exec, s[4:5]
	v_cmp_gt_i64_e32 vcc, s[26:27], v[22:23]
	s_orn2_b64 s[38:39], vcc, exec
.LBB1215_203:
	s_or_b64 exec, exec, s[10:11]
.LBB1215_204:
	s_and_b64 s[2:3], s[38:39], exec
.LBB1215_205:
	s_or_b64 exec, exec, s[8:9]
	s_and_b64 s[38:39], s[2:3], exec
	s_or_b64 s[14:15], s[14:15], exec
.LBB1215_206:
	s_or_b64 exec, exec, s[6:7]
.LBB1215_207:
	s_and_saveexec_b64 s[2:3], s[14:15]
	s_cbranch_execz .LBB1215_209
; %bb.208:
	s_waitcnt vmcnt(0) lgkmcnt(0)
	v_and_b32_e32 v18, 0xffffff00, v28
	v_cndmask_b32_e64 v19, 0, 1, s[38:39]
	v_or_b32_e32 v18, v19, v18
	v_and_b32_e32 v18, 0xffff, v18
	s_mov_b32 s4, 0xffff0000
	v_and_or_b32 v28, v28, s4, v18
.LBB1215_209:
	s_or_b64 exec, exec, s[2:3]
	s_andn2_b64 vcc, exec, s[12:13]
	s_cbranch_vccnz .LBB1215_211
; %bb.210:
	v_cmp_gt_u32_e32 vcc, s48, v1
	s_waitcnt vmcnt(0) lgkmcnt(0)
	v_cndmask_b32_e32 v18, 0, v28, vcc
	v_or_b32_e32 v19, 1, v1
	v_and_b32_e32 v18, 0xff, v18
	v_cmp_gt_u32_e32 vcc, s48, v19
	v_cndmask_b32_e32 v18, v18, v28, vcc
	v_or_b32_e32 v19, 2, v1
	v_and_b32_e32 v18, 0xffff, v18
	v_cmp_gt_u32_e32 vcc, s48, v19
	;; [unrolled: 4-line block ×3, first 2 shown]
	v_cndmask_b32_e32 v28, v18, v28, vcc
.LBB1215_211:
	v_bfe_u32 v30, v28, 16, 8
	v_lshrrev_b32_e32 v29, 24, v28
	s_waitcnt vmcnt(0) lgkmcnt(0)
	v_add_u32_sdwa v18, v28, v28 dst_sel:DWORD dst_unused:UNUSED_PAD src0_sel:BYTE_1 src1_sel:BYTE_0
	v_add3_u32 v33, v18, v30, v29
	v_mbcnt_lo_u32_b32 v18, -1, 0
	v_mbcnt_hi_u32_b32 v31, -1, v18
	v_and_b32_e32 v18, 15, v31
	v_cmp_eq_u32_e64 s[14:15], 0, v18
	v_cmp_lt_u32_e64 s[12:13], 1, v18
	v_cmp_lt_u32_e64 s[10:11], 3, v18
	;; [unrolled: 1-line block ×3, first 2 shown]
	v_and_b32_e32 v18, 16, v31
	v_cmp_eq_u32_e64 s[6:7], 0, v18
	v_or_b32_e32 v18, 63, v0
	v_cmp_lt_u32_e64 s[2:3], 31, v31
	v_lshrrev_b32_e32 v32, 6, v0
	v_cmp_eq_u32_e64 s[4:5], v18, v0
	s_and_b64 vcc, exec, s[36:37]
	s_barrier
	s_cbranch_vccz .LBB1215_242
; %bb.212:
	v_mov_b32_dpp v18, v33 row_shr:1 row_mask:0xf bank_mask:0xf
	v_cndmask_b32_e64 v18, v18, 0, s[14:15]
	v_add_u32_e32 v18, v18, v33
	s_nop 1
	v_mov_b32_dpp v19, v18 row_shr:2 row_mask:0xf bank_mask:0xf
	v_cndmask_b32_e64 v19, 0, v19, s[12:13]
	v_add_u32_e32 v18, v18, v19
	s_nop 1
	;; [unrolled: 4-line block ×4, first 2 shown]
	v_mov_b32_dpp v19, v18 row_bcast:15 row_mask:0xf bank_mask:0xf
	v_cndmask_b32_e64 v19, v19, 0, s[6:7]
	v_add_u32_e32 v18, v18, v19
	s_nop 1
	v_mov_b32_dpp v19, v18 row_bcast:31 row_mask:0xf bank_mask:0xf
	v_cndmask_b32_e64 v19, 0, v19, s[2:3]
	v_add_u32_e32 v18, v18, v19
	s_and_saveexec_b64 s[16:17], s[4:5]
	s_cbranch_execz .LBB1215_214
; %bb.213:
	v_lshlrev_b32_e32 v19, 2, v32
	ds_write_b32 v19, v18
.LBB1215_214:
	s_or_b64 exec, exec, s[16:17]
	v_cmp_gt_u32_e32 vcc, 2, v0
	s_waitcnt lgkmcnt(0)
	s_barrier
	s_and_saveexec_b64 s[16:17], vcc
	s_cbranch_execz .LBB1215_216
; %bb.215:
	ds_read_b32 v19, v1
	v_bfe_i32 v20, v31, 0, 1
	s_waitcnt lgkmcnt(0)
	v_mov_b32_dpp v21, v19 row_shr:1 row_mask:0xf bank_mask:0xf
	v_and_b32_e32 v20, v20, v21
	v_add_u32_e32 v19, v20, v19
	ds_write_b32 v1, v19
.LBB1215_216:
	s_or_b64 exec, exec, s[16:17]
	v_cmp_gt_u32_e32 vcc, 64, v0
	v_cmp_lt_u32_e64 s[16:17], 63, v0
	s_waitcnt lgkmcnt(0)
	s_barrier
	s_waitcnt lgkmcnt(0)
                                        ; implicit-def: $vgpr34
	s_and_saveexec_b64 s[26:27], s[16:17]
	s_cbranch_execz .LBB1215_218
; %bb.217:
	v_lshl_add_u32 v19, v32, 2, -4
	ds_read_b32 v34, v19
	s_waitcnt lgkmcnt(0)
	v_add_u32_e32 v18, v34, v18
.LBB1215_218:
	s_or_b64 exec, exec, s[26:27]
	v_add_u32_e32 v19, -1, v31
	v_and_b32_e32 v20, 64, v31
	v_cmp_lt_i32_e64 s[16:17], v19, v20
	v_cndmask_b32_e64 v19, v19, v31, s[16:17]
	v_lshlrev_b32_e32 v19, 2, v19
	ds_bpermute_b32 v35, v19, v18
	v_cmp_eq_u32_e64 s[16:17], 0, v31
	s_and_saveexec_b64 s[26:27], vcc
	s_cbranch_execz .LBB1215_241
; %bb.219:
	v_mov_b32_e32 v27, 0
	ds_read_b32 v18, v27 offset:4
	s_and_saveexec_b64 s[36:37], s[16:17]
	s_cbranch_execz .LBB1215_221
; %bb.220:
	s_add_i32 s38, s33, 64
	s_mov_b32 s39, 0
	s_lshl_b64 s[38:39], s[38:39], 3
	s_add_u32 s38, s18, s38
	v_mov_b32_e32 v19, 1
	s_addc_u32 s39, s19, s39
	s_waitcnt lgkmcnt(0)
	global_store_dwordx2 v27, v[18:19], s[38:39]
.LBB1215_221:
	s_or_b64 exec, exec, s[36:37]
	v_xad_u32 v20, v31, -1, s33
	v_add_u32_e32 v26, 64, v20
	v_lshlrev_b64 v[22:23], 3, v[26:27]
	v_mov_b32_e32 v19, s19
	v_add_co_u32_e32 v22, vcc, s18, v22
	v_addc_co_u32_e32 v23, vcc, v19, v23, vcc
	global_load_dwordx2 v[24:25], v[22:23], off glc
	s_waitcnt vmcnt(0)
	v_cmp_eq_u16_sdwa s[38:39], v25, v27 src0_sel:BYTE_0 src1_sel:DWORD
	s_and_saveexec_b64 s[36:37], s[38:39]
	s_cbranch_execz .LBB1215_227
; %bb.222:
	s_mov_b32 s40, 1
	s_mov_b64 s[38:39], 0
	v_mov_b32_e32 v19, 0
.LBB1215_223:                           ; =>This Loop Header: Depth=1
                                        ;     Child Loop BB1215_224 Depth 2
	s_max_u32 s41, s40, 1
.LBB1215_224:                           ;   Parent Loop BB1215_223 Depth=1
                                        ; =>  This Inner Loop Header: Depth=2
	s_add_i32 s41, s41, -1
	s_cmp_eq_u32 s41, 0
	s_sleep 1
	s_cbranch_scc0 .LBB1215_224
; %bb.225:                              ;   in Loop: Header=BB1215_223 Depth=1
	global_load_dwordx2 v[24:25], v[22:23], off glc
	s_cmp_lt_u32 s40, 32
	s_cselect_b64 s[42:43], -1, 0
	s_cmp_lg_u64 s[42:43], 0
	s_addc_u32 s40, s40, 0
	s_waitcnt vmcnt(0)
	v_cmp_ne_u16_sdwa s[42:43], v25, v19 src0_sel:BYTE_0 src1_sel:DWORD
	s_or_b64 s[38:39], s[42:43], s[38:39]
	s_andn2_b64 exec, exec, s[38:39]
	s_cbranch_execnz .LBB1215_223
; %bb.226:
	s_or_b64 exec, exec, s[38:39]
.LBB1215_227:
	s_or_b64 exec, exec, s[36:37]
	v_and_b32_e32 v36, 63, v31
	v_mov_b32_e32 v19, 2
	v_cmp_ne_u32_e32 vcc, 63, v36
	v_cmp_eq_u16_sdwa s[36:37], v25, v19 src0_sel:BYTE_0 src1_sel:DWORD
	v_lshlrev_b64 v[22:23], v31, -1
	v_addc_co_u32_e32 v27, vcc, 0, v31, vcc
	v_and_b32_e32 v21, s37, v23
	v_lshlrev_b32_e32 v37, 2, v27
	v_or_b32_e32 v21, 0x80000000, v21
	ds_bpermute_b32 v27, v37, v24
	v_and_b32_e32 v26, s36, v22
	v_ffbl_b32_e32 v21, v21
	v_add_u32_e32 v21, 32, v21
	v_ffbl_b32_e32 v26, v26
	v_min_u32_e32 v21, v26, v21
	v_cmp_lt_u32_e32 vcc, v36, v21
	s_waitcnt lgkmcnt(0)
	v_cndmask_b32_e32 v26, 0, v27, vcc
	v_cmp_gt_u32_e32 vcc, 62, v36
	v_add_u32_e32 v24, v26, v24
	v_cndmask_b32_e64 v26, 0, 1, vcc
	v_lshlrev_b32_e32 v26, 1, v26
	v_add_lshl_u32 v38, v26, v31, 2
	ds_bpermute_b32 v26, v38, v24
	v_add_u32_e32 v39, 2, v36
	v_cmp_le_u32_e32 vcc, v39, v21
	v_add_u32_e32 v41, 4, v36
	v_add_u32_e32 v43, 8, v36
	s_waitcnt lgkmcnt(0)
	v_cndmask_b32_e32 v26, 0, v26, vcc
	v_cmp_gt_u32_e32 vcc, 60, v36
	v_add_u32_e32 v24, v24, v26
	v_cndmask_b32_e64 v26, 0, 1, vcc
	v_lshlrev_b32_e32 v26, 2, v26
	v_add_lshl_u32 v40, v26, v31, 2
	ds_bpermute_b32 v26, v40, v24
	v_cmp_le_u32_e32 vcc, v41, v21
	v_add_u32_e32 v46, 16, v36
	v_add_u32_e32 v48, 32, v36
	s_waitcnt lgkmcnt(0)
	v_cndmask_b32_e32 v26, 0, v26, vcc
	v_cmp_gt_u32_e32 vcc, 56, v36
	v_add_u32_e32 v24, v24, v26
	v_cndmask_b32_e64 v26, 0, 1, vcc
	v_lshlrev_b32_e32 v26, 3, v26
	v_add_lshl_u32 v42, v26, v31, 2
	ds_bpermute_b32 v26, v42, v24
	v_cmp_le_u32_e32 vcc, v43, v21
	s_waitcnt lgkmcnt(0)
	v_cndmask_b32_e32 v26, 0, v26, vcc
	v_cmp_gt_u32_e32 vcc, 48, v36
	v_add_u32_e32 v24, v24, v26
	v_cndmask_b32_e64 v26, 0, 1, vcc
	v_lshlrev_b32_e32 v26, 4, v26
	v_add_lshl_u32 v45, v26, v31, 2
	ds_bpermute_b32 v26, v45, v24
	v_cmp_le_u32_e32 vcc, v46, v21
	;; [unrolled: 9-line block ×3, first 2 shown]
	s_waitcnt lgkmcnt(0)
	v_cndmask_b32_e32 v21, 0, v26, vcc
	v_add_u32_e32 v24, v24, v21
	v_mov_b32_e32 v21, 0
	s_branch .LBB1215_229
.LBB1215_228:                           ;   in Loop: Header=BB1215_229 Depth=1
	s_or_b64 exec, exec, s[36:37]
	v_cmp_eq_u16_sdwa s[36:37], v25, v19 src0_sel:BYTE_0 src1_sel:DWORD
	v_and_b32_e32 v26, s37, v23
	v_or_b32_e32 v26, 0x80000000, v26
	ds_bpermute_b32 v49, v37, v24
	v_and_b32_e32 v27, s36, v22
	v_ffbl_b32_e32 v26, v26
	v_add_u32_e32 v26, 32, v26
	v_ffbl_b32_e32 v27, v27
	v_min_u32_e32 v26, v27, v26
	v_cmp_lt_u32_e32 vcc, v36, v26
	s_waitcnt lgkmcnt(0)
	v_cndmask_b32_e32 v27, 0, v49, vcc
	v_add_u32_e32 v24, v27, v24
	ds_bpermute_b32 v27, v38, v24
	v_cmp_le_u32_e32 vcc, v39, v26
	v_subrev_u32_e32 v20, 64, v20
	s_waitcnt lgkmcnt(0)
	v_cndmask_b32_e32 v27, 0, v27, vcc
	v_add_u32_e32 v24, v24, v27
	ds_bpermute_b32 v27, v40, v24
	v_cmp_le_u32_e32 vcc, v41, v26
	s_waitcnt lgkmcnt(0)
	v_cndmask_b32_e32 v27, 0, v27, vcc
	v_add_u32_e32 v24, v24, v27
	ds_bpermute_b32 v27, v42, v24
	v_cmp_le_u32_e32 vcc, v43, v26
	;; [unrolled: 5-line block ×4, first 2 shown]
	s_waitcnt lgkmcnt(0)
	v_cndmask_b32_e32 v26, 0, v27, vcc
	v_add3_u32 v24, v26, v44, v24
.LBB1215_229:                           ; =>This Loop Header: Depth=1
                                        ;     Child Loop BB1215_232 Depth 2
                                        ;       Child Loop BB1215_233 Depth 3
	v_cmp_ne_u16_sdwa s[36:37], v25, v19 src0_sel:BYTE_0 src1_sel:DWORD
	v_cndmask_b32_e64 v25, 0, 1, s[36:37]
	;;#ASMSTART
	;;#ASMEND
	v_cmp_ne_u32_e32 vcc, 0, v25
	s_cmp_lg_u64 vcc, exec
	v_mov_b32_e32 v44, v24
	s_cbranch_scc1 .LBB1215_236
; %bb.230:                              ;   in Loop: Header=BB1215_229 Depth=1
	v_lshlrev_b64 v[24:25], 3, v[20:21]
	v_mov_b32_e32 v27, s19
	v_add_co_u32_e32 v26, vcc, s18, v24
	v_addc_co_u32_e32 v27, vcc, v27, v25, vcc
	global_load_dwordx2 v[24:25], v[26:27], off glc
	s_waitcnt vmcnt(0)
	v_cmp_eq_u16_sdwa s[38:39], v25, v21 src0_sel:BYTE_0 src1_sel:DWORD
	s_and_saveexec_b64 s[36:37], s[38:39]
	s_cbranch_execz .LBB1215_228
; %bb.231:                              ;   in Loop: Header=BB1215_229 Depth=1
	s_mov_b32 s40, 1
	s_mov_b64 s[38:39], 0
.LBB1215_232:                           ;   Parent Loop BB1215_229 Depth=1
                                        ; =>  This Loop Header: Depth=2
                                        ;       Child Loop BB1215_233 Depth 3
	s_max_u32 s41, s40, 1
.LBB1215_233:                           ;   Parent Loop BB1215_229 Depth=1
                                        ;     Parent Loop BB1215_232 Depth=2
                                        ; =>    This Inner Loop Header: Depth=3
	s_add_i32 s41, s41, -1
	s_cmp_eq_u32 s41, 0
	s_sleep 1
	s_cbranch_scc0 .LBB1215_233
; %bb.234:                              ;   in Loop: Header=BB1215_232 Depth=2
	global_load_dwordx2 v[24:25], v[26:27], off glc
	s_cmp_lt_u32 s40, 32
	s_cselect_b64 s[42:43], -1, 0
	s_cmp_lg_u64 s[42:43], 0
	s_addc_u32 s40, s40, 0
	s_waitcnt vmcnt(0)
	v_cmp_ne_u16_sdwa s[42:43], v25, v21 src0_sel:BYTE_0 src1_sel:DWORD
	s_or_b64 s[38:39], s[42:43], s[38:39]
	s_andn2_b64 exec, exec, s[38:39]
	s_cbranch_execnz .LBB1215_232
; %bb.235:                              ;   in Loop: Header=BB1215_229 Depth=1
	s_or_b64 exec, exec, s[38:39]
	s_branch .LBB1215_228
.LBB1215_236:                           ;   in Loop: Header=BB1215_229 Depth=1
                                        ; implicit-def: $vgpr24
                                        ; implicit-def: $vgpr25
	s_cbranch_execz .LBB1215_229
; %bb.237:
	s_and_saveexec_b64 s[36:37], s[16:17]
	s_cbranch_execz .LBB1215_239
; %bb.238:
	s_add_i32 s38, s33, 64
	s_mov_b32 s39, 0
	s_lshl_b64 s[38:39], s[38:39], 3
	s_add_u32 s38, s18, s38
	v_add_u32_e32 v20, v44, v18
	v_mov_b32_e32 v21, 2
	s_addc_u32 s39, s19, s39
	v_mov_b32_e32 v19, 0
	s_movk_i32 s33, 0x1000
	global_store_dwordx2 v19, v[20:21], s[38:39]
	v_add_u32_e64 v19, s33, 0
	ds_write2_b32 v19, v18, v44 offset0:32 offset1:34
.LBB1215_239:
	s_or_b64 exec, exec, s[36:37]
	s_and_b64 exec, exec, s[0:1]
	s_cbranch_execz .LBB1215_241
; %bb.240:
	v_mov_b32_e32 v18, 0
	ds_write_b32 v18, v44 offset:4
.LBB1215_241:
	s_or_b64 exec, exec, s[26:27]
	v_mov_b32_e32 v19, 0
	s_waitcnt lgkmcnt(0)
	s_barrier
	ds_read_b32 v19, v19 offset:4
	v_cndmask_b32_e64 v18, v35, v34, s[16:17]
	s_movk_i32 s16, 0x1000
	v_add_u32_e64 v20, s16, 0
	s_waitcnt lgkmcnt(0)
	s_barrier
	ds_read2_b32 v[26:27], v20 offset0:32 offset1:34
	v_cndmask_b32_e64 v18, v18, 0, s[0:1]
	v_add_u32_e32 v24, v19, v18
	v_add_u32_sdwa v22, v24, v28 dst_sel:DWORD dst_unused:UNUSED_PAD src0_sel:DWORD src1_sel:BYTE_0
	v_add_u32_sdwa v20, v22, v28 dst_sel:DWORD dst_unused:UNUSED_PAD src0_sel:DWORD src1_sel:BYTE_1
	v_add_u32_e32 v18, v20, v30
	s_waitcnt lgkmcnt(0)
	v_readfirstlane_b32 s33, v26
	v_readfirstlane_b32 s16, v27
	s_branch .LBB1215_252
.LBB1215_242:
                                        ; implicit-def: $vgpr18
                                        ; implicit-def: $vgpr20
                                        ; implicit-def: $vgpr22
                                        ; implicit-def: $vgpr24
                                        ; implicit-def: $sgpr16
                                        ; implicit-def: $sgpr33
	s_cbranch_execz .LBB1215_252
; %bb.243:
	s_nop 0
	v_mov_b32_dpp v18, v33 row_shr:1 row_mask:0xf bank_mask:0xf
	v_cndmask_b32_e64 v18, v18, 0, s[14:15]
	v_add_u32_e32 v18, v18, v33
	s_nop 1
	v_mov_b32_dpp v19, v18 row_shr:2 row_mask:0xf bank_mask:0xf
	v_cndmask_b32_e64 v19, 0, v19, s[12:13]
	v_add_u32_e32 v18, v18, v19
	s_nop 1
	v_mov_b32_dpp v19, v18 row_shr:4 row_mask:0xf bank_mask:0xf
	v_cndmask_b32_e64 v19, 0, v19, s[10:11]
	v_add_u32_e32 v18, v18, v19
	s_nop 1
	v_mov_b32_dpp v19, v18 row_shr:8 row_mask:0xf bank_mask:0xf
	v_cndmask_b32_e64 v19, 0, v19, s[8:9]
	v_add_u32_e32 v18, v18, v19
	s_nop 1
	v_mov_b32_dpp v19, v18 row_bcast:15 row_mask:0xf bank_mask:0xf
	v_cndmask_b32_e64 v19, v19, 0, s[6:7]
	v_add_u32_e32 v18, v18, v19
	s_nop 1
	v_mov_b32_dpp v19, v18 row_bcast:31 row_mask:0xf bank_mask:0xf
	v_cndmask_b32_e64 v19, 0, v19, s[2:3]
	v_add_u32_e32 v18, v18, v19
	s_and_saveexec_b64 s[2:3], s[4:5]
	s_cbranch_execz .LBB1215_245
; %bb.244:
	v_lshlrev_b32_e32 v19, 2, v32
	ds_write_b32 v19, v18
.LBB1215_245:
	s_or_b64 exec, exec, s[2:3]
	v_cmp_gt_u32_e32 vcc, 2, v0
	s_waitcnt lgkmcnt(0)
	s_barrier
	s_and_saveexec_b64 s[2:3], vcc
	s_cbranch_execz .LBB1215_247
; %bb.246:
	ds_read_b32 v19, v1
	v_bfe_i32 v20, v31, 0, 1
	s_waitcnt lgkmcnt(0)
	v_mov_b32_dpp v21, v19 row_shr:1 row_mask:0xf bank_mask:0xf
	v_and_b32_e32 v20, v20, v21
	v_add_u32_e32 v19, v20, v19
	ds_write_b32 v1, v19
.LBB1215_247:
	s_or_b64 exec, exec, s[2:3]
	v_cmp_lt_u32_e32 vcc, 63, v0
	v_mov_b32_e32 v19, 0
	v_mov_b32_e32 v1, 0
	s_waitcnt lgkmcnt(0)
	s_barrier
	s_and_saveexec_b64 s[2:3], vcc
	s_cbranch_execz .LBB1215_249
; %bb.248:
	v_lshl_add_u32 v1, v32, 2, -4
	ds_read_b32 v1, v1
.LBB1215_249:
	s_or_b64 exec, exec, s[2:3]
	v_add_u32_e32 v20, -1, v31
	v_and_b32_e32 v21, 64, v31
	v_cmp_lt_i32_e32 vcc, v20, v21
	v_cndmask_b32_e32 v20, v20, v31, vcc
	s_waitcnt lgkmcnt(0)
	v_add_u32_e32 v18, v1, v18
	v_lshlrev_b32_e32 v20, 2, v20
	ds_read_b32 v19, v19 offset:4
	ds_bpermute_b32 v18, v20, v18
	s_waitcnt lgkmcnt(1)
	v_readfirstlane_b32 s33, v19
	s_and_saveexec_b64 s[2:3], s[0:1]
	s_cbranch_execz .LBB1215_251
; %bb.250:
	v_mov_b32_e32 v19, 0
	v_mov_b32_e32 v20, s33
	;; [unrolled: 1-line block ×3, first 2 shown]
	global_store_dwordx2 v19, v[20:21], s[18:19] offset:512
.LBB1215_251:
	s_or_b64 exec, exec, s[2:3]
	v_cmp_eq_u32_e32 vcc, 0, v31
	s_waitcnt lgkmcnt(0)
	v_cndmask_b32_e32 v1, v18, v1, vcc
	v_cndmask_b32_e64 v24, v1, 0, s[0:1]
	v_add_u32_sdwa v22, v24, v28 dst_sel:DWORD dst_unused:UNUSED_PAD src0_sel:DWORD src1_sel:BYTE_0
	v_add_u32_sdwa v20, v22, v28 dst_sel:DWORD dst_unused:UNUSED_PAD src0_sel:DWORD src1_sel:BYTE_1
	s_mov_b32 s16, 0
	v_add_u32_e32 v18, v20, v30
	s_barrier
.LBB1215_252:
	s_cmpk_lt_u32 s33, 0x81
	s_cselect_b64 s[4:5], -1, 0
	v_lshrrev_b32_e32 v1, 8, v28
	s_mov_b64 s[2:3], -1
	s_and_b64 vcc, exec, s[4:5]
	s_cbranch_vccz .LBB1215_266
; %bb.253:
	s_add_i32 s6, s16, s33
	v_cmp_gt_u32_e32 vcc, s6, v24
	s_or_b64 s[8:9], s[34:35], vcc
	s_and_saveexec_b64 s[2:3], s[8:9]
	s_cbranch_execz .LBB1215_256
; %bb.254:
	v_and_b32_e32 v19, 1, v28
	v_cmp_eq_u32_e32 vcc, 1, v19
	s_and_b64 exec, exec, vcc
	s_cbranch_execz .LBB1215_256
; %bb.255:
	s_lshl_b64 s[8:9], s[22:23], 3
	s_add_u32 s7, s28, s8
	v_mov_b32_e32 v25, 0
	s_addc_u32 s8, s29, s9
	v_lshlrev_b64 v[26:27], 3, v[24:25]
	v_mov_b32_e32 v19, s8
	v_add_co_u32_e32 v26, vcc, s7, v26
	v_addc_co_u32_e32 v27, vcc, v19, v27, vcc
	global_store_dwordx2 v[26:27], v[14:15], off
.LBB1215_256:
	s_or_b64 exec, exec, s[2:3]
	v_cmp_gt_u32_e32 vcc, s6, v22
	s_or_b64 s[8:9], s[34:35], vcc
	s_and_saveexec_b64 s[2:3], s[8:9]
	s_cbranch_execz .LBB1215_259
; %bb.257:
	v_and_b32_e32 v19, 1, v1
	v_cmp_eq_u32_e32 vcc, 1, v19
	s_and_b64 exec, exec, vcc
	s_cbranch_execz .LBB1215_259
; %bb.258:
	s_lshl_b64 s[8:9], s[22:23], 3
	s_add_u32 s7, s28, s8
	v_mov_b32_e32 v23, 0
	s_addc_u32 s8, s29, s9
	v_lshlrev_b64 v[26:27], 3, v[22:23]
	v_mov_b32_e32 v19, s8
	v_add_co_u32_e32 v26, vcc, s7, v26
	v_addc_co_u32_e32 v27, vcc, v19, v27, vcc
	global_store_dwordx2 v[26:27], v[16:17], off
.LBB1215_259:
	s_or_b64 exec, exec, s[2:3]
	v_cmp_gt_u32_e32 vcc, s6, v20
	s_or_b64 s[8:9], s[34:35], vcc
	s_and_saveexec_b64 s[2:3], s[8:9]
	s_cbranch_execz .LBB1215_262
; %bb.260:
	v_mov_b32_e32 v19, 1
	v_and_b32_sdwa v19, v19, v28 dst_sel:DWORD dst_unused:UNUSED_PAD src0_sel:DWORD src1_sel:WORD_1
	v_cmp_eq_u32_e32 vcc, 1, v19
	s_and_b64 exec, exec, vcc
	s_cbranch_execz .LBB1215_262
; %bb.261:
	s_lshl_b64 s[8:9], s[22:23], 3
	s_add_u32 s7, s28, s8
	v_mov_b32_e32 v21, 0
	s_addc_u32 s8, s29, s9
	v_lshlrev_b64 v[26:27], 3, v[20:21]
	v_mov_b32_e32 v19, s8
	v_add_co_u32_e32 v26, vcc, s7, v26
	v_addc_co_u32_e32 v27, vcc, v19, v27, vcc
	global_store_dwordx2 v[26:27], v[10:11], off
.LBB1215_262:
	s_or_b64 exec, exec, s[2:3]
	v_cmp_gt_u32_e32 vcc, s6, v18
	s_or_b64 s[6:7], s[34:35], vcc
	s_and_saveexec_b64 s[2:3], s[6:7]
	s_cbranch_execz .LBB1215_265
; %bb.263:
	v_and_b32_e32 v19, 1, v29
	v_cmp_eq_u32_e32 vcc, 1, v19
	s_and_b64 exec, exec, vcc
	s_cbranch_execz .LBB1215_265
; %bb.264:
	s_lshl_b64 s[6:7], s[22:23], 3
	s_add_u32 s6, s28, s6
	v_mov_b32_e32 v19, 0
	s_addc_u32 s7, s29, s7
	v_lshlrev_b64 v[26:27], 3, v[18:19]
	v_mov_b32_e32 v19, s7
	v_add_co_u32_e32 v26, vcc, s6, v26
	v_addc_co_u32_e32 v27, vcc, v19, v27, vcc
	global_store_dwordx2 v[26:27], v[12:13], off
.LBB1215_265:
	s_or_b64 exec, exec, s[2:3]
	s_mov_b64 s[2:3], 0
.LBB1215_266:
	v_and_b32_e32 v26, 1, v28
	s_and_b64 vcc, exec, s[2:3]
	v_cmp_eq_u32_e64 s[2:3], 1, v26
	s_cbranch_vccz .LBB1215_279
; %bb.267:
	s_and_saveexec_b64 s[6:7], s[2:3]
	s_cbranch_execz .LBB1215_269
; %bb.268:
	v_subrev_u32_e32 v19, s16, v24
	v_lshlrev_b32_e32 v19, 3, v19
	ds_write_b64 v19, v[14:15]
.LBB1215_269:
	s_or_b64 exec, exec, s[6:7]
	v_and_b32_e32 v14, 1, v1
	v_cmp_eq_u32_e32 vcc, 1, v14
	s_and_saveexec_b64 s[2:3], vcc
	s_cbranch_execz .LBB1215_271
; %bb.270:
	v_subrev_u32_e32 v14, s16, v22
	v_lshlrev_b32_e32 v14, 3, v14
	ds_write_b64 v14, v[16:17]
.LBB1215_271:
	s_or_b64 exec, exec, s[2:3]
	v_mov_b32_e32 v14, 1
	v_and_b32_sdwa v14, v14, v28 dst_sel:DWORD dst_unused:UNUSED_PAD src0_sel:DWORD src1_sel:WORD_1
	v_cmp_eq_u32_e32 vcc, 1, v14
	s_and_saveexec_b64 s[2:3], vcc
	s_cbranch_execz .LBB1215_273
; %bb.272:
	v_subrev_u32_e32 v14, s16, v20
	v_lshlrev_b32_e32 v14, 3, v14
	ds_write_b64 v14, v[10:11]
.LBB1215_273:
	s_or_b64 exec, exec, s[2:3]
	v_and_b32_e32 v10, 1, v29
	v_cmp_eq_u32_e32 vcc, 1, v10
	s_and_saveexec_b64 s[2:3], vcc
	s_cbranch_execz .LBB1215_275
; %bb.274:
	v_subrev_u32_e32 v10, s16, v18
	v_lshlrev_b32_e32 v10, 3, v10
	ds_write_b64 v10, v[12:13]
.LBB1215_275:
	s_or_b64 exec, exec, s[2:3]
	v_cmp_gt_u32_e32 vcc, s33, v0
	s_waitcnt lgkmcnt(0)
	s_barrier
	s_and_saveexec_b64 s[2:3], vcc
	s_cbranch_execz .LBB1215_278
; %bb.276:
	s_mov_b32 s17, 0
	s_lshl_b64 s[6:7], s[16:17], 3
	s_add_u32 s8, s28, s6
	s_addc_u32 s9, s29, s7
	s_lshl_b64 s[6:7], s[22:23], 3
	s_add_u32 s8, s8, s6
	s_addc_u32 s9, s9, s7
	v_lshlrev_b32_e32 v12, 3, v0
	s_mov_b64 s[6:7], 0
	v_mov_b32_e32 v11, 0
	v_mov_b32_e32 v13, s9
	;; [unrolled: 1-line block ×3, first 2 shown]
.LBB1215_277:                           ; =>This Inner Loop Header: Depth=1
	ds_read_b64 v[14:15], v12
	v_lshlrev_b64 v[16:17], 3, v[10:11]
	v_add_co_u32_e32 v16, vcc, s8, v16
	v_add_u32_e32 v10, 0x80, v10
	v_addc_co_u32_e32 v17, vcc, v13, v17, vcc
	v_cmp_le_u32_e32 vcc, s33, v10
	v_add_u32_e32 v12, 0x400, v12
	s_or_b64 s[6:7], vcc, s[6:7]
	s_waitcnt lgkmcnt(0)
	global_store_dwordx2 v[16:17], v[14:15], off
	s_andn2_b64 exec, exec, s[6:7]
	s_cbranch_execnz .LBB1215_277
.LBB1215_278:
	s_or_b64 exec, exec, s[2:3]
.LBB1215_279:
	s_mov_b64 s[2:3], -1
	s_and_b64 vcc, exec, s[4:5]
	s_barrier
	s_cbranch_vccnz .LBB1215_283
; %bb.280:
	s_and_b64 vcc, exec, s[2:3]
	s_cbranch_vccnz .LBB1215_296
.LBB1215_281:
	s_and_b64 s[0:1], s[0:1], s[24:25]
	s_and_saveexec_b64 s[2:3], s[0:1]
	s_cbranch_execnz .LBB1215_308
.LBB1215_282:
	s_endpgm
.LBB1215_283:
	s_add_i32 s4, s16, s33
	v_cmp_gt_u32_e32 vcc, s4, v24
	s_or_b64 s[6:7], s[34:35], vcc
	s_and_saveexec_b64 s[2:3], s[6:7]
	s_cbranch_execz .LBB1215_286
; %bb.284:
	v_cmp_eq_u32_e32 vcc, 1, v26
	s_and_b64 exec, exec, vcc
	s_cbranch_execz .LBB1215_286
; %bb.285:
	s_lshl_b64 s[6:7], s[22:23], 3
	s_add_u32 s5, s30, s6
	v_mov_b32_e32 v25, 0
	s_addc_u32 s6, s31, s7
	v_lshlrev_b64 v[10:11], 3, v[24:25]
	v_mov_b32_e32 v12, s6
	v_add_co_u32_e32 v10, vcc, s5, v10
	v_addc_co_u32_e32 v11, vcc, v12, v11, vcc
	global_store_dwordx2 v[10:11], v[6:7], off
.LBB1215_286:
	s_or_b64 exec, exec, s[2:3]
	v_cmp_gt_u32_e32 vcc, s4, v22
	s_or_b64 s[6:7], s[34:35], vcc
	s_and_saveexec_b64 s[2:3], s[6:7]
	s_cbranch_execz .LBB1215_289
; %bb.287:
	v_and_b32_e32 v10, 1, v1
	v_cmp_eq_u32_e32 vcc, 1, v10
	s_and_b64 exec, exec, vcc
	s_cbranch_execz .LBB1215_289
; %bb.288:
	s_lshl_b64 s[6:7], s[22:23], 3
	s_add_u32 s5, s30, s6
	v_mov_b32_e32 v23, 0
	s_addc_u32 s6, s31, s7
	v_lshlrev_b64 v[10:11], 3, v[22:23]
	v_mov_b32_e32 v12, s6
	v_add_co_u32_e32 v10, vcc, s5, v10
	v_addc_co_u32_e32 v11, vcc, v12, v11, vcc
	global_store_dwordx2 v[10:11], v[8:9], off
.LBB1215_289:
	s_or_b64 exec, exec, s[2:3]
	v_cmp_gt_u32_e32 vcc, s4, v20
	s_or_b64 s[6:7], s[34:35], vcc
	s_and_saveexec_b64 s[2:3], s[6:7]
	s_cbranch_execz .LBB1215_292
; %bb.290:
	v_mov_b32_e32 v10, 1
	v_and_b32_sdwa v10, v10, v28 dst_sel:DWORD dst_unused:UNUSED_PAD src0_sel:DWORD src1_sel:WORD_1
	v_cmp_eq_u32_e32 vcc, 1, v10
	s_and_b64 exec, exec, vcc
	s_cbranch_execz .LBB1215_292
; %bb.291:
	s_lshl_b64 s[6:7], s[22:23], 3
	s_add_u32 s5, s30, s6
	v_mov_b32_e32 v21, 0
	s_addc_u32 s6, s31, s7
	v_lshlrev_b64 v[10:11], 3, v[20:21]
	v_mov_b32_e32 v12, s6
	v_add_co_u32_e32 v10, vcc, s5, v10
	v_addc_co_u32_e32 v11, vcc, v12, v11, vcc
	global_store_dwordx2 v[10:11], v[2:3], off
.LBB1215_292:
	s_or_b64 exec, exec, s[2:3]
	v_cmp_gt_u32_e32 vcc, s4, v18
	s_or_b64 s[4:5], s[34:35], vcc
	s_and_saveexec_b64 s[2:3], s[4:5]
	s_cbranch_execz .LBB1215_295
; %bb.293:
	v_and_b32_e32 v10, 1, v29
	v_cmp_eq_u32_e32 vcc, 1, v10
	s_and_b64 exec, exec, vcc
	s_cbranch_execz .LBB1215_295
; %bb.294:
	s_lshl_b64 s[4:5], s[22:23], 3
	s_add_u32 s4, s30, s4
	v_mov_b32_e32 v19, 0
	s_addc_u32 s5, s31, s5
	v_lshlrev_b64 v[10:11], 3, v[18:19]
	v_mov_b32_e32 v12, s5
	v_add_co_u32_e32 v10, vcc, s4, v10
	v_addc_co_u32_e32 v11, vcc, v12, v11, vcc
	global_store_dwordx2 v[10:11], v[4:5], off
.LBB1215_295:
	s_or_b64 exec, exec, s[2:3]
	s_branch .LBB1215_281
.LBB1215_296:
	v_cmp_eq_u32_e32 vcc, 1, v26
	s_and_saveexec_b64 s[2:3], vcc
	s_cbranch_execz .LBB1215_298
; %bb.297:
	v_subrev_u32_e32 v10, s16, v24
	v_lshlrev_b32_e32 v10, 3, v10
	ds_write_b64 v10, v[6:7]
.LBB1215_298:
	s_or_b64 exec, exec, s[2:3]
	v_and_b32_e32 v1, 1, v1
	v_cmp_eq_u32_e32 vcc, 1, v1
	s_and_saveexec_b64 s[2:3], vcc
	s_cbranch_execz .LBB1215_300
; %bb.299:
	v_subrev_u32_e32 v1, s16, v22
	v_lshlrev_b32_e32 v1, 3, v1
	ds_write_b64 v1, v[8:9]
.LBB1215_300:
	s_or_b64 exec, exec, s[2:3]
	v_mov_b32_e32 v1, 1
	v_and_b32_sdwa v1, v1, v28 dst_sel:DWORD dst_unused:UNUSED_PAD src0_sel:DWORD src1_sel:WORD_1
	v_cmp_eq_u32_e32 vcc, 1, v1
	s_and_saveexec_b64 s[2:3], vcc
	s_cbranch_execz .LBB1215_302
; %bb.301:
	v_subrev_u32_e32 v1, s16, v20
	v_lshlrev_b32_e32 v1, 3, v1
	ds_write_b64 v1, v[2:3]
.LBB1215_302:
	s_or_b64 exec, exec, s[2:3]
	v_and_b32_e32 v1, 1, v29
	v_cmp_eq_u32_e32 vcc, 1, v1
	s_and_saveexec_b64 s[2:3], vcc
	s_cbranch_execz .LBB1215_304
; %bb.303:
	v_subrev_u32_e32 v1, s16, v18
	v_lshlrev_b32_e32 v1, 3, v1
	ds_write_b64 v1, v[4:5]
.LBB1215_304:
	s_or_b64 exec, exec, s[2:3]
	v_cmp_gt_u32_e32 vcc, s33, v0
	s_waitcnt lgkmcnt(0)
	s_barrier
	s_and_saveexec_b64 s[2:3], vcc
	s_cbranch_execz .LBB1215_307
; %bb.305:
	s_mov_b32 s17, 0
	s_lshl_b64 s[4:5], s[16:17], 3
	s_add_u32 s6, s30, s4
	s_addc_u32 s7, s31, s5
	s_lshl_b64 s[4:5], s[22:23], 3
	s_add_u32 s6, s6, s4
	s_addc_u32 s7, s7, s5
	v_lshlrev_b32_e32 v2, 3, v0
	s_mov_b64 s[4:5], 0
	v_mov_b32_e32 v1, 0
	v_mov_b32_e32 v3, s7
.LBB1215_306:                           ; =>This Inner Loop Header: Depth=1
	ds_read_b64 v[4:5], v2
	v_lshlrev_b64 v[6:7], 3, v[0:1]
	v_add_co_u32_e32 v6, vcc, s6, v6
	v_add_u32_e32 v0, 0x80, v0
	v_addc_co_u32_e32 v7, vcc, v3, v7, vcc
	v_cmp_le_u32_e32 vcc, s33, v0
	v_add_u32_e32 v2, 0x400, v2
	s_or_b64 s[4:5], vcc, s[4:5]
	s_waitcnt lgkmcnt(0)
	global_store_dwordx2 v[6:7], v[4:5], off
	s_andn2_b64 exec, exec, s[4:5]
	s_cbranch_execnz .LBB1215_306
.LBB1215_307:
	s_or_b64 exec, exec, s[2:3]
	s_and_b64 s[0:1], s[0:1], s[24:25]
	s_and_saveexec_b64 s[2:3], s[0:1]
	s_cbranch_execz .LBB1215_282
.LBB1215_308:
	s_add_u32 s0, s22, s33
	s_addc_u32 s1, s23, 0
	s_add_u32 s0, s0, s16
	s_addc_u32 s1, s1, 0
	v_mov_b32_e32 v2, 0
	v_pk_mov_b32 v[0:1], s[0:1], s[0:1] op_sel:[0,1]
	global_store_dwordx2 v2, v[0:1], s[20:21]
	s_endpgm
	.section	.rodata,"a",@progbits
	.p2align	6, 0x0
	.amdhsa_kernel _ZN7rocprim17ROCPRIM_400000_NS6detail17trampoline_kernelINS0_14default_configENS1_25partition_config_selectorILNS1_17partition_subalgoE9EllbEEZZNS1_14partition_implILS5_9ELb0ES3_jPlS8_PNS0_10empty_typeENS0_5tupleIJS8_S9_EEENSB_IJS8_SA_EEENS0_18inequality_wrapperIZN2at6native12_GLOBAL__N_124unique_dim_cuda_templateIN3c108BFloat16EEESt5tupleIJNSF_6TensorESM_SM_EERKSM_lbbbEUlllE0_EEPmJS9_EEE10hipError_tPvRmT3_T4_T5_T6_T7_T9_mT8_P12ihipStream_tbDpT10_ENKUlT_T0_E_clISt17integral_constantIbLb1EES1C_EEDaS17_S18_EUlS17_E_NS1_11comp_targetILNS1_3genE4ELNS1_11target_archE910ELNS1_3gpuE8ELNS1_3repE0EEENS1_30default_config_static_selectorELNS0_4arch9wavefront6targetE1EEEvT1_
		.amdhsa_group_segment_fixed_size 4236
		.amdhsa_private_segment_fixed_size 0
		.amdhsa_kernarg_size 136
		.amdhsa_user_sgpr_count 6
		.amdhsa_user_sgpr_private_segment_buffer 1
		.amdhsa_user_sgpr_dispatch_ptr 0
		.amdhsa_user_sgpr_queue_ptr 0
		.amdhsa_user_sgpr_kernarg_segment_ptr 1
		.amdhsa_user_sgpr_dispatch_id 0
		.amdhsa_user_sgpr_flat_scratch_init 0
		.amdhsa_user_sgpr_kernarg_preload_length 0
		.amdhsa_user_sgpr_kernarg_preload_offset 0
		.amdhsa_user_sgpr_private_segment_size 0
		.amdhsa_uses_dynamic_stack 0
		.amdhsa_system_sgpr_private_segment_wavefront_offset 0
		.amdhsa_system_sgpr_workgroup_id_x 1
		.amdhsa_system_sgpr_workgroup_id_y 0
		.amdhsa_system_sgpr_workgroup_id_z 0
		.amdhsa_system_sgpr_workgroup_info 0
		.amdhsa_system_vgpr_workitem_id 0
		.amdhsa_next_free_vgpr 50
		.amdhsa_next_free_sgpr 52
		.amdhsa_accum_offset 52
		.amdhsa_reserve_vcc 1
		.amdhsa_reserve_flat_scratch 0
		.amdhsa_float_round_mode_32 0
		.amdhsa_float_round_mode_16_64 0
		.amdhsa_float_denorm_mode_32 3
		.amdhsa_float_denorm_mode_16_64 3
		.amdhsa_dx10_clamp 1
		.amdhsa_ieee_mode 1
		.amdhsa_fp16_overflow 0
		.amdhsa_tg_split 0
		.amdhsa_exception_fp_ieee_invalid_op 0
		.amdhsa_exception_fp_denorm_src 0
		.amdhsa_exception_fp_ieee_div_zero 0
		.amdhsa_exception_fp_ieee_overflow 0
		.amdhsa_exception_fp_ieee_underflow 0
		.amdhsa_exception_fp_ieee_inexact 0
		.amdhsa_exception_int_div_zero 0
	.end_amdhsa_kernel
	.section	.text._ZN7rocprim17ROCPRIM_400000_NS6detail17trampoline_kernelINS0_14default_configENS1_25partition_config_selectorILNS1_17partition_subalgoE9EllbEEZZNS1_14partition_implILS5_9ELb0ES3_jPlS8_PNS0_10empty_typeENS0_5tupleIJS8_S9_EEENSB_IJS8_SA_EEENS0_18inequality_wrapperIZN2at6native12_GLOBAL__N_124unique_dim_cuda_templateIN3c108BFloat16EEESt5tupleIJNSF_6TensorESM_SM_EERKSM_lbbbEUlllE0_EEPmJS9_EEE10hipError_tPvRmT3_T4_T5_T6_T7_T9_mT8_P12ihipStream_tbDpT10_ENKUlT_T0_E_clISt17integral_constantIbLb1EES1C_EEDaS17_S18_EUlS17_E_NS1_11comp_targetILNS1_3genE4ELNS1_11target_archE910ELNS1_3gpuE8ELNS1_3repE0EEENS1_30default_config_static_selectorELNS0_4arch9wavefront6targetE1EEEvT1_,"axG",@progbits,_ZN7rocprim17ROCPRIM_400000_NS6detail17trampoline_kernelINS0_14default_configENS1_25partition_config_selectorILNS1_17partition_subalgoE9EllbEEZZNS1_14partition_implILS5_9ELb0ES3_jPlS8_PNS0_10empty_typeENS0_5tupleIJS8_S9_EEENSB_IJS8_SA_EEENS0_18inequality_wrapperIZN2at6native12_GLOBAL__N_124unique_dim_cuda_templateIN3c108BFloat16EEESt5tupleIJNSF_6TensorESM_SM_EERKSM_lbbbEUlllE0_EEPmJS9_EEE10hipError_tPvRmT3_T4_T5_T6_T7_T9_mT8_P12ihipStream_tbDpT10_ENKUlT_T0_E_clISt17integral_constantIbLb1EES1C_EEDaS17_S18_EUlS17_E_NS1_11comp_targetILNS1_3genE4ELNS1_11target_archE910ELNS1_3gpuE8ELNS1_3repE0EEENS1_30default_config_static_selectorELNS0_4arch9wavefront6targetE1EEEvT1_,comdat
.Lfunc_end1215:
	.size	_ZN7rocprim17ROCPRIM_400000_NS6detail17trampoline_kernelINS0_14default_configENS1_25partition_config_selectorILNS1_17partition_subalgoE9EllbEEZZNS1_14partition_implILS5_9ELb0ES3_jPlS8_PNS0_10empty_typeENS0_5tupleIJS8_S9_EEENSB_IJS8_SA_EEENS0_18inequality_wrapperIZN2at6native12_GLOBAL__N_124unique_dim_cuda_templateIN3c108BFloat16EEESt5tupleIJNSF_6TensorESM_SM_EERKSM_lbbbEUlllE0_EEPmJS9_EEE10hipError_tPvRmT3_T4_T5_T6_T7_T9_mT8_P12ihipStream_tbDpT10_ENKUlT_T0_E_clISt17integral_constantIbLb1EES1C_EEDaS17_S18_EUlS17_E_NS1_11comp_targetILNS1_3genE4ELNS1_11target_archE910ELNS1_3gpuE8ELNS1_3repE0EEENS1_30default_config_static_selectorELNS0_4arch9wavefront6targetE1EEEvT1_, .Lfunc_end1215-_ZN7rocprim17ROCPRIM_400000_NS6detail17trampoline_kernelINS0_14default_configENS1_25partition_config_selectorILNS1_17partition_subalgoE9EllbEEZZNS1_14partition_implILS5_9ELb0ES3_jPlS8_PNS0_10empty_typeENS0_5tupleIJS8_S9_EEENSB_IJS8_SA_EEENS0_18inequality_wrapperIZN2at6native12_GLOBAL__N_124unique_dim_cuda_templateIN3c108BFloat16EEESt5tupleIJNSF_6TensorESM_SM_EERKSM_lbbbEUlllE0_EEPmJS9_EEE10hipError_tPvRmT3_T4_T5_T6_T7_T9_mT8_P12ihipStream_tbDpT10_ENKUlT_T0_E_clISt17integral_constantIbLb1EES1C_EEDaS17_S18_EUlS17_E_NS1_11comp_targetILNS1_3genE4ELNS1_11target_archE910ELNS1_3gpuE8ELNS1_3repE0EEENS1_30default_config_static_selectorELNS0_4arch9wavefront6targetE1EEEvT1_
                                        ; -- End function
	.section	.AMDGPU.csdata,"",@progbits
; Kernel info:
; codeLenInByte = 11364
; NumSgprs: 56
; NumVgprs: 50
; NumAgprs: 0
; TotalNumVgprs: 50
; ScratchSize: 0
; MemoryBound: 0
; FloatMode: 240
; IeeeMode: 1
; LDSByteSize: 4236 bytes/workgroup (compile time only)
; SGPRBlocks: 6
; VGPRBlocks: 6
; NumSGPRsForWavesPerEU: 56
; NumVGPRsForWavesPerEU: 50
; AccumOffset: 52
; Occupancy: 8
; WaveLimiterHint : 1
; COMPUTE_PGM_RSRC2:SCRATCH_EN: 0
; COMPUTE_PGM_RSRC2:USER_SGPR: 6
; COMPUTE_PGM_RSRC2:TRAP_HANDLER: 0
; COMPUTE_PGM_RSRC2:TGID_X_EN: 1
; COMPUTE_PGM_RSRC2:TGID_Y_EN: 0
; COMPUTE_PGM_RSRC2:TGID_Z_EN: 0
; COMPUTE_PGM_RSRC2:TIDIG_COMP_CNT: 0
; COMPUTE_PGM_RSRC3_GFX90A:ACCUM_OFFSET: 12
; COMPUTE_PGM_RSRC3_GFX90A:TG_SPLIT: 0
	.section	.text._ZN7rocprim17ROCPRIM_400000_NS6detail17trampoline_kernelINS0_14default_configENS1_25partition_config_selectorILNS1_17partition_subalgoE9EllbEEZZNS1_14partition_implILS5_9ELb0ES3_jPlS8_PNS0_10empty_typeENS0_5tupleIJS8_S9_EEENSB_IJS8_SA_EEENS0_18inequality_wrapperIZN2at6native12_GLOBAL__N_124unique_dim_cuda_templateIN3c108BFloat16EEESt5tupleIJNSF_6TensorESM_SM_EERKSM_lbbbEUlllE0_EEPmJS9_EEE10hipError_tPvRmT3_T4_T5_T6_T7_T9_mT8_P12ihipStream_tbDpT10_ENKUlT_T0_E_clISt17integral_constantIbLb1EES1C_EEDaS17_S18_EUlS17_E_NS1_11comp_targetILNS1_3genE3ELNS1_11target_archE908ELNS1_3gpuE7ELNS1_3repE0EEENS1_30default_config_static_selectorELNS0_4arch9wavefront6targetE1EEEvT1_,"axG",@progbits,_ZN7rocprim17ROCPRIM_400000_NS6detail17trampoline_kernelINS0_14default_configENS1_25partition_config_selectorILNS1_17partition_subalgoE9EllbEEZZNS1_14partition_implILS5_9ELb0ES3_jPlS8_PNS0_10empty_typeENS0_5tupleIJS8_S9_EEENSB_IJS8_SA_EEENS0_18inequality_wrapperIZN2at6native12_GLOBAL__N_124unique_dim_cuda_templateIN3c108BFloat16EEESt5tupleIJNSF_6TensorESM_SM_EERKSM_lbbbEUlllE0_EEPmJS9_EEE10hipError_tPvRmT3_T4_T5_T6_T7_T9_mT8_P12ihipStream_tbDpT10_ENKUlT_T0_E_clISt17integral_constantIbLb1EES1C_EEDaS17_S18_EUlS17_E_NS1_11comp_targetILNS1_3genE3ELNS1_11target_archE908ELNS1_3gpuE7ELNS1_3repE0EEENS1_30default_config_static_selectorELNS0_4arch9wavefront6targetE1EEEvT1_,comdat
	.globl	_ZN7rocprim17ROCPRIM_400000_NS6detail17trampoline_kernelINS0_14default_configENS1_25partition_config_selectorILNS1_17partition_subalgoE9EllbEEZZNS1_14partition_implILS5_9ELb0ES3_jPlS8_PNS0_10empty_typeENS0_5tupleIJS8_S9_EEENSB_IJS8_SA_EEENS0_18inequality_wrapperIZN2at6native12_GLOBAL__N_124unique_dim_cuda_templateIN3c108BFloat16EEESt5tupleIJNSF_6TensorESM_SM_EERKSM_lbbbEUlllE0_EEPmJS9_EEE10hipError_tPvRmT3_T4_T5_T6_T7_T9_mT8_P12ihipStream_tbDpT10_ENKUlT_T0_E_clISt17integral_constantIbLb1EES1C_EEDaS17_S18_EUlS17_E_NS1_11comp_targetILNS1_3genE3ELNS1_11target_archE908ELNS1_3gpuE7ELNS1_3repE0EEENS1_30default_config_static_selectorELNS0_4arch9wavefront6targetE1EEEvT1_ ; -- Begin function _ZN7rocprim17ROCPRIM_400000_NS6detail17trampoline_kernelINS0_14default_configENS1_25partition_config_selectorILNS1_17partition_subalgoE9EllbEEZZNS1_14partition_implILS5_9ELb0ES3_jPlS8_PNS0_10empty_typeENS0_5tupleIJS8_S9_EEENSB_IJS8_SA_EEENS0_18inequality_wrapperIZN2at6native12_GLOBAL__N_124unique_dim_cuda_templateIN3c108BFloat16EEESt5tupleIJNSF_6TensorESM_SM_EERKSM_lbbbEUlllE0_EEPmJS9_EEE10hipError_tPvRmT3_T4_T5_T6_T7_T9_mT8_P12ihipStream_tbDpT10_ENKUlT_T0_E_clISt17integral_constantIbLb1EES1C_EEDaS17_S18_EUlS17_E_NS1_11comp_targetILNS1_3genE3ELNS1_11target_archE908ELNS1_3gpuE7ELNS1_3repE0EEENS1_30default_config_static_selectorELNS0_4arch9wavefront6targetE1EEEvT1_
	.p2align	8
	.type	_ZN7rocprim17ROCPRIM_400000_NS6detail17trampoline_kernelINS0_14default_configENS1_25partition_config_selectorILNS1_17partition_subalgoE9EllbEEZZNS1_14partition_implILS5_9ELb0ES3_jPlS8_PNS0_10empty_typeENS0_5tupleIJS8_S9_EEENSB_IJS8_SA_EEENS0_18inequality_wrapperIZN2at6native12_GLOBAL__N_124unique_dim_cuda_templateIN3c108BFloat16EEESt5tupleIJNSF_6TensorESM_SM_EERKSM_lbbbEUlllE0_EEPmJS9_EEE10hipError_tPvRmT3_T4_T5_T6_T7_T9_mT8_P12ihipStream_tbDpT10_ENKUlT_T0_E_clISt17integral_constantIbLb1EES1C_EEDaS17_S18_EUlS17_E_NS1_11comp_targetILNS1_3genE3ELNS1_11target_archE908ELNS1_3gpuE7ELNS1_3repE0EEENS1_30default_config_static_selectorELNS0_4arch9wavefront6targetE1EEEvT1_,@function
_ZN7rocprim17ROCPRIM_400000_NS6detail17trampoline_kernelINS0_14default_configENS1_25partition_config_selectorILNS1_17partition_subalgoE9EllbEEZZNS1_14partition_implILS5_9ELb0ES3_jPlS8_PNS0_10empty_typeENS0_5tupleIJS8_S9_EEENSB_IJS8_SA_EEENS0_18inequality_wrapperIZN2at6native12_GLOBAL__N_124unique_dim_cuda_templateIN3c108BFloat16EEESt5tupleIJNSF_6TensorESM_SM_EERKSM_lbbbEUlllE0_EEPmJS9_EEE10hipError_tPvRmT3_T4_T5_T6_T7_T9_mT8_P12ihipStream_tbDpT10_ENKUlT_T0_E_clISt17integral_constantIbLb1EES1C_EEDaS17_S18_EUlS17_E_NS1_11comp_targetILNS1_3genE3ELNS1_11target_archE908ELNS1_3gpuE7ELNS1_3repE0EEENS1_30default_config_static_selectorELNS0_4arch9wavefront6targetE1EEEvT1_: ; @_ZN7rocprim17ROCPRIM_400000_NS6detail17trampoline_kernelINS0_14default_configENS1_25partition_config_selectorILNS1_17partition_subalgoE9EllbEEZZNS1_14partition_implILS5_9ELb0ES3_jPlS8_PNS0_10empty_typeENS0_5tupleIJS8_S9_EEENSB_IJS8_SA_EEENS0_18inequality_wrapperIZN2at6native12_GLOBAL__N_124unique_dim_cuda_templateIN3c108BFloat16EEESt5tupleIJNSF_6TensorESM_SM_EERKSM_lbbbEUlllE0_EEPmJS9_EEE10hipError_tPvRmT3_T4_T5_T6_T7_T9_mT8_P12ihipStream_tbDpT10_ENKUlT_T0_E_clISt17integral_constantIbLb1EES1C_EEDaS17_S18_EUlS17_E_NS1_11comp_targetILNS1_3genE3ELNS1_11target_archE908ELNS1_3gpuE7ELNS1_3repE0EEENS1_30default_config_static_selectorELNS0_4arch9wavefront6targetE1EEEvT1_
; %bb.0:
	.section	.rodata,"a",@progbits
	.p2align	6, 0x0
	.amdhsa_kernel _ZN7rocprim17ROCPRIM_400000_NS6detail17trampoline_kernelINS0_14default_configENS1_25partition_config_selectorILNS1_17partition_subalgoE9EllbEEZZNS1_14partition_implILS5_9ELb0ES3_jPlS8_PNS0_10empty_typeENS0_5tupleIJS8_S9_EEENSB_IJS8_SA_EEENS0_18inequality_wrapperIZN2at6native12_GLOBAL__N_124unique_dim_cuda_templateIN3c108BFloat16EEESt5tupleIJNSF_6TensorESM_SM_EERKSM_lbbbEUlllE0_EEPmJS9_EEE10hipError_tPvRmT3_T4_T5_T6_T7_T9_mT8_P12ihipStream_tbDpT10_ENKUlT_T0_E_clISt17integral_constantIbLb1EES1C_EEDaS17_S18_EUlS17_E_NS1_11comp_targetILNS1_3genE3ELNS1_11target_archE908ELNS1_3gpuE7ELNS1_3repE0EEENS1_30default_config_static_selectorELNS0_4arch9wavefront6targetE1EEEvT1_
		.amdhsa_group_segment_fixed_size 0
		.amdhsa_private_segment_fixed_size 0
		.amdhsa_kernarg_size 136
		.amdhsa_user_sgpr_count 6
		.amdhsa_user_sgpr_private_segment_buffer 1
		.amdhsa_user_sgpr_dispatch_ptr 0
		.amdhsa_user_sgpr_queue_ptr 0
		.amdhsa_user_sgpr_kernarg_segment_ptr 1
		.amdhsa_user_sgpr_dispatch_id 0
		.amdhsa_user_sgpr_flat_scratch_init 0
		.amdhsa_user_sgpr_kernarg_preload_length 0
		.amdhsa_user_sgpr_kernarg_preload_offset 0
		.amdhsa_user_sgpr_private_segment_size 0
		.amdhsa_uses_dynamic_stack 0
		.amdhsa_system_sgpr_private_segment_wavefront_offset 0
		.amdhsa_system_sgpr_workgroup_id_x 1
		.amdhsa_system_sgpr_workgroup_id_y 0
		.amdhsa_system_sgpr_workgroup_id_z 0
		.amdhsa_system_sgpr_workgroup_info 0
		.amdhsa_system_vgpr_workitem_id 0
		.amdhsa_next_free_vgpr 1
		.amdhsa_next_free_sgpr 0
		.amdhsa_accum_offset 4
		.amdhsa_reserve_vcc 0
		.amdhsa_reserve_flat_scratch 0
		.amdhsa_float_round_mode_32 0
		.amdhsa_float_round_mode_16_64 0
		.amdhsa_float_denorm_mode_32 3
		.amdhsa_float_denorm_mode_16_64 3
		.amdhsa_dx10_clamp 1
		.amdhsa_ieee_mode 1
		.amdhsa_fp16_overflow 0
		.amdhsa_tg_split 0
		.amdhsa_exception_fp_ieee_invalid_op 0
		.amdhsa_exception_fp_denorm_src 0
		.amdhsa_exception_fp_ieee_div_zero 0
		.amdhsa_exception_fp_ieee_overflow 0
		.amdhsa_exception_fp_ieee_underflow 0
		.amdhsa_exception_fp_ieee_inexact 0
		.amdhsa_exception_int_div_zero 0
	.end_amdhsa_kernel
	.section	.text._ZN7rocprim17ROCPRIM_400000_NS6detail17trampoline_kernelINS0_14default_configENS1_25partition_config_selectorILNS1_17partition_subalgoE9EllbEEZZNS1_14partition_implILS5_9ELb0ES3_jPlS8_PNS0_10empty_typeENS0_5tupleIJS8_S9_EEENSB_IJS8_SA_EEENS0_18inequality_wrapperIZN2at6native12_GLOBAL__N_124unique_dim_cuda_templateIN3c108BFloat16EEESt5tupleIJNSF_6TensorESM_SM_EERKSM_lbbbEUlllE0_EEPmJS9_EEE10hipError_tPvRmT3_T4_T5_T6_T7_T9_mT8_P12ihipStream_tbDpT10_ENKUlT_T0_E_clISt17integral_constantIbLb1EES1C_EEDaS17_S18_EUlS17_E_NS1_11comp_targetILNS1_3genE3ELNS1_11target_archE908ELNS1_3gpuE7ELNS1_3repE0EEENS1_30default_config_static_selectorELNS0_4arch9wavefront6targetE1EEEvT1_,"axG",@progbits,_ZN7rocprim17ROCPRIM_400000_NS6detail17trampoline_kernelINS0_14default_configENS1_25partition_config_selectorILNS1_17partition_subalgoE9EllbEEZZNS1_14partition_implILS5_9ELb0ES3_jPlS8_PNS0_10empty_typeENS0_5tupleIJS8_S9_EEENSB_IJS8_SA_EEENS0_18inequality_wrapperIZN2at6native12_GLOBAL__N_124unique_dim_cuda_templateIN3c108BFloat16EEESt5tupleIJNSF_6TensorESM_SM_EERKSM_lbbbEUlllE0_EEPmJS9_EEE10hipError_tPvRmT3_T4_T5_T6_T7_T9_mT8_P12ihipStream_tbDpT10_ENKUlT_T0_E_clISt17integral_constantIbLb1EES1C_EEDaS17_S18_EUlS17_E_NS1_11comp_targetILNS1_3genE3ELNS1_11target_archE908ELNS1_3gpuE7ELNS1_3repE0EEENS1_30default_config_static_selectorELNS0_4arch9wavefront6targetE1EEEvT1_,comdat
.Lfunc_end1216:
	.size	_ZN7rocprim17ROCPRIM_400000_NS6detail17trampoline_kernelINS0_14default_configENS1_25partition_config_selectorILNS1_17partition_subalgoE9EllbEEZZNS1_14partition_implILS5_9ELb0ES3_jPlS8_PNS0_10empty_typeENS0_5tupleIJS8_S9_EEENSB_IJS8_SA_EEENS0_18inequality_wrapperIZN2at6native12_GLOBAL__N_124unique_dim_cuda_templateIN3c108BFloat16EEESt5tupleIJNSF_6TensorESM_SM_EERKSM_lbbbEUlllE0_EEPmJS9_EEE10hipError_tPvRmT3_T4_T5_T6_T7_T9_mT8_P12ihipStream_tbDpT10_ENKUlT_T0_E_clISt17integral_constantIbLb1EES1C_EEDaS17_S18_EUlS17_E_NS1_11comp_targetILNS1_3genE3ELNS1_11target_archE908ELNS1_3gpuE7ELNS1_3repE0EEENS1_30default_config_static_selectorELNS0_4arch9wavefront6targetE1EEEvT1_, .Lfunc_end1216-_ZN7rocprim17ROCPRIM_400000_NS6detail17trampoline_kernelINS0_14default_configENS1_25partition_config_selectorILNS1_17partition_subalgoE9EllbEEZZNS1_14partition_implILS5_9ELb0ES3_jPlS8_PNS0_10empty_typeENS0_5tupleIJS8_S9_EEENSB_IJS8_SA_EEENS0_18inequality_wrapperIZN2at6native12_GLOBAL__N_124unique_dim_cuda_templateIN3c108BFloat16EEESt5tupleIJNSF_6TensorESM_SM_EERKSM_lbbbEUlllE0_EEPmJS9_EEE10hipError_tPvRmT3_T4_T5_T6_T7_T9_mT8_P12ihipStream_tbDpT10_ENKUlT_T0_E_clISt17integral_constantIbLb1EES1C_EEDaS17_S18_EUlS17_E_NS1_11comp_targetILNS1_3genE3ELNS1_11target_archE908ELNS1_3gpuE7ELNS1_3repE0EEENS1_30default_config_static_selectorELNS0_4arch9wavefront6targetE1EEEvT1_
                                        ; -- End function
	.section	.AMDGPU.csdata,"",@progbits
; Kernel info:
; codeLenInByte = 0
; NumSgprs: 4
; NumVgprs: 0
; NumAgprs: 0
; TotalNumVgprs: 0
; ScratchSize: 0
; MemoryBound: 0
; FloatMode: 240
; IeeeMode: 1
; LDSByteSize: 0 bytes/workgroup (compile time only)
; SGPRBlocks: 0
; VGPRBlocks: 0
; NumSGPRsForWavesPerEU: 4
; NumVGPRsForWavesPerEU: 1
; AccumOffset: 4
; Occupancy: 8
; WaveLimiterHint : 0
; COMPUTE_PGM_RSRC2:SCRATCH_EN: 0
; COMPUTE_PGM_RSRC2:USER_SGPR: 6
; COMPUTE_PGM_RSRC2:TRAP_HANDLER: 0
; COMPUTE_PGM_RSRC2:TGID_X_EN: 1
; COMPUTE_PGM_RSRC2:TGID_Y_EN: 0
; COMPUTE_PGM_RSRC2:TGID_Z_EN: 0
; COMPUTE_PGM_RSRC2:TIDIG_COMP_CNT: 0
; COMPUTE_PGM_RSRC3_GFX90A:ACCUM_OFFSET: 0
; COMPUTE_PGM_RSRC3_GFX90A:TG_SPLIT: 0
	.section	.text._ZN7rocprim17ROCPRIM_400000_NS6detail17trampoline_kernelINS0_14default_configENS1_25partition_config_selectorILNS1_17partition_subalgoE9EllbEEZZNS1_14partition_implILS5_9ELb0ES3_jPlS8_PNS0_10empty_typeENS0_5tupleIJS8_S9_EEENSB_IJS8_SA_EEENS0_18inequality_wrapperIZN2at6native12_GLOBAL__N_124unique_dim_cuda_templateIN3c108BFloat16EEESt5tupleIJNSF_6TensorESM_SM_EERKSM_lbbbEUlllE0_EEPmJS9_EEE10hipError_tPvRmT3_T4_T5_T6_T7_T9_mT8_P12ihipStream_tbDpT10_ENKUlT_T0_E_clISt17integral_constantIbLb1EES1C_EEDaS17_S18_EUlS17_E_NS1_11comp_targetILNS1_3genE2ELNS1_11target_archE906ELNS1_3gpuE6ELNS1_3repE0EEENS1_30default_config_static_selectorELNS0_4arch9wavefront6targetE1EEEvT1_,"axG",@progbits,_ZN7rocprim17ROCPRIM_400000_NS6detail17trampoline_kernelINS0_14default_configENS1_25partition_config_selectorILNS1_17partition_subalgoE9EllbEEZZNS1_14partition_implILS5_9ELb0ES3_jPlS8_PNS0_10empty_typeENS0_5tupleIJS8_S9_EEENSB_IJS8_SA_EEENS0_18inequality_wrapperIZN2at6native12_GLOBAL__N_124unique_dim_cuda_templateIN3c108BFloat16EEESt5tupleIJNSF_6TensorESM_SM_EERKSM_lbbbEUlllE0_EEPmJS9_EEE10hipError_tPvRmT3_T4_T5_T6_T7_T9_mT8_P12ihipStream_tbDpT10_ENKUlT_T0_E_clISt17integral_constantIbLb1EES1C_EEDaS17_S18_EUlS17_E_NS1_11comp_targetILNS1_3genE2ELNS1_11target_archE906ELNS1_3gpuE6ELNS1_3repE0EEENS1_30default_config_static_selectorELNS0_4arch9wavefront6targetE1EEEvT1_,comdat
	.globl	_ZN7rocprim17ROCPRIM_400000_NS6detail17trampoline_kernelINS0_14default_configENS1_25partition_config_selectorILNS1_17partition_subalgoE9EllbEEZZNS1_14partition_implILS5_9ELb0ES3_jPlS8_PNS0_10empty_typeENS0_5tupleIJS8_S9_EEENSB_IJS8_SA_EEENS0_18inequality_wrapperIZN2at6native12_GLOBAL__N_124unique_dim_cuda_templateIN3c108BFloat16EEESt5tupleIJNSF_6TensorESM_SM_EERKSM_lbbbEUlllE0_EEPmJS9_EEE10hipError_tPvRmT3_T4_T5_T6_T7_T9_mT8_P12ihipStream_tbDpT10_ENKUlT_T0_E_clISt17integral_constantIbLb1EES1C_EEDaS17_S18_EUlS17_E_NS1_11comp_targetILNS1_3genE2ELNS1_11target_archE906ELNS1_3gpuE6ELNS1_3repE0EEENS1_30default_config_static_selectorELNS0_4arch9wavefront6targetE1EEEvT1_ ; -- Begin function _ZN7rocprim17ROCPRIM_400000_NS6detail17trampoline_kernelINS0_14default_configENS1_25partition_config_selectorILNS1_17partition_subalgoE9EllbEEZZNS1_14partition_implILS5_9ELb0ES3_jPlS8_PNS0_10empty_typeENS0_5tupleIJS8_S9_EEENSB_IJS8_SA_EEENS0_18inequality_wrapperIZN2at6native12_GLOBAL__N_124unique_dim_cuda_templateIN3c108BFloat16EEESt5tupleIJNSF_6TensorESM_SM_EERKSM_lbbbEUlllE0_EEPmJS9_EEE10hipError_tPvRmT3_T4_T5_T6_T7_T9_mT8_P12ihipStream_tbDpT10_ENKUlT_T0_E_clISt17integral_constantIbLb1EES1C_EEDaS17_S18_EUlS17_E_NS1_11comp_targetILNS1_3genE2ELNS1_11target_archE906ELNS1_3gpuE6ELNS1_3repE0EEENS1_30default_config_static_selectorELNS0_4arch9wavefront6targetE1EEEvT1_
	.p2align	8
	.type	_ZN7rocprim17ROCPRIM_400000_NS6detail17trampoline_kernelINS0_14default_configENS1_25partition_config_selectorILNS1_17partition_subalgoE9EllbEEZZNS1_14partition_implILS5_9ELb0ES3_jPlS8_PNS0_10empty_typeENS0_5tupleIJS8_S9_EEENSB_IJS8_SA_EEENS0_18inequality_wrapperIZN2at6native12_GLOBAL__N_124unique_dim_cuda_templateIN3c108BFloat16EEESt5tupleIJNSF_6TensorESM_SM_EERKSM_lbbbEUlllE0_EEPmJS9_EEE10hipError_tPvRmT3_T4_T5_T6_T7_T9_mT8_P12ihipStream_tbDpT10_ENKUlT_T0_E_clISt17integral_constantIbLb1EES1C_EEDaS17_S18_EUlS17_E_NS1_11comp_targetILNS1_3genE2ELNS1_11target_archE906ELNS1_3gpuE6ELNS1_3repE0EEENS1_30default_config_static_selectorELNS0_4arch9wavefront6targetE1EEEvT1_,@function
_ZN7rocprim17ROCPRIM_400000_NS6detail17trampoline_kernelINS0_14default_configENS1_25partition_config_selectorILNS1_17partition_subalgoE9EllbEEZZNS1_14partition_implILS5_9ELb0ES3_jPlS8_PNS0_10empty_typeENS0_5tupleIJS8_S9_EEENSB_IJS8_SA_EEENS0_18inequality_wrapperIZN2at6native12_GLOBAL__N_124unique_dim_cuda_templateIN3c108BFloat16EEESt5tupleIJNSF_6TensorESM_SM_EERKSM_lbbbEUlllE0_EEPmJS9_EEE10hipError_tPvRmT3_T4_T5_T6_T7_T9_mT8_P12ihipStream_tbDpT10_ENKUlT_T0_E_clISt17integral_constantIbLb1EES1C_EEDaS17_S18_EUlS17_E_NS1_11comp_targetILNS1_3genE2ELNS1_11target_archE906ELNS1_3gpuE6ELNS1_3repE0EEENS1_30default_config_static_selectorELNS0_4arch9wavefront6targetE1EEEvT1_: ; @_ZN7rocprim17ROCPRIM_400000_NS6detail17trampoline_kernelINS0_14default_configENS1_25partition_config_selectorILNS1_17partition_subalgoE9EllbEEZZNS1_14partition_implILS5_9ELb0ES3_jPlS8_PNS0_10empty_typeENS0_5tupleIJS8_S9_EEENSB_IJS8_SA_EEENS0_18inequality_wrapperIZN2at6native12_GLOBAL__N_124unique_dim_cuda_templateIN3c108BFloat16EEESt5tupleIJNSF_6TensorESM_SM_EERKSM_lbbbEUlllE0_EEPmJS9_EEE10hipError_tPvRmT3_T4_T5_T6_T7_T9_mT8_P12ihipStream_tbDpT10_ENKUlT_T0_E_clISt17integral_constantIbLb1EES1C_EEDaS17_S18_EUlS17_E_NS1_11comp_targetILNS1_3genE2ELNS1_11target_archE906ELNS1_3gpuE6ELNS1_3repE0EEENS1_30default_config_static_selectorELNS0_4arch9wavefront6targetE1EEEvT1_
; %bb.0:
	.section	.rodata,"a",@progbits
	.p2align	6, 0x0
	.amdhsa_kernel _ZN7rocprim17ROCPRIM_400000_NS6detail17trampoline_kernelINS0_14default_configENS1_25partition_config_selectorILNS1_17partition_subalgoE9EllbEEZZNS1_14partition_implILS5_9ELb0ES3_jPlS8_PNS0_10empty_typeENS0_5tupleIJS8_S9_EEENSB_IJS8_SA_EEENS0_18inequality_wrapperIZN2at6native12_GLOBAL__N_124unique_dim_cuda_templateIN3c108BFloat16EEESt5tupleIJNSF_6TensorESM_SM_EERKSM_lbbbEUlllE0_EEPmJS9_EEE10hipError_tPvRmT3_T4_T5_T6_T7_T9_mT8_P12ihipStream_tbDpT10_ENKUlT_T0_E_clISt17integral_constantIbLb1EES1C_EEDaS17_S18_EUlS17_E_NS1_11comp_targetILNS1_3genE2ELNS1_11target_archE906ELNS1_3gpuE6ELNS1_3repE0EEENS1_30default_config_static_selectorELNS0_4arch9wavefront6targetE1EEEvT1_
		.amdhsa_group_segment_fixed_size 0
		.amdhsa_private_segment_fixed_size 0
		.amdhsa_kernarg_size 136
		.amdhsa_user_sgpr_count 6
		.amdhsa_user_sgpr_private_segment_buffer 1
		.amdhsa_user_sgpr_dispatch_ptr 0
		.amdhsa_user_sgpr_queue_ptr 0
		.amdhsa_user_sgpr_kernarg_segment_ptr 1
		.amdhsa_user_sgpr_dispatch_id 0
		.amdhsa_user_sgpr_flat_scratch_init 0
		.amdhsa_user_sgpr_kernarg_preload_length 0
		.amdhsa_user_sgpr_kernarg_preload_offset 0
		.amdhsa_user_sgpr_private_segment_size 0
		.amdhsa_uses_dynamic_stack 0
		.amdhsa_system_sgpr_private_segment_wavefront_offset 0
		.amdhsa_system_sgpr_workgroup_id_x 1
		.amdhsa_system_sgpr_workgroup_id_y 0
		.amdhsa_system_sgpr_workgroup_id_z 0
		.amdhsa_system_sgpr_workgroup_info 0
		.amdhsa_system_vgpr_workitem_id 0
		.amdhsa_next_free_vgpr 1
		.amdhsa_next_free_sgpr 0
		.amdhsa_accum_offset 4
		.amdhsa_reserve_vcc 0
		.amdhsa_reserve_flat_scratch 0
		.amdhsa_float_round_mode_32 0
		.amdhsa_float_round_mode_16_64 0
		.amdhsa_float_denorm_mode_32 3
		.amdhsa_float_denorm_mode_16_64 3
		.amdhsa_dx10_clamp 1
		.amdhsa_ieee_mode 1
		.amdhsa_fp16_overflow 0
		.amdhsa_tg_split 0
		.amdhsa_exception_fp_ieee_invalid_op 0
		.amdhsa_exception_fp_denorm_src 0
		.amdhsa_exception_fp_ieee_div_zero 0
		.amdhsa_exception_fp_ieee_overflow 0
		.amdhsa_exception_fp_ieee_underflow 0
		.amdhsa_exception_fp_ieee_inexact 0
		.amdhsa_exception_int_div_zero 0
	.end_amdhsa_kernel
	.section	.text._ZN7rocprim17ROCPRIM_400000_NS6detail17trampoline_kernelINS0_14default_configENS1_25partition_config_selectorILNS1_17partition_subalgoE9EllbEEZZNS1_14partition_implILS5_9ELb0ES3_jPlS8_PNS0_10empty_typeENS0_5tupleIJS8_S9_EEENSB_IJS8_SA_EEENS0_18inequality_wrapperIZN2at6native12_GLOBAL__N_124unique_dim_cuda_templateIN3c108BFloat16EEESt5tupleIJNSF_6TensorESM_SM_EERKSM_lbbbEUlllE0_EEPmJS9_EEE10hipError_tPvRmT3_T4_T5_T6_T7_T9_mT8_P12ihipStream_tbDpT10_ENKUlT_T0_E_clISt17integral_constantIbLb1EES1C_EEDaS17_S18_EUlS17_E_NS1_11comp_targetILNS1_3genE2ELNS1_11target_archE906ELNS1_3gpuE6ELNS1_3repE0EEENS1_30default_config_static_selectorELNS0_4arch9wavefront6targetE1EEEvT1_,"axG",@progbits,_ZN7rocprim17ROCPRIM_400000_NS6detail17trampoline_kernelINS0_14default_configENS1_25partition_config_selectorILNS1_17partition_subalgoE9EllbEEZZNS1_14partition_implILS5_9ELb0ES3_jPlS8_PNS0_10empty_typeENS0_5tupleIJS8_S9_EEENSB_IJS8_SA_EEENS0_18inequality_wrapperIZN2at6native12_GLOBAL__N_124unique_dim_cuda_templateIN3c108BFloat16EEESt5tupleIJNSF_6TensorESM_SM_EERKSM_lbbbEUlllE0_EEPmJS9_EEE10hipError_tPvRmT3_T4_T5_T6_T7_T9_mT8_P12ihipStream_tbDpT10_ENKUlT_T0_E_clISt17integral_constantIbLb1EES1C_EEDaS17_S18_EUlS17_E_NS1_11comp_targetILNS1_3genE2ELNS1_11target_archE906ELNS1_3gpuE6ELNS1_3repE0EEENS1_30default_config_static_selectorELNS0_4arch9wavefront6targetE1EEEvT1_,comdat
.Lfunc_end1217:
	.size	_ZN7rocprim17ROCPRIM_400000_NS6detail17trampoline_kernelINS0_14default_configENS1_25partition_config_selectorILNS1_17partition_subalgoE9EllbEEZZNS1_14partition_implILS5_9ELb0ES3_jPlS8_PNS0_10empty_typeENS0_5tupleIJS8_S9_EEENSB_IJS8_SA_EEENS0_18inequality_wrapperIZN2at6native12_GLOBAL__N_124unique_dim_cuda_templateIN3c108BFloat16EEESt5tupleIJNSF_6TensorESM_SM_EERKSM_lbbbEUlllE0_EEPmJS9_EEE10hipError_tPvRmT3_T4_T5_T6_T7_T9_mT8_P12ihipStream_tbDpT10_ENKUlT_T0_E_clISt17integral_constantIbLb1EES1C_EEDaS17_S18_EUlS17_E_NS1_11comp_targetILNS1_3genE2ELNS1_11target_archE906ELNS1_3gpuE6ELNS1_3repE0EEENS1_30default_config_static_selectorELNS0_4arch9wavefront6targetE1EEEvT1_, .Lfunc_end1217-_ZN7rocprim17ROCPRIM_400000_NS6detail17trampoline_kernelINS0_14default_configENS1_25partition_config_selectorILNS1_17partition_subalgoE9EllbEEZZNS1_14partition_implILS5_9ELb0ES3_jPlS8_PNS0_10empty_typeENS0_5tupleIJS8_S9_EEENSB_IJS8_SA_EEENS0_18inequality_wrapperIZN2at6native12_GLOBAL__N_124unique_dim_cuda_templateIN3c108BFloat16EEESt5tupleIJNSF_6TensorESM_SM_EERKSM_lbbbEUlllE0_EEPmJS9_EEE10hipError_tPvRmT3_T4_T5_T6_T7_T9_mT8_P12ihipStream_tbDpT10_ENKUlT_T0_E_clISt17integral_constantIbLb1EES1C_EEDaS17_S18_EUlS17_E_NS1_11comp_targetILNS1_3genE2ELNS1_11target_archE906ELNS1_3gpuE6ELNS1_3repE0EEENS1_30default_config_static_selectorELNS0_4arch9wavefront6targetE1EEEvT1_
                                        ; -- End function
	.section	.AMDGPU.csdata,"",@progbits
; Kernel info:
; codeLenInByte = 0
; NumSgprs: 4
; NumVgprs: 0
; NumAgprs: 0
; TotalNumVgprs: 0
; ScratchSize: 0
; MemoryBound: 0
; FloatMode: 240
; IeeeMode: 1
; LDSByteSize: 0 bytes/workgroup (compile time only)
; SGPRBlocks: 0
; VGPRBlocks: 0
; NumSGPRsForWavesPerEU: 4
; NumVGPRsForWavesPerEU: 1
; AccumOffset: 4
; Occupancy: 8
; WaveLimiterHint : 0
; COMPUTE_PGM_RSRC2:SCRATCH_EN: 0
; COMPUTE_PGM_RSRC2:USER_SGPR: 6
; COMPUTE_PGM_RSRC2:TRAP_HANDLER: 0
; COMPUTE_PGM_RSRC2:TGID_X_EN: 1
; COMPUTE_PGM_RSRC2:TGID_Y_EN: 0
; COMPUTE_PGM_RSRC2:TGID_Z_EN: 0
; COMPUTE_PGM_RSRC2:TIDIG_COMP_CNT: 0
; COMPUTE_PGM_RSRC3_GFX90A:ACCUM_OFFSET: 0
; COMPUTE_PGM_RSRC3_GFX90A:TG_SPLIT: 0
	.section	.text._ZN7rocprim17ROCPRIM_400000_NS6detail17trampoline_kernelINS0_14default_configENS1_25partition_config_selectorILNS1_17partition_subalgoE9EllbEEZZNS1_14partition_implILS5_9ELb0ES3_jPlS8_PNS0_10empty_typeENS0_5tupleIJS8_S9_EEENSB_IJS8_SA_EEENS0_18inequality_wrapperIZN2at6native12_GLOBAL__N_124unique_dim_cuda_templateIN3c108BFloat16EEESt5tupleIJNSF_6TensorESM_SM_EERKSM_lbbbEUlllE0_EEPmJS9_EEE10hipError_tPvRmT3_T4_T5_T6_T7_T9_mT8_P12ihipStream_tbDpT10_ENKUlT_T0_E_clISt17integral_constantIbLb1EES1C_EEDaS17_S18_EUlS17_E_NS1_11comp_targetILNS1_3genE10ELNS1_11target_archE1200ELNS1_3gpuE4ELNS1_3repE0EEENS1_30default_config_static_selectorELNS0_4arch9wavefront6targetE1EEEvT1_,"axG",@progbits,_ZN7rocprim17ROCPRIM_400000_NS6detail17trampoline_kernelINS0_14default_configENS1_25partition_config_selectorILNS1_17partition_subalgoE9EllbEEZZNS1_14partition_implILS5_9ELb0ES3_jPlS8_PNS0_10empty_typeENS0_5tupleIJS8_S9_EEENSB_IJS8_SA_EEENS0_18inequality_wrapperIZN2at6native12_GLOBAL__N_124unique_dim_cuda_templateIN3c108BFloat16EEESt5tupleIJNSF_6TensorESM_SM_EERKSM_lbbbEUlllE0_EEPmJS9_EEE10hipError_tPvRmT3_T4_T5_T6_T7_T9_mT8_P12ihipStream_tbDpT10_ENKUlT_T0_E_clISt17integral_constantIbLb1EES1C_EEDaS17_S18_EUlS17_E_NS1_11comp_targetILNS1_3genE10ELNS1_11target_archE1200ELNS1_3gpuE4ELNS1_3repE0EEENS1_30default_config_static_selectorELNS0_4arch9wavefront6targetE1EEEvT1_,comdat
	.globl	_ZN7rocprim17ROCPRIM_400000_NS6detail17trampoline_kernelINS0_14default_configENS1_25partition_config_selectorILNS1_17partition_subalgoE9EllbEEZZNS1_14partition_implILS5_9ELb0ES3_jPlS8_PNS0_10empty_typeENS0_5tupleIJS8_S9_EEENSB_IJS8_SA_EEENS0_18inequality_wrapperIZN2at6native12_GLOBAL__N_124unique_dim_cuda_templateIN3c108BFloat16EEESt5tupleIJNSF_6TensorESM_SM_EERKSM_lbbbEUlllE0_EEPmJS9_EEE10hipError_tPvRmT3_T4_T5_T6_T7_T9_mT8_P12ihipStream_tbDpT10_ENKUlT_T0_E_clISt17integral_constantIbLb1EES1C_EEDaS17_S18_EUlS17_E_NS1_11comp_targetILNS1_3genE10ELNS1_11target_archE1200ELNS1_3gpuE4ELNS1_3repE0EEENS1_30default_config_static_selectorELNS0_4arch9wavefront6targetE1EEEvT1_ ; -- Begin function _ZN7rocprim17ROCPRIM_400000_NS6detail17trampoline_kernelINS0_14default_configENS1_25partition_config_selectorILNS1_17partition_subalgoE9EllbEEZZNS1_14partition_implILS5_9ELb0ES3_jPlS8_PNS0_10empty_typeENS0_5tupleIJS8_S9_EEENSB_IJS8_SA_EEENS0_18inequality_wrapperIZN2at6native12_GLOBAL__N_124unique_dim_cuda_templateIN3c108BFloat16EEESt5tupleIJNSF_6TensorESM_SM_EERKSM_lbbbEUlllE0_EEPmJS9_EEE10hipError_tPvRmT3_T4_T5_T6_T7_T9_mT8_P12ihipStream_tbDpT10_ENKUlT_T0_E_clISt17integral_constantIbLb1EES1C_EEDaS17_S18_EUlS17_E_NS1_11comp_targetILNS1_3genE10ELNS1_11target_archE1200ELNS1_3gpuE4ELNS1_3repE0EEENS1_30default_config_static_selectorELNS0_4arch9wavefront6targetE1EEEvT1_
	.p2align	8
	.type	_ZN7rocprim17ROCPRIM_400000_NS6detail17trampoline_kernelINS0_14default_configENS1_25partition_config_selectorILNS1_17partition_subalgoE9EllbEEZZNS1_14partition_implILS5_9ELb0ES3_jPlS8_PNS0_10empty_typeENS0_5tupleIJS8_S9_EEENSB_IJS8_SA_EEENS0_18inequality_wrapperIZN2at6native12_GLOBAL__N_124unique_dim_cuda_templateIN3c108BFloat16EEESt5tupleIJNSF_6TensorESM_SM_EERKSM_lbbbEUlllE0_EEPmJS9_EEE10hipError_tPvRmT3_T4_T5_T6_T7_T9_mT8_P12ihipStream_tbDpT10_ENKUlT_T0_E_clISt17integral_constantIbLb1EES1C_EEDaS17_S18_EUlS17_E_NS1_11comp_targetILNS1_3genE10ELNS1_11target_archE1200ELNS1_3gpuE4ELNS1_3repE0EEENS1_30default_config_static_selectorELNS0_4arch9wavefront6targetE1EEEvT1_,@function
_ZN7rocprim17ROCPRIM_400000_NS6detail17trampoline_kernelINS0_14default_configENS1_25partition_config_selectorILNS1_17partition_subalgoE9EllbEEZZNS1_14partition_implILS5_9ELb0ES3_jPlS8_PNS0_10empty_typeENS0_5tupleIJS8_S9_EEENSB_IJS8_SA_EEENS0_18inequality_wrapperIZN2at6native12_GLOBAL__N_124unique_dim_cuda_templateIN3c108BFloat16EEESt5tupleIJNSF_6TensorESM_SM_EERKSM_lbbbEUlllE0_EEPmJS9_EEE10hipError_tPvRmT3_T4_T5_T6_T7_T9_mT8_P12ihipStream_tbDpT10_ENKUlT_T0_E_clISt17integral_constantIbLb1EES1C_EEDaS17_S18_EUlS17_E_NS1_11comp_targetILNS1_3genE10ELNS1_11target_archE1200ELNS1_3gpuE4ELNS1_3repE0EEENS1_30default_config_static_selectorELNS0_4arch9wavefront6targetE1EEEvT1_: ; @_ZN7rocprim17ROCPRIM_400000_NS6detail17trampoline_kernelINS0_14default_configENS1_25partition_config_selectorILNS1_17partition_subalgoE9EllbEEZZNS1_14partition_implILS5_9ELb0ES3_jPlS8_PNS0_10empty_typeENS0_5tupleIJS8_S9_EEENSB_IJS8_SA_EEENS0_18inequality_wrapperIZN2at6native12_GLOBAL__N_124unique_dim_cuda_templateIN3c108BFloat16EEESt5tupleIJNSF_6TensorESM_SM_EERKSM_lbbbEUlllE0_EEPmJS9_EEE10hipError_tPvRmT3_T4_T5_T6_T7_T9_mT8_P12ihipStream_tbDpT10_ENKUlT_T0_E_clISt17integral_constantIbLb1EES1C_EEDaS17_S18_EUlS17_E_NS1_11comp_targetILNS1_3genE10ELNS1_11target_archE1200ELNS1_3gpuE4ELNS1_3repE0EEENS1_30default_config_static_selectorELNS0_4arch9wavefront6targetE1EEEvT1_
; %bb.0:
	.section	.rodata,"a",@progbits
	.p2align	6, 0x0
	.amdhsa_kernel _ZN7rocprim17ROCPRIM_400000_NS6detail17trampoline_kernelINS0_14default_configENS1_25partition_config_selectorILNS1_17partition_subalgoE9EllbEEZZNS1_14partition_implILS5_9ELb0ES3_jPlS8_PNS0_10empty_typeENS0_5tupleIJS8_S9_EEENSB_IJS8_SA_EEENS0_18inequality_wrapperIZN2at6native12_GLOBAL__N_124unique_dim_cuda_templateIN3c108BFloat16EEESt5tupleIJNSF_6TensorESM_SM_EERKSM_lbbbEUlllE0_EEPmJS9_EEE10hipError_tPvRmT3_T4_T5_T6_T7_T9_mT8_P12ihipStream_tbDpT10_ENKUlT_T0_E_clISt17integral_constantIbLb1EES1C_EEDaS17_S18_EUlS17_E_NS1_11comp_targetILNS1_3genE10ELNS1_11target_archE1200ELNS1_3gpuE4ELNS1_3repE0EEENS1_30default_config_static_selectorELNS0_4arch9wavefront6targetE1EEEvT1_
		.amdhsa_group_segment_fixed_size 0
		.amdhsa_private_segment_fixed_size 0
		.amdhsa_kernarg_size 136
		.amdhsa_user_sgpr_count 6
		.amdhsa_user_sgpr_private_segment_buffer 1
		.amdhsa_user_sgpr_dispatch_ptr 0
		.amdhsa_user_sgpr_queue_ptr 0
		.amdhsa_user_sgpr_kernarg_segment_ptr 1
		.amdhsa_user_sgpr_dispatch_id 0
		.amdhsa_user_sgpr_flat_scratch_init 0
		.amdhsa_user_sgpr_kernarg_preload_length 0
		.amdhsa_user_sgpr_kernarg_preload_offset 0
		.amdhsa_user_sgpr_private_segment_size 0
		.amdhsa_uses_dynamic_stack 0
		.amdhsa_system_sgpr_private_segment_wavefront_offset 0
		.amdhsa_system_sgpr_workgroup_id_x 1
		.amdhsa_system_sgpr_workgroup_id_y 0
		.amdhsa_system_sgpr_workgroup_id_z 0
		.amdhsa_system_sgpr_workgroup_info 0
		.amdhsa_system_vgpr_workitem_id 0
		.amdhsa_next_free_vgpr 1
		.amdhsa_next_free_sgpr 0
		.amdhsa_accum_offset 4
		.amdhsa_reserve_vcc 0
		.amdhsa_reserve_flat_scratch 0
		.amdhsa_float_round_mode_32 0
		.amdhsa_float_round_mode_16_64 0
		.amdhsa_float_denorm_mode_32 3
		.amdhsa_float_denorm_mode_16_64 3
		.amdhsa_dx10_clamp 1
		.amdhsa_ieee_mode 1
		.amdhsa_fp16_overflow 0
		.amdhsa_tg_split 0
		.amdhsa_exception_fp_ieee_invalid_op 0
		.amdhsa_exception_fp_denorm_src 0
		.amdhsa_exception_fp_ieee_div_zero 0
		.amdhsa_exception_fp_ieee_overflow 0
		.amdhsa_exception_fp_ieee_underflow 0
		.amdhsa_exception_fp_ieee_inexact 0
		.amdhsa_exception_int_div_zero 0
	.end_amdhsa_kernel
	.section	.text._ZN7rocprim17ROCPRIM_400000_NS6detail17trampoline_kernelINS0_14default_configENS1_25partition_config_selectorILNS1_17partition_subalgoE9EllbEEZZNS1_14partition_implILS5_9ELb0ES3_jPlS8_PNS0_10empty_typeENS0_5tupleIJS8_S9_EEENSB_IJS8_SA_EEENS0_18inequality_wrapperIZN2at6native12_GLOBAL__N_124unique_dim_cuda_templateIN3c108BFloat16EEESt5tupleIJNSF_6TensorESM_SM_EERKSM_lbbbEUlllE0_EEPmJS9_EEE10hipError_tPvRmT3_T4_T5_T6_T7_T9_mT8_P12ihipStream_tbDpT10_ENKUlT_T0_E_clISt17integral_constantIbLb1EES1C_EEDaS17_S18_EUlS17_E_NS1_11comp_targetILNS1_3genE10ELNS1_11target_archE1200ELNS1_3gpuE4ELNS1_3repE0EEENS1_30default_config_static_selectorELNS0_4arch9wavefront6targetE1EEEvT1_,"axG",@progbits,_ZN7rocprim17ROCPRIM_400000_NS6detail17trampoline_kernelINS0_14default_configENS1_25partition_config_selectorILNS1_17partition_subalgoE9EllbEEZZNS1_14partition_implILS5_9ELb0ES3_jPlS8_PNS0_10empty_typeENS0_5tupleIJS8_S9_EEENSB_IJS8_SA_EEENS0_18inequality_wrapperIZN2at6native12_GLOBAL__N_124unique_dim_cuda_templateIN3c108BFloat16EEESt5tupleIJNSF_6TensorESM_SM_EERKSM_lbbbEUlllE0_EEPmJS9_EEE10hipError_tPvRmT3_T4_T5_T6_T7_T9_mT8_P12ihipStream_tbDpT10_ENKUlT_T0_E_clISt17integral_constantIbLb1EES1C_EEDaS17_S18_EUlS17_E_NS1_11comp_targetILNS1_3genE10ELNS1_11target_archE1200ELNS1_3gpuE4ELNS1_3repE0EEENS1_30default_config_static_selectorELNS0_4arch9wavefront6targetE1EEEvT1_,comdat
.Lfunc_end1218:
	.size	_ZN7rocprim17ROCPRIM_400000_NS6detail17trampoline_kernelINS0_14default_configENS1_25partition_config_selectorILNS1_17partition_subalgoE9EllbEEZZNS1_14partition_implILS5_9ELb0ES3_jPlS8_PNS0_10empty_typeENS0_5tupleIJS8_S9_EEENSB_IJS8_SA_EEENS0_18inequality_wrapperIZN2at6native12_GLOBAL__N_124unique_dim_cuda_templateIN3c108BFloat16EEESt5tupleIJNSF_6TensorESM_SM_EERKSM_lbbbEUlllE0_EEPmJS9_EEE10hipError_tPvRmT3_T4_T5_T6_T7_T9_mT8_P12ihipStream_tbDpT10_ENKUlT_T0_E_clISt17integral_constantIbLb1EES1C_EEDaS17_S18_EUlS17_E_NS1_11comp_targetILNS1_3genE10ELNS1_11target_archE1200ELNS1_3gpuE4ELNS1_3repE0EEENS1_30default_config_static_selectorELNS0_4arch9wavefront6targetE1EEEvT1_, .Lfunc_end1218-_ZN7rocprim17ROCPRIM_400000_NS6detail17trampoline_kernelINS0_14default_configENS1_25partition_config_selectorILNS1_17partition_subalgoE9EllbEEZZNS1_14partition_implILS5_9ELb0ES3_jPlS8_PNS0_10empty_typeENS0_5tupleIJS8_S9_EEENSB_IJS8_SA_EEENS0_18inequality_wrapperIZN2at6native12_GLOBAL__N_124unique_dim_cuda_templateIN3c108BFloat16EEESt5tupleIJNSF_6TensorESM_SM_EERKSM_lbbbEUlllE0_EEPmJS9_EEE10hipError_tPvRmT3_T4_T5_T6_T7_T9_mT8_P12ihipStream_tbDpT10_ENKUlT_T0_E_clISt17integral_constantIbLb1EES1C_EEDaS17_S18_EUlS17_E_NS1_11comp_targetILNS1_3genE10ELNS1_11target_archE1200ELNS1_3gpuE4ELNS1_3repE0EEENS1_30default_config_static_selectorELNS0_4arch9wavefront6targetE1EEEvT1_
                                        ; -- End function
	.section	.AMDGPU.csdata,"",@progbits
; Kernel info:
; codeLenInByte = 0
; NumSgprs: 4
; NumVgprs: 0
; NumAgprs: 0
; TotalNumVgprs: 0
; ScratchSize: 0
; MemoryBound: 0
; FloatMode: 240
; IeeeMode: 1
; LDSByteSize: 0 bytes/workgroup (compile time only)
; SGPRBlocks: 0
; VGPRBlocks: 0
; NumSGPRsForWavesPerEU: 4
; NumVGPRsForWavesPerEU: 1
; AccumOffset: 4
; Occupancy: 8
; WaveLimiterHint : 0
; COMPUTE_PGM_RSRC2:SCRATCH_EN: 0
; COMPUTE_PGM_RSRC2:USER_SGPR: 6
; COMPUTE_PGM_RSRC2:TRAP_HANDLER: 0
; COMPUTE_PGM_RSRC2:TGID_X_EN: 1
; COMPUTE_PGM_RSRC2:TGID_Y_EN: 0
; COMPUTE_PGM_RSRC2:TGID_Z_EN: 0
; COMPUTE_PGM_RSRC2:TIDIG_COMP_CNT: 0
; COMPUTE_PGM_RSRC3_GFX90A:ACCUM_OFFSET: 0
; COMPUTE_PGM_RSRC3_GFX90A:TG_SPLIT: 0
	.section	.text._ZN7rocprim17ROCPRIM_400000_NS6detail17trampoline_kernelINS0_14default_configENS1_25partition_config_selectorILNS1_17partition_subalgoE9EllbEEZZNS1_14partition_implILS5_9ELb0ES3_jPlS8_PNS0_10empty_typeENS0_5tupleIJS8_S9_EEENSB_IJS8_SA_EEENS0_18inequality_wrapperIZN2at6native12_GLOBAL__N_124unique_dim_cuda_templateIN3c108BFloat16EEESt5tupleIJNSF_6TensorESM_SM_EERKSM_lbbbEUlllE0_EEPmJS9_EEE10hipError_tPvRmT3_T4_T5_T6_T7_T9_mT8_P12ihipStream_tbDpT10_ENKUlT_T0_E_clISt17integral_constantIbLb1EES1C_EEDaS17_S18_EUlS17_E_NS1_11comp_targetILNS1_3genE9ELNS1_11target_archE1100ELNS1_3gpuE3ELNS1_3repE0EEENS1_30default_config_static_selectorELNS0_4arch9wavefront6targetE1EEEvT1_,"axG",@progbits,_ZN7rocprim17ROCPRIM_400000_NS6detail17trampoline_kernelINS0_14default_configENS1_25partition_config_selectorILNS1_17partition_subalgoE9EllbEEZZNS1_14partition_implILS5_9ELb0ES3_jPlS8_PNS0_10empty_typeENS0_5tupleIJS8_S9_EEENSB_IJS8_SA_EEENS0_18inequality_wrapperIZN2at6native12_GLOBAL__N_124unique_dim_cuda_templateIN3c108BFloat16EEESt5tupleIJNSF_6TensorESM_SM_EERKSM_lbbbEUlllE0_EEPmJS9_EEE10hipError_tPvRmT3_T4_T5_T6_T7_T9_mT8_P12ihipStream_tbDpT10_ENKUlT_T0_E_clISt17integral_constantIbLb1EES1C_EEDaS17_S18_EUlS17_E_NS1_11comp_targetILNS1_3genE9ELNS1_11target_archE1100ELNS1_3gpuE3ELNS1_3repE0EEENS1_30default_config_static_selectorELNS0_4arch9wavefront6targetE1EEEvT1_,comdat
	.globl	_ZN7rocprim17ROCPRIM_400000_NS6detail17trampoline_kernelINS0_14default_configENS1_25partition_config_selectorILNS1_17partition_subalgoE9EllbEEZZNS1_14partition_implILS5_9ELb0ES3_jPlS8_PNS0_10empty_typeENS0_5tupleIJS8_S9_EEENSB_IJS8_SA_EEENS0_18inequality_wrapperIZN2at6native12_GLOBAL__N_124unique_dim_cuda_templateIN3c108BFloat16EEESt5tupleIJNSF_6TensorESM_SM_EERKSM_lbbbEUlllE0_EEPmJS9_EEE10hipError_tPvRmT3_T4_T5_T6_T7_T9_mT8_P12ihipStream_tbDpT10_ENKUlT_T0_E_clISt17integral_constantIbLb1EES1C_EEDaS17_S18_EUlS17_E_NS1_11comp_targetILNS1_3genE9ELNS1_11target_archE1100ELNS1_3gpuE3ELNS1_3repE0EEENS1_30default_config_static_selectorELNS0_4arch9wavefront6targetE1EEEvT1_ ; -- Begin function _ZN7rocprim17ROCPRIM_400000_NS6detail17trampoline_kernelINS0_14default_configENS1_25partition_config_selectorILNS1_17partition_subalgoE9EllbEEZZNS1_14partition_implILS5_9ELb0ES3_jPlS8_PNS0_10empty_typeENS0_5tupleIJS8_S9_EEENSB_IJS8_SA_EEENS0_18inequality_wrapperIZN2at6native12_GLOBAL__N_124unique_dim_cuda_templateIN3c108BFloat16EEESt5tupleIJNSF_6TensorESM_SM_EERKSM_lbbbEUlllE0_EEPmJS9_EEE10hipError_tPvRmT3_T4_T5_T6_T7_T9_mT8_P12ihipStream_tbDpT10_ENKUlT_T0_E_clISt17integral_constantIbLb1EES1C_EEDaS17_S18_EUlS17_E_NS1_11comp_targetILNS1_3genE9ELNS1_11target_archE1100ELNS1_3gpuE3ELNS1_3repE0EEENS1_30default_config_static_selectorELNS0_4arch9wavefront6targetE1EEEvT1_
	.p2align	8
	.type	_ZN7rocprim17ROCPRIM_400000_NS6detail17trampoline_kernelINS0_14default_configENS1_25partition_config_selectorILNS1_17partition_subalgoE9EllbEEZZNS1_14partition_implILS5_9ELb0ES3_jPlS8_PNS0_10empty_typeENS0_5tupleIJS8_S9_EEENSB_IJS8_SA_EEENS0_18inequality_wrapperIZN2at6native12_GLOBAL__N_124unique_dim_cuda_templateIN3c108BFloat16EEESt5tupleIJNSF_6TensorESM_SM_EERKSM_lbbbEUlllE0_EEPmJS9_EEE10hipError_tPvRmT3_T4_T5_T6_T7_T9_mT8_P12ihipStream_tbDpT10_ENKUlT_T0_E_clISt17integral_constantIbLb1EES1C_EEDaS17_S18_EUlS17_E_NS1_11comp_targetILNS1_3genE9ELNS1_11target_archE1100ELNS1_3gpuE3ELNS1_3repE0EEENS1_30default_config_static_selectorELNS0_4arch9wavefront6targetE1EEEvT1_,@function
_ZN7rocprim17ROCPRIM_400000_NS6detail17trampoline_kernelINS0_14default_configENS1_25partition_config_selectorILNS1_17partition_subalgoE9EllbEEZZNS1_14partition_implILS5_9ELb0ES3_jPlS8_PNS0_10empty_typeENS0_5tupleIJS8_S9_EEENSB_IJS8_SA_EEENS0_18inequality_wrapperIZN2at6native12_GLOBAL__N_124unique_dim_cuda_templateIN3c108BFloat16EEESt5tupleIJNSF_6TensorESM_SM_EERKSM_lbbbEUlllE0_EEPmJS9_EEE10hipError_tPvRmT3_T4_T5_T6_T7_T9_mT8_P12ihipStream_tbDpT10_ENKUlT_T0_E_clISt17integral_constantIbLb1EES1C_EEDaS17_S18_EUlS17_E_NS1_11comp_targetILNS1_3genE9ELNS1_11target_archE1100ELNS1_3gpuE3ELNS1_3repE0EEENS1_30default_config_static_selectorELNS0_4arch9wavefront6targetE1EEEvT1_: ; @_ZN7rocprim17ROCPRIM_400000_NS6detail17trampoline_kernelINS0_14default_configENS1_25partition_config_selectorILNS1_17partition_subalgoE9EllbEEZZNS1_14partition_implILS5_9ELb0ES3_jPlS8_PNS0_10empty_typeENS0_5tupleIJS8_S9_EEENSB_IJS8_SA_EEENS0_18inequality_wrapperIZN2at6native12_GLOBAL__N_124unique_dim_cuda_templateIN3c108BFloat16EEESt5tupleIJNSF_6TensorESM_SM_EERKSM_lbbbEUlllE0_EEPmJS9_EEE10hipError_tPvRmT3_T4_T5_T6_T7_T9_mT8_P12ihipStream_tbDpT10_ENKUlT_T0_E_clISt17integral_constantIbLb1EES1C_EEDaS17_S18_EUlS17_E_NS1_11comp_targetILNS1_3genE9ELNS1_11target_archE1100ELNS1_3gpuE3ELNS1_3repE0EEENS1_30default_config_static_selectorELNS0_4arch9wavefront6targetE1EEEvT1_
; %bb.0:
	.section	.rodata,"a",@progbits
	.p2align	6, 0x0
	.amdhsa_kernel _ZN7rocprim17ROCPRIM_400000_NS6detail17trampoline_kernelINS0_14default_configENS1_25partition_config_selectorILNS1_17partition_subalgoE9EllbEEZZNS1_14partition_implILS5_9ELb0ES3_jPlS8_PNS0_10empty_typeENS0_5tupleIJS8_S9_EEENSB_IJS8_SA_EEENS0_18inequality_wrapperIZN2at6native12_GLOBAL__N_124unique_dim_cuda_templateIN3c108BFloat16EEESt5tupleIJNSF_6TensorESM_SM_EERKSM_lbbbEUlllE0_EEPmJS9_EEE10hipError_tPvRmT3_T4_T5_T6_T7_T9_mT8_P12ihipStream_tbDpT10_ENKUlT_T0_E_clISt17integral_constantIbLb1EES1C_EEDaS17_S18_EUlS17_E_NS1_11comp_targetILNS1_3genE9ELNS1_11target_archE1100ELNS1_3gpuE3ELNS1_3repE0EEENS1_30default_config_static_selectorELNS0_4arch9wavefront6targetE1EEEvT1_
		.amdhsa_group_segment_fixed_size 0
		.amdhsa_private_segment_fixed_size 0
		.amdhsa_kernarg_size 136
		.amdhsa_user_sgpr_count 6
		.amdhsa_user_sgpr_private_segment_buffer 1
		.amdhsa_user_sgpr_dispatch_ptr 0
		.amdhsa_user_sgpr_queue_ptr 0
		.amdhsa_user_sgpr_kernarg_segment_ptr 1
		.amdhsa_user_sgpr_dispatch_id 0
		.amdhsa_user_sgpr_flat_scratch_init 0
		.amdhsa_user_sgpr_kernarg_preload_length 0
		.amdhsa_user_sgpr_kernarg_preload_offset 0
		.amdhsa_user_sgpr_private_segment_size 0
		.amdhsa_uses_dynamic_stack 0
		.amdhsa_system_sgpr_private_segment_wavefront_offset 0
		.amdhsa_system_sgpr_workgroup_id_x 1
		.amdhsa_system_sgpr_workgroup_id_y 0
		.amdhsa_system_sgpr_workgroup_id_z 0
		.amdhsa_system_sgpr_workgroup_info 0
		.amdhsa_system_vgpr_workitem_id 0
		.amdhsa_next_free_vgpr 1
		.amdhsa_next_free_sgpr 0
		.amdhsa_accum_offset 4
		.amdhsa_reserve_vcc 0
		.amdhsa_reserve_flat_scratch 0
		.amdhsa_float_round_mode_32 0
		.amdhsa_float_round_mode_16_64 0
		.amdhsa_float_denorm_mode_32 3
		.amdhsa_float_denorm_mode_16_64 3
		.amdhsa_dx10_clamp 1
		.amdhsa_ieee_mode 1
		.amdhsa_fp16_overflow 0
		.amdhsa_tg_split 0
		.amdhsa_exception_fp_ieee_invalid_op 0
		.amdhsa_exception_fp_denorm_src 0
		.amdhsa_exception_fp_ieee_div_zero 0
		.amdhsa_exception_fp_ieee_overflow 0
		.amdhsa_exception_fp_ieee_underflow 0
		.amdhsa_exception_fp_ieee_inexact 0
		.amdhsa_exception_int_div_zero 0
	.end_amdhsa_kernel
	.section	.text._ZN7rocprim17ROCPRIM_400000_NS6detail17trampoline_kernelINS0_14default_configENS1_25partition_config_selectorILNS1_17partition_subalgoE9EllbEEZZNS1_14partition_implILS5_9ELb0ES3_jPlS8_PNS0_10empty_typeENS0_5tupleIJS8_S9_EEENSB_IJS8_SA_EEENS0_18inequality_wrapperIZN2at6native12_GLOBAL__N_124unique_dim_cuda_templateIN3c108BFloat16EEESt5tupleIJNSF_6TensorESM_SM_EERKSM_lbbbEUlllE0_EEPmJS9_EEE10hipError_tPvRmT3_T4_T5_T6_T7_T9_mT8_P12ihipStream_tbDpT10_ENKUlT_T0_E_clISt17integral_constantIbLb1EES1C_EEDaS17_S18_EUlS17_E_NS1_11comp_targetILNS1_3genE9ELNS1_11target_archE1100ELNS1_3gpuE3ELNS1_3repE0EEENS1_30default_config_static_selectorELNS0_4arch9wavefront6targetE1EEEvT1_,"axG",@progbits,_ZN7rocprim17ROCPRIM_400000_NS6detail17trampoline_kernelINS0_14default_configENS1_25partition_config_selectorILNS1_17partition_subalgoE9EllbEEZZNS1_14partition_implILS5_9ELb0ES3_jPlS8_PNS0_10empty_typeENS0_5tupleIJS8_S9_EEENSB_IJS8_SA_EEENS0_18inequality_wrapperIZN2at6native12_GLOBAL__N_124unique_dim_cuda_templateIN3c108BFloat16EEESt5tupleIJNSF_6TensorESM_SM_EERKSM_lbbbEUlllE0_EEPmJS9_EEE10hipError_tPvRmT3_T4_T5_T6_T7_T9_mT8_P12ihipStream_tbDpT10_ENKUlT_T0_E_clISt17integral_constantIbLb1EES1C_EEDaS17_S18_EUlS17_E_NS1_11comp_targetILNS1_3genE9ELNS1_11target_archE1100ELNS1_3gpuE3ELNS1_3repE0EEENS1_30default_config_static_selectorELNS0_4arch9wavefront6targetE1EEEvT1_,comdat
.Lfunc_end1219:
	.size	_ZN7rocprim17ROCPRIM_400000_NS6detail17trampoline_kernelINS0_14default_configENS1_25partition_config_selectorILNS1_17partition_subalgoE9EllbEEZZNS1_14partition_implILS5_9ELb0ES3_jPlS8_PNS0_10empty_typeENS0_5tupleIJS8_S9_EEENSB_IJS8_SA_EEENS0_18inequality_wrapperIZN2at6native12_GLOBAL__N_124unique_dim_cuda_templateIN3c108BFloat16EEESt5tupleIJNSF_6TensorESM_SM_EERKSM_lbbbEUlllE0_EEPmJS9_EEE10hipError_tPvRmT3_T4_T5_T6_T7_T9_mT8_P12ihipStream_tbDpT10_ENKUlT_T0_E_clISt17integral_constantIbLb1EES1C_EEDaS17_S18_EUlS17_E_NS1_11comp_targetILNS1_3genE9ELNS1_11target_archE1100ELNS1_3gpuE3ELNS1_3repE0EEENS1_30default_config_static_selectorELNS0_4arch9wavefront6targetE1EEEvT1_, .Lfunc_end1219-_ZN7rocprim17ROCPRIM_400000_NS6detail17trampoline_kernelINS0_14default_configENS1_25partition_config_selectorILNS1_17partition_subalgoE9EllbEEZZNS1_14partition_implILS5_9ELb0ES3_jPlS8_PNS0_10empty_typeENS0_5tupleIJS8_S9_EEENSB_IJS8_SA_EEENS0_18inequality_wrapperIZN2at6native12_GLOBAL__N_124unique_dim_cuda_templateIN3c108BFloat16EEESt5tupleIJNSF_6TensorESM_SM_EERKSM_lbbbEUlllE0_EEPmJS9_EEE10hipError_tPvRmT3_T4_T5_T6_T7_T9_mT8_P12ihipStream_tbDpT10_ENKUlT_T0_E_clISt17integral_constantIbLb1EES1C_EEDaS17_S18_EUlS17_E_NS1_11comp_targetILNS1_3genE9ELNS1_11target_archE1100ELNS1_3gpuE3ELNS1_3repE0EEENS1_30default_config_static_selectorELNS0_4arch9wavefront6targetE1EEEvT1_
                                        ; -- End function
	.section	.AMDGPU.csdata,"",@progbits
; Kernel info:
; codeLenInByte = 0
; NumSgprs: 4
; NumVgprs: 0
; NumAgprs: 0
; TotalNumVgprs: 0
; ScratchSize: 0
; MemoryBound: 0
; FloatMode: 240
; IeeeMode: 1
; LDSByteSize: 0 bytes/workgroup (compile time only)
; SGPRBlocks: 0
; VGPRBlocks: 0
; NumSGPRsForWavesPerEU: 4
; NumVGPRsForWavesPerEU: 1
; AccumOffset: 4
; Occupancy: 8
; WaveLimiterHint : 0
; COMPUTE_PGM_RSRC2:SCRATCH_EN: 0
; COMPUTE_PGM_RSRC2:USER_SGPR: 6
; COMPUTE_PGM_RSRC2:TRAP_HANDLER: 0
; COMPUTE_PGM_RSRC2:TGID_X_EN: 1
; COMPUTE_PGM_RSRC2:TGID_Y_EN: 0
; COMPUTE_PGM_RSRC2:TGID_Z_EN: 0
; COMPUTE_PGM_RSRC2:TIDIG_COMP_CNT: 0
; COMPUTE_PGM_RSRC3_GFX90A:ACCUM_OFFSET: 0
; COMPUTE_PGM_RSRC3_GFX90A:TG_SPLIT: 0
	.section	.text._ZN7rocprim17ROCPRIM_400000_NS6detail17trampoline_kernelINS0_14default_configENS1_25partition_config_selectorILNS1_17partition_subalgoE9EllbEEZZNS1_14partition_implILS5_9ELb0ES3_jPlS8_PNS0_10empty_typeENS0_5tupleIJS8_S9_EEENSB_IJS8_SA_EEENS0_18inequality_wrapperIZN2at6native12_GLOBAL__N_124unique_dim_cuda_templateIN3c108BFloat16EEESt5tupleIJNSF_6TensorESM_SM_EERKSM_lbbbEUlllE0_EEPmJS9_EEE10hipError_tPvRmT3_T4_T5_T6_T7_T9_mT8_P12ihipStream_tbDpT10_ENKUlT_T0_E_clISt17integral_constantIbLb1EES1C_EEDaS17_S18_EUlS17_E_NS1_11comp_targetILNS1_3genE8ELNS1_11target_archE1030ELNS1_3gpuE2ELNS1_3repE0EEENS1_30default_config_static_selectorELNS0_4arch9wavefront6targetE1EEEvT1_,"axG",@progbits,_ZN7rocprim17ROCPRIM_400000_NS6detail17trampoline_kernelINS0_14default_configENS1_25partition_config_selectorILNS1_17partition_subalgoE9EllbEEZZNS1_14partition_implILS5_9ELb0ES3_jPlS8_PNS0_10empty_typeENS0_5tupleIJS8_S9_EEENSB_IJS8_SA_EEENS0_18inequality_wrapperIZN2at6native12_GLOBAL__N_124unique_dim_cuda_templateIN3c108BFloat16EEESt5tupleIJNSF_6TensorESM_SM_EERKSM_lbbbEUlllE0_EEPmJS9_EEE10hipError_tPvRmT3_T4_T5_T6_T7_T9_mT8_P12ihipStream_tbDpT10_ENKUlT_T0_E_clISt17integral_constantIbLb1EES1C_EEDaS17_S18_EUlS17_E_NS1_11comp_targetILNS1_3genE8ELNS1_11target_archE1030ELNS1_3gpuE2ELNS1_3repE0EEENS1_30default_config_static_selectorELNS0_4arch9wavefront6targetE1EEEvT1_,comdat
	.globl	_ZN7rocprim17ROCPRIM_400000_NS6detail17trampoline_kernelINS0_14default_configENS1_25partition_config_selectorILNS1_17partition_subalgoE9EllbEEZZNS1_14partition_implILS5_9ELb0ES3_jPlS8_PNS0_10empty_typeENS0_5tupleIJS8_S9_EEENSB_IJS8_SA_EEENS0_18inequality_wrapperIZN2at6native12_GLOBAL__N_124unique_dim_cuda_templateIN3c108BFloat16EEESt5tupleIJNSF_6TensorESM_SM_EERKSM_lbbbEUlllE0_EEPmJS9_EEE10hipError_tPvRmT3_T4_T5_T6_T7_T9_mT8_P12ihipStream_tbDpT10_ENKUlT_T0_E_clISt17integral_constantIbLb1EES1C_EEDaS17_S18_EUlS17_E_NS1_11comp_targetILNS1_3genE8ELNS1_11target_archE1030ELNS1_3gpuE2ELNS1_3repE0EEENS1_30default_config_static_selectorELNS0_4arch9wavefront6targetE1EEEvT1_ ; -- Begin function _ZN7rocprim17ROCPRIM_400000_NS6detail17trampoline_kernelINS0_14default_configENS1_25partition_config_selectorILNS1_17partition_subalgoE9EllbEEZZNS1_14partition_implILS5_9ELb0ES3_jPlS8_PNS0_10empty_typeENS0_5tupleIJS8_S9_EEENSB_IJS8_SA_EEENS0_18inequality_wrapperIZN2at6native12_GLOBAL__N_124unique_dim_cuda_templateIN3c108BFloat16EEESt5tupleIJNSF_6TensorESM_SM_EERKSM_lbbbEUlllE0_EEPmJS9_EEE10hipError_tPvRmT3_T4_T5_T6_T7_T9_mT8_P12ihipStream_tbDpT10_ENKUlT_T0_E_clISt17integral_constantIbLb1EES1C_EEDaS17_S18_EUlS17_E_NS1_11comp_targetILNS1_3genE8ELNS1_11target_archE1030ELNS1_3gpuE2ELNS1_3repE0EEENS1_30default_config_static_selectorELNS0_4arch9wavefront6targetE1EEEvT1_
	.p2align	8
	.type	_ZN7rocprim17ROCPRIM_400000_NS6detail17trampoline_kernelINS0_14default_configENS1_25partition_config_selectorILNS1_17partition_subalgoE9EllbEEZZNS1_14partition_implILS5_9ELb0ES3_jPlS8_PNS0_10empty_typeENS0_5tupleIJS8_S9_EEENSB_IJS8_SA_EEENS0_18inequality_wrapperIZN2at6native12_GLOBAL__N_124unique_dim_cuda_templateIN3c108BFloat16EEESt5tupleIJNSF_6TensorESM_SM_EERKSM_lbbbEUlllE0_EEPmJS9_EEE10hipError_tPvRmT3_T4_T5_T6_T7_T9_mT8_P12ihipStream_tbDpT10_ENKUlT_T0_E_clISt17integral_constantIbLb1EES1C_EEDaS17_S18_EUlS17_E_NS1_11comp_targetILNS1_3genE8ELNS1_11target_archE1030ELNS1_3gpuE2ELNS1_3repE0EEENS1_30default_config_static_selectorELNS0_4arch9wavefront6targetE1EEEvT1_,@function
_ZN7rocprim17ROCPRIM_400000_NS6detail17trampoline_kernelINS0_14default_configENS1_25partition_config_selectorILNS1_17partition_subalgoE9EllbEEZZNS1_14partition_implILS5_9ELb0ES3_jPlS8_PNS0_10empty_typeENS0_5tupleIJS8_S9_EEENSB_IJS8_SA_EEENS0_18inequality_wrapperIZN2at6native12_GLOBAL__N_124unique_dim_cuda_templateIN3c108BFloat16EEESt5tupleIJNSF_6TensorESM_SM_EERKSM_lbbbEUlllE0_EEPmJS9_EEE10hipError_tPvRmT3_T4_T5_T6_T7_T9_mT8_P12ihipStream_tbDpT10_ENKUlT_T0_E_clISt17integral_constantIbLb1EES1C_EEDaS17_S18_EUlS17_E_NS1_11comp_targetILNS1_3genE8ELNS1_11target_archE1030ELNS1_3gpuE2ELNS1_3repE0EEENS1_30default_config_static_selectorELNS0_4arch9wavefront6targetE1EEEvT1_: ; @_ZN7rocprim17ROCPRIM_400000_NS6detail17trampoline_kernelINS0_14default_configENS1_25partition_config_selectorILNS1_17partition_subalgoE9EllbEEZZNS1_14partition_implILS5_9ELb0ES3_jPlS8_PNS0_10empty_typeENS0_5tupleIJS8_S9_EEENSB_IJS8_SA_EEENS0_18inequality_wrapperIZN2at6native12_GLOBAL__N_124unique_dim_cuda_templateIN3c108BFloat16EEESt5tupleIJNSF_6TensorESM_SM_EERKSM_lbbbEUlllE0_EEPmJS9_EEE10hipError_tPvRmT3_T4_T5_T6_T7_T9_mT8_P12ihipStream_tbDpT10_ENKUlT_T0_E_clISt17integral_constantIbLb1EES1C_EEDaS17_S18_EUlS17_E_NS1_11comp_targetILNS1_3genE8ELNS1_11target_archE1030ELNS1_3gpuE2ELNS1_3repE0EEENS1_30default_config_static_selectorELNS0_4arch9wavefront6targetE1EEEvT1_
; %bb.0:
	.section	.rodata,"a",@progbits
	.p2align	6, 0x0
	.amdhsa_kernel _ZN7rocprim17ROCPRIM_400000_NS6detail17trampoline_kernelINS0_14default_configENS1_25partition_config_selectorILNS1_17partition_subalgoE9EllbEEZZNS1_14partition_implILS5_9ELb0ES3_jPlS8_PNS0_10empty_typeENS0_5tupleIJS8_S9_EEENSB_IJS8_SA_EEENS0_18inequality_wrapperIZN2at6native12_GLOBAL__N_124unique_dim_cuda_templateIN3c108BFloat16EEESt5tupleIJNSF_6TensorESM_SM_EERKSM_lbbbEUlllE0_EEPmJS9_EEE10hipError_tPvRmT3_T4_T5_T6_T7_T9_mT8_P12ihipStream_tbDpT10_ENKUlT_T0_E_clISt17integral_constantIbLb1EES1C_EEDaS17_S18_EUlS17_E_NS1_11comp_targetILNS1_3genE8ELNS1_11target_archE1030ELNS1_3gpuE2ELNS1_3repE0EEENS1_30default_config_static_selectorELNS0_4arch9wavefront6targetE1EEEvT1_
		.amdhsa_group_segment_fixed_size 0
		.amdhsa_private_segment_fixed_size 0
		.amdhsa_kernarg_size 136
		.amdhsa_user_sgpr_count 6
		.amdhsa_user_sgpr_private_segment_buffer 1
		.amdhsa_user_sgpr_dispatch_ptr 0
		.amdhsa_user_sgpr_queue_ptr 0
		.amdhsa_user_sgpr_kernarg_segment_ptr 1
		.amdhsa_user_sgpr_dispatch_id 0
		.amdhsa_user_sgpr_flat_scratch_init 0
		.amdhsa_user_sgpr_kernarg_preload_length 0
		.amdhsa_user_sgpr_kernarg_preload_offset 0
		.amdhsa_user_sgpr_private_segment_size 0
		.amdhsa_uses_dynamic_stack 0
		.amdhsa_system_sgpr_private_segment_wavefront_offset 0
		.amdhsa_system_sgpr_workgroup_id_x 1
		.amdhsa_system_sgpr_workgroup_id_y 0
		.amdhsa_system_sgpr_workgroup_id_z 0
		.amdhsa_system_sgpr_workgroup_info 0
		.amdhsa_system_vgpr_workitem_id 0
		.amdhsa_next_free_vgpr 1
		.amdhsa_next_free_sgpr 0
		.amdhsa_accum_offset 4
		.amdhsa_reserve_vcc 0
		.amdhsa_reserve_flat_scratch 0
		.amdhsa_float_round_mode_32 0
		.amdhsa_float_round_mode_16_64 0
		.amdhsa_float_denorm_mode_32 3
		.amdhsa_float_denorm_mode_16_64 3
		.amdhsa_dx10_clamp 1
		.amdhsa_ieee_mode 1
		.amdhsa_fp16_overflow 0
		.amdhsa_tg_split 0
		.amdhsa_exception_fp_ieee_invalid_op 0
		.amdhsa_exception_fp_denorm_src 0
		.amdhsa_exception_fp_ieee_div_zero 0
		.amdhsa_exception_fp_ieee_overflow 0
		.amdhsa_exception_fp_ieee_underflow 0
		.amdhsa_exception_fp_ieee_inexact 0
		.amdhsa_exception_int_div_zero 0
	.end_amdhsa_kernel
	.section	.text._ZN7rocprim17ROCPRIM_400000_NS6detail17trampoline_kernelINS0_14default_configENS1_25partition_config_selectorILNS1_17partition_subalgoE9EllbEEZZNS1_14partition_implILS5_9ELb0ES3_jPlS8_PNS0_10empty_typeENS0_5tupleIJS8_S9_EEENSB_IJS8_SA_EEENS0_18inequality_wrapperIZN2at6native12_GLOBAL__N_124unique_dim_cuda_templateIN3c108BFloat16EEESt5tupleIJNSF_6TensorESM_SM_EERKSM_lbbbEUlllE0_EEPmJS9_EEE10hipError_tPvRmT3_T4_T5_T6_T7_T9_mT8_P12ihipStream_tbDpT10_ENKUlT_T0_E_clISt17integral_constantIbLb1EES1C_EEDaS17_S18_EUlS17_E_NS1_11comp_targetILNS1_3genE8ELNS1_11target_archE1030ELNS1_3gpuE2ELNS1_3repE0EEENS1_30default_config_static_selectorELNS0_4arch9wavefront6targetE1EEEvT1_,"axG",@progbits,_ZN7rocprim17ROCPRIM_400000_NS6detail17trampoline_kernelINS0_14default_configENS1_25partition_config_selectorILNS1_17partition_subalgoE9EllbEEZZNS1_14partition_implILS5_9ELb0ES3_jPlS8_PNS0_10empty_typeENS0_5tupleIJS8_S9_EEENSB_IJS8_SA_EEENS0_18inequality_wrapperIZN2at6native12_GLOBAL__N_124unique_dim_cuda_templateIN3c108BFloat16EEESt5tupleIJNSF_6TensorESM_SM_EERKSM_lbbbEUlllE0_EEPmJS9_EEE10hipError_tPvRmT3_T4_T5_T6_T7_T9_mT8_P12ihipStream_tbDpT10_ENKUlT_T0_E_clISt17integral_constantIbLb1EES1C_EEDaS17_S18_EUlS17_E_NS1_11comp_targetILNS1_3genE8ELNS1_11target_archE1030ELNS1_3gpuE2ELNS1_3repE0EEENS1_30default_config_static_selectorELNS0_4arch9wavefront6targetE1EEEvT1_,comdat
.Lfunc_end1220:
	.size	_ZN7rocprim17ROCPRIM_400000_NS6detail17trampoline_kernelINS0_14default_configENS1_25partition_config_selectorILNS1_17partition_subalgoE9EllbEEZZNS1_14partition_implILS5_9ELb0ES3_jPlS8_PNS0_10empty_typeENS0_5tupleIJS8_S9_EEENSB_IJS8_SA_EEENS0_18inequality_wrapperIZN2at6native12_GLOBAL__N_124unique_dim_cuda_templateIN3c108BFloat16EEESt5tupleIJNSF_6TensorESM_SM_EERKSM_lbbbEUlllE0_EEPmJS9_EEE10hipError_tPvRmT3_T4_T5_T6_T7_T9_mT8_P12ihipStream_tbDpT10_ENKUlT_T0_E_clISt17integral_constantIbLb1EES1C_EEDaS17_S18_EUlS17_E_NS1_11comp_targetILNS1_3genE8ELNS1_11target_archE1030ELNS1_3gpuE2ELNS1_3repE0EEENS1_30default_config_static_selectorELNS0_4arch9wavefront6targetE1EEEvT1_, .Lfunc_end1220-_ZN7rocprim17ROCPRIM_400000_NS6detail17trampoline_kernelINS0_14default_configENS1_25partition_config_selectorILNS1_17partition_subalgoE9EllbEEZZNS1_14partition_implILS5_9ELb0ES3_jPlS8_PNS0_10empty_typeENS0_5tupleIJS8_S9_EEENSB_IJS8_SA_EEENS0_18inequality_wrapperIZN2at6native12_GLOBAL__N_124unique_dim_cuda_templateIN3c108BFloat16EEESt5tupleIJNSF_6TensorESM_SM_EERKSM_lbbbEUlllE0_EEPmJS9_EEE10hipError_tPvRmT3_T4_T5_T6_T7_T9_mT8_P12ihipStream_tbDpT10_ENKUlT_T0_E_clISt17integral_constantIbLb1EES1C_EEDaS17_S18_EUlS17_E_NS1_11comp_targetILNS1_3genE8ELNS1_11target_archE1030ELNS1_3gpuE2ELNS1_3repE0EEENS1_30default_config_static_selectorELNS0_4arch9wavefront6targetE1EEEvT1_
                                        ; -- End function
	.section	.AMDGPU.csdata,"",@progbits
; Kernel info:
; codeLenInByte = 0
; NumSgprs: 4
; NumVgprs: 0
; NumAgprs: 0
; TotalNumVgprs: 0
; ScratchSize: 0
; MemoryBound: 0
; FloatMode: 240
; IeeeMode: 1
; LDSByteSize: 0 bytes/workgroup (compile time only)
; SGPRBlocks: 0
; VGPRBlocks: 0
; NumSGPRsForWavesPerEU: 4
; NumVGPRsForWavesPerEU: 1
; AccumOffset: 4
; Occupancy: 8
; WaveLimiterHint : 0
; COMPUTE_PGM_RSRC2:SCRATCH_EN: 0
; COMPUTE_PGM_RSRC2:USER_SGPR: 6
; COMPUTE_PGM_RSRC2:TRAP_HANDLER: 0
; COMPUTE_PGM_RSRC2:TGID_X_EN: 1
; COMPUTE_PGM_RSRC2:TGID_Y_EN: 0
; COMPUTE_PGM_RSRC2:TGID_Z_EN: 0
; COMPUTE_PGM_RSRC2:TIDIG_COMP_CNT: 0
; COMPUTE_PGM_RSRC3_GFX90A:ACCUM_OFFSET: 0
; COMPUTE_PGM_RSRC3_GFX90A:TG_SPLIT: 0
	.section	.text._ZN7rocprim17ROCPRIM_400000_NS6detail17trampoline_kernelINS0_14default_configENS1_25partition_config_selectorILNS1_17partition_subalgoE9EllbEEZZNS1_14partition_implILS5_9ELb0ES3_jPlS8_PNS0_10empty_typeENS0_5tupleIJS8_S9_EEENSB_IJS8_SA_EEENS0_18inequality_wrapperIZN2at6native12_GLOBAL__N_124unique_dim_cuda_templateIN3c108BFloat16EEESt5tupleIJNSF_6TensorESM_SM_EERKSM_lbbbEUlllE0_EEPmJS9_EEE10hipError_tPvRmT3_T4_T5_T6_T7_T9_mT8_P12ihipStream_tbDpT10_ENKUlT_T0_E_clISt17integral_constantIbLb1EES1B_IbLb0EEEEDaS17_S18_EUlS17_E_NS1_11comp_targetILNS1_3genE0ELNS1_11target_archE4294967295ELNS1_3gpuE0ELNS1_3repE0EEENS1_30default_config_static_selectorELNS0_4arch9wavefront6targetE1EEEvT1_,"axG",@progbits,_ZN7rocprim17ROCPRIM_400000_NS6detail17trampoline_kernelINS0_14default_configENS1_25partition_config_selectorILNS1_17partition_subalgoE9EllbEEZZNS1_14partition_implILS5_9ELb0ES3_jPlS8_PNS0_10empty_typeENS0_5tupleIJS8_S9_EEENSB_IJS8_SA_EEENS0_18inequality_wrapperIZN2at6native12_GLOBAL__N_124unique_dim_cuda_templateIN3c108BFloat16EEESt5tupleIJNSF_6TensorESM_SM_EERKSM_lbbbEUlllE0_EEPmJS9_EEE10hipError_tPvRmT3_T4_T5_T6_T7_T9_mT8_P12ihipStream_tbDpT10_ENKUlT_T0_E_clISt17integral_constantIbLb1EES1B_IbLb0EEEEDaS17_S18_EUlS17_E_NS1_11comp_targetILNS1_3genE0ELNS1_11target_archE4294967295ELNS1_3gpuE0ELNS1_3repE0EEENS1_30default_config_static_selectorELNS0_4arch9wavefront6targetE1EEEvT1_,comdat
	.globl	_ZN7rocprim17ROCPRIM_400000_NS6detail17trampoline_kernelINS0_14default_configENS1_25partition_config_selectorILNS1_17partition_subalgoE9EllbEEZZNS1_14partition_implILS5_9ELb0ES3_jPlS8_PNS0_10empty_typeENS0_5tupleIJS8_S9_EEENSB_IJS8_SA_EEENS0_18inequality_wrapperIZN2at6native12_GLOBAL__N_124unique_dim_cuda_templateIN3c108BFloat16EEESt5tupleIJNSF_6TensorESM_SM_EERKSM_lbbbEUlllE0_EEPmJS9_EEE10hipError_tPvRmT3_T4_T5_T6_T7_T9_mT8_P12ihipStream_tbDpT10_ENKUlT_T0_E_clISt17integral_constantIbLb1EES1B_IbLb0EEEEDaS17_S18_EUlS17_E_NS1_11comp_targetILNS1_3genE0ELNS1_11target_archE4294967295ELNS1_3gpuE0ELNS1_3repE0EEENS1_30default_config_static_selectorELNS0_4arch9wavefront6targetE1EEEvT1_ ; -- Begin function _ZN7rocprim17ROCPRIM_400000_NS6detail17trampoline_kernelINS0_14default_configENS1_25partition_config_selectorILNS1_17partition_subalgoE9EllbEEZZNS1_14partition_implILS5_9ELb0ES3_jPlS8_PNS0_10empty_typeENS0_5tupleIJS8_S9_EEENSB_IJS8_SA_EEENS0_18inequality_wrapperIZN2at6native12_GLOBAL__N_124unique_dim_cuda_templateIN3c108BFloat16EEESt5tupleIJNSF_6TensorESM_SM_EERKSM_lbbbEUlllE0_EEPmJS9_EEE10hipError_tPvRmT3_T4_T5_T6_T7_T9_mT8_P12ihipStream_tbDpT10_ENKUlT_T0_E_clISt17integral_constantIbLb1EES1B_IbLb0EEEEDaS17_S18_EUlS17_E_NS1_11comp_targetILNS1_3genE0ELNS1_11target_archE4294967295ELNS1_3gpuE0ELNS1_3repE0EEENS1_30default_config_static_selectorELNS0_4arch9wavefront6targetE1EEEvT1_
	.p2align	8
	.type	_ZN7rocprim17ROCPRIM_400000_NS6detail17trampoline_kernelINS0_14default_configENS1_25partition_config_selectorILNS1_17partition_subalgoE9EllbEEZZNS1_14partition_implILS5_9ELb0ES3_jPlS8_PNS0_10empty_typeENS0_5tupleIJS8_S9_EEENSB_IJS8_SA_EEENS0_18inequality_wrapperIZN2at6native12_GLOBAL__N_124unique_dim_cuda_templateIN3c108BFloat16EEESt5tupleIJNSF_6TensorESM_SM_EERKSM_lbbbEUlllE0_EEPmJS9_EEE10hipError_tPvRmT3_T4_T5_T6_T7_T9_mT8_P12ihipStream_tbDpT10_ENKUlT_T0_E_clISt17integral_constantIbLb1EES1B_IbLb0EEEEDaS17_S18_EUlS17_E_NS1_11comp_targetILNS1_3genE0ELNS1_11target_archE4294967295ELNS1_3gpuE0ELNS1_3repE0EEENS1_30default_config_static_selectorELNS0_4arch9wavefront6targetE1EEEvT1_,@function
_ZN7rocprim17ROCPRIM_400000_NS6detail17trampoline_kernelINS0_14default_configENS1_25partition_config_selectorILNS1_17partition_subalgoE9EllbEEZZNS1_14partition_implILS5_9ELb0ES3_jPlS8_PNS0_10empty_typeENS0_5tupleIJS8_S9_EEENSB_IJS8_SA_EEENS0_18inequality_wrapperIZN2at6native12_GLOBAL__N_124unique_dim_cuda_templateIN3c108BFloat16EEESt5tupleIJNSF_6TensorESM_SM_EERKSM_lbbbEUlllE0_EEPmJS9_EEE10hipError_tPvRmT3_T4_T5_T6_T7_T9_mT8_P12ihipStream_tbDpT10_ENKUlT_T0_E_clISt17integral_constantIbLb1EES1B_IbLb0EEEEDaS17_S18_EUlS17_E_NS1_11comp_targetILNS1_3genE0ELNS1_11target_archE4294967295ELNS1_3gpuE0ELNS1_3repE0EEENS1_30default_config_static_selectorELNS0_4arch9wavefront6targetE1EEEvT1_: ; @_ZN7rocprim17ROCPRIM_400000_NS6detail17trampoline_kernelINS0_14default_configENS1_25partition_config_selectorILNS1_17partition_subalgoE9EllbEEZZNS1_14partition_implILS5_9ELb0ES3_jPlS8_PNS0_10empty_typeENS0_5tupleIJS8_S9_EEENSB_IJS8_SA_EEENS0_18inequality_wrapperIZN2at6native12_GLOBAL__N_124unique_dim_cuda_templateIN3c108BFloat16EEESt5tupleIJNSF_6TensorESM_SM_EERKSM_lbbbEUlllE0_EEPmJS9_EEE10hipError_tPvRmT3_T4_T5_T6_T7_T9_mT8_P12ihipStream_tbDpT10_ENKUlT_T0_E_clISt17integral_constantIbLb1EES1B_IbLb0EEEEDaS17_S18_EUlS17_E_NS1_11comp_targetILNS1_3genE0ELNS1_11target_archE4294967295ELNS1_3gpuE0ELNS1_3repE0EEENS1_30default_config_static_selectorELNS0_4arch9wavefront6targetE1EEEvT1_
; %bb.0:
	.section	.rodata,"a",@progbits
	.p2align	6, 0x0
	.amdhsa_kernel _ZN7rocprim17ROCPRIM_400000_NS6detail17trampoline_kernelINS0_14default_configENS1_25partition_config_selectorILNS1_17partition_subalgoE9EllbEEZZNS1_14partition_implILS5_9ELb0ES3_jPlS8_PNS0_10empty_typeENS0_5tupleIJS8_S9_EEENSB_IJS8_SA_EEENS0_18inequality_wrapperIZN2at6native12_GLOBAL__N_124unique_dim_cuda_templateIN3c108BFloat16EEESt5tupleIJNSF_6TensorESM_SM_EERKSM_lbbbEUlllE0_EEPmJS9_EEE10hipError_tPvRmT3_T4_T5_T6_T7_T9_mT8_P12ihipStream_tbDpT10_ENKUlT_T0_E_clISt17integral_constantIbLb1EES1B_IbLb0EEEEDaS17_S18_EUlS17_E_NS1_11comp_targetILNS1_3genE0ELNS1_11target_archE4294967295ELNS1_3gpuE0ELNS1_3repE0EEENS1_30default_config_static_selectorELNS0_4arch9wavefront6targetE1EEEvT1_
		.amdhsa_group_segment_fixed_size 0
		.amdhsa_private_segment_fixed_size 0
		.amdhsa_kernarg_size 120
		.amdhsa_user_sgpr_count 6
		.amdhsa_user_sgpr_private_segment_buffer 1
		.amdhsa_user_sgpr_dispatch_ptr 0
		.amdhsa_user_sgpr_queue_ptr 0
		.amdhsa_user_sgpr_kernarg_segment_ptr 1
		.amdhsa_user_sgpr_dispatch_id 0
		.amdhsa_user_sgpr_flat_scratch_init 0
		.amdhsa_user_sgpr_kernarg_preload_length 0
		.amdhsa_user_sgpr_kernarg_preload_offset 0
		.amdhsa_user_sgpr_private_segment_size 0
		.amdhsa_uses_dynamic_stack 0
		.amdhsa_system_sgpr_private_segment_wavefront_offset 0
		.amdhsa_system_sgpr_workgroup_id_x 1
		.amdhsa_system_sgpr_workgroup_id_y 0
		.amdhsa_system_sgpr_workgroup_id_z 0
		.amdhsa_system_sgpr_workgroup_info 0
		.amdhsa_system_vgpr_workitem_id 0
		.amdhsa_next_free_vgpr 1
		.amdhsa_next_free_sgpr 0
		.amdhsa_accum_offset 4
		.amdhsa_reserve_vcc 0
		.amdhsa_reserve_flat_scratch 0
		.amdhsa_float_round_mode_32 0
		.amdhsa_float_round_mode_16_64 0
		.amdhsa_float_denorm_mode_32 3
		.amdhsa_float_denorm_mode_16_64 3
		.amdhsa_dx10_clamp 1
		.amdhsa_ieee_mode 1
		.amdhsa_fp16_overflow 0
		.amdhsa_tg_split 0
		.amdhsa_exception_fp_ieee_invalid_op 0
		.amdhsa_exception_fp_denorm_src 0
		.amdhsa_exception_fp_ieee_div_zero 0
		.amdhsa_exception_fp_ieee_overflow 0
		.amdhsa_exception_fp_ieee_underflow 0
		.amdhsa_exception_fp_ieee_inexact 0
		.amdhsa_exception_int_div_zero 0
	.end_amdhsa_kernel
	.section	.text._ZN7rocprim17ROCPRIM_400000_NS6detail17trampoline_kernelINS0_14default_configENS1_25partition_config_selectorILNS1_17partition_subalgoE9EllbEEZZNS1_14partition_implILS5_9ELb0ES3_jPlS8_PNS0_10empty_typeENS0_5tupleIJS8_S9_EEENSB_IJS8_SA_EEENS0_18inequality_wrapperIZN2at6native12_GLOBAL__N_124unique_dim_cuda_templateIN3c108BFloat16EEESt5tupleIJNSF_6TensorESM_SM_EERKSM_lbbbEUlllE0_EEPmJS9_EEE10hipError_tPvRmT3_T4_T5_T6_T7_T9_mT8_P12ihipStream_tbDpT10_ENKUlT_T0_E_clISt17integral_constantIbLb1EES1B_IbLb0EEEEDaS17_S18_EUlS17_E_NS1_11comp_targetILNS1_3genE0ELNS1_11target_archE4294967295ELNS1_3gpuE0ELNS1_3repE0EEENS1_30default_config_static_selectorELNS0_4arch9wavefront6targetE1EEEvT1_,"axG",@progbits,_ZN7rocprim17ROCPRIM_400000_NS6detail17trampoline_kernelINS0_14default_configENS1_25partition_config_selectorILNS1_17partition_subalgoE9EllbEEZZNS1_14partition_implILS5_9ELb0ES3_jPlS8_PNS0_10empty_typeENS0_5tupleIJS8_S9_EEENSB_IJS8_SA_EEENS0_18inequality_wrapperIZN2at6native12_GLOBAL__N_124unique_dim_cuda_templateIN3c108BFloat16EEESt5tupleIJNSF_6TensorESM_SM_EERKSM_lbbbEUlllE0_EEPmJS9_EEE10hipError_tPvRmT3_T4_T5_T6_T7_T9_mT8_P12ihipStream_tbDpT10_ENKUlT_T0_E_clISt17integral_constantIbLb1EES1B_IbLb0EEEEDaS17_S18_EUlS17_E_NS1_11comp_targetILNS1_3genE0ELNS1_11target_archE4294967295ELNS1_3gpuE0ELNS1_3repE0EEENS1_30default_config_static_selectorELNS0_4arch9wavefront6targetE1EEEvT1_,comdat
.Lfunc_end1221:
	.size	_ZN7rocprim17ROCPRIM_400000_NS6detail17trampoline_kernelINS0_14default_configENS1_25partition_config_selectorILNS1_17partition_subalgoE9EllbEEZZNS1_14partition_implILS5_9ELb0ES3_jPlS8_PNS0_10empty_typeENS0_5tupleIJS8_S9_EEENSB_IJS8_SA_EEENS0_18inequality_wrapperIZN2at6native12_GLOBAL__N_124unique_dim_cuda_templateIN3c108BFloat16EEESt5tupleIJNSF_6TensorESM_SM_EERKSM_lbbbEUlllE0_EEPmJS9_EEE10hipError_tPvRmT3_T4_T5_T6_T7_T9_mT8_P12ihipStream_tbDpT10_ENKUlT_T0_E_clISt17integral_constantIbLb1EES1B_IbLb0EEEEDaS17_S18_EUlS17_E_NS1_11comp_targetILNS1_3genE0ELNS1_11target_archE4294967295ELNS1_3gpuE0ELNS1_3repE0EEENS1_30default_config_static_selectorELNS0_4arch9wavefront6targetE1EEEvT1_, .Lfunc_end1221-_ZN7rocprim17ROCPRIM_400000_NS6detail17trampoline_kernelINS0_14default_configENS1_25partition_config_selectorILNS1_17partition_subalgoE9EllbEEZZNS1_14partition_implILS5_9ELb0ES3_jPlS8_PNS0_10empty_typeENS0_5tupleIJS8_S9_EEENSB_IJS8_SA_EEENS0_18inequality_wrapperIZN2at6native12_GLOBAL__N_124unique_dim_cuda_templateIN3c108BFloat16EEESt5tupleIJNSF_6TensorESM_SM_EERKSM_lbbbEUlllE0_EEPmJS9_EEE10hipError_tPvRmT3_T4_T5_T6_T7_T9_mT8_P12ihipStream_tbDpT10_ENKUlT_T0_E_clISt17integral_constantIbLb1EES1B_IbLb0EEEEDaS17_S18_EUlS17_E_NS1_11comp_targetILNS1_3genE0ELNS1_11target_archE4294967295ELNS1_3gpuE0ELNS1_3repE0EEENS1_30default_config_static_selectorELNS0_4arch9wavefront6targetE1EEEvT1_
                                        ; -- End function
	.section	.AMDGPU.csdata,"",@progbits
; Kernel info:
; codeLenInByte = 0
; NumSgprs: 4
; NumVgprs: 0
; NumAgprs: 0
; TotalNumVgprs: 0
; ScratchSize: 0
; MemoryBound: 0
; FloatMode: 240
; IeeeMode: 1
; LDSByteSize: 0 bytes/workgroup (compile time only)
; SGPRBlocks: 0
; VGPRBlocks: 0
; NumSGPRsForWavesPerEU: 4
; NumVGPRsForWavesPerEU: 1
; AccumOffset: 4
; Occupancy: 8
; WaveLimiterHint : 0
; COMPUTE_PGM_RSRC2:SCRATCH_EN: 0
; COMPUTE_PGM_RSRC2:USER_SGPR: 6
; COMPUTE_PGM_RSRC2:TRAP_HANDLER: 0
; COMPUTE_PGM_RSRC2:TGID_X_EN: 1
; COMPUTE_PGM_RSRC2:TGID_Y_EN: 0
; COMPUTE_PGM_RSRC2:TGID_Z_EN: 0
; COMPUTE_PGM_RSRC2:TIDIG_COMP_CNT: 0
; COMPUTE_PGM_RSRC3_GFX90A:ACCUM_OFFSET: 0
; COMPUTE_PGM_RSRC3_GFX90A:TG_SPLIT: 0
	.section	.text._ZN7rocprim17ROCPRIM_400000_NS6detail17trampoline_kernelINS0_14default_configENS1_25partition_config_selectorILNS1_17partition_subalgoE9EllbEEZZNS1_14partition_implILS5_9ELb0ES3_jPlS8_PNS0_10empty_typeENS0_5tupleIJS8_S9_EEENSB_IJS8_SA_EEENS0_18inequality_wrapperIZN2at6native12_GLOBAL__N_124unique_dim_cuda_templateIN3c108BFloat16EEESt5tupleIJNSF_6TensorESM_SM_EERKSM_lbbbEUlllE0_EEPmJS9_EEE10hipError_tPvRmT3_T4_T5_T6_T7_T9_mT8_P12ihipStream_tbDpT10_ENKUlT_T0_E_clISt17integral_constantIbLb1EES1B_IbLb0EEEEDaS17_S18_EUlS17_E_NS1_11comp_targetILNS1_3genE5ELNS1_11target_archE942ELNS1_3gpuE9ELNS1_3repE0EEENS1_30default_config_static_selectorELNS0_4arch9wavefront6targetE1EEEvT1_,"axG",@progbits,_ZN7rocprim17ROCPRIM_400000_NS6detail17trampoline_kernelINS0_14default_configENS1_25partition_config_selectorILNS1_17partition_subalgoE9EllbEEZZNS1_14partition_implILS5_9ELb0ES3_jPlS8_PNS0_10empty_typeENS0_5tupleIJS8_S9_EEENSB_IJS8_SA_EEENS0_18inequality_wrapperIZN2at6native12_GLOBAL__N_124unique_dim_cuda_templateIN3c108BFloat16EEESt5tupleIJNSF_6TensorESM_SM_EERKSM_lbbbEUlllE0_EEPmJS9_EEE10hipError_tPvRmT3_T4_T5_T6_T7_T9_mT8_P12ihipStream_tbDpT10_ENKUlT_T0_E_clISt17integral_constantIbLb1EES1B_IbLb0EEEEDaS17_S18_EUlS17_E_NS1_11comp_targetILNS1_3genE5ELNS1_11target_archE942ELNS1_3gpuE9ELNS1_3repE0EEENS1_30default_config_static_selectorELNS0_4arch9wavefront6targetE1EEEvT1_,comdat
	.globl	_ZN7rocprim17ROCPRIM_400000_NS6detail17trampoline_kernelINS0_14default_configENS1_25partition_config_selectorILNS1_17partition_subalgoE9EllbEEZZNS1_14partition_implILS5_9ELb0ES3_jPlS8_PNS0_10empty_typeENS0_5tupleIJS8_S9_EEENSB_IJS8_SA_EEENS0_18inequality_wrapperIZN2at6native12_GLOBAL__N_124unique_dim_cuda_templateIN3c108BFloat16EEESt5tupleIJNSF_6TensorESM_SM_EERKSM_lbbbEUlllE0_EEPmJS9_EEE10hipError_tPvRmT3_T4_T5_T6_T7_T9_mT8_P12ihipStream_tbDpT10_ENKUlT_T0_E_clISt17integral_constantIbLb1EES1B_IbLb0EEEEDaS17_S18_EUlS17_E_NS1_11comp_targetILNS1_3genE5ELNS1_11target_archE942ELNS1_3gpuE9ELNS1_3repE0EEENS1_30default_config_static_selectorELNS0_4arch9wavefront6targetE1EEEvT1_ ; -- Begin function _ZN7rocprim17ROCPRIM_400000_NS6detail17trampoline_kernelINS0_14default_configENS1_25partition_config_selectorILNS1_17partition_subalgoE9EllbEEZZNS1_14partition_implILS5_9ELb0ES3_jPlS8_PNS0_10empty_typeENS0_5tupleIJS8_S9_EEENSB_IJS8_SA_EEENS0_18inequality_wrapperIZN2at6native12_GLOBAL__N_124unique_dim_cuda_templateIN3c108BFloat16EEESt5tupleIJNSF_6TensorESM_SM_EERKSM_lbbbEUlllE0_EEPmJS9_EEE10hipError_tPvRmT3_T4_T5_T6_T7_T9_mT8_P12ihipStream_tbDpT10_ENKUlT_T0_E_clISt17integral_constantIbLb1EES1B_IbLb0EEEEDaS17_S18_EUlS17_E_NS1_11comp_targetILNS1_3genE5ELNS1_11target_archE942ELNS1_3gpuE9ELNS1_3repE0EEENS1_30default_config_static_selectorELNS0_4arch9wavefront6targetE1EEEvT1_
	.p2align	8
	.type	_ZN7rocprim17ROCPRIM_400000_NS6detail17trampoline_kernelINS0_14default_configENS1_25partition_config_selectorILNS1_17partition_subalgoE9EllbEEZZNS1_14partition_implILS5_9ELb0ES3_jPlS8_PNS0_10empty_typeENS0_5tupleIJS8_S9_EEENSB_IJS8_SA_EEENS0_18inequality_wrapperIZN2at6native12_GLOBAL__N_124unique_dim_cuda_templateIN3c108BFloat16EEESt5tupleIJNSF_6TensorESM_SM_EERKSM_lbbbEUlllE0_EEPmJS9_EEE10hipError_tPvRmT3_T4_T5_T6_T7_T9_mT8_P12ihipStream_tbDpT10_ENKUlT_T0_E_clISt17integral_constantIbLb1EES1B_IbLb0EEEEDaS17_S18_EUlS17_E_NS1_11comp_targetILNS1_3genE5ELNS1_11target_archE942ELNS1_3gpuE9ELNS1_3repE0EEENS1_30default_config_static_selectorELNS0_4arch9wavefront6targetE1EEEvT1_,@function
_ZN7rocprim17ROCPRIM_400000_NS6detail17trampoline_kernelINS0_14default_configENS1_25partition_config_selectorILNS1_17partition_subalgoE9EllbEEZZNS1_14partition_implILS5_9ELb0ES3_jPlS8_PNS0_10empty_typeENS0_5tupleIJS8_S9_EEENSB_IJS8_SA_EEENS0_18inequality_wrapperIZN2at6native12_GLOBAL__N_124unique_dim_cuda_templateIN3c108BFloat16EEESt5tupleIJNSF_6TensorESM_SM_EERKSM_lbbbEUlllE0_EEPmJS9_EEE10hipError_tPvRmT3_T4_T5_T6_T7_T9_mT8_P12ihipStream_tbDpT10_ENKUlT_T0_E_clISt17integral_constantIbLb1EES1B_IbLb0EEEEDaS17_S18_EUlS17_E_NS1_11comp_targetILNS1_3genE5ELNS1_11target_archE942ELNS1_3gpuE9ELNS1_3repE0EEENS1_30default_config_static_selectorELNS0_4arch9wavefront6targetE1EEEvT1_: ; @_ZN7rocprim17ROCPRIM_400000_NS6detail17trampoline_kernelINS0_14default_configENS1_25partition_config_selectorILNS1_17partition_subalgoE9EllbEEZZNS1_14partition_implILS5_9ELb0ES3_jPlS8_PNS0_10empty_typeENS0_5tupleIJS8_S9_EEENSB_IJS8_SA_EEENS0_18inequality_wrapperIZN2at6native12_GLOBAL__N_124unique_dim_cuda_templateIN3c108BFloat16EEESt5tupleIJNSF_6TensorESM_SM_EERKSM_lbbbEUlllE0_EEPmJS9_EEE10hipError_tPvRmT3_T4_T5_T6_T7_T9_mT8_P12ihipStream_tbDpT10_ENKUlT_T0_E_clISt17integral_constantIbLb1EES1B_IbLb0EEEEDaS17_S18_EUlS17_E_NS1_11comp_targetILNS1_3genE5ELNS1_11target_archE942ELNS1_3gpuE9ELNS1_3repE0EEENS1_30default_config_static_selectorELNS0_4arch9wavefront6targetE1EEEvT1_
; %bb.0:
	.section	.rodata,"a",@progbits
	.p2align	6, 0x0
	.amdhsa_kernel _ZN7rocprim17ROCPRIM_400000_NS6detail17trampoline_kernelINS0_14default_configENS1_25partition_config_selectorILNS1_17partition_subalgoE9EllbEEZZNS1_14partition_implILS5_9ELb0ES3_jPlS8_PNS0_10empty_typeENS0_5tupleIJS8_S9_EEENSB_IJS8_SA_EEENS0_18inequality_wrapperIZN2at6native12_GLOBAL__N_124unique_dim_cuda_templateIN3c108BFloat16EEESt5tupleIJNSF_6TensorESM_SM_EERKSM_lbbbEUlllE0_EEPmJS9_EEE10hipError_tPvRmT3_T4_T5_T6_T7_T9_mT8_P12ihipStream_tbDpT10_ENKUlT_T0_E_clISt17integral_constantIbLb1EES1B_IbLb0EEEEDaS17_S18_EUlS17_E_NS1_11comp_targetILNS1_3genE5ELNS1_11target_archE942ELNS1_3gpuE9ELNS1_3repE0EEENS1_30default_config_static_selectorELNS0_4arch9wavefront6targetE1EEEvT1_
		.amdhsa_group_segment_fixed_size 0
		.amdhsa_private_segment_fixed_size 0
		.amdhsa_kernarg_size 120
		.amdhsa_user_sgpr_count 6
		.amdhsa_user_sgpr_private_segment_buffer 1
		.amdhsa_user_sgpr_dispatch_ptr 0
		.amdhsa_user_sgpr_queue_ptr 0
		.amdhsa_user_sgpr_kernarg_segment_ptr 1
		.amdhsa_user_sgpr_dispatch_id 0
		.amdhsa_user_sgpr_flat_scratch_init 0
		.amdhsa_user_sgpr_kernarg_preload_length 0
		.amdhsa_user_sgpr_kernarg_preload_offset 0
		.amdhsa_user_sgpr_private_segment_size 0
		.amdhsa_uses_dynamic_stack 0
		.amdhsa_system_sgpr_private_segment_wavefront_offset 0
		.amdhsa_system_sgpr_workgroup_id_x 1
		.amdhsa_system_sgpr_workgroup_id_y 0
		.amdhsa_system_sgpr_workgroup_id_z 0
		.amdhsa_system_sgpr_workgroup_info 0
		.amdhsa_system_vgpr_workitem_id 0
		.amdhsa_next_free_vgpr 1
		.amdhsa_next_free_sgpr 0
		.amdhsa_accum_offset 4
		.amdhsa_reserve_vcc 0
		.amdhsa_reserve_flat_scratch 0
		.amdhsa_float_round_mode_32 0
		.amdhsa_float_round_mode_16_64 0
		.amdhsa_float_denorm_mode_32 3
		.amdhsa_float_denorm_mode_16_64 3
		.amdhsa_dx10_clamp 1
		.amdhsa_ieee_mode 1
		.amdhsa_fp16_overflow 0
		.amdhsa_tg_split 0
		.amdhsa_exception_fp_ieee_invalid_op 0
		.amdhsa_exception_fp_denorm_src 0
		.amdhsa_exception_fp_ieee_div_zero 0
		.amdhsa_exception_fp_ieee_overflow 0
		.amdhsa_exception_fp_ieee_underflow 0
		.amdhsa_exception_fp_ieee_inexact 0
		.amdhsa_exception_int_div_zero 0
	.end_amdhsa_kernel
	.section	.text._ZN7rocprim17ROCPRIM_400000_NS6detail17trampoline_kernelINS0_14default_configENS1_25partition_config_selectorILNS1_17partition_subalgoE9EllbEEZZNS1_14partition_implILS5_9ELb0ES3_jPlS8_PNS0_10empty_typeENS0_5tupleIJS8_S9_EEENSB_IJS8_SA_EEENS0_18inequality_wrapperIZN2at6native12_GLOBAL__N_124unique_dim_cuda_templateIN3c108BFloat16EEESt5tupleIJNSF_6TensorESM_SM_EERKSM_lbbbEUlllE0_EEPmJS9_EEE10hipError_tPvRmT3_T4_T5_T6_T7_T9_mT8_P12ihipStream_tbDpT10_ENKUlT_T0_E_clISt17integral_constantIbLb1EES1B_IbLb0EEEEDaS17_S18_EUlS17_E_NS1_11comp_targetILNS1_3genE5ELNS1_11target_archE942ELNS1_3gpuE9ELNS1_3repE0EEENS1_30default_config_static_selectorELNS0_4arch9wavefront6targetE1EEEvT1_,"axG",@progbits,_ZN7rocprim17ROCPRIM_400000_NS6detail17trampoline_kernelINS0_14default_configENS1_25partition_config_selectorILNS1_17partition_subalgoE9EllbEEZZNS1_14partition_implILS5_9ELb0ES3_jPlS8_PNS0_10empty_typeENS0_5tupleIJS8_S9_EEENSB_IJS8_SA_EEENS0_18inequality_wrapperIZN2at6native12_GLOBAL__N_124unique_dim_cuda_templateIN3c108BFloat16EEESt5tupleIJNSF_6TensorESM_SM_EERKSM_lbbbEUlllE0_EEPmJS9_EEE10hipError_tPvRmT3_T4_T5_T6_T7_T9_mT8_P12ihipStream_tbDpT10_ENKUlT_T0_E_clISt17integral_constantIbLb1EES1B_IbLb0EEEEDaS17_S18_EUlS17_E_NS1_11comp_targetILNS1_3genE5ELNS1_11target_archE942ELNS1_3gpuE9ELNS1_3repE0EEENS1_30default_config_static_selectorELNS0_4arch9wavefront6targetE1EEEvT1_,comdat
.Lfunc_end1222:
	.size	_ZN7rocprim17ROCPRIM_400000_NS6detail17trampoline_kernelINS0_14default_configENS1_25partition_config_selectorILNS1_17partition_subalgoE9EllbEEZZNS1_14partition_implILS5_9ELb0ES3_jPlS8_PNS0_10empty_typeENS0_5tupleIJS8_S9_EEENSB_IJS8_SA_EEENS0_18inequality_wrapperIZN2at6native12_GLOBAL__N_124unique_dim_cuda_templateIN3c108BFloat16EEESt5tupleIJNSF_6TensorESM_SM_EERKSM_lbbbEUlllE0_EEPmJS9_EEE10hipError_tPvRmT3_T4_T5_T6_T7_T9_mT8_P12ihipStream_tbDpT10_ENKUlT_T0_E_clISt17integral_constantIbLb1EES1B_IbLb0EEEEDaS17_S18_EUlS17_E_NS1_11comp_targetILNS1_3genE5ELNS1_11target_archE942ELNS1_3gpuE9ELNS1_3repE0EEENS1_30default_config_static_selectorELNS0_4arch9wavefront6targetE1EEEvT1_, .Lfunc_end1222-_ZN7rocprim17ROCPRIM_400000_NS6detail17trampoline_kernelINS0_14default_configENS1_25partition_config_selectorILNS1_17partition_subalgoE9EllbEEZZNS1_14partition_implILS5_9ELb0ES3_jPlS8_PNS0_10empty_typeENS0_5tupleIJS8_S9_EEENSB_IJS8_SA_EEENS0_18inequality_wrapperIZN2at6native12_GLOBAL__N_124unique_dim_cuda_templateIN3c108BFloat16EEESt5tupleIJNSF_6TensorESM_SM_EERKSM_lbbbEUlllE0_EEPmJS9_EEE10hipError_tPvRmT3_T4_T5_T6_T7_T9_mT8_P12ihipStream_tbDpT10_ENKUlT_T0_E_clISt17integral_constantIbLb1EES1B_IbLb0EEEEDaS17_S18_EUlS17_E_NS1_11comp_targetILNS1_3genE5ELNS1_11target_archE942ELNS1_3gpuE9ELNS1_3repE0EEENS1_30default_config_static_selectorELNS0_4arch9wavefront6targetE1EEEvT1_
                                        ; -- End function
	.section	.AMDGPU.csdata,"",@progbits
; Kernel info:
; codeLenInByte = 0
; NumSgprs: 4
; NumVgprs: 0
; NumAgprs: 0
; TotalNumVgprs: 0
; ScratchSize: 0
; MemoryBound: 0
; FloatMode: 240
; IeeeMode: 1
; LDSByteSize: 0 bytes/workgroup (compile time only)
; SGPRBlocks: 0
; VGPRBlocks: 0
; NumSGPRsForWavesPerEU: 4
; NumVGPRsForWavesPerEU: 1
; AccumOffset: 4
; Occupancy: 8
; WaveLimiterHint : 0
; COMPUTE_PGM_RSRC2:SCRATCH_EN: 0
; COMPUTE_PGM_RSRC2:USER_SGPR: 6
; COMPUTE_PGM_RSRC2:TRAP_HANDLER: 0
; COMPUTE_PGM_RSRC2:TGID_X_EN: 1
; COMPUTE_PGM_RSRC2:TGID_Y_EN: 0
; COMPUTE_PGM_RSRC2:TGID_Z_EN: 0
; COMPUTE_PGM_RSRC2:TIDIG_COMP_CNT: 0
; COMPUTE_PGM_RSRC3_GFX90A:ACCUM_OFFSET: 0
; COMPUTE_PGM_RSRC3_GFX90A:TG_SPLIT: 0
	.section	.text._ZN7rocprim17ROCPRIM_400000_NS6detail17trampoline_kernelINS0_14default_configENS1_25partition_config_selectorILNS1_17partition_subalgoE9EllbEEZZNS1_14partition_implILS5_9ELb0ES3_jPlS8_PNS0_10empty_typeENS0_5tupleIJS8_S9_EEENSB_IJS8_SA_EEENS0_18inequality_wrapperIZN2at6native12_GLOBAL__N_124unique_dim_cuda_templateIN3c108BFloat16EEESt5tupleIJNSF_6TensorESM_SM_EERKSM_lbbbEUlllE0_EEPmJS9_EEE10hipError_tPvRmT3_T4_T5_T6_T7_T9_mT8_P12ihipStream_tbDpT10_ENKUlT_T0_E_clISt17integral_constantIbLb1EES1B_IbLb0EEEEDaS17_S18_EUlS17_E_NS1_11comp_targetILNS1_3genE4ELNS1_11target_archE910ELNS1_3gpuE8ELNS1_3repE0EEENS1_30default_config_static_selectorELNS0_4arch9wavefront6targetE1EEEvT1_,"axG",@progbits,_ZN7rocprim17ROCPRIM_400000_NS6detail17trampoline_kernelINS0_14default_configENS1_25partition_config_selectorILNS1_17partition_subalgoE9EllbEEZZNS1_14partition_implILS5_9ELb0ES3_jPlS8_PNS0_10empty_typeENS0_5tupleIJS8_S9_EEENSB_IJS8_SA_EEENS0_18inequality_wrapperIZN2at6native12_GLOBAL__N_124unique_dim_cuda_templateIN3c108BFloat16EEESt5tupleIJNSF_6TensorESM_SM_EERKSM_lbbbEUlllE0_EEPmJS9_EEE10hipError_tPvRmT3_T4_T5_T6_T7_T9_mT8_P12ihipStream_tbDpT10_ENKUlT_T0_E_clISt17integral_constantIbLb1EES1B_IbLb0EEEEDaS17_S18_EUlS17_E_NS1_11comp_targetILNS1_3genE4ELNS1_11target_archE910ELNS1_3gpuE8ELNS1_3repE0EEENS1_30default_config_static_selectorELNS0_4arch9wavefront6targetE1EEEvT1_,comdat
	.globl	_ZN7rocprim17ROCPRIM_400000_NS6detail17trampoline_kernelINS0_14default_configENS1_25partition_config_selectorILNS1_17partition_subalgoE9EllbEEZZNS1_14partition_implILS5_9ELb0ES3_jPlS8_PNS0_10empty_typeENS0_5tupleIJS8_S9_EEENSB_IJS8_SA_EEENS0_18inequality_wrapperIZN2at6native12_GLOBAL__N_124unique_dim_cuda_templateIN3c108BFloat16EEESt5tupleIJNSF_6TensorESM_SM_EERKSM_lbbbEUlllE0_EEPmJS9_EEE10hipError_tPvRmT3_T4_T5_T6_T7_T9_mT8_P12ihipStream_tbDpT10_ENKUlT_T0_E_clISt17integral_constantIbLb1EES1B_IbLb0EEEEDaS17_S18_EUlS17_E_NS1_11comp_targetILNS1_3genE4ELNS1_11target_archE910ELNS1_3gpuE8ELNS1_3repE0EEENS1_30default_config_static_selectorELNS0_4arch9wavefront6targetE1EEEvT1_ ; -- Begin function _ZN7rocprim17ROCPRIM_400000_NS6detail17trampoline_kernelINS0_14default_configENS1_25partition_config_selectorILNS1_17partition_subalgoE9EllbEEZZNS1_14partition_implILS5_9ELb0ES3_jPlS8_PNS0_10empty_typeENS0_5tupleIJS8_S9_EEENSB_IJS8_SA_EEENS0_18inequality_wrapperIZN2at6native12_GLOBAL__N_124unique_dim_cuda_templateIN3c108BFloat16EEESt5tupleIJNSF_6TensorESM_SM_EERKSM_lbbbEUlllE0_EEPmJS9_EEE10hipError_tPvRmT3_T4_T5_T6_T7_T9_mT8_P12ihipStream_tbDpT10_ENKUlT_T0_E_clISt17integral_constantIbLb1EES1B_IbLb0EEEEDaS17_S18_EUlS17_E_NS1_11comp_targetILNS1_3genE4ELNS1_11target_archE910ELNS1_3gpuE8ELNS1_3repE0EEENS1_30default_config_static_selectorELNS0_4arch9wavefront6targetE1EEEvT1_
	.p2align	8
	.type	_ZN7rocprim17ROCPRIM_400000_NS6detail17trampoline_kernelINS0_14default_configENS1_25partition_config_selectorILNS1_17partition_subalgoE9EllbEEZZNS1_14partition_implILS5_9ELb0ES3_jPlS8_PNS0_10empty_typeENS0_5tupleIJS8_S9_EEENSB_IJS8_SA_EEENS0_18inequality_wrapperIZN2at6native12_GLOBAL__N_124unique_dim_cuda_templateIN3c108BFloat16EEESt5tupleIJNSF_6TensorESM_SM_EERKSM_lbbbEUlllE0_EEPmJS9_EEE10hipError_tPvRmT3_T4_T5_T6_T7_T9_mT8_P12ihipStream_tbDpT10_ENKUlT_T0_E_clISt17integral_constantIbLb1EES1B_IbLb0EEEEDaS17_S18_EUlS17_E_NS1_11comp_targetILNS1_3genE4ELNS1_11target_archE910ELNS1_3gpuE8ELNS1_3repE0EEENS1_30default_config_static_selectorELNS0_4arch9wavefront6targetE1EEEvT1_,@function
_ZN7rocprim17ROCPRIM_400000_NS6detail17trampoline_kernelINS0_14default_configENS1_25partition_config_selectorILNS1_17partition_subalgoE9EllbEEZZNS1_14partition_implILS5_9ELb0ES3_jPlS8_PNS0_10empty_typeENS0_5tupleIJS8_S9_EEENSB_IJS8_SA_EEENS0_18inequality_wrapperIZN2at6native12_GLOBAL__N_124unique_dim_cuda_templateIN3c108BFloat16EEESt5tupleIJNSF_6TensorESM_SM_EERKSM_lbbbEUlllE0_EEPmJS9_EEE10hipError_tPvRmT3_T4_T5_T6_T7_T9_mT8_P12ihipStream_tbDpT10_ENKUlT_T0_E_clISt17integral_constantIbLb1EES1B_IbLb0EEEEDaS17_S18_EUlS17_E_NS1_11comp_targetILNS1_3genE4ELNS1_11target_archE910ELNS1_3gpuE8ELNS1_3repE0EEENS1_30default_config_static_selectorELNS0_4arch9wavefront6targetE1EEEvT1_: ; @_ZN7rocprim17ROCPRIM_400000_NS6detail17trampoline_kernelINS0_14default_configENS1_25partition_config_selectorILNS1_17partition_subalgoE9EllbEEZZNS1_14partition_implILS5_9ELb0ES3_jPlS8_PNS0_10empty_typeENS0_5tupleIJS8_S9_EEENSB_IJS8_SA_EEENS0_18inequality_wrapperIZN2at6native12_GLOBAL__N_124unique_dim_cuda_templateIN3c108BFloat16EEESt5tupleIJNSF_6TensorESM_SM_EERKSM_lbbbEUlllE0_EEPmJS9_EEE10hipError_tPvRmT3_T4_T5_T6_T7_T9_mT8_P12ihipStream_tbDpT10_ENKUlT_T0_E_clISt17integral_constantIbLb1EES1B_IbLb0EEEEDaS17_S18_EUlS17_E_NS1_11comp_targetILNS1_3genE4ELNS1_11target_archE910ELNS1_3gpuE8ELNS1_3repE0EEENS1_30default_config_static_selectorELNS0_4arch9wavefront6targetE1EEEvT1_
; %bb.0:
	s_load_dwordx8 s[20:27], s[4:5], 0x40
	s_load_dwordx4 s[0:3], s[4:5], 0x8
	s_load_dwordx2 s[12:13], s[4:5], 0x18
	s_load_dword s9, s[4:5], 0x70
	v_lshrrev_b32_e32 v18, 2, v0
	s_waitcnt lgkmcnt(0)
	v_mov_b32_e32 v2, s24
	s_lshl_b64 s[14:15], s[2:3], 3
	s_add_u32 s18, s0, s14
	s_addc_u32 s19, s1, s15
	s_add_i32 s10, s9, -1
	s_lshl_b32 s0, s10, 9
	s_add_i32 s0, s2, s0
	s_lshl_b32 s8, s6, 9
	s_sub_i32 s7, s24, s0
	s_lshl_b32 s0, s9, 9
	s_add_u32 s0, s2, s0
	s_addc_u32 s1, s3, 0
	v_mov_b32_e32 v3, s25
	s_cmp_eq_u32 s6, s10
	s_load_dwordx2 s[22:23], s[22:23], 0x0
	v_cmp_ge_u64_e32 vcc, s[0:1], v[2:3]
	s_cselect_b64 s[24:25], -1, 0
	s_mov_b32 s9, 0
	s_and_b64 s[10:11], s[24:25], vcc
	s_xor_b64 s[34:35], s[10:11], -1
	s_lshl_b64 s[16:17], s[8:9], 3
	s_add_u32 s8, s18, s16
	s_mov_b64 s[0:1], -1
	s_addc_u32 s9, s19, s17
	s_and_b64 vcc, exec, s[34:35]
	s_cbranch_vccz .LBB1223_2
; %bb.1:
	v_lshlrev_b32_e32 v1, 3, v0
	global_load_dwordx2 v[2:3], v1, s[8:9]
	global_load_dwordx2 v[4:5], v1, s[8:9] offset:1024
	global_load_dwordx2 v[6:7], v1, s[8:9] offset:2048
	;; [unrolled: 1-line block ×3, first 2 shown]
	v_or_b32_e32 v11, 0x80, v0
	v_or_b32_e32 v12, 0x100, v0
	;; [unrolled: 1-line block ×3, first 2 shown]
	v_and_b32_e32 v10, 24, v18
	v_lshrrev_b32_e32 v11, 2, v11
	v_lshrrev_b32_e32 v12, 2, v12
	;; [unrolled: 1-line block ×3, first 2 shown]
	v_add_u32_e32 v10, v10, v1
	v_and_b32_e32 v11, 56, v11
	v_and_b32_e32 v12, 0x58, v12
	;; [unrolled: 1-line block ×3, first 2 shown]
	v_add_u32_e32 v11, v11, v1
	v_add_u32_e32 v12, v12, v1
	;; [unrolled: 1-line block ×3, first 2 shown]
	s_mov_b64 s[0:1], 0
	s_waitcnt vmcnt(3)
	ds_write_b64 v10, v[2:3]
	s_waitcnt vmcnt(2)
	ds_write_b64 v11, v[4:5] offset:1024
	s_waitcnt vmcnt(1)
	ds_write_b64 v12, v[6:7] offset:2048
	;; [unrolled: 2-line block ×3, first 2 shown]
	s_waitcnt lgkmcnt(0)
	s_barrier
.LBB1223_2:
	s_load_dwordx4 s[28:31], s[4:5], 0x60
	s_andn2_b64 vcc, exec, s[0:1]
	v_cmp_gt_u32_e64 s[0:1], s7, v0
	s_cbranch_vccnz .LBB1223_12
; %bb.3:
                                        ; implicit-def: $vgpr2_vgpr3_vgpr4_vgpr5_vgpr6_vgpr7_vgpr8_vgpr9
	s_and_saveexec_b64 s[18:19], s[0:1]
	s_cbranch_execz .LBB1223_5
; %bb.4:
	v_lshlrev_b32_e32 v1, 3, v0
	global_load_dwordx2 v[2:3], v1, s[8:9]
.LBB1223_5:
	s_or_b64 exec, exec, s[18:19]
	v_or_b32_e32 v1, 0x80, v0
	v_cmp_gt_u32_e32 vcc, s7, v1
	s_and_saveexec_b64 s[0:1], vcc
	s_cbranch_execz .LBB1223_7
; %bb.6:
	v_lshlrev_b32_e32 v4, 3, v0
	global_load_dwordx2 v[4:5], v4, s[8:9] offset:1024
.LBB1223_7:
	s_or_b64 exec, exec, s[0:1]
	v_or_b32_e32 v10, 0x100, v0
	v_cmp_gt_u32_e32 vcc, s7, v10
	s_and_saveexec_b64 s[0:1], vcc
	s_cbranch_execz .LBB1223_9
; %bb.8:
	v_lshlrev_b32_e32 v6, 3, v0
	global_load_dwordx2 v[6:7], v6, s[8:9] offset:2048
.LBB1223_9:
	;; [unrolled: 9-line block ×3, first 2 shown]
	s_or_b64 exec, exec, s[0:1]
	v_lshrrev_b32_e32 v1, 2, v1
	v_lshlrev_b32_e32 v13, 3, v0
	v_and_b32_e32 v1, 56, v1
	v_add_u32_e32 v1, v1, v13
	s_waitcnt vmcnt(0)
	ds_write_b64 v1, v[4:5] offset:1024
	v_lshrrev_b32_e32 v1, 2, v10
	v_and_b32_e32 v1, 0x78, v1
	v_add_u32_e32 v1, v1, v13
	ds_write_b64 v1, v[6:7] offset:2048
	v_lshrrev_b32_e32 v1, 2, v11
	v_and_b32_e32 v12, 24, v18
	v_and_b32_e32 v1, 0x78, v1
	v_add_u32_e32 v12, v12, v13
	v_add_u32_e32 v1, v1, v13
	ds_write_b64 v12, v[2:3]
	ds_write_b64 v1, v[8:9] offset:3072
	s_waitcnt lgkmcnt(0)
	s_barrier
.LBB1223_12:
	v_lshlrev_b32_e32 v1, 2, v0
	v_lshrrev_b32_e32 v2, 3, v0
	v_add_lshl_u32 v19, v2, v1, 3
	s_waitcnt lgkmcnt(0)
	ds_read2_b64 v[14:17], v19 offset1:1
	ds_read2_b64 v[10:13], v19 offset0:2 offset1:3
	s_add_u32 s0, s12, s14
	s_addc_u32 s1, s13, s15
	s_add_u32 s0, s0, s16
	s_addc_u32 s1, s1, s17
	s_mov_b64 s[12:13], -1
	s_and_b64 vcc, exec, s[34:35]
	s_waitcnt lgkmcnt(0)
	s_barrier
	s_cbranch_vccz .LBB1223_14
; %bb.13:
	v_lshlrev_b32_e32 v20, 3, v0
	global_load_dwordx2 v[2:3], v20, s[0:1]
	global_load_dwordx2 v[4:5], v20, s[0:1] offset:1024
	global_load_dwordx2 v[6:7], v20, s[0:1] offset:2048
	;; [unrolled: 1-line block ×3, first 2 shown]
	v_or_b32_e32 v22, 0x80, v0
	v_or_b32_e32 v23, 0x100, v0
	;; [unrolled: 1-line block ×3, first 2 shown]
	v_and_b32_e32 v21, 24, v18
	v_lshrrev_b32_e32 v22, 2, v22
	v_lshrrev_b32_e32 v23, 2, v23
	;; [unrolled: 1-line block ×3, first 2 shown]
	v_add_u32_e32 v21, v21, v20
	v_and_b32_e32 v22, 56, v22
	v_and_b32_e32 v23, 0x58, v23
	;; [unrolled: 1-line block ×3, first 2 shown]
	v_add_u32_e32 v22, v22, v20
	v_add_u32_e32 v23, v23, v20
	;; [unrolled: 1-line block ×3, first 2 shown]
	s_mov_b64 s[12:13], 0
	s_waitcnt vmcnt(3)
	ds_write_b64 v21, v[2:3]
	s_waitcnt vmcnt(2)
	ds_write_b64 v22, v[4:5] offset:1024
	s_waitcnt vmcnt(1)
	ds_write_b64 v23, v[6:7] offset:2048
	;; [unrolled: 2-line block ×3, first 2 shown]
	s_waitcnt lgkmcnt(0)
	s_barrier
.LBB1223_14:
	s_andn2_b64 vcc, exec, s[12:13]
	s_cbranch_vccnz .LBB1223_24
; %bb.15:
	v_cmp_gt_u32_e32 vcc, s7, v0
                                        ; implicit-def: $vgpr2_vgpr3
	s_and_saveexec_b64 s[12:13], vcc
	s_cbranch_execz .LBB1223_17
; %bb.16:
	v_lshlrev_b32_e32 v2, 3, v0
	global_load_dwordx2 v[2:3], v2, s[0:1]
.LBB1223_17:
	s_or_b64 exec, exec, s[12:13]
	v_or_b32_e32 v20, 0x80, v0
	v_cmp_gt_u32_e32 vcc, s7, v20
                                        ; implicit-def: $vgpr4_vgpr5
	s_and_saveexec_b64 s[12:13], vcc
	s_cbranch_execz .LBB1223_19
; %bb.18:
	v_lshlrev_b32_e32 v4, 3, v0
	global_load_dwordx2 v[4:5], v4, s[0:1] offset:1024
.LBB1223_19:
	s_or_b64 exec, exec, s[12:13]
	v_or_b32_e32 v21, 0x100, v0
	v_cmp_gt_u32_e32 vcc, s7, v21
                                        ; implicit-def: $vgpr6_vgpr7
	s_and_saveexec_b64 s[12:13], vcc
	s_cbranch_execz .LBB1223_21
; %bb.20:
	v_lshlrev_b32_e32 v6, 3, v0
	global_load_dwordx2 v[6:7], v6, s[0:1] offset:2048
.LBB1223_21:
	s_or_b64 exec, exec, s[12:13]
	v_or_b32_e32 v22, 0x180, v0
	v_cmp_gt_u32_e32 vcc, s7, v22
                                        ; implicit-def: $vgpr8_vgpr9
	s_and_saveexec_b64 s[12:13], vcc
	s_cbranch_execz .LBB1223_23
; %bb.22:
	v_lshlrev_b32_e32 v8, 3, v0
	global_load_dwordx2 v[8:9], v8, s[0:1] offset:3072
.LBB1223_23:
	s_or_b64 exec, exec, s[12:13]
	v_and_b32_e32 v18, 24, v18
	v_lshlrev_b32_e32 v23, 3, v0
	v_add_u32_e32 v18, v18, v23
	s_waitcnt vmcnt(0)
	ds_write_b64 v18, v[2:3]
	v_lshrrev_b32_e32 v2, 2, v20
	v_and_b32_e32 v2, 56, v2
	v_add_u32_e32 v2, v2, v23
	ds_write_b64 v2, v[4:5] offset:1024
	v_lshrrev_b32_e32 v2, 2, v21
	v_and_b32_e32 v2, 0x78, v2
	v_add_u32_e32 v2, v2, v23
	ds_write_b64 v2, v[6:7] offset:2048
	;; [unrolled: 4-line block ×3, first 2 shown]
	s_waitcnt lgkmcnt(0)
	s_barrier
.LBB1223_24:
	ds_read2_b64 v[6:9], v19 offset1:1
	ds_read2_b64 v[2:5], v19 offset0:2 offset1:3
	s_cmp_lg_u32 s6, 0
	s_cselect_b64 s[16:17], -1, 0
	s_cmp_lg_u64 s[2:3], 0
	s_cselect_b64 s[0:1], -1, 0
	s_or_b64 s[0:1], s[16:17], s[0:1]
	s_mov_b64 s[12:13], 0
	s_and_b64 vcc, exec, s[0:1]
	v_cmp_gt_i64_e64 s[0:1], s[26:27], 0
	s_waitcnt lgkmcnt(0)
	s_barrier
	s_cbranch_vccz .LBB1223_33
; %bb.25:
	s_add_u32 s2, s8, -8
	s_addc_u32 s3, s9, -1
	s_load_dwordx2 s[12:13], s[2:3], 0x0
	v_cndmask_b32_e64 v18, 0, 1, s[0:1]
	v_lshlrev_b32_e32 v26, 3, v0
	s_mov_b64 s[14:15], 0
	s_and_b64 vcc, exec, s[34:35]
	v_cmp_ne_u32_e64 s[0:1], 1, v18
	ds_write_b64 v26, v[12:13]
	s_cbranch_vccz .LBB1223_34
; %bb.26:
	v_mul_lo_u32 v20, v11, s26
	v_mul_lo_u32 v21, v10, s27
	v_mad_u64_u32 v[18:19], s[2:3], v10, s26, 0
	v_add3_u32 v19, v19, v21, v20
	s_and_b64 vcc, exec, s[0:1]
	v_lshlrev_b64 v[18:19], 1, v[18:19]
	s_cbranch_vccnz .LBB1223_37
; %bb.27:
	v_mul_lo_u32 v22, v13, s26
	v_mul_lo_u32 v23, v12, s27
	v_mad_u64_u32 v[20:21], s[2:3], v12, s26, 0
	v_add3_u32 v21, v21, v23, v22
	v_mov_b32_e32 v23, s29
	v_add_co_u32_e32 v22, vcc, s28, v18
	v_addc_co_u32_e64 v23, s[2:3], v23, v19, vcc
	v_lshlrev_b64 v[20:21], 1, v[20:21]
	v_mov_b32_e32 v25, s29
	v_add_co_u32_e64 v24, s[2:3], s28, v20
	v_addc_co_u32_e64 v25, s[8:9], v25, v21, s[2:3]
	global_load_ushort v20, v[24:25], off
	global_load_ushort v27, v[22:23], off
	s_mov_b64 s[14:15], -1
	s_waitcnt vmcnt(1)
	v_lshlrev_b32_e32 v20, 16, v20
	s_waitcnt vmcnt(0)
	v_lshlrev_b32_e32 v23, 16, v27
	v_cmp_eq_f32_e64 s[8:9], v23, v20
	s_and_saveexec_b64 s[18:19], s[8:9]
	s_cbranch_execz .LBB1223_36
; %bb.28:
	v_mov_b32_e32 v20, s29
	v_addc_co_u32_e64 v21, s[2:3], v21, v20, s[2:3]
	v_add_co_u32_e64 v20, s[2:3], 2, v24
	v_mov_b32_e32 v23, s29
	v_addc_co_u32_e64 v21, s[2:3], 0, v21, s[2:3]
	v_addc_co_u32_e32 v23, vcc, v19, v23, vcc
	v_add_co_u32_e32 v22, vcc, 2, v22
	s_add_u32 s2, s26, -1
	v_addc_co_u32_e32 v23, vcc, 0, v23, vcc
	s_addc_u32 s3, s27, -1
	s_mov_b64 s[8:9], 0
	s_mov_b64 s[36:37], 0
                                        ; implicit-def: $sgpr14_sgpr15
	s_branch .LBB1223_31
.LBB1223_29:                            ;   in Loop: Header=BB1223_31 Depth=1
	global_load_ushort v24, v[20:21], off
	global_load_ushort v25, v[22:23], off
	v_add_co_u32_e32 v20, vcc, 2, v20
	v_addc_co_u32_e32 v21, vcc, 0, v21, vcc
	v_add_co_u32_e32 v22, vcc, 2, v22
	v_addc_co_u32_e32 v23, vcc, 0, v23, vcc
	s_add_u32 s36, s36, 1
	s_addc_u32 s37, s37, 0
	s_andn2_b64 s[14:15], s[14:15], exec
	s_waitcnt vmcnt(1)
	v_lshlrev_b32_e32 v24, 16, v24
	s_waitcnt vmcnt(0)
	v_lshlrev_b32_e32 v25, 16, v25
	v_cmp_neq_f32_e32 vcc, v25, v24
	s_and_b64 s[38:39], vcc, exec
	s_or_b64 s[14:15], s[14:15], s[38:39]
.LBB1223_30:                            ;   in Loop: Header=BB1223_31 Depth=1
	s_and_b64 s[38:39], exec, s[14:15]
	s_or_b64 s[8:9], s[38:39], s[8:9]
	v_pk_mov_b32 v[24:25], s[36:37], s[36:37] op_sel:[0,1]
	s_andn2_b64 exec, exec, s[8:9]
	s_cbranch_execz .LBB1223_35
.LBB1223_31:                            ; =>This Inner Loop Header: Depth=1
	s_or_b64 s[14:15], s[14:15], exec
	s_cmp_eq_u64 s[2:3], s[36:37]
	s_cbranch_scc0 .LBB1223_29
; %bb.32:                               ;   in Loop: Header=BB1223_31 Depth=1
                                        ; implicit-def: $vgpr20_vgpr21
                                        ; implicit-def: $vgpr22_vgpr23
	s_mov_b64 s[36:37], s[26:27]
	s_branch .LBB1223_30
.LBB1223_33:
                                        ; implicit-def: $sgpr18_sgpr19
                                        ; implicit-def: $vgpr28
	s_branch .LBB1223_115
.LBB1223_34:
                                        ; implicit-def: $sgpr18_sgpr19
                                        ; implicit-def: $vgpr28
	s_cbranch_execnz .LBB1223_67
	s_branch .LBB1223_114
.LBB1223_35:
	s_or_b64 exec, exec, s[8:9]
	v_cmp_gt_i64_e32 vcc, s[26:27], v[24:25]
	s_orn2_b64 s[14:15], vcc, exec
.LBB1223_36:
	s_or_b64 exec, exec, s[18:19]
.LBB1223_37:
	v_mul_lo_u32 v22, v17, s26
	v_mul_lo_u32 v23, v16, s27
	v_mad_u64_u32 v[20:21], s[2:3], v16, s26, 0
	v_add3_u32 v21, v21, v23, v22
	s_mov_b64 s[18:19], 0
	s_and_b64 vcc, exec, s[0:1]
	v_lshlrev_b64 v[20:21], 1, v[20:21]
	s_mov_b64 s[36:37], 0
	s_cbranch_vccnz .LBB1223_46
; %bb.38:
	v_mov_b32_e32 v23, s29
	v_add_co_u32_e32 v22, vcc, s28, v20
	v_addc_co_u32_e64 v23, s[2:3], v23, v21, vcc
	v_mov_b32_e32 v25, s29
	v_add_co_u32_e64 v24, s[2:3], s28, v18
	v_addc_co_u32_e64 v25, s[8:9], v25, v19, s[2:3]
	global_load_ushort v18, v[24:25], off
	global_load_ushort v27, v[22:23], off
	s_mov_b64 s[36:37], -1
	s_waitcnt vmcnt(1)
	v_lshlrev_b32_e32 v18, 16, v18
	s_waitcnt vmcnt(0)
	v_lshlrev_b32_e32 v23, 16, v27
	v_cmp_eq_f32_e64 s[8:9], v23, v18
	s_and_saveexec_b64 s[38:39], s[8:9]
	s_cbranch_execz .LBB1223_45
; %bb.39:
	v_mov_b32_e32 v18, s29
	v_addc_co_u32_e64 v19, s[2:3], v19, v18, s[2:3]
	v_add_co_u32_e64 v18, s[2:3], 2, v24
	v_mov_b32_e32 v23, s29
	v_addc_co_u32_e64 v19, s[2:3], 0, v19, s[2:3]
	v_addc_co_u32_e32 v23, vcc, v21, v23, vcc
	v_add_co_u32_e32 v22, vcc, 2, v22
	s_add_u32 s2, s26, -1
	v_addc_co_u32_e32 v23, vcc, 0, v23, vcc
	s_addc_u32 s3, s27, -1
	s_mov_b64 s[8:9], 0
	s_mov_b64 s[40:41], 0
                                        ; implicit-def: $sgpr36_sgpr37
	s_branch .LBB1223_42
.LBB1223_40:                            ;   in Loop: Header=BB1223_42 Depth=1
	global_load_ushort v24, v[18:19], off
	global_load_ushort v25, v[22:23], off
	v_add_co_u32_e32 v18, vcc, 2, v18
	v_addc_co_u32_e32 v19, vcc, 0, v19, vcc
	v_add_co_u32_e32 v22, vcc, 2, v22
	v_addc_co_u32_e32 v23, vcc, 0, v23, vcc
	s_add_u32 s40, s40, 1
	s_addc_u32 s41, s41, 0
	s_andn2_b64 s[36:37], s[36:37], exec
	s_waitcnt vmcnt(1)
	v_lshlrev_b32_e32 v24, 16, v24
	s_waitcnt vmcnt(0)
	v_lshlrev_b32_e32 v25, 16, v25
	v_cmp_neq_f32_e32 vcc, v25, v24
	s_and_b64 s[42:43], vcc, exec
	s_or_b64 s[36:37], s[36:37], s[42:43]
.LBB1223_41:                            ;   in Loop: Header=BB1223_42 Depth=1
	s_and_b64 s[42:43], exec, s[36:37]
	s_or_b64 s[8:9], s[42:43], s[8:9]
	v_pk_mov_b32 v[24:25], s[40:41], s[40:41] op_sel:[0,1]
	s_andn2_b64 exec, exec, s[8:9]
	s_cbranch_execz .LBB1223_44
.LBB1223_42:                            ; =>This Inner Loop Header: Depth=1
	s_or_b64 s[36:37], s[36:37], exec
	s_cmp_eq_u64 s[2:3], s[40:41]
	s_cbranch_scc0 .LBB1223_40
; %bb.43:                               ;   in Loop: Header=BB1223_42 Depth=1
                                        ; implicit-def: $vgpr18_vgpr19
                                        ; implicit-def: $vgpr22_vgpr23
	s_mov_b64 s[40:41], s[26:27]
	s_branch .LBB1223_41
.LBB1223_44:
	s_or_b64 exec, exec, s[8:9]
	v_cmp_gt_i64_e32 vcc, s[26:27], v[24:25]
	s_orn2_b64 s[36:37], vcc, exec
.LBB1223_45:
	s_or_b64 exec, exec, s[38:39]
.LBB1223_46:
	v_mul_lo_u32 v22, v15, s26
	v_mul_lo_u32 v23, v14, s27
	v_mad_u64_u32 v[18:19], s[2:3], v14, s26, 0
	v_add3_u32 v19, v19, v23, v22
	s_and_b64 vcc, exec, s[0:1]
	v_lshlrev_b64 v[18:19], 1, v[18:19]
	s_cbranch_vccnz .LBB1223_55
; %bb.47:
	v_mov_b32_e32 v23, s29
	v_add_co_u32_e32 v22, vcc, s28, v18
	v_addc_co_u32_e64 v23, s[2:3], v23, v19, vcc
	v_mov_b32_e32 v25, s29
	v_add_co_u32_e64 v24, s[2:3], s28, v20
	v_addc_co_u32_e64 v25, s[8:9], v25, v21, s[2:3]
	global_load_ushort v20, v[24:25], off
	global_load_ushort v27, v[22:23], off
	s_mov_b64 s[18:19], -1
	s_waitcnt vmcnt(1)
	v_lshlrev_b32_e32 v20, 16, v20
	s_waitcnt vmcnt(0)
	v_lshlrev_b32_e32 v23, 16, v27
	v_cmp_eq_f32_e64 s[8:9], v23, v20
	s_and_saveexec_b64 s[38:39], s[8:9]
	s_cbranch_execz .LBB1223_54
; %bb.48:
	v_mov_b32_e32 v20, s29
	v_addc_co_u32_e64 v21, s[2:3], v21, v20, s[2:3]
	v_add_co_u32_e64 v20, s[2:3], 2, v24
	v_mov_b32_e32 v23, s29
	v_addc_co_u32_e64 v21, s[2:3], 0, v21, s[2:3]
	v_addc_co_u32_e32 v23, vcc, v19, v23, vcc
	v_add_co_u32_e32 v22, vcc, 2, v22
	s_add_u32 s2, s26, -1
	v_addc_co_u32_e32 v23, vcc, 0, v23, vcc
	s_addc_u32 s3, s27, -1
	s_mov_b64 s[8:9], 0
	s_mov_b64 s[40:41], 0
                                        ; implicit-def: $sgpr18_sgpr19
	s_branch .LBB1223_51
.LBB1223_49:                            ;   in Loop: Header=BB1223_51 Depth=1
	global_load_ushort v24, v[20:21], off
	global_load_ushort v25, v[22:23], off
	v_add_co_u32_e32 v20, vcc, 2, v20
	v_addc_co_u32_e32 v21, vcc, 0, v21, vcc
	v_add_co_u32_e32 v22, vcc, 2, v22
	v_addc_co_u32_e32 v23, vcc, 0, v23, vcc
	s_add_u32 s40, s40, 1
	s_addc_u32 s41, s41, 0
	s_andn2_b64 s[18:19], s[18:19], exec
	s_waitcnt vmcnt(1)
	v_lshlrev_b32_e32 v24, 16, v24
	s_waitcnt vmcnt(0)
	v_lshlrev_b32_e32 v25, 16, v25
	v_cmp_neq_f32_e32 vcc, v25, v24
	s_and_b64 s[42:43], vcc, exec
	s_or_b64 s[18:19], s[18:19], s[42:43]
.LBB1223_50:                            ;   in Loop: Header=BB1223_51 Depth=1
	s_and_b64 s[42:43], exec, s[18:19]
	s_or_b64 s[8:9], s[42:43], s[8:9]
	v_pk_mov_b32 v[24:25], s[40:41], s[40:41] op_sel:[0,1]
	s_andn2_b64 exec, exec, s[8:9]
	s_cbranch_execz .LBB1223_53
.LBB1223_51:                            ; =>This Inner Loop Header: Depth=1
	s_or_b64 s[18:19], s[18:19], exec
	s_cmp_eq_u64 s[2:3], s[40:41]
	s_cbranch_scc0 .LBB1223_49
; %bb.52:                               ;   in Loop: Header=BB1223_51 Depth=1
                                        ; implicit-def: $vgpr20_vgpr21
                                        ; implicit-def: $vgpr22_vgpr23
	s_mov_b64 s[40:41], s[26:27]
	s_branch .LBB1223_50
.LBB1223_53:
	s_or_b64 exec, exec, s[8:9]
	v_cmp_gt_i64_e32 vcc, s[26:27], v[24:25]
	s_orn2_b64 s[18:19], vcc, exec
.LBB1223_54:
	s_or_b64 exec, exec, s[38:39]
.LBB1223_55:
	v_cmp_ne_u32_e32 vcc, 0, v0
	s_waitcnt lgkmcnt(0)
	v_pk_mov_b32 v[20:21], s[12:13], s[12:13] op_sel:[0,1]
	s_barrier
	s_and_saveexec_b64 s[2:3], vcc
	s_cbranch_execz .LBB1223_57
; %bb.56:
	v_add_u32_e32 v20, -8, v26
	ds_read_b64 v[20:21], v20
.LBB1223_57:
	s_or_b64 exec, exec, s[2:3]
	v_cndmask_b32_e64 v23, 0, 1, s[14:15]
	v_cndmask_b32_e64 v22, 0, 1, s[36:37]
	;; [unrolled: 1-line block ×3, first 2 shown]
	v_lshlrev_b16_e32 v23, 8, v23
	v_lshlrev_b16_e32 v27, 8, v24
	v_or_b32_sdwa v28, v22, v23 dst_sel:WORD_1 dst_unused:UNUSED_PAD src0_sel:DWORD src1_sel:DWORD
	s_mov_b64 s[14:15], 0
	s_and_b64 vcc, exec, s[0:1]
	s_mov_b64 s[18:19], 0
	s_cbranch_vccnz .LBB1223_66
; %bb.58:
	s_waitcnt lgkmcnt(0)
	v_mul_lo_u32 v22, v21, s26
	v_mul_lo_u32 v23, v20, s27
	v_mad_u64_u32 v[20:21], s[2:3], v20, s26, 0
	v_add3_u32 v21, v21, v23, v22
	v_lshlrev_b64 v[20:21], 1, v[20:21]
	v_mov_b32_e32 v23, s29
	v_add_co_u32_e32 v22, vcc, s28, v20
	v_addc_co_u32_e64 v23, s[2:3], v23, v21, vcc
	v_mov_b32_e32 v20, s29
	v_add_co_u32_e64 v24, s[2:3], s28, v18
	v_addc_co_u32_e64 v25, s[8:9], v20, v19, s[2:3]
	global_load_ushort v18, v[22:23], off
	global_load_ushort v20, v[24:25], off
	s_mov_b64 s[18:19], -1
	s_waitcnt vmcnt(1)
	v_lshlrev_b32_e32 v18, 16, v18
	s_waitcnt vmcnt(0)
	v_lshlrev_b32_e32 v20, 16, v20
	v_cmp_eq_f32_e64 s[8:9], v18, v20
	s_and_saveexec_b64 s[36:37], s[8:9]
	s_cbranch_execz .LBB1223_65
; %bb.59:
	v_mov_b32_e32 v18, s29
	v_addc_co_u32_e64 v19, s[2:3], v19, v18, s[2:3]
	v_add_co_u32_e64 v18, s[2:3], 2, v24
	v_mov_b32_e32 v20, s29
	v_addc_co_u32_e64 v19, s[2:3], 0, v19, s[2:3]
	v_addc_co_u32_e32 v21, vcc, v21, v20, vcc
	v_add_co_u32_e32 v20, vcc, 2, v22
	s_add_u32 s2, s26, -1
	v_addc_co_u32_e32 v21, vcc, 0, v21, vcc
	s_addc_u32 s3, s27, -1
	s_mov_b64 s[8:9], 0
	s_mov_b64 s[38:39], 0
                                        ; implicit-def: $sgpr18_sgpr19
	s_branch .LBB1223_62
.LBB1223_60:                            ;   in Loop: Header=BB1223_62 Depth=1
	global_load_ushort v22, v[18:19], off
	global_load_ushort v23, v[20:21], off
	v_add_co_u32_e32 v18, vcc, 2, v18
	v_addc_co_u32_e32 v19, vcc, 0, v19, vcc
	v_add_co_u32_e32 v20, vcc, 2, v20
	v_addc_co_u32_e32 v21, vcc, 0, v21, vcc
	s_add_u32 s38, s38, 1
	s_addc_u32 s39, s39, 0
	s_andn2_b64 s[18:19], s[18:19], exec
	s_waitcnt vmcnt(1)
	v_lshlrev_b32_e32 v22, 16, v22
	s_waitcnt vmcnt(0)
	v_lshlrev_b32_e32 v23, 16, v23
	v_cmp_neq_f32_e32 vcc, v23, v22
	s_and_b64 s[40:41], vcc, exec
	s_or_b64 s[18:19], s[18:19], s[40:41]
.LBB1223_61:                            ;   in Loop: Header=BB1223_62 Depth=1
	s_and_b64 s[40:41], exec, s[18:19]
	s_or_b64 s[8:9], s[40:41], s[8:9]
	v_pk_mov_b32 v[22:23], s[38:39], s[38:39] op_sel:[0,1]
	s_andn2_b64 exec, exec, s[8:9]
	s_cbranch_execz .LBB1223_64
.LBB1223_62:                            ; =>This Inner Loop Header: Depth=1
	s_or_b64 s[18:19], s[18:19], exec
	s_cmp_eq_u64 s[2:3], s[38:39]
	s_cbranch_scc0 .LBB1223_60
; %bb.63:                               ;   in Loop: Header=BB1223_62 Depth=1
                                        ; implicit-def: $vgpr18_vgpr19
                                        ; implicit-def: $vgpr20_vgpr21
	s_mov_b64 s[38:39], s[26:27]
	s_branch .LBB1223_61
.LBB1223_64:
	s_or_b64 exec, exec, s[8:9]
	v_cmp_gt_i64_e32 vcc, s[26:27], v[22:23]
	s_orn2_b64 s[18:19], vcc, exec
.LBB1223_65:
	s_or_b64 exec, exec, s[36:37]
.LBB1223_66:
	v_or_b32_e32 v28, v27, v28
	s_and_b64 vcc, exec, s[14:15]
	s_cbranch_vccz .LBB1223_114
.LBB1223_67:
	v_or_b32_e32 v18, 3, v1
	v_cmp_gt_u32_e32 vcc, s7, v18
	s_mov_b64 s[18:19], 0
	s_mov_b64 s[14:15], 0
	s_and_saveexec_b64 s[36:37], vcc
	s_cbranch_execz .LBB1223_78
; %bb.68:
	s_and_b64 vcc, exec, s[0:1]
	s_mov_b64 s[38:39], 0
	s_cbranch_vccnz .LBB1223_77
; %bb.69:
	s_waitcnt lgkmcnt(0)
	v_mul_lo_u32 v20, v11, s26
	v_mul_lo_u32 v21, v10, s27
	v_mad_u64_u32 v[18:19], s[2:3], v10, s26, 0
	v_add3_u32 v19, v19, v21, v20
	v_mul_lo_u32 v20, v13, s26
	v_mul_lo_u32 v21, v12, s27
	v_mad_u64_u32 v[24:25], s[2:3], v12, s26, 0
	v_add3_u32 v25, v25, v21, v20
	v_lshlrev_b64 v[20:21], 1, v[18:19]
	v_mov_b32_e32 v18, s29
	v_add_co_u32_e32 v22, vcc, s28, v20
	v_addc_co_u32_e64 v23, s[2:3], v18, v21, vcc
	v_lshlrev_b64 v[18:19], 1, v[24:25]
	v_mov_b32_e32 v20, s29
	v_add_co_u32_e64 v24, s[2:3], s28, v18
	v_addc_co_u32_e64 v25, s[8:9], v20, v19, s[2:3]
	global_load_ushort v18, v[24:25], off
	global_load_ushort v20, v[22:23], off
	s_mov_b64 s[38:39], -1
	s_waitcnt vmcnt(1)
	v_lshlrev_b32_e32 v18, 16, v18
	s_waitcnt vmcnt(0)
	v_lshlrev_b32_e32 v20, 16, v20
	v_cmp_eq_f32_e64 s[8:9], v20, v18
	s_and_saveexec_b64 s[14:15], s[8:9]
	s_cbranch_execz .LBB1223_76
; %bb.70:
	v_mov_b32_e32 v18, s29
	v_addc_co_u32_e64 v19, s[2:3], v19, v18, s[2:3]
	v_add_co_u32_e64 v18, s[2:3], 2, v24
	v_mov_b32_e32 v20, s29
	v_addc_co_u32_e64 v19, s[2:3], 0, v19, s[2:3]
	v_addc_co_u32_e32 v21, vcc, v21, v20, vcc
	v_add_co_u32_e32 v20, vcc, 2, v22
	s_add_u32 s2, s26, -1
	v_addc_co_u32_e32 v21, vcc, 0, v21, vcc
	s_addc_u32 s3, s27, -1
	s_mov_b64 s[8:9], 0
	s_mov_b64 s[40:41], 0
                                        ; implicit-def: $sgpr38_sgpr39
	s_branch .LBB1223_73
.LBB1223_71:                            ;   in Loop: Header=BB1223_73 Depth=1
	global_load_ushort v22, v[18:19], off
	global_load_ushort v23, v[20:21], off
	v_add_co_u32_e32 v18, vcc, 2, v18
	v_addc_co_u32_e32 v19, vcc, 0, v19, vcc
	v_add_co_u32_e32 v20, vcc, 2, v20
	v_addc_co_u32_e32 v21, vcc, 0, v21, vcc
	s_add_u32 s40, s40, 1
	s_addc_u32 s41, s41, 0
	s_andn2_b64 s[38:39], s[38:39], exec
	s_waitcnt vmcnt(1)
	v_lshlrev_b32_e32 v22, 16, v22
	s_waitcnt vmcnt(0)
	v_lshlrev_b32_e32 v23, 16, v23
	v_cmp_neq_f32_e32 vcc, v23, v22
	s_and_b64 s[42:43], vcc, exec
	s_or_b64 s[38:39], s[38:39], s[42:43]
.LBB1223_72:                            ;   in Loop: Header=BB1223_73 Depth=1
	s_and_b64 s[42:43], exec, s[38:39]
	s_or_b64 s[8:9], s[42:43], s[8:9]
	v_pk_mov_b32 v[22:23], s[40:41], s[40:41] op_sel:[0,1]
	s_andn2_b64 exec, exec, s[8:9]
	s_cbranch_execz .LBB1223_75
.LBB1223_73:                            ; =>This Inner Loop Header: Depth=1
	s_or_b64 s[38:39], s[38:39], exec
	s_cmp_eq_u64 s[2:3], s[40:41]
	s_cbranch_scc0 .LBB1223_71
; %bb.74:                               ;   in Loop: Header=BB1223_73 Depth=1
                                        ; implicit-def: $vgpr18_vgpr19
                                        ; implicit-def: $vgpr20_vgpr21
	s_mov_b64 s[40:41], s[26:27]
	s_branch .LBB1223_72
.LBB1223_75:
	s_or_b64 exec, exec, s[8:9]
	v_cmp_gt_i64_e32 vcc, s[26:27], v[22:23]
	s_orn2_b64 s[38:39], vcc, exec
.LBB1223_76:
	s_or_b64 exec, exec, s[14:15]
.LBB1223_77:
	s_and_b64 s[14:15], s[38:39], exec
.LBB1223_78:
	s_or_b64 exec, exec, s[36:37]
	v_or_b32_e32 v18, 2, v1
	v_cmp_gt_u32_e32 vcc, s7, v18
	s_and_saveexec_b64 s[36:37], vcc
	s_cbranch_execz .LBB1223_89
; %bb.79:
	s_and_b64 vcc, exec, s[0:1]
	s_mov_b64 s[38:39], 0
	s_cbranch_vccnz .LBB1223_88
; %bb.80:
	s_waitcnt lgkmcnt(0)
	v_mul_lo_u32 v20, v17, s26
	v_mul_lo_u32 v21, v16, s27
	v_mad_u64_u32 v[18:19], s[2:3], v16, s26, 0
	v_add3_u32 v19, v19, v21, v20
	v_mul_lo_u32 v20, v11, s26
	v_mul_lo_u32 v21, v10, s27
	v_mad_u64_u32 v[24:25], s[2:3], v10, s26, 0
	v_add3_u32 v25, v25, v21, v20
	v_lshlrev_b64 v[20:21], 1, v[18:19]
	v_mov_b32_e32 v18, s29
	v_add_co_u32_e32 v22, vcc, s28, v20
	v_addc_co_u32_e64 v23, s[2:3], v18, v21, vcc
	v_lshlrev_b64 v[18:19], 1, v[24:25]
	v_mov_b32_e32 v20, s29
	v_add_co_u32_e64 v24, s[2:3], s28, v18
	v_addc_co_u32_e64 v25, s[8:9], v20, v19, s[2:3]
	global_load_ushort v18, v[24:25], off
	global_load_ushort v20, v[22:23], off
	s_mov_b64 s[38:39], -1
	s_waitcnt vmcnt(1)
	v_lshlrev_b32_e32 v18, 16, v18
	s_waitcnt vmcnt(0)
	v_lshlrev_b32_e32 v20, 16, v20
	v_cmp_eq_f32_e64 s[8:9], v20, v18
	s_and_saveexec_b64 s[18:19], s[8:9]
	s_cbranch_execz .LBB1223_87
; %bb.81:
	v_mov_b32_e32 v18, s29
	v_addc_co_u32_e64 v19, s[2:3], v19, v18, s[2:3]
	v_add_co_u32_e64 v18, s[2:3], 2, v24
	v_mov_b32_e32 v20, s29
	v_addc_co_u32_e64 v19, s[2:3], 0, v19, s[2:3]
	v_addc_co_u32_e32 v21, vcc, v21, v20, vcc
	v_add_co_u32_e32 v20, vcc, 2, v22
	s_add_u32 s2, s26, -1
	v_addc_co_u32_e32 v21, vcc, 0, v21, vcc
	s_addc_u32 s3, s27, -1
	s_mov_b64 s[8:9], 0
	s_mov_b64 s[40:41], 0
                                        ; implicit-def: $sgpr38_sgpr39
	s_branch .LBB1223_84
.LBB1223_82:                            ;   in Loop: Header=BB1223_84 Depth=1
	global_load_ushort v22, v[18:19], off
	global_load_ushort v23, v[20:21], off
	v_add_co_u32_e32 v18, vcc, 2, v18
	v_addc_co_u32_e32 v19, vcc, 0, v19, vcc
	v_add_co_u32_e32 v20, vcc, 2, v20
	v_addc_co_u32_e32 v21, vcc, 0, v21, vcc
	s_add_u32 s40, s40, 1
	s_addc_u32 s41, s41, 0
	s_andn2_b64 s[38:39], s[38:39], exec
	s_waitcnt vmcnt(1)
	v_lshlrev_b32_e32 v22, 16, v22
	s_waitcnt vmcnt(0)
	v_lshlrev_b32_e32 v23, 16, v23
	v_cmp_neq_f32_e32 vcc, v23, v22
	s_and_b64 s[42:43], vcc, exec
	s_or_b64 s[38:39], s[38:39], s[42:43]
.LBB1223_83:                            ;   in Loop: Header=BB1223_84 Depth=1
	s_and_b64 s[42:43], exec, s[38:39]
	s_or_b64 s[8:9], s[42:43], s[8:9]
	v_pk_mov_b32 v[22:23], s[40:41], s[40:41] op_sel:[0,1]
	s_andn2_b64 exec, exec, s[8:9]
	s_cbranch_execz .LBB1223_86
.LBB1223_84:                            ; =>This Inner Loop Header: Depth=1
	s_or_b64 s[38:39], s[38:39], exec
	s_cmp_eq_u64 s[2:3], s[40:41]
	s_cbranch_scc0 .LBB1223_82
; %bb.85:                               ;   in Loop: Header=BB1223_84 Depth=1
                                        ; implicit-def: $vgpr18_vgpr19
                                        ; implicit-def: $vgpr20_vgpr21
	s_mov_b64 s[40:41], s[26:27]
	s_branch .LBB1223_83
.LBB1223_86:
	s_or_b64 exec, exec, s[8:9]
	v_cmp_gt_i64_e32 vcc, s[26:27], v[22:23]
	s_orn2_b64 s[38:39], vcc, exec
.LBB1223_87:
	s_or_b64 exec, exec, s[18:19]
.LBB1223_88:
	s_and_b64 s[18:19], s[38:39], exec
.LBB1223_89:
	s_or_b64 exec, exec, s[36:37]
	v_or_b32_e32 v18, 1, v1
	v_cmp_gt_u32_e32 vcc, s7, v18
	s_mov_b64 s[2:3], 0
	s_and_saveexec_b64 s[36:37], vcc
	s_cbranch_execz .LBB1223_100
; %bb.90:
	s_and_b64 vcc, exec, s[0:1]
	s_mov_b64 s[40:41], 0
	s_cbranch_vccnz .LBB1223_99
; %bb.91:
	s_waitcnt lgkmcnt(0)
	v_mul_lo_u32 v20, v15, s26
	v_mul_lo_u32 v21, v14, s27
	v_mad_u64_u32 v[18:19], s[2:3], v14, s26, 0
	v_add3_u32 v19, v19, v21, v20
	v_mul_lo_u32 v20, v17, s26
	v_mul_lo_u32 v21, v16, s27
	v_mad_u64_u32 v[24:25], s[2:3], v16, s26, 0
	v_add3_u32 v25, v25, v21, v20
	v_lshlrev_b64 v[20:21], 1, v[18:19]
	v_mov_b32_e32 v18, s29
	v_add_co_u32_e32 v22, vcc, s28, v20
	v_addc_co_u32_e64 v23, s[2:3], v18, v21, vcc
	v_lshlrev_b64 v[18:19], 1, v[24:25]
	v_mov_b32_e32 v20, s29
	v_add_co_u32_e64 v24, s[2:3], s28, v18
	v_addc_co_u32_e64 v25, s[8:9], v20, v19, s[2:3]
	global_load_ushort v18, v[24:25], off
	global_load_ushort v20, v[22:23], off
	s_mov_b64 s[40:41], -1
	s_waitcnt vmcnt(1)
	v_lshlrev_b32_e32 v18, 16, v18
	s_waitcnt vmcnt(0)
	v_lshlrev_b32_e32 v20, 16, v20
	v_cmp_eq_f32_e64 s[8:9], v20, v18
	s_and_saveexec_b64 s[38:39], s[8:9]
	s_cbranch_execz .LBB1223_98
; %bb.92:
	v_mov_b32_e32 v18, s29
	v_addc_co_u32_e64 v19, s[2:3], v19, v18, s[2:3]
	v_add_co_u32_e64 v18, s[2:3], 2, v24
	v_mov_b32_e32 v20, s29
	v_addc_co_u32_e64 v19, s[2:3], 0, v19, s[2:3]
	v_addc_co_u32_e32 v21, vcc, v21, v20, vcc
	v_add_co_u32_e32 v20, vcc, 2, v22
	s_add_u32 s2, s26, -1
	v_addc_co_u32_e32 v21, vcc, 0, v21, vcc
	s_addc_u32 s3, s27, -1
	s_mov_b64 s[8:9], 0
	s_mov_b64 s[42:43], 0
                                        ; implicit-def: $sgpr40_sgpr41
	s_branch .LBB1223_95
.LBB1223_93:                            ;   in Loop: Header=BB1223_95 Depth=1
	global_load_ushort v22, v[18:19], off
	global_load_ushort v23, v[20:21], off
	v_add_co_u32_e32 v18, vcc, 2, v18
	v_addc_co_u32_e32 v19, vcc, 0, v19, vcc
	v_add_co_u32_e32 v20, vcc, 2, v20
	v_addc_co_u32_e32 v21, vcc, 0, v21, vcc
	s_add_u32 s42, s42, 1
	s_addc_u32 s43, s43, 0
	s_andn2_b64 s[40:41], s[40:41], exec
	s_waitcnt vmcnt(1)
	v_lshlrev_b32_e32 v22, 16, v22
	s_waitcnt vmcnt(0)
	v_lshlrev_b32_e32 v23, 16, v23
	v_cmp_neq_f32_e32 vcc, v23, v22
	s_and_b64 s[44:45], vcc, exec
	s_or_b64 s[40:41], s[40:41], s[44:45]
.LBB1223_94:                            ;   in Loop: Header=BB1223_95 Depth=1
	s_and_b64 s[44:45], exec, s[40:41]
	s_or_b64 s[8:9], s[44:45], s[8:9]
	v_pk_mov_b32 v[22:23], s[42:43], s[42:43] op_sel:[0,1]
	s_andn2_b64 exec, exec, s[8:9]
	s_cbranch_execz .LBB1223_97
.LBB1223_95:                            ; =>This Inner Loop Header: Depth=1
	s_or_b64 s[40:41], s[40:41], exec
	s_cmp_eq_u64 s[2:3], s[42:43]
	s_cbranch_scc0 .LBB1223_93
; %bb.96:                               ;   in Loop: Header=BB1223_95 Depth=1
                                        ; implicit-def: $vgpr18_vgpr19
                                        ; implicit-def: $vgpr20_vgpr21
	s_mov_b64 s[42:43], s[26:27]
	s_branch .LBB1223_94
.LBB1223_97:
	s_or_b64 exec, exec, s[8:9]
	v_cmp_gt_i64_e32 vcc, s[26:27], v[22:23]
	s_orn2_b64 s[40:41], vcc, exec
.LBB1223_98:
	s_or_b64 exec, exec, s[38:39]
.LBB1223_99:
	s_and_b64 s[2:3], s[40:41], exec
.LBB1223_100:
	s_or_b64 exec, exec, s[36:37]
	v_cmp_ne_u32_e32 vcc, 0, v0
	s_waitcnt lgkmcnt(0)
	v_pk_mov_b32 v[18:19], s[12:13], s[12:13] op_sel:[0,1]
	s_barrier
	s_and_saveexec_b64 s[8:9], vcc
	s_cbranch_execz .LBB1223_102
; %bb.101:
	v_add_u32_e32 v18, -8, v26
	ds_read_b64 v[18:19], v18
.LBB1223_102:
	s_or_b64 exec, exec, s[8:9]
	v_cndmask_b32_e64 v21, 0, 1, s[14:15]
	v_cndmask_b32_e64 v20, 0, 1, s[18:19]
	;; [unrolled: 1-line block ×3, first 2 shown]
	v_lshlrev_b16_e32 v21, 8, v21
	v_lshlrev_b16_e32 v26, 8, v22
	v_or_b32_sdwa v27, v20, v21 dst_sel:WORD_1 dst_unused:UNUSED_PAD src0_sel:DWORD src1_sel:DWORD
	v_cmp_gt_u32_e32 vcc, s7, v1
	s_mov_b64 s[18:19], 0
	s_and_saveexec_b64 s[8:9], vcc
	s_cbranch_execz .LBB1223_113
; %bb.103:
	s_and_b64 vcc, exec, s[0:1]
	s_mov_b64 s[14:15], 0
	s_cbranch_vccnz .LBB1223_112
; %bb.104:
	s_waitcnt lgkmcnt(0)
	v_mul_lo_u32 v20, v19, s26
	v_mul_lo_u32 v21, v18, s27
	v_mad_u64_u32 v[18:19], s[0:1], v18, s26, 0
	v_add3_u32 v19, v19, v21, v20
	v_mul_lo_u32 v20, v15, s26
	v_mul_lo_u32 v21, v14, s27
	v_mad_u64_u32 v[24:25], s[0:1], v14, s26, 0
	v_add3_u32 v25, v25, v21, v20
	v_lshlrev_b64 v[20:21], 1, v[18:19]
	v_mov_b32_e32 v18, s29
	v_add_co_u32_e32 v22, vcc, s28, v20
	v_addc_co_u32_e64 v23, s[0:1], v18, v21, vcc
	v_lshlrev_b64 v[18:19], 1, v[24:25]
	v_mov_b32_e32 v20, s29
	v_add_co_u32_e64 v24, s[0:1], s28, v18
	v_addc_co_u32_e64 v25, s[2:3], v20, v19, s[0:1]
	global_load_ushort v18, v[24:25], off
	global_load_ushort v20, v[22:23], off
	s_mov_b64 s[14:15], -1
	s_waitcnt vmcnt(1)
	v_lshlrev_b32_e32 v18, 16, v18
	s_waitcnt vmcnt(0)
	v_lshlrev_b32_e32 v20, 16, v20
	v_cmp_eq_f32_e64 s[2:3], v20, v18
	s_and_saveexec_b64 s[12:13], s[2:3]
	s_cbranch_execz .LBB1223_111
; %bb.105:
	v_mov_b32_e32 v18, s29
	v_addc_co_u32_e64 v19, s[0:1], v19, v18, s[0:1]
	v_add_co_u32_e64 v18, s[0:1], 2, v24
	v_mov_b32_e32 v20, s29
	v_addc_co_u32_e64 v19, s[0:1], 0, v19, s[0:1]
	v_addc_co_u32_e32 v21, vcc, v21, v20, vcc
	v_add_co_u32_e32 v20, vcc, 2, v22
	s_add_u32 s0, s26, -1
	v_addc_co_u32_e32 v21, vcc, 0, v21, vcc
	s_addc_u32 s1, s27, -1
	s_mov_b64 s[2:3], 0
                                        ; implicit-def: $sgpr14_sgpr15
	s_branch .LBB1223_108
.LBB1223_106:                           ;   in Loop: Header=BB1223_108 Depth=1
	global_load_ushort v22, v[18:19], off
	global_load_ushort v23, v[20:21], off
	v_add_co_u32_e32 v18, vcc, 2, v18
	v_addc_co_u32_e32 v19, vcc, 0, v19, vcc
	v_add_co_u32_e32 v20, vcc, 2, v20
	v_addc_co_u32_e32 v21, vcc, 0, v21, vcc
	s_add_u32 s18, s18, 1
	s_addc_u32 s19, s19, 0
	s_andn2_b64 s[14:15], s[14:15], exec
	s_waitcnt vmcnt(1)
	v_lshlrev_b32_e32 v22, 16, v22
	s_waitcnt vmcnt(0)
	v_lshlrev_b32_e32 v23, 16, v23
	v_cmp_neq_f32_e32 vcc, v23, v22
	s_and_b64 s[36:37], vcc, exec
	s_or_b64 s[14:15], s[14:15], s[36:37]
.LBB1223_107:                           ;   in Loop: Header=BB1223_108 Depth=1
	s_and_b64 s[36:37], exec, s[14:15]
	s_or_b64 s[2:3], s[36:37], s[2:3]
	v_pk_mov_b32 v[22:23], s[18:19], s[18:19] op_sel:[0,1]
	s_andn2_b64 exec, exec, s[2:3]
	s_cbranch_execz .LBB1223_110
.LBB1223_108:                           ; =>This Inner Loop Header: Depth=1
	s_or_b64 s[14:15], s[14:15], exec
	s_cmp_eq_u64 s[0:1], s[18:19]
	s_cbranch_scc0 .LBB1223_106
; %bb.109:                              ;   in Loop: Header=BB1223_108 Depth=1
                                        ; implicit-def: $vgpr18_vgpr19
                                        ; implicit-def: $vgpr20_vgpr21
	s_mov_b64 s[18:19], s[26:27]
	s_branch .LBB1223_107
.LBB1223_110:
	s_or_b64 exec, exec, s[2:3]
	v_cmp_gt_i64_e32 vcc, s[26:27], v[22:23]
	s_orn2_b64 s[14:15], vcc, exec
.LBB1223_111:
	s_or_b64 exec, exec, s[12:13]
.LBB1223_112:
	s_and_b64 s[18:19], s[14:15], exec
.LBB1223_113:
	s_or_b64 exec, exec, s[8:9]
	v_or_b32_e32 v28, v26, v27
.LBB1223_114:
	s_waitcnt lgkmcnt(0)
	s_mov_b64 s[12:13], -1
	s_cbranch_execnz .LBB1223_203
.LBB1223_115:
	v_lshlrev_b32_e32 v29, 3, v0
	s_mov_b64 s[18:19], 0
	v_cmp_gt_i64_e64 s[14:15], s[26:27], 0
	s_and_b64 vcc, exec, s[34:35]
	ds_write_b64 v29, v[12:13]
	s_cbranch_vccz .LBB1223_123
; %bb.116:
	v_mul_lo_u32 v20, v11, s26
	v_mul_lo_u32 v21, v10, s27
	v_mad_u64_u32 v[18:19], s[0:1], v10, s26, 0
	v_add3_u32 v19, v19, v21, v20
	v_cndmask_b32_e64 v20, 0, 1, s[14:15]
	v_cmp_ne_u32_e64 s[0:1], 1, v20
	s_andn2_b64 vcc, exec, s[14:15]
	v_lshlrev_b64 v[18:19], 1, v[18:19]
	s_cbranch_vccnz .LBB1223_126
; %bb.117:
	v_mul_lo_u32 v22, v13, s26
	v_mul_lo_u32 v23, v12, s27
	v_mad_u64_u32 v[20:21], s[2:3], v12, s26, 0
	v_add3_u32 v21, v21, v23, v22
	v_mov_b32_e32 v23, s29
	v_add_co_u32_e32 v22, vcc, s28, v18
	v_addc_co_u32_e64 v23, s[2:3], v23, v19, vcc
	v_lshlrev_b64 v[20:21], 1, v[20:21]
	v_mov_b32_e32 v25, s29
	v_add_co_u32_e64 v24, s[2:3], s28, v20
	v_addc_co_u32_e64 v25, s[8:9], v25, v21, s[2:3]
	global_load_ushort v20, v[24:25], off
	global_load_ushort v26, v[22:23], off
	s_mov_b64 s[18:19], -1
	s_waitcnt vmcnt(1)
	v_lshlrev_b32_e32 v20, 16, v20
	s_waitcnt vmcnt(0)
	v_lshlrev_b32_e32 v23, 16, v26
	v_cmp_eq_f32_e64 s[8:9], v23, v20
	s_and_saveexec_b64 s[36:37], s[8:9]
	s_cbranch_execz .LBB1223_125
; %bb.118:
	v_mov_b32_e32 v20, s29
	v_addc_co_u32_e64 v21, s[2:3], v21, v20, s[2:3]
	v_add_co_u32_e64 v20, s[2:3], 2, v24
	v_mov_b32_e32 v23, s29
	v_addc_co_u32_e64 v21, s[2:3], 0, v21, s[2:3]
	v_addc_co_u32_e32 v23, vcc, v19, v23, vcc
	v_add_co_u32_e32 v22, vcc, 2, v22
	s_add_u32 s2, s26, -1
	v_addc_co_u32_e32 v23, vcc, 0, v23, vcc
	s_addc_u32 s3, s27, -1
	s_mov_b64 s[8:9], 0
	s_mov_b64 s[38:39], 0
                                        ; implicit-def: $sgpr18_sgpr19
	s_branch .LBB1223_121
.LBB1223_119:                           ;   in Loop: Header=BB1223_121 Depth=1
	global_load_ushort v24, v[20:21], off
	global_load_ushort v25, v[22:23], off
	v_add_co_u32_e32 v20, vcc, 2, v20
	v_addc_co_u32_e32 v21, vcc, 0, v21, vcc
	v_add_co_u32_e32 v22, vcc, 2, v22
	v_addc_co_u32_e32 v23, vcc, 0, v23, vcc
	s_add_u32 s38, s38, 1
	s_addc_u32 s39, s39, 0
	s_andn2_b64 s[18:19], s[18:19], exec
	s_waitcnt vmcnt(1)
	v_lshlrev_b32_e32 v24, 16, v24
	s_waitcnt vmcnt(0)
	v_lshlrev_b32_e32 v25, 16, v25
	v_cmp_neq_f32_e32 vcc, v25, v24
	s_and_b64 s[40:41], vcc, exec
	s_or_b64 s[18:19], s[18:19], s[40:41]
.LBB1223_120:                           ;   in Loop: Header=BB1223_121 Depth=1
	s_and_b64 s[40:41], exec, s[18:19]
	s_or_b64 s[8:9], s[40:41], s[8:9]
	v_pk_mov_b32 v[24:25], s[38:39], s[38:39] op_sel:[0,1]
	s_andn2_b64 exec, exec, s[8:9]
	s_cbranch_execz .LBB1223_124
.LBB1223_121:                           ; =>This Inner Loop Header: Depth=1
	s_or_b64 s[18:19], s[18:19], exec
	s_cmp_eq_u64 s[2:3], s[38:39]
	s_cbranch_scc0 .LBB1223_119
; %bb.122:                              ;   in Loop: Header=BB1223_121 Depth=1
                                        ; implicit-def: $vgpr20_vgpr21
                                        ; implicit-def: $vgpr22_vgpr23
	s_mov_b64 s[38:39], s[26:27]
	s_branch .LBB1223_120
.LBB1223_123:
                                        ; implicit-def: $sgpr18_sgpr19
                                        ; implicit-def: $vgpr28
	s_cbranch_execnz .LBB1223_156
	s_branch .LBB1223_203
.LBB1223_124:
	s_or_b64 exec, exec, s[8:9]
	v_cmp_gt_i64_e32 vcc, s[26:27], v[24:25]
	s_orn2_b64 s[18:19], vcc, exec
.LBB1223_125:
	s_or_b64 exec, exec, s[36:37]
.LBB1223_126:
	v_mul_lo_u32 v22, v17, s26
	v_mul_lo_u32 v23, v16, s27
	v_mad_u64_u32 v[20:21], s[2:3], v16, s26, 0
	v_add3_u32 v21, v21, v23, v22
	s_mov_b64 s[36:37], 0
	s_and_b64 vcc, exec, s[0:1]
	v_lshlrev_b64 v[20:21], 1, v[20:21]
	s_mov_b64 s[38:39], 0
	s_cbranch_vccnz .LBB1223_135
; %bb.127:
	v_mov_b32_e32 v23, s29
	v_add_co_u32_e32 v22, vcc, s28, v20
	v_addc_co_u32_e64 v23, s[2:3], v23, v21, vcc
	v_mov_b32_e32 v25, s29
	v_add_co_u32_e64 v24, s[2:3], s28, v18
	v_addc_co_u32_e64 v25, s[8:9], v25, v19, s[2:3]
	global_load_ushort v18, v[24:25], off
	global_load_ushort v26, v[22:23], off
	s_mov_b64 s[38:39], -1
	s_waitcnt vmcnt(1)
	v_lshlrev_b32_e32 v18, 16, v18
	s_waitcnt vmcnt(0)
	v_lshlrev_b32_e32 v23, 16, v26
	v_cmp_eq_f32_e64 s[8:9], v23, v18
	s_and_saveexec_b64 s[40:41], s[8:9]
	s_cbranch_execz .LBB1223_134
; %bb.128:
	v_mov_b32_e32 v18, s29
	v_addc_co_u32_e64 v19, s[2:3], v19, v18, s[2:3]
	v_add_co_u32_e64 v18, s[2:3], 2, v24
	v_mov_b32_e32 v23, s29
	v_addc_co_u32_e64 v19, s[2:3], 0, v19, s[2:3]
	v_addc_co_u32_e32 v23, vcc, v21, v23, vcc
	v_add_co_u32_e32 v22, vcc, 2, v22
	s_add_u32 s2, s26, -1
	v_addc_co_u32_e32 v23, vcc, 0, v23, vcc
	s_addc_u32 s3, s27, -1
	s_mov_b64 s[8:9], 0
	s_mov_b64 s[42:43], 0
                                        ; implicit-def: $sgpr38_sgpr39
	s_branch .LBB1223_131
.LBB1223_129:                           ;   in Loop: Header=BB1223_131 Depth=1
	global_load_ushort v24, v[18:19], off
	global_load_ushort v25, v[22:23], off
	v_add_co_u32_e32 v18, vcc, 2, v18
	v_addc_co_u32_e32 v19, vcc, 0, v19, vcc
	v_add_co_u32_e32 v22, vcc, 2, v22
	v_addc_co_u32_e32 v23, vcc, 0, v23, vcc
	s_add_u32 s42, s42, 1
	s_addc_u32 s43, s43, 0
	s_andn2_b64 s[38:39], s[38:39], exec
	s_waitcnt vmcnt(1)
	v_lshlrev_b32_e32 v24, 16, v24
	s_waitcnt vmcnt(0)
	v_lshlrev_b32_e32 v25, 16, v25
	v_cmp_neq_f32_e32 vcc, v25, v24
	s_and_b64 s[44:45], vcc, exec
	s_or_b64 s[38:39], s[38:39], s[44:45]
.LBB1223_130:                           ;   in Loop: Header=BB1223_131 Depth=1
	s_and_b64 s[44:45], exec, s[38:39]
	s_or_b64 s[8:9], s[44:45], s[8:9]
	v_pk_mov_b32 v[24:25], s[42:43], s[42:43] op_sel:[0,1]
	s_andn2_b64 exec, exec, s[8:9]
	s_cbranch_execz .LBB1223_133
.LBB1223_131:                           ; =>This Inner Loop Header: Depth=1
	s_or_b64 s[38:39], s[38:39], exec
	s_cmp_eq_u64 s[2:3], s[42:43]
	s_cbranch_scc0 .LBB1223_129
; %bb.132:                              ;   in Loop: Header=BB1223_131 Depth=1
                                        ; implicit-def: $vgpr18_vgpr19
                                        ; implicit-def: $vgpr22_vgpr23
	s_mov_b64 s[42:43], s[26:27]
	s_branch .LBB1223_130
.LBB1223_133:
	s_or_b64 exec, exec, s[8:9]
	v_cmp_gt_i64_e32 vcc, s[26:27], v[24:25]
	s_orn2_b64 s[38:39], vcc, exec
.LBB1223_134:
	s_or_b64 exec, exec, s[40:41]
.LBB1223_135:
	v_mul_lo_u32 v22, v15, s26
	v_mul_lo_u32 v23, v14, s27
	v_mad_u64_u32 v[18:19], s[2:3], v14, s26, 0
	s_and_b64 vcc, exec, s[0:1]
	v_add3_u32 v19, v19, v23, v22
	s_cbranch_vccnz .LBB1223_144
; %bb.136:
	v_lshlrev_b64 v[22:23], 1, v[18:19]
	v_mov_b32_e32 v25, s29
	v_add_co_u32_e32 v24, vcc, s28, v22
	v_addc_co_u32_e64 v25, s[2:3], v25, v23, vcc
	v_mov_b32_e32 v22, s29
	v_add_co_u32_e64 v26, s[2:3], s28, v20
	v_addc_co_u32_e64 v27, s[8:9], v22, v21, s[2:3]
	global_load_ushort v20, v[26:27], off
	global_load_ushort v22, v[24:25], off
	s_mov_b64 s[36:37], -1
	s_waitcnt vmcnt(1)
	v_lshlrev_b32_e32 v20, 16, v20
	s_waitcnt vmcnt(0)
	v_lshlrev_b32_e32 v22, 16, v22
	v_cmp_eq_f32_e64 s[8:9], v22, v20
	s_and_saveexec_b64 s[40:41], s[8:9]
	s_cbranch_execz .LBB1223_143
; %bb.137:
	v_mov_b32_e32 v20, s29
	v_addc_co_u32_e64 v21, s[2:3], v21, v20, s[2:3]
	v_add_co_u32_e64 v20, s[2:3], 2, v26
	v_mov_b32_e32 v22, s29
	v_addc_co_u32_e64 v21, s[2:3], 0, v21, s[2:3]
	v_addc_co_u32_e32 v23, vcc, v23, v22, vcc
	v_add_co_u32_e32 v22, vcc, 2, v24
	s_add_u32 s2, s26, -1
	v_addc_co_u32_e32 v23, vcc, 0, v23, vcc
	s_addc_u32 s3, s27, -1
	s_mov_b64 s[8:9], 0
	s_mov_b64 s[42:43], 0
                                        ; implicit-def: $sgpr36_sgpr37
	s_branch .LBB1223_140
.LBB1223_138:                           ;   in Loop: Header=BB1223_140 Depth=1
	global_load_ushort v24, v[20:21], off
	global_load_ushort v25, v[22:23], off
	v_add_co_u32_e32 v20, vcc, 2, v20
	v_addc_co_u32_e32 v21, vcc, 0, v21, vcc
	v_add_co_u32_e32 v22, vcc, 2, v22
	v_addc_co_u32_e32 v23, vcc, 0, v23, vcc
	s_add_u32 s42, s42, 1
	s_addc_u32 s43, s43, 0
	s_andn2_b64 s[36:37], s[36:37], exec
	s_waitcnt vmcnt(1)
	v_lshlrev_b32_e32 v24, 16, v24
	s_waitcnt vmcnt(0)
	v_lshlrev_b32_e32 v25, 16, v25
	v_cmp_neq_f32_e32 vcc, v25, v24
	s_and_b64 s[44:45], vcc, exec
	s_or_b64 s[36:37], s[36:37], s[44:45]
.LBB1223_139:                           ;   in Loop: Header=BB1223_140 Depth=1
	s_and_b64 s[44:45], exec, s[36:37]
	s_or_b64 s[8:9], s[44:45], s[8:9]
	v_pk_mov_b32 v[24:25], s[42:43], s[42:43] op_sel:[0,1]
	s_andn2_b64 exec, exec, s[8:9]
	s_cbranch_execz .LBB1223_142
.LBB1223_140:                           ; =>This Inner Loop Header: Depth=1
	s_or_b64 s[36:37], s[36:37], exec
	s_cmp_eq_u64 s[2:3], s[42:43]
	s_cbranch_scc0 .LBB1223_138
; %bb.141:                              ;   in Loop: Header=BB1223_140 Depth=1
                                        ; implicit-def: $vgpr20_vgpr21
                                        ; implicit-def: $vgpr22_vgpr23
	s_mov_b64 s[42:43], s[26:27]
	s_branch .LBB1223_139
.LBB1223_142:
	s_or_b64 exec, exec, s[8:9]
	v_cmp_gt_i64_e32 vcc, s[26:27], v[24:25]
	s_orn2_b64 s[36:37], vcc, exec
.LBB1223_143:
	s_or_b64 exec, exec, s[40:41]
.LBB1223_144:
	v_cndmask_b32_e64 v21, 0, 1, s[18:19]
	v_cndmask_b32_e64 v22, 0, 1, s[36:37]
	;; [unrolled: 1-line block ×3, first 2 shown]
	v_lshlrev_b16_e32 v22, 8, v22
	v_lshlrev_b16_e32 v21, 8, v21
	v_or_b32_e32 v22, 1, v22
	v_or_b32_sdwa v20, v20, v21 dst_sel:WORD_1 dst_unused:UNUSED_PAD src0_sel:DWORD src1_sel:DWORD
	v_or_b32_sdwa v28, v22, v20 dst_sel:DWORD dst_unused:UNUSED_PAD src0_sel:WORD_0 src1_sel:DWORD
	v_cmp_ne_u32_e32 vcc, 0, v0
	s_waitcnt lgkmcnt(0)
	s_barrier
	s_waitcnt lgkmcnt(0)
                                        ; implicit-def: $sgpr18_sgpr19
	s_and_saveexec_b64 s[2:3], vcc
	s_xor_b64 s[8:9], exec, s[2:3]
	s_cbranch_execz .LBB1223_155
; %bb.145:
	s_and_b64 vcc, exec, s[0:1]
	s_mov_b64 s[36:37], 0
	s_cbranch_vccnz .LBB1223_154
; %bb.146:
	v_add_u32_e32 v20, -8, v29
	ds_read_b64 v[20:21], v20
	v_mov_b32_e32 v23, s29
	v_lshlrev_b64 v[18:19], 1, v[18:19]
	s_mov_b64 s[36:37], -1
	s_waitcnt lgkmcnt(0)
	v_mul_lo_u32 v22, v21, s26
	v_mul_lo_u32 v24, v20, s27
	v_mad_u64_u32 v[20:21], s[0:1], v20, s26, 0
	v_add3_u32 v21, v21, v24, v22
	v_lshlrev_b64 v[20:21], 1, v[20:21]
	v_add_co_u32_e32 v22, vcc, s28, v20
	v_addc_co_u32_e64 v23, s[0:1], v23, v21, vcc
	v_mov_b32_e32 v20, s29
	v_add_co_u32_e64 v24, s[0:1], s28, v18
	v_addc_co_u32_e64 v25, s[2:3], v20, v19, s[0:1]
	global_load_ushort v18, v[22:23], off
	global_load_ushort v20, v[24:25], off
	s_waitcnt vmcnt(1)
	v_lshlrev_b32_e32 v18, 16, v18
	s_waitcnt vmcnt(0)
	v_lshlrev_b32_e32 v20, 16, v20
	v_cmp_eq_f32_e64 s[2:3], v18, v20
	s_and_saveexec_b64 s[18:19], s[2:3]
	s_cbranch_execz .LBB1223_153
; %bb.147:
	v_mov_b32_e32 v18, s29
	v_addc_co_u32_e64 v19, s[0:1], v19, v18, s[0:1]
	v_add_co_u32_e64 v18, s[0:1], 2, v24
	v_mov_b32_e32 v20, s29
	v_addc_co_u32_e64 v19, s[0:1], 0, v19, s[0:1]
	v_addc_co_u32_e32 v21, vcc, v21, v20, vcc
	v_add_co_u32_e32 v20, vcc, 2, v22
	s_add_u32 s0, s26, -1
	v_addc_co_u32_e32 v21, vcc, 0, v21, vcc
	s_addc_u32 s1, s27, -1
	s_mov_b64 s[2:3], 0
	s_mov_b64 s[38:39], 0
                                        ; implicit-def: $sgpr36_sgpr37
	s_branch .LBB1223_150
.LBB1223_148:                           ;   in Loop: Header=BB1223_150 Depth=1
	global_load_ushort v22, v[18:19], off
	global_load_ushort v23, v[20:21], off
	v_add_co_u32_e32 v18, vcc, 2, v18
	v_addc_co_u32_e32 v19, vcc, 0, v19, vcc
	v_add_co_u32_e32 v20, vcc, 2, v20
	v_addc_co_u32_e32 v21, vcc, 0, v21, vcc
	s_add_u32 s38, s38, 1
	s_addc_u32 s39, s39, 0
	s_andn2_b64 s[36:37], s[36:37], exec
	s_waitcnt vmcnt(1)
	v_lshlrev_b32_e32 v22, 16, v22
	s_waitcnt vmcnt(0)
	v_lshlrev_b32_e32 v23, 16, v23
	v_cmp_neq_f32_e32 vcc, v23, v22
	s_and_b64 s[40:41], vcc, exec
	s_or_b64 s[36:37], s[36:37], s[40:41]
.LBB1223_149:                           ;   in Loop: Header=BB1223_150 Depth=1
	s_and_b64 s[40:41], exec, s[36:37]
	s_or_b64 s[2:3], s[40:41], s[2:3]
	v_pk_mov_b32 v[22:23], s[38:39], s[38:39] op_sel:[0,1]
	s_andn2_b64 exec, exec, s[2:3]
	s_cbranch_execz .LBB1223_152
.LBB1223_150:                           ; =>This Inner Loop Header: Depth=1
	s_or_b64 s[36:37], s[36:37], exec
	s_cmp_eq_u64 s[0:1], s[38:39]
	s_cbranch_scc0 .LBB1223_148
; %bb.151:                              ;   in Loop: Header=BB1223_150 Depth=1
                                        ; implicit-def: $vgpr18_vgpr19
                                        ; implicit-def: $vgpr20_vgpr21
	s_mov_b64 s[38:39], s[26:27]
	s_branch .LBB1223_149
.LBB1223_152:
	s_or_b64 exec, exec, s[2:3]
	v_cmp_gt_i64_e32 vcc, s[26:27], v[22:23]
	s_orn2_b64 s[36:37], vcc, exec
.LBB1223_153:
	s_or_b64 exec, exec, s[18:19]
.LBB1223_154:
	s_and_b64 s[18:19], s[36:37], exec
	s_or_b64 s[12:13], s[12:13], exec
.LBB1223_155:
	s_or_b64 exec, exec, s[8:9]
	s_branch .LBB1223_203
.LBB1223_156:
	v_or_b32_e32 v18, 3, v1
	v_cmp_gt_u32_e32 vcc, s7, v18
	s_mov_b64 s[18:19], 0
	s_mov_b64 s[8:9], 0
	s_and_saveexec_b64 s[36:37], vcc
	s_cbranch_execz .LBB1223_167
; %bb.157:
	s_andn2_b64 vcc, exec, s[14:15]
	s_mov_b64 s[38:39], 0
	s_cbranch_vccnz .LBB1223_166
; %bb.158:
	v_mul_lo_u32 v20, v11, s26
	v_mul_lo_u32 v21, v10, s27
	v_mad_u64_u32 v[18:19], s[0:1], v10, s26, 0
	v_add3_u32 v19, v19, v21, v20
	v_mul_lo_u32 v20, v13, s26
	v_mul_lo_u32 v21, v12, s27
	v_mad_u64_u32 v[24:25], s[0:1], v12, s26, 0
	v_add3_u32 v25, v25, v21, v20
	v_lshlrev_b64 v[20:21], 1, v[18:19]
	v_mov_b32_e32 v18, s29
	v_add_co_u32_e32 v22, vcc, s28, v20
	v_addc_co_u32_e64 v23, s[0:1], v18, v21, vcc
	v_lshlrev_b64 v[18:19], 1, v[24:25]
	v_mov_b32_e32 v20, s29
	v_add_co_u32_e64 v24, s[0:1], s28, v18
	v_addc_co_u32_e64 v25, s[2:3], v20, v19, s[0:1]
	global_load_ushort v18, v[24:25], off
	global_load_ushort v20, v[22:23], off
	s_mov_b64 s[38:39], -1
	s_waitcnt vmcnt(1)
	v_lshlrev_b32_e32 v18, 16, v18
	s_waitcnt vmcnt(0)
	v_lshlrev_b32_e32 v20, 16, v20
	v_cmp_eq_f32_e64 s[2:3], v20, v18
	s_and_saveexec_b64 s[8:9], s[2:3]
	s_cbranch_execz .LBB1223_165
; %bb.159:
	v_mov_b32_e32 v18, s29
	v_addc_co_u32_e64 v19, s[0:1], v19, v18, s[0:1]
	v_add_co_u32_e64 v18, s[0:1], 2, v24
	v_mov_b32_e32 v20, s29
	v_addc_co_u32_e64 v19, s[0:1], 0, v19, s[0:1]
	v_addc_co_u32_e32 v21, vcc, v21, v20, vcc
	v_add_co_u32_e32 v20, vcc, 2, v22
	s_add_u32 s0, s26, -1
	v_addc_co_u32_e32 v21, vcc, 0, v21, vcc
	s_addc_u32 s1, s27, -1
	s_mov_b64 s[2:3], 0
	s_mov_b64 s[40:41], 0
                                        ; implicit-def: $sgpr38_sgpr39
	s_branch .LBB1223_162
.LBB1223_160:                           ;   in Loop: Header=BB1223_162 Depth=1
	global_load_ushort v22, v[18:19], off
	global_load_ushort v23, v[20:21], off
	v_add_co_u32_e32 v18, vcc, 2, v18
	v_addc_co_u32_e32 v19, vcc, 0, v19, vcc
	v_add_co_u32_e32 v20, vcc, 2, v20
	v_addc_co_u32_e32 v21, vcc, 0, v21, vcc
	s_add_u32 s40, s40, 1
	s_addc_u32 s41, s41, 0
	s_andn2_b64 s[38:39], s[38:39], exec
	s_waitcnt vmcnt(1)
	v_lshlrev_b32_e32 v22, 16, v22
	s_waitcnt vmcnt(0)
	v_lshlrev_b32_e32 v23, 16, v23
	v_cmp_neq_f32_e32 vcc, v23, v22
	s_and_b64 s[42:43], vcc, exec
	s_or_b64 s[38:39], s[38:39], s[42:43]
.LBB1223_161:                           ;   in Loop: Header=BB1223_162 Depth=1
	s_and_b64 s[42:43], exec, s[38:39]
	s_or_b64 s[2:3], s[42:43], s[2:3]
	v_pk_mov_b32 v[22:23], s[40:41], s[40:41] op_sel:[0,1]
	s_andn2_b64 exec, exec, s[2:3]
	s_cbranch_execz .LBB1223_164
.LBB1223_162:                           ; =>This Inner Loop Header: Depth=1
	s_or_b64 s[38:39], s[38:39], exec
	s_cmp_eq_u64 s[0:1], s[40:41]
	s_cbranch_scc0 .LBB1223_160
; %bb.163:                              ;   in Loop: Header=BB1223_162 Depth=1
                                        ; implicit-def: $vgpr18_vgpr19
                                        ; implicit-def: $vgpr20_vgpr21
	s_mov_b64 s[40:41], s[26:27]
	s_branch .LBB1223_161
.LBB1223_164:
	s_or_b64 exec, exec, s[2:3]
	v_cmp_gt_i64_e32 vcc, s[26:27], v[22:23]
	s_orn2_b64 s[38:39], vcc, exec
.LBB1223_165:
	s_or_b64 exec, exec, s[8:9]
.LBB1223_166:
	s_and_b64 s[8:9], s[38:39], exec
.LBB1223_167:
	s_or_b64 exec, exec, s[36:37]
	v_or_b32_e32 v18, 2, v1
	v_cmp_gt_u32_e32 vcc, s7, v18
	s_and_saveexec_b64 s[36:37], vcc
	s_cbranch_execz .LBB1223_178
; %bb.168:
	s_andn2_b64 vcc, exec, s[14:15]
	s_mov_b64 s[38:39], 0
	s_cbranch_vccnz .LBB1223_177
; %bb.169:
	v_mul_lo_u32 v20, v17, s26
	v_mul_lo_u32 v21, v16, s27
	v_mad_u64_u32 v[18:19], s[0:1], v16, s26, 0
	v_add3_u32 v19, v19, v21, v20
	v_mul_lo_u32 v20, v11, s26
	v_mul_lo_u32 v21, v10, s27
	v_mad_u64_u32 v[24:25], s[0:1], v10, s26, 0
	v_add3_u32 v25, v25, v21, v20
	v_lshlrev_b64 v[20:21], 1, v[18:19]
	v_mov_b32_e32 v18, s29
	v_add_co_u32_e32 v22, vcc, s28, v20
	v_addc_co_u32_e64 v23, s[0:1], v18, v21, vcc
	v_lshlrev_b64 v[18:19], 1, v[24:25]
	v_mov_b32_e32 v20, s29
	v_add_co_u32_e64 v24, s[0:1], s28, v18
	v_addc_co_u32_e64 v25, s[2:3], v20, v19, s[0:1]
	global_load_ushort v18, v[24:25], off
	global_load_ushort v20, v[22:23], off
	s_mov_b64 s[38:39], -1
	s_waitcnt vmcnt(1)
	v_lshlrev_b32_e32 v18, 16, v18
	s_waitcnt vmcnt(0)
	v_lshlrev_b32_e32 v20, 16, v20
	v_cmp_eq_f32_e64 s[2:3], v20, v18
	s_and_saveexec_b64 s[18:19], s[2:3]
	s_cbranch_execz .LBB1223_176
; %bb.170:
	v_mov_b32_e32 v18, s29
	v_addc_co_u32_e64 v19, s[0:1], v19, v18, s[0:1]
	v_add_co_u32_e64 v18, s[0:1], 2, v24
	v_mov_b32_e32 v20, s29
	v_addc_co_u32_e64 v19, s[0:1], 0, v19, s[0:1]
	v_addc_co_u32_e32 v21, vcc, v21, v20, vcc
	v_add_co_u32_e32 v20, vcc, 2, v22
	s_add_u32 s0, s26, -1
	v_addc_co_u32_e32 v21, vcc, 0, v21, vcc
	s_addc_u32 s1, s27, -1
	s_mov_b64 s[2:3], 0
	s_mov_b64 s[40:41], 0
                                        ; implicit-def: $sgpr38_sgpr39
	s_branch .LBB1223_173
.LBB1223_171:                           ;   in Loop: Header=BB1223_173 Depth=1
	global_load_ushort v22, v[18:19], off
	global_load_ushort v23, v[20:21], off
	v_add_co_u32_e32 v18, vcc, 2, v18
	v_addc_co_u32_e32 v19, vcc, 0, v19, vcc
	v_add_co_u32_e32 v20, vcc, 2, v20
	v_addc_co_u32_e32 v21, vcc, 0, v21, vcc
	s_add_u32 s40, s40, 1
	s_addc_u32 s41, s41, 0
	s_andn2_b64 s[38:39], s[38:39], exec
	s_waitcnt vmcnt(1)
	v_lshlrev_b32_e32 v22, 16, v22
	s_waitcnt vmcnt(0)
	v_lshlrev_b32_e32 v23, 16, v23
	v_cmp_neq_f32_e32 vcc, v23, v22
	s_and_b64 s[42:43], vcc, exec
	s_or_b64 s[38:39], s[38:39], s[42:43]
.LBB1223_172:                           ;   in Loop: Header=BB1223_173 Depth=1
	s_and_b64 s[42:43], exec, s[38:39]
	s_or_b64 s[2:3], s[42:43], s[2:3]
	v_pk_mov_b32 v[22:23], s[40:41], s[40:41] op_sel:[0,1]
	s_andn2_b64 exec, exec, s[2:3]
	s_cbranch_execz .LBB1223_175
.LBB1223_173:                           ; =>This Inner Loop Header: Depth=1
	s_or_b64 s[38:39], s[38:39], exec
	s_cmp_eq_u64 s[0:1], s[40:41]
	s_cbranch_scc0 .LBB1223_171
; %bb.174:                              ;   in Loop: Header=BB1223_173 Depth=1
                                        ; implicit-def: $vgpr18_vgpr19
                                        ; implicit-def: $vgpr20_vgpr21
	s_mov_b64 s[40:41], s[26:27]
	s_branch .LBB1223_172
.LBB1223_175:
	s_or_b64 exec, exec, s[2:3]
	v_cmp_gt_i64_e32 vcc, s[26:27], v[22:23]
	s_orn2_b64 s[38:39], vcc, exec
.LBB1223_176:
	s_or_b64 exec, exec, s[18:19]
.LBB1223_177:
	s_and_b64 s[18:19], s[38:39], exec
.LBB1223_178:
	s_or_b64 exec, exec, s[36:37]
	v_or_b32_e32 v18, 1, v1
	v_cmp_gt_u32_e32 vcc, s7, v18
	s_mov_b64 s[0:1], 0
	s_and_saveexec_b64 s[36:37], vcc
	s_cbranch_execz .LBB1223_189
; %bb.179:
	s_andn2_b64 vcc, exec, s[14:15]
	s_mov_b64 s[40:41], 0
	s_cbranch_vccnz .LBB1223_188
; %bb.180:
	v_mul_lo_u32 v20, v15, s26
	v_mul_lo_u32 v21, v14, s27
	v_mad_u64_u32 v[18:19], s[0:1], v14, s26, 0
	v_add3_u32 v19, v19, v21, v20
	v_mul_lo_u32 v20, v17, s26
	v_mul_lo_u32 v21, v16, s27
	v_mad_u64_u32 v[24:25], s[0:1], v16, s26, 0
	v_add3_u32 v25, v25, v21, v20
	v_lshlrev_b64 v[20:21], 1, v[18:19]
	v_mov_b32_e32 v18, s29
	v_add_co_u32_e32 v22, vcc, s28, v20
	v_addc_co_u32_e64 v23, s[0:1], v18, v21, vcc
	v_lshlrev_b64 v[18:19], 1, v[24:25]
	v_mov_b32_e32 v20, s29
	v_add_co_u32_e64 v24, s[0:1], s28, v18
	v_addc_co_u32_e64 v25, s[2:3], v20, v19, s[0:1]
	global_load_ushort v18, v[24:25], off
	global_load_ushort v20, v[22:23], off
	s_mov_b64 s[40:41], -1
	s_waitcnt vmcnt(1)
	v_lshlrev_b32_e32 v18, 16, v18
	s_waitcnt vmcnt(0)
	v_lshlrev_b32_e32 v20, 16, v20
	v_cmp_eq_f32_e64 s[2:3], v20, v18
	s_and_saveexec_b64 s[38:39], s[2:3]
	s_cbranch_execz .LBB1223_187
; %bb.181:
	v_mov_b32_e32 v18, s29
	v_addc_co_u32_e64 v19, s[0:1], v19, v18, s[0:1]
	v_add_co_u32_e64 v18, s[0:1], 2, v24
	v_mov_b32_e32 v20, s29
	v_addc_co_u32_e64 v19, s[0:1], 0, v19, s[0:1]
	v_addc_co_u32_e32 v21, vcc, v21, v20, vcc
	v_add_co_u32_e32 v20, vcc, 2, v22
	s_add_u32 s0, s26, -1
	v_addc_co_u32_e32 v21, vcc, 0, v21, vcc
	s_addc_u32 s1, s27, -1
	s_mov_b64 s[2:3], 0
	s_mov_b64 s[42:43], 0
                                        ; implicit-def: $sgpr40_sgpr41
	s_branch .LBB1223_184
.LBB1223_182:                           ;   in Loop: Header=BB1223_184 Depth=1
	global_load_ushort v22, v[18:19], off
	global_load_ushort v23, v[20:21], off
	v_add_co_u32_e32 v18, vcc, 2, v18
	v_addc_co_u32_e32 v19, vcc, 0, v19, vcc
	v_add_co_u32_e32 v20, vcc, 2, v20
	v_addc_co_u32_e32 v21, vcc, 0, v21, vcc
	s_add_u32 s42, s42, 1
	s_addc_u32 s43, s43, 0
	s_andn2_b64 s[40:41], s[40:41], exec
	s_waitcnt vmcnt(1)
	v_lshlrev_b32_e32 v22, 16, v22
	s_waitcnt vmcnt(0)
	v_lshlrev_b32_e32 v23, 16, v23
	v_cmp_neq_f32_e32 vcc, v23, v22
	s_and_b64 s[44:45], vcc, exec
	s_or_b64 s[40:41], s[40:41], s[44:45]
.LBB1223_183:                           ;   in Loop: Header=BB1223_184 Depth=1
	s_and_b64 s[44:45], exec, s[40:41]
	s_or_b64 s[2:3], s[44:45], s[2:3]
	v_pk_mov_b32 v[22:23], s[42:43], s[42:43] op_sel:[0,1]
	s_andn2_b64 exec, exec, s[2:3]
	s_cbranch_execz .LBB1223_186
.LBB1223_184:                           ; =>This Inner Loop Header: Depth=1
	s_or_b64 s[40:41], s[40:41], exec
	s_cmp_eq_u64 s[0:1], s[42:43]
	s_cbranch_scc0 .LBB1223_182
; %bb.185:                              ;   in Loop: Header=BB1223_184 Depth=1
                                        ; implicit-def: $vgpr18_vgpr19
                                        ; implicit-def: $vgpr20_vgpr21
	s_mov_b64 s[42:43], s[26:27]
	s_branch .LBB1223_183
.LBB1223_186:
	s_or_b64 exec, exec, s[2:3]
	v_cmp_gt_i64_e32 vcc, s[26:27], v[22:23]
	s_orn2_b64 s[40:41], vcc, exec
.LBB1223_187:
	s_or_b64 exec, exec, s[38:39]
.LBB1223_188:
	s_and_b64 s[0:1], s[40:41], exec
.LBB1223_189:
	s_or_b64 exec, exec, s[36:37]
	v_cndmask_b32_e64 v19, 0, 1, s[8:9]
	v_cndmask_b32_e64 v20, 0, 1, s[0:1]
	;; [unrolled: 1-line block ×3, first 2 shown]
	v_lshlrev_b16_e32 v20, 8, v20
	v_lshlrev_b16_e32 v19, 8, v19
	v_or_b32_e32 v20, 1, v20
	v_or_b32_sdwa v18, v18, v19 dst_sel:WORD_1 dst_unused:UNUSED_PAD src0_sel:DWORD src1_sel:DWORD
	v_or_b32_sdwa v28, v20, v18 dst_sel:DWORD dst_unused:UNUSED_PAD src0_sel:WORD_0 src1_sel:DWORD
	v_cmp_ne_u32_e32 vcc, 0, v0
	s_waitcnt lgkmcnt(0)
	s_barrier
	s_waitcnt lgkmcnt(0)
                                        ; implicit-def: $sgpr18_sgpr19
	s_and_saveexec_b64 s[8:9], vcc
	s_cbranch_execz .LBB1223_202
; %bb.190:
	v_cmp_gt_u32_e32 vcc, s7, v1
	s_mov_b64 s[0:1], 0
	s_and_saveexec_b64 s[18:19], vcc
	s_cbranch_execz .LBB1223_201
; %bb.191:
	s_andn2_b64 vcc, exec, s[14:15]
	s_mov_b64 s[36:37], 0
	s_cbranch_vccnz .LBB1223_200
; %bb.192:
	v_add_u32_e32 v18, -8, v29
	ds_read_b64 v[18:19], v18
	v_mul_lo_u32 v20, v15, s26
	v_mad_u64_u32 v[24:25], s[0:1], v14, s26, 0
	s_mov_b64 s[36:37], -1
	s_waitcnt lgkmcnt(0)
	v_mul_lo_u32 v21, v19, s26
	v_mul_lo_u32 v22, v18, s27
	v_mad_u64_u32 v[18:19], s[0:1], v18, s26, 0
	v_add3_u32 v19, v19, v22, v21
	v_mul_lo_u32 v21, v14, s27
	v_add3_u32 v25, v25, v21, v20
	v_lshlrev_b64 v[20:21], 1, v[18:19]
	v_mov_b32_e32 v18, s29
	v_add_co_u32_e32 v22, vcc, s28, v20
	v_addc_co_u32_e64 v23, s[0:1], v18, v21, vcc
	v_lshlrev_b64 v[18:19], 1, v[24:25]
	v_mov_b32_e32 v20, s29
	v_add_co_u32_e64 v24, s[0:1], s28, v18
	v_addc_co_u32_e64 v25, s[2:3], v20, v19, s[0:1]
	global_load_ushort v18, v[24:25], off
	global_load_ushort v20, v[22:23], off
	s_waitcnt vmcnt(1)
	v_lshlrev_b32_e32 v18, 16, v18
	s_waitcnt vmcnt(0)
	v_lshlrev_b32_e32 v20, 16, v20
	v_cmp_eq_f32_e64 s[2:3], v20, v18
	s_and_saveexec_b64 s[14:15], s[2:3]
	s_cbranch_execz .LBB1223_199
; %bb.193:
	v_mov_b32_e32 v18, s29
	v_addc_co_u32_e64 v19, s[0:1], v19, v18, s[0:1]
	v_add_co_u32_e64 v18, s[0:1], 2, v24
	v_mov_b32_e32 v20, s29
	v_addc_co_u32_e64 v19, s[0:1], 0, v19, s[0:1]
	v_addc_co_u32_e32 v21, vcc, v21, v20, vcc
	v_add_co_u32_e32 v20, vcc, 2, v22
	s_add_u32 s0, s26, -1
	v_addc_co_u32_e32 v21, vcc, 0, v21, vcc
	s_addc_u32 s1, s27, -1
	s_mov_b64 s[2:3], 0
	s_mov_b64 s[36:37], 0
                                        ; implicit-def: $sgpr28_sgpr29
	s_branch .LBB1223_196
.LBB1223_194:                           ;   in Loop: Header=BB1223_196 Depth=1
	global_load_ushort v22, v[18:19], off
	global_load_ushort v23, v[20:21], off
	v_add_co_u32_e32 v18, vcc, 2, v18
	v_addc_co_u32_e32 v19, vcc, 0, v19, vcc
	v_add_co_u32_e32 v20, vcc, 2, v20
	v_addc_co_u32_e32 v21, vcc, 0, v21, vcc
	s_add_u32 s36, s36, 1
	s_addc_u32 s37, s37, 0
	s_andn2_b64 s[28:29], s[28:29], exec
	s_waitcnt vmcnt(1)
	v_lshlrev_b32_e32 v22, 16, v22
	s_waitcnt vmcnt(0)
	v_lshlrev_b32_e32 v23, 16, v23
	v_cmp_neq_f32_e32 vcc, v23, v22
	s_and_b64 s[38:39], vcc, exec
	s_or_b64 s[28:29], s[28:29], s[38:39]
.LBB1223_195:                           ;   in Loop: Header=BB1223_196 Depth=1
	s_and_b64 s[38:39], exec, s[28:29]
	s_or_b64 s[2:3], s[38:39], s[2:3]
	v_pk_mov_b32 v[22:23], s[36:37], s[36:37] op_sel:[0,1]
	s_andn2_b64 exec, exec, s[2:3]
	s_cbranch_execz .LBB1223_198
.LBB1223_196:                           ; =>This Inner Loop Header: Depth=1
	s_or_b64 s[28:29], s[28:29], exec
	s_cmp_eq_u64 s[0:1], s[36:37]
	s_cbranch_scc0 .LBB1223_194
; %bb.197:                              ;   in Loop: Header=BB1223_196 Depth=1
                                        ; implicit-def: $vgpr18_vgpr19
                                        ; implicit-def: $vgpr20_vgpr21
	s_mov_b64 s[36:37], s[26:27]
	s_branch .LBB1223_195
.LBB1223_198:
	s_or_b64 exec, exec, s[2:3]
	v_cmp_gt_i64_e32 vcc, s[26:27], v[22:23]
	s_orn2_b64 s[36:37], vcc, exec
.LBB1223_199:
	s_or_b64 exec, exec, s[14:15]
.LBB1223_200:
	s_and_b64 s[0:1], s[36:37], exec
.LBB1223_201:
	s_or_b64 exec, exec, s[18:19]
	s_and_b64 s[18:19], s[0:1], exec
	s_or_b64 s[12:13], s[12:13], exec
.LBB1223_202:
	s_or_b64 exec, exec, s[8:9]
.LBB1223_203:
	s_and_saveexec_b64 s[0:1], s[12:13]
; %bb.204:
	v_and_b32_e32 v18, 0xffffff00, v28
	v_cndmask_b32_e64 v19, 0, 1, s[18:19]
	v_or_b32_e32 v18, v19, v18
	v_and_b32_e32 v18, 0xffff, v18
	s_mov_b32 s2, 0xffff0000
	v_and_or_b32 v28, v28, s2, v18
; %bb.205:
	s_or_b64 exec, exec, s[0:1]
	s_andn2_b64 vcc, exec, s[10:11]
	s_cbranch_vccnz .LBB1223_207
; %bb.206:
	v_cmp_gt_u32_e32 vcc, s7, v1
	v_cndmask_b32_e32 v18, 0, v28, vcc
	v_or_b32_e32 v19, 1, v1
	v_and_b32_e32 v18, 0xff, v18
	v_cmp_gt_u32_e32 vcc, s7, v19
	v_cndmask_b32_e32 v18, v18, v28, vcc
	v_or_b32_e32 v19, 2, v1
	v_and_b32_e32 v18, 0xffff, v18
	;; [unrolled: 4-line block ×3, first 2 shown]
	v_cmp_gt_u32_e32 vcc, s7, v19
	v_cndmask_b32_e32 v28, v18, v28, vcc
.LBB1223_207:
	v_bfe_u32 v30, v28, 16, 8
	v_lshrrev_b32_e32 v29, 24, v28
	v_add_u32_sdwa v18, v28, v28 dst_sel:DWORD dst_unused:UNUSED_PAD src0_sel:BYTE_1 src1_sel:BYTE_0
	v_add3_u32 v33, v18, v30, v29
	v_mbcnt_lo_u32_b32 v18, -1, 0
	v_mbcnt_hi_u32_b32 v31, -1, v18
	v_and_b32_e32 v18, 15, v31
	v_cmp_eq_u32_e64 s[14:15], 0, v18
	v_cmp_lt_u32_e64 s[12:13], 1, v18
	v_cmp_lt_u32_e64 s[10:11], 3, v18
	;; [unrolled: 1-line block ×3, first 2 shown]
	v_and_b32_e32 v18, 16, v31
	v_cmp_eq_u32_e64 s[18:19], 0, v18
	v_or_b32_e32 v18, 63, v0
	v_cmp_lt_u32_e64 s[0:1], 31, v31
	v_lshrrev_b32_e32 v32, 6, v0
	v_cmp_eq_u32_e64 s[2:3], v18, v0
	s_and_b64 vcc, exec, s[16:17]
	s_waitcnt lgkmcnt(0)
	s_barrier
	s_cbranch_vccz .LBB1223_238
; %bb.208:
	v_mov_b32_dpp v18, v33 row_shr:1 row_mask:0xf bank_mask:0xf
	v_cndmask_b32_e64 v18, v18, 0, s[14:15]
	v_add_u32_e32 v18, v18, v33
	s_nop 1
	v_mov_b32_dpp v19, v18 row_shr:2 row_mask:0xf bank_mask:0xf
	v_cndmask_b32_e64 v19, 0, v19, s[12:13]
	v_add_u32_e32 v18, v18, v19
	s_nop 1
	;; [unrolled: 4-line block ×4, first 2 shown]
	v_mov_b32_dpp v19, v18 row_bcast:15 row_mask:0xf bank_mask:0xf
	v_cndmask_b32_e64 v19, v19, 0, s[18:19]
	v_add_u32_e32 v18, v18, v19
	s_nop 1
	v_mov_b32_dpp v19, v18 row_bcast:31 row_mask:0xf bank_mask:0xf
	v_cndmask_b32_e64 v19, 0, v19, s[0:1]
	v_add_u32_e32 v18, v18, v19
	s_and_saveexec_b64 s[16:17], s[2:3]
	s_cbranch_execz .LBB1223_210
; %bb.209:
	v_lshlrev_b32_e32 v19, 2, v32
	ds_write_b32 v19, v18
.LBB1223_210:
	s_or_b64 exec, exec, s[16:17]
	v_cmp_gt_u32_e32 vcc, 2, v0
	s_waitcnt lgkmcnt(0)
	s_barrier
	s_and_saveexec_b64 s[16:17], vcc
	s_cbranch_execz .LBB1223_212
; %bb.211:
	ds_read_b32 v19, v1
	v_bfe_i32 v20, v31, 0, 1
	s_waitcnt lgkmcnt(0)
	v_mov_b32_dpp v21, v19 row_shr:1 row_mask:0xf bank_mask:0xf
	v_and_b32_e32 v20, v20, v21
	v_add_u32_e32 v19, v20, v19
	ds_write_b32 v1, v19
.LBB1223_212:
	s_or_b64 exec, exec, s[16:17]
	v_cmp_gt_u32_e32 vcc, 64, v0
	v_cmp_lt_u32_e64 s[16:17], 63, v0
	s_waitcnt lgkmcnt(0)
	s_barrier
	s_waitcnt lgkmcnt(0)
                                        ; implicit-def: $vgpr34
	s_and_saveexec_b64 s[26:27], s[16:17]
	s_cbranch_execz .LBB1223_214
; %bb.213:
	v_lshl_add_u32 v19, v32, 2, -4
	ds_read_b32 v34, v19
	s_waitcnt lgkmcnt(0)
	v_add_u32_e32 v18, v34, v18
.LBB1223_214:
	s_or_b64 exec, exec, s[26:27]
	v_add_u32_e32 v19, -1, v31
	v_and_b32_e32 v20, 64, v31
	v_cmp_lt_i32_e64 s[16:17], v19, v20
	v_cndmask_b32_e64 v19, v19, v31, s[16:17]
	v_lshlrev_b32_e32 v19, 2, v19
	ds_bpermute_b32 v35, v19, v18
	v_cmp_eq_u32_e64 s[16:17], 0, v31
	s_and_saveexec_b64 s[26:27], vcc
	s_cbranch_execz .LBB1223_237
; %bb.215:
	v_mov_b32_e32 v27, 0
	ds_read_b32 v18, v27 offset:4
	s_and_saveexec_b64 s[28:29], s[16:17]
	s_cbranch_execz .LBB1223_217
; %bb.216:
	s_add_i32 s36, s6, 64
	s_mov_b32 s37, 0
	s_lshl_b64 s[36:37], s[36:37], 3
	s_add_u32 s36, s30, s36
	v_mov_b32_e32 v19, 1
	s_addc_u32 s37, s31, s37
	s_waitcnt lgkmcnt(0)
	global_store_dwordx2 v27, v[18:19], s[36:37]
.LBB1223_217:
	s_or_b64 exec, exec, s[28:29]
	v_xad_u32 v20, v31, -1, s6
	v_add_u32_e32 v26, 64, v20
	v_lshlrev_b64 v[22:23], 3, v[26:27]
	v_mov_b32_e32 v19, s31
	v_add_co_u32_e32 v22, vcc, s30, v22
	v_addc_co_u32_e32 v23, vcc, v19, v23, vcc
	global_load_dwordx2 v[24:25], v[22:23], off glc
	s_waitcnt vmcnt(0)
	v_cmp_eq_u16_sdwa s[36:37], v25, v27 src0_sel:BYTE_0 src1_sel:DWORD
	s_and_saveexec_b64 s[28:29], s[36:37]
	s_cbranch_execz .LBB1223_223
; %bb.218:
	s_mov_b32 s7, 1
	s_mov_b64 s[36:37], 0
	v_mov_b32_e32 v19, 0
.LBB1223_219:                           ; =>This Loop Header: Depth=1
                                        ;     Child Loop BB1223_220 Depth 2
	s_max_u32 s33, s7, 1
.LBB1223_220:                           ;   Parent Loop BB1223_219 Depth=1
                                        ; =>  This Inner Loop Header: Depth=2
	s_add_i32 s33, s33, -1
	s_cmp_eq_u32 s33, 0
	s_sleep 1
	s_cbranch_scc0 .LBB1223_220
; %bb.221:                              ;   in Loop: Header=BB1223_219 Depth=1
	global_load_dwordx2 v[24:25], v[22:23], off glc
	s_cmp_lt_u32 s7, 32
	s_cselect_b64 s[38:39], -1, 0
	s_cmp_lg_u64 s[38:39], 0
	s_addc_u32 s7, s7, 0
	s_waitcnt vmcnt(0)
	v_cmp_ne_u16_sdwa s[38:39], v25, v19 src0_sel:BYTE_0 src1_sel:DWORD
	s_or_b64 s[36:37], s[38:39], s[36:37]
	s_andn2_b64 exec, exec, s[36:37]
	s_cbranch_execnz .LBB1223_219
; %bb.222:
	s_or_b64 exec, exec, s[36:37]
.LBB1223_223:
	s_or_b64 exec, exec, s[28:29]
	v_and_b32_e32 v36, 63, v31
	v_mov_b32_e32 v19, 2
	v_cmp_ne_u32_e32 vcc, 63, v36
	v_cmp_eq_u16_sdwa s[28:29], v25, v19 src0_sel:BYTE_0 src1_sel:DWORD
	v_lshlrev_b64 v[22:23], v31, -1
	v_addc_co_u32_e32 v27, vcc, 0, v31, vcc
	v_and_b32_e32 v21, s29, v23
	v_lshlrev_b32_e32 v37, 2, v27
	v_or_b32_e32 v21, 0x80000000, v21
	ds_bpermute_b32 v27, v37, v24
	v_and_b32_e32 v26, s28, v22
	v_ffbl_b32_e32 v21, v21
	v_add_u32_e32 v21, 32, v21
	v_ffbl_b32_e32 v26, v26
	v_min_u32_e32 v21, v26, v21
	v_cmp_lt_u32_e32 vcc, v36, v21
	s_waitcnt lgkmcnt(0)
	v_cndmask_b32_e32 v26, 0, v27, vcc
	v_cmp_gt_u32_e32 vcc, 62, v36
	v_add_u32_e32 v24, v26, v24
	v_cndmask_b32_e64 v26, 0, 1, vcc
	v_lshlrev_b32_e32 v26, 1, v26
	v_add_lshl_u32 v38, v26, v31, 2
	ds_bpermute_b32 v26, v38, v24
	v_add_u32_e32 v39, 2, v36
	v_cmp_le_u32_e32 vcc, v39, v21
	v_add_u32_e32 v41, 4, v36
	v_add_u32_e32 v43, 8, v36
	s_waitcnt lgkmcnt(0)
	v_cndmask_b32_e32 v26, 0, v26, vcc
	v_cmp_gt_u32_e32 vcc, 60, v36
	v_add_u32_e32 v24, v24, v26
	v_cndmask_b32_e64 v26, 0, 1, vcc
	v_lshlrev_b32_e32 v26, 2, v26
	v_add_lshl_u32 v40, v26, v31, 2
	ds_bpermute_b32 v26, v40, v24
	v_cmp_le_u32_e32 vcc, v41, v21
	v_add_u32_e32 v46, 16, v36
	v_add_u32_e32 v48, 32, v36
	s_waitcnt lgkmcnt(0)
	v_cndmask_b32_e32 v26, 0, v26, vcc
	v_cmp_gt_u32_e32 vcc, 56, v36
	v_add_u32_e32 v24, v24, v26
	v_cndmask_b32_e64 v26, 0, 1, vcc
	v_lshlrev_b32_e32 v26, 3, v26
	v_add_lshl_u32 v42, v26, v31, 2
	ds_bpermute_b32 v26, v42, v24
	v_cmp_le_u32_e32 vcc, v43, v21
	s_waitcnt lgkmcnt(0)
	v_cndmask_b32_e32 v26, 0, v26, vcc
	v_cmp_gt_u32_e32 vcc, 48, v36
	v_add_u32_e32 v24, v24, v26
	v_cndmask_b32_e64 v26, 0, 1, vcc
	v_lshlrev_b32_e32 v26, 4, v26
	v_add_lshl_u32 v45, v26, v31, 2
	ds_bpermute_b32 v26, v45, v24
	v_cmp_le_u32_e32 vcc, v46, v21
	;; [unrolled: 9-line block ×3, first 2 shown]
	s_waitcnt lgkmcnt(0)
	v_cndmask_b32_e32 v21, 0, v26, vcc
	v_add_u32_e32 v24, v24, v21
	v_mov_b32_e32 v21, 0
	s_branch .LBB1223_225
.LBB1223_224:                           ;   in Loop: Header=BB1223_225 Depth=1
	s_or_b64 exec, exec, s[28:29]
	v_cmp_eq_u16_sdwa s[28:29], v25, v19 src0_sel:BYTE_0 src1_sel:DWORD
	v_and_b32_e32 v26, s29, v23
	v_or_b32_e32 v26, 0x80000000, v26
	ds_bpermute_b32 v49, v37, v24
	v_and_b32_e32 v27, s28, v22
	v_ffbl_b32_e32 v26, v26
	v_add_u32_e32 v26, 32, v26
	v_ffbl_b32_e32 v27, v27
	v_min_u32_e32 v26, v27, v26
	v_cmp_lt_u32_e32 vcc, v36, v26
	s_waitcnt lgkmcnt(0)
	v_cndmask_b32_e32 v27, 0, v49, vcc
	v_add_u32_e32 v24, v27, v24
	ds_bpermute_b32 v27, v38, v24
	v_cmp_le_u32_e32 vcc, v39, v26
	v_subrev_u32_e32 v20, 64, v20
	s_waitcnt lgkmcnt(0)
	v_cndmask_b32_e32 v27, 0, v27, vcc
	v_add_u32_e32 v24, v24, v27
	ds_bpermute_b32 v27, v40, v24
	v_cmp_le_u32_e32 vcc, v41, v26
	s_waitcnt lgkmcnt(0)
	v_cndmask_b32_e32 v27, 0, v27, vcc
	v_add_u32_e32 v24, v24, v27
	ds_bpermute_b32 v27, v42, v24
	v_cmp_le_u32_e32 vcc, v43, v26
	;; [unrolled: 5-line block ×4, first 2 shown]
	s_waitcnt lgkmcnt(0)
	v_cndmask_b32_e32 v26, 0, v27, vcc
	v_add3_u32 v24, v26, v44, v24
.LBB1223_225:                           ; =>This Loop Header: Depth=1
                                        ;     Child Loop BB1223_228 Depth 2
                                        ;       Child Loop BB1223_229 Depth 3
	v_cmp_ne_u16_sdwa s[28:29], v25, v19 src0_sel:BYTE_0 src1_sel:DWORD
	v_cndmask_b32_e64 v25, 0, 1, s[28:29]
	;;#ASMSTART
	;;#ASMEND
	v_cmp_ne_u32_e32 vcc, 0, v25
	s_cmp_lg_u64 vcc, exec
	v_mov_b32_e32 v44, v24
	s_cbranch_scc1 .LBB1223_232
; %bb.226:                              ;   in Loop: Header=BB1223_225 Depth=1
	v_lshlrev_b64 v[24:25], 3, v[20:21]
	v_mov_b32_e32 v27, s31
	v_add_co_u32_e32 v26, vcc, s30, v24
	v_addc_co_u32_e32 v27, vcc, v27, v25, vcc
	global_load_dwordx2 v[24:25], v[26:27], off glc
	s_waitcnt vmcnt(0)
	v_cmp_eq_u16_sdwa s[36:37], v25, v21 src0_sel:BYTE_0 src1_sel:DWORD
	s_and_saveexec_b64 s[28:29], s[36:37]
	s_cbranch_execz .LBB1223_224
; %bb.227:                              ;   in Loop: Header=BB1223_225 Depth=1
	s_mov_b32 s7, 1
	s_mov_b64 s[36:37], 0
.LBB1223_228:                           ;   Parent Loop BB1223_225 Depth=1
                                        ; =>  This Loop Header: Depth=2
                                        ;       Child Loop BB1223_229 Depth 3
	s_max_u32 s33, s7, 1
.LBB1223_229:                           ;   Parent Loop BB1223_225 Depth=1
                                        ;     Parent Loop BB1223_228 Depth=2
                                        ; =>    This Inner Loop Header: Depth=3
	s_add_i32 s33, s33, -1
	s_cmp_eq_u32 s33, 0
	s_sleep 1
	s_cbranch_scc0 .LBB1223_229
; %bb.230:                              ;   in Loop: Header=BB1223_228 Depth=2
	global_load_dwordx2 v[24:25], v[26:27], off glc
	s_cmp_lt_u32 s7, 32
	s_cselect_b64 s[38:39], -1, 0
	s_cmp_lg_u64 s[38:39], 0
	s_addc_u32 s7, s7, 0
	s_waitcnt vmcnt(0)
	v_cmp_ne_u16_sdwa s[38:39], v25, v21 src0_sel:BYTE_0 src1_sel:DWORD
	s_or_b64 s[36:37], s[38:39], s[36:37]
	s_andn2_b64 exec, exec, s[36:37]
	s_cbranch_execnz .LBB1223_228
; %bb.231:                              ;   in Loop: Header=BB1223_225 Depth=1
	s_or_b64 exec, exec, s[36:37]
	s_branch .LBB1223_224
.LBB1223_232:                           ;   in Loop: Header=BB1223_225 Depth=1
                                        ; implicit-def: $vgpr24
                                        ; implicit-def: $vgpr25
	s_cbranch_execz .LBB1223_225
; %bb.233:
	s_and_saveexec_b64 s[28:29], s[16:17]
	s_cbranch_execz .LBB1223_235
; %bb.234:
	s_add_i32 s6, s6, 64
	s_mov_b32 s7, 0
	s_lshl_b64 s[6:7], s[6:7], 3
	s_add_u32 s6, s30, s6
	v_add_u32_e32 v20, v44, v18
	v_mov_b32_e32 v21, 2
	s_addc_u32 s7, s31, s7
	v_mov_b32_e32 v19, 0
	global_store_dwordx2 v19, v[20:21], s[6:7]
	s_movk_i32 s6, 0x1000
	v_add_u32_e64 v19, s6, 0
	ds_write2_b32 v19, v18, v44 offset0:32 offset1:34
.LBB1223_235:
	s_or_b64 exec, exec, s[28:29]
	v_cmp_eq_u32_e32 vcc, 0, v0
	s_and_b64 exec, exec, vcc
	s_cbranch_execz .LBB1223_237
; %bb.236:
	v_mov_b32_e32 v18, 0
	ds_write_b32 v18, v44 offset:4
.LBB1223_237:
	s_or_b64 exec, exec, s[26:27]
	v_mov_b32_e32 v19, 0
	s_waitcnt lgkmcnt(0)
	s_barrier
	ds_read_b32 v19, v19 offset:4
	s_movk_i32 s6, 0x1000
	v_add_u32_e64 v20, s6, 0
	v_cndmask_b32_e64 v18, v35, v34, s[16:17]
	v_cmp_ne_u32_e32 vcc, 0, v0
	s_waitcnt lgkmcnt(0)
	s_barrier
	ds_read2_b32 v[26:27], v20 offset0:32 offset1:34
	v_cndmask_b32_e32 v18, 0, v18, vcc
	v_add_u32_e32 v24, v19, v18
	v_add_u32_sdwa v22, v24, v28 dst_sel:DWORD dst_unused:UNUSED_PAD src0_sel:DWORD src1_sel:BYTE_0
	v_add_u32_sdwa v20, v22, v28 dst_sel:DWORD dst_unused:UNUSED_PAD src0_sel:DWORD src1_sel:BYTE_1
	v_add_u32_e32 v18, v20, v30
	s_waitcnt lgkmcnt(0)
	v_readfirstlane_b32 s26, v26
	v_readfirstlane_b32 s16, v27
	s_branch .LBB1223_248
.LBB1223_238:
                                        ; implicit-def: $vgpr18
                                        ; implicit-def: $vgpr20
                                        ; implicit-def: $vgpr22
                                        ; implicit-def: $vgpr24
                                        ; implicit-def: $sgpr16
                                        ; implicit-def: $sgpr26
	s_cbranch_execz .LBB1223_248
; %bb.239:
	s_nop 0
	v_mov_b32_dpp v18, v33 row_shr:1 row_mask:0xf bank_mask:0xf
	v_cndmask_b32_e64 v18, v18, 0, s[14:15]
	v_add_u32_e32 v18, v18, v33
	s_nop 1
	v_mov_b32_dpp v19, v18 row_shr:2 row_mask:0xf bank_mask:0xf
	v_cndmask_b32_e64 v19, 0, v19, s[12:13]
	v_add_u32_e32 v18, v18, v19
	;; [unrolled: 4-line block ×4, first 2 shown]
	s_nop 1
	v_mov_b32_dpp v19, v18 row_bcast:15 row_mask:0xf bank_mask:0xf
	v_cndmask_b32_e64 v19, v19, 0, s[18:19]
	v_add_u32_e32 v18, v18, v19
	s_nop 1
	v_mov_b32_dpp v19, v18 row_bcast:31 row_mask:0xf bank_mask:0xf
	v_cndmask_b32_e64 v19, 0, v19, s[0:1]
	v_add_u32_e32 v18, v18, v19
	s_and_saveexec_b64 s[0:1], s[2:3]
	s_cbranch_execz .LBB1223_241
; %bb.240:
	v_lshlrev_b32_e32 v19, 2, v32
	ds_write_b32 v19, v18
.LBB1223_241:
	s_or_b64 exec, exec, s[0:1]
	v_cmp_gt_u32_e32 vcc, 2, v0
	s_waitcnt lgkmcnt(0)
	s_barrier
	s_and_saveexec_b64 s[0:1], vcc
	s_cbranch_execz .LBB1223_243
; %bb.242:
	ds_read_b32 v19, v1
	v_bfe_i32 v20, v31, 0, 1
	s_waitcnt lgkmcnt(0)
	v_mov_b32_dpp v21, v19 row_shr:1 row_mask:0xf bank_mask:0xf
	v_and_b32_e32 v20, v20, v21
	v_add_u32_e32 v19, v20, v19
	ds_write_b32 v1, v19
.LBB1223_243:
	s_or_b64 exec, exec, s[0:1]
	v_cmp_lt_u32_e32 vcc, 63, v0
	v_mov_b32_e32 v19, 0
	v_mov_b32_e32 v1, 0
	s_waitcnt lgkmcnt(0)
	s_barrier
	s_and_saveexec_b64 s[0:1], vcc
	s_cbranch_execz .LBB1223_245
; %bb.244:
	v_lshl_add_u32 v1, v32, 2, -4
	ds_read_b32 v1, v1
.LBB1223_245:
	s_or_b64 exec, exec, s[0:1]
	v_add_u32_e32 v20, -1, v31
	v_and_b32_e32 v21, 64, v31
	v_cmp_lt_i32_e32 vcc, v20, v21
	v_cndmask_b32_e32 v20, v20, v31, vcc
	s_waitcnt lgkmcnt(0)
	v_add_u32_e32 v18, v1, v18
	v_lshlrev_b32_e32 v20, 2, v20
	ds_read_b32 v19, v19 offset:4
	ds_bpermute_b32 v18, v20, v18
	s_mov_b32 s16, 0
	v_cmp_eq_u32_e32 vcc, 0, v0
	s_waitcnt lgkmcnt(1)
	v_readfirstlane_b32 s26, v19
	s_and_saveexec_b64 s[0:1], vcc
	s_cbranch_execz .LBB1223_247
; %bb.246:
	v_mov_b32_e32 v19, 0
	v_mov_b32_e32 v20, s26
	;; [unrolled: 1-line block ×3, first 2 shown]
	global_store_dwordx2 v19, v[20:21], s[30:31] offset:512
.LBB1223_247:
	s_or_b64 exec, exec, s[0:1]
	v_cmp_eq_u32_e64 s[0:1], 0, v31
	s_waitcnt lgkmcnt(0)
	v_cndmask_b32_e64 v1, v18, v1, s[0:1]
	v_cndmask_b32_e64 v24, v1, 0, vcc
	v_add_u32_sdwa v22, v24, v28 dst_sel:DWORD dst_unused:UNUSED_PAD src0_sel:DWORD src1_sel:BYTE_0
	v_add_u32_sdwa v20, v22, v28 dst_sel:DWORD dst_unused:UNUSED_PAD src0_sel:DWORD src1_sel:BYTE_1
	v_add_u32_e32 v18, v20, v30
	s_barrier
.LBB1223_248:
	s_load_dwordx4 s[4:7], s[4:5], 0x28
	s_cmpk_lt_u32 s26, 0x81
	s_cselect_b64 s[2:3], -1, 0
	v_lshrrev_b32_e32 v1, 8, v28
	s_mov_b64 s[0:1], -1
	s_and_b64 vcc, exec, s[2:3]
	s_cbranch_vccz .LBB1223_262
; %bb.249:
	s_add_i32 s8, s16, s26
	v_cmp_gt_u32_e32 vcc, s8, v24
	s_or_b64 s[10:11], s[34:35], vcc
	s_and_saveexec_b64 s[0:1], s[10:11]
	s_cbranch_execz .LBB1223_252
; %bb.250:
	v_and_b32_e32 v19, 1, v28
	v_cmp_eq_u32_e32 vcc, 1, v19
	s_and_b64 exec, exec, vcc
	s_cbranch_execz .LBB1223_252
; %bb.251:
	s_lshl_b64 s[10:11], s[22:23], 3
	s_waitcnt lgkmcnt(0)
	s_add_u32 s9, s4, s10
	v_mov_b32_e32 v25, 0
	s_addc_u32 s10, s5, s11
	v_lshlrev_b64 v[26:27], 3, v[24:25]
	v_mov_b32_e32 v19, s10
	v_add_co_u32_e32 v26, vcc, s9, v26
	v_addc_co_u32_e32 v27, vcc, v19, v27, vcc
	global_store_dwordx2 v[26:27], v[14:15], off
.LBB1223_252:
	s_or_b64 exec, exec, s[0:1]
	v_cmp_gt_u32_e32 vcc, s8, v22
	s_or_b64 s[10:11], s[34:35], vcc
	s_and_saveexec_b64 s[0:1], s[10:11]
	s_cbranch_execz .LBB1223_255
; %bb.253:
	v_and_b32_e32 v19, 1, v1
	v_cmp_eq_u32_e32 vcc, 1, v19
	s_and_b64 exec, exec, vcc
	s_cbranch_execz .LBB1223_255
; %bb.254:
	s_lshl_b64 s[10:11], s[22:23], 3
	s_waitcnt lgkmcnt(0)
	s_add_u32 s9, s4, s10
	v_mov_b32_e32 v23, 0
	s_addc_u32 s10, s5, s11
	v_lshlrev_b64 v[26:27], 3, v[22:23]
	v_mov_b32_e32 v19, s10
	v_add_co_u32_e32 v26, vcc, s9, v26
	v_addc_co_u32_e32 v27, vcc, v19, v27, vcc
	global_store_dwordx2 v[26:27], v[16:17], off
.LBB1223_255:
	s_or_b64 exec, exec, s[0:1]
	v_cmp_gt_u32_e32 vcc, s8, v20
	s_or_b64 s[10:11], s[34:35], vcc
	s_and_saveexec_b64 s[0:1], s[10:11]
	s_cbranch_execz .LBB1223_258
; %bb.256:
	v_mov_b32_e32 v19, 1
	v_and_b32_sdwa v19, v19, v28 dst_sel:DWORD dst_unused:UNUSED_PAD src0_sel:DWORD src1_sel:WORD_1
	v_cmp_eq_u32_e32 vcc, 1, v19
	s_and_b64 exec, exec, vcc
	s_cbranch_execz .LBB1223_258
; %bb.257:
	s_lshl_b64 s[10:11], s[22:23], 3
	s_waitcnt lgkmcnt(0)
	s_add_u32 s9, s4, s10
	v_mov_b32_e32 v21, 0
	s_addc_u32 s10, s5, s11
	v_lshlrev_b64 v[26:27], 3, v[20:21]
	v_mov_b32_e32 v19, s10
	v_add_co_u32_e32 v26, vcc, s9, v26
	v_addc_co_u32_e32 v27, vcc, v19, v27, vcc
	global_store_dwordx2 v[26:27], v[10:11], off
.LBB1223_258:
	s_or_b64 exec, exec, s[0:1]
	v_cmp_gt_u32_e32 vcc, s8, v18
	s_or_b64 s[8:9], s[34:35], vcc
	s_and_saveexec_b64 s[0:1], s[8:9]
	s_cbranch_execz .LBB1223_261
; %bb.259:
	v_and_b32_e32 v19, 1, v29
	v_cmp_eq_u32_e32 vcc, 1, v19
	s_and_b64 exec, exec, vcc
	s_cbranch_execz .LBB1223_261
; %bb.260:
	s_lshl_b64 s[8:9], s[22:23], 3
	s_waitcnt lgkmcnt(0)
	s_add_u32 s8, s4, s8
	v_mov_b32_e32 v19, 0
	s_addc_u32 s9, s5, s9
	v_lshlrev_b64 v[26:27], 3, v[18:19]
	v_mov_b32_e32 v19, s9
	v_add_co_u32_e32 v26, vcc, s8, v26
	v_addc_co_u32_e32 v27, vcc, v19, v27, vcc
	global_store_dwordx2 v[26:27], v[12:13], off
.LBB1223_261:
	s_or_b64 exec, exec, s[0:1]
	s_mov_b64 s[0:1], 0
.LBB1223_262:
	v_and_b32_e32 v26, 1, v28
	s_and_b64 vcc, exec, s[0:1]
	v_cmp_eq_u32_e64 s[0:1], 1, v26
	s_cbranch_vccz .LBB1223_275
; %bb.263:
	s_and_saveexec_b64 s[8:9], s[0:1]
	s_cbranch_execz .LBB1223_265
; %bb.264:
	v_subrev_u32_e32 v19, s16, v24
	v_lshlrev_b32_e32 v19, 3, v19
	ds_write_b64 v19, v[14:15]
.LBB1223_265:
	s_or_b64 exec, exec, s[8:9]
	v_and_b32_e32 v14, 1, v1
	v_cmp_eq_u32_e32 vcc, 1, v14
	s_and_saveexec_b64 s[0:1], vcc
	s_cbranch_execz .LBB1223_267
; %bb.266:
	v_subrev_u32_e32 v14, s16, v22
	v_lshlrev_b32_e32 v14, 3, v14
	ds_write_b64 v14, v[16:17]
.LBB1223_267:
	s_or_b64 exec, exec, s[0:1]
	v_mov_b32_e32 v14, 1
	v_and_b32_sdwa v14, v14, v28 dst_sel:DWORD dst_unused:UNUSED_PAD src0_sel:DWORD src1_sel:WORD_1
	v_cmp_eq_u32_e32 vcc, 1, v14
	s_and_saveexec_b64 s[0:1], vcc
	s_cbranch_execz .LBB1223_269
; %bb.268:
	v_subrev_u32_e32 v14, s16, v20
	v_lshlrev_b32_e32 v14, 3, v14
	ds_write_b64 v14, v[10:11]
.LBB1223_269:
	s_or_b64 exec, exec, s[0:1]
	v_and_b32_e32 v10, 1, v29
	v_cmp_eq_u32_e32 vcc, 1, v10
	s_and_saveexec_b64 s[0:1], vcc
	s_cbranch_execz .LBB1223_271
; %bb.270:
	v_subrev_u32_e32 v10, s16, v18
	v_lshlrev_b32_e32 v10, 3, v10
	ds_write_b64 v10, v[12:13]
.LBB1223_271:
	s_or_b64 exec, exec, s[0:1]
	v_cmp_gt_u32_e32 vcc, s26, v0
	s_waitcnt lgkmcnt(0)
	s_barrier
	s_and_saveexec_b64 s[0:1], vcc
	s_cbranch_execz .LBB1223_274
; %bb.272:
	s_mov_b32 s17, 0
	s_lshl_b64 s[8:9], s[16:17], 3
	s_add_u32 s8, s4, s8
	s_addc_u32 s9, s5, s9
	s_lshl_b64 s[4:5], s[22:23], 3
	s_add_u32 s8, s8, s4
	s_addc_u32 s9, s9, s5
	v_lshlrev_b32_e32 v12, 3, v0
	s_mov_b64 s[4:5], 0
	v_mov_b32_e32 v11, 0
	v_mov_b32_e32 v13, s9
	;; [unrolled: 1-line block ×3, first 2 shown]
.LBB1223_273:                           ; =>This Inner Loop Header: Depth=1
	ds_read_b64 v[14:15], v12
	v_lshlrev_b64 v[16:17], 3, v[10:11]
	v_add_co_u32_e32 v16, vcc, s8, v16
	v_add_u32_e32 v10, 0x80, v10
	v_addc_co_u32_e32 v17, vcc, v13, v17, vcc
	v_cmp_le_u32_e32 vcc, s26, v10
	v_add_u32_e32 v12, 0x400, v12
	s_or_b64 s[4:5], vcc, s[4:5]
	s_waitcnt lgkmcnt(0)
	global_store_dwordx2 v[16:17], v[14:15], off
	s_andn2_b64 exec, exec, s[4:5]
	s_cbranch_execnz .LBB1223_273
.LBB1223_274:
	s_or_b64 exec, exec, s[0:1]
.LBB1223_275:
	s_mov_b64 s[0:1], -1
	s_and_b64 vcc, exec, s[2:3]
	s_waitcnt lgkmcnt(0)
	s_barrier
	s_cbranch_vccnz .LBB1223_279
; %bb.276:
	s_and_b64 vcc, exec, s[0:1]
	s_cbranch_vccnz .LBB1223_292
.LBB1223_277:
	v_cmp_eq_u32_e32 vcc, 0, v0
	s_and_b64 s[0:1], vcc, s[24:25]
	s_and_saveexec_b64 s[2:3], s[0:1]
	s_cbranch_execnz .LBB1223_304
.LBB1223_278:
	s_endpgm
.LBB1223_279:
	s_add_i32 s2, s16, s26
	v_cmp_gt_u32_e32 vcc, s2, v24
	s_or_b64 s[4:5], s[34:35], vcc
	s_and_saveexec_b64 s[0:1], s[4:5]
	s_cbranch_execz .LBB1223_282
; %bb.280:
	v_cmp_eq_u32_e32 vcc, 1, v26
	s_and_b64 exec, exec, vcc
	s_cbranch_execz .LBB1223_282
; %bb.281:
	s_lshl_b64 s[4:5], s[22:23], 3
	s_add_u32 s3, s6, s4
	v_mov_b32_e32 v25, 0
	s_addc_u32 s4, s7, s5
	v_lshlrev_b64 v[10:11], 3, v[24:25]
	v_mov_b32_e32 v12, s4
	v_add_co_u32_e32 v10, vcc, s3, v10
	v_addc_co_u32_e32 v11, vcc, v12, v11, vcc
	global_store_dwordx2 v[10:11], v[6:7], off
.LBB1223_282:
	s_or_b64 exec, exec, s[0:1]
	v_cmp_gt_u32_e32 vcc, s2, v22
	s_or_b64 s[4:5], s[34:35], vcc
	s_and_saveexec_b64 s[0:1], s[4:5]
	s_cbranch_execz .LBB1223_285
; %bb.283:
	v_and_b32_e32 v10, 1, v1
	v_cmp_eq_u32_e32 vcc, 1, v10
	s_and_b64 exec, exec, vcc
	s_cbranch_execz .LBB1223_285
; %bb.284:
	s_lshl_b64 s[4:5], s[22:23], 3
	s_add_u32 s3, s6, s4
	v_mov_b32_e32 v23, 0
	s_addc_u32 s4, s7, s5
	v_lshlrev_b64 v[10:11], 3, v[22:23]
	v_mov_b32_e32 v12, s4
	v_add_co_u32_e32 v10, vcc, s3, v10
	v_addc_co_u32_e32 v11, vcc, v12, v11, vcc
	global_store_dwordx2 v[10:11], v[8:9], off
.LBB1223_285:
	s_or_b64 exec, exec, s[0:1]
	v_cmp_gt_u32_e32 vcc, s2, v20
	s_or_b64 s[4:5], s[34:35], vcc
	s_and_saveexec_b64 s[0:1], s[4:5]
	s_cbranch_execz .LBB1223_288
; %bb.286:
	v_mov_b32_e32 v10, 1
	v_and_b32_sdwa v10, v10, v28 dst_sel:DWORD dst_unused:UNUSED_PAD src0_sel:DWORD src1_sel:WORD_1
	v_cmp_eq_u32_e32 vcc, 1, v10
	s_and_b64 exec, exec, vcc
	s_cbranch_execz .LBB1223_288
; %bb.287:
	s_lshl_b64 s[4:5], s[22:23], 3
	s_add_u32 s3, s6, s4
	v_mov_b32_e32 v21, 0
	s_addc_u32 s4, s7, s5
	v_lshlrev_b64 v[10:11], 3, v[20:21]
	v_mov_b32_e32 v12, s4
	v_add_co_u32_e32 v10, vcc, s3, v10
	v_addc_co_u32_e32 v11, vcc, v12, v11, vcc
	global_store_dwordx2 v[10:11], v[2:3], off
.LBB1223_288:
	s_or_b64 exec, exec, s[0:1]
	v_cmp_gt_u32_e32 vcc, s2, v18
	s_or_b64 s[2:3], s[34:35], vcc
	s_and_saveexec_b64 s[0:1], s[2:3]
	s_cbranch_execz .LBB1223_291
; %bb.289:
	v_and_b32_e32 v10, 1, v29
	v_cmp_eq_u32_e32 vcc, 1, v10
	s_and_b64 exec, exec, vcc
	s_cbranch_execz .LBB1223_291
; %bb.290:
	s_lshl_b64 s[2:3], s[22:23], 3
	s_add_u32 s2, s6, s2
	v_mov_b32_e32 v19, 0
	s_addc_u32 s3, s7, s3
	v_lshlrev_b64 v[10:11], 3, v[18:19]
	v_mov_b32_e32 v12, s3
	v_add_co_u32_e32 v10, vcc, s2, v10
	v_addc_co_u32_e32 v11, vcc, v12, v11, vcc
	global_store_dwordx2 v[10:11], v[4:5], off
.LBB1223_291:
	s_or_b64 exec, exec, s[0:1]
	s_branch .LBB1223_277
.LBB1223_292:
	v_cmp_eq_u32_e32 vcc, 1, v26
	s_and_saveexec_b64 s[0:1], vcc
	s_cbranch_execz .LBB1223_294
; %bb.293:
	v_subrev_u32_e32 v10, s16, v24
	v_lshlrev_b32_e32 v10, 3, v10
	ds_write_b64 v10, v[6:7]
.LBB1223_294:
	s_or_b64 exec, exec, s[0:1]
	v_and_b32_e32 v1, 1, v1
	v_cmp_eq_u32_e32 vcc, 1, v1
	s_and_saveexec_b64 s[0:1], vcc
	s_cbranch_execz .LBB1223_296
; %bb.295:
	v_subrev_u32_e32 v1, s16, v22
	v_lshlrev_b32_e32 v1, 3, v1
	ds_write_b64 v1, v[8:9]
.LBB1223_296:
	s_or_b64 exec, exec, s[0:1]
	v_mov_b32_e32 v1, 1
	v_and_b32_sdwa v1, v1, v28 dst_sel:DWORD dst_unused:UNUSED_PAD src0_sel:DWORD src1_sel:WORD_1
	v_cmp_eq_u32_e32 vcc, 1, v1
	s_and_saveexec_b64 s[0:1], vcc
	s_cbranch_execz .LBB1223_298
; %bb.297:
	v_subrev_u32_e32 v1, s16, v20
	v_lshlrev_b32_e32 v1, 3, v1
	ds_write_b64 v1, v[2:3]
.LBB1223_298:
	s_or_b64 exec, exec, s[0:1]
	v_and_b32_e32 v1, 1, v29
	v_cmp_eq_u32_e32 vcc, 1, v1
	s_and_saveexec_b64 s[0:1], vcc
	s_cbranch_execz .LBB1223_300
; %bb.299:
	v_subrev_u32_e32 v1, s16, v18
	v_lshlrev_b32_e32 v1, 3, v1
	ds_write_b64 v1, v[4:5]
.LBB1223_300:
	s_or_b64 exec, exec, s[0:1]
	v_cmp_gt_u32_e32 vcc, s26, v0
	s_waitcnt lgkmcnt(0)
	s_barrier
	s_and_saveexec_b64 s[0:1], vcc
	s_cbranch_execz .LBB1223_303
; %bb.301:
	s_mov_b32 s17, 0
	s_lshl_b64 s[2:3], s[16:17], 3
	s_add_u32 s4, s6, s2
	s_addc_u32 s5, s7, s3
	s_lshl_b64 s[2:3], s[22:23], 3
	s_add_u32 s4, s4, s2
	s_addc_u32 s5, s5, s3
	v_lshlrev_b32_e32 v1, 3, v0
	s_mov_b64 s[2:3], 0
	v_mov_b32_e32 v3, 0
	v_mov_b32_e32 v4, s5
	;; [unrolled: 1-line block ×3, first 2 shown]
.LBB1223_302:                           ; =>This Inner Loop Header: Depth=1
	ds_read_b64 v[6:7], v1
	v_lshlrev_b64 v[8:9], 3, v[2:3]
	v_add_co_u32_e32 v8, vcc, s4, v8
	v_add_u32_e32 v2, 0x80, v2
	v_addc_co_u32_e32 v9, vcc, v4, v9, vcc
	v_cmp_le_u32_e32 vcc, s26, v2
	v_add_u32_e32 v1, 0x400, v1
	s_or_b64 s[2:3], vcc, s[2:3]
	s_waitcnt lgkmcnt(0)
	global_store_dwordx2 v[8:9], v[6:7], off
	s_andn2_b64 exec, exec, s[2:3]
	s_cbranch_execnz .LBB1223_302
.LBB1223_303:
	s_or_b64 exec, exec, s[0:1]
	v_cmp_eq_u32_e32 vcc, 0, v0
	s_and_b64 s[0:1], vcc, s[24:25]
	s_and_saveexec_b64 s[2:3], s[0:1]
	s_cbranch_execz .LBB1223_278
.LBB1223_304:
	s_add_u32 s0, s22, s26
	s_addc_u32 s1, s23, 0
	s_add_u32 s0, s0, s16
	s_addc_u32 s1, s1, 0
	v_mov_b32_e32 v2, 0
	v_pk_mov_b32 v[0:1], s[0:1], s[0:1] op_sel:[0,1]
	global_store_dwordx2 v2, v[0:1], s[20:21]
	s_endpgm
	.section	.rodata,"a",@progbits
	.p2align	6, 0x0
	.amdhsa_kernel _ZN7rocprim17ROCPRIM_400000_NS6detail17trampoline_kernelINS0_14default_configENS1_25partition_config_selectorILNS1_17partition_subalgoE9EllbEEZZNS1_14partition_implILS5_9ELb0ES3_jPlS8_PNS0_10empty_typeENS0_5tupleIJS8_S9_EEENSB_IJS8_SA_EEENS0_18inequality_wrapperIZN2at6native12_GLOBAL__N_124unique_dim_cuda_templateIN3c108BFloat16EEESt5tupleIJNSF_6TensorESM_SM_EERKSM_lbbbEUlllE0_EEPmJS9_EEE10hipError_tPvRmT3_T4_T5_T6_T7_T9_mT8_P12ihipStream_tbDpT10_ENKUlT_T0_E_clISt17integral_constantIbLb1EES1B_IbLb0EEEEDaS17_S18_EUlS17_E_NS1_11comp_targetILNS1_3genE4ELNS1_11target_archE910ELNS1_3gpuE8ELNS1_3repE0EEENS1_30default_config_static_selectorELNS0_4arch9wavefront6targetE1EEEvT1_
		.amdhsa_group_segment_fixed_size 4236
		.amdhsa_private_segment_fixed_size 0
		.amdhsa_kernarg_size 120
		.amdhsa_user_sgpr_count 6
		.amdhsa_user_sgpr_private_segment_buffer 1
		.amdhsa_user_sgpr_dispatch_ptr 0
		.amdhsa_user_sgpr_queue_ptr 0
		.amdhsa_user_sgpr_kernarg_segment_ptr 1
		.amdhsa_user_sgpr_dispatch_id 0
		.amdhsa_user_sgpr_flat_scratch_init 0
		.amdhsa_user_sgpr_kernarg_preload_length 0
		.amdhsa_user_sgpr_kernarg_preload_offset 0
		.amdhsa_user_sgpr_private_segment_size 0
		.amdhsa_uses_dynamic_stack 0
		.amdhsa_system_sgpr_private_segment_wavefront_offset 0
		.amdhsa_system_sgpr_workgroup_id_x 1
		.amdhsa_system_sgpr_workgroup_id_y 0
		.amdhsa_system_sgpr_workgroup_id_z 0
		.amdhsa_system_sgpr_workgroup_info 0
		.amdhsa_system_vgpr_workitem_id 0
		.amdhsa_next_free_vgpr 50
		.amdhsa_next_free_sgpr 46
		.amdhsa_accum_offset 52
		.amdhsa_reserve_vcc 1
		.amdhsa_reserve_flat_scratch 0
		.amdhsa_float_round_mode_32 0
		.amdhsa_float_round_mode_16_64 0
		.amdhsa_float_denorm_mode_32 3
		.amdhsa_float_denorm_mode_16_64 3
		.amdhsa_dx10_clamp 1
		.amdhsa_ieee_mode 1
		.amdhsa_fp16_overflow 0
		.amdhsa_tg_split 0
		.amdhsa_exception_fp_ieee_invalid_op 0
		.amdhsa_exception_fp_denorm_src 0
		.amdhsa_exception_fp_ieee_div_zero 0
		.amdhsa_exception_fp_ieee_overflow 0
		.amdhsa_exception_fp_ieee_underflow 0
		.amdhsa_exception_fp_ieee_inexact 0
		.amdhsa_exception_int_div_zero 0
	.end_amdhsa_kernel
	.section	.text._ZN7rocprim17ROCPRIM_400000_NS6detail17trampoline_kernelINS0_14default_configENS1_25partition_config_selectorILNS1_17partition_subalgoE9EllbEEZZNS1_14partition_implILS5_9ELb0ES3_jPlS8_PNS0_10empty_typeENS0_5tupleIJS8_S9_EEENSB_IJS8_SA_EEENS0_18inequality_wrapperIZN2at6native12_GLOBAL__N_124unique_dim_cuda_templateIN3c108BFloat16EEESt5tupleIJNSF_6TensorESM_SM_EERKSM_lbbbEUlllE0_EEPmJS9_EEE10hipError_tPvRmT3_T4_T5_T6_T7_T9_mT8_P12ihipStream_tbDpT10_ENKUlT_T0_E_clISt17integral_constantIbLb1EES1B_IbLb0EEEEDaS17_S18_EUlS17_E_NS1_11comp_targetILNS1_3genE4ELNS1_11target_archE910ELNS1_3gpuE8ELNS1_3repE0EEENS1_30default_config_static_selectorELNS0_4arch9wavefront6targetE1EEEvT1_,"axG",@progbits,_ZN7rocprim17ROCPRIM_400000_NS6detail17trampoline_kernelINS0_14default_configENS1_25partition_config_selectorILNS1_17partition_subalgoE9EllbEEZZNS1_14partition_implILS5_9ELb0ES3_jPlS8_PNS0_10empty_typeENS0_5tupleIJS8_S9_EEENSB_IJS8_SA_EEENS0_18inequality_wrapperIZN2at6native12_GLOBAL__N_124unique_dim_cuda_templateIN3c108BFloat16EEESt5tupleIJNSF_6TensorESM_SM_EERKSM_lbbbEUlllE0_EEPmJS9_EEE10hipError_tPvRmT3_T4_T5_T6_T7_T9_mT8_P12ihipStream_tbDpT10_ENKUlT_T0_E_clISt17integral_constantIbLb1EES1B_IbLb0EEEEDaS17_S18_EUlS17_E_NS1_11comp_targetILNS1_3genE4ELNS1_11target_archE910ELNS1_3gpuE8ELNS1_3repE0EEENS1_30default_config_static_selectorELNS0_4arch9wavefront6targetE1EEEvT1_,comdat
.Lfunc_end1223:
	.size	_ZN7rocprim17ROCPRIM_400000_NS6detail17trampoline_kernelINS0_14default_configENS1_25partition_config_selectorILNS1_17partition_subalgoE9EllbEEZZNS1_14partition_implILS5_9ELb0ES3_jPlS8_PNS0_10empty_typeENS0_5tupleIJS8_S9_EEENSB_IJS8_SA_EEENS0_18inequality_wrapperIZN2at6native12_GLOBAL__N_124unique_dim_cuda_templateIN3c108BFloat16EEESt5tupleIJNSF_6TensorESM_SM_EERKSM_lbbbEUlllE0_EEPmJS9_EEE10hipError_tPvRmT3_T4_T5_T6_T7_T9_mT8_P12ihipStream_tbDpT10_ENKUlT_T0_E_clISt17integral_constantIbLb1EES1B_IbLb0EEEEDaS17_S18_EUlS17_E_NS1_11comp_targetILNS1_3genE4ELNS1_11target_archE910ELNS1_3gpuE8ELNS1_3repE0EEENS1_30default_config_static_selectorELNS0_4arch9wavefront6targetE1EEEvT1_, .Lfunc_end1223-_ZN7rocprim17ROCPRIM_400000_NS6detail17trampoline_kernelINS0_14default_configENS1_25partition_config_selectorILNS1_17partition_subalgoE9EllbEEZZNS1_14partition_implILS5_9ELb0ES3_jPlS8_PNS0_10empty_typeENS0_5tupleIJS8_S9_EEENSB_IJS8_SA_EEENS0_18inequality_wrapperIZN2at6native12_GLOBAL__N_124unique_dim_cuda_templateIN3c108BFloat16EEESt5tupleIJNSF_6TensorESM_SM_EERKSM_lbbbEUlllE0_EEPmJS9_EEE10hipError_tPvRmT3_T4_T5_T6_T7_T9_mT8_P12ihipStream_tbDpT10_ENKUlT_T0_E_clISt17integral_constantIbLb1EES1B_IbLb0EEEEDaS17_S18_EUlS17_E_NS1_11comp_targetILNS1_3genE4ELNS1_11target_archE910ELNS1_3gpuE8ELNS1_3repE0EEENS1_30default_config_static_selectorELNS0_4arch9wavefront6targetE1EEEvT1_
                                        ; -- End function
	.section	.AMDGPU.csdata,"",@progbits
; Kernel info:
; codeLenInByte = 11260
; NumSgprs: 50
; NumVgprs: 50
; NumAgprs: 0
; TotalNumVgprs: 50
; ScratchSize: 0
; MemoryBound: 0
; FloatMode: 240
; IeeeMode: 1
; LDSByteSize: 4236 bytes/workgroup (compile time only)
; SGPRBlocks: 6
; VGPRBlocks: 6
; NumSGPRsForWavesPerEU: 50
; NumVGPRsForWavesPerEU: 50
; AccumOffset: 52
; Occupancy: 8
; WaveLimiterHint : 1
; COMPUTE_PGM_RSRC2:SCRATCH_EN: 0
; COMPUTE_PGM_RSRC2:USER_SGPR: 6
; COMPUTE_PGM_RSRC2:TRAP_HANDLER: 0
; COMPUTE_PGM_RSRC2:TGID_X_EN: 1
; COMPUTE_PGM_RSRC2:TGID_Y_EN: 0
; COMPUTE_PGM_RSRC2:TGID_Z_EN: 0
; COMPUTE_PGM_RSRC2:TIDIG_COMP_CNT: 0
; COMPUTE_PGM_RSRC3_GFX90A:ACCUM_OFFSET: 12
; COMPUTE_PGM_RSRC3_GFX90A:TG_SPLIT: 0
	.section	.text._ZN7rocprim17ROCPRIM_400000_NS6detail17trampoline_kernelINS0_14default_configENS1_25partition_config_selectorILNS1_17partition_subalgoE9EllbEEZZNS1_14partition_implILS5_9ELb0ES3_jPlS8_PNS0_10empty_typeENS0_5tupleIJS8_S9_EEENSB_IJS8_SA_EEENS0_18inequality_wrapperIZN2at6native12_GLOBAL__N_124unique_dim_cuda_templateIN3c108BFloat16EEESt5tupleIJNSF_6TensorESM_SM_EERKSM_lbbbEUlllE0_EEPmJS9_EEE10hipError_tPvRmT3_T4_T5_T6_T7_T9_mT8_P12ihipStream_tbDpT10_ENKUlT_T0_E_clISt17integral_constantIbLb1EES1B_IbLb0EEEEDaS17_S18_EUlS17_E_NS1_11comp_targetILNS1_3genE3ELNS1_11target_archE908ELNS1_3gpuE7ELNS1_3repE0EEENS1_30default_config_static_selectorELNS0_4arch9wavefront6targetE1EEEvT1_,"axG",@progbits,_ZN7rocprim17ROCPRIM_400000_NS6detail17trampoline_kernelINS0_14default_configENS1_25partition_config_selectorILNS1_17partition_subalgoE9EllbEEZZNS1_14partition_implILS5_9ELb0ES3_jPlS8_PNS0_10empty_typeENS0_5tupleIJS8_S9_EEENSB_IJS8_SA_EEENS0_18inequality_wrapperIZN2at6native12_GLOBAL__N_124unique_dim_cuda_templateIN3c108BFloat16EEESt5tupleIJNSF_6TensorESM_SM_EERKSM_lbbbEUlllE0_EEPmJS9_EEE10hipError_tPvRmT3_T4_T5_T6_T7_T9_mT8_P12ihipStream_tbDpT10_ENKUlT_T0_E_clISt17integral_constantIbLb1EES1B_IbLb0EEEEDaS17_S18_EUlS17_E_NS1_11comp_targetILNS1_3genE3ELNS1_11target_archE908ELNS1_3gpuE7ELNS1_3repE0EEENS1_30default_config_static_selectorELNS0_4arch9wavefront6targetE1EEEvT1_,comdat
	.globl	_ZN7rocprim17ROCPRIM_400000_NS6detail17trampoline_kernelINS0_14default_configENS1_25partition_config_selectorILNS1_17partition_subalgoE9EllbEEZZNS1_14partition_implILS5_9ELb0ES3_jPlS8_PNS0_10empty_typeENS0_5tupleIJS8_S9_EEENSB_IJS8_SA_EEENS0_18inequality_wrapperIZN2at6native12_GLOBAL__N_124unique_dim_cuda_templateIN3c108BFloat16EEESt5tupleIJNSF_6TensorESM_SM_EERKSM_lbbbEUlllE0_EEPmJS9_EEE10hipError_tPvRmT3_T4_T5_T6_T7_T9_mT8_P12ihipStream_tbDpT10_ENKUlT_T0_E_clISt17integral_constantIbLb1EES1B_IbLb0EEEEDaS17_S18_EUlS17_E_NS1_11comp_targetILNS1_3genE3ELNS1_11target_archE908ELNS1_3gpuE7ELNS1_3repE0EEENS1_30default_config_static_selectorELNS0_4arch9wavefront6targetE1EEEvT1_ ; -- Begin function _ZN7rocprim17ROCPRIM_400000_NS6detail17trampoline_kernelINS0_14default_configENS1_25partition_config_selectorILNS1_17partition_subalgoE9EllbEEZZNS1_14partition_implILS5_9ELb0ES3_jPlS8_PNS0_10empty_typeENS0_5tupleIJS8_S9_EEENSB_IJS8_SA_EEENS0_18inequality_wrapperIZN2at6native12_GLOBAL__N_124unique_dim_cuda_templateIN3c108BFloat16EEESt5tupleIJNSF_6TensorESM_SM_EERKSM_lbbbEUlllE0_EEPmJS9_EEE10hipError_tPvRmT3_T4_T5_T6_T7_T9_mT8_P12ihipStream_tbDpT10_ENKUlT_T0_E_clISt17integral_constantIbLb1EES1B_IbLb0EEEEDaS17_S18_EUlS17_E_NS1_11comp_targetILNS1_3genE3ELNS1_11target_archE908ELNS1_3gpuE7ELNS1_3repE0EEENS1_30default_config_static_selectorELNS0_4arch9wavefront6targetE1EEEvT1_
	.p2align	8
	.type	_ZN7rocprim17ROCPRIM_400000_NS6detail17trampoline_kernelINS0_14default_configENS1_25partition_config_selectorILNS1_17partition_subalgoE9EllbEEZZNS1_14partition_implILS5_9ELb0ES3_jPlS8_PNS0_10empty_typeENS0_5tupleIJS8_S9_EEENSB_IJS8_SA_EEENS0_18inequality_wrapperIZN2at6native12_GLOBAL__N_124unique_dim_cuda_templateIN3c108BFloat16EEESt5tupleIJNSF_6TensorESM_SM_EERKSM_lbbbEUlllE0_EEPmJS9_EEE10hipError_tPvRmT3_T4_T5_T6_T7_T9_mT8_P12ihipStream_tbDpT10_ENKUlT_T0_E_clISt17integral_constantIbLb1EES1B_IbLb0EEEEDaS17_S18_EUlS17_E_NS1_11comp_targetILNS1_3genE3ELNS1_11target_archE908ELNS1_3gpuE7ELNS1_3repE0EEENS1_30default_config_static_selectorELNS0_4arch9wavefront6targetE1EEEvT1_,@function
_ZN7rocprim17ROCPRIM_400000_NS6detail17trampoline_kernelINS0_14default_configENS1_25partition_config_selectorILNS1_17partition_subalgoE9EllbEEZZNS1_14partition_implILS5_9ELb0ES3_jPlS8_PNS0_10empty_typeENS0_5tupleIJS8_S9_EEENSB_IJS8_SA_EEENS0_18inequality_wrapperIZN2at6native12_GLOBAL__N_124unique_dim_cuda_templateIN3c108BFloat16EEESt5tupleIJNSF_6TensorESM_SM_EERKSM_lbbbEUlllE0_EEPmJS9_EEE10hipError_tPvRmT3_T4_T5_T6_T7_T9_mT8_P12ihipStream_tbDpT10_ENKUlT_T0_E_clISt17integral_constantIbLb1EES1B_IbLb0EEEEDaS17_S18_EUlS17_E_NS1_11comp_targetILNS1_3genE3ELNS1_11target_archE908ELNS1_3gpuE7ELNS1_3repE0EEENS1_30default_config_static_selectorELNS0_4arch9wavefront6targetE1EEEvT1_: ; @_ZN7rocprim17ROCPRIM_400000_NS6detail17trampoline_kernelINS0_14default_configENS1_25partition_config_selectorILNS1_17partition_subalgoE9EllbEEZZNS1_14partition_implILS5_9ELb0ES3_jPlS8_PNS0_10empty_typeENS0_5tupleIJS8_S9_EEENSB_IJS8_SA_EEENS0_18inequality_wrapperIZN2at6native12_GLOBAL__N_124unique_dim_cuda_templateIN3c108BFloat16EEESt5tupleIJNSF_6TensorESM_SM_EERKSM_lbbbEUlllE0_EEPmJS9_EEE10hipError_tPvRmT3_T4_T5_T6_T7_T9_mT8_P12ihipStream_tbDpT10_ENKUlT_T0_E_clISt17integral_constantIbLb1EES1B_IbLb0EEEEDaS17_S18_EUlS17_E_NS1_11comp_targetILNS1_3genE3ELNS1_11target_archE908ELNS1_3gpuE7ELNS1_3repE0EEENS1_30default_config_static_selectorELNS0_4arch9wavefront6targetE1EEEvT1_
; %bb.0:
	.section	.rodata,"a",@progbits
	.p2align	6, 0x0
	.amdhsa_kernel _ZN7rocprim17ROCPRIM_400000_NS6detail17trampoline_kernelINS0_14default_configENS1_25partition_config_selectorILNS1_17partition_subalgoE9EllbEEZZNS1_14partition_implILS5_9ELb0ES3_jPlS8_PNS0_10empty_typeENS0_5tupleIJS8_S9_EEENSB_IJS8_SA_EEENS0_18inequality_wrapperIZN2at6native12_GLOBAL__N_124unique_dim_cuda_templateIN3c108BFloat16EEESt5tupleIJNSF_6TensorESM_SM_EERKSM_lbbbEUlllE0_EEPmJS9_EEE10hipError_tPvRmT3_T4_T5_T6_T7_T9_mT8_P12ihipStream_tbDpT10_ENKUlT_T0_E_clISt17integral_constantIbLb1EES1B_IbLb0EEEEDaS17_S18_EUlS17_E_NS1_11comp_targetILNS1_3genE3ELNS1_11target_archE908ELNS1_3gpuE7ELNS1_3repE0EEENS1_30default_config_static_selectorELNS0_4arch9wavefront6targetE1EEEvT1_
		.amdhsa_group_segment_fixed_size 0
		.amdhsa_private_segment_fixed_size 0
		.amdhsa_kernarg_size 120
		.amdhsa_user_sgpr_count 6
		.amdhsa_user_sgpr_private_segment_buffer 1
		.amdhsa_user_sgpr_dispatch_ptr 0
		.amdhsa_user_sgpr_queue_ptr 0
		.amdhsa_user_sgpr_kernarg_segment_ptr 1
		.amdhsa_user_sgpr_dispatch_id 0
		.amdhsa_user_sgpr_flat_scratch_init 0
		.amdhsa_user_sgpr_kernarg_preload_length 0
		.amdhsa_user_sgpr_kernarg_preload_offset 0
		.amdhsa_user_sgpr_private_segment_size 0
		.amdhsa_uses_dynamic_stack 0
		.amdhsa_system_sgpr_private_segment_wavefront_offset 0
		.amdhsa_system_sgpr_workgroup_id_x 1
		.amdhsa_system_sgpr_workgroup_id_y 0
		.amdhsa_system_sgpr_workgroup_id_z 0
		.amdhsa_system_sgpr_workgroup_info 0
		.amdhsa_system_vgpr_workitem_id 0
		.amdhsa_next_free_vgpr 1
		.amdhsa_next_free_sgpr 0
		.amdhsa_accum_offset 4
		.amdhsa_reserve_vcc 0
		.amdhsa_reserve_flat_scratch 0
		.amdhsa_float_round_mode_32 0
		.amdhsa_float_round_mode_16_64 0
		.amdhsa_float_denorm_mode_32 3
		.amdhsa_float_denorm_mode_16_64 3
		.amdhsa_dx10_clamp 1
		.amdhsa_ieee_mode 1
		.amdhsa_fp16_overflow 0
		.amdhsa_tg_split 0
		.amdhsa_exception_fp_ieee_invalid_op 0
		.amdhsa_exception_fp_denorm_src 0
		.amdhsa_exception_fp_ieee_div_zero 0
		.amdhsa_exception_fp_ieee_overflow 0
		.amdhsa_exception_fp_ieee_underflow 0
		.amdhsa_exception_fp_ieee_inexact 0
		.amdhsa_exception_int_div_zero 0
	.end_amdhsa_kernel
	.section	.text._ZN7rocprim17ROCPRIM_400000_NS6detail17trampoline_kernelINS0_14default_configENS1_25partition_config_selectorILNS1_17partition_subalgoE9EllbEEZZNS1_14partition_implILS5_9ELb0ES3_jPlS8_PNS0_10empty_typeENS0_5tupleIJS8_S9_EEENSB_IJS8_SA_EEENS0_18inequality_wrapperIZN2at6native12_GLOBAL__N_124unique_dim_cuda_templateIN3c108BFloat16EEESt5tupleIJNSF_6TensorESM_SM_EERKSM_lbbbEUlllE0_EEPmJS9_EEE10hipError_tPvRmT3_T4_T5_T6_T7_T9_mT8_P12ihipStream_tbDpT10_ENKUlT_T0_E_clISt17integral_constantIbLb1EES1B_IbLb0EEEEDaS17_S18_EUlS17_E_NS1_11comp_targetILNS1_3genE3ELNS1_11target_archE908ELNS1_3gpuE7ELNS1_3repE0EEENS1_30default_config_static_selectorELNS0_4arch9wavefront6targetE1EEEvT1_,"axG",@progbits,_ZN7rocprim17ROCPRIM_400000_NS6detail17trampoline_kernelINS0_14default_configENS1_25partition_config_selectorILNS1_17partition_subalgoE9EllbEEZZNS1_14partition_implILS5_9ELb0ES3_jPlS8_PNS0_10empty_typeENS0_5tupleIJS8_S9_EEENSB_IJS8_SA_EEENS0_18inequality_wrapperIZN2at6native12_GLOBAL__N_124unique_dim_cuda_templateIN3c108BFloat16EEESt5tupleIJNSF_6TensorESM_SM_EERKSM_lbbbEUlllE0_EEPmJS9_EEE10hipError_tPvRmT3_T4_T5_T6_T7_T9_mT8_P12ihipStream_tbDpT10_ENKUlT_T0_E_clISt17integral_constantIbLb1EES1B_IbLb0EEEEDaS17_S18_EUlS17_E_NS1_11comp_targetILNS1_3genE3ELNS1_11target_archE908ELNS1_3gpuE7ELNS1_3repE0EEENS1_30default_config_static_selectorELNS0_4arch9wavefront6targetE1EEEvT1_,comdat
.Lfunc_end1224:
	.size	_ZN7rocprim17ROCPRIM_400000_NS6detail17trampoline_kernelINS0_14default_configENS1_25partition_config_selectorILNS1_17partition_subalgoE9EllbEEZZNS1_14partition_implILS5_9ELb0ES3_jPlS8_PNS0_10empty_typeENS0_5tupleIJS8_S9_EEENSB_IJS8_SA_EEENS0_18inequality_wrapperIZN2at6native12_GLOBAL__N_124unique_dim_cuda_templateIN3c108BFloat16EEESt5tupleIJNSF_6TensorESM_SM_EERKSM_lbbbEUlllE0_EEPmJS9_EEE10hipError_tPvRmT3_T4_T5_T6_T7_T9_mT8_P12ihipStream_tbDpT10_ENKUlT_T0_E_clISt17integral_constantIbLb1EES1B_IbLb0EEEEDaS17_S18_EUlS17_E_NS1_11comp_targetILNS1_3genE3ELNS1_11target_archE908ELNS1_3gpuE7ELNS1_3repE0EEENS1_30default_config_static_selectorELNS0_4arch9wavefront6targetE1EEEvT1_, .Lfunc_end1224-_ZN7rocprim17ROCPRIM_400000_NS6detail17trampoline_kernelINS0_14default_configENS1_25partition_config_selectorILNS1_17partition_subalgoE9EllbEEZZNS1_14partition_implILS5_9ELb0ES3_jPlS8_PNS0_10empty_typeENS0_5tupleIJS8_S9_EEENSB_IJS8_SA_EEENS0_18inequality_wrapperIZN2at6native12_GLOBAL__N_124unique_dim_cuda_templateIN3c108BFloat16EEESt5tupleIJNSF_6TensorESM_SM_EERKSM_lbbbEUlllE0_EEPmJS9_EEE10hipError_tPvRmT3_T4_T5_T6_T7_T9_mT8_P12ihipStream_tbDpT10_ENKUlT_T0_E_clISt17integral_constantIbLb1EES1B_IbLb0EEEEDaS17_S18_EUlS17_E_NS1_11comp_targetILNS1_3genE3ELNS1_11target_archE908ELNS1_3gpuE7ELNS1_3repE0EEENS1_30default_config_static_selectorELNS0_4arch9wavefront6targetE1EEEvT1_
                                        ; -- End function
	.section	.AMDGPU.csdata,"",@progbits
; Kernel info:
; codeLenInByte = 0
; NumSgprs: 4
; NumVgprs: 0
; NumAgprs: 0
; TotalNumVgprs: 0
; ScratchSize: 0
; MemoryBound: 0
; FloatMode: 240
; IeeeMode: 1
; LDSByteSize: 0 bytes/workgroup (compile time only)
; SGPRBlocks: 0
; VGPRBlocks: 0
; NumSGPRsForWavesPerEU: 4
; NumVGPRsForWavesPerEU: 1
; AccumOffset: 4
; Occupancy: 8
; WaveLimiterHint : 0
; COMPUTE_PGM_RSRC2:SCRATCH_EN: 0
; COMPUTE_PGM_RSRC2:USER_SGPR: 6
; COMPUTE_PGM_RSRC2:TRAP_HANDLER: 0
; COMPUTE_PGM_RSRC2:TGID_X_EN: 1
; COMPUTE_PGM_RSRC2:TGID_Y_EN: 0
; COMPUTE_PGM_RSRC2:TGID_Z_EN: 0
; COMPUTE_PGM_RSRC2:TIDIG_COMP_CNT: 0
; COMPUTE_PGM_RSRC3_GFX90A:ACCUM_OFFSET: 0
; COMPUTE_PGM_RSRC3_GFX90A:TG_SPLIT: 0
	.section	.text._ZN7rocprim17ROCPRIM_400000_NS6detail17trampoline_kernelINS0_14default_configENS1_25partition_config_selectorILNS1_17partition_subalgoE9EllbEEZZNS1_14partition_implILS5_9ELb0ES3_jPlS8_PNS0_10empty_typeENS0_5tupleIJS8_S9_EEENSB_IJS8_SA_EEENS0_18inequality_wrapperIZN2at6native12_GLOBAL__N_124unique_dim_cuda_templateIN3c108BFloat16EEESt5tupleIJNSF_6TensorESM_SM_EERKSM_lbbbEUlllE0_EEPmJS9_EEE10hipError_tPvRmT3_T4_T5_T6_T7_T9_mT8_P12ihipStream_tbDpT10_ENKUlT_T0_E_clISt17integral_constantIbLb1EES1B_IbLb0EEEEDaS17_S18_EUlS17_E_NS1_11comp_targetILNS1_3genE2ELNS1_11target_archE906ELNS1_3gpuE6ELNS1_3repE0EEENS1_30default_config_static_selectorELNS0_4arch9wavefront6targetE1EEEvT1_,"axG",@progbits,_ZN7rocprim17ROCPRIM_400000_NS6detail17trampoline_kernelINS0_14default_configENS1_25partition_config_selectorILNS1_17partition_subalgoE9EllbEEZZNS1_14partition_implILS5_9ELb0ES3_jPlS8_PNS0_10empty_typeENS0_5tupleIJS8_S9_EEENSB_IJS8_SA_EEENS0_18inequality_wrapperIZN2at6native12_GLOBAL__N_124unique_dim_cuda_templateIN3c108BFloat16EEESt5tupleIJNSF_6TensorESM_SM_EERKSM_lbbbEUlllE0_EEPmJS9_EEE10hipError_tPvRmT3_T4_T5_T6_T7_T9_mT8_P12ihipStream_tbDpT10_ENKUlT_T0_E_clISt17integral_constantIbLb1EES1B_IbLb0EEEEDaS17_S18_EUlS17_E_NS1_11comp_targetILNS1_3genE2ELNS1_11target_archE906ELNS1_3gpuE6ELNS1_3repE0EEENS1_30default_config_static_selectorELNS0_4arch9wavefront6targetE1EEEvT1_,comdat
	.globl	_ZN7rocprim17ROCPRIM_400000_NS6detail17trampoline_kernelINS0_14default_configENS1_25partition_config_selectorILNS1_17partition_subalgoE9EllbEEZZNS1_14partition_implILS5_9ELb0ES3_jPlS8_PNS0_10empty_typeENS0_5tupleIJS8_S9_EEENSB_IJS8_SA_EEENS0_18inequality_wrapperIZN2at6native12_GLOBAL__N_124unique_dim_cuda_templateIN3c108BFloat16EEESt5tupleIJNSF_6TensorESM_SM_EERKSM_lbbbEUlllE0_EEPmJS9_EEE10hipError_tPvRmT3_T4_T5_T6_T7_T9_mT8_P12ihipStream_tbDpT10_ENKUlT_T0_E_clISt17integral_constantIbLb1EES1B_IbLb0EEEEDaS17_S18_EUlS17_E_NS1_11comp_targetILNS1_3genE2ELNS1_11target_archE906ELNS1_3gpuE6ELNS1_3repE0EEENS1_30default_config_static_selectorELNS0_4arch9wavefront6targetE1EEEvT1_ ; -- Begin function _ZN7rocprim17ROCPRIM_400000_NS6detail17trampoline_kernelINS0_14default_configENS1_25partition_config_selectorILNS1_17partition_subalgoE9EllbEEZZNS1_14partition_implILS5_9ELb0ES3_jPlS8_PNS0_10empty_typeENS0_5tupleIJS8_S9_EEENSB_IJS8_SA_EEENS0_18inequality_wrapperIZN2at6native12_GLOBAL__N_124unique_dim_cuda_templateIN3c108BFloat16EEESt5tupleIJNSF_6TensorESM_SM_EERKSM_lbbbEUlllE0_EEPmJS9_EEE10hipError_tPvRmT3_T4_T5_T6_T7_T9_mT8_P12ihipStream_tbDpT10_ENKUlT_T0_E_clISt17integral_constantIbLb1EES1B_IbLb0EEEEDaS17_S18_EUlS17_E_NS1_11comp_targetILNS1_3genE2ELNS1_11target_archE906ELNS1_3gpuE6ELNS1_3repE0EEENS1_30default_config_static_selectorELNS0_4arch9wavefront6targetE1EEEvT1_
	.p2align	8
	.type	_ZN7rocprim17ROCPRIM_400000_NS6detail17trampoline_kernelINS0_14default_configENS1_25partition_config_selectorILNS1_17partition_subalgoE9EllbEEZZNS1_14partition_implILS5_9ELb0ES3_jPlS8_PNS0_10empty_typeENS0_5tupleIJS8_S9_EEENSB_IJS8_SA_EEENS0_18inequality_wrapperIZN2at6native12_GLOBAL__N_124unique_dim_cuda_templateIN3c108BFloat16EEESt5tupleIJNSF_6TensorESM_SM_EERKSM_lbbbEUlllE0_EEPmJS9_EEE10hipError_tPvRmT3_T4_T5_T6_T7_T9_mT8_P12ihipStream_tbDpT10_ENKUlT_T0_E_clISt17integral_constantIbLb1EES1B_IbLb0EEEEDaS17_S18_EUlS17_E_NS1_11comp_targetILNS1_3genE2ELNS1_11target_archE906ELNS1_3gpuE6ELNS1_3repE0EEENS1_30default_config_static_selectorELNS0_4arch9wavefront6targetE1EEEvT1_,@function
_ZN7rocprim17ROCPRIM_400000_NS6detail17trampoline_kernelINS0_14default_configENS1_25partition_config_selectorILNS1_17partition_subalgoE9EllbEEZZNS1_14partition_implILS5_9ELb0ES3_jPlS8_PNS0_10empty_typeENS0_5tupleIJS8_S9_EEENSB_IJS8_SA_EEENS0_18inequality_wrapperIZN2at6native12_GLOBAL__N_124unique_dim_cuda_templateIN3c108BFloat16EEESt5tupleIJNSF_6TensorESM_SM_EERKSM_lbbbEUlllE0_EEPmJS9_EEE10hipError_tPvRmT3_T4_T5_T6_T7_T9_mT8_P12ihipStream_tbDpT10_ENKUlT_T0_E_clISt17integral_constantIbLb1EES1B_IbLb0EEEEDaS17_S18_EUlS17_E_NS1_11comp_targetILNS1_3genE2ELNS1_11target_archE906ELNS1_3gpuE6ELNS1_3repE0EEENS1_30default_config_static_selectorELNS0_4arch9wavefront6targetE1EEEvT1_: ; @_ZN7rocprim17ROCPRIM_400000_NS6detail17trampoline_kernelINS0_14default_configENS1_25partition_config_selectorILNS1_17partition_subalgoE9EllbEEZZNS1_14partition_implILS5_9ELb0ES3_jPlS8_PNS0_10empty_typeENS0_5tupleIJS8_S9_EEENSB_IJS8_SA_EEENS0_18inequality_wrapperIZN2at6native12_GLOBAL__N_124unique_dim_cuda_templateIN3c108BFloat16EEESt5tupleIJNSF_6TensorESM_SM_EERKSM_lbbbEUlllE0_EEPmJS9_EEE10hipError_tPvRmT3_T4_T5_T6_T7_T9_mT8_P12ihipStream_tbDpT10_ENKUlT_T0_E_clISt17integral_constantIbLb1EES1B_IbLb0EEEEDaS17_S18_EUlS17_E_NS1_11comp_targetILNS1_3genE2ELNS1_11target_archE906ELNS1_3gpuE6ELNS1_3repE0EEENS1_30default_config_static_selectorELNS0_4arch9wavefront6targetE1EEEvT1_
; %bb.0:
	.section	.rodata,"a",@progbits
	.p2align	6, 0x0
	.amdhsa_kernel _ZN7rocprim17ROCPRIM_400000_NS6detail17trampoline_kernelINS0_14default_configENS1_25partition_config_selectorILNS1_17partition_subalgoE9EllbEEZZNS1_14partition_implILS5_9ELb0ES3_jPlS8_PNS0_10empty_typeENS0_5tupleIJS8_S9_EEENSB_IJS8_SA_EEENS0_18inequality_wrapperIZN2at6native12_GLOBAL__N_124unique_dim_cuda_templateIN3c108BFloat16EEESt5tupleIJNSF_6TensorESM_SM_EERKSM_lbbbEUlllE0_EEPmJS9_EEE10hipError_tPvRmT3_T4_T5_T6_T7_T9_mT8_P12ihipStream_tbDpT10_ENKUlT_T0_E_clISt17integral_constantIbLb1EES1B_IbLb0EEEEDaS17_S18_EUlS17_E_NS1_11comp_targetILNS1_3genE2ELNS1_11target_archE906ELNS1_3gpuE6ELNS1_3repE0EEENS1_30default_config_static_selectorELNS0_4arch9wavefront6targetE1EEEvT1_
		.amdhsa_group_segment_fixed_size 0
		.amdhsa_private_segment_fixed_size 0
		.amdhsa_kernarg_size 120
		.amdhsa_user_sgpr_count 6
		.amdhsa_user_sgpr_private_segment_buffer 1
		.amdhsa_user_sgpr_dispatch_ptr 0
		.amdhsa_user_sgpr_queue_ptr 0
		.amdhsa_user_sgpr_kernarg_segment_ptr 1
		.amdhsa_user_sgpr_dispatch_id 0
		.amdhsa_user_sgpr_flat_scratch_init 0
		.amdhsa_user_sgpr_kernarg_preload_length 0
		.amdhsa_user_sgpr_kernarg_preload_offset 0
		.amdhsa_user_sgpr_private_segment_size 0
		.amdhsa_uses_dynamic_stack 0
		.amdhsa_system_sgpr_private_segment_wavefront_offset 0
		.amdhsa_system_sgpr_workgroup_id_x 1
		.amdhsa_system_sgpr_workgroup_id_y 0
		.amdhsa_system_sgpr_workgroup_id_z 0
		.amdhsa_system_sgpr_workgroup_info 0
		.amdhsa_system_vgpr_workitem_id 0
		.amdhsa_next_free_vgpr 1
		.amdhsa_next_free_sgpr 0
		.amdhsa_accum_offset 4
		.amdhsa_reserve_vcc 0
		.amdhsa_reserve_flat_scratch 0
		.amdhsa_float_round_mode_32 0
		.amdhsa_float_round_mode_16_64 0
		.amdhsa_float_denorm_mode_32 3
		.amdhsa_float_denorm_mode_16_64 3
		.amdhsa_dx10_clamp 1
		.amdhsa_ieee_mode 1
		.amdhsa_fp16_overflow 0
		.amdhsa_tg_split 0
		.amdhsa_exception_fp_ieee_invalid_op 0
		.amdhsa_exception_fp_denorm_src 0
		.amdhsa_exception_fp_ieee_div_zero 0
		.amdhsa_exception_fp_ieee_overflow 0
		.amdhsa_exception_fp_ieee_underflow 0
		.amdhsa_exception_fp_ieee_inexact 0
		.amdhsa_exception_int_div_zero 0
	.end_amdhsa_kernel
	.section	.text._ZN7rocprim17ROCPRIM_400000_NS6detail17trampoline_kernelINS0_14default_configENS1_25partition_config_selectorILNS1_17partition_subalgoE9EllbEEZZNS1_14partition_implILS5_9ELb0ES3_jPlS8_PNS0_10empty_typeENS0_5tupleIJS8_S9_EEENSB_IJS8_SA_EEENS0_18inequality_wrapperIZN2at6native12_GLOBAL__N_124unique_dim_cuda_templateIN3c108BFloat16EEESt5tupleIJNSF_6TensorESM_SM_EERKSM_lbbbEUlllE0_EEPmJS9_EEE10hipError_tPvRmT3_T4_T5_T6_T7_T9_mT8_P12ihipStream_tbDpT10_ENKUlT_T0_E_clISt17integral_constantIbLb1EES1B_IbLb0EEEEDaS17_S18_EUlS17_E_NS1_11comp_targetILNS1_3genE2ELNS1_11target_archE906ELNS1_3gpuE6ELNS1_3repE0EEENS1_30default_config_static_selectorELNS0_4arch9wavefront6targetE1EEEvT1_,"axG",@progbits,_ZN7rocprim17ROCPRIM_400000_NS6detail17trampoline_kernelINS0_14default_configENS1_25partition_config_selectorILNS1_17partition_subalgoE9EllbEEZZNS1_14partition_implILS5_9ELb0ES3_jPlS8_PNS0_10empty_typeENS0_5tupleIJS8_S9_EEENSB_IJS8_SA_EEENS0_18inequality_wrapperIZN2at6native12_GLOBAL__N_124unique_dim_cuda_templateIN3c108BFloat16EEESt5tupleIJNSF_6TensorESM_SM_EERKSM_lbbbEUlllE0_EEPmJS9_EEE10hipError_tPvRmT3_T4_T5_T6_T7_T9_mT8_P12ihipStream_tbDpT10_ENKUlT_T0_E_clISt17integral_constantIbLb1EES1B_IbLb0EEEEDaS17_S18_EUlS17_E_NS1_11comp_targetILNS1_3genE2ELNS1_11target_archE906ELNS1_3gpuE6ELNS1_3repE0EEENS1_30default_config_static_selectorELNS0_4arch9wavefront6targetE1EEEvT1_,comdat
.Lfunc_end1225:
	.size	_ZN7rocprim17ROCPRIM_400000_NS6detail17trampoline_kernelINS0_14default_configENS1_25partition_config_selectorILNS1_17partition_subalgoE9EllbEEZZNS1_14partition_implILS5_9ELb0ES3_jPlS8_PNS0_10empty_typeENS0_5tupleIJS8_S9_EEENSB_IJS8_SA_EEENS0_18inequality_wrapperIZN2at6native12_GLOBAL__N_124unique_dim_cuda_templateIN3c108BFloat16EEESt5tupleIJNSF_6TensorESM_SM_EERKSM_lbbbEUlllE0_EEPmJS9_EEE10hipError_tPvRmT3_T4_T5_T6_T7_T9_mT8_P12ihipStream_tbDpT10_ENKUlT_T0_E_clISt17integral_constantIbLb1EES1B_IbLb0EEEEDaS17_S18_EUlS17_E_NS1_11comp_targetILNS1_3genE2ELNS1_11target_archE906ELNS1_3gpuE6ELNS1_3repE0EEENS1_30default_config_static_selectorELNS0_4arch9wavefront6targetE1EEEvT1_, .Lfunc_end1225-_ZN7rocprim17ROCPRIM_400000_NS6detail17trampoline_kernelINS0_14default_configENS1_25partition_config_selectorILNS1_17partition_subalgoE9EllbEEZZNS1_14partition_implILS5_9ELb0ES3_jPlS8_PNS0_10empty_typeENS0_5tupleIJS8_S9_EEENSB_IJS8_SA_EEENS0_18inequality_wrapperIZN2at6native12_GLOBAL__N_124unique_dim_cuda_templateIN3c108BFloat16EEESt5tupleIJNSF_6TensorESM_SM_EERKSM_lbbbEUlllE0_EEPmJS9_EEE10hipError_tPvRmT3_T4_T5_T6_T7_T9_mT8_P12ihipStream_tbDpT10_ENKUlT_T0_E_clISt17integral_constantIbLb1EES1B_IbLb0EEEEDaS17_S18_EUlS17_E_NS1_11comp_targetILNS1_3genE2ELNS1_11target_archE906ELNS1_3gpuE6ELNS1_3repE0EEENS1_30default_config_static_selectorELNS0_4arch9wavefront6targetE1EEEvT1_
                                        ; -- End function
	.section	.AMDGPU.csdata,"",@progbits
; Kernel info:
; codeLenInByte = 0
; NumSgprs: 4
; NumVgprs: 0
; NumAgprs: 0
; TotalNumVgprs: 0
; ScratchSize: 0
; MemoryBound: 0
; FloatMode: 240
; IeeeMode: 1
; LDSByteSize: 0 bytes/workgroup (compile time only)
; SGPRBlocks: 0
; VGPRBlocks: 0
; NumSGPRsForWavesPerEU: 4
; NumVGPRsForWavesPerEU: 1
; AccumOffset: 4
; Occupancy: 8
; WaveLimiterHint : 0
; COMPUTE_PGM_RSRC2:SCRATCH_EN: 0
; COMPUTE_PGM_RSRC2:USER_SGPR: 6
; COMPUTE_PGM_RSRC2:TRAP_HANDLER: 0
; COMPUTE_PGM_RSRC2:TGID_X_EN: 1
; COMPUTE_PGM_RSRC2:TGID_Y_EN: 0
; COMPUTE_PGM_RSRC2:TGID_Z_EN: 0
; COMPUTE_PGM_RSRC2:TIDIG_COMP_CNT: 0
; COMPUTE_PGM_RSRC3_GFX90A:ACCUM_OFFSET: 0
; COMPUTE_PGM_RSRC3_GFX90A:TG_SPLIT: 0
	.section	.text._ZN7rocprim17ROCPRIM_400000_NS6detail17trampoline_kernelINS0_14default_configENS1_25partition_config_selectorILNS1_17partition_subalgoE9EllbEEZZNS1_14partition_implILS5_9ELb0ES3_jPlS8_PNS0_10empty_typeENS0_5tupleIJS8_S9_EEENSB_IJS8_SA_EEENS0_18inequality_wrapperIZN2at6native12_GLOBAL__N_124unique_dim_cuda_templateIN3c108BFloat16EEESt5tupleIJNSF_6TensorESM_SM_EERKSM_lbbbEUlllE0_EEPmJS9_EEE10hipError_tPvRmT3_T4_T5_T6_T7_T9_mT8_P12ihipStream_tbDpT10_ENKUlT_T0_E_clISt17integral_constantIbLb1EES1B_IbLb0EEEEDaS17_S18_EUlS17_E_NS1_11comp_targetILNS1_3genE10ELNS1_11target_archE1200ELNS1_3gpuE4ELNS1_3repE0EEENS1_30default_config_static_selectorELNS0_4arch9wavefront6targetE1EEEvT1_,"axG",@progbits,_ZN7rocprim17ROCPRIM_400000_NS6detail17trampoline_kernelINS0_14default_configENS1_25partition_config_selectorILNS1_17partition_subalgoE9EllbEEZZNS1_14partition_implILS5_9ELb0ES3_jPlS8_PNS0_10empty_typeENS0_5tupleIJS8_S9_EEENSB_IJS8_SA_EEENS0_18inequality_wrapperIZN2at6native12_GLOBAL__N_124unique_dim_cuda_templateIN3c108BFloat16EEESt5tupleIJNSF_6TensorESM_SM_EERKSM_lbbbEUlllE0_EEPmJS9_EEE10hipError_tPvRmT3_T4_T5_T6_T7_T9_mT8_P12ihipStream_tbDpT10_ENKUlT_T0_E_clISt17integral_constantIbLb1EES1B_IbLb0EEEEDaS17_S18_EUlS17_E_NS1_11comp_targetILNS1_3genE10ELNS1_11target_archE1200ELNS1_3gpuE4ELNS1_3repE0EEENS1_30default_config_static_selectorELNS0_4arch9wavefront6targetE1EEEvT1_,comdat
	.globl	_ZN7rocprim17ROCPRIM_400000_NS6detail17trampoline_kernelINS0_14default_configENS1_25partition_config_selectorILNS1_17partition_subalgoE9EllbEEZZNS1_14partition_implILS5_9ELb0ES3_jPlS8_PNS0_10empty_typeENS0_5tupleIJS8_S9_EEENSB_IJS8_SA_EEENS0_18inequality_wrapperIZN2at6native12_GLOBAL__N_124unique_dim_cuda_templateIN3c108BFloat16EEESt5tupleIJNSF_6TensorESM_SM_EERKSM_lbbbEUlllE0_EEPmJS9_EEE10hipError_tPvRmT3_T4_T5_T6_T7_T9_mT8_P12ihipStream_tbDpT10_ENKUlT_T0_E_clISt17integral_constantIbLb1EES1B_IbLb0EEEEDaS17_S18_EUlS17_E_NS1_11comp_targetILNS1_3genE10ELNS1_11target_archE1200ELNS1_3gpuE4ELNS1_3repE0EEENS1_30default_config_static_selectorELNS0_4arch9wavefront6targetE1EEEvT1_ ; -- Begin function _ZN7rocprim17ROCPRIM_400000_NS6detail17trampoline_kernelINS0_14default_configENS1_25partition_config_selectorILNS1_17partition_subalgoE9EllbEEZZNS1_14partition_implILS5_9ELb0ES3_jPlS8_PNS0_10empty_typeENS0_5tupleIJS8_S9_EEENSB_IJS8_SA_EEENS0_18inequality_wrapperIZN2at6native12_GLOBAL__N_124unique_dim_cuda_templateIN3c108BFloat16EEESt5tupleIJNSF_6TensorESM_SM_EERKSM_lbbbEUlllE0_EEPmJS9_EEE10hipError_tPvRmT3_T4_T5_T6_T7_T9_mT8_P12ihipStream_tbDpT10_ENKUlT_T0_E_clISt17integral_constantIbLb1EES1B_IbLb0EEEEDaS17_S18_EUlS17_E_NS1_11comp_targetILNS1_3genE10ELNS1_11target_archE1200ELNS1_3gpuE4ELNS1_3repE0EEENS1_30default_config_static_selectorELNS0_4arch9wavefront6targetE1EEEvT1_
	.p2align	8
	.type	_ZN7rocprim17ROCPRIM_400000_NS6detail17trampoline_kernelINS0_14default_configENS1_25partition_config_selectorILNS1_17partition_subalgoE9EllbEEZZNS1_14partition_implILS5_9ELb0ES3_jPlS8_PNS0_10empty_typeENS0_5tupleIJS8_S9_EEENSB_IJS8_SA_EEENS0_18inequality_wrapperIZN2at6native12_GLOBAL__N_124unique_dim_cuda_templateIN3c108BFloat16EEESt5tupleIJNSF_6TensorESM_SM_EERKSM_lbbbEUlllE0_EEPmJS9_EEE10hipError_tPvRmT3_T4_T5_T6_T7_T9_mT8_P12ihipStream_tbDpT10_ENKUlT_T0_E_clISt17integral_constantIbLb1EES1B_IbLb0EEEEDaS17_S18_EUlS17_E_NS1_11comp_targetILNS1_3genE10ELNS1_11target_archE1200ELNS1_3gpuE4ELNS1_3repE0EEENS1_30default_config_static_selectorELNS0_4arch9wavefront6targetE1EEEvT1_,@function
_ZN7rocprim17ROCPRIM_400000_NS6detail17trampoline_kernelINS0_14default_configENS1_25partition_config_selectorILNS1_17partition_subalgoE9EllbEEZZNS1_14partition_implILS5_9ELb0ES3_jPlS8_PNS0_10empty_typeENS0_5tupleIJS8_S9_EEENSB_IJS8_SA_EEENS0_18inequality_wrapperIZN2at6native12_GLOBAL__N_124unique_dim_cuda_templateIN3c108BFloat16EEESt5tupleIJNSF_6TensorESM_SM_EERKSM_lbbbEUlllE0_EEPmJS9_EEE10hipError_tPvRmT3_T4_T5_T6_T7_T9_mT8_P12ihipStream_tbDpT10_ENKUlT_T0_E_clISt17integral_constantIbLb1EES1B_IbLb0EEEEDaS17_S18_EUlS17_E_NS1_11comp_targetILNS1_3genE10ELNS1_11target_archE1200ELNS1_3gpuE4ELNS1_3repE0EEENS1_30default_config_static_selectorELNS0_4arch9wavefront6targetE1EEEvT1_: ; @_ZN7rocprim17ROCPRIM_400000_NS6detail17trampoline_kernelINS0_14default_configENS1_25partition_config_selectorILNS1_17partition_subalgoE9EllbEEZZNS1_14partition_implILS5_9ELb0ES3_jPlS8_PNS0_10empty_typeENS0_5tupleIJS8_S9_EEENSB_IJS8_SA_EEENS0_18inequality_wrapperIZN2at6native12_GLOBAL__N_124unique_dim_cuda_templateIN3c108BFloat16EEESt5tupleIJNSF_6TensorESM_SM_EERKSM_lbbbEUlllE0_EEPmJS9_EEE10hipError_tPvRmT3_T4_T5_T6_T7_T9_mT8_P12ihipStream_tbDpT10_ENKUlT_T0_E_clISt17integral_constantIbLb1EES1B_IbLb0EEEEDaS17_S18_EUlS17_E_NS1_11comp_targetILNS1_3genE10ELNS1_11target_archE1200ELNS1_3gpuE4ELNS1_3repE0EEENS1_30default_config_static_selectorELNS0_4arch9wavefront6targetE1EEEvT1_
; %bb.0:
	.section	.rodata,"a",@progbits
	.p2align	6, 0x0
	.amdhsa_kernel _ZN7rocprim17ROCPRIM_400000_NS6detail17trampoline_kernelINS0_14default_configENS1_25partition_config_selectorILNS1_17partition_subalgoE9EllbEEZZNS1_14partition_implILS5_9ELb0ES3_jPlS8_PNS0_10empty_typeENS0_5tupleIJS8_S9_EEENSB_IJS8_SA_EEENS0_18inequality_wrapperIZN2at6native12_GLOBAL__N_124unique_dim_cuda_templateIN3c108BFloat16EEESt5tupleIJNSF_6TensorESM_SM_EERKSM_lbbbEUlllE0_EEPmJS9_EEE10hipError_tPvRmT3_T4_T5_T6_T7_T9_mT8_P12ihipStream_tbDpT10_ENKUlT_T0_E_clISt17integral_constantIbLb1EES1B_IbLb0EEEEDaS17_S18_EUlS17_E_NS1_11comp_targetILNS1_3genE10ELNS1_11target_archE1200ELNS1_3gpuE4ELNS1_3repE0EEENS1_30default_config_static_selectorELNS0_4arch9wavefront6targetE1EEEvT1_
		.amdhsa_group_segment_fixed_size 0
		.amdhsa_private_segment_fixed_size 0
		.amdhsa_kernarg_size 120
		.amdhsa_user_sgpr_count 6
		.amdhsa_user_sgpr_private_segment_buffer 1
		.amdhsa_user_sgpr_dispatch_ptr 0
		.amdhsa_user_sgpr_queue_ptr 0
		.amdhsa_user_sgpr_kernarg_segment_ptr 1
		.amdhsa_user_sgpr_dispatch_id 0
		.amdhsa_user_sgpr_flat_scratch_init 0
		.amdhsa_user_sgpr_kernarg_preload_length 0
		.amdhsa_user_sgpr_kernarg_preload_offset 0
		.amdhsa_user_sgpr_private_segment_size 0
		.amdhsa_uses_dynamic_stack 0
		.amdhsa_system_sgpr_private_segment_wavefront_offset 0
		.amdhsa_system_sgpr_workgroup_id_x 1
		.amdhsa_system_sgpr_workgroup_id_y 0
		.amdhsa_system_sgpr_workgroup_id_z 0
		.amdhsa_system_sgpr_workgroup_info 0
		.amdhsa_system_vgpr_workitem_id 0
		.amdhsa_next_free_vgpr 1
		.amdhsa_next_free_sgpr 0
		.amdhsa_accum_offset 4
		.amdhsa_reserve_vcc 0
		.amdhsa_reserve_flat_scratch 0
		.amdhsa_float_round_mode_32 0
		.amdhsa_float_round_mode_16_64 0
		.amdhsa_float_denorm_mode_32 3
		.amdhsa_float_denorm_mode_16_64 3
		.amdhsa_dx10_clamp 1
		.amdhsa_ieee_mode 1
		.amdhsa_fp16_overflow 0
		.amdhsa_tg_split 0
		.amdhsa_exception_fp_ieee_invalid_op 0
		.amdhsa_exception_fp_denorm_src 0
		.amdhsa_exception_fp_ieee_div_zero 0
		.amdhsa_exception_fp_ieee_overflow 0
		.amdhsa_exception_fp_ieee_underflow 0
		.amdhsa_exception_fp_ieee_inexact 0
		.amdhsa_exception_int_div_zero 0
	.end_amdhsa_kernel
	.section	.text._ZN7rocprim17ROCPRIM_400000_NS6detail17trampoline_kernelINS0_14default_configENS1_25partition_config_selectorILNS1_17partition_subalgoE9EllbEEZZNS1_14partition_implILS5_9ELb0ES3_jPlS8_PNS0_10empty_typeENS0_5tupleIJS8_S9_EEENSB_IJS8_SA_EEENS0_18inequality_wrapperIZN2at6native12_GLOBAL__N_124unique_dim_cuda_templateIN3c108BFloat16EEESt5tupleIJNSF_6TensorESM_SM_EERKSM_lbbbEUlllE0_EEPmJS9_EEE10hipError_tPvRmT3_T4_T5_T6_T7_T9_mT8_P12ihipStream_tbDpT10_ENKUlT_T0_E_clISt17integral_constantIbLb1EES1B_IbLb0EEEEDaS17_S18_EUlS17_E_NS1_11comp_targetILNS1_3genE10ELNS1_11target_archE1200ELNS1_3gpuE4ELNS1_3repE0EEENS1_30default_config_static_selectorELNS0_4arch9wavefront6targetE1EEEvT1_,"axG",@progbits,_ZN7rocprim17ROCPRIM_400000_NS6detail17trampoline_kernelINS0_14default_configENS1_25partition_config_selectorILNS1_17partition_subalgoE9EllbEEZZNS1_14partition_implILS5_9ELb0ES3_jPlS8_PNS0_10empty_typeENS0_5tupleIJS8_S9_EEENSB_IJS8_SA_EEENS0_18inequality_wrapperIZN2at6native12_GLOBAL__N_124unique_dim_cuda_templateIN3c108BFloat16EEESt5tupleIJNSF_6TensorESM_SM_EERKSM_lbbbEUlllE0_EEPmJS9_EEE10hipError_tPvRmT3_T4_T5_T6_T7_T9_mT8_P12ihipStream_tbDpT10_ENKUlT_T0_E_clISt17integral_constantIbLb1EES1B_IbLb0EEEEDaS17_S18_EUlS17_E_NS1_11comp_targetILNS1_3genE10ELNS1_11target_archE1200ELNS1_3gpuE4ELNS1_3repE0EEENS1_30default_config_static_selectorELNS0_4arch9wavefront6targetE1EEEvT1_,comdat
.Lfunc_end1226:
	.size	_ZN7rocprim17ROCPRIM_400000_NS6detail17trampoline_kernelINS0_14default_configENS1_25partition_config_selectorILNS1_17partition_subalgoE9EllbEEZZNS1_14partition_implILS5_9ELb0ES3_jPlS8_PNS0_10empty_typeENS0_5tupleIJS8_S9_EEENSB_IJS8_SA_EEENS0_18inequality_wrapperIZN2at6native12_GLOBAL__N_124unique_dim_cuda_templateIN3c108BFloat16EEESt5tupleIJNSF_6TensorESM_SM_EERKSM_lbbbEUlllE0_EEPmJS9_EEE10hipError_tPvRmT3_T4_T5_T6_T7_T9_mT8_P12ihipStream_tbDpT10_ENKUlT_T0_E_clISt17integral_constantIbLb1EES1B_IbLb0EEEEDaS17_S18_EUlS17_E_NS1_11comp_targetILNS1_3genE10ELNS1_11target_archE1200ELNS1_3gpuE4ELNS1_3repE0EEENS1_30default_config_static_selectorELNS0_4arch9wavefront6targetE1EEEvT1_, .Lfunc_end1226-_ZN7rocprim17ROCPRIM_400000_NS6detail17trampoline_kernelINS0_14default_configENS1_25partition_config_selectorILNS1_17partition_subalgoE9EllbEEZZNS1_14partition_implILS5_9ELb0ES3_jPlS8_PNS0_10empty_typeENS0_5tupleIJS8_S9_EEENSB_IJS8_SA_EEENS0_18inequality_wrapperIZN2at6native12_GLOBAL__N_124unique_dim_cuda_templateIN3c108BFloat16EEESt5tupleIJNSF_6TensorESM_SM_EERKSM_lbbbEUlllE0_EEPmJS9_EEE10hipError_tPvRmT3_T4_T5_T6_T7_T9_mT8_P12ihipStream_tbDpT10_ENKUlT_T0_E_clISt17integral_constantIbLb1EES1B_IbLb0EEEEDaS17_S18_EUlS17_E_NS1_11comp_targetILNS1_3genE10ELNS1_11target_archE1200ELNS1_3gpuE4ELNS1_3repE0EEENS1_30default_config_static_selectorELNS0_4arch9wavefront6targetE1EEEvT1_
                                        ; -- End function
	.section	.AMDGPU.csdata,"",@progbits
; Kernel info:
; codeLenInByte = 0
; NumSgprs: 4
; NumVgprs: 0
; NumAgprs: 0
; TotalNumVgprs: 0
; ScratchSize: 0
; MemoryBound: 0
; FloatMode: 240
; IeeeMode: 1
; LDSByteSize: 0 bytes/workgroup (compile time only)
; SGPRBlocks: 0
; VGPRBlocks: 0
; NumSGPRsForWavesPerEU: 4
; NumVGPRsForWavesPerEU: 1
; AccumOffset: 4
; Occupancy: 8
; WaveLimiterHint : 0
; COMPUTE_PGM_RSRC2:SCRATCH_EN: 0
; COMPUTE_PGM_RSRC2:USER_SGPR: 6
; COMPUTE_PGM_RSRC2:TRAP_HANDLER: 0
; COMPUTE_PGM_RSRC2:TGID_X_EN: 1
; COMPUTE_PGM_RSRC2:TGID_Y_EN: 0
; COMPUTE_PGM_RSRC2:TGID_Z_EN: 0
; COMPUTE_PGM_RSRC2:TIDIG_COMP_CNT: 0
; COMPUTE_PGM_RSRC3_GFX90A:ACCUM_OFFSET: 0
; COMPUTE_PGM_RSRC3_GFX90A:TG_SPLIT: 0
	.section	.text._ZN7rocprim17ROCPRIM_400000_NS6detail17trampoline_kernelINS0_14default_configENS1_25partition_config_selectorILNS1_17partition_subalgoE9EllbEEZZNS1_14partition_implILS5_9ELb0ES3_jPlS8_PNS0_10empty_typeENS0_5tupleIJS8_S9_EEENSB_IJS8_SA_EEENS0_18inequality_wrapperIZN2at6native12_GLOBAL__N_124unique_dim_cuda_templateIN3c108BFloat16EEESt5tupleIJNSF_6TensorESM_SM_EERKSM_lbbbEUlllE0_EEPmJS9_EEE10hipError_tPvRmT3_T4_T5_T6_T7_T9_mT8_P12ihipStream_tbDpT10_ENKUlT_T0_E_clISt17integral_constantIbLb1EES1B_IbLb0EEEEDaS17_S18_EUlS17_E_NS1_11comp_targetILNS1_3genE9ELNS1_11target_archE1100ELNS1_3gpuE3ELNS1_3repE0EEENS1_30default_config_static_selectorELNS0_4arch9wavefront6targetE1EEEvT1_,"axG",@progbits,_ZN7rocprim17ROCPRIM_400000_NS6detail17trampoline_kernelINS0_14default_configENS1_25partition_config_selectorILNS1_17partition_subalgoE9EllbEEZZNS1_14partition_implILS5_9ELb0ES3_jPlS8_PNS0_10empty_typeENS0_5tupleIJS8_S9_EEENSB_IJS8_SA_EEENS0_18inequality_wrapperIZN2at6native12_GLOBAL__N_124unique_dim_cuda_templateIN3c108BFloat16EEESt5tupleIJNSF_6TensorESM_SM_EERKSM_lbbbEUlllE0_EEPmJS9_EEE10hipError_tPvRmT3_T4_T5_T6_T7_T9_mT8_P12ihipStream_tbDpT10_ENKUlT_T0_E_clISt17integral_constantIbLb1EES1B_IbLb0EEEEDaS17_S18_EUlS17_E_NS1_11comp_targetILNS1_3genE9ELNS1_11target_archE1100ELNS1_3gpuE3ELNS1_3repE0EEENS1_30default_config_static_selectorELNS0_4arch9wavefront6targetE1EEEvT1_,comdat
	.globl	_ZN7rocprim17ROCPRIM_400000_NS6detail17trampoline_kernelINS0_14default_configENS1_25partition_config_selectorILNS1_17partition_subalgoE9EllbEEZZNS1_14partition_implILS5_9ELb0ES3_jPlS8_PNS0_10empty_typeENS0_5tupleIJS8_S9_EEENSB_IJS8_SA_EEENS0_18inequality_wrapperIZN2at6native12_GLOBAL__N_124unique_dim_cuda_templateIN3c108BFloat16EEESt5tupleIJNSF_6TensorESM_SM_EERKSM_lbbbEUlllE0_EEPmJS9_EEE10hipError_tPvRmT3_T4_T5_T6_T7_T9_mT8_P12ihipStream_tbDpT10_ENKUlT_T0_E_clISt17integral_constantIbLb1EES1B_IbLb0EEEEDaS17_S18_EUlS17_E_NS1_11comp_targetILNS1_3genE9ELNS1_11target_archE1100ELNS1_3gpuE3ELNS1_3repE0EEENS1_30default_config_static_selectorELNS0_4arch9wavefront6targetE1EEEvT1_ ; -- Begin function _ZN7rocprim17ROCPRIM_400000_NS6detail17trampoline_kernelINS0_14default_configENS1_25partition_config_selectorILNS1_17partition_subalgoE9EllbEEZZNS1_14partition_implILS5_9ELb0ES3_jPlS8_PNS0_10empty_typeENS0_5tupleIJS8_S9_EEENSB_IJS8_SA_EEENS0_18inequality_wrapperIZN2at6native12_GLOBAL__N_124unique_dim_cuda_templateIN3c108BFloat16EEESt5tupleIJNSF_6TensorESM_SM_EERKSM_lbbbEUlllE0_EEPmJS9_EEE10hipError_tPvRmT3_T4_T5_T6_T7_T9_mT8_P12ihipStream_tbDpT10_ENKUlT_T0_E_clISt17integral_constantIbLb1EES1B_IbLb0EEEEDaS17_S18_EUlS17_E_NS1_11comp_targetILNS1_3genE9ELNS1_11target_archE1100ELNS1_3gpuE3ELNS1_3repE0EEENS1_30default_config_static_selectorELNS0_4arch9wavefront6targetE1EEEvT1_
	.p2align	8
	.type	_ZN7rocprim17ROCPRIM_400000_NS6detail17trampoline_kernelINS0_14default_configENS1_25partition_config_selectorILNS1_17partition_subalgoE9EllbEEZZNS1_14partition_implILS5_9ELb0ES3_jPlS8_PNS0_10empty_typeENS0_5tupleIJS8_S9_EEENSB_IJS8_SA_EEENS0_18inequality_wrapperIZN2at6native12_GLOBAL__N_124unique_dim_cuda_templateIN3c108BFloat16EEESt5tupleIJNSF_6TensorESM_SM_EERKSM_lbbbEUlllE0_EEPmJS9_EEE10hipError_tPvRmT3_T4_T5_T6_T7_T9_mT8_P12ihipStream_tbDpT10_ENKUlT_T0_E_clISt17integral_constantIbLb1EES1B_IbLb0EEEEDaS17_S18_EUlS17_E_NS1_11comp_targetILNS1_3genE9ELNS1_11target_archE1100ELNS1_3gpuE3ELNS1_3repE0EEENS1_30default_config_static_selectorELNS0_4arch9wavefront6targetE1EEEvT1_,@function
_ZN7rocprim17ROCPRIM_400000_NS6detail17trampoline_kernelINS0_14default_configENS1_25partition_config_selectorILNS1_17partition_subalgoE9EllbEEZZNS1_14partition_implILS5_9ELb0ES3_jPlS8_PNS0_10empty_typeENS0_5tupleIJS8_S9_EEENSB_IJS8_SA_EEENS0_18inequality_wrapperIZN2at6native12_GLOBAL__N_124unique_dim_cuda_templateIN3c108BFloat16EEESt5tupleIJNSF_6TensorESM_SM_EERKSM_lbbbEUlllE0_EEPmJS9_EEE10hipError_tPvRmT3_T4_T5_T6_T7_T9_mT8_P12ihipStream_tbDpT10_ENKUlT_T0_E_clISt17integral_constantIbLb1EES1B_IbLb0EEEEDaS17_S18_EUlS17_E_NS1_11comp_targetILNS1_3genE9ELNS1_11target_archE1100ELNS1_3gpuE3ELNS1_3repE0EEENS1_30default_config_static_selectorELNS0_4arch9wavefront6targetE1EEEvT1_: ; @_ZN7rocprim17ROCPRIM_400000_NS6detail17trampoline_kernelINS0_14default_configENS1_25partition_config_selectorILNS1_17partition_subalgoE9EllbEEZZNS1_14partition_implILS5_9ELb0ES3_jPlS8_PNS0_10empty_typeENS0_5tupleIJS8_S9_EEENSB_IJS8_SA_EEENS0_18inequality_wrapperIZN2at6native12_GLOBAL__N_124unique_dim_cuda_templateIN3c108BFloat16EEESt5tupleIJNSF_6TensorESM_SM_EERKSM_lbbbEUlllE0_EEPmJS9_EEE10hipError_tPvRmT3_T4_T5_T6_T7_T9_mT8_P12ihipStream_tbDpT10_ENKUlT_T0_E_clISt17integral_constantIbLb1EES1B_IbLb0EEEEDaS17_S18_EUlS17_E_NS1_11comp_targetILNS1_3genE9ELNS1_11target_archE1100ELNS1_3gpuE3ELNS1_3repE0EEENS1_30default_config_static_selectorELNS0_4arch9wavefront6targetE1EEEvT1_
; %bb.0:
	.section	.rodata,"a",@progbits
	.p2align	6, 0x0
	.amdhsa_kernel _ZN7rocprim17ROCPRIM_400000_NS6detail17trampoline_kernelINS0_14default_configENS1_25partition_config_selectorILNS1_17partition_subalgoE9EllbEEZZNS1_14partition_implILS5_9ELb0ES3_jPlS8_PNS0_10empty_typeENS0_5tupleIJS8_S9_EEENSB_IJS8_SA_EEENS0_18inequality_wrapperIZN2at6native12_GLOBAL__N_124unique_dim_cuda_templateIN3c108BFloat16EEESt5tupleIJNSF_6TensorESM_SM_EERKSM_lbbbEUlllE0_EEPmJS9_EEE10hipError_tPvRmT3_T4_T5_T6_T7_T9_mT8_P12ihipStream_tbDpT10_ENKUlT_T0_E_clISt17integral_constantIbLb1EES1B_IbLb0EEEEDaS17_S18_EUlS17_E_NS1_11comp_targetILNS1_3genE9ELNS1_11target_archE1100ELNS1_3gpuE3ELNS1_3repE0EEENS1_30default_config_static_selectorELNS0_4arch9wavefront6targetE1EEEvT1_
		.amdhsa_group_segment_fixed_size 0
		.amdhsa_private_segment_fixed_size 0
		.amdhsa_kernarg_size 120
		.amdhsa_user_sgpr_count 6
		.amdhsa_user_sgpr_private_segment_buffer 1
		.amdhsa_user_sgpr_dispatch_ptr 0
		.amdhsa_user_sgpr_queue_ptr 0
		.amdhsa_user_sgpr_kernarg_segment_ptr 1
		.amdhsa_user_sgpr_dispatch_id 0
		.amdhsa_user_sgpr_flat_scratch_init 0
		.amdhsa_user_sgpr_kernarg_preload_length 0
		.amdhsa_user_sgpr_kernarg_preload_offset 0
		.amdhsa_user_sgpr_private_segment_size 0
		.amdhsa_uses_dynamic_stack 0
		.amdhsa_system_sgpr_private_segment_wavefront_offset 0
		.amdhsa_system_sgpr_workgroup_id_x 1
		.amdhsa_system_sgpr_workgroup_id_y 0
		.amdhsa_system_sgpr_workgroup_id_z 0
		.amdhsa_system_sgpr_workgroup_info 0
		.amdhsa_system_vgpr_workitem_id 0
		.amdhsa_next_free_vgpr 1
		.amdhsa_next_free_sgpr 0
		.amdhsa_accum_offset 4
		.amdhsa_reserve_vcc 0
		.amdhsa_reserve_flat_scratch 0
		.amdhsa_float_round_mode_32 0
		.amdhsa_float_round_mode_16_64 0
		.amdhsa_float_denorm_mode_32 3
		.amdhsa_float_denorm_mode_16_64 3
		.amdhsa_dx10_clamp 1
		.amdhsa_ieee_mode 1
		.amdhsa_fp16_overflow 0
		.amdhsa_tg_split 0
		.amdhsa_exception_fp_ieee_invalid_op 0
		.amdhsa_exception_fp_denorm_src 0
		.amdhsa_exception_fp_ieee_div_zero 0
		.amdhsa_exception_fp_ieee_overflow 0
		.amdhsa_exception_fp_ieee_underflow 0
		.amdhsa_exception_fp_ieee_inexact 0
		.amdhsa_exception_int_div_zero 0
	.end_amdhsa_kernel
	.section	.text._ZN7rocprim17ROCPRIM_400000_NS6detail17trampoline_kernelINS0_14default_configENS1_25partition_config_selectorILNS1_17partition_subalgoE9EllbEEZZNS1_14partition_implILS5_9ELb0ES3_jPlS8_PNS0_10empty_typeENS0_5tupleIJS8_S9_EEENSB_IJS8_SA_EEENS0_18inequality_wrapperIZN2at6native12_GLOBAL__N_124unique_dim_cuda_templateIN3c108BFloat16EEESt5tupleIJNSF_6TensorESM_SM_EERKSM_lbbbEUlllE0_EEPmJS9_EEE10hipError_tPvRmT3_T4_T5_T6_T7_T9_mT8_P12ihipStream_tbDpT10_ENKUlT_T0_E_clISt17integral_constantIbLb1EES1B_IbLb0EEEEDaS17_S18_EUlS17_E_NS1_11comp_targetILNS1_3genE9ELNS1_11target_archE1100ELNS1_3gpuE3ELNS1_3repE0EEENS1_30default_config_static_selectorELNS0_4arch9wavefront6targetE1EEEvT1_,"axG",@progbits,_ZN7rocprim17ROCPRIM_400000_NS6detail17trampoline_kernelINS0_14default_configENS1_25partition_config_selectorILNS1_17partition_subalgoE9EllbEEZZNS1_14partition_implILS5_9ELb0ES3_jPlS8_PNS0_10empty_typeENS0_5tupleIJS8_S9_EEENSB_IJS8_SA_EEENS0_18inequality_wrapperIZN2at6native12_GLOBAL__N_124unique_dim_cuda_templateIN3c108BFloat16EEESt5tupleIJNSF_6TensorESM_SM_EERKSM_lbbbEUlllE0_EEPmJS9_EEE10hipError_tPvRmT3_T4_T5_T6_T7_T9_mT8_P12ihipStream_tbDpT10_ENKUlT_T0_E_clISt17integral_constantIbLb1EES1B_IbLb0EEEEDaS17_S18_EUlS17_E_NS1_11comp_targetILNS1_3genE9ELNS1_11target_archE1100ELNS1_3gpuE3ELNS1_3repE0EEENS1_30default_config_static_selectorELNS0_4arch9wavefront6targetE1EEEvT1_,comdat
.Lfunc_end1227:
	.size	_ZN7rocprim17ROCPRIM_400000_NS6detail17trampoline_kernelINS0_14default_configENS1_25partition_config_selectorILNS1_17partition_subalgoE9EllbEEZZNS1_14partition_implILS5_9ELb0ES3_jPlS8_PNS0_10empty_typeENS0_5tupleIJS8_S9_EEENSB_IJS8_SA_EEENS0_18inequality_wrapperIZN2at6native12_GLOBAL__N_124unique_dim_cuda_templateIN3c108BFloat16EEESt5tupleIJNSF_6TensorESM_SM_EERKSM_lbbbEUlllE0_EEPmJS9_EEE10hipError_tPvRmT3_T4_T5_T6_T7_T9_mT8_P12ihipStream_tbDpT10_ENKUlT_T0_E_clISt17integral_constantIbLb1EES1B_IbLb0EEEEDaS17_S18_EUlS17_E_NS1_11comp_targetILNS1_3genE9ELNS1_11target_archE1100ELNS1_3gpuE3ELNS1_3repE0EEENS1_30default_config_static_selectorELNS0_4arch9wavefront6targetE1EEEvT1_, .Lfunc_end1227-_ZN7rocprim17ROCPRIM_400000_NS6detail17trampoline_kernelINS0_14default_configENS1_25partition_config_selectorILNS1_17partition_subalgoE9EllbEEZZNS1_14partition_implILS5_9ELb0ES3_jPlS8_PNS0_10empty_typeENS0_5tupleIJS8_S9_EEENSB_IJS8_SA_EEENS0_18inequality_wrapperIZN2at6native12_GLOBAL__N_124unique_dim_cuda_templateIN3c108BFloat16EEESt5tupleIJNSF_6TensorESM_SM_EERKSM_lbbbEUlllE0_EEPmJS9_EEE10hipError_tPvRmT3_T4_T5_T6_T7_T9_mT8_P12ihipStream_tbDpT10_ENKUlT_T0_E_clISt17integral_constantIbLb1EES1B_IbLb0EEEEDaS17_S18_EUlS17_E_NS1_11comp_targetILNS1_3genE9ELNS1_11target_archE1100ELNS1_3gpuE3ELNS1_3repE0EEENS1_30default_config_static_selectorELNS0_4arch9wavefront6targetE1EEEvT1_
                                        ; -- End function
	.section	.AMDGPU.csdata,"",@progbits
; Kernel info:
; codeLenInByte = 0
; NumSgprs: 4
; NumVgprs: 0
; NumAgprs: 0
; TotalNumVgprs: 0
; ScratchSize: 0
; MemoryBound: 0
; FloatMode: 240
; IeeeMode: 1
; LDSByteSize: 0 bytes/workgroup (compile time only)
; SGPRBlocks: 0
; VGPRBlocks: 0
; NumSGPRsForWavesPerEU: 4
; NumVGPRsForWavesPerEU: 1
; AccumOffset: 4
; Occupancy: 8
; WaveLimiterHint : 0
; COMPUTE_PGM_RSRC2:SCRATCH_EN: 0
; COMPUTE_PGM_RSRC2:USER_SGPR: 6
; COMPUTE_PGM_RSRC2:TRAP_HANDLER: 0
; COMPUTE_PGM_RSRC2:TGID_X_EN: 1
; COMPUTE_PGM_RSRC2:TGID_Y_EN: 0
; COMPUTE_PGM_RSRC2:TGID_Z_EN: 0
; COMPUTE_PGM_RSRC2:TIDIG_COMP_CNT: 0
; COMPUTE_PGM_RSRC3_GFX90A:ACCUM_OFFSET: 0
; COMPUTE_PGM_RSRC3_GFX90A:TG_SPLIT: 0
	.section	.text._ZN7rocprim17ROCPRIM_400000_NS6detail17trampoline_kernelINS0_14default_configENS1_25partition_config_selectorILNS1_17partition_subalgoE9EllbEEZZNS1_14partition_implILS5_9ELb0ES3_jPlS8_PNS0_10empty_typeENS0_5tupleIJS8_S9_EEENSB_IJS8_SA_EEENS0_18inequality_wrapperIZN2at6native12_GLOBAL__N_124unique_dim_cuda_templateIN3c108BFloat16EEESt5tupleIJNSF_6TensorESM_SM_EERKSM_lbbbEUlllE0_EEPmJS9_EEE10hipError_tPvRmT3_T4_T5_T6_T7_T9_mT8_P12ihipStream_tbDpT10_ENKUlT_T0_E_clISt17integral_constantIbLb1EES1B_IbLb0EEEEDaS17_S18_EUlS17_E_NS1_11comp_targetILNS1_3genE8ELNS1_11target_archE1030ELNS1_3gpuE2ELNS1_3repE0EEENS1_30default_config_static_selectorELNS0_4arch9wavefront6targetE1EEEvT1_,"axG",@progbits,_ZN7rocprim17ROCPRIM_400000_NS6detail17trampoline_kernelINS0_14default_configENS1_25partition_config_selectorILNS1_17partition_subalgoE9EllbEEZZNS1_14partition_implILS5_9ELb0ES3_jPlS8_PNS0_10empty_typeENS0_5tupleIJS8_S9_EEENSB_IJS8_SA_EEENS0_18inequality_wrapperIZN2at6native12_GLOBAL__N_124unique_dim_cuda_templateIN3c108BFloat16EEESt5tupleIJNSF_6TensorESM_SM_EERKSM_lbbbEUlllE0_EEPmJS9_EEE10hipError_tPvRmT3_T4_T5_T6_T7_T9_mT8_P12ihipStream_tbDpT10_ENKUlT_T0_E_clISt17integral_constantIbLb1EES1B_IbLb0EEEEDaS17_S18_EUlS17_E_NS1_11comp_targetILNS1_3genE8ELNS1_11target_archE1030ELNS1_3gpuE2ELNS1_3repE0EEENS1_30default_config_static_selectorELNS0_4arch9wavefront6targetE1EEEvT1_,comdat
	.globl	_ZN7rocprim17ROCPRIM_400000_NS6detail17trampoline_kernelINS0_14default_configENS1_25partition_config_selectorILNS1_17partition_subalgoE9EllbEEZZNS1_14partition_implILS5_9ELb0ES3_jPlS8_PNS0_10empty_typeENS0_5tupleIJS8_S9_EEENSB_IJS8_SA_EEENS0_18inequality_wrapperIZN2at6native12_GLOBAL__N_124unique_dim_cuda_templateIN3c108BFloat16EEESt5tupleIJNSF_6TensorESM_SM_EERKSM_lbbbEUlllE0_EEPmJS9_EEE10hipError_tPvRmT3_T4_T5_T6_T7_T9_mT8_P12ihipStream_tbDpT10_ENKUlT_T0_E_clISt17integral_constantIbLb1EES1B_IbLb0EEEEDaS17_S18_EUlS17_E_NS1_11comp_targetILNS1_3genE8ELNS1_11target_archE1030ELNS1_3gpuE2ELNS1_3repE0EEENS1_30default_config_static_selectorELNS0_4arch9wavefront6targetE1EEEvT1_ ; -- Begin function _ZN7rocprim17ROCPRIM_400000_NS6detail17trampoline_kernelINS0_14default_configENS1_25partition_config_selectorILNS1_17partition_subalgoE9EllbEEZZNS1_14partition_implILS5_9ELb0ES3_jPlS8_PNS0_10empty_typeENS0_5tupleIJS8_S9_EEENSB_IJS8_SA_EEENS0_18inequality_wrapperIZN2at6native12_GLOBAL__N_124unique_dim_cuda_templateIN3c108BFloat16EEESt5tupleIJNSF_6TensorESM_SM_EERKSM_lbbbEUlllE0_EEPmJS9_EEE10hipError_tPvRmT3_T4_T5_T6_T7_T9_mT8_P12ihipStream_tbDpT10_ENKUlT_T0_E_clISt17integral_constantIbLb1EES1B_IbLb0EEEEDaS17_S18_EUlS17_E_NS1_11comp_targetILNS1_3genE8ELNS1_11target_archE1030ELNS1_3gpuE2ELNS1_3repE0EEENS1_30default_config_static_selectorELNS0_4arch9wavefront6targetE1EEEvT1_
	.p2align	8
	.type	_ZN7rocprim17ROCPRIM_400000_NS6detail17trampoline_kernelINS0_14default_configENS1_25partition_config_selectorILNS1_17partition_subalgoE9EllbEEZZNS1_14partition_implILS5_9ELb0ES3_jPlS8_PNS0_10empty_typeENS0_5tupleIJS8_S9_EEENSB_IJS8_SA_EEENS0_18inequality_wrapperIZN2at6native12_GLOBAL__N_124unique_dim_cuda_templateIN3c108BFloat16EEESt5tupleIJNSF_6TensorESM_SM_EERKSM_lbbbEUlllE0_EEPmJS9_EEE10hipError_tPvRmT3_T4_T5_T6_T7_T9_mT8_P12ihipStream_tbDpT10_ENKUlT_T0_E_clISt17integral_constantIbLb1EES1B_IbLb0EEEEDaS17_S18_EUlS17_E_NS1_11comp_targetILNS1_3genE8ELNS1_11target_archE1030ELNS1_3gpuE2ELNS1_3repE0EEENS1_30default_config_static_selectorELNS0_4arch9wavefront6targetE1EEEvT1_,@function
_ZN7rocprim17ROCPRIM_400000_NS6detail17trampoline_kernelINS0_14default_configENS1_25partition_config_selectorILNS1_17partition_subalgoE9EllbEEZZNS1_14partition_implILS5_9ELb0ES3_jPlS8_PNS0_10empty_typeENS0_5tupleIJS8_S9_EEENSB_IJS8_SA_EEENS0_18inequality_wrapperIZN2at6native12_GLOBAL__N_124unique_dim_cuda_templateIN3c108BFloat16EEESt5tupleIJNSF_6TensorESM_SM_EERKSM_lbbbEUlllE0_EEPmJS9_EEE10hipError_tPvRmT3_T4_T5_T6_T7_T9_mT8_P12ihipStream_tbDpT10_ENKUlT_T0_E_clISt17integral_constantIbLb1EES1B_IbLb0EEEEDaS17_S18_EUlS17_E_NS1_11comp_targetILNS1_3genE8ELNS1_11target_archE1030ELNS1_3gpuE2ELNS1_3repE0EEENS1_30default_config_static_selectorELNS0_4arch9wavefront6targetE1EEEvT1_: ; @_ZN7rocprim17ROCPRIM_400000_NS6detail17trampoline_kernelINS0_14default_configENS1_25partition_config_selectorILNS1_17partition_subalgoE9EllbEEZZNS1_14partition_implILS5_9ELb0ES3_jPlS8_PNS0_10empty_typeENS0_5tupleIJS8_S9_EEENSB_IJS8_SA_EEENS0_18inequality_wrapperIZN2at6native12_GLOBAL__N_124unique_dim_cuda_templateIN3c108BFloat16EEESt5tupleIJNSF_6TensorESM_SM_EERKSM_lbbbEUlllE0_EEPmJS9_EEE10hipError_tPvRmT3_T4_T5_T6_T7_T9_mT8_P12ihipStream_tbDpT10_ENKUlT_T0_E_clISt17integral_constantIbLb1EES1B_IbLb0EEEEDaS17_S18_EUlS17_E_NS1_11comp_targetILNS1_3genE8ELNS1_11target_archE1030ELNS1_3gpuE2ELNS1_3repE0EEENS1_30default_config_static_selectorELNS0_4arch9wavefront6targetE1EEEvT1_
; %bb.0:
	.section	.rodata,"a",@progbits
	.p2align	6, 0x0
	.amdhsa_kernel _ZN7rocprim17ROCPRIM_400000_NS6detail17trampoline_kernelINS0_14default_configENS1_25partition_config_selectorILNS1_17partition_subalgoE9EllbEEZZNS1_14partition_implILS5_9ELb0ES3_jPlS8_PNS0_10empty_typeENS0_5tupleIJS8_S9_EEENSB_IJS8_SA_EEENS0_18inequality_wrapperIZN2at6native12_GLOBAL__N_124unique_dim_cuda_templateIN3c108BFloat16EEESt5tupleIJNSF_6TensorESM_SM_EERKSM_lbbbEUlllE0_EEPmJS9_EEE10hipError_tPvRmT3_T4_T5_T6_T7_T9_mT8_P12ihipStream_tbDpT10_ENKUlT_T0_E_clISt17integral_constantIbLb1EES1B_IbLb0EEEEDaS17_S18_EUlS17_E_NS1_11comp_targetILNS1_3genE8ELNS1_11target_archE1030ELNS1_3gpuE2ELNS1_3repE0EEENS1_30default_config_static_selectorELNS0_4arch9wavefront6targetE1EEEvT1_
		.amdhsa_group_segment_fixed_size 0
		.amdhsa_private_segment_fixed_size 0
		.amdhsa_kernarg_size 120
		.amdhsa_user_sgpr_count 6
		.amdhsa_user_sgpr_private_segment_buffer 1
		.amdhsa_user_sgpr_dispatch_ptr 0
		.amdhsa_user_sgpr_queue_ptr 0
		.amdhsa_user_sgpr_kernarg_segment_ptr 1
		.amdhsa_user_sgpr_dispatch_id 0
		.amdhsa_user_sgpr_flat_scratch_init 0
		.amdhsa_user_sgpr_kernarg_preload_length 0
		.amdhsa_user_sgpr_kernarg_preload_offset 0
		.amdhsa_user_sgpr_private_segment_size 0
		.amdhsa_uses_dynamic_stack 0
		.amdhsa_system_sgpr_private_segment_wavefront_offset 0
		.amdhsa_system_sgpr_workgroup_id_x 1
		.amdhsa_system_sgpr_workgroup_id_y 0
		.amdhsa_system_sgpr_workgroup_id_z 0
		.amdhsa_system_sgpr_workgroup_info 0
		.amdhsa_system_vgpr_workitem_id 0
		.amdhsa_next_free_vgpr 1
		.amdhsa_next_free_sgpr 0
		.amdhsa_accum_offset 4
		.amdhsa_reserve_vcc 0
		.amdhsa_reserve_flat_scratch 0
		.amdhsa_float_round_mode_32 0
		.amdhsa_float_round_mode_16_64 0
		.amdhsa_float_denorm_mode_32 3
		.amdhsa_float_denorm_mode_16_64 3
		.amdhsa_dx10_clamp 1
		.amdhsa_ieee_mode 1
		.amdhsa_fp16_overflow 0
		.amdhsa_tg_split 0
		.amdhsa_exception_fp_ieee_invalid_op 0
		.amdhsa_exception_fp_denorm_src 0
		.amdhsa_exception_fp_ieee_div_zero 0
		.amdhsa_exception_fp_ieee_overflow 0
		.amdhsa_exception_fp_ieee_underflow 0
		.amdhsa_exception_fp_ieee_inexact 0
		.amdhsa_exception_int_div_zero 0
	.end_amdhsa_kernel
	.section	.text._ZN7rocprim17ROCPRIM_400000_NS6detail17trampoline_kernelINS0_14default_configENS1_25partition_config_selectorILNS1_17partition_subalgoE9EllbEEZZNS1_14partition_implILS5_9ELb0ES3_jPlS8_PNS0_10empty_typeENS0_5tupleIJS8_S9_EEENSB_IJS8_SA_EEENS0_18inequality_wrapperIZN2at6native12_GLOBAL__N_124unique_dim_cuda_templateIN3c108BFloat16EEESt5tupleIJNSF_6TensorESM_SM_EERKSM_lbbbEUlllE0_EEPmJS9_EEE10hipError_tPvRmT3_T4_T5_T6_T7_T9_mT8_P12ihipStream_tbDpT10_ENKUlT_T0_E_clISt17integral_constantIbLb1EES1B_IbLb0EEEEDaS17_S18_EUlS17_E_NS1_11comp_targetILNS1_3genE8ELNS1_11target_archE1030ELNS1_3gpuE2ELNS1_3repE0EEENS1_30default_config_static_selectorELNS0_4arch9wavefront6targetE1EEEvT1_,"axG",@progbits,_ZN7rocprim17ROCPRIM_400000_NS6detail17trampoline_kernelINS0_14default_configENS1_25partition_config_selectorILNS1_17partition_subalgoE9EllbEEZZNS1_14partition_implILS5_9ELb0ES3_jPlS8_PNS0_10empty_typeENS0_5tupleIJS8_S9_EEENSB_IJS8_SA_EEENS0_18inequality_wrapperIZN2at6native12_GLOBAL__N_124unique_dim_cuda_templateIN3c108BFloat16EEESt5tupleIJNSF_6TensorESM_SM_EERKSM_lbbbEUlllE0_EEPmJS9_EEE10hipError_tPvRmT3_T4_T5_T6_T7_T9_mT8_P12ihipStream_tbDpT10_ENKUlT_T0_E_clISt17integral_constantIbLb1EES1B_IbLb0EEEEDaS17_S18_EUlS17_E_NS1_11comp_targetILNS1_3genE8ELNS1_11target_archE1030ELNS1_3gpuE2ELNS1_3repE0EEENS1_30default_config_static_selectorELNS0_4arch9wavefront6targetE1EEEvT1_,comdat
.Lfunc_end1228:
	.size	_ZN7rocprim17ROCPRIM_400000_NS6detail17trampoline_kernelINS0_14default_configENS1_25partition_config_selectorILNS1_17partition_subalgoE9EllbEEZZNS1_14partition_implILS5_9ELb0ES3_jPlS8_PNS0_10empty_typeENS0_5tupleIJS8_S9_EEENSB_IJS8_SA_EEENS0_18inequality_wrapperIZN2at6native12_GLOBAL__N_124unique_dim_cuda_templateIN3c108BFloat16EEESt5tupleIJNSF_6TensorESM_SM_EERKSM_lbbbEUlllE0_EEPmJS9_EEE10hipError_tPvRmT3_T4_T5_T6_T7_T9_mT8_P12ihipStream_tbDpT10_ENKUlT_T0_E_clISt17integral_constantIbLb1EES1B_IbLb0EEEEDaS17_S18_EUlS17_E_NS1_11comp_targetILNS1_3genE8ELNS1_11target_archE1030ELNS1_3gpuE2ELNS1_3repE0EEENS1_30default_config_static_selectorELNS0_4arch9wavefront6targetE1EEEvT1_, .Lfunc_end1228-_ZN7rocprim17ROCPRIM_400000_NS6detail17trampoline_kernelINS0_14default_configENS1_25partition_config_selectorILNS1_17partition_subalgoE9EllbEEZZNS1_14partition_implILS5_9ELb0ES3_jPlS8_PNS0_10empty_typeENS0_5tupleIJS8_S9_EEENSB_IJS8_SA_EEENS0_18inequality_wrapperIZN2at6native12_GLOBAL__N_124unique_dim_cuda_templateIN3c108BFloat16EEESt5tupleIJNSF_6TensorESM_SM_EERKSM_lbbbEUlllE0_EEPmJS9_EEE10hipError_tPvRmT3_T4_T5_T6_T7_T9_mT8_P12ihipStream_tbDpT10_ENKUlT_T0_E_clISt17integral_constantIbLb1EES1B_IbLb0EEEEDaS17_S18_EUlS17_E_NS1_11comp_targetILNS1_3genE8ELNS1_11target_archE1030ELNS1_3gpuE2ELNS1_3repE0EEENS1_30default_config_static_selectorELNS0_4arch9wavefront6targetE1EEEvT1_
                                        ; -- End function
	.section	.AMDGPU.csdata,"",@progbits
; Kernel info:
; codeLenInByte = 0
; NumSgprs: 4
; NumVgprs: 0
; NumAgprs: 0
; TotalNumVgprs: 0
; ScratchSize: 0
; MemoryBound: 0
; FloatMode: 240
; IeeeMode: 1
; LDSByteSize: 0 bytes/workgroup (compile time only)
; SGPRBlocks: 0
; VGPRBlocks: 0
; NumSGPRsForWavesPerEU: 4
; NumVGPRsForWavesPerEU: 1
; AccumOffset: 4
; Occupancy: 8
; WaveLimiterHint : 0
; COMPUTE_PGM_RSRC2:SCRATCH_EN: 0
; COMPUTE_PGM_RSRC2:USER_SGPR: 6
; COMPUTE_PGM_RSRC2:TRAP_HANDLER: 0
; COMPUTE_PGM_RSRC2:TGID_X_EN: 1
; COMPUTE_PGM_RSRC2:TGID_Y_EN: 0
; COMPUTE_PGM_RSRC2:TGID_Z_EN: 0
; COMPUTE_PGM_RSRC2:TIDIG_COMP_CNT: 0
; COMPUTE_PGM_RSRC3_GFX90A:ACCUM_OFFSET: 0
; COMPUTE_PGM_RSRC3_GFX90A:TG_SPLIT: 0
	.section	.text._ZN7rocprim17ROCPRIM_400000_NS6detail17trampoline_kernelINS0_14default_configENS1_25partition_config_selectorILNS1_17partition_subalgoE9EllbEEZZNS1_14partition_implILS5_9ELb0ES3_jPlS8_PNS0_10empty_typeENS0_5tupleIJS8_S9_EEENSB_IJS8_SA_EEENS0_18inequality_wrapperIZN2at6native12_GLOBAL__N_124unique_dim_cuda_templateIN3c108BFloat16EEESt5tupleIJNSF_6TensorESM_SM_EERKSM_lbbbEUlllE0_EEPmJS9_EEE10hipError_tPvRmT3_T4_T5_T6_T7_T9_mT8_P12ihipStream_tbDpT10_ENKUlT_T0_E_clISt17integral_constantIbLb0EES1B_IbLb1EEEEDaS17_S18_EUlS17_E_NS1_11comp_targetILNS1_3genE0ELNS1_11target_archE4294967295ELNS1_3gpuE0ELNS1_3repE0EEENS1_30default_config_static_selectorELNS0_4arch9wavefront6targetE1EEEvT1_,"axG",@progbits,_ZN7rocprim17ROCPRIM_400000_NS6detail17trampoline_kernelINS0_14default_configENS1_25partition_config_selectorILNS1_17partition_subalgoE9EllbEEZZNS1_14partition_implILS5_9ELb0ES3_jPlS8_PNS0_10empty_typeENS0_5tupleIJS8_S9_EEENSB_IJS8_SA_EEENS0_18inequality_wrapperIZN2at6native12_GLOBAL__N_124unique_dim_cuda_templateIN3c108BFloat16EEESt5tupleIJNSF_6TensorESM_SM_EERKSM_lbbbEUlllE0_EEPmJS9_EEE10hipError_tPvRmT3_T4_T5_T6_T7_T9_mT8_P12ihipStream_tbDpT10_ENKUlT_T0_E_clISt17integral_constantIbLb0EES1B_IbLb1EEEEDaS17_S18_EUlS17_E_NS1_11comp_targetILNS1_3genE0ELNS1_11target_archE4294967295ELNS1_3gpuE0ELNS1_3repE0EEENS1_30default_config_static_selectorELNS0_4arch9wavefront6targetE1EEEvT1_,comdat
	.globl	_ZN7rocprim17ROCPRIM_400000_NS6detail17trampoline_kernelINS0_14default_configENS1_25partition_config_selectorILNS1_17partition_subalgoE9EllbEEZZNS1_14partition_implILS5_9ELb0ES3_jPlS8_PNS0_10empty_typeENS0_5tupleIJS8_S9_EEENSB_IJS8_SA_EEENS0_18inequality_wrapperIZN2at6native12_GLOBAL__N_124unique_dim_cuda_templateIN3c108BFloat16EEESt5tupleIJNSF_6TensorESM_SM_EERKSM_lbbbEUlllE0_EEPmJS9_EEE10hipError_tPvRmT3_T4_T5_T6_T7_T9_mT8_P12ihipStream_tbDpT10_ENKUlT_T0_E_clISt17integral_constantIbLb0EES1B_IbLb1EEEEDaS17_S18_EUlS17_E_NS1_11comp_targetILNS1_3genE0ELNS1_11target_archE4294967295ELNS1_3gpuE0ELNS1_3repE0EEENS1_30default_config_static_selectorELNS0_4arch9wavefront6targetE1EEEvT1_ ; -- Begin function _ZN7rocprim17ROCPRIM_400000_NS6detail17trampoline_kernelINS0_14default_configENS1_25partition_config_selectorILNS1_17partition_subalgoE9EllbEEZZNS1_14partition_implILS5_9ELb0ES3_jPlS8_PNS0_10empty_typeENS0_5tupleIJS8_S9_EEENSB_IJS8_SA_EEENS0_18inequality_wrapperIZN2at6native12_GLOBAL__N_124unique_dim_cuda_templateIN3c108BFloat16EEESt5tupleIJNSF_6TensorESM_SM_EERKSM_lbbbEUlllE0_EEPmJS9_EEE10hipError_tPvRmT3_T4_T5_T6_T7_T9_mT8_P12ihipStream_tbDpT10_ENKUlT_T0_E_clISt17integral_constantIbLb0EES1B_IbLb1EEEEDaS17_S18_EUlS17_E_NS1_11comp_targetILNS1_3genE0ELNS1_11target_archE4294967295ELNS1_3gpuE0ELNS1_3repE0EEENS1_30default_config_static_selectorELNS0_4arch9wavefront6targetE1EEEvT1_
	.p2align	8
	.type	_ZN7rocprim17ROCPRIM_400000_NS6detail17trampoline_kernelINS0_14default_configENS1_25partition_config_selectorILNS1_17partition_subalgoE9EllbEEZZNS1_14partition_implILS5_9ELb0ES3_jPlS8_PNS0_10empty_typeENS0_5tupleIJS8_S9_EEENSB_IJS8_SA_EEENS0_18inequality_wrapperIZN2at6native12_GLOBAL__N_124unique_dim_cuda_templateIN3c108BFloat16EEESt5tupleIJNSF_6TensorESM_SM_EERKSM_lbbbEUlllE0_EEPmJS9_EEE10hipError_tPvRmT3_T4_T5_T6_T7_T9_mT8_P12ihipStream_tbDpT10_ENKUlT_T0_E_clISt17integral_constantIbLb0EES1B_IbLb1EEEEDaS17_S18_EUlS17_E_NS1_11comp_targetILNS1_3genE0ELNS1_11target_archE4294967295ELNS1_3gpuE0ELNS1_3repE0EEENS1_30default_config_static_selectorELNS0_4arch9wavefront6targetE1EEEvT1_,@function
_ZN7rocprim17ROCPRIM_400000_NS6detail17trampoline_kernelINS0_14default_configENS1_25partition_config_selectorILNS1_17partition_subalgoE9EllbEEZZNS1_14partition_implILS5_9ELb0ES3_jPlS8_PNS0_10empty_typeENS0_5tupleIJS8_S9_EEENSB_IJS8_SA_EEENS0_18inequality_wrapperIZN2at6native12_GLOBAL__N_124unique_dim_cuda_templateIN3c108BFloat16EEESt5tupleIJNSF_6TensorESM_SM_EERKSM_lbbbEUlllE0_EEPmJS9_EEE10hipError_tPvRmT3_T4_T5_T6_T7_T9_mT8_P12ihipStream_tbDpT10_ENKUlT_T0_E_clISt17integral_constantIbLb0EES1B_IbLb1EEEEDaS17_S18_EUlS17_E_NS1_11comp_targetILNS1_3genE0ELNS1_11target_archE4294967295ELNS1_3gpuE0ELNS1_3repE0EEENS1_30default_config_static_selectorELNS0_4arch9wavefront6targetE1EEEvT1_: ; @_ZN7rocprim17ROCPRIM_400000_NS6detail17trampoline_kernelINS0_14default_configENS1_25partition_config_selectorILNS1_17partition_subalgoE9EllbEEZZNS1_14partition_implILS5_9ELb0ES3_jPlS8_PNS0_10empty_typeENS0_5tupleIJS8_S9_EEENSB_IJS8_SA_EEENS0_18inequality_wrapperIZN2at6native12_GLOBAL__N_124unique_dim_cuda_templateIN3c108BFloat16EEESt5tupleIJNSF_6TensorESM_SM_EERKSM_lbbbEUlllE0_EEPmJS9_EEE10hipError_tPvRmT3_T4_T5_T6_T7_T9_mT8_P12ihipStream_tbDpT10_ENKUlT_T0_E_clISt17integral_constantIbLb0EES1B_IbLb1EEEEDaS17_S18_EUlS17_E_NS1_11comp_targetILNS1_3genE0ELNS1_11target_archE4294967295ELNS1_3gpuE0ELNS1_3repE0EEENS1_30default_config_static_selectorELNS0_4arch9wavefront6targetE1EEEvT1_
; %bb.0:
	.section	.rodata,"a",@progbits
	.p2align	6, 0x0
	.amdhsa_kernel _ZN7rocprim17ROCPRIM_400000_NS6detail17trampoline_kernelINS0_14default_configENS1_25partition_config_selectorILNS1_17partition_subalgoE9EllbEEZZNS1_14partition_implILS5_9ELb0ES3_jPlS8_PNS0_10empty_typeENS0_5tupleIJS8_S9_EEENSB_IJS8_SA_EEENS0_18inequality_wrapperIZN2at6native12_GLOBAL__N_124unique_dim_cuda_templateIN3c108BFloat16EEESt5tupleIJNSF_6TensorESM_SM_EERKSM_lbbbEUlllE0_EEPmJS9_EEE10hipError_tPvRmT3_T4_T5_T6_T7_T9_mT8_P12ihipStream_tbDpT10_ENKUlT_T0_E_clISt17integral_constantIbLb0EES1B_IbLb1EEEEDaS17_S18_EUlS17_E_NS1_11comp_targetILNS1_3genE0ELNS1_11target_archE4294967295ELNS1_3gpuE0ELNS1_3repE0EEENS1_30default_config_static_selectorELNS0_4arch9wavefront6targetE1EEEvT1_
		.amdhsa_group_segment_fixed_size 0
		.amdhsa_private_segment_fixed_size 0
		.amdhsa_kernarg_size 136
		.amdhsa_user_sgpr_count 6
		.amdhsa_user_sgpr_private_segment_buffer 1
		.amdhsa_user_sgpr_dispatch_ptr 0
		.amdhsa_user_sgpr_queue_ptr 0
		.amdhsa_user_sgpr_kernarg_segment_ptr 1
		.amdhsa_user_sgpr_dispatch_id 0
		.amdhsa_user_sgpr_flat_scratch_init 0
		.amdhsa_user_sgpr_kernarg_preload_length 0
		.amdhsa_user_sgpr_kernarg_preload_offset 0
		.amdhsa_user_sgpr_private_segment_size 0
		.amdhsa_uses_dynamic_stack 0
		.amdhsa_system_sgpr_private_segment_wavefront_offset 0
		.amdhsa_system_sgpr_workgroup_id_x 1
		.amdhsa_system_sgpr_workgroup_id_y 0
		.amdhsa_system_sgpr_workgroup_id_z 0
		.amdhsa_system_sgpr_workgroup_info 0
		.amdhsa_system_vgpr_workitem_id 0
		.amdhsa_next_free_vgpr 1
		.amdhsa_next_free_sgpr 0
		.amdhsa_accum_offset 4
		.amdhsa_reserve_vcc 0
		.amdhsa_reserve_flat_scratch 0
		.amdhsa_float_round_mode_32 0
		.amdhsa_float_round_mode_16_64 0
		.amdhsa_float_denorm_mode_32 3
		.amdhsa_float_denorm_mode_16_64 3
		.amdhsa_dx10_clamp 1
		.amdhsa_ieee_mode 1
		.amdhsa_fp16_overflow 0
		.amdhsa_tg_split 0
		.amdhsa_exception_fp_ieee_invalid_op 0
		.amdhsa_exception_fp_denorm_src 0
		.amdhsa_exception_fp_ieee_div_zero 0
		.amdhsa_exception_fp_ieee_overflow 0
		.amdhsa_exception_fp_ieee_underflow 0
		.amdhsa_exception_fp_ieee_inexact 0
		.amdhsa_exception_int_div_zero 0
	.end_amdhsa_kernel
	.section	.text._ZN7rocprim17ROCPRIM_400000_NS6detail17trampoline_kernelINS0_14default_configENS1_25partition_config_selectorILNS1_17partition_subalgoE9EllbEEZZNS1_14partition_implILS5_9ELb0ES3_jPlS8_PNS0_10empty_typeENS0_5tupleIJS8_S9_EEENSB_IJS8_SA_EEENS0_18inequality_wrapperIZN2at6native12_GLOBAL__N_124unique_dim_cuda_templateIN3c108BFloat16EEESt5tupleIJNSF_6TensorESM_SM_EERKSM_lbbbEUlllE0_EEPmJS9_EEE10hipError_tPvRmT3_T4_T5_T6_T7_T9_mT8_P12ihipStream_tbDpT10_ENKUlT_T0_E_clISt17integral_constantIbLb0EES1B_IbLb1EEEEDaS17_S18_EUlS17_E_NS1_11comp_targetILNS1_3genE0ELNS1_11target_archE4294967295ELNS1_3gpuE0ELNS1_3repE0EEENS1_30default_config_static_selectorELNS0_4arch9wavefront6targetE1EEEvT1_,"axG",@progbits,_ZN7rocprim17ROCPRIM_400000_NS6detail17trampoline_kernelINS0_14default_configENS1_25partition_config_selectorILNS1_17partition_subalgoE9EllbEEZZNS1_14partition_implILS5_9ELb0ES3_jPlS8_PNS0_10empty_typeENS0_5tupleIJS8_S9_EEENSB_IJS8_SA_EEENS0_18inequality_wrapperIZN2at6native12_GLOBAL__N_124unique_dim_cuda_templateIN3c108BFloat16EEESt5tupleIJNSF_6TensorESM_SM_EERKSM_lbbbEUlllE0_EEPmJS9_EEE10hipError_tPvRmT3_T4_T5_T6_T7_T9_mT8_P12ihipStream_tbDpT10_ENKUlT_T0_E_clISt17integral_constantIbLb0EES1B_IbLb1EEEEDaS17_S18_EUlS17_E_NS1_11comp_targetILNS1_3genE0ELNS1_11target_archE4294967295ELNS1_3gpuE0ELNS1_3repE0EEENS1_30default_config_static_selectorELNS0_4arch9wavefront6targetE1EEEvT1_,comdat
.Lfunc_end1229:
	.size	_ZN7rocprim17ROCPRIM_400000_NS6detail17trampoline_kernelINS0_14default_configENS1_25partition_config_selectorILNS1_17partition_subalgoE9EllbEEZZNS1_14partition_implILS5_9ELb0ES3_jPlS8_PNS0_10empty_typeENS0_5tupleIJS8_S9_EEENSB_IJS8_SA_EEENS0_18inequality_wrapperIZN2at6native12_GLOBAL__N_124unique_dim_cuda_templateIN3c108BFloat16EEESt5tupleIJNSF_6TensorESM_SM_EERKSM_lbbbEUlllE0_EEPmJS9_EEE10hipError_tPvRmT3_T4_T5_T6_T7_T9_mT8_P12ihipStream_tbDpT10_ENKUlT_T0_E_clISt17integral_constantIbLb0EES1B_IbLb1EEEEDaS17_S18_EUlS17_E_NS1_11comp_targetILNS1_3genE0ELNS1_11target_archE4294967295ELNS1_3gpuE0ELNS1_3repE0EEENS1_30default_config_static_selectorELNS0_4arch9wavefront6targetE1EEEvT1_, .Lfunc_end1229-_ZN7rocprim17ROCPRIM_400000_NS6detail17trampoline_kernelINS0_14default_configENS1_25partition_config_selectorILNS1_17partition_subalgoE9EllbEEZZNS1_14partition_implILS5_9ELb0ES3_jPlS8_PNS0_10empty_typeENS0_5tupleIJS8_S9_EEENSB_IJS8_SA_EEENS0_18inequality_wrapperIZN2at6native12_GLOBAL__N_124unique_dim_cuda_templateIN3c108BFloat16EEESt5tupleIJNSF_6TensorESM_SM_EERKSM_lbbbEUlllE0_EEPmJS9_EEE10hipError_tPvRmT3_T4_T5_T6_T7_T9_mT8_P12ihipStream_tbDpT10_ENKUlT_T0_E_clISt17integral_constantIbLb0EES1B_IbLb1EEEEDaS17_S18_EUlS17_E_NS1_11comp_targetILNS1_3genE0ELNS1_11target_archE4294967295ELNS1_3gpuE0ELNS1_3repE0EEENS1_30default_config_static_selectorELNS0_4arch9wavefront6targetE1EEEvT1_
                                        ; -- End function
	.section	.AMDGPU.csdata,"",@progbits
; Kernel info:
; codeLenInByte = 0
; NumSgprs: 4
; NumVgprs: 0
; NumAgprs: 0
; TotalNumVgprs: 0
; ScratchSize: 0
; MemoryBound: 0
; FloatMode: 240
; IeeeMode: 1
; LDSByteSize: 0 bytes/workgroup (compile time only)
; SGPRBlocks: 0
; VGPRBlocks: 0
; NumSGPRsForWavesPerEU: 4
; NumVGPRsForWavesPerEU: 1
; AccumOffset: 4
; Occupancy: 8
; WaveLimiterHint : 0
; COMPUTE_PGM_RSRC2:SCRATCH_EN: 0
; COMPUTE_PGM_RSRC2:USER_SGPR: 6
; COMPUTE_PGM_RSRC2:TRAP_HANDLER: 0
; COMPUTE_PGM_RSRC2:TGID_X_EN: 1
; COMPUTE_PGM_RSRC2:TGID_Y_EN: 0
; COMPUTE_PGM_RSRC2:TGID_Z_EN: 0
; COMPUTE_PGM_RSRC2:TIDIG_COMP_CNT: 0
; COMPUTE_PGM_RSRC3_GFX90A:ACCUM_OFFSET: 0
; COMPUTE_PGM_RSRC3_GFX90A:TG_SPLIT: 0
	.section	.text._ZN7rocprim17ROCPRIM_400000_NS6detail17trampoline_kernelINS0_14default_configENS1_25partition_config_selectorILNS1_17partition_subalgoE9EllbEEZZNS1_14partition_implILS5_9ELb0ES3_jPlS8_PNS0_10empty_typeENS0_5tupleIJS8_S9_EEENSB_IJS8_SA_EEENS0_18inequality_wrapperIZN2at6native12_GLOBAL__N_124unique_dim_cuda_templateIN3c108BFloat16EEESt5tupleIJNSF_6TensorESM_SM_EERKSM_lbbbEUlllE0_EEPmJS9_EEE10hipError_tPvRmT3_T4_T5_T6_T7_T9_mT8_P12ihipStream_tbDpT10_ENKUlT_T0_E_clISt17integral_constantIbLb0EES1B_IbLb1EEEEDaS17_S18_EUlS17_E_NS1_11comp_targetILNS1_3genE5ELNS1_11target_archE942ELNS1_3gpuE9ELNS1_3repE0EEENS1_30default_config_static_selectorELNS0_4arch9wavefront6targetE1EEEvT1_,"axG",@progbits,_ZN7rocprim17ROCPRIM_400000_NS6detail17trampoline_kernelINS0_14default_configENS1_25partition_config_selectorILNS1_17partition_subalgoE9EllbEEZZNS1_14partition_implILS5_9ELb0ES3_jPlS8_PNS0_10empty_typeENS0_5tupleIJS8_S9_EEENSB_IJS8_SA_EEENS0_18inequality_wrapperIZN2at6native12_GLOBAL__N_124unique_dim_cuda_templateIN3c108BFloat16EEESt5tupleIJNSF_6TensorESM_SM_EERKSM_lbbbEUlllE0_EEPmJS9_EEE10hipError_tPvRmT3_T4_T5_T6_T7_T9_mT8_P12ihipStream_tbDpT10_ENKUlT_T0_E_clISt17integral_constantIbLb0EES1B_IbLb1EEEEDaS17_S18_EUlS17_E_NS1_11comp_targetILNS1_3genE5ELNS1_11target_archE942ELNS1_3gpuE9ELNS1_3repE0EEENS1_30default_config_static_selectorELNS0_4arch9wavefront6targetE1EEEvT1_,comdat
	.globl	_ZN7rocprim17ROCPRIM_400000_NS6detail17trampoline_kernelINS0_14default_configENS1_25partition_config_selectorILNS1_17partition_subalgoE9EllbEEZZNS1_14partition_implILS5_9ELb0ES3_jPlS8_PNS0_10empty_typeENS0_5tupleIJS8_S9_EEENSB_IJS8_SA_EEENS0_18inequality_wrapperIZN2at6native12_GLOBAL__N_124unique_dim_cuda_templateIN3c108BFloat16EEESt5tupleIJNSF_6TensorESM_SM_EERKSM_lbbbEUlllE0_EEPmJS9_EEE10hipError_tPvRmT3_T4_T5_T6_T7_T9_mT8_P12ihipStream_tbDpT10_ENKUlT_T0_E_clISt17integral_constantIbLb0EES1B_IbLb1EEEEDaS17_S18_EUlS17_E_NS1_11comp_targetILNS1_3genE5ELNS1_11target_archE942ELNS1_3gpuE9ELNS1_3repE0EEENS1_30default_config_static_selectorELNS0_4arch9wavefront6targetE1EEEvT1_ ; -- Begin function _ZN7rocprim17ROCPRIM_400000_NS6detail17trampoline_kernelINS0_14default_configENS1_25partition_config_selectorILNS1_17partition_subalgoE9EllbEEZZNS1_14partition_implILS5_9ELb0ES3_jPlS8_PNS0_10empty_typeENS0_5tupleIJS8_S9_EEENSB_IJS8_SA_EEENS0_18inequality_wrapperIZN2at6native12_GLOBAL__N_124unique_dim_cuda_templateIN3c108BFloat16EEESt5tupleIJNSF_6TensorESM_SM_EERKSM_lbbbEUlllE0_EEPmJS9_EEE10hipError_tPvRmT3_T4_T5_T6_T7_T9_mT8_P12ihipStream_tbDpT10_ENKUlT_T0_E_clISt17integral_constantIbLb0EES1B_IbLb1EEEEDaS17_S18_EUlS17_E_NS1_11comp_targetILNS1_3genE5ELNS1_11target_archE942ELNS1_3gpuE9ELNS1_3repE0EEENS1_30default_config_static_selectorELNS0_4arch9wavefront6targetE1EEEvT1_
	.p2align	8
	.type	_ZN7rocprim17ROCPRIM_400000_NS6detail17trampoline_kernelINS0_14default_configENS1_25partition_config_selectorILNS1_17partition_subalgoE9EllbEEZZNS1_14partition_implILS5_9ELb0ES3_jPlS8_PNS0_10empty_typeENS0_5tupleIJS8_S9_EEENSB_IJS8_SA_EEENS0_18inequality_wrapperIZN2at6native12_GLOBAL__N_124unique_dim_cuda_templateIN3c108BFloat16EEESt5tupleIJNSF_6TensorESM_SM_EERKSM_lbbbEUlllE0_EEPmJS9_EEE10hipError_tPvRmT3_T4_T5_T6_T7_T9_mT8_P12ihipStream_tbDpT10_ENKUlT_T0_E_clISt17integral_constantIbLb0EES1B_IbLb1EEEEDaS17_S18_EUlS17_E_NS1_11comp_targetILNS1_3genE5ELNS1_11target_archE942ELNS1_3gpuE9ELNS1_3repE0EEENS1_30default_config_static_selectorELNS0_4arch9wavefront6targetE1EEEvT1_,@function
_ZN7rocprim17ROCPRIM_400000_NS6detail17trampoline_kernelINS0_14default_configENS1_25partition_config_selectorILNS1_17partition_subalgoE9EllbEEZZNS1_14partition_implILS5_9ELb0ES3_jPlS8_PNS0_10empty_typeENS0_5tupleIJS8_S9_EEENSB_IJS8_SA_EEENS0_18inequality_wrapperIZN2at6native12_GLOBAL__N_124unique_dim_cuda_templateIN3c108BFloat16EEESt5tupleIJNSF_6TensorESM_SM_EERKSM_lbbbEUlllE0_EEPmJS9_EEE10hipError_tPvRmT3_T4_T5_T6_T7_T9_mT8_P12ihipStream_tbDpT10_ENKUlT_T0_E_clISt17integral_constantIbLb0EES1B_IbLb1EEEEDaS17_S18_EUlS17_E_NS1_11comp_targetILNS1_3genE5ELNS1_11target_archE942ELNS1_3gpuE9ELNS1_3repE0EEENS1_30default_config_static_selectorELNS0_4arch9wavefront6targetE1EEEvT1_: ; @_ZN7rocprim17ROCPRIM_400000_NS6detail17trampoline_kernelINS0_14default_configENS1_25partition_config_selectorILNS1_17partition_subalgoE9EllbEEZZNS1_14partition_implILS5_9ELb0ES3_jPlS8_PNS0_10empty_typeENS0_5tupleIJS8_S9_EEENSB_IJS8_SA_EEENS0_18inequality_wrapperIZN2at6native12_GLOBAL__N_124unique_dim_cuda_templateIN3c108BFloat16EEESt5tupleIJNSF_6TensorESM_SM_EERKSM_lbbbEUlllE0_EEPmJS9_EEE10hipError_tPvRmT3_T4_T5_T6_T7_T9_mT8_P12ihipStream_tbDpT10_ENKUlT_T0_E_clISt17integral_constantIbLb0EES1B_IbLb1EEEEDaS17_S18_EUlS17_E_NS1_11comp_targetILNS1_3genE5ELNS1_11target_archE942ELNS1_3gpuE9ELNS1_3repE0EEENS1_30default_config_static_selectorELNS0_4arch9wavefront6targetE1EEEvT1_
; %bb.0:
	.section	.rodata,"a",@progbits
	.p2align	6, 0x0
	.amdhsa_kernel _ZN7rocprim17ROCPRIM_400000_NS6detail17trampoline_kernelINS0_14default_configENS1_25partition_config_selectorILNS1_17partition_subalgoE9EllbEEZZNS1_14partition_implILS5_9ELb0ES3_jPlS8_PNS0_10empty_typeENS0_5tupleIJS8_S9_EEENSB_IJS8_SA_EEENS0_18inequality_wrapperIZN2at6native12_GLOBAL__N_124unique_dim_cuda_templateIN3c108BFloat16EEESt5tupleIJNSF_6TensorESM_SM_EERKSM_lbbbEUlllE0_EEPmJS9_EEE10hipError_tPvRmT3_T4_T5_T6_T7_T9_mT8_P12ihipStream_tbDpT10_ENKUlT_T0_E_clISt17integral_constantIbLb0EES1B_IbLb1EEEEDaS17_S18_EUlS17_E_NS1_11comp_targetILNS1_3genE5ELNS1_11target_archE942ELNS1_3gpuE9ELNS1_3repE0EEENS1_30default_config_static_selectorELNS0_4arch9wavefront6targetE1EEEvT1_
		.amdhsa_group_segment_fixed_size 0
		.amdhsa_private_segment_fixed_size 0
		.amdhsa_kernarg_size 136
		.amdhsa_user_sgpr_count 6
		.amdhsa_user_sgpr_private_segment_buffer 1
		.amdhsa_user_sgpr_dispatch_ptr 0
		.amdhsa_user_sgpr_queue_ptr 0
		.amdhsa_user_sgpr_kernarg_segment_ptr 1
		.amdhsa_user_sgpr_dispatch_id 0
		.amdhsa_user_sgpr_flat_scratch_init 0
		.amdhsa_user_sgpr_kernarg_preload_length 0
		.amdhsa_user_sgpr_kernarg_preload_offset 0
		.amdhsa_user_sgpr_private_segment_size 0
		.amdhsa_uses_dynamic_stack 0
		.amdhsa_system_sgpr_private_segment_wavefront_offset 0
		.amdhsa_system_sgpr_workgroup_id_x 1
		.amdhsa_system_sgpr_workgroup_id_y 0
		.amdhsa_system_sgpr_workgroup_id_z 0
		.amdhsa_system_sgpr_workgroup_info 0
		.amdhsa_system_vgpr_workitem_id 0
		.amdhsa_next_free_vgpr 1
		.amdhsa_next_free_sgpr 0
		.amdhsa_accum_offset 4
		.amdhsa_reserve_vcc 0
		.amdhsa_reserve_flat_scratch 0
		.amdhsa_float_round_mode_32 0
		.amdhsa_float_round_mode_16_64 0
		.amdhsa_float_denorm_mode_32 3
		.amdhsa_float_denorm_mode_16_64 3
		.amdhsa_dx10_clamp 1
		.amdhsa_ieee_mode 1
		.amdhsa_fp16_overflow 0
		.amdhsa_tg_split 0
		.amdhsa_exception_fp_ieee_invalid_op 0
		.amdhsa_exception_fp_denorm_src 0
		.amdhsa_exception_fp_ieee_div_zero 0
		.amdhsa_exception_fp_ieee_overflow 0
		.amdhsa_exception_fp_ieee_underflow 0
		.amdhsa_exception_fp_ieee_inexact 0
		.amdhsa_exception_int_div_zero 0
	.end_amdhsa_kernel
	.section	.text._ZN7rocprim17ROCPRIM_400000_NS6detail17trampoline_kernelINS0_14default_configENS1_25partition_config_selectorILNS1_17partition_subalgoE9EllbEEZZNS1_14partition_implILS5_9ELb0ES3_jPlS8_PNS0_10empty_typeENS0_5tupleIJS8_S9_EEENSB_IJS8_SA_EEENS0_18inequality_wrapperIZN2at6native12_GLOBAL__N_124unique_dim_cuda_templateIN3c108BFloat16EEESt5tupleIJNSF_6TensorESM_SM_EERKSM_lbbbEUlllE0_EEPmJS9_EEE10hipError_tPvRmT3_T4_T5_T6_T7_T9_mT8_P12ihipStream_tbDpT10_ENKUlT_T0_E_clISt17integral_constantIbLb0EES1B_IbLb1EEEEDaS17_S18_EUlS17_E_NS1_11comp_targetILNS1_3genE5ELNS1_11target_archE942ELNS1_3gpuE9ELNS1_3repE0EEENS1_30default_config_static_selectorELNS0_4arch9wavefront6targetE1EEEvT1_,"axG",@progbits,_ZN7rocprim17ROCPRIM_400000_NS6detail17trampoline_kernelINS0_14default_configENS1_25partition_config_selectorILNS1_17partition_subalgoE9EllbEEZZNS1_14partition_implILS5_9ELb0ES3_jPlS8_PNS0_10empty_typeENS0_5tupleIJS8_S9_EEENSB_IJS8_SA_EEENS0_18inequality_wrapperIZN2at6native12_GLOBAL__N_124unique_dim_cuda_templateIN3c108BFloat16EEESt5tupleIJNSF_6TensorESM_SM_EERKSM_lbbbEUlllE0_EEPmJS9_EEE10hipError_tPvRmT3_T4_T5_T6_T7_T9_mT8_P12ihipStream_tbDpT10_ENKUlT_T0_E_clISt17integral_constantIbLb0EES1B_IbLb1EEEEDaS17_S18_EUlS17_E_NS1_11comp_targetILNS1_3genE5ELNS1_11target_archE942ELNS1_3gpuE9ELNS1_3repE0EEENS1_30default_config_static_selectorELNS0_4arch9wavefront6targetE1EEEvT1_,comdat
.Lfunc_end1230:
	.size	_ZN7rocprim17ROCPRIM_400000_NS6detail17trampoline_kernelINS0_14default_configENS1_25partition_config_selectorILNS1_17partition_subalgoE9EllbEEZZNS1_14partition_implILS5_9ELb0ES3_jPlS8_PNS0_10empty_typeENS0_5tupleIJS8_S9_EEENSB_IJS8_SA_EEENS0_18inequality_wrapperIZN2at6native12_GLOBAL__N_124unique_dim_cuda_templateIN3c108BFloat16EEESt5tupleIJNSF_6TensorESM_SM_EERKSM_lbbbEUlllE0_EEPmJS9_EEE10hipError_tPvRmT3_T4_T5_T6_T7_T9_mT8_P12ihipStream_tbDpT10_ENKUlT_T0_E_clISt17integral_constantIbLb0EES1B_IbLb1EEEEDaS17_S18_EUlS17_E_NS1_11comp_targetILNS1_3genE5ELNS1_11target_archE942ELNS1_3gpuE9ELNS1_3repE0EEENS1_30default_config_static_selectorELNS0_4arch9wavefront6targetE1EEEvT1_, .Lfunc_end1230-_ZN7rocprim17ROCPRIM_400000_NS6detail17trampoline_kernelINS0_14default_configENS1_25partition_config_selectorILNS1_17partition_subalgoE9EllbEEZZNS1_14partition_implILS5_9ELb0ES3_jPlS8_PNS0_10empty_typeENS0_5tupleIJS8_S9_EEENSB_IJS8_SA_EEENS0_18inequality_wrapperIZN2at6native12_GLOBAL__N_124unique_dim_cuda_templateIN3c108BFloat16EEESt5tupleIJNSF_6TensorESM_SM_EERKSM_lbbbEUlllE0_EEPmJS9_EEE10hipError_tPvRmT3_T4_T5_T6_T7_T9_mT8_P12ihipStream_tbDpT10_ENKUlT_T0_E_clISt17integral_constantIbLb0EES1B_IbLb1EEEEDaS17_S18_EUlS17_E_NS1_11comp_targetILNS1_3genE5ELNS1_11target_archE942ELNS1_3gpuE9ELNS1_3repE0EEENS1_30default_config_static_selectorELNS0_4arch9wavefront6targetE1EEEvT1_
                                        ; -- End function
	.section	.AMDGPU.csdata,"",@progbits
; Kernel info:
; codeLenInByte = 0
; NumSgprs: 4
; NumVgprs: 0
; NumAgprs: 0
; TotalNumVgprs: 0
; ScratchSize: 0
; MemoryBound: 0
; FloatMode: 240
; IeeeMode: 1
; LDSByteSize: 0 bytes/workgroup (compile time only)
; SGPRBlocks: 0
; VGPRBlocks: 0
; NumSGPRsForWavesPerEU: 4
; NumVGPRsForWavesPerEU: 1
; AccumOffset: 4
; Occupancy: 8
; WaveLimiterHint : 0
; COMPUTE_PGM_RSRC2:SCRATCH_EN: 0
; COMPUTE_PGM_RSRC2:USER_SGPR: 6
; COMPUTE_PGM_RSRC2:TRAP_HANDLER: 0
; COMPUTE_PGM_RSRC2:TGID_X_EN: 1
; COMPUTE_PGM_RSRC2:TGID_Y_EN: 0
; COMPUTE_PGM_RSRC2:TGID_Z_EN: 0
; COMPUTE_PGM_RSRC2:TIDIG_COMP_CNT: 0
; COMPUTE_PGM_RSRC3_GFX90A:ACCUM_OFFSET: 0
; COMPUTE_PGM_RSRC3_GFX90A:TG_SPLIT: 0
	.section	.text._ZN7rocprim17ROCPRIM_400000_NS6detail17trampoline_kernelINS0_14default_configENS1_25partition_config_selectorILNS1_17partition_subalgoE9EllbEEZZNS1_14partition_implILS5_9ELb0ES3_jPlS8_PNS0_10empty_typeENS0_5tupleIJS8_S9_EEENSB_IJS8_SA_EEENS0_18inequality_wrapperIZN2at6native12_GLOBAL__N_124unique_dim_cuda_templateIN3c108BFloat16EEESt5tupleIJNSF_6TensorESM_SM_EERKSM_lbbbEUlllE0_EEPmJS9_EEE10hipError_tPvRmT3_T4_T5_T6_T7_T9_mT8_P12ihipStream_tbDpT10_ENKUlT_T0_E_clISt17integral_constantIbLb0EES1B_IbLb1EEEEDaS17_S18_EUlS17_E_NS1_11comp_targetILNS1_3genE4ELNS1_11target_archE910ELNS1_3gpuE8ELNS1_3repE0EEENS1_30default_config_static_selectorELNS0_4arch9wavefront6targetE1EEEvT1_,"axG",@progbits,_ZN7rocprim17ROCPRIM_400000_NS6detail17trampoline_kernelINS0_14default_configENS1_25partition_config_selectorILNS1_17partition_subalgoE9EllbEEZZNS1_14partition_implILS5_9ELb0ES3_jPlS8_PNS0_10empty_typeENS0_5tupleIJS8_S9_EEENSB_IJS8_SA_EEENS0_18inequality_wrapperIZN2at6native12_GLOBAL__N_124unique_dim_cuda_templateIN3c108BFloat16EEESt5tupleIJNSF_6TensorESM_SM_EERKSM_lbbbEUlllE0_EEPmJS9_EEE10hipError_tPvRmT3_T4_T5_T6_T7_T9_mT8_P12ihipStream_tbDpT10_ENKUlT_T0_E_clISt17integral_constantIbLb0EES1B_IbLb1EEEEDaS17_S18_EUlS17_E_NS1_11comp_targetILNS1_3genE4ELNS1_11target_archE910ELNS1_3gpuE8ELNS1_3repE0EEENS1_30default_config_static_selectorELNS0_4arch9wavefront6targetE1EEEvT1_,comdat
	.globl	_ZN7rocprim17ROCPRIM_400000_NS6detail17trampoline_kernelINS0_14default_configENS1_25partition_config_selectorILNS1_17partition_subalgoE9EllbEEZZNS1_14partition_implILS5_9ELb0ES3_jPlS8_PNS0_10empty_typeENS0_5tupleIJS8_S9_EEENSB_IJS8_SA_EEENS0_18inequality_wrapperIZN2at6native12_GLOBAL__N_124unique_dim_cuda_templateIN3c108BFloat16EEESt5tupleIJNSF_6TensorESM_SM_EERKSM_lbbbEUlllE0_EEPmJS9_EEE10hipError_tPvRmT3_T4_T5_T6_T7_T9_mT8_P12ihipStream_tbDpT10_ENKUlT_T0_E_clISt17integral_constantIbLb0EES1B_IbLb1EEEEDaS17_S18_EUlS17_E_NS1_11comp_targetILNS1_3genE4ELNS1_11target_archE910ELNS1_3gpuE8ELNS1_3repE0EEENS1_30default_config_static_selectorELNS0_4arch9wavefront6targetE1EEEvT1_ ; -- Begin function _ZN7rocprim17ROCPRIM_400000_NS6detail17trampoline_kernelINS0_14default_configENS1_25partition_config_selectorILNS1_17partition_subalgoE9EllbEEZZNS1_14partition_implILS5_9ELb0ES3_jPlS8_PNS0_10empty_typeENS0_5tupleIJS8_S9_EEENSB_IJS8_SA_EEENS0_18inequality_wrapperIZN2at6native12_GLOBAL__N_124unique_dim_cuda_templateIN3c108BFloat16EEESt5tupleIJNSF_6TensorESM_SM_EERKSM_lbbbEUlllE0_EEPmJS9_EEE10hipError_tPvRmT3_T4_T5_T6_T7_T9_mT8_P12ihipStream_tbDpT10_ENKUlT_T0_E_clISt17integral_constantIbLb0EES1B_IbLb1EEEEDaS17_S18_EUlS17_E_NS1_11comp_targetILNS1_3genE4ELNS1_11target_archE910ELNS1_3gpuE8ELNS1_3repE0EEENS1_30default_config_static_selectorELNS0_4arch9wavefront6targetE1EEEvT1_
	.p2align	8
	.type	_ZN7rocprim17ROCPRIM_400000_NS6detail17trampoline_kernelINS0_14default_configENS1_25partition_config_selectorILNS1_17partition_subalgoE9EllbEEZZNS1_14partition_implILS5_9ELb0ES3_jPlS8_PNS0_10empty_typeENS0_5tupleIJS8_S9_EEENSB_IJS8_SA_EEENS0_18inequality_wrapperIZN2at6native12_GLOBAL__N_124unique_dim_cuda_templateIN3c108BFloat16EEESt5tupleIJNSF_6TensorESM_SM_EERKSM_lbbbEUlllE0_EEPmJS9_EEE10hipError_tPvRmT3_T4_T5_T6_T7_T9_mT8_P12ihipStream_tbDpT10_ENKUlT_T0_E_clISt17integral_constantIbLb0EES1B_IbLb1EEEEDaS17_S18_EUlS17_E_NS1_11comp_targetILNS1_3genE4ELNS1_11target_archE910ELNS1_3gpuE8ELNS1_3repE0EEENS1_30default_config_static_selectorELNS0_4arch9wavefront6targetE1EEEvT1_,@function
_ZN7rocprim17ROCPRIM_400000_NS6detail17trampoline_kernelINS0_14default_configENS1_25partition_config_selectorILNS1_17partition_subalgoE9EllbEEZZNS1_14partition_implILS5_9ELb0ES3_jPlS8_PNS0_10empty_typeENS0_5tupleIJS8_S9_EEENSB_IJS8_SA_EEENS0_18inequality_wrapperIZN2at6native12_GLOBAL__N_124unique_dim_cuda_templateIN3c108BFloat16EEESt5tupleIJNSF_6TensorESM_SM_EERKSM_lbbbEUlllE0_EEPmJS9_EEE10hipError_tPvRmT3_T4_T5_T6_T7_T9_mT8_P12ihipStream_tbDpT10_ENKUlT_T0_E_clISt17integral_constantIbLb0EES1B_IbLb1EEEEDaS17_S18_EUlS17_E_NS1_11comp_targetILNS1_3genE4ELNS1_11target_archE910ELNS1_3gpuE8ELNS1_3repE0EEENS1_30default_config_static_selectorELNS0_4arch9wavefront6targetE1EEEvT1_: ; @_ZN7rocprim17ROCPRIM_400000_NS6detail17trampoline_kernelINS0_14default_configENS1_25partition_config_selectorILNS1_17partition_subalgoE9EllbEEZZNS1_14partition_implILS5_9ELb0ES3_jPlS8_PNS0_10empty_typeENS0_5tupleIJS8_S9_EEENSB_IJS8_SA_EEENS0_18inequality_wrapperIZN2at6native12_GLOBAL__N_124unique_dim_cuda_templateIN3c108BFloat16EEESt5tupleIJNSF_6TensorESM_SM_EERKSM_lbbbEUlllE0_EEPmJS9_EEE10hipError_tPvRmT3_T4_T5_T6_T7_T9_mT8_P12ihipStream_tbDpT10_ENKUlT_T0_E_clISt17integral_constantIbLb0EES1B_IbLb1EEEEDaS17_S18_EUlS17_E_NS1_11comp_targetILNS1_3genE4ELNS1_11target_archE910ELNS1_3gpuE8ELNS1_3repE0EEENS1_30default_config_static_selectorELNS0_4arch9wavefront6targetE1EEEvT1_
; %bb.0:
	s_load_dwordx4 s[8:11], s[4:5], 0x8
	s_load_dwordx2 s[14:15], s[4:5], 0x18
	s_load_dwordx8 s[20:27], s[4:5], 0x40
	s_load_dwordx4 s[16:19], s[4:5], 0x60
	v_cmp_ne_u32_e64 s[2:3], 0, v0
	v_cmp_eq_u32_e64 s[0:1], 0, v0
	s_and_saveexec_b64 s[6:7], s[0:1]
	s_cbranch_execz .LBB1231_4
; %bb.1:
	s_mov_b64 s[28:29], exec
	v_mbcnt_lo_u32_b32 v1, s28, 0
	v_mbcnt_hi_u32_b32 v1, s29, v1
	v_cmp_eq_u32_e32 vcc, 0, v1
                                        ; implicit-def: $vgpr2
	s_and_saveexec_b64 s[12:13], vcc
	s_cbranch_execz .LBB1231_3
; %bb.2:
	s_load_dwordx2 s[30:31], s[4:5], 0x78
	s_bcnt1_i32_b64 s28, s[28:29]
	v_mov_b32_e32 v2, 0
	v_mov_b32_e32 v3, s28
	s_waitcnt lgkmcnt(0)
	global_atomic_add v2, v2, v3, s[30:31] glc
.LBB1231_3:
	s_or_b64 exec, exec, s[12:13]
	s_waitcnt vmcnt(0)
	v_readfirstlane_b32 s12, v2
	v_add_u32_e32 v1, s12, v1
	v_mov_b32_e32 v2, 0
	ds_write_b32 v2, v1
.LBB1231_4:
	s_or_b64 exec, exec, s[6:7]
	v_mov_b32_e32 v1, 0
	s_load_dwordx4 s[28:31], s[4:5], 0x28
	s_load_dword s6, s[4:5], 0x70
	s_waitcnt lgkmcnt(0)
	s_barrier
	ds_read_b32 v6, v1
	s_waitcnt lgkmcnt(0)
	s_barrier
	global_load_dwordx2 v[2:3], v1, s[22:23]
	s_lshl_b64 s[36:37], s[10:11], 3
	s_add_u32 s22, s8, s36
	s_addc_u32 s23, s9, s37
	s_add_i32 s12, s6, -1
	s_lshl_b32 s8, s6, 9
	s_lshl_b32 s6, s12, 9
	s_add_i32 s6, s10, s6
	v_readfirstlane_b32 s33, v6
	s_sub_i32 s48, s24, s6
	s_lshl_b32 s6, s33, 9
	s_add_u32 s8, s10, s8
	s_addc_u32 s9, s11, 0
	v_mov_b32_e32 v4, s24
	v_mov_b32_e32 v5, s25
	s_cmp_eq_u32 s33, s12
	v_cmp_ge_u64_e32 vcc, s[8:9], v[4:5]
	s_cselect_b64 s[24:25], -1, 0
	s_mov_b32 s7, 0
	s_and_b64 s[12:13], vcc, s[24:25]
	s_lshl_b64 s[8:9], s[6:7], 3
	s_xor_b64 s[34:35], s[12:13], -1
	s_add_u32 s6, s22, s8
	s_mov_b64 s[4:5], -1
	v_lshrrev_b32_e32 v18, 2, v0
	s_addc_u32 s7, s23, s9
	s_and_b64 vcc, exec, s[34:35]
	s_waitcnt vmcnt(0)
	v_readfirstlane_b32 s22, v2
	v_readfirstlane_b32 s23, v3
	s_cbranch_vccz .LBB1231_6
; %bb.5:
	v_lshlrev_b32_e32 v1, 3, v0
	global_load_dwordx2 v[2:3], v1, s[6:7]
	global_load_dwordx2 v[4:5], v1, s[6:7] offset:1024
	global_load_dwordx2 v[6:7], v1, s[6:7] offset:2048
	;; [unrolled: 1-line block ×3, first 2 shown]
	v_or_b32_e32 v11, 0x80, v0
	v_or_b32_e32 v12, 0x100, v0
	;; [unrolled: 1-line block ×3, first 2 shown]
	v_and_b32_e32 v10, 24, v18
	v_lshrrev_b32_e32 v11, 2, v11
	v_lshrrev_b32_e32 v12, 2, v12
	;; [unrolled: 1-line block ×3, first 2 shown]
	v_add_u32_e32 v10, v10, v1
	v_and_b32_e32 v11, 56, v11
	v_and_b32_e32 v12, 0x58, v12
	;; [unrolled: 1-line block ×3, first 2 shown]
	v_add_u32_e32 v11, v11, v1
	v_add_u32_e32 v12, v12, v1
	;; [unrolled: 1-line block ×3, first 2 shown]
	s_mov_b64 s[4:5], 0
	s_waitcnt vmcnt(3)
	ds_write_b64 v10, v[2:3]
	s_waitcnt vmcnt(2)
	ds_write_b64 v11, v[4:5] offset:1024
	s_waitcnt vmcnt(1)
	ds_write_b64 v12, v[6:7] offset:2048
	;; [unrolled: 2-line block ×3, first 2 shown]
	s_waitcnt lgkmcnt(0)
	s_barrier
.LBB1231_6:
	s_andn2_b64 vcc, exec, s[4:5]
	v_cmp_gt_u32_e64 s[4:5], s48, v0
	s_cbranch_vccnz .LBB1231_16
; %bb.7:
                                        ; implicit-def: $vgpr2_vgpr3_vgpr4_vgpr5_vgpr6_vgpr7_vgpr8_vgpr9
	s_and_saveexec_b64 s[38:39], s[4:5]
	s_cbranch_execz .LBB1231_9
; %bb.8:
	v_lshlrev_b32_e32 v1, 3, v0
	global_load_dwordx2 v[2:3], v1, s[6:7]
.LBB1231_9:
	s_or_b64 exec, exec, s[38:39]
	v_or_b32_e32 v1, 0x80, v0
	v_cmp_gt_u32_e32 vcc, s48, v1
	s_and_saveexec_b64 s[4:5], vcc
	s_cbranch_execz .LBB1231_11
; %bb.10:
	v_lshlrev_b32_e32 v4, 3, v0
	global_load_dwordx2 v[4:5], v4, s[6:7] offset:1024
.LBB1231_11:
	s_or_b64 exec, exec, s[4:5]
	v_or_b32_e32 v10, 0x100, v0
	v_cmp_gt_u32_e32 vcc, s48, v10
	s_and_saveexec_b64 s[4:5], vcc
	s_cbranch_execz .LBB1231_13
; %bb.12:
	v_lshlrev_b32_e32 v6, 3, v0
	global_load_dwordx2 v[6:7], v6, s[6:7] offset:2048
.LBB1231_13:
	;; [unrolled: 9-line block ×3, first 2 shown]
	s_or_b64 exec, exec, s[4:5]
	v_lshrrev_b32_e32 v1, 2, v1
	v_lshlrev_b32_e32 v13, 3, v0
	v_and_b32_e32 v1, 56, v1
	v_add_u32_e32 v1, v1, v13
	s_waitcnt vmcnt(0)
	ds_write_b64 v1, v[4:5] offset:1024
	v_lshrrev_b32_e32 v1, 2, v10
	v_and_b32_e32 v1, 0x78, v1
	v_add_u32_e32 v1, v1, v13
	ds_write_b64 v1, v[6:7] offset:2048
	v_lshrrev_b32_e32 v1, 2, v11
	v_and_b32_e32 v12, 24, v18
	v_and_b32_e32 v1, 0x78, v1
	v_add_u32_e32 v12, v12, v13
	v_add_u32_e32 v1, v1, v13
	ds_write_b64 v12, v[2:3]
	ds_write_b64 v1, v[8:9] offset:3072
	s_waitcnt lgkmcnt(0)
	s_barrier
.LBB1231_16:
	v_lshlrev_b32_e32 v1, 2, v0
	v_lshrrev_b32_e32 v2, 3, v0
	v_add_lshl_u32 v19, v2, v1, 3
	ds_read2_b64 v[14:17], v19 offset1:1
	ds_read2_b64 v[10:13], v19 offset0:2 offset1:3
	s_add_u32 s4, s14, s36
	s_addc_u32 s5, s15, s37
	s_add_u32 s4, s4, s8
	s_addc_u32 s5, s5, s9
	s_mov_b64 s[8:9], -1
	s_and_b64 vcc, exec, s[34:35]
	s_waitcnt lgkmcnt(0)
	s_barrier
	s_cbranch_vccz .LBB1231_18
; %bb.17:
	v_lshlrev_b32_e32 v20, 3, v0
	global_load_dwordx2 v[2:3], v20, s[4:5]
	global_load_dwordx2 v[4:5], v20, s[4:5] offset:1024
	global_load_dwordx2 v[6:7], v20, s[4:5] offset:2048
	;; [unrolled: 1-line block ×3, first 2 shown]
	v_or_b32_e32 v22, 0x80, v0
	v_or_b32_e32 v23, 0x100, v0
	;; [unrolled: 1-line block ×3, first 2 shown]
	v_and_b32_e32 v21, 24, v18
	v_lshrrev_b32_e32 v22, 2, v22
	v_lshrrev_b32_e32 v23, 2, v23
	v_lshrrev_b32_e32 v24, 2, v24
	v_add_u32_e32 v21, v21, v20
	v_and_b32_e32 v22, 56, v22
	v_and_b32_e32 v23, 0x58, v23
	;; [unrolled: 1-line block ×3, first 2 shown]
	v_add_u32_e32 v22, v22, v20
	v_add_u32_e32 v23, v23, v20
	v_add_u32_e32 v20, v24, v20
	s_mov_b64 s[8:9], 0
	s_waitcnt vmcnt(3)
	ds_write_b64 v21, v[2:3]
	s_waitcnt vmcnt(2)
	ds_write_b64 v22, v[4:5] offset:1024
	s_waitcnt vmcnt(1)
	ds_write_b64 v23, v[6:7] offset:2048
	;; [unrolled: 2-line block ×3, first 2 shown]
	s_waitcnt lgkmcnt(0)
	s_barrier
.LBB1231_18:
	s_andn2_b64 vcc, exec, s[8:9]
	s_cbranch_vccnz .LBB1231_28
; %bb.19:
	v_cmp_gt_u32_e32 vcc, s48, v0
                                        ; implicit-def: $vgpr2_vgpr3
	s_and_saveexec_b64 s[8:9], vcc
	s_cbranch_execz .LBB1231_21
; %bb.20:
	v_lshlrev_b32_e32 v2, 3, v0
	global_load_dwordx2 v[2:3], v2, s[4:5]
.LBB1231_21:
	s_or_b64 exec, exec, s[8:9]
	v_or_b32_e32 v20, 0x80, v0
	v_cmp_gt_u32_e32 vcc, s48, v20
                                        ; implicit-def: $vgpr4_vgpr5
	s_and_saveexec_b64 s[8:9], vcc
	s_cbranch_execz .LBB1231_23
; %bb.22:
	v_lshlrev_b32_e32 v4, 3, v0
	global_load_dwordx2 v[4:5], v4, s[4:5] offset:1024
.LBB1231_23:
	s_or_b64 exec, exec, s[8:9]
	v_or_b32_e32 v21, 0x100, v0
	v_cmp_gt_u32_e32 vcc, s48, v21
                                        ; implicit-def: $vgpr6_vgpr7
	s_and_saveexec_b64 s[8:9], vcc
	s_cbranch_execz .LBB1231_25
; %bb.24:
	v_lshlrev_b32_e32 v6, 3, v0
	global_load_dwordx2 v[6:7], v6, s[4:5] offset:2048
.LBB1231_25:
	s_or_b64 exec, exec, s[8:9]
	v_or_b32_e32 v22, 0x180, v0
	v_cmp_gt_u32_e32 vcc, s48, v22
                                        ; implicit-def: $vgpr8_vgpr9
	s_and_saveexec_b64 s[8:9], vcc
	s_cbranch_execz .LBB1231_27
; %bb.26:
	v_lshlrev_b32_e32 v8, 3, v0
	global_load_dwordx2 v[8:9], v8, s[4:5] offset:3072
.LBB1231_27:
	s_or_b64 exec, exec, s[8:9]
	v_and_b32_e32 v18, 24, v18
	v_lshlrev_b32_e32 v23, 3, v0
	v_add_u32_e32 v18, v18, v23
	s_waitcnt vmcnt(0)
	ds_write_b64 v18, v[2:3]
	v_lshrrev_b32_e32 v2, 2, v20
	v_and_b32_e32 v2, 56, v2
	v_add_u32_e32 v2, v2, v23
	ds_write_b64 v2, v[4:5] offset:1024
	v_lshrrev_b32_e32 v2, 2, v21
	v_and_b32_e32 v2, 0x78, v2
	v_add_u32_e32 v2, v2, v23
	ds_write_b64 v2, v[6:7] offset:2048
	;; [unrolled: 4-line block ×3, first 2 shown]
	s_waitcnt lgkmcnt(0)
	s_barrier
.LBB1231_28:
	ds_read2_b64 v[6:9], v19 offset1:1
	ds_read2_b64 v[2:5], v19 offset0:2 offset1:3
	s_cmp_lg_u32 s33, 0
	s_cselect_b64 s[36:37], -1, 0
	s_cmp_lg_u64 s[10:11], 0
	s_cselect_b64 s[4:5], -1, 0
	s_or_b64 s[4:5], s[4:5], s[36:37]
	s_mov_b64 s[14:15], 0
	s_and_b64 vcc, exec, s[4:5]
	v_cmp_gt_i64_e64 s[4:5], s[26:27], 0
	s_waitcnt lgkmcnt(0)
	s_barrier
	s_cbranch_vccz .LBB1231_37
; %bb.29:
	v_mov_b32_e32 v18, 0
	global_load_dwordx2 v[18:19], v18, s[6:7] offset:-8
	v_cndmask_b32_e64 v20, 0, 1, s[4:5]
	v_lshlrev_b32_e32 v29, 3, v0
	s_mov_b64 s[10:11], 0
	s_and_b64 vcc, exec, s[34:35]
	v_cmp_ne_u32_e64 s[4:5], 1, v20
	ds_write_b64 v29, v[12:13]
	s_cbranch_vccz .LBB1231_38
; %bb.30:
	v_mul_lo_u32 v22, v11, s26
	v_mul_lo_u32 v23, v10, s27
	v_mad_u64_u32 v[20:21], s[6:7], v10, s26, 0
	v_add3_u32 v21, v21, v23, v22
	s_and_b64 vcc, exec, s[4:5]
	v_lshlrev_b64 v[20:21], 1, v[20:21]
	s_cbranch_vccnz .LBB1231_41
; %bb.31:
	v_mul_lo_u32 v24, v13, s26
	v_mul_lo_u32 v25, v12, s27
	v_mad_u64_u32 v[22:23], s[6:7], v12, s26, 0
	v_add3_u32 v23, v23, v25, v24
	v_mov_b32_e32 v25, s17
	v_add_co_u32_e32 v24, vcc, s16, v20
	v_addc_co_u32_e64 v25, s[6:7], v25, v21, vcc
	v_lshlrev_b64 v[22:23], 1, v[22:23]
	v_mov_b32_e32 v27, s17
	v_add_co_u32_e64 v26, s[6:7], s16, v22
	v_addc_co_u32_e64 v27, s[8:9], v27, v23, s[6:7]
	global_load_ushort v22, v[26:27], off
	global_load_ushort v28, v[24:25], off
	s_mov_b64 s[10:11], -1
	s_waitcnt vmcnt(1)
	v_lshlrev_b32_e32 v22, 16, v22
	s_waitcnt vmcnt(0)
	v_lshlrev_b32_e32 v25, 16, v28
	v_cmp_eq_f32_e64 s[8:9], v25, v22
	s_and_saveexec_b64 s[14:15], s[8:9]
	s_cbranch_execz .LBB1231_40
; %bb.32:
	v_mov_b32_e32 v22, s17
	v_addc_co_u32_e64 v23, s[6:7], v23, v22, s[6:7]
	v_add_co_u32_e64 v22, s[6:7], 2, v26
	v_mov_b32_e32 v25, s17
	v_addc_co_u32_e64 v23, s[6:7], 0, v23, s[6:7]
	v_addc_co_u32_e32 v25, vcc, v21, v25, vcc
	v_add_co_u32_e32 v24, vcc, 2, v24
	s_add_u32 s6, s26, -1
	v_addc_co_u32_e32 v25, vcc, 0, v25, vcc
	s_addc_u32 s7, s27, -1
	s_mov_b64 s[8:9], 0
	s_mov_b64 s[38:39], 0
                                        ; implicit-def: $sgpr10_sgpr11
	s_branch .LBB1231_35
.LBB1231_33:                            ;   in Loop: Header=BB1231_35 Depth=1
	global_load_ushort v26, v[22:23], off
	global_load_ushort v27, v[24:25], off
	v_add_co_u32_e32 v22, vcc, 2, v22
	v_addc_co_u32_e32 v23, vcc, 0, v23, vcc
	v_add_co_u32_e32 v24, vcc, 2, v24
	v_addc_co_u32_e32 v25, vcc, 0, v25, vcc
	s_add_u32 s38, s38, 1
	s_addc_u32 s39, s39, 0
	s_andn2_b64 s[10:11], s[10:11], exec
	s_waitcnt vmcnt(1)
	v_lshlrev_b32_e32 v26, 16, v26
	s_waitcnt vmcnt(0)
	v_lshlrev_b32_e32 v27, 16, v27
	v_cmp_neq_f32_e32 vcc, v27, v26
	s_and_b64 s[40:41], vcc, exec
	s_or_b64 s[10:11], s[10:11], s[40:41]
.LBB1231_34:                            ;   in Loop: Header=BB1231_35 Depth=1
	s_and_b64 s[40:41], exec, s[10:11]
	s_or_b64 s[8:9], s[40:41], s[8:9]
	v_pk_mov_b32 v[26:27], s[38:39], s[38:39] op_sel:[0,1]
	s_andn2_b64 exec, exec, s[8:9]
	s_cbranch_execz .LBB1231_39
.LBB1231_35:                            ; =>This Inner Loop Header: Depth=1
	s_or_b64 s[10:11], s[10:11], exec
	s_cmp_eq_u64 s[6:7], s[38:39]
	s_cbranch_scc0 .LBB1231_33
; %bb.36:                               ;   in Loop: Header=BB1231_35 Depth=1
                                        ; implicit-def: $vgpr22_vgpr23
                                        ; implicit-def: $vgpr24_vgpr25
	s_mov_b64 s[38:39], s[26:27]
	s_branch .LBB1231_34
.LBB1231_37:
                                        ; implicit-def: $sgpr38_sgpr39
                                        ; implicit-def: $vgpr28
	s_branch .LBB1231_119
.LBB1231_38:
                                        ; implicit-def: $sgpr38_sgpr39
                                        ; implicit-def: $vgpr28
	s_cbranch_execnz .LBB1231_71
	s_branch .LBB1231_118
.LBB1231_39:
	s_or_b64 exec, exec, s[8:9]
	v_cmp_gt_i64_e32 vcc, s[26:27], v[26:27]
	s_orn2_b64 s[10:11], vcc, exec
.LBB1231_40:
	s_or_b64 exec, exec, s[14:15]
.LBB1231_41:
	v_mul_lo_u32 v24, v17, s26
	v_mul_lo_u32 v25, v16, s27
	v_mad_u64_u32 v[22:23], s[6:7], v16, s26, 0
	v_add3_u32 v23, v23, v25, v24
	s_mov_b64 s[14:15], 0
	s_and_b64 vcc, exec, s[4:5]
	v_lshlrev_b64 v[22:23], 1, v[22:23]
	s_mov_b64 s[38:39], 0
	s_cbranch_vccnz .LBB1231_50
; %bb.42:
	v_mov_b32_e32 v25, s17
	v_add_co_u32_e32 v24, vcc, s16, v22
	v_addc_co_u32_e64 v25, s[6:7], v25, v23, vcc
	v_mov_b32_e32 v27, s17
	v_add_co_u32_e64 v26, s[6:7], s16, v20
	v_addc_co_u32_e64 v27, s[8:9], v27, v21, s[6:7]
	global_load_ushort v20, v[26:27], off
	global_load_ushort v28, v[24:25], off
	s_mov_b64 s[38:39], -1
	s_waitcnt vmcnt(1)
	v_lshlrev_b32_e32 v20, 16, v20
	s_waitcnt vmcnt(0)
	v_lshlrev_b32_e32 v25, 16, v28
	v_cmp_eq_f32_e64 s[8:9], v25, v20
	s_and_saveexec_b64 s[40:41], s[8:9]
	s_cbranch_execz .LBB1231_49
; %bb.43:
	v_mov_b32_e32 v20, s17
	v_addc_co_u32_e64 v21, s[6:7], v21, v20, s[6:7]
	v_add_co_u32_e64 v20, s[6:7], 2, v26
	v_mov_b32_e32 v25, s17
	v_addc_co_u32_e64 v21, s[6:7], 0, v21, s[6:7]
	v_addc_co_u32_e32 v25, vcc, v23, v25, vcc
	v_add_co_u32_e32 v24, vcc, 2, v24
	s_add_u32 s6, s26, -1
	v_addc_co_u32_e32 v25, vcc, 0, v25, vcc
	s_addc_u32 s7, s27, -1
	s_mov_b64 s[8:9], 0
	s_mov_b64 s[42:43], 0
                                        ; implicit-def: $sgpr38_sgpr39
	s_branch .LBB1231_46
.LBB1231_44:                            ;   in Loop: Header=BB1231_46 Depth=1
	global_load_ushort v26, v[20:21], off
	global_load_ushort v27, v[24:25], off
	v_add_co_u32_e32 v20, vcc, 2, v20
	v_addc_co_u32_e32 v21, vcc, 0, v21, vcc
	v_add_co_u32_e32 v24, vcc, 2, v24
	v_addc_co_u32_e32 v25, vcc, 0, v25, vcc
	s_add_u32 s42, s42, 1
	s_addc_u32 s43, s43, 0
	s_andn2_b64 s[38:39], s[38:39], exec
	s_waitcnt vmcnt(1)
	v_lshlrev_b32_e32 v26, 16, v26
	s_waitcnt vmcnt(0)
	v_lshlrev_b32_e32 v27, 16, v27
	v_cmp_neq_f32_e32 vcc, v27, v26
	s_and_b64 s[44:45], vcc, exec
	s_or_b64 s[38:39], s[38:39], s[44:45]
.LBB1231_45:                            ;   in Loop: Header=BB1231_46 Depth=1
	s_and_b64 s[44:45], exec, s[38:39]
	s_or_b64 s[8:9], s[44:45], s[8:9]
	v_pk_mov_b32 v[26:27], s[42:43], s[42:43] op_sel:[0,1]
	s_andn2_b64 exec, exec, s[8:9]
	s_cbranch_execz .LBB1231_48
.LBB1231_46:                            ; =>This Inner Loop Header: Depth=1
	s_or_b64 s[38:39], s[38:39], exec
	s_cmp_eq_u64 s[6:7], s[42:43]
	s_cbranch_scc0 .LBB1231_44
; %bb.47:                               ;   in Loop: Header=BB1231_46 Depth=1
                                        ; implicit-def: $vgpr20_vgpr21
                                        ; implicit-def: $vgpr24_vgpr25
	s_mov_b64 s[42:43], s[26:27]
	s_branch .LBB1231_45
.LBB1231_48:
	s_or_b64 exec, exec, s[8:9]
	v_cmp_gt_i64_e32 vcc, s[26:27], v[26:27]
	s_orn2_b64 s[38:39], vcc, exec
.LBB1231_49:
	s_or_b64 exec, exec, s[40:41]
.LBB1231_50:
	v_mul_lo_u32 v24, v15, s26
	v_mul_lo_u32 v25, v14, s27
	v_mad_u64_u32 v[20:21], s[6:7], v14, s26, 0
	v_add3_u32 v21, v21, v25, v24
	s_and_b64 vcc, exec, s[4:5]
	v_lshlrev_b64 v[20:21], 1, v[20:21]
	s_cbranch_vccnz .LBB1231_59
; %bb.51:
	v_mov_b32_e32 v25, s17
	v_add_co_u32_e32 v24, vcc, s16, v20
	v_addc_co_u32_e64 v25, s[6:7], v25, v21, vcc
	v_mov_b32_e32 v27, s17
	v_add_co_u32_e64 v26, s[6:7], s16, v22
	v_addc_co_u32_e64 v27, s[8:9], v27, v23, s[6:7]
	global_load_ushort v22, v[26:27], off
	global_load_ushort v28, v[24:25], off
	s_mov_b64 s[14:15], -1
	s_waitcnt vmcnt(1)
	v_lshlrev_b32_e32 v22, 16, v22
	s_waitcnt vmcnt(0)
	v_lshlrev_b32_e32 v25, 16, v28
	v_cmp_eq_f32_e64 s[8:9], v25, v22
	s_and_saveexec_b64 s[40:41], s[8:9]
	s_cbranch_execz .LBB1231_58
; %bb.52:
	v_mov_b32_e32 v22, s17
	v_addc_co_u32_e64 v23, s[6:7], v23, v22, s[6:7]
	v_add_co_u32_e64 v22, s[6:7], 2, v26
	v_mov_b32_e32 v25, s17
	v_addc_co_u32_e64 v23, s[6:7], 0, v23, s[6:7]
	v_addc_co_u32_e32 v25, vcc, v21, v25, vcc
	v_add_co_u32_e32 v24, vcc, 2, v24
	s_add_u32 s6, s26, -1
	v_addc_co_u32_e32 v25, vcc, 0, v25, vcc
	s_addc_u32 s7, s27, -1
	s_mov_b64 s[8:9], 0
	s_mov_b64 s[42:43], 0
                                        ; implicit-def: $sgpr14_sgpr15
	s_branch .LBB1231_55
.LBB1231_53:                            ;   in Loop: Header=BB1231_55 Depth=1
	global_load_ushort v26, v[22:23], off
	global_load_ushort v27, v[24:25], off
	v_add_co_u32_e32 v22, vcc, 2, v22
	v_addc_co_u32_e32 v23, vcc, 0, v23, vcc
	v_add_co_u32_e32 v24, vcc, 2, v24
	v_addc_co_u32_e32 v25, vcc, 0, v25, vcc
	s_add_u32 s42, s42, 1
	s_addc_u32 s43, s43, 0
	s_andn2_b64 s[14:15], s[14:15], exec
	s_waitcnt vmcnt(1)
	v_lshlrev_b32_e32 v26, 16, v26
	s_waitcnt vmcnt(0)
	v_lshlrev_b32_e32 v27, 16, v27
	v_cmp_neq_f32_e32 vcc, v27, v26
	s_and_b64 s[44:45], vcc, exec
	s_or_b64 s[14:15], s[14:15], s[44:45]
.LBB1231_54:                            ;   in Loop: Header=BB1231_55 Depth=1
	s_and_b64 s[44:45], exec, s[14:15]
	s_or_b64 s[8:9], s[44:45], s[8:9]
	v_pk_mov_b32 v[26:27], s[42:43], s[42:43] op_sel:[0,1]
	s_andn2_b64 exec, exec, s[8:9]
	s_cbranch_execz .LBB1231_57
.LBB1231_55:                            ; =>This Inner Loop Header: Depth=1
	s_or_b64 s[14:15], s[14:15], exec
	s_cmp_eq_u64 s[6:7], s[42:43]
	s_cbranch_scc0 .LBB1231_53
; %bb.56:                               ;   in Loop: Header=BB1231_55 Depth=1
                                        ; implicit-def: $vgpr22_vgpr23
                                        ; implicit-def: $vgpr24_vgpr25
	s_mov_b64 s[42:43], s[26:27]
	s_branch .LBB1231_54
.LBB1231_57:
	s_or_b64 exec, exec, s[8:9]
	v_cmp_gt_i64_e32 vcc, s[26:27], v[26:27]
	s_orn2_b64 s[14:15], vcc, exec
.LBB1231_58:
	s_or_b64 exec, exec, s[40:41]
.LBB1231_59:
	s_waitcnt vmcnt(0)
	v_pk_mov_b32 v[22:23], v[18:19], v[18:19] op_sel:[0,1]
	s_waitcnt lgkmcnt(0)
	s_barrier
	s_and_saveexec_b64 s[6:7], s[2:3]
	s_cbranch_execz .LBB1231_61
; %bb.60:
	v_add_u32_e32 v22, -8, v29
	ds_read_b64 v[22:23], v22
.LBB1231_61:
	s_or_b64 exec, exec, s[6:7]
	v_cndmask_b32_e64 v25, 0, 1, s[10:11]
	v_cndmask_b32_e64 v24, 0, 1, s[38:39]
	v_cndmask_b32_e64 v26, 0, 1, s[14:15]
	v_lshlrev_b16_e32 v25, 8, v25
	v_lshlrev_b16_e32 v28, 8, v26
	v_or_b32_sdwa v30, v24, v25 dst_sel:WORD_1 dst_unused:UNUSED_PAD src0_sel:DWORD src1_sel:DWORD
	s_mov_b64 s[10:11], 0
	s_and_b64 vcc, exec, s[4:5]
	s_mov_b64 s[38:39], 0
	s_cbranch_vccnz .LBB1231_70
; %bb.62:
	s_waitcnt lgkmcnt(0)
	v_mul_lo_u32 v24, v23, s26
	v_mul_lo_u32 v25, v22, s27
	v_mad_u64_u32 v[22:23], s[6:7], v22, s26, 0
	v_add3_u32 v23, v23, v25, v24
	v_lshlrev_b64 v[22:23], 1, v[22:23]
	v_mov_b32_e32 v25, s17
	v_add_co_u32_e32 v24, vcc, s16, v22
	v_addc_co_u32_e64 v25, s[6:7], v25, v23, vcc
	v_mov_b32_e32 v22, s17
	v_add_co_u32_e64 v26, s[6:7], s16, v20
	v_addc_co_u32_e64 v27, s[8:9], v22, v21, s[6:7]
	global_load_ushort v20, v[24:25], off
	global_load_ushort v22, v[26:27], off
	s_mov_b64 s[38:39], -1
	s_waitcnt vmcnt(1)
	v_lshlrev_b32_e32 v20, 16, v20
	s_waitcnt vmcnt(0)
	v_lshlrev_b32_e32 v22, 16, v22
	v_cmp_eq_f32_e64 s[8:9], v20, v22
	s_and_saveexec_b64 s[14:15], s[8:9]
	s_cbranch_execz .LBB1231_69
; %bb.63:
	v_mov_b32_e32 v20, s17
	v_addc_co_u32_e64 v21, s[6:7], v21, v20, s[6:7]
	v_add_co_u32_e64 v20, s[6:7], 2, v26
	v_mov_b32_e32 v22, s17
	v_addc_co_u32_e64 v21, s[6:7], 0, v21, s[6:7]
	v_addc_co_u32_e32 v23, vcc, v23, v22, vcc
	v_add_co_u32_e32 v22, vcc, 2, v24
	s_add_u32 s6, s26, -1
	v_addc_co_u32_e32 v23, vcc, 0, v23, vcc
	s_addc_u32 s7, s27, -1
	s_mov_b64 s[8:9], 0
	s_mov_b64 s[40:41], 0
                                        ; implicit-def: $sgpr38_sgpr39
	s_branch .LBB1231_66
.LBB1231_64:                            ;   in Loop: Header=BB1231_66 Depth=1
	global_load_ushort v24, v[20:21], off
	global_load_ushort v25, v[22:23], off
	v_add_co_u32_e32 v20, vcc, 2, v20
	v_addc_co_u32_e32 v21, vcc, 0, v21, vcc
	v_add_co_u32_e32 v22, vcc, 2, v22
	v_addc_co_u32_e32 v23, vcc, 0, v23, vcc
	s_add_u32 s40, s40, 1
	s_addc_u32 s41, s41, 0
	s_andn2_b64 s[38:39], s[38:39], exec
	s_waitcnt vmcnt(1)
	v_lshlrev_b32_e32 v24, 16, v24
	s_waitcnt vmcnt(0)
	v_lshlrev_b32_e32 v25, 16, v25
	v_cmp_neq_f32_e32 vcc, v25, v24
	s_and_b64 s[42:43], vcc, exec
	s_or_b64 s[38:39], s[38:39], s[42:43]
.LBB1231_65:                            ;   in Loop: Header=BB1231_66 Depth=1
	s_and_b64 s[42:43], exec, s[38:39]
	s_or_b64 s[8:9], s[42:43], s[8:9]
	v_pk_mov_b32 v[24:25], s[40:41], s[40:41] op_sel:[0,1]
	s_andn2_b64 exec, exec, s[8:9]
	s_cbranch_execz .LBB1231_68
.LBB1231_66:                            ; =>This Inner Loop Header: Depth=1
	s_or_b64 s[38:39], s[38:39], exec
	s_cmp_eq_u64 s[6:7], s[40:41]
	s_cbranch_scc0 .LBB1231_64
; %bb.67:                               ;   in Loop: Header=BB1231_66 Depth=1
                                        ; implicit-def: $vgpr20_vgpr21
                                        ; implicit-def: $vgpr22_vgpr23
	s_mov_b64 s[40:41], s[26:27]
	s_branch .LBB1231_65
.LBB1231_68:
	s_or_b64 exec, exec, s[8:9]
	v_cmp_gt_i64_e32 vcc, s[26:27], v[24:25]
	s_orn2_b64 s[38:39], vcc, exec
.LBB1231_69:
	s_or_b64 exec, exec, s[14:15]
.LBB1231_70:
	v_or_b32_e32 v28, v28, v30
	s_and_b64 vcc, exec, s[10:11]
	s_cbranch_vccz .LBB1231_118
.LBB1231_71:
	v_or_b32_e32 v20, 3, v1
	v_cmp_gt_u32_e32 vcc, s48, v20
	s_mov_b64 s[14:15], 0
	s_mov_b64 s[10:11], 0
	s_and_saveexec_b64 s[38:39], vcc
	s_cbranch_execz .LBB1231_82
; %bb.72:
	s_and_b64 vcc, exec, s[4:5]
	s_mov_b64 s[40:41], 0
	s_cbranch_vccnz .LBB1231_81
; %bb.73:
	s_waitcnt lgkmcnt(0)
	v_mul_lo_u32 v22, v11, s26
	v_mul_lo_u32 v23, v10, s27
	v_mad_u64_u32 v[20:21], s[6:7], v10, s26, 0
	v_add3_u32 v21, v21, v23, v22
	v_mul_lo_u32 v22, v13, s26
	v_mul_lo_u32 v23, v12, s27
	v_mad_u64_u32 v[26:27], s[6:7], v12, s26, 0
	v_add3_u32 v27, v27, v23, v22
	v_lshlrev_b64 v[22:23], 1, v[20:21]
	v_mov_b32_e32 v20, s17
	v_add_co_u32_e32 v24, vcc, s16, v22
	v_addc_co_u32_e64 v25, s[6:7], v20, v23, vcc
	v_lshlrev_b64 v[20:21], 1, v[26:27]
	v_mov_b32_e32 v22, s17
	v_add_co_u32_e64 v26, s[6:7], s16, v20
	v_addc_co_u32_e64 v27, s[8:9], v22, v21, s[6:7]
	global_load_ushort v20, v[26:27], off
	global_load_ushort v22, v[24:25], off
	s_mov_b64 s[40:41], -1
	s_waitcnt vmcnt(1)
	v_lshlrev_b32_e32 v20, 16, v20
	s_waitcnt vmcnt(0)
	v_lshlrev_b32_e32 v22, 16, v22
	v_cmp_eq_f32_e64 s[8:9], v22, v20
	s_and_saveexec_b64 s[10:11], s[8:9]
	s_cbranch_execz .LBB1231_80
; %bb.74:
	v_mov_b32_e32 v20, s17
	v_addc_co_u32_e64 v21, s[6:7], v21, v20, s[6:7]
	v_add_co_u32_e64 v20, s[6:7], 2, v26
	v_mov_b32_e32 v22, s17
	v_addc_co_u32_e64 v21, s[6:7], 0, v21, s[6:7]
	v_addc_co_u32_e32 v23, vcc, v23, v22, vcc
	v_add_co_u32_e32 v22, vcc, 2, v24
	s_add_u32 s6, s26, -1
	v_addc_co_u32_e32 v23, vcc, 0, v23, vcc
	s_addc_u32 s7, s27, -1
	s_mov_b64 s[8:9], 0
	s_mov_b64 s[42:43], 0
                                        ; implicit-def: $sgpr40_sgpr41
	s_branch .LBB1231_77
.LBB1231_75:                            ;   in Loop: Header=BB1231_77 Depth=1
	global_load_ushort v24, v[20:21], off
	global_load_ushort v25, v[22:23], off
	v_add_co_u32_e32 v20, vcc, 2, v20
	v_addc_co_u32_e32 v21, vcc, 0, v21, vcc
	v_add_co_u32_e32 v22, vcc, 2, v22
	v_addc_co_u32_e32 v23, vcc, 0, v23, vcc
	s_add_u32 s42, s42, 1
	s_addc_u32 s43, s43, 0
	s_andn2_b64 s[40:41], s[40:41], exec
	s_waitcnt vmcnt(1)
	v_lshlrev_b32_e32 v24, 16, v24
	s_waitcnt vmcnt(0)
	v_lshlrev_b32_e32 v25, 16, v25
	v_cmp_neq_f32_e32 vcc, v25, v24
	s_and_b64 s[44:45], vcc, exec
	s_or_b64 s[40:41], s[40:41], s[44:45]
.LBB1231_76:                            ;   in Loop: Header=BB1231_77 Depth=1
	s_and_b64 s[44:45], exec, s[40:41]
	s_or_b64 s[8:9], s[44:45], s[8:9]
	v_pk_mov_b32 v[24:25], s[42:43], s[42:43] op_sel:[0,1]
	s_andn2_b64 exec, exec, s[8:9]
	s_cbranch_execz .LBB1231_79
.LBB1231_77:                            ; =>This Inner Loop Header: Depth=1
	s_or_b64 s[40:41], s[40:41], exec
	s_cmp_eq_u64 s[6:7], s[42:43]
	s_cbranch_scc0 .LBB1231_75
; %bb.78:                               ;   in Loop: Header=BB1231_77 Depth=1
                                        ; implicit-def: $vgpr20_vgpr21
                                        ; implicit-def: $vgpr22_vgpr23
	s_mov_b64 s[42:43], s[26:27]
	s_branch .LBB1231_76
.LBB1231_79:
	s_or_b64 exec, exec, s[8:9]
	v_cmp_gt_i64_e32 vcc, s[26:27], v[24:25]
	s_orn2_b64 s[40:41], vcc, exec
.LBB1231_80:
	s_or_b64 exec, exec, s[10:11]
.LBB1231_81:
	s_and_b64 s[10:11], s[40:41], exec
.LBB1231_82:
	s_or_b64 exec, exec, s[38:39]
	v_or_b32_e32 v20, 2, v1
	v_cmp_gt_u32_e32 vcc, s48, v20
	s_and_saveexec_b64 s[38:39], vcc
	s_cbranch_execz .LBB1231_93
; %bb.83:
	s_and_b64 vcc, exec, s[4:5]
	s_mov_b64 s[40:41], 0
	s_cbranch_vccnz .LBB1231_92
; %bb.84:
	s_waitcnt lgkmcnt(0)
	v_mul_lo_u32 v22, v17, s26
	v_mul_lo_u32 v23, v16, s27
	v_mad_u64_u32 v[20:21], s[6:7], v16, s26, 0
	v_add3_u32 v21, v21, v23, v22
	v_mul_lo_u32 v22, v11, s26
	v_mul_lo_u32 v23, v10, s27
	v_mad_u64_u32 v[26:27], s[6:7], v10, s26, 0
	v_add3_u32 v27, v27, v23, v22
	v_lshlrev_b64 v[22:23], 1, v[20:21]
	v_mov_b32_e32 v20, s17
	v_add_co_u32_e32 v24, vcc, s16, v22
	v_addc_co_u32_e64 v25, s[6:7], v20, v23, vcc
	v_lshlrev_b64 v[20:21], 1, v[26:27]
	v_mov_b32_e32 v22, s17
	v_add_co_u32_e64 v26, s[6:7], s16, v20
	v_addc_co_u32_e64 v27, s[8:9], v22, v21, s[6:7]
	global_load_ushort v20, v[26:27], off
	global_load_ushort v22, v[24:25], off
	s_mov_b64 s[40:41], -1
	s_waitcnt vmcnt(1)
	v_lshlrev_b32_e32 v20, 16, v20
	s_waitcnt vmcnt(0)
	v_lshlrev_b32_e32 v22, 16, v22
	v_cmp_eq_f32_e64 s[8:9], v22, v20
	s_and_saveexec_b64 s[14:15], s[8:9]
	s_cbranch_execz .LBB1231_91
; %bb.85:
	v_mov_b32_e32 v20, s17
	v_addc_co_u32_e64 v21, s[6:7], v21, v20, s[6:7]
	v_add_co_u32_e64 v20, s[6:7], 2, v26
	v_mov_b32_e32 v22, s17
	v_addc_co_u32_e64 v21, s[6:7], 0, v21, s[6:7]
	v_addc_co_u32_e32 v23, vcc, v23, v22, vcc
	v_add_co_u32_e32 v22, vcc, 2, v24
	s_add_u32 s6, s26, -1
	v_addc_co_u32_e32 v23, vcc, 0, v23, vcc
	s_addc_u32 s7, s27, -1
	s_mov_b64 s[8:9], 0
	s_mov_b64 s[42:43], 0
                                        ; implicit-def: $sgpr40_sgpr41
	s_branch .LBB1231_88
.LBB1231_86:                            ;   in Loop: Header=BB1231_88 Depth=1
	global_load_ushort v24, v[20:21], off
	global_load_ushort v25, v[22:23], off
	v_add_co_u32_e32 v20, vcc, 2, v20
	v_addc_co_u32_e32 v21, vcc, 0, v21, vcc
	v_add_co_u32_e32 v22, vcc, 2, v22
	v_addc_co_u32_e32 v23, vcc, 0, v23, vcc
	s_add_u32 s42, s42, 1
	s_addc_u32 s43, s43, 0
	s_andn2_b64 s[40:41], s[40:41], exec
	s_waitcnt vmcnt(1)
	v_lshlrev_b32_e32 v24, 16, v24
	s_waitcnt vmcnt(0)
	v_lshlrev_b32_e32 v25, 16, v25
	v_cmp_neq_f32_e32 vcc, v25, v24
	s_and_b64 s[44:45], vcc, exec
	s_or_b64 s[40:41], s[40:41], s[44:45]
.LBB1231_87:                            ;   in Loop: Header=BB1231_88 Depth=1
	s_and_b64 s[44:45], exec, s[40:41]
	s_or_b64 s[8:9], s[44:45], s[8:9]
	v_pk_mov_b32 v[24:25], s[42:43], s[42:43] op_sel:[0,1]
	s_andn2_b64 exec, exec, s[8:9]
	s_cbranch_execz .LBB1231_90
.LBB1231_88:                            ; =>This Inner Loop Header: Depth=1
	s_or_b64 s[40:41], s[40:41], exec
	s_cmp_eq_u64 s[6:7], s[42:43]
	s_cbranch_scc0 .LBB1231_86
; %bb.89:                               ;   in Loop: Header=BB1231_88 Depth=1
                                        ; implicit-def: $vgpr20_vgpr21
                                        ; implicit-def: $vgpr22_vgpr23
	s_mov_b64 s[42:43], s[26:27]
	s_branch .LBB1231_87
.LBB1231_90:
	s_or_b64 exec, exec, s[8:9]
	v_cmp_gt_i64_e32 vcc, s[26:27], v[24:25]
	s_orn2_b64 s[40:41], vcc, exec
.LBB1231_91:
	s_or_b64 exec, exec, s[14:15]
.LBB1231_92:
	s_and_b64 s[14:15], s[40:41], exec
.LBB1231_93:
	s_or_b64 exec, exec, s[38:39]
	v_or_b32_e32 v20, 1, v1
	v_cmp_gt_u32_e32 vcc, s48, v20
	s_mov_b64 s[6:7], 0
	s_and_saveexec_b64 s[38:39], vcc
	s_cbranch_execz .LBB1231_104
; %bb.94:
	s_and_b64 vcc, exec, s[4:5]
	s_mov_b64 s[42:43], 0
	s_cbranch_vccnz .LBB1231_103
; %bb.95:
	s_waitcnt lgkmcnt(0)
	v_mul_lo_u32 v22, v15, s26
	v_mul_lo_u32 v23, v14, s27
	v_mad_u64_u32 v[20:21], s[6:7], v14, s26, 0
	v_add3_u32 v21, v21, v23, v22
	v_mul_lo_u32 v22, v17, s26
	v_mul_lo_u32 v23, v16, s27
	v_mad_u64_u32 v[26:27], s[6:7], v16, s26, 0
	v_add3_u32 v27, v27, v23, v22
	v_lshlrev_b64 v[22:23], 1, v[20:21]
	v_mov_b32_e32 v20, s17
	v_add_co_u32_e32 v24, vcc, s16, v22
	v_addc_co_u32_e64 v25, s[6:7], v20, v23, vcc
	v_lshlrev_b64 v[20:21], 1, v[26:27]
	v_mov_b32_e32 v22, s17
	v_add_co_u32_e64 v26, s[6:7], s16, v20
	v_addc_co_u32_e64 v27, s[8:9], v22, v21, s[6:7]
	global_load_ushort v20, v[26:27], off
	global_load_ushort v22, v[24:25], off
	s_mov_b64 s[42:43], -1
	s_waitcnt vmcnt(1)
	v_lshlrev_b32_e32 v20, 16, v20
	s_waitcnt vmcnt(0)
	v_lshlrev_b32_e32 v22, 16, v22
	v_cmp_eq_f32_e64 s[8:9], v22, v20
	s_and_saveexec_b64 s[40:41], s[8:9]
	s_cbranch_execz .LBB1231_102
; %bb.96:
	v_mov_b32_e32 v20, s17
	v_addc_co_u32_e64 v21, s[6:7], v21, v20, s[6:7]
	v_add_co_u32_e64 v20, s[6:7], 2, v26
	v_mov_b32_e32 v22, s17
	v_addc_co_u32_e64 v21, s[6:7], 0, v21, s[6:7]
	v_addc_co_u32_e32 v23, vcc, v23, v22, vcc
	v_add_co_u32_e32 v22, vcc, 2, v24
	s_add_u32 s6, s26, -1
	v_addc_co_u32_e32 v23, vcc, 0, v23, vcc
	s_addc_u32 s7, s27, -1
	s_mov_b64 s[8:9], 0
	s_mov_b64 s[44:45], 0
                                        ; implicit-def: $sgpr42_sgpr43
	s_branch .LBB1231_99
.LBB1231_97:                            ;   in Loop: Header=BB1231_99 Depth=1
	global_load_ushort v24, v[20:21], off
	global_load_ushort v25, v[22:23], off
	v_add_co_u32_e32 v20, vcc, 2, v20
	v_addc_co_u32_e32 v21, vcc, 0, v21, vcc
	v_add_co_u32_e32 v22, vcc, 2, v22
	v_addc_co_u32_e32 v23, vcc, 0, v23, vcc
	s_add_u32 s44, s44, 1
	s_addc_u32 s45, s45, 0
	s_andn2_b64 s[42:43], s[42:43], exec
	s_waitcnt vmcnt(1)
	v_lshlrev_b32_e32 v24, 16, v24
	s_waitcnt vmcnt(0)
	v_lshlrev_b32_e32 v25, 16, v25
	v_cmp_neq_f32_e32 vcc, v25, v24
	s_and_b64 s[46:47], vcc, exec
	s_or_b64 s[42:43], s[42:43], s[46:47]
.LBB1231_98:                            ;   in Loop: Header=BB1231_99 Depth=1
	s_and_b64 s[46:47], exec, s[42:43]
	s_or_b64 s[8:9], s[46:47], s[8:9]
	v_pk_mov_b32 v[24:25], s[44:45], s[44:45] op_sel:[0,1]
	s_andn2_b64 exec, exec, s[8:9]
	s_cbranch_execz .LBB1231_101
.LBB1231_99:                            ; =>This Inner Loop Header: Depth=1
	s_or_b64 s[42:43], s[42:43], exec
	s_cmp_eq_u64 s[6:7], s[44:45]
	s_cbranch_scc0 .LBB1231_97
; %bb.100:                              ;   in Loop: Header=BB1231_99 Depth=1
                                        ; implicit-def: $vgpr20_vgpr21
                                        ; implicit-def: $vgpr22_vgpr23
	s_mov_b64 s[44:45], s[26:27]
	s_branch .LBB1231_98
.LBB1231_101:
	s_or_b64 exec, exec, s[8:9]
	v_cmp_gt_i64_e32 vcc, s[26:27], v[24:25]
	s_orn2_b64 s[42:43], vcc, exec
.LBB1231_102:
	s_or_b64 exec, exec, s[40:41]
.LBB1231_103:
	s_and_b64 s[6:7], s[42:43], exec
.LBB1231_104:
	s_or_b64 exec, exec, s[38:39]
	s_waitcnt lgkmcnt(0)
	s_barrier
	s_and_saveexec_b64 s[8:9], s[2:3]
	s_cbranch_execz .LBB1231_106
; %bb.105:
	s_waitcnt vmcnt(0)
	v_add_u32_e32 v18, -8, v29
	ds_read_b64 v[18:19], v18
.LBB1231_106:
	s_or_b64 exec, exec, s[8:9]
	v_cndmask_b32_e64 v21, 0, 1, s[10:11]
	v_cndmask_b32_e64 v20, 0, 1, s[14:15]
	;; [unrolled: 1-line block ×3, first 2 shown]
	v_lshlrev_b16_e32 v21, 8, v21
	v_lshlrev_b16_e32 v26, 8, v22
	v_or_b32_sdwa v27, v20, v21 dst_sel:WORD_1 dst_unused:UNUSED_PAD src0_sel:DWORD src1_sel:DWORD
	v_cmp_gt_u32_e32 vcc, s48, v1
	s_mov_b64 s[38:39], 0
	s_and_saveexec_b64 s[8:9], vcc
	s_cbranch_execz .LBB1231_117
; %bb.107:
	s_and_b64 vcc, exec, s[4:5]
	s_mov_b64 s[14:15], 0
	s_cbranch_vccnz .LBB1231_116
; %bb.108:
	s_waitcnt vmcnt(0) lgkmcnt(0)
	v_mul_lo_u32 v20, v19, s26
	v_mul_lo_u32 v21, v18, s27
	v_mad_u64_u32 v[18:19], s[4:5], v18, s26, 0
	v_add3_u32 v19, v19, v21, v20
	v_mul_lo_u32 v20, v15, s26
	v_mul_lo_u32 v21, v14, s27
	v_mad_u64_u32 v[24:25], s[4:5], v14, s26, 0
	v_add3_u32 v25, v25, v21, v20
	v_lshlrev_b64 v[20:21], 1, v[18:19]
	v_mov_b32_e32 v18, s17
	v_add_co_u32_e32 v22, vcc, s16, v20
	v_addc_co_u32_e64 v23, s[4:5], v18, v21, vcc
	v_lshlrev_b64 v[18:19], 1, v[24:25]
	v_mov_b32_e32 v20, s17
	v_add_co_u32_e64 v24, s[4:5], s16, v18
	v_addc_co_u32_e64 v25, s[6:7], v20, v19, s[4:5]
	global_load_ushort v18, v[24:25], off
	global_load_ushort v20, v[22:23], off
	s_mov_b64 s[14:15], -1
	s_waitcnt vmcnt(1)
	v_lshlrev_b32_e32 v18, 16, v18
	s_waitcnt vmcnt(0)
	v_lshlrev_b32_e32 v20, 16, v20
	v_cmp_eq_f32_e64 s[6:7], v20, v18
	s_and_saveexec_b64 s[10:11], s[6:7]
	s_cbranch_execz .LBB1231_115
; %bb.109:
	v_mov_b32_e32 v18, s17
	v_addc_co_u32_e64 v19, s[4:5], v19, v18, s[4:5]
	v_add_co_u32_e64 v18, s[4:5], 2, v24
	v_mov_b32_e32 v20, s17
	v_addc_co_u32_e64 v19, s[4:5], 0, v19, s[4:5]
	v_addc_co_u32_e32 v21, vcc, v21, v20, vcc
	v_add_co_u32_e32 v20, vcc, 2, v22
	s_add_u32 s4, s26, -1
	v_addc_co_u32_e32 v21, vcc, 0, v21, vcc
	s_addc_u32 s5, s27, -1
	s_mov_b64 s[6:7], 0
                                        ; implicit-def: $sgpr14_sgpr15
	s_branch .LBB1231_112
.LBB1231_110:                           ;   in Loop: Header=BB1231_112 Depth=1
	global_load_ushort v22, v[18:19], off
	global_load_ushort v23, v[20:21], off
	v_add_co_u32_e32 v18, vcc, 2, v18
	v_addc_co_u32_e32 v19, vcc, 0, v19, vcc
	v_add_co_u32_e32 v20, vcc, 2, v20
	v_addc_co_u32_e32 v21, vcc, 0, v21, vcc
	s_add_u32 s38, s38, 1
	s_addc_u32 s39, s39, 0
	s_andn2_b64 s[14:15], s[14:15], exec
	s_waitcnt vmcnt(1)
	v_lshlrev_b32_e32 v22, 16, v22
	s_waitcnt vmcnt(0)
	v_lshlrev_b32_e32 v23, 16, v23
	v_cmp_neq_f32_e32 vcc, v23, v22
	s_and_b64 s[40:41], vcc, exec
	s_or_b64 s[14:15], s[14:15], s[40:41]
.LBB1231_111:                           ;   in Loop: Header=BB1231_112 Depth=1
	s_and_b64 s[40:41], exec, s[14:15]
	s_or_b64 s[6:7], s[40:41], s[6:7]
	v_pk_mov_b32 v[22:23], s[38:39], s[38:39] op_sel:[0,1]
	s_andn2_b64 exec, exec, s[6:7]
	s_cbranch_execz .LBB1231_114
.LBB1231_112:                           ; =>This Inner Loop Header: Depth=1
	s_or_b64 s[14:15], s[14:15], exec
	s_cmp_eq_u64 s[4:5], s[38:39]
	s_cbranch_scc0 .LBB1231_110
; %bb.113:                              ;   in Loop: Header=BB1231_112 Depth=1
                                        ; implicit-def: $vgpr18_vgpr19
                                        ; implicit-def: $vgpr20_vgpr21
	s_mov_b64 s[38:39], s[26:27]
	s_branch .LBB1231_111
.LBB1231_114:
	s_or_b64 exec, exec, s[6:7]
	v_cmp_gt_i64_e32 vcc, s[26:27], v[22:23]
	s_orn2_b64 s[14:15], vcc, exec
.LBB1231_115:
	s_or_b64 exec, exec, s[10:11]
.LBB1231_116:
	s_and_b64 s[38:39], s[14:15], exec
.LBB1231_117:
	s_or_b64 exec, exec, s[8:9]
	v_or_b32_e32 v28, v26, v27
.LBB1231_118:
	s_mov_b64 s[14:15], -1
	s_cbranch_execnz .LBB1231_207
.LBB1231_119:
	v_lshlrev_b32_e32 v29, 3, v0
	s_mov_b64 s[38:39], 0
	v_cmp_gt_i64_e64 s[10:11], s[26:27], 0
	s_and_b64 vcc, exec, s[34:35]
	ds_write_b64 v29, v[12:13]
	s_cbranch_vccz .LBB1231_127
; %bb.120:
	v_mul_lo_u32 v20, v11, s26
	v_mul_lo_u32 v21, v10, s27
	s_waitcnt vmcnt(0) lgkmcnt(1)
	v_mad_u64_u32 v[18:19], s[4:5], v10, s26, 0
	v_add3_u32 v19, v19, v21, v20
	v_cndmask_b32_e64 v20, 0, 1, s[10:11]
	v_cmp_ne_u32_e64 s[4:5], 1, v20
	s_andn2_b64 vcc, exec, s[10:11]
	v_lshlrev_b64 v[18:19], 1, v[18:19]
	s_cbranch_vccnz .LBB1231_130
; %bb.121:
	v_mul_lo_u32 v22, v13, s26
	v_mul_lo_u32 v23, v12, s27
	v_mad_u64_u32 v[20:21], s[6:7], v12, s26, 0
	v_add3_u32 v21, v21, v23, v22
	v_mov_b32_e32 v23, s17
	v_add_co_u32_e32 v22, vcc, s16, v18
	v_addc_co_u32_e64 v23, s[6:7], v23, v19, vcc
	v_lshlrev_b64 v[20:21], 1, v[20:21]
	v_mov_b32_e32 v25, s17
	v_add_co_u32_e64 v24, s[6:7], s16, v20
	v_addc_co_u32_e64 v25, s[8:9], v25, v21, s[6:7]
	global_load_ushort v20, v[24:25], off
	global_load_ushort v26, v[22:23], off
	s_mov_b64 s[38:39], -1
	s_waitcnt vmcnt(1)
	v_lshlrev_b32_e32 v20, 16, v20
	s_waitcnt vmcnt(0)
	v_lshlrev_b32_e32 v23, 16, v26
	v_cmp_eq_f32_e64 s[8:9], v23, v20
	s_and_saveexec_b64 s[40:41], s[8:9]
	s_cbranch_execz .LBB1231_129
; %bb.122:
	v_mov_b32_e32 v20, s17
	v_addc_co_u32_e64 v21, s[6:7], v21, v20, s[6:7]
	v_add_co_u32_e64 v20, s[6:7], 2, v24
	v_mov_b32_e32 v23, s17
	v_addc_co_u32_e64 v21, s[6:7], 0, v21, s[6:7]
	v_addc_co_u32_e32 v23, vcc, v19, v23, vcc
	v_add_co_u32_e32 v22, vcc, 2, v22
	s_add_u32 s6, s26, -1
	v_addc_co_u32_e32 v23, vcc, 0, v23, vcc
	s_addc_u32 s7, s27, -1
	s_mov_b64 s[8:9], 0
	s_mov_b64 s[42:43], 0
                                        ; implicit-def: $sgpr38_sgpr39
	s_branch .LBB1231_125
.LBB1231_123:                           ;   in Loop: Header=BB1231_125 Depth=1
	global_load_ushort v24, v[20:21], off
	global_load_ushort v25, v[22:23], off
	v_add_co_u32_e32 v20, vcc, 2, v20
	v_addc_co_u32_e32 v21, vcc, 0, v21, vcc
	v_add_co_u32_e32 v22, vcc, 2, v22
	v_addc_co_u32_e32 v23, vcc, 0, v23, vcc
	s_add_u32 s42, s42, 1
	s_addc_u32 s43, s43, 0
	s_andn2_b64 s[38:39], s[38:39], exec
	s_waitcnt vmcnt(1)
	v_lshlrev_b32_e32 v24, 16, v24
	s_waitcnt vmcnt(0)
	v_lshlrev_b32_e32 v25, 16, v25
	v_cmp_neq_f32_e32 vcc, v25, v24
	s_and_b64 s[44:45], vcc, exec
	s_or_b64 s[38:39], s[38:39], s[44:45]
.LBB1231_124:                           ;   in Loop: Header=BB1231_125 Depth=1
	s_and_b64 s[44:45], exec, s[38:39]
	s_or_b64 s[8:9], s[44:45], s[8:9]
	v_pk_mov_b32 v[24:25], s[42:43], s[42:43] op_sel:[0,1]
	s_andn2_b64 exec, exec, s[8:9]
	s_cbranch_execz .LBB1231_128
.LBB1231_125:                           ; =>This Inner Loop Header: Depth=1
	s_or_b64 s[38:39], s[38:39], exec
	s_cmp_eq_u64 s[6:7], s[42:43]
	s_cbranch_scc0 .LBB1231_123
; %bb.126:                              ;   in Loop: Header=BB1231_125 Depth=1
                                        ; implicit-def: $vgpr20_vgpr21
                                        ; implicit-def: $vgpr22_vgpr23
	s_mov_b64 s[42:43], s[26:27]
	s_branch .LBB1231_124
.LBB1231_127:
                                        ; implicit-def: $sgpr38_sgpr39
                                        ; implicit-def: $vgpr28
	s_cbranch_execnz .LBB1231_160
	s_branch .LBB1231_207
.LBB1231_128:
	s_or_b64 exec, exec, s[8:9]
	v_cmp_gt_i64_e32 vcc, s[26:27], v[24:25]
	s_orn2_b64 s[38:39], vcc, exec
.LBB1231_129:
	s_or_b64 exec, exec, s[40:41]
.LBB1231_130:
	v_mul_lo_u32 v22, v17, s26
	v_mul_lo_u32 v23, v16, s27
	v_mad_u64_u32 v[20:21], s[6:7], v16, s26, 0
	v_add3_u32 v21, v21, v23, v22
	s_mov_b64 s[40:41], 0
	s_and_b64 vcc, exec, s[4:5]
	v_lshlrev_b64 v[20:21], 1, v[20:21]
	s_mov_b64 s[42:43], 0
	s_cbranch_vccnz .LBB1231_139
; %bb.131:
	v_mov_b32_e32 v23, s17
	v_add_co_u32_e32 v22, vcc, s16, v20
	v_addc_co_u32_e64 v23, s[6:7], v23, v21, vcc
	v_mov_b32_e32 v25, s17
	v_add_co_u32_e64 v24, s[6:7], s16, v18
	v_addc_co_u32_e64 v25, s[8:9], v25, v19, s[6:7]
	global_load_ushort v18, v[24:25], off
	global_load_ushort v26, v[22:23], off
	s_mov_b64 s[42:43], -1
	s_waitcnt vmcnt(1)
	v_lshlrev_b32_e32 v18, 16, v18
	s_waitcnt vmcnt(0)
	v_lshlrev_b32_e32 v23, 16, v26
	v_cmp_eq_f32_e64 s[8:9], v23, v18
	s_and_saveexec_b64 s[44:45], s[8:9]
	s_cbranch_execz .LBB1231_138
; %bb.132:
	v_mov_b32_e32 v18, s17
	v_addc_co_u32_e64 v19, s[6:7], v19, v18, s[6:7]
	v_add_co_u32_e64 v18, s[6:7], 2, v24
	v_mov_b32_e32 v23, s17
	v_addc_co_u32_e64 v19, s[6:7], 0, v19, s[6:7]
	v_addc_co_u32_e32 v23, vcc, v21, v23, vcc
	v_add_co_u32_e32 v22, vcc, 2, v22
	s_add_u32 s6, s26, -1
	v_addc_co_u32_e32 v23, vcc, 0, v23, vcc
	s_addc_u32 s7, s27, -1
	s_mov_b64 s[8:9], 0
	s_mov_b64 s[46:47], 0
                                        ; implicit-def: $sgpr42_sgpr43
	s_branch .LBB1231_135
.LBB1231_133:                           ;   in Loop: Header=BB1231_135 Depth=1
	global_load_ushort v24, v[18:19], off
	global_load_ushort v25, v[22:23], off
	v_add_co_u32_e32 v18, vcc, 2, v18
	v_addc_co_u32_e32 v19, vcc, 0, v19, vcc
	v_add_co_u32_e32 v22, vcc, 2, v22
	v_addc_co_u32_e32 v23, vcc, 0, v23, vcc
	s_add_u32 s46, s46, 1
	s_addc_u32 s47, s47, 0
	s_andn2_b64 s[42:43], s[42:43], exec
	s_waitcnt vmcnt(1)
	v_lshlrev_b32_e32 v24, 16, v24
	s_waitcnt vmcnt(0)
	v_lshlrev_b32_e32 v25, 16, v25
	v_cmp_neq_f32_e32 vcc, v25, v24
	s_and_b64 s[50:51], vcc, exec
	s_or_b64 s[42:43], s[42:43], s[50:51]
.LBB1231_134:                           ;   in Loop: Header=BB1231_135 Depth=1
	s_and_b64 s[50:51], exec, s[42:43]
	s_or_b64 s[8:9], s[50:51], s[8:9]
	v_pk_mov_b32 v[24:25], s[46:47], s[46:47] op_sel:[0,1]
	s_andn2_b64 exec, exec, s[8:9]
	s_cbranch_execz .LBB1231_137
.LBB1231_135:                           ; =>This Inner Loop Header: Depth=1
	s_or_b64 s[42:43], s[42:43], exec
	s_cmp_eq_u64 s[6:7], s[46:47]
	s_cbranch_scc0 .LBB1231_133
; %bb.136:                              ;   in Loop: Header=BB1231_135 Depth=1
                                        ; implicit-def: $vgpr18_vgpr19
                                        ; implicit-def: $vgpr22_vgpr23
	s_mov_b64 s[46:47], s[26:27]
	s_branch .LBB1231_134
.LBB1231_137:
	s_or_b64 exec, exec, s[8:9]
	v_cmp_gt_i64_e32 vcc, s[26:27], v[24:25]
	s_orn2_b64 s[42:43], vcc, exec
.LBB1231_138:
	s_or_b64 exec, exec, s[44:45]
.LBB1231_139:
	v_mul_lo_u32 v22, v15, s26
	v_mul_lo_u32 v23, v14, s27
	v_mad_u64_u32 v[18:19], s[6:7], v14, s26, 0
	s_and_b64 vcc, exec, s[4:5]
	v_add3_u32 v19, v19, v23, v22
	s_cbranch_vccnz .LBB1231_148
; %bb.140:
	v_lshlrev_b64 v[22:23], 1, v[18:19]
	v_mov_b32_e32 v25, s17
	v_add_co_u32_e32 v24, vcc, s16, v22
	v_addc_co_u32_e64 v25, s[6:7], v25, v23, vcc
	v_mov_b32_e32 v22, s17
	v_add_co_u32_e64 v26, s[6:7], s16, v20
	v_addc_co_u32_e64 v27, s[8:9], v22, v21, s[6:7]
	global_load_ushort v20, v[26:27], off
	global_load_ushort v22, v[24:25], off
	s_mov_b64 s[40:41], -1
	s_waitcnt vmcnt(1)
	v_lshlrev_b32_e32 v20, 16, v20
	s_waitcnt vmcnt(0)
	v_lshlrev_b32_e32 v22, 16, v22
	v_cmp_eq_f32_e64 s[8:9], v22, v20
	s_and_saveexec_b64 s[44:45], s[8:9]
	s_cbranch_execz .LBB1231_147
; %bb.141:
	v_mov_b32_e32 v20, s17
	v_addc_co_u32_e64 v21, s[6:7], v21, v20, s[6:7]
	v_add_co_u32_e64 v20, s[6:7], 2, v26
	v_mov_b32_e32 v22, s17
	v_addc_co_u32_e64 v21, s[6:7], 0, v21, s[6:7]
	v_addc_co_u32_e32 v23, vcc, v23, v22, vcc
	v_add_co_u32_e32 v22, vcc, 2, v24
	s_add_u32 s6, s26, -1
	v_addc_co_u32_e32 v23, vcc, 0, v23, vcc
	s_addc_u32 s7, s27, -1
	s_mov_b64 s[8:9], 0
	s_mov_b64 s[46:47], 0
                                        ; implicit-def: $sgpr40_sgpr41
	s_branch .LBB1231_144
.LBB1231_142:                           ;   in Loop: Header=BB1231_144 Depth=1
	global_load_ushort v24, v[20:21], off
	global_load_ushort v25, v[22:23], off
	v_add_co_u32_e32 v20, vcc, 2, v20
	v_addc_co_u32_e32 v21, vcc, 0, v21, vcc
	v_add_co_u32_e32 v22, vcc, 2, v22
	v_addc_co_u32_e32 v23, vcc, 0, v23, vcc
	s_add_u32 s46, s46, 1
	s_addc_u32 s47, s47, 0
	s_andn2_b64 s[40:41], s[40:41], exec
	s_waitcnt vmcnt(1)
	v_lshlrev_b32_e32 v24, 16, v24
	s_waitcnt vmcnt(0)
	v_lshlrev_b32_e32 v25, 16, v25
	v_cmp_neq_f32_e32 vcc, v25, v24
	s_and_b64 s[50:51], vcc, exec
	s_or_b64 s[40:41], s[40:41], s[50:51]
.LBB1231_143:                           ;   in Loop: Header=BB1231_144 Depth=1
	s_and_b64 s[50:51], exec, s[40:41]
	s_or_b64 s[8:9], s[50:51], s[8:9]
	v_pk_mov_b32 v[24:25], s[46:47], s[46:47] op_sel:[0,1]
	s_andn2_b64 exec, exec, s[8:9]
	s_cbranch_execz .LBB1231_146
.LBB1231_144:                           ; =>This Inner Loop Header: Depth=1
	s_or_b64 s[40:41], s[40:41], exec
	s_cmp_eq_u64 s[6:7], s[46:47]
	s_cbranch_scc0 .LBB1231_142
; %bb.145:                              ;   in Loop: Header=BB1231_144 Depth=1
                                        ; implicit-def: $vgpr20_vgpr21
                                        ; implicit-def: $vgpr22_vgpr23
	s_mov_b64 s[46:47], s[26:27]
	s_branch .LBB1231_143
.LBB1231_146:
	s_or_b64 exec, exec, s[8:9]
	v_cmp_gt_i64_e32 vcc, s[26:27], v[24:25]
	s_orn2_b64 s[40:41], vcc, exec
.LBB1231_147:
	s_or_b64 exec, exec, s[44:45]
.LBB1231_148:
	v_cndmask_b32_e64 v21, 0, 1, s[38:39]
	v_cndmask_b32_e64 v22, 0, 1, s[40:41]
	;; [unrolled: 1-line block ×3, first 2 shown]
	v_lshlrev_b16_e32 v22, 8, v22
	v_lshlrev_b16_e32 v21, 8, v21
	v_or_b32_e32 v22, 1, v22
	v_or_b32_sdwa v20, v20, v21 dst_sel:WORD_1 dst_unused:UNUSED_PAD src0_sel:DWORD src1_sel:DWORD
	v_or_b32_sdwa v28, v22, v20 dst_sel:DWORD dst_unused:UNUSED_PAD src0_sel:WORD_0 src1_sel:DWORD
	s_waitcnt lgkmcnt(0)
	s_barrier
	s_waitcnt lgkmcnt(0)
                                        ; implicit-def: $sgpr38_sgpr39
	s_and_saveexec_b64 s[6:7], s[2:3]
	s_xor_b64 s[8:9], exec, s[6:7]
	s_cbranch_execz .LBB1231_159
; %bb.149:
	s_and_b64 vcc, exec, s[4:5]
	s_mov_b64 s[40:41], 0
	s_cbranch_vccnz .LBB1231_158
; %bb.150:
	v_add_u32_e32 v20, -8, v29
	ds_read_b64 v[20:21], v20
	v_mov_b32_e32 v23, s17
	v_lshlrev_b64 v[18:19], 1, v[18:19]
	s_mov_b64 s[40:41], -1
	s_waitcnt lgkmcnt(0)
	v_mul_lo_u32 v22, v21, s26
	v_mul_lo_u32 v24, v20, s27
	v_mad_u64_u32 v[20:21], s[4:5], v20, s26, 0
	v_add3_u32 v21, v21, v24, v22
	v_lshlrev_b64 v[20:21], 1, v[20:21]
	v_add_co_u32_e32 v22, vcc, s16, v20
	v_addc_co_u32_e64 v23, s[4:5], v23, v21, vcc
	v_mov_b32_e32 v20, s17
	v_add_co_u32_e64 v24, s[4:5], s16, v18
	v_addc_co_u32_e64 v25, s[6:7], v20, v19, s[4:5]
	global_load_ushort v18, v[22:23], off
	global_load_ushort v20, v[24:25], off
	s_waitcnt vmcnt(1)
	v_lshlrev_b32_e32 v18, 16, v18
	s_waitcnt vmcnt(0)
	v_lshlrev_b32_e32 v20, 16, v20
	v_cmp_eq_f32_e64 s[6:7], v18, v20
	s_and_saveexec_b64 s[38:39], s[6:7]
	s_cbranch_execz .LBB1231_157
; %bb.151:
	v_mov_b32_e32 v18, s17
	v_addc_co_u32_e64 v19, s[4:5], v19, v18, s[4:5]
	v_add_co_u32_e64 v18, s[4:5], 2, v24
	v_mov_b32_e32 v20, s17
	v_addc_co_u32_e64 v19, s[4:5], 0, v19, s[4:5]
	v_addc_co_u32_e32 v21, vcc, v21, v20, vcc
	v_add_co_u32_e32 v20, vcc, 2, v22
	s_add_u32 s4, s26, -1
	v_addc_co_u32_e32 v21, vcc, 0, v21, vcc
	s_addc_u32 s5, s27, -1
	s_mov_b64 s[6:7], 0
	s_mov_b64 s[42:43], 0
                                        ; implicit-def: $sgpr40_sgpr41
	s_branch .LBB1231_154
.LBB1231_152:                           ;   in Loop: Header=BB1231_154 Depth=1
	global_load_ushort v22, v[18:19], off
	global_load_ushort v23, v[20:21], off
	v_add_co_u32_e32 v18, vcc, 2, v18
	v_addc_co_u32_e32 v19, vcc, 0, v19, vcc
	v_add_co_u32_e32 v20, vcc, 2, v20
	v_addc_co_u32_e32 v21, vcc, 0, v21, vcc
	s_add_u32 s42, s42, 1
	s_addc_u32 s43, s43, 0
	s_andn2_b64 s[40:41], s[40:41], exec
	s_waitcnt vmcnt(1)
	v_lshlrev_b32_e32 v22, 16, v22
	s_waitcnt vmcnt(0)
	v_lshlrev_b32_e32 v23, 16, v23
	v_cmp_neq_f32_e32 vcc, v23, v22
	s_and_b64 s[44:45], vcc, exec
	s_or_b64 s[40:41], s[40:41], s[44:45]
.LBB1231_153:                           ;   in Loop: Header=BB1231_154 Depth=1
	s_and_b64 s[44:45], exec, s[40:41]
	s_or_b64 s[6:7], s[44:45], s[6:7]
	v_pk_mov_b32 v[22:23], s[42:43], s[42:43] op_sel:[0,1]
	s_andn2_b64 exec, exec, s[6:7]
	s_cbranch_execz .LBB1231_156
.LBB1231_154:                           ; =>This Inner Loop Header: Depth=1
	s_or_b64 s[40:41], s[40:41], exec
	s_cmp_eq_u64 s[4:5], s[42:43]
	s_cbranch_scc0 .LBB1231_152
; %bb.155:                              ;   in Loop: Header=BB1231_154 Depth=1
                                        ; implicit-def: $vgpr18_vgpr19
                                        ; implicit-def: $vgpr20_vgpr21
	s_mov_b64 s[42:43], s[26:27]
	s_branch .LBB1231_153
.LBB1231_156:
	s_or_b64 exec, exec, s[6:7]
	v_cmp_gt_i64_e32 vcc, s[26:27], v[22:23]
	s_orn2_b64 s[40:41], vcc, exec
.LBB1231_157:
	s_or_b64 exec, exec, s[38:39]
.LBB1231_158:
	s_and_b64 s[38:39], s[40:41], exec
	s_or_b64 s[14:15], s[14:15], exec
.LBB1231_159:
	s_or_b64 exec, exec, s[8:9]
	s_branch .LBB1231_207
.LBB1231_160:
	s_waitcnt vmcnt(0) lgkmcnt(1)
	v_or_b32_e32 v18, 3, v1
	v_cmp_gt_u32_e32 vcc, s48, v18
	s_mov_b64 s[38:39], 0
	s_mov_b64 s[8:9], 0
	s_and_saveexec_b64 s[40:41], vcc
	s_cbranch_execz .LBB1231_171
; %bb.161:
	s_andn2_b64 vcc, exec, s[10:11]
	s_mov_b64 s[42:43], 0
	s_cbranch_vccnz .LBB1231_170
; %bb.162:
	v_mul_lo_u32 v20, v11, s26
	v_mul_lo_u32 v21, v10, s27
	v_mad_u64_u32 v[18:19], s[4:5], v10, s26, 0
	v_add3_u32 v19, v19, v21, v20
	v_mul_lo_u32 v20, v13, s26
	v_mul_lo_u32 v21, v12, s27
	v_mad_u64_u32 v[24:25], s[4:5], v12, s26, 0
	v_add3_u32 v25, v25, v21, v20
	v_lshlrev_b64 v[20:21], 1, v[18:19]
	v_mov_b32_e32 v18, s17
	v_add_co_u32_e32 v22, vcc, s16, v20
	v_addc_co_u32_e64 v23, s[4:5], v18, v21, vcc
	v_lshlrev_b64 v[18:19], 1, v[24:25]
	v_mov_b32_e32 v20, s17
	v_add_co_u32_e64 v24, s[4:5], s16, v18
	v_addc_co_u32_e64 v25, s[6:7], v20, v19, s[4:5]
	global_load_ushort v18, v[24:25], off
	global_load_ushort v20, v[22:23], off
	s_mov_b64 s[42:43], -1
	s_waitcnt vmcnt(1)
	v_lshlrev_b32_e32 v18, 16, v18
	s_waitcnt vmcnt(0)
	v_lshlrev_b32_e32 v20, 16, v20
	v_cmp_eq_f32_e64 s[6:7], v20, v18
	s_and_saveexec_b64 s[8:9], s[6:7]
	s_cbranch_execz .LBB1231_169
; %bb.163:
	v_mov_b32_e32 v18, s17
	v_addc_co_u32_e64 v19, s[4:5], v19, v18, s[4:5]
	v_add_co_u32_e64 v18, s[4:5], 2, v24
	v_mov_b32_e32 v20, s17
	v_addc_co_u32_e64 v19, s[4:5], 0, v19, s[4:5]
	v_addc_co_u32_e32 v21, vcc, v21, v20, vcc
	v_add_co_u32_e32 v20, vcc, 2, v22
	s_add_u32 s4, s26, -1
	v_addc_co_u32_e32 v21, vcc, 0, v21, vcc
	s_addc_u32 s5, s27, -1
	s_mov_b64 s[6:7], 0
	s_mov_b64 s[44:45], 0
                                        ; implicit-def: $sgpr42_sgpr43
	s_branch .LBB1231_166
.LBB1231_164:                           ;   in Loop: Header=BB1231_166 Depth=1
	global_load_ushort v22, v[18:19], off
	global_load_ushort v23, v[20:21], off
	v_add_co_u32_e32 v18, vcc, 2, v18
	v_addc_co_u32_e32 v19, vcc, 0, v19, vcc
	v_add_co_u32_e32 v20, vcc, 2, v20
	v_addc_co_u32_e32 v21, vcc, 0, v21, vcc
	s_add_u32 s44, s44, 1
	s_addc_u32 s45, s45, 0
	s_andn2_b64 s[42:43], s[42:43], exec
	s_waitcnt vmcnt(1)
	v_lshlrev_b32_e32 v22, 16, v22
	s_waitcnt vmcnt(0)
	v_lshlrev_b32_e32 v23, 16, v23
	v_cmp_neq_f32_e32 vcc, v23, v22
	s_and_b64 s[46:47], vcc, exec
	s_or_b64 s[42:43], s[42:43], s[46:47]
.LBB1231_165:                           ;   in Loop: Header=BB1231_166 Depth=1
	s_and_b64 s[46:47], exec, s[42:43]
	s_or_b64 s[6:7], s[46:47], s[6:7]
	v_pk_mov_b32 v[22:23], s[44:45], s[44:45] op_sel:[0,1]
	s_andn2_b64 exec, exec, s[6:7]
	s_cbranch_execz .LBB1231_168
.LBB1231_166:                           ; =>This Inner Loop Header: Depth=1
	s_or_b64 s[42:43], s[42:43], exec
	s_cmp_eq_u64 s[4:5], s[44:45]
	s_cbranch_scc0 .LBB1231_164
; %bb.167:                              ;   in Loop: Header=BB1231_166 Depth=1
                                        ; implicit-def: $vgpr18_vgpr19
                                        ; implicit-def: $vgpr20_vgpr21
	s_mov_b64 s[44:45], s[26:27]
	s_branch .LBB1231_165
.LBB1231_168:
	s_or_b64 exec, exec, s[6:7]
	v_cmp_gt_i64_e32 vcc, s[26:27], v[22:23]
	s_orn2_b64 s[42:43], vcc, exec
.LBB1231_169:
	s_or_b64 exec, exec, s[8:9]
.LBB1231_170:
	s_and_b64 s[8:9], s[42:43], exec
.LBB1231_171:
	s_or_b64 exec, exec, s[40:41]
	v_or_b32_e32 v18, 2, v1
	v_cmp_gt_u32_e32 vcc, s48, v18
	s_and_saveexec_b64 s[40:41], vcc
	s_cbranch_execz .LBB1231_182
; %bb.172:
	s_andn2_b64 vcc, exec, s[10:11]
	s_mov_b64 s[42:43], 0
	s_cbranch_vccnz .LBB1231_181
; %bb.173:
	v_mul_lo_u32 v20, v17, s26
	v_mul_lo_u32 v21, v16, s27
	v_mad_u64_u32 v[18:19], s[4:5], v16, s26, 0
	v_add3_u32 v19, v19, v21, v20
	v_mul_lo_u32 v20, v11, s26
	v_mul_lo_u32 v21, v10, s27
	v_mad_u64_u32 v[24:25], s[4:5], v10, s26, 0
	v_add3_u32 v25, v25, v21, v20
	v_lshlrev_b64 v[20:21], 1, v[18:19]
	v_mov_b32_e32 v18, s17
	v_add_co_u32_e32 v22, vcc, s16, v20
	v_addc_co_u32_e64 v23, s[4:5], v18, v21, vcc
	v_lshlrev_b64 v[18:19], 1, v[24:25]
	v_mov_b32_e32 v20, s17
	v_add_co_u32_e64 v24, s[4:5], s16, v18
	v_addc_co_u32_e64 v25, s[6:7], v20, v19, s[4:5]
	global_load_ushort v18, v[24:25], off
	global_load_ushort v20, v[22:23], off
	s_mov_b64 s[42:43], -1
	s_waitcnt vmcnt(1)
	v_lshlrev_b32_e32 v18, 16, v18
	s_waitcnt vmcnt(0)
	v_lshlrev_b32_e32 v20, 16, v20
	v_cmp_eq_f32_e64 s[6:7], v20, v18
	s_and_saveexec_b64 s[38:39], s[6:7]
	s_cbranch_execz .LBB1231_180
; %bb.174:
	v_mov_b32_e32 v18, s17
	v_addc_co_u32_e64 v19, s[4:5], v19, v18, s[4:5]
	v_add_co_u32_e64 v18, s[4:5], 2, v24
	v_mov_b32_e32 v20, s17
	v_addc_co_u32_e64 v19, s[4:5], 0, v19, s[4:5]
	v_addc_co_u32_e32 v21, vcc, v21, v20, vcc
	v_add_co_u32_e32 v20, vcc, 2, v22
	s_add_u32 s4, s26, -1
	v_addc_co_u32_e32 v21, vcc, 0, v21, vcc
	s_addc_u32 s5, s27, -1
	s_mov_b64 s[6:7], 0
	s_mov_b64 s[44:45], 0
                                        ; implicit-def: $sgpr42_sgpr43
	s_branch .LBB1231_177
.LBB1231_175:                           ;   in Loop: Header=BB1231_177 Depth=1
	global_load_ushort v22, v[18:19], off
	global_load_ushort v23, v[20:21], off
	v_add_co_u32_e32 v18, vcc, 2, v18
	v_addc_co_u32_e32 v19, vcc, 0, v19, vcc
	v_add_co_u32_e32 v20, vcc, 2, v20
	v_addc_co_u32_e32 v21, vcc, 0, v21, vcc
	s_add_u32 s44, s44, 1
	s_addc_u32 s45, s45, 0
	s_andn2_b64 s[42:43], s[42:43], exec
	s_waitcnt vmcnt(1)
	v_lshlrev_b32_e32 v22, 16, v22
	s_waitcnt vmcnt(0)
	v_lshlrev_b32_e32 v23, 16, v23
	v_cmp_neq_f32_e32 vcc, v23, v22
	s_and_b64 s[46:47], vcc, exec
	s_or_b64 s[42:43], s[42:43], s[46:47]
.LBB1231_176:                           ;   in Loop: Header=BB1231_177 Depth=1
	s_and_b64 s[46:47], exec, s[42:43]
	s_or_b64 s[6:7], s[46:47], s[6:7]
	v_pk_mov_b32 v[22:23], s[44:45], s[44:45] op_sel:[0,1]
	s_andn2_b64 exec, exec, s[6:7]
	s_cbranch_execz .LBB1231_179
.LBB1231_177:                           ; =>This Inner Loop Header: Depth=1
	s_or_b64 s[42:43], s[42:43], exec
	s_cmp_eq_u64 s[4:5], s[44:45]
	s_cbranch_scc0 .LBB1231_175
; %bb.178:                              ;   in Loop: Header=BB1231_177 Depth=1
                                        ; implicit-def: $vgpr18_vgpr19
                                        ; implicit-def: $vgpr20_vgpr21
	s_mov_b64 s[44:45], s[26:27]
	s_branch .LBB1231_176
.LBB1231_179:
	s_or_b64 exec, exec, s[6:7]
	v_cmp_gt_i64_e32 vcc, s[26:27], v[22:23]
	s_orn2_b64 s[42:43], vcc, exec
.LBB1231_180:
	s_or_b64 exec, exec, s[38:39]
.LBB1231_181:
	s_and_b64 s[38:39], s[42:43], exec
.LBB1231_182:
	s_or_b64 exec, exec, s[40:41]
	v_or_b32_e32 v18, 1, v1
	v_cmp_gt_u32_e32 vcc, s48, v18
	s_mov_b64 s[4:5], 0
	s_and_saveexec_b64 s[40:41], vcc
	s_cbranch_execz .LBB1231_193
; %bb.183:
	s_andn2_b64 vcc, exec, s[10:11]
	s_mov_b64 s[44:45], 0
	s_cbranch_vccnz .LBB1231_192
; %bb.184:
	v_mul_lo_u32 v20, v15, s26
	v_mul_lo_u32 v21, v14, s27
	v_mad_u64_u32 v[18:19], s[4:5], v14, s26, 0
	v_add3_u32 v19, v19, v21, v20
	v_mul_lo_u32 v20, v17, s26
	v_mul_lo_u32 v21, v16, s27
	v_mad_u64_u32 v[24:25], s[4:5], v16, s26, 0
	v_add3_u32 v25, v25, v21, v20
	v_lshlrev_b64 v[20:21], 1, v[18:19]
	v_mov_b32_e32 v18, s17
	v_add_co_u32_e32 v22, vcc, s16, v20
	v_addc_co_u32_e64 v23, s[4:5], v18, v21, vcc
	v_lshlrev_b64 v[18:19], 1, v[24:25]
	v_mov_b32_e32 v20, s17
	v_add_co_u32_e64 v24, s[4:5], s16, v18
	v_addc_co_u32_e64 v25, s[6:7], v20, v19, s[4:5]
	global_load_ushort v18, v[24:25], off
	global_load_ushort v20, v[22:23], off
	s_mov_b64 s[44:45], -1
	s_waitcnt vmcnt(1)
	v_lshlrev_b32_e32 v18, 16, v18
	s_waitcnt vmcnt(0)
	v_lshlrev_b32_e32 v20, 16, v20
	v_cmp_eq_f32_e64 s[6:7], v20, v18
	s_and_saveexec_b64 s[42:43], s[6:7]
	s_cbranch_execz .LBB1231_191
; %bb.185:
	v_mov_b32_e32 v18, s17
	v_addc_co_u32_e64 v19, s[4:5], v19, v18, s[4:5]
	v_add_co_u32_e64 v18, s[4:5], 2, v24
	v_mov_b32_e32 v20, s17
	v_addc_co_u32_e64 v19, s[4:5], 0, v19, s[4:5]
	v_addc_co_u32_e32 v21, vcc, v21, v20, vcc
	v_add_co_u32_e32 v20, vcc, 2, v22
	s_add_u32 s4, s26, -1
	v_addc_co_u32_e32 v21, vcc, 0, v21, vcc
	s_addc_u32 s5, s27, -1
	s_mov_b64 s[6:7], 0
	s_mov_b64 s[46:47], 0
                                        ; implicit-def: $sgpr44_sgpr45
	s_branch .LBB1231_188
.LBB1231_186:                           ;   in Loop: Header=BB1231_188 Depth=1
	global_load_ushort v22, v[18:19], off
	global_load_ushort v23, v[20:21], off
	v_add_co_u32_e32 v18, vcc, 2, v18
	v_addc_co_u32_e32 v19, vcc, 0, v19, vcc
	v_add_co_u32_e32 v20, vcc, 2, v20
	v_addc_co_u32_e32 v21, vcc, 0, v21, vcc
	s_add_u32 s46, s46, 1
	s_addc_u32 s47, s47, 0
	s_andn2_b64 s[44:45], s[44:45], exec
	s_waitcnt vmcnt(1)
	v_lshlrev_b32_e32 v22, 16, v22
	s_waitcnt vmcnt(0)
	v_lshlrev_b32_e32 v23, 16, v23
	v_cmp_neq_f32_e32 vcc, v23, v22
	s_and_b64 s[50:51], vcc, exec
	s_or_b64 s[44:45], s[44:45], s[50:51]
.LBB1231_187:                           ;   in Loop: Header=BB1231_188 Depth=1
	s_and_b64 s[50:51], exec, s[44:45]
	s_or_b64 s[6:7], s[50:51], s[6:7]
	v_pk_mov_b32 v[22:23], s[46:47], s[46:47] op_sel:[0,1]
	s_andn2_b64 exec, exec, s[6:7]
	s_cbranch_execz .LBB1231_190
.LBB1231_188:                           ; =>This Inner Loop Header: Depth=1
	s_or_b64 s[44:45], s[44:45], exec
	s_cmp_eq_u64 s[4:5], s[46:47]
	s_cbranch_scc0 .LBB1231_186
; %bb.189:                              ;   in Loop: Header=BB1231_188 Depth=1
                                        ; implicit-def: $vgpr18_vgpr19
                                        ; implicit-def: $vgpr20_vgpr21
	s_mov_b64 s[46:47], s[26:27]
	s_branch .LBB1231_187
.LBB1231_190:
	s_or_b64 exec, exec, s[6:7]
	v_cmp_gt_i64_e32 vcc, s[26:27], v[22:23]
	s_orn2_b64 s[44:45], vcc, exec
.LBB1231_191:
	s_or_b64 exec, exec, s[42:43]
.LBB1231_192:
	s_and_b64 s[4:5], s[44:45], exec
.LBB1231_193:
	s_or_b64 exec, exec, s[40:41]
	v_cndmask_b32_e64 v19, 0, 1, s[8:9]
	v_cndmask_b32_e64 v20, 0, 1, s[4:5]
	;; [unrolled: 1-line block ×3, first 2 shown]
	v_lshlrev_b16_e32 v20, 8, v20
	v_lshlrev_b16_e32 v19, 8, v19
	v_or_b32_e32 v20, 1, v20
	v_or_b32_sdwa v18, v18, v19 dst_sel:WORD_1 dst_unused:UNUSED_PAD src0_sel:DWORD src1_sel:DWORD
	v_or_b32_sdwa v28, v20, v18 dst_sel:DWORD dst_unused:UNUSED_PAD src0_sel:WORD_0 src1_sel:DWORD
	s_waitcnt lgkmcnt(0)
	s_barrier
	s_waitcnt lgkmcnt(0)
                                        ; implicit-def: $sgpr38_sgpr39
	s_and_saveexec_b64 s[6:7], s[2:3]
	s_cbranch_execz .LBB1231_206
; %bb.194:
	v_cmp_gt_u32_e32 vcc, s48, v1
	s_mov_b64 s[2:3], 0
	s_and_saveexec_b64 s[8:9], vcc
	s_cbranch_execz .LBB1231_205
; %bb.195:
	s_andn2_b64 vcc, exec, s[10:11]
	s_mov_b64 s[38:39], 0
	s_cbranch_vccnz .LBB1231_204
; %bb.196:
	v_add_u32_e32 v18, -8, v29
	ds_read_b64 v[18:19], v18
	v_mul_lo_u32 v20, v15, s26
	v_mad_u64_u32 v[24:25], s[2:3], v14, s26, 0
	s_mov_b64 s[38:39], -1
	s_waitcnt lgkmcnt(0)
	v_mul_lo_u32 v21, v19, s26
	v_mul_lo_u32 v22, v18, s27
	v_mad_u64_u32 v[18:19], s[2:3], v18, s26, 0
	v_add3_u32 v19, v19, v22, v21
	v_mul_lo_u32 v21, v14, s27
	v_add3_u32 v25, v25, v21, v20
	v_lshlrev_b64 v[20:21], 1, v[18:19]
	v_mov_b32_e32 v18, s17
	v_add_co_u32_e32 v22, vcc, s16, v20
	v_addc_co_u32_e64 v23, s[2:3], v18, v21, vcc
	v_lshlrev_b64 v[18:19], 1, v[24:25]
	v_mov_b32_e32 v20, s17
	v_add_co_u32_e64 v24, s[2:3], s16, v18
	v_addc_co_u32_e64 v25, s[4:5], v20, v19, s[2:3]
	global_load_ushort v18, v[24:25], off
	global_load_ushort v20, v[22:23], off
	s_waitcnt vmcnt(1)
	v_lshlrev_b32_e32 v18, 16, v18
	s_waitcnt vmcnt(0)
	v_lshlrev_b32_e32 v20, 16, v20
	v_cmp_eq_f32_e64 s[4:5], v20, v18
	s_and_saveexec_b64 s[10:11], s[4:5]
	s_cbranch_execz .LBB1231_203
; %bb.197:
	v_mov_b32_e32 v18, s17
	v_addc_co_u32_e64 v19, s[2:3], v19, v18, s[2:3]
	v_add_co_u32_e64 v18, s[2:3], 2, v24
	v_mov_b32_e32 v20, s17
	v_addc_co_u32_e64 v19, s[2:3], 0, v19, s[2:3]
	v_addc_co_u32_e32 v21, vcc, v21, v20, vcc
	v_add_co_u32_e32 v20, vcc, 2, v22
	s_add_u32 s2, s26, -1
	v_addc_co_u32_e32 v21, vcc, 0, v21, vcc
	s_addc_u32 s3, s27, -1
	s_mov_b64 s[4:5], 0
	s_mov_b64 s[38:39], 0
                                        ; implicit-def: $sgpr16_sgpr17
	s_branch .LBB1231_200
.LBB1231_198:                           ;   in Loop: Header=BB1231_200 Depth=1
	global_load_ushort v22, v[18:19], off
	global_load_ushort v23, v[20:21], off
	v_add_co_u32_e32 v18, vcc, 2, v18
	v_addc_co_u32_e32 v19, vcc, 0, v19, vcc
	v_add_co_u32_e32 v20, vcc, 2, v20
	v_addc_co_u32_e32 v21, vcc, 0, v21, vcc
	s_add_u32 s38, s38, 1
	s_addc_u32 s39, s39, 0
	s_andn2_b64 s[16:17], s[16:17], exec
	s_waitcnt vmcnt(1)
	v_lshlrev_b32_e32 v22, 16, v22
	s_waitcnt vmcnt(0)
	v_lshlrev_b32_e32 v23, 16, v23
	v_cmp_neq_f32_e32 vcc, v23, v22
	s_and_b64 s[40:41], vcc, exec
	s_or_b64 s[16:17], s[16:17], s[40:41]
.LBB1231_199:                           ;   in Loop: Header=BB1231_200 Depth=1
	s_and_b64 s[40:41], exec, s[16:17]
	s_or_b64 s[4:5], s[40:41], s[4:5]
	v_pk_mov_b32 v[22:23], s[38:39], s[38:39] op_sel:[0,1]
	s_andn2_b64 exec, exec, s[4:5]
	s_cbranch_execz .LBB1231_202
.LBB1231_200:                           ; =>This Inner Loop Header: Depth=1
	s_or_b64 s[16:17], s[16:17], exec
	s_cmp_eq_u64 s[2:3], s[38:39]
	s_cbranch_scc0 .LBB1231_198
; %bb.201:                              ;   in Loop: Header=BB1231_200 Depth=1
                                        ; implicit-def: $vgpr18_vgpr19
                                        ; implicit-def: $vgpr20_vgpr21
	s_mov_b64 s[38:39], s[26:27]
	s_branch .LBB1231_199
.LBB1231_202:
	s_or_b64 exec, exec, s[4:5]
	v_cmp_gt_i64_e32 vcc, s[26:27], v[22:23]
	s_orn2_b64 s[38:39], vcc, exec
.LBB1231_203:
	s_or_b64 exec, exec, s[10:11]
.LBB1231_204:
	s_and_b64 s[2:3], s[38:39], exec
.LBB1231_205:
	s_or_b64 exec, exec, s[8:9]
	s_and_b64 s[38:39], s[2:3], exec
	s_or_b64 s[14:15], s[14:15], exec
.LBB1231_206:
	s_or_b64 exec, exec, s[6:7]
.LBB1231_207:
	s_and_saveexec_b64 s[2:3], s[14:15]
	s_cbranch_execz .LBB1231_209
; %bb.208:
	s_waitcnt vmcnt(0) lgkmcnt(0)
	v_and_b32_e32 v18, 0xffffff00, v28
	v_cndmask_b32_e64 v19, 0, 1, s[38:39]
	v_or_b32_e32 v18, v19, v18
	v_and_b32_e32 v18, 0xffff, v18
	s_mov_b32 s4, 0xffff0000
	v_and_or_b32 v28, v28, s4, v18
.LBB1231_209:
	s_or_b64 exec, exec, s[2:3]
	s_andn2_b64 vcc, exec, s[12:13]
	s_cbranch_vccnz .LBB1231_211
; %bb.210:
	v_cmp_gt_u32_e32 vcc, s48, v1
	s_waitcnt vmcnt(0) lgkmcnt(0)
	v_cndmask_b32_e32 v18, 0, v28, vcc
	v_or_b32_e32 v19, 1, v1
	v_and_b32_e32 v18, 0xff, v18
	v_cmp_gt_u32_e32 vcc, s48, v19
	v_cndmask_b32_e32 v18, v18, v28, vcc
	v_or_b32_e32 v19, 2, v1
	v_and_b32_e32 v18, 0xffff, v18
	v_cmp_gt_u32_e32 vcc, s48, v19
	;; [unrolled: 4-line block ×3, first 2 shown]
	v_cndmask_b32_e32 v28, v18, v28, vcc
.LBB1231_211:
	v_bfe_u32 v30, v28, 16, 8
	v_lshrrev_b32_e32 v29, 24, v28
	s_waitcnt vmcnt(0) lgkmcnt(0)
	v_add_u32_sdwa v18, v28, v28 dst_sel:DWORD dst_unused:UNUSED_PAD src0_sel:BYTE_1 src1_sel:BYTE_0
	v_add3_u32 v33, v18, v30, v29
	v_mbcnt_lo_u32_b32 v18, -1, 0
	v_mbcnt_hi_u32_b32 v31, -1, v18
	v_and_b32_e32 v18, 15, v31
	v_cmp_eq_u32_e64 s[14:15], 0, v18
	v_cmp_lt_u32_e64 s[12:13], 1, v18
	v_cmp_lt_u32_e64 s[10:11], 3, v18
	v_cmp_lt_u32_e64 s[8:9], 7, v18
	v_and_b32_e32 v18, 16, v31
	v_cmp_eq_u32_e64 s[6:7], 0, v18
	v_or_b32_e32 v18, 63, v0
	v_cmp_lt_u32_e64 s[2:3], 31, v31
	v_lshrrev_b32_e32 v32, 6, v0
	v_cmp_eq_u32_e64 s[4:5], v18, v0
	s_and_b64 vcc, exec, s[36:37]
	s_barrier
	s_cbranch_vccz .LBB1231_238
; %bb.212:
	v_mov_b32_dpp v18, v33 row_shr:1 row_mask:0xf bank_mask:0xf
	v_cndmask_b32_e64 v18, v18, 0, s[14:15]
	v_add_u32_e32 v18, v18, v33
	s_nop 1
	v_mov_b32_dpp v19, v18 row_shr:2 row_mask:0xf bank_mask:0xf
	v_cndmask_b32_e64 v19, 0, v19, s[12:13]
	v_add_u32_e32 v18, v18, v19
	s_nop 1
	;; [unrolled: 4-line block ×4, first 2 shown]
	v_mov_b32_dpp v19, v18 row_bcast:15 row_mask:0xf bank_mask:0xf
	v_cndmask_b32_e64 v19, v19, 0, s[6:7]
	v_add_u32_e32 v18, v18, v19
	s_nop 1
	v_mov_b32_dpp v19, v18 row_bcast:31 row_mask:0xf bank_mask:0xf
	v_cndmask_b32_e64 v19, 0, v19, s[2:3]
	v_add_u32_e32 v18, v18, v19
	s_and_saveexec_b64 s[16:17], s[4:5]
	s_cbranch_execz .LBB1231_214
; %bb.213:
	v_lshlrev_b32_e32 v19, 2, v32
	ds_write_b32 v19, v18
.LBB1231_214:
	s_or_b64 exec, exec, s[16:17]
	v_cmp_gt_u32_e32 vcc, 2, v0
	s_waitcnt lgkmcnt(0)
	s_barrier
	s_and_saveexec_b64 s[16:17], vcc
	s_cbranch_execz .LBB1231_216
; %bb.215:
	ds_read_b32 v19, v1
	v_bfe_i32 v20, v31, 0, 1
	s_waitcnt lgkmcnt(0)
	v_mov_b32_dpp v21, v19 row_shr:1 row_mask:0xf bank_mask:0xf
	v_and_b32_e32 v20, v20, v21
	v_add_u32_e32 v19, v20, v19
	ds_write_b32 v1, v19
.LBB1231_216:
	s_or_b64 exec, exec, s[16:17]
	v_cmp_gt_u32_e32 vcc, 64, v0
	v_cmp_lt_u32_e64 s[16:17], 63, v0
	s_waitcnt lgkmcnt(0)
	s_barrier
	s_waitcnt lgkmcnt(0)
                                        ; implicit-def: $vgpr34
	s_and_saveexec_b64 s[26:27], s[16:17]
	s_cbranch_execz .LBB1231_218
; %bb.217:
	v_lshl_add_u32 v19, v32, 2, -4
	ds_read_b32 v34, v19
	s_waitcnt lgkmcnt(0)
	v_add_u32_e32 v18, v34, v18
.LBB1231_218:
	s_or_b64 exec, exec, s[26:27]
	v_add_u32_e32 v19, -1, v31
	v_and_b32_e32 v20, 64, v31
	v_cmp_lt_i32_e64 s[16:17], v19, v20
	v_cndmask_b32_e64 v19, v19, v31, s[16:17]
	v_lshlrev_b32_e32 v19, 2, v19
	ds_bpermute_b32 v35, v19, v18
	v_cmp_eq_u32_e64 s[16:17], 0, v31
	s_and_saveexec_b64 s[26:27], vcc
	s_cbranch_execz .LBB1231_237
; %bb.219:
	v_mov_b32_e32 v25, 0
	ds_read_b32 v18, v25 offset:4
	s_and_saveexec_b64 s[36:37], s[16:17]
	s_cbranch_execz .LBB1231_221
; %bb.220:
	s_add_i32 s38, s33, 64
	s_mov_b32 s39, 0
	s_lshl_b64 s[38:39], s[38:39], 3
	s_add_u32 s38, s18, s38
	v_mov_b32_e32 v19, 1
	s_addc_u32 s39, s19, s39
	s_waitcnt lgkmcnt(0)
	global_store_dwordx2 v25, v[18:19], s[38:39]
.LBB1231_221:
	s_or_b64 exec, exec, s[36:37]
	v_xad_u32 v20, v31, -1, s33
	v_add_u32_e32 v24, 64, v20
	v_lshlrev_b64 v[22:23], 3, v[24:25]
	v_mov_b32_e32 v19, s19
	v_add_co_u32_e32 v26, vcc, s18, v22
	v_addc_co_u32_e32 v27, vcc, v19, v23, vcc
	global_load_dwordx2 v[22:23], v[26:27], off glc
	s_waitcnt vmcnt(0)
	v_cmp_eq_u16_sdwa s[38:39], v23, v25 src0_sel:BYTE_0 src1_sel:DWORD
	s_and_saveexec_b64 s[36:37], s[38:39]
	s_cbranch_execz .LBB1231_225
; %bb.222:
	s_mov_b64 s[38:39], 0
	v_mov_b32_e32 v19, 0
.LBB1231_223:                           ; =>This Inner Loop Header: Depth=1
	global_load_dwordx2 v[22:23], v[26:27], off glc
	s_waitcnt vmcnt(0)
	v_cmp_ne_u16_sdwa s[40:41], v23, v19 src0_sel:BYTE_0 src1_sel:DWORD
	s_or_b64 s[38:39], s[40:41], s[38:39]
	s_andn2_b64 exec, exec, s[38:39]
	s_cbranch_execnz .LBB1231_223
; %bb.224:
	s_or_b64 exec, exec, s[38:39]
.LBB1231_225:
	s_or_b64 exec, exec, s[36:37]
	v_and_b32_e32 v36, 63, v31
	v_mov_b32_e32 v19, 2
	v_cmp_ne_u32_e32 vcc, 63, v36
	v_cmp_eq_u16_sdwa s[36:37], v23, v19 src0_sel:BYTE_0 src1_sel:DWORD
	v_lshlrev_b64 v[24:25], v31, -1
	v_addc_co_u32_e32 v27, vcc, 0, v31, vcc
	v_and_b32_e32 v21, s37, v25
	v_lshlrev_b32_e32 v37, 2, v27
	v_or_b32_e32 v21, 0x80000000, v21
	ds_bpermute_b32 v27, v37, v22
	v_and_b32_e32 v26, s36, v24
	v_ffbl_b32_e32 v21, v21
	v_add_u32_e32 v21, 32, v21
	v_ffbl_b32_e32 v26, v26
	v_min_u32_e32 v21, v26, v21
	v_cmp_lt_u32_e32 vcc, v36, v21
	s_waitcnt lgkmcnt(0)
	v_cndmask_b32_e32 v26, 0, v27, vcc
	v_cmp_gt_u32_e32 vcc, 62, v36
	v_add_u32_e32 v22, v26, v22
	v_cndmask_b32_e64 v26, 0, 1, vcc
	v_lshlrev_b32_e32 v26, 1, v26
	v_add_lshl_u32 v38, v26, v31, 2
	ds_bpermute_b32 v26, v38, v22
	v_add_u32_e32 v39, 2, v36
	v_cmp_le_u32_e32 vcc, v39, v21
	v_add_u32_e32 v41, 4, v36
	v_add_u32_e32 v43, 8, v36
	s_waitcnt lgkmcnt(0)
	v_cndmask_b32_e32 v26, 0, v26, vcc
	v_cmp_gt_u32_e32 vcc, 60, v36
	v_add_u32_e32 v22, v22, v26
	v_cndmask_b32_e64 v26, 0, 1, vcc
	v_lshlrev_b32_e32 v26, 2, v26
	v_add_lshl_u32 v40, v26, v31, 2
	ds_bpermute_b32 v26, v40, v22
	v_cmp_le_u32_e32 vcc, v41, v21
	v_add_u32_e32 v46, 16, v36
	v_add_u32_e32 v48, 32, v36
	s_waitcnt lgkmcnt(0)
	v_cndmask_b32_e32 v26, 0, v26, vcc
	v_cmp_gt_u32_e32 vcc, 56, v36
	v_add_u32_e32 v22, v22, v26
	v_cndmask_b32_e64 v26, 0, 1, vcc
	v_lshlrev_b32_e32 v26, 3, v26
	v_add_lshl_u32 v42, v26, v31, 2
	ds_bpermute_b32 v26, v42, v22
	v_cmp_le_u32_e32 vcc, v43, v21
	s_waitcnt lgkmcnt(0)
	v_cndmask_b32_e32 v26, 0, v26, vcc
	v_cmp_gt_u32_e32 vcc, 48, v36
	v_add_u32_e32 v22, v22, v26
	v_cndmask_b32_e64 v26, 0, 1, vcc
	v_lshlrev_b32_e32 v26, 4, v26
	v_add_lshl_u32 v45, v26, v31, 2
	ds_bpermute_b32 v26, v45, v22
	v_cmp_le_u32_e32 vcc, v46, v21
	;; [unrolled: 9-line block ×3, first 2 shown]
	s_waitcnt lgkmcnt(0)
	v_cndmask_b32_e32 v21, 0, v26, vcc
	v_add_u32_e32 v22, v22, v21
	v_mov_b32_e32 v21, 0
	s_branch .LBB1231_227
.LBB1231_226:                           ;   in Loop: Header=BB1231_227 Depth=1
	s_or_b64 exec, exec, s[36:37]
	v_cmp_eq_u16_sdwa s[36:37], v23, v19 src0_sel:BYTE_0 src1_sel:DWORD
	v_and_b32_e32 v26, s37, v25
	v_or_b32_e32 v26, 0x80000000, v26
	ds_bpermute_b32 v49, v37, v22
	v_and_b32_e32 v27, s36, v24
	v_ffbl_b32_e32 v26, v26
	v_add_u32_e32 v26, 32, v26
	v_ffbl_b32_e32 v27, v27
	v_min_u32_e32 v26, v27, v26
	v_cmp_lt_u32_e32 vcc, v36, v26
	s_waitcnt lgkmcnt(0)
	v_cndmask_b32_e32 v27, 0, v49, vcc
	v_add_u32_e32 v22, v27, v22
	ds_bpermute_b32 v27, v38, v22
	v_cmp_le_u32_e32 vcc, v39, v26
	v_subrev_u32_e32 v20, 64, v20
	s_waitcnt lgkmcnt(0)
	v_cndmask_b32_e32 v27, 0, v27, vcc
	v_add_u32_e32 v22, v22, v27
	ds_bpermute_b32 v27, v40, v22
	v_cmp_le_u32_e32 vcc, v41, v26
	s_waitcnt lgkmcnt(0)
	v_cndmask_b32_e32 v27, 0, v27, vcc
	v_add_u32_e32 v22, v22, v27
	ds_bpermute_b32 v27, v42, v22
	v_cmp_le_u32_e32 vcc, v43, v26
	s_waitcnt lgkmcnt(0)
	v_cndmask_b32_e32 v27, 0, v27, vcc
	v_add_u32_e32 v22, v22, v27
	ds_bpermute_b32 v27, v45, v22
	v_cmp_le_u32_e32 vcc, v46, v26
	s_waitcnt lgkmcnt(0)
	v_cndmask_b32_e32 v27, 0, v27, vcc
	v_add_u32_e32 v22, v22, v27
	ds_bpermute_b32 v27, v47, v22
	v_cmp_le_u32_e32 vcc, v48, v26
	s_waitcnt lgkmcnt(0)
	v_cndmask_b32_e32 v26, 0, v27, vcc
	v_add3_u32 v22, v26, v44, v22
.LBB1231_227:                           ; =>This Loop Header: Depth=1
                                        ;     Child Loop BB1231_230 Depth 2
	v_cmp_ne_u16_sdwa s[36:37], v23, v19 src0_sel:BYTE_0 src1_sel:DWORD
	v_cndmask_b32_e64 v23, 0, 1, s[36:37]
	;;#ASMSTART
	;;#ASMEND
	v_cmp_ne_u32_e32 vcc, 0, v23
	s_cmp_lg_u64 vcc, exec
	v_mov_b32_e32 v44, v22
	s_cbranch_scc1 .LBB1231_232
; %bb.228:                              ;   in Loop: Header=BB1231_227 Depth=1
	v_lshlrev_b64 v[22:23], 3, v[20:21]
	v_mov_b32_e32 v27, s19
	v_add_co_u32_e32 v26, vcc, s18, v22
	v_addc_co_u32_e32 v27, vcc, v27, v23, vcc
	global_load_dwordx2 v[22:23], v[26:27], off glc
	s_waitcnt vmcnt(0)
	v_cmp_eq_u16_sdwa s[38:39], v23, v21 src0_sel:BYTE_0 src1_sel:DWORD
	s_and_saveexec_b64 s[36:37], s[38:39]
	s_cbranch_execz .LBB1231_226
; %bb.229:                              ;   in Loop: Header=BB1231_227 Depth=1
	s_mov_b64 s[38:39], 0
.LBB1231_230:                           ;   Parent Loop BB1231_227 Depth=1
                                        ; =>  This Inner Loop Header: Depth=2
	global_load_dwordx2 v[22:23], v[26:27], off glc
	s_waitcnt vmcnt(0)
	v_cmp_ne_u16_sdwa s[40:41], v23, v21 src0_sel:BYTE_0 src1_sel:DWORD
	s_or_b64 s[38:39], s[40:41], s[38:39]
	s_andn2_b64 exec, exec, s[38:39]
	s_cbranch_execnz .LBB1231_230
; %bb.231:                              ;   in Loop: Header=BB1231_227 Depth=1
	s_or_b64 exec, exec, s[38:39]
	s_branch .LBB1231_226
.LBB1231_232:                           ;   in Loop: Header=BB1231_227 Depth=1
                                        ; implicit-def: $vgpr22
                                        ; implicit-def: $vgpr23
	s_cbranch_execz .LBB1231_227
; %bb.233:
	s_and_saveexec_b64 s[36:37], s[16:17]
	s_cbranch_execz .LBB1231_235
; %bb.234:
	s_add_i32 s38, s33, 64
	s_mov_b32 s39, 0
	s_lshl_b64 s[38:39], s[38:39], 3
	s_add_u32 s38, s18, s38
	v_add_u32_e32 v20, v44, v18
	v_mov_b32_e32 v21, 2
	s_addc_u32 s39, s19, s39
	v_mov_b32_e32 v19, 0
	s_movk_i32 s33, 0x1000
	global_store_dwordx2 v19, v[20:21], s[38:39]
	v_add_u32_e64 v19, s33, 0
	ds_write2_b32 v19, v18, v44 offset0:32 offset1:34
.LBB1231_235:
	s_or_b64 exec, exec, s[36:37]
	s_and_b64 exec, exec, s[0:1]
	s_cbranch_execz .LBB1231_237
; %bb.236:
	v_mov_b32_e32 v18, 0
	ds_write_b32 v18, v44 offset:4
.LBB1231_237:
	s_or_b64 exec, exec, s[26:27]
	v_mov_b32_e32 v19, 0
	s_waitcnt lgkmcnt(0)
	s_barrier
	ds_read_b32 v19, v19 offset:4
	v_cndmask_b32_e64 v18, v35, v34, s[16:17]
	s_movk_i32 s16, 0x1000
	v_add_u32_e64 v20, s16, 0
	s_waitcnt lgkmcnt(0)
	s_barrier
	ds_read2_b32 v[26:27], v20 offset0:32 offset1:34
	v_cndmask_b32_e64 v18, v18, 0, s[0:1]
	v_add_u32_e32 v24, v19, v18
	v_add_u32_sdwa v22, v24, v28 dst_sel:DWORD dst_unused:UNUSED_PAD src0_sel:DWORD src1_sel:BYTE_0
	v_add_u32_sdwa v20, v22, v28 dst_sel:DWORD dst_unused:UNUSED_PAD src0_sel:DWORD src1_sel:BYTE_1
	v_add_u32_e32 v18, v20, v30
	s_waitcnt lgkmcnt(0)
	v_readfirstlane_b32 s33, v26
	v_readfirstlane_b32 s16, v27
	s_branch .LBB1231_248
.LBB1231_238:
                                        ; implicit-def: $vgpr18
                                        ; implicit-def: $vgpr20
                                        ; implicit-def: $vgpr22
                                        ; implicit-def: $vgpr24
                                        ; implicit-def: $sgpr16
                                        ; implicit-def: $sgpr33
	s_cbranch_execz .LBB1231_248
; %bb.239:
	s_nop 0
	v_mov_b32_dpp v18, v33 row_shr:1 row_mask:0xf bank_mask:0xf
	v_cndmask_b32_e64 v18, v18, 0, s[14:15]
	v_add_u32_e32 v18, v18, v33
	s_nop 1
	v_mov_b32_dpp v19, v18 row_shr:2 row_mask:0xf bank_mask:0xf
	v_cndmask_b32_e64 v19, 0, v19, s[12:13]
	v_add_u32_e32 v18, v18, v19
	s_nop 1
	v_mov_b32_dpp v19, v18 row_shr:4 row_mask:0xf bank_mask:0xf
	v_cndmask_b32_e64 v19, 0, v19, s[10:11]
	v_add_u32_e32 v18, v18, v19
	s_nop 1
	v_mov_b32_dpp v19, v18 row_shr:8 row_mask:0xf bank_mask:0xf
	v_cndmask_b32_e64 v19, 0, v19, s[8:9]
	v_add_u32_e32 v18, v18, v19
	s_nop 1
	v_mov_b32_dpp v19, v18 row_bcast:15 row_mask:0xf bank_mask:0xf
	v_cndmask_b32_e64 v19, v19, 0, s[6:7]
	v_add_u32_e32 v18, v18, v19
	s_nop 1
	v_mov_b32_dpp v19, v18 row_bcast:31 row_mask:0xf bank_mask:0xf
	v_cndmask_b32_e64 v19, 0, v19, s[2:3]
	v_add_u32_e32 v18, v18, v19
	s_and_saveexec_b64 s[2:3], s[4:5]
	s_cbranch_execz .LBB1231_241
; %bb.240:
	v_lshlrev_b32_e32 v19, 2, v32
	ds_write_b32 v19, v18
.LBB1231_241:
	s_or_b64 exec, exec, s[2:3]
	v_cmp_gt_u32_e32 vcc, 2, v0
	s_waitcnt lgkmcnt(0)
	s_barrier
	s_and_saveexec_b64 s[2:3], vcc
	s_cbranch_execz .LBB1231_243
; %bb.242:
	ds_read_b32 v19, v1
	v_bfe_i32 v20, v31, 0, 1
	s_waitcnt lgkmcnt(0)
	v_mov_b32_dpp v21, v19 row_shr:1 row_mask:0xf bank_mask:0xf
	v_and_b32_e32 v20, v20, v21
	v_add_u32_e32 v19, v20, v19
	ds_write_b32 v1, v19
.LBB1231_243:
	s_or_b64 exec, exec, s[2:3]
	v_cmp_lt_u32_e32 vcc, 63, v0
	v_mov_b32_e32 v19, 0
	v_mov_b32_e32 v1, 0
	s_waitcnt lgkmcnt(0)
	s_barrier
	s_and_saveexec_b64 s[2:3], vcc
	s_cbranch_execz .LBB1231_245
; %bb.244:
	v_lshl_add_u32 v1, v32, 2, -4
	ds_read_b32 v1, v1
.LBB1231_245:
	s_or_b64 exec, exec, s[2:3]
	v_add_u32_e32 v20, -1, v31
	v_and_b32_e32 v21, 64, v31
	v_cmp_lt_i32_e32 vcc, v20, v21
	v_cndmask_b32_e32 v20, v20, v31, vcc
	s_waitcnt lgkmcnt(0)
	v_add_u32_e32 v18, v1, v18
	v_lshlrev_b32_e32 v20, 2, v20
	ds_read_b32 v19, v19 offset:4
	ds_bpermute_b32 v18, v20, v18
	s_waitcnt lgkmcnt(1)
	v_readfirstlane_b32 s33, v19
	s_and_saveexec_b64 s[2:3], s[0:1]
	s_cbranch_execz .LBB1231_247
; %bb.246:
	v_mov_b32_e32 v19, 0
	v_mov_b32_e32 v20, s33
	v_mov_b32_e32 v21, 2
	global_store_dwordx2 v19, v[20:21], s[18:19] offset:512
.LBB1231_247:
	s_or_b64 exec, exec, s[2:3]
	v_cmp_eq_u32_e32 vcc, 0, v31
	s_waitcnt lgkmcnt(0)
	v_cndmask_b32_e32 v1, v18, v1, vcc
	v_cndmask_b32_e64 v24, v1, 0, s[0:1]
	v_add_u32_sdwa v22, v24, v28 dst_sel:DWORD dst_unused:UNUSED_PAD src0_sel:DWORD src1_sel:BYTE_0
	v_add_u32_sdwa v20, v22, v28 dst_sel:DWORD dst_unused:UNUSED_PAD src0_sel:DWORD src1_sel:BYTE_1
	s_mov_b32 s16, 0
	v_add_u32_e32 v18, v20, v30
	s_barrier
.LBB1231_248:
	s_cmpk_lt_u32 s33, 0x81
	s_cselect_b64 s[4:5], -1, 0
	v_lshrrev_b32_e32 v1, 8, v28
	s_mov_b64 s[2:3], -1
	s_and_b64 vcc, exec, s[4:5]
	s_cbranch_vccz .LBB1231_262
; %bb.249:
	s_add_i32 s6, s16, s33
	v_cmp_gt_u32_e32 vcc, s6, v24
	s_or_b64 s[8:9], s[34:35], vcc
	s_and_saveexec_b64 s[2:3], s[8:9]
	s_cbranch_execz .LBB1231_252
; %bb.250:
	v_and_b32_e32 v19, 1, v28
	v_cmp_eq_u32_e32 vcc, 1, v19
	s_and_b64 exec, exec, vcc
	s_cbranch_execz .LBB1231_252
; %bb.251:
	s_lshl_b64 s[8:9], s[22:23], 3
	s_add_u32 s7, s28, s8
	v_mov_b32_e32 v25, 0
	s_addc_u32 s8, s29, s9
	v_lshlrev_b64 v[26:27], 3, v[24:25]
	v_mov_b32_e32 v19, s8
	v_add_co_u32_e32 v26, vcc, s7, v26
	v_addc_co_u32_e32 v27, vcc, v19, v27, vcc
	global_store_dwordx2 v[26:27], v[14:15], off
.LBB1231_252:
	s_or_b64 exec, exec, s[2:3]
	v_cmp_gt_u32_e32 vcc, s6, v22
	s_or_b64 s[8:9], s[34:35], vcc
	s_and_saveexec_b64 s[2:3], s[8:9]
	s_cbranch_execz .LBB1231_255
; %bb.253:
	v_and_b32_e32 v19, 1, v1
	v_cmp_eq_u32_e32 vcc, 1, v19
	s_and_b64 exec, exec, vcc
	s_cbranch_execz .LBB1231_255
; %bb.254:
	s_lshl_b64 s[8:9], s[22:23], 3
	s_add_u32 s7, s28, s8
	v_mov_b32_e32 v23, 0
	s_addc_u32 s8, s29, s9
	v_lshlrev_b64 v[26:27], 3, v[22:23]
	v_mov_b32_e32 v19, s8
	v_add_co_u32_e32 v26, vcc, s7, v26
	v_addc_co_u32_e32 v27, vcc, v19, v27, vcc
	global_store_dwordx2 v[26:27], v[16:17], off
.LBB1231_255:
	s_or_b64 exec, exec, s[2:3]
	v_cmp_gt_u32_e32 vcc, s6, v20
	s_or_b64 s[8:9], s[34:35], vcc
	s_and_saveexec_b64 s[2:3], s[8:9]
	s_cbranch_execz .LBB1231_258
; %bb.256:
	v_mov_b32_e32 v19, 1
	v_and_b32_sdwa v19, v19, v28 dst_sel:DWORD dst_unused:UNUSED_PAD src0_sel:DWORD src1_sel:WORD_1
	v_cmp_eq_u32_e32 vcc, 1, v19
	s_and_b64 exec, exec, vcc
	s_cbranch_execz .LBB1231_258
; %bb.257:
	s_lshl_b64 s[8:9], s[22:23], 3
	s_add_u32 s7, s28, s8
	v_mov_b32_e32 v21, 0
	s_addc_u32 s8, s29, s9
	v_lshlrev_b64 v[26:27], 3, v[20:21]
	v_mov_b32_e32 v19, s8
	v_add_co_u32_e32 v26, vcc, s7, v26
	v_addc_co_u32_e32 v27, vcc, v19, v27, vcc
	global_store_dwordx2 v[26:27], v[10:11], off
.LBB1231_258:
	s_or_b64 exec, exec, s[2:3]
	v_cmp_gt_u32_e32 vcc, s6, v18
	s_or_b64 s[6:7], s[34:35], vcc
	s_and_saveexec_b64 s[2:3], s[6:7]
	s_cbranch_execz .LBB1231_261
; %bb.259:
	v_and_b32_e32 v19, 1, v29
	v_cmp_eq_u32_e32 vcc, 1, v19
	s_and_b64 exec, exec, vcc
	s_cbranch_execz .LBB1231_261
; %bb.260:
	s_lshl_b64 s[6:7], s[22:23], 3
	s_add_u32 s6, s28, s6
	v_mov_b32_e32 v19, 0
	s_addc_u32 s7, s29, s7
	v_lshlrev_b64 v[26:27], 3, v[18:19]
	v_mov_b32_e32 v19, s7
	v_add_co_u32_e32 v26, vcc, s6, v26
	v_addc_co_u32_e32 v27, vcc, v19, v27, vcc
	global_store_dwordx2 v[26:27], v[12:13], off
.LBB1231_261:
	s_or_b64 exec, exec, s[2:3]
	s_mov_b64 s[2:3], 0
.LBB1231_262:
	v_and_b32_e32 v26, 1, v28
	s_and_b64 vcc, exec, s[2:3]
	v_cmp_eq_u32_e64 s[2:3], 1, v26
	s_cbranch_vccz .LBB1231_275
; %bb.263:
	s_and_saveexec_b64 s[6:7], s[2:3]
	s_cbranch_execz .LBB1231_265
; %bb.264:
	v_subrev_u32_e32 v19, s16, v24
	v_lshlrev_b32_e32 v19, 3, v19
	ds_write_b64 v19, v[14:15]
.LBB1231_265:
	s_or_b64 exec, exec, s[6:7]
	v_and_b32_e32 v14, 1, v1
	v_cmp_eq_u32_e32 vcc, 1, v14
	s_and_saveexec_b64 s[2:3], vcc
	s_cbranch_execz .LBB1231_267
; %bb.266:
	v_subrev_u32_e32 v14, s16, v22
	v_lshlrev_b32_e32 v14, 3, v14
	ds_write_b64 v14, v[16:17]
.LBB1231_267:
	s_or_b64 exec, exec, s[2:3]
	v_mov_b32_e32 v14, 1
	v_and_b32_sdwa v14, v14, v28 dst_sel:DWORD dst_unused:UNUSED_PAD src0_sel:DWORD src1_sel:WORD_1
	v_cmp_eq_u32_e32 vcc, 1, v14
	s_and_saveexec_b64 s[2:3], vcc
	s_cbranch_execz .LBB1231_269
; %bb.268:
	v_subrev_u32_e32 v14, s16, v20
	v_lshlrev_b32_e32 v14, 3, v14
	ds_write_b64 v14, v[10:11]
.LBB1231_269:
	s_or_b64 exec, exec, s[2:3]
	v_and_b32_e32 v10, 1, v29
	v_cmp_eq_u32_e32 vcc, 1, v10
	s_and_saveexec_b64 s[2:3], vcc
	s_cbranch_execz .LBB1231_271
; %bb.270:
	v_subrev_u32_e32 v10, s16, v18
	v_lshlrev_b32_e32 v10, 3, v10
	ds_write_b64 v10, v[12:13]
.LBB1231_271:
	s_or_b64 exec, exec, s[2:3]
	v_cmp_gt_u32_e32 vcc, s33, v0
	s_waitcnt lgkmcnt(0)
	s_barrier
	s_and_saveexec_b64 s[2:3], vcc
	s_cbranch_execz .LBB1231_274
; %bb.272:
	s_mov_b32 s17, 0
	s_lshl_b64 s[6:7], s[16:17], 3
	s_add_u32 s8, s28, s6
	s_addc_u32 s9, s29, s7
	s_lshl_b64 s[6:7], s[22:23], 3
	s_add_u32 s8, s8, s6
	s_addc_u32 s9, s9, s7
	v_lshlrev_b32_e32 v12, 3, v0
	s_mov_b64 s[6:7], 0
	v_mov_b32_e32 v11, 0
	v_mov_b32_e32 v13, s9
	;; [unrolled: 1-line block ×3, first 2 shown]
.LBB1231_273:                           ; =>This Inner Loop Header: Depth=1
	ds_read_b64 v[14:15], v12
	v_lshlrev_b64 v[16:17], 3, v[10:11]
	v_add_co_u32_e32 v16, vcc, s8, v16
	v_add_u32_e32 v10, 0x80, v10
	v_addc_co_u32_e32 v17, vcc, v13, v17, vcc
	v_cmp_le_u32_e32 vcc, s33, v10
	v_add_u32_e32 v12, 0x400, v12
	s_or_b64 s[6:7], vcc, s[6:7]
	s_waitcnt lgkmcnt(0)
	global_store_dwordx2 v[16:17], v[14:15], off
	s_andn2_b64 exec, exec, s[6:7]
	s_cbranch_execnz .LBB1231_273
.LBB1231_274:
	s_or_b64 exec, exec, s[2:3]
.LBB1231_275:
	s_mov_b64 s[2:3], -1
	s_and_b64 vcc, exec, s[4:5]
	s_barrier
	s_cbranch_vccnz .LBB1231_279
; %bb.276:
	s_and_b64 vcc, exec, s[2:3]
	s_cbranch_vccnz .LBB1231_292
.LBB1231_277:
	s_and_b64 s[0:1], s[0:1], s[24:25]
	s_and_saveexec_b64 s[2:3], s[0:1]
	s_cbranch_execnz .LBB1231_304
.LBB1231_278:
	s_endpgm
.LBB1231_279:
	s_add_i32 s4, s16, s33
	v_cmp_gt_u32_e32 vcc, s4, v24
	s_or_b64 s[6:7], s[34:35], vcc
	s_and_saveexec_b64 s[2:3], s[6:7]
	s_cbranch_execz .LBB1231_282
; %bb.280:
	v_cmp_eq_u32_e32 vcc, 1, v26
	s_and_b64 exec, exec, vcc
	s_cbranch_execz .LBB1231_282
; %bb.281:
	s_lshl_b64 s[6:7], s[22:23], 3
	s_add_u32 s5, s30, s6
	v_mov_b32_e32 v25, 0
	s_addc_u32 s6, s31, s7
	v_lshlrev_b64 v[10:11], 3, v[24:25]
	v_mov_b32_e32 v12, s6
	v_add_co_u32_e32 v10, vcc, s5, v10
	v_addc_co_u32_e32 v11, vcc, v12, v11, vcc
	global_store_dwordx2 v[10:11], v[6:7], off
.LBB1231_282:
	s_or_b64 exec, exec, s[2:3]
	v_cmp_gt_u32_e32 vcc, s4, v22
	s_or_b64 s[6:7], s[34:35], vcc
	s_and_saveexec_b64 s[2:3], s[6:7]
	s_cbranch_execz .LBB1231_285
; %bb.283:
	v_and_b32_e32 v10, 1, v1
	v_cmp_eq_u32_e32 vcc, 1, v10
	s_and_b64 exec, exec, vcc
	s_cbranch_execz .LBB1231_285
; %bb.284:
	s_lshl_b64 s[6:7], s[22:23], 3
	s_add_u32 s5, s30, s6
	v_mov_b32_e32 v23, 0
	s_addc_u32 s6, s31, s7
	v_lshlrev_b64 v[10:11], 3, v[22:23]
	v_mov_b32_e32 v12, s6
	v_add_co_u32_e32 v10, vcc, s5, v10
	v_addc_co_u32_e32 v11, vcc, v12, v11, vcc
	global_store_dwordx2 v[10:11], v[8:9], off
.LBB1231_285:
	s_or_b64 exec, exec, s[2:3]
	v_cmp_gt_u32_e32 vcc, s4, v20
	s_or_b64 s[6:7], s[34:35], vcc
	s_and_saveexec_b64 s[2:3], s[6:7]
	s_cbranch_execz .LBB1231_288
; %bb.286:
	v_mov_b32_e32 v10, 1
	v_and_b32_sdwa v10, v10, v28 dst_sel:DWORD dst_unused:UNUSED_PAD src0_sel:DWORD src1_sel:WORD_1
	v_cmp_eq_u32_e32 vcc, 1, v10
	s_and_b64 exec, exec, vcc
	s_cbranch_execz .LBB1231_288
; %bb.287:
	s_lshl_b64 s[6:7], s[22:23], 3
	s_add_u32 s5, s30, s6
	v_mov_b32_e32 v21, 0
	s_addc_u32 s6, s31, s7
	v_lshlrev_b64 v[10:11], 3, v[20:21]
	v_mov_b32_e32 v12, s6
	v_add_co_u32_e32 v10, vcc, s5, v10
	v_addc_co_u32_e32 v11, vcc, v12, v11, vcc
	global_store_dwordx2 v[10:11], v[2:3], off
.LBB1231_288:
	s_or_b64 exec, exec, s[2:3]
	v_cmp_gt_u32_e32 vcc, s4, v18
	s_or_b64 s[4:5], s[34:35], vcc
	s_and_saveexec_b64 s[2:3], s[4:5]
	s_cbranch_execz .LBB1231_291
; %bb.289:
	v_and_b32_e32 v10, 1, v29
	v_cmp_eq_u32_e32 vcc, 1, v10
	s_and_b64 exec, exec, vcc
	s_cbranch_execz .LBB1231_291
; %bb.290:
	s_lshl_b64 s[4:5], s[22:23], 3
	s_add_u32 s4, s30, s4
	v_mov_b32_e32 v19, 0
	s_addc_u32 s5, s31, s5
	v_lshlrev_b64 v[10:11], 3, v[18:19]
	v_mov_b32_e32 v12, s5
	v_add_co_u32_e32 v10, vcc, s4, v10
	v_addc_co_u32_e32 v11, vcc, v12, v11, vcc
	global_store_dwordx2 v[10:11], v[4:5], off
.LBB1231_291:
	s_or_b64 exec, exec, s[2:3]
	s_branch .LBB1231_277
.LBB1231_292:
	v_cmp_eq_u32_e32 vcc, 1, v26
	s_and_saveexec_b64 s[2:3], vcc
	s_cbranch_execz .LBB1231_294
; %bb.293:
	v_subrev_u32_e32 v10, s16, v24
	v_lshlrev_b32_e32 v10, 3, v10
	ds_write_b64 v10, v[6:7]
.LBB1231_294:
	s_or_b64 exec, exec, s[2:3]
	v_and_b32_e32 v1, 1, v1
	v_cmp_eq_u32_e32 vcc, 1, v1
	s_and_saveexec_b64 s[2:3], vcc
	s_cbranch_execz .LBB1231_296
; %bb.295:
	v_subrev_u32_e32 v1, s16, v22
	v_lshlrev_b32_e32 v1, 3, v1
	ds_write_b64 v1, v[8:9]
.LBB1231_296:
	s_or_b64 exec, exec, s[2:3]
	v_mov_b32_e32 v1, 1
	v_and_b32_sdwa v1, v1, v28 dst_sel:DWORD dst_unused:UNUSED_PAD src0_sel:DWORD src1_sel:WORD_1
	v_cmp_eq_u32_e32 vcc, 1, v1
	s_and_saveexec_b64 s[2:3], vcc
	s_cbranch_execz .LBB1231_298
; %bb.297:
	v_subrev_u32_e32 v1, s16, v20
	v_lshlrev_b32_e32 v1, 3, v1
	ds_write_b64 v1, v[2:3]
.LBB1231_298:
	s_or_b64 exec, exec, s[2:3]
	v_and_b32_e32 v1, 1, v29
	v_cmp_eq_u32_e32 vcc, 1, v1
	s_and_saveexec_b64 s[2:3], vcc
	s_cbranch_execz .LBB1231_300
; %bb.299:
	v_subrev_u32_e32 v1, s16, v18
	v_lshlrev_b32_e32 v1, 3, v1
	ds_write_b64 v1, v[4:5]
.LBB1231_300:
	s_or_b64 exec, exec, s[2:3]
	v_cmp_gt_u32_e32 vcc, s33, v0
	s_waitcnt lgkmcnt(0)
	s_barrier
	s_and_saveexec_b64 s[2:3], vcc
	s_cbranch_execz .LBB1231_303
; %bb.301:
	s_mov_b32 s17, 0
	s_lshl_b64 s[4:5], s[16:17], 3
	s_add_u32 s6, s30, s4
	s_addc_u32 s7, s31, s5
	s_lshl_b64 s[4:5], s[22:23], 3
	s_add_u32 s6, s6, s4
	s_addc_u32 s7, s7, s5
	v_lshlrev_b32_e32 v2, 3, v0
	s_mov_b64 s[4:5], 0
	v_mov_b32_e32 v1, 0
	v_mov_b32_e32 v3, s7
.LBB1231_302:                           ; =>This Inner Loop Header: Depth=1
	ds_read_b64 v[4:5], v2
	v_lshlrev_b64 v[6:7], 3, v[0:1]
	v_add_co_u32_e32 v6, vcc, s6, v6
	v_add_u32_e32 v0, 0x80, v0
	v_addc_co_u32_e32 v7, vcc, v3, v7, vcc
	v_cmp_le_u32_e32 vcc, s33, v0
	v_add_u32_e32 v2, 0x400, v2
	s_or_b64 s[4:5], vcc, s[4:5]
	s_waitcnt lgkmcnt(0)
	global_store_dwordx2 v[6:7], v[4:5], off
	s_andn2_b64 exec, exec, s[4:5]
	s_cbranch_execnz .LBB1231_302
.LBB1231_303:
	s_or_b64 exec, exec, s[2:3]
	s_and_b64 s[0:1], s[0:1], s[24:25]
	s_and_saveexec_b64 s[2:3], s[0:1]
	s_cbranch_execz .LBB1231_278
.LBB1231_304:
	s_add_u32 s0, s22, s33
	s_addc_u32 s1, s23, 0
	s_add_u32 s0, s0, s16
	s_addc_u32 s1, s1, 0
	v_mov_b32_e32 v2, 0
	v_pk_mov_b32 v[0:1], s[0:1], s[0:1] op_sel:[0,1]
	global_store_dwordx2 v2, v[0:1], s[20:21]
	s_endpgm
	.section	.rodata,"a",@progbits
	.p2align	6, 0x0
	.amdhsa_kernel _ZN7rocprim17ROCPRIM_400000_NS6detail17trampoline_kernelINS0_14default_configENS1_25partition_config_selectorILNS1_17partition_subalgoE9EllbEEZZNS1_14partition_implILS5_9ELb0ES3_jPlS8_PNS0_10empty_typeENS0_5tupleIJS8_S9_EEENSB_IJS8_SA_EEENS0_18inequality_wrapperIZN2at6native12_GLOBAL__N_124unique_dim_cuda_templateIN3c108BFloat16EEESt5tupleIJNSF_6TensorESM_SM_EERKSM_lbbbEUlllE0_EEPmJS9_EEE10hipError_tPvRmT3_T4_T5_T6_T7_T9_mT8_P12ihipStream_tbDpT10_ENKUlT_T0_E_clISt17integral_constantIbLb0EES1B_IbLb1EEEEDaS17_S18_EUlS17_E_NS1_11comp_targetILNS1_3genE4ELNS1_11target_archE910ELNS1_3gpuE8ELNS1_3repE0EEENS1_30default_config_static_selectorELNS0_4arch9wavefront6targetE1EEEvT1_
		.amdhsa_group_segment_fixed_size 4236
		.amdhsa_private_segment_fixed_size 0
		.amdhsa_kernarg_size 136
		.amdhsa_user_sgpr_count 6
		.amdhsa_user_sgpr_private_segment_buffer 1
		.amdhsa_user_sgpr_dispatch_ptr 0
		.amdhsa_user_sgpr_queue_ptr 0
		.amdhsa_user_sgpr_kernarg_segment_ptr 1
		.amdhsa_user_sgpr_dispatch_id 0
		.amdhsa_user_sgpr_flat_scratch_init 0
		.amdhsa_user_sgpr_kernarg_preload_length 0
		.amdhsa_user_sgpr_kernarg_preload_offset 0
		.amdhsa_user_sgpr_private_segment_size 0
		.amdhsa_uses_dynamic_stack 0
		.amdhsa_system_sgpr_private_segment_wavefront_offset 0
		.amdhsa_system_sgpr_workgroup_id_x 1
		.amdhsa_system_sgpr_workgroup_id_y 0
		.amdhsa_system_sgpr_workgroup_id_z 0
		.amdhsa_system_sgpr_workgroup_info 0
		.amdhsa_system_vgpr_workitem_id 0
		.amdhsa_next_free_vgpr 50
		.amdhsa_next_free_sgpr 52
		.amdhsa_accum_offset 52
		.amdhsa_reserve_vcc 1
		.amdhsa_reserve_flat_scratch 0
		.amdhsa_float_round_mode_32 0
		.amdhsa_float_round_mode_16_64 0
		.amdhsa_float_denorm_mode_32 3
		.amdhsa_float_denorm_mode_16_64 3
		.amdhsa_dx10_clamp 1
		.amdhsa_ieee_mode 1
		.amdhsa_fp16_overflow 0
		.amdhsa_tg_split 0
		.amdhsa_exception_fp_ieee_invalid_op 0
		.amdhsa_exception_fp_denorm_src 0
		.amdhsa_exception_fp_ieee_div_zero 0
		.amdhsa_exception_fp_ieee_overflow 0
		.amdhsa_exception_fp_ieee_underflow 0
		.amdhsa_exception_fp_ieee_inexact 0
		.amdhsa_exception_int_div_zero 0
	.end_amdhsa_kernel
	.section	.text._ZN7rocprim17ROCPRIM_400000_NS6detail17trampoline_kernelINS0_14default_configENS1_25partition_config_selectorILNS1_17partition_subalgoE9EllbEEZZNS1_14partition_implILS5_9ELb0ES3_jPlS8_PNS0_10empty_typeENS0_5tupleIJS8_S9_EEENSB_IJS8_SA_EEENS0_18inequality_wrapperIZN2at6native12_GLOBAL__N_124unique_dim_cuda_templateIN3c108BFloat16EEESt5tupleIJNSF_6TensorESM_SM_EERKSM_lbbbEUlllE0_EEPmJS9_EEE10hipError_tPvRmT3_T4_T5_T6_T7_T9_mT8_P12ihipStream_tbDpT10_ENKUlT_T0_E_clISt17integral_constantIbLb0EES1B_IbLb1EEEEDaS17_S18_EUlS17_E_NS1_11comp_targetILNS1_3genE4ELNS1_11target_archE910ELNS1_3gpuE8ELNS1_3repE0EEENS1_30default_config_static_selectorELNS0_4arch9wavefront6targetE1EEEvT1_,"axG",@progbits,_ZN7rocprim17ROCPRIM_400000_NS6detail17trampoline_kernelINS0_14default_configENS1_25partition_config_selectorILNS1_17partition_subalgoE9EllbEEZZNS1_14partition_implILS5_9ELb0ES3_jPlS8_PNS0_10empty_typeENS0_5tupleIJS8_S9_EEENSB_IJS8_SA_EEENS0_18inequality_wrapperIZN2at6native12_GLOBAL__N_124unique_dim_cuda_templateIN3c108BFloat16EEESt5tupleIJNSF_6TensorESM_SM_EERKSM_lbbbEUlllE0_EEPmJS9_EEE10hipError_tPvRmT3_T4_T5_T6_T7_T9_mT8_P12ihipStream_tbDpT10_ENKUlT_T0_E_clISt17integral_constantIbLb0EES1B_IbLb1EEEEDaS17_S18_EUlS17_E_NS1_11comp_targetILNS1_3genE4ELNS1_11target_archE910ELNS1_3gpuE8ELNS1_3repE0EEENS1_30default_config_static_selectorELNS0_4arch9wavefront6targetE1EEEvT1_,comdat
.Lfunc_end1231:
	.size	_ZN7rocprim17ROCPRIM_400000_NS6detail17trampoline_kernelINS0_14default_configENS1_25partition_config_selectorILNS1_17partition_subalgoE9EllbEEZZNS1_14partition_implILS5_9ELb0ES3_jPlS8_PNS0_10empty_typeENS0_5tupleIJS8_S9_EEENSB_IJS8_SA_EEENS0_18inequality_wrapperIZN2at6native12_GLOBAL__N_124unique_dim_cuda_templateIN3c108BFloat16EEESt5tupleIJNSF_6TensorESM_SM_EERKSM_lbbbEUlllE0_EEPmJS9_EEE10hipError_tPvRmT3_T4_T5_T6_T7_T9_mT8_P12ihipStream_tbDpT10_ENKUlT_T0_E_clISt17integral_constantIbLb0EES1B_IbLb1EEEEDaS17_S18_EUlS17_E_NS1_11comp_targetILNS1_3genE4ELNS1_11target_archE910ELNS1_3gpuE8ELNS1_3repE0EEENS1_30default_config_static_selectorELNS0_4arch9wavefront6targetE1EEEvT1_, .Lfunc_end1231-_ZN7rocprim17ROCPRIM_400000_NS6detail17trampoline_kernelINS0_14default_configENS1_25partition_config_selectorILNS1_17partition_subalgoE9EllbEEZZNS1_14partition_implILS5_9ELb0ES3_jPlS8_PNS0_10empty_typeENS0_5tupleIJS8_S9_EEENSB_IJS8_SA_EEENS0_18inequality_wrapperIZN2at6native12_GLOBAL__N_124unique_dim_cuda_templateIN3c108BFloat16EEESt5tupleIJNSF_6TensorESM_SM_EERKSM_lbbbEUlllE0_EEPmJS9_EEE10hipError_tPvRmT3_T4_T5_T6_T7_T9_mT8_P12ihipStream_tbDpT10_ENKUlT_T0_E_clISt17integral_constantIbLb0EES1B_IbLb1EEEEDaS17_S18_EUlS17_E_NS1_11comp_targetILNS1_3genE4ELNS1_11target_archE910ELNS1_3gpuE8ELNS1_3repE0EEENS1_30default_config_static_selectorELNS0_4arch9wavefront6targetE1EEEvT1_
                                        ; -- End function
	.section	.AMDGPU.csdata,"",@progbits
; Kernel info:
; codeLenInByte = 11284
; NumSgprs: 56
; NumVgprs: 50
; NumAgprs: 0
; TotalNumVgprs: 50
; ScratchSize: 0
; MemoryBound: 0
; FloatMode: 240
; IeeeMode: 1
; LDSByteSize: 4236 bytes/workgroup (compile time only)
; SGPRBlocks: 6
; VGPRBlocks: 6
; NumSGPRsForWavesPerEU: 56
; NumVGPRsForWavesPerEU: 50
; AccumOffset: 52
; Occupancy: 8
; WaveLimiterHint : 1
; COMPUTE_PGM_RSRC2:SCRATCH_EN: 0
; COMPUTE_PGM_RSRC2:USER_SGPR: 6
; COMPUTE_PGM_RSRC2:TRAP_HANDLER: 0
; COMPUTE_PGM_RSRC2:TGID_X_EN: 1
; COMPUTE_PGM_RSRC2:TGID_Y_EN: 0
; COMPUTE_PGM_RSRC2:TGID_Z_EN: 0
; COMPUTE_PGM_RSRC2:TIDIG_COMP_CNT: 0
; COMPUTE_PGM_RSRC3_GFX90A:ACCUM_OFFSET: 12
; COMPUTE_PGM_RSRC3_GFX90A:TG_SPLIT: 0
	.section	.text._ZN7rocprim17ROCPRIM_400000_NS6detail17trampoline_kernelINS0_14default_configENS1_25partition_config_selectorILNS1_17partition_subalgoE9EllbEEZZNS1_14partition_implILS5_9ELb0ES3_jPlS8_PNS0_10empty_typeENS0_5tupleIJS8_S9_EEENSB_IJS8_SA_EEENS0_18inequality_wrapperIZN2at6native12_GLOBAL__N_124unique_dim_cuda_templateIN3c108BFloat16EEESt5tupleIJNSF_6TensorESM_SM_EERKSM_lbbbEUlllE0_EEPmJS9_EEE10hipError_tPvRmT3_T4_T5_T6_T7_T9_mT8_P12ihipStream_tbDpT10_ENKUlT_T0_E_clISt17integral_constantIbLb0EES1B_IbLb1EEEEDaS17_S18_EUlS17_E_NS1_11comp_targetILNS1_3genE3ELNS1_11target_archE908ELNS1_3gpuE7ELNS1_3repE0EEENS1_30default_config_static_selectorELNS0_4arch9wavefront6targetE1EEEvT1_,"axG",@progbits,_ZN7rocprim17ROCPRIM_400000_NS6detail17trampoline_kernelINS0_14default_configENS1_25partition_config_selectorILNS1_17partition_subalgoE9EllbEEZZNS1_14partition_implILS5_9ELb0ES3_jPlS8_PNS0_10empty_typeENS0_5tupleIJS8_S9_EEENSB_IJS8_SA_EEENS0_18inequality_wrapperIZN2at6native12_GLOBAL__N_124unique_dim_cuda_templateIN3c108BFloat16EEESt5tupleIJNSF_6TensorESM_SM_EERKSM_lbbbEUlllE0_EEPmJS9_EEE10hipError_tPvRmT3_T4_T5_T6_T7_T9_mT8_P12ihipStream_tbDpT10_ENKUlT_T0_E_clISt17integral_constantIbLb0EES1B_IbLb1EEEEDaS17_S18_EUlS17_E_NS1_11comp_targetILNS1_3genE3ELNS1_11target_archE908ELNS1_3gpuE7ELNS1_3repE0EEENS1_30default_config_static_selectorELNS0_4arch9wavefront6targetE1EEEvT1_,comdat
	.globl	_ZN7rocprim17ROCPRIM_400000_NS6detail17trampoline_kernelINS0_14default_configENS1_25partition_config_selectorILNS1_17partition_subalgoE9EllbEEZZNS1_14partition_implILS5_9ELb0ES3_jPlS8_PNS0_10empty_typeENS0_5tupleIJS8_S9_EEENSB_IJS8_SA_EEENS0_18inequality_wrapperIZN2at6native12_GLOBAL__N_124unique_dim_cuda_templateIN3c108BFloat16EEESt5tupleIJNSF_6TensorESM_SM_EERKSM_lbbbEUlllE0_EEPmJS9_EEE10hipError_tPvRmT3_T4_T5_T6_T7_T9_mT8_P12ihipStream_tbDpT10_ENKUlT_T0_E_clISt17integral_constantIbLb0EES1B_IbLb1EEEEDaS17_S18_EUlS17_E_NS1_11comp_targetILNS1_3genE3ELNS1_11target_archE908ELNS1_3gpuE7ELNS1_3repE0EEENS1_30default_config_static_selectorELNS0_4arch9wavefront6targetE1EEEvT1_ ; -- Begin function _ZN7rocprim17ROCPRIM_400000_NS6detail17trampoline_kernelINS0_14default_configENS1_25partition_config_selectorILNS1_17partition_subalgoE9EllbEEZZNS1_14partition_implILS5_9ELb0ES3_jPlS8_PNS0_10empty_typeENS0_5tupleIJS8_S9_EEENSB_IJS8_SA_EEENS0_18inequality_wrapperIZN2at6native12_GLOBAL__N_124unique_dim_cuda_templateIN3c108BFloat16EEESt5tupleIJNSF_6TensorESM_SM_EERKSM_lbbbEUlllE0_EEPmJS9_EEE10hipError_tPvRmT3_T4_T5_T6_T7_T9_mT8_P12ihipStream_tbDpT10_ENKUlT_T0_E_clISt17integral_constantIbLb0EES1B_IbLb1EEEEDaS17_S18_EUlS17_E_NS1_11comp_targetILNS1_3genE3ELNS1_11target_archE908ELNS1_3gpuE7ELNS1_3repE0EEENS1_30default_config_static_selectorELNS0_4arch9wavefront6targetE1EEEvT1_
	.p2align	8
	.type	_ZN7rocprim17ROCPRIM_400000_NS6detail17trampoline_kernelINS0_14default_configENS1_25partition_config_selectorILNS1_17partition_subalgoE9EllbEEZZNS1_14partition_implILS5_9ELb0ES3_jPlS8_PNS0_10empty_typeENS0_5tupleIJS8_S9_EEENSB_IJS8_SA_EEENS0_18inequality_wrapperIZN2at6native12_GLOBAL__N_124unique_dim_cuda_templateIN3c108BFloat16EEESt5tupleIJNSF_6TensorESM_SM_EERKSM_lbbbEUlllE0_EEPmJS9_EEE10hipError_tPvRmT3_T4_T5_T6_T7_T9_mT8_P12ihipStream_tbDpT10_ENKUlT_T0_E_clISt17integral_constantIbLb0EES1B_IbLb1EEEEDaS17_S18_EUlS17_E_NS1_11comp_targetILNS1_3genE3ELNS1_11target_archE908ELNS1_3gpuE7ELNS1_3repE0EEENS1_30default_config_static_selectorELNS0_4arch9wavefront6targetE1EEEvT1_,@function
_ZN7rocprim17ROCPRIM_400000_NS6detail17trampoline_kernelINS0_14default_configENS1_25partition_config_selectorILNS1_17partition_subalgoE9EllbEEZZNS1_14partition_implILS5_9ELb0ES3_jPlS8_PNS0_10empty_typeENS0_5tupleIJS8_S9_EEENSB_IJS8_SA_EEENS0_18inequality_wrapperIZN2at6native12_GLOBAL__N_124unique_dim_cuda_templateIN3c108BFloat16EEESt5tupleIJNSF_6TensorESM_SM_EERKSM_lbbbEUlllE0_EEPmJS9_EEE10hipError_tPvRmT3_T4_T5_T6_T7_T9_mT8_P12ihipStream_tbDpT10_ENKUlT_T0_E_clISt17integral_constantIbLb0EES1B_IbLb1EEEEDaS17_S18_EUlS17_E_NS1_11comp_targetILNS1_3genE3ELNS1_11target_archE908ELNS1_3gpuE7ELNS1_3repE0EEENS1_30default_config_static_selectorELNS0_4arch9wavefront6targetE1EEEvT1_: ; @_ZN7rocprim17ROCPRIM_400000_NS6detail17trampoline_kernelINS0_14default_configENS1_25partition_config_selectorILNS1_17partition_subalgoE9EllbEEZZNS1_14partition_implILS5_9ELb0ES3_jPlS8_PNS0_10empty_typeENS0_5tupleIJS8_S9_EEENSB_IJS8_SA_EEENS0_18inequality_wrapperIZN2at6native12_GLOBAL__N_124unique_dim_cuda_templateIN3c108BFloat16EEESt5tupleIJNSF_6TensorESM_SM_EERKSM_lbbbEUlllE0_EEPmJS9_EEE10hipError_tPvRmT3_T4_T5_T6_T7_T9_mT8_P12ihipStream_tbDpT10_ENKUlT_T0_E_clISt17integral_constantIbLb0EES1B_IbLb1EEEEDaS17_S18_EUlS17_E_NS1_11comp_targetILNS1_3genE3ELNS1_11target_archE908ELNS1_3gpuE7ELNS1_3repE0EEENS1_30default_config_static_selectorELNS0_4arch9wavefront6targetE1EEEvT1_
; %bb.0:
	.section	.rodata,"a",@progbits
	.p2align	6, 0x0
	.amdhsa_kernel _ZN7rocprim17ROCPRIM_400000_NS6detail17trampoline_kernelINS0_14default_configENS1_25partition_config_selectorILNS1_17partition_subalgoE9EllbEEZZNS1_14partition_implILS5_9ELb0ES3_jPlS8_PNS0_10empty_typeENS0_5tupleIJS8_S9_EEENSB_IJS8_SA_EEENS0_18inequality_wrapperIZN2at6native12_GLOBAL__N_124unique_dim_cuda_templateIN3c108BFloat16EEESt5tupleIJNSF_6TensorESM_SM_EERKSM_lbbbEUlllE0_EEPmJS9_EEE10hipError_tPvRmT3_T4_T5_T6_T7_T9_mT8_P12ihipStream_tbDpT10_ENKUlT_T0_E_clISt17integral_constantIbLb0EES1B_IbLb1EEEEDaS17_S18_EUlS17_E_NS1_11comp_targetILNS1_3genE3ELNS1_11target_archE908ELNS1_3gpuE7ELNS1_3repE0EEENS1_30default_config_static_selectorELNS0_4arch9wavefront6targetE1EEEvT1_
		.amdhsa_group_segment_fixed_size 0
		.amdhsa_private_segment_fixed_size 0
		.amdhsa_kernarg_size 136
		.amdhsa_user_sgpr_count 6
		.amdhsa_user_sgpr_private_segment_buffer 1
		.amdhsa_user_sgpr_dispatch_ptr 0
		.amdhsa_user_sgpr_queue_ptr 0
		.amdhsa_user_sgpr_kernarg_segment_ptr 1
		.amdhsa_user_sgpr_dispatch_id 0
		.amdhsa_user_sgpr_flat_scratch_init 0
		.amdhsa_user_sgpr_kernarg_preload_length 0
		.amdhsa_user_sgpr_kernarg_preload_offset 0
		.amdhsa_user_sgpr_private_segment_size 0
		.amdhsa_uses_dynamic_stack 0
		.amdhsa_system_sgpr_private_segment_wavefront_offset 0
		.amdhsa_system_sgpr_workgroup_id_x 1
		.amdhsa_system_sgpr_workgroup_id_y 0
		.amdhsa_system_sgpr_workgroup_id_z 0
		.amdhsa_system_sgpr_workgroup_info 0
		.amdhsa_system_vgpr_workitem_id 0
		.amdhsa_next_free_vgpr 1
		.amdhsa_next_free_sgpr 0
		.amdhsa_accum_offset 4
		.amdhsa_reserve_vcc 0
		.amdhsa_reserve_flat_scratch 0
		.amdhsa_float_round_mode_32 0
		.amdhsa_float_round_mode_16_64 0
		.amdhsa_float_denorm_mode_32 3
		.amdhsa_float_denorm_mode_16_64 3
		.amdhsa_dx10_clamp 1
		.amdhsa_ieee_mode 1
		.amdhsa_fp16_overflow 0
		.amdhsa_tg_split 0
		.amdhsa_exception_fp_ieee_invalid_op 0
		.amdhsa_exception_fp_denorm_src 0
		.amdhsa_exception_fp_ieee_div_zero 0
		.amdhsa_exception_fp_ieee_overflow 0
		.amdhsa_exception_fp_ieee_underflow 0
		.amdhsa_exception_fp_ieee_inexact 0
		.amdhsa_exception_int_div_zero 0
	.end_amdhsa_kernel
	.section	.text._ZN7rocprim17ROCPRIM_400000_NS6detail17trampoline_kernelINS0_14default_configENS1_25partition_config_selectorILNS1_17partition_subalgoE9EllbEEZZNS1_14partition_implILS5_9ELb0ES3_jPlS8_PNS0_10empty_typeENS0_5tupleIJS8_S9_EEENSB_IJS8_SA_EEENS0_18inequality_wrapperIZN2at6native12_GLOBAL__N_124unique_dim_cuda_templateIN3c108BFloat16EEESt5tupleIJNSF_6TensorESM_SM_EERKSM_lbbbEUlllE0_EEPmJS9_EEE10hipError_tPvRmT3_T4_T5_T6_T7_T9_mT8_P12ihipStream_tbDpT10_ENKUlT_T0_E_clISt17integral_constantIbLb0EES1B_IbLb1EEEEDaS17_S18_EUlS17_E_NS1_11comp_targetILNS1_3genE3ELNS1_11target_archE908ELNS1_3gpuE7ELNS1_3repE0EEENS1_30default_config_static_selectorELNS0_4arch9wavefront6targetE1EEEvT1_,"axG",@progbits,_ZN7rocprim17ROCPRIM_400000_NS6detail17trampoline_kernelINS0_14default_configENS1_25partition_config_selectorILNS1_17partition_subalgoE9EllbEEZZNS1_14partition_implILS5_9ELb0ES3_jPlS8_PNS0_10empty_typeENS0_5tupleIJS8_S9_EEENSB_IJS8_SA_EEENS0_18inequality_wrapperIZN2at6native12_GLOBAL__N_124unique_dim_cuda_templateIN3c108BFloat16EEESt5tupleIJNSF_6TensorESM_SM_EERKSM_lbbbEUlllE0_EEPmJS9_EEE10hipError_tPvRmT3_T4_T5_T6_T7_T9_mT8_P12ihipStream_tbDpT10_ENKUlT_T0_E_clISt17integral_constantIbLb0EES1B_IbLb1EEEEDaS17_S18_EUlS17_E_NS1_11comp_targetILNS1_3genE3ELNS1_11target_archE908ELNS1_3gpuE7ELNS1_3repE0EEENS1_30default_config_static_selectorELNS0_4arch9wavefront6targetE1EEEvT1_,comdat
.Lfunc_end1232:
	.size	_ZN7rocprim17ROCPRIM_400000_NS6detail17trampoline_kernelINS0_14default_configENS1_25partition_config_selectorILNS1_17partition_subalgoE9EllbEEZZNS1_14partition_implILS5_9ELb0ES3_jPlS8_PNS0_10empty_typeENS0_5tupleIJS8_S9_EEENSB_IJS8_SA_EEENS0_18inequality_wrapperIZN2at6native12_GLOBAL__N_124unique_dim_cuda_templateIN3c108BFloat16EEESt5tupleIJNSF_6TensorESM_SM_EERKSM_lbbbEUlllE0_EEPmJS9_EEE10hipError_tPvRmT3_T4_T5_T6_T7_T9_mT8_P12ihipStream_tbDpT10_ENKUlT_T0_E_clISt17integral_constantIbLb0EES1B_IbLb1EEEEDaS17_S18_EUlS17_E_NS1_11comp_targetILNS1_3genE3ELNS1_11target_archE908ELNS1_3gpuE7ELNS1_3repE0EEENS1_30default_config_static_selectorELNS0_4arch9wavefront6targetE1EEEvT1_, .Lfunc_end1232-_ZN7rocprim17ROCPRIM_400000_NS6detail17trampoline_kernelINS0_14default_configENS1_25partition_config_selectorILNS1_17partition_subalgoE9EllbEEZZNS1_14partition_implILS5_9ELb0ES3_jPlS8_PNS0_10empty_typeENS0_5tupleIJS8_S9_EEENSB_IJS8_SA_EEENS0_18inequality_wrapperIZN2at6native12_GLOBAL__N_124unique_dim_cuda_templateIN3c108BFloat16EEESt5tupleIJNSF_6TensorESM_SM_EERKSM_lbbbEUlllE0_EEPmJS9_EEE10hipError_tPvRmT3_T4_T5_T6_T7_T9_mT8_P12ihipStream_tbDpT10_ENKUlT_T0_E_clISt17integral_constantIbLb0EES1B_IbLb1EEEEDaS17_S18_EUlS17_E_NS1_11comp_targetILNS1_3genE3ELNS1_11target_archE908ELNS1_3gpuE7ELNS1_3repE0EEENS1_30default_config_static_selectorELNS0_4arch9wavefront6targetE1EEEvT1_
                                        ; -- End function
	.section	.AMDGPU.csdata,"",@progbits
; Kernel info:
; codeLenInByte = 0
; NumSgprs: 4
; NumVgprs: 0
; NumAgprs: 0
; TotalNumVgprs: 0
; ScratchSize: 0
; MemoryBound: 0
; FloatMode: 240
; IeeeMode: 1
; LDSByteSize: 0 bytes/workgroup (compile time only)
; SGPRBlocks: 0
; VGPRBlocks: 0
; NumSGPRsForWavesPerEU: 4
; NumVGPRsForWavesPerEU: 1
; AccumOffset: 4
; Occupancy: 8
; WaveLimiterHint : 0
; COMPUTE_PGM_RSRC2:SCRATCH_EN: 0
; COMPUTE_PGM_RSRC2:USER_SGPR: 6
; COMPUTE_PGM_RSRC2:TRAP_HANDLER: 0
; COMPUTE_PGM_RSRC2:TGID_X_EN: 1
; COMPUTE_PGM_RSRC2:TGID_Y_EN: 0
; COMPUTE_PGM_RSRC2:TGID_Z_EN: 0
; COMPUTE_PGM_RSRC2:TIDIG_COMP_CNT: 0
; COMPUTE_PGM_RSRC3_GFX90A:ACCUM_OFFSET: 0
; COMPUTE_PGM_RSRC3_GFX90A:TG_SPLIT: 0
	.section	.text._ZN7rocprim17ROCPRIM_400000_NS6detail17trampoline_kernelINS0_14default_configENS1_25partition_config_selectorILNS1_17partition_subalgoE9EllbEEZZNS1_14partition_implILS5_9ELb0ES3_jPlS8_PNS0_10empty_typeENS0_5tupleIJS8_S9_EEENSB_IJS8_SA_EEENS0_18inequality_wrapperIZN2at6native12_GLOBAL__N_124unique_dim_cuda_templateIN3c108BFloat16EEESt5tupleIJNSF_6TensorESM_SM_EERKSM_lbbbEUlllE0_EEPmJS9_EEE10hipError_tPvRmT3_T4_T5_T6_T7_T9_mT8_P12ihipStream_tbDpT10_ENKUlT_T0_E_clISt17integral_constantIbLb0EES1B_IbLb1EEEEDaS17_S18_EUlS17_E_NS1_11comp_targetILNS1_3genE2ELNS1_11target_archE906ELNS1_3gpuE6ELNS1_3repE0EEENS1_30default_config_static_selectorELNS0_4arch9wavefront6targetE1EEEvT1_,"axG",@progbits,_ZN7rocprim17ROCPRIM_400000_NS6detail17trampoline_kernelINS0_14default_configENS1_25partition_config_selectorILNS1_17partition_subalgoE9EllbEEZZNS1_14partition_implILS5_9ELb0ES3_jPlS8_PNS0_10empty_typeENS0_5tupleIJS8_S9_EEENSB_IJS8_SA_EEENS0_18inequality_wrapperIZN2at6native12_GLOBAL__N_124unique_dim_cuda_templateIN3c108BFloat16EEESt5tupleIJNSF_6TensorESM_SM_EERKSM_lbbbEUlllE0_EEPmJS9_EEE10hipError_tPvRmT3_T4_T5_T6_T7_T9_mT8_P12ihipStream_tbDpT10_ENKUlT_T0_E_clISt17integral_constantIbLb0EES1B_IbLb1EEEEDaS17_S18_EUlS17_E_NS1_11comp_targetILNS1_3genE2ELNS1_11target_archE906ELNS1_3gpuE6ELNS1_3repE0EEENS1_30default_config_static_selectorELNS0_4arch9wavefront6targetE1EEEvT1_,comdat
	.globl	_ZN7rocprim17ROCPRIM_400000_NS6detail17trampoline_kernelINS0_14default_configENS1_25partition_config_selectorILNS1_17partition_subalgoE9EllbEEZZNS1_14partition_implILS5_9ELb0ES3_jPlS8_PNS0_10empty_typeENS0_5tupleIJS8_S9_EEENSB_IJS8_SA_EEENS0_18inequality_wrapperIZN2at6native12_GLOBAL__N_124unique_dim_cuda_templateIN3c108BFloat16EEESt5tupleIJNSF_6TensorESM_SM_EERKSM_lbbbEUlllE0_EEPmJS9_EEE10hipError_tPvRmT3_T4_T5_T6_T7_T9_mT8_P12ihipStream_tbDpT10_ENKUlT_T0_E_clISt17integral_constantIbLb0EES1B_IbLb1EEEEDaS17_S18_EUlS17_E_NS1_11comp_targetILNS1_3genE2ELNS1_11target_archE906ELNS1_3gpuE6ELNS1_3repE0EEENS1_30default_config_static_selectorELNS0_4arch9wavefront6targetE1EEEvT1_ ; -- Begin function _ZN7rocprim17ROCPRIM_400000_NS6detail17trampoline_kernelINS0_14default_configENS1_25partition_config_selectorILNS1_17partition_subalgoE9EllbEEZZNS1_14partition_implILS5_9ELb0ES3_jPlS8_PNS0_10empty_typeENS0_5tupleIJS8_S9_EEENSB_IJS8_SA_EEENS0_18inequality_wrapperIZN2at6native12_GLOBAL__N_124unique_dim_cuda_templateIN3c108BFloat16EEESt5tupleIJNSF_6TensorESM_SM_EERKSM_lbbbEUlllE0_EEPmJS9_EEE10hipError_tPvRmT3_T4_T5_T6_T7_T9_mT8_P12ihipStream_tbDpT10_ENKUlT_T0_E_clISt17integral_constantIbLb0EES1B_IbLb1EEEEDaS17_S18_EUlS17_E_NS1_11comp_targetILNS1_3genE2ELNS1_11target_archE906ELNS1_3gpuE6ELNS1_3repE0EEENS1_30default_config_static_selectorELNS0_4arch9wavefront6targetE1EEEvT1_
	.p2align	8
	.type	_ZN7rocprim17ROCPRIM_400000_NS6detail17trampoline_kernelINS0_14default_configENS1_25partition_config_selectorILNS1_17partition_subalgoE9EllbEEZZNS1_14partition_implILS5_9ELb0ES3_jPlS8_PNS0_10empty_typeENS0_5tupleIJS8_S9_EEENSB_IJS8_SA_EEENS0_18inequality_wrapperIZN2at6native12_GLOBAL__N_124unique_dim_cuda_templateIN3c108BFloat16EEESt5tupleIJNSF_6TensorESM_SM_EERKSM_lbbbEUlllE0_EEPmJS9_EEE10hipError_tPvRmT3_T4_T5_T6_T7_T9_mT8_P12ihipStream_tbDpT10_ENKUlT_T0_E_clISt17integral_constantIbLb0EES1B_IbLb1EEEEDaS17_S18_EUlS17_E_NS1_11comp_targetILNS1_3genE2ELNS1_11target_archE906ELNS1_3gpuE6ELNS1_3repE0EEENS1_30default_config_static_selectorELNS0_4arch9wavefront6targetE1EEEvT1_,@function
_ZN7rocprim17ROCPRIM_400000_NS6detail17trampoline_kernelINS0_14default_configENS1_25partition_config_selectorILNS1_17partition_subalgoE9EllbEEZZNS1_14partition_implILS5_9ELb0ES3_jPlS8_PNS0_10empty_typeENS0_5tupleIJS8_S9_EEENSB_IJS8_SA_EEENS0_18inequality_wrapperIZN2at6native12_GLOBAL__N_124unique_dim_cuda_templateIN3c108BFloat16EEESt5tupleIJNSF_6TensorESM_SM_EERKSM_lbbbEUlllE0_EEPmJS9_EEE10hipError_tPvRmT3_T4_T5_T6_T7_T9_mT8_P12ihipStream_tbDpT10_ENKUlT_T0_E_clISt17integral_constantIbLb0EES1B_IbLb1EEEEDaS17_S18_EUlS17_E_NS1_11comp_targetILNS1_3genE2ELNS1_11target_archE906ELNS1_3gpuE6ELNS1_3repE0EEENS1_30default_config_static_selectorELNS0_4arch9wavefront6targetE1EEEvT1_: ; @_ZN7rocprim17ROCPRIM_400000_NS6detail17trampoline_kernelINS0_14default_configENS1_25partition_config_selectorILNS1_17partition_subalgoE9EllbEEZZNS1_14partition_implILS5_9ELb0ES3_jPlS8_PNS0_10empty_typeENS0_5tupleIJS8_S9_EEENSB_IJS8_SA_EEENS0_18inequality_wrapperIZN2at6native12_GLOBAL__N_124unique_dim_cuda_templateIN3c108BFloat16EEESt5tupleIJNSF_6TensorESM_SM_EERKSM_lbbbEUlllE0_EEPmJS9_EEE10hipError_tPvRmT3_T4_T5_T6_T7_T9_mT8_P12ihipStream_tbDpT10_ENKUlT_T0_E_clISt17integral_constantIbLb0EES1B_IbLb1EEEEDaS17_S18_EUlS17_E_NS1_11comp_targetILNS1_3genE2ELNS1_11target_archE906ELNS1_3gpuE6ELNS1_3repE0EEENS1_30default_config_static_selectorELNS0_4arch9wavefront6targetE1EEEvT1_
; %bb.0:
	.section	.rodata,"a",@progbits
	.p2align	6, 0x0
	.amdhsa_kernel _ZN7rocprim17ROCPRIM_400000_NS6detail17trampoline_kernelINS0_14default_configENS1_25partition_config_selectorILNS1_17partition_subalgoE9EllbEEZZNS1_14partition_implILS5_9ELb0ES3_jPlS8_PNS0_10empty_typeENS0_5tupleIJS8_S9_EEENSB_IJS8_SA_EEENS0_18inequality_wrapperIZN2at6native12_GLOBAL__N_124unique_dim_cuda_templateIN3c108BFloat16EEESt5tupleIJNSF_6TensorESM_SM_EERKSM_lbbbEUlllE0_EEPmJS9_EEE10hipError_tPvRmT3_T4_T5_T6_T7_T9_mT8_P12ihipStream_tbDpT10_ENKUlT_T0_E_clISt17integral_constantIbLb0EES1B_IbLb1EEEEDaS17_S18_EUlS17_E_NS1_11comp_targetILNS1_3genE2ELNS1_11target_archE906ELNS1_3gpuE6ELNS1_3repE0EEENS1_30default_config_static_selectorELNS0_4arch9wavefront6targetE1EEEvT1_
		.amdhsa_group_segment_fixed_size 0
		.amdhsa_private_segment_fixed_size 0
		.amdhsa_kernarg_size 136
		.amdhsa_user_sgpr_count 6
		.amdhsa_user_sgpr_private_segment_buffer 1
		.amdhsa_user_sgpr_dispatch_ptr 0
		.amdhsa_user_sgpr_queue_ptr 0
		.amdhsa_user_sgpr_kernarg_segment_ptr 1
		.amdhsa_user_sgpr_dispatch_id 0
		.amdhsa_user_sgpr_flat_scratch_init 0
		.amdhsa_user_sgpr_kernarg_preload_length 0
		.amdhsa_user_sgpr_kernarg_preload_offset 0
		.amdhsa_user_sgpr_private_segment_size 0
		.amdhsa_uses_dynamic_stack 0
		.amdhsa_system_sgpr_private_segment_wavefront_offset 0
		.amdhsa_system_sgpr_workgroup_id_x 1
		.amdhsa_system_sgpr_workgroup_id_y 0
		.amdhsa_system_sgpr_workgroup_id_z 0
		.amdhsa_system_sgpr_workgroup_info 0
		.amdhsa_system_vgpr_workitem_id 0
		.amdhsa_next_free_vgpr 1
		.amdhsa_next_free_sgpr 0
		.amdhsa_accum_offset 4
		.amdhsa_reserve_vcc 0
		.amdhsa_reserve_flat_scratch 0
		.amdhsa_float_round_mode_32 0
		.amdhsa_float_round_mode_16_64 0
		.amdhsa_float_denorm_mode_32 3
		.amdhsa_float_denorm_mode_16_64 3
		.amdhsa_dx10_clamp 1
		.amdhsa_ieee_mode 1
		.amdhsa_fp16_overflow 0
		.amdhsa_tg_split 0
		.amdhsa_exception_fp_ieee_invalid_op 0
		.amdhsa_exception_fp_denorm_src 0
		.amdhsa_exception_fp_ieee_div_zero 0
		.amdhsa_exception_fp_ieee_overflow 0
		.amdhsa_exception_fp_ieee_underflow 0
		.amdhsa_exception_fp_ieee_inexact 0
		.amdhsa_exception_int_div_zero 0
	.end_amdhsa_kernel
	.section	.text._ZN7rocprim17ROCPRIM_400000_NS6detail17trampoline_kernelINS0_14default_configENS1_25partition_config_selectorILNS1_17partition_subalgoE9EllbEEZZNS1_14partition_implILS5_9ELb0ES3_jPlS8_PNS0_10empty_typeENS0_5tupleIJS8_S9_EEENSB_IJS8_SA_EEENS0_18inequality_wrapperIZN2at6native12_GLOBAL__N_124unique_dim_cuda_templateIN3c108BFloat16EEESt5tupleIJNSF_6TensorESM_SM_EERKSM_lbbbEUlllE0_EEPmJS9_EEE10hipError_tPvRmT3_T4_T5_T6_T7_T9_mT8_P12ihipStream_tbDpT10_ENKUlT_T0_E_clISt17integral_constantIbLb0EES1B_IbLb1EEEEDaS17_S18_EUlS17_E_NS1_11comp_targetILNS1_3genE2ELNS1_11target_archE906ELNS1_3gpuE6ELNS1_3repE0EEENS1_30default_config_static_selectorELNS0_4arch9wavefront6targetE1EEEvT1_,"axG",@progbits,_ZN7rocprim17ROCPRIM_400000_NS6detail17trampoline_kernelINS0_14default_configENS1_25partition_config_selectorILNS1_17partition_subalgoE9EllbEEZZNS1_14partition_implILS5_9ELb0ES3_jPlS8_PNS0_10empty_typeENS0_5tupleIJS8_S9_EEENSB_IJS8_SA_EEENS0_18inequality_wrapperIZN2at6native12_GLOBAL__N_124unique_dim_cuda_templateIN3c108BFloat16EEESt5tupleIJNSF_6TensorESM_SM_EERKSM_lbbbEUlllE0_EEPmJS9_EEE10hipError_tPvRmT3_T4_T5_T6_T7_T9_mT8_P12ihipStream_tbDpT10_ENKUlT_T0_E_clISt17integral_constantIbLb0EES1B_IbLb1EEEEDaS17_S18_EUlS17_E_NS1_11comp_targetILNS1_3genE2ELNS1_11target_archE906ELNS1_3gpuE6ELNS1_3repE0EEENS1_30default_config_static_selectorELNS0_4arch9wavefront6targetE1EEEvT1_,comdat
.Lfunc_end1233:
	.size	_ZN7rocprim17ROCPRIM_400000_NS6detail17trampoline_kernelINS0_14default_configENS1_25partition_config_selectorILNS1_17partition_subalgoE9EllbEEZZNS1_14partition_implILS5_9ELb0ES3_jPlS8_PNS0_10empty_typeENS0_5tupleIJS8_S9_EEENSB_IJS8_SA_EEENS0_18inequality_wrapperIZN2at6native12_GLOBAL__N_124unique_dim_cuda_templateIN3c108BFloat16EEESt5tupleIJNSF_6TensorESM_SM_EERKSM_lbbbEUlllE0_EEPmJS9_EEE10hipError_tPvRmT3_T4_T5_T6_T7_T9_mT8_P12ihipStream_tbDpT10_ENKUlT_T0_E_clISt17integral_constantIbLb0EES1B_IbLb1EEEEDaS17_S18_EUlS17_E_NS1_11comp_targetILNS1_3genE2ELNS1_11target_archE906ELNS1_3gpuE6ELNS1_3repE0EEENS1_30default_config_static_selectorELNS0_4arch9wavefront6targetE1EEEvT1_, .Lfunc_end1233-_ZN7rocprim17ROCPRIM_400000_NS6detail17trampoline_kernelINS0_14default_configENS1_25partition_config_selectorILNS1_17partition_subalgoE9EllbEEZZNS1_14partition_implILS5_9ELb0ES3_jPlS8_PNS0_10empty_typeENS0_5tupleIJS8_S9_EEENSB_IJS8_SA_EEENS0_18inequality_wrapperIZN2at6native12_GLOBAL__N_124unique_dim_cuda_templateIN3c108BFloat16EEESt5tupleIJNSF_6TensorESM_SM_EERKSM_lbbbEUlllE0_EEPmJS9_EEE10hipError_tPvRmT3_T4_T5_T6_T7_T9_mT8_P12ihipStream_tbDpT10_ENKUlT_T0_E_clISt17integral_constantIbLb0EES1B_IbLb1EEEEDaS17_S18_EUlS17_E_NS1_11comp_targetILNS1_3genE2ELNS1_11target_archE906ELNS1_3gpuE6ELNS1_3repE0EEENS1_30default_config_static_selectorELNS0_4arch9wavefront6targetE1EEEvT1_
                                        ; -- End function
	.section	.AMDGPU.csdata,"",@progbits
; Kernel info:
; codeLenInByte = 0
; NumSgprs: 4
; NumVgprs: 0
; NumAgprs: 0
; TotalNumVgprs: 0
; ScratchSize: 0
; MemoryBound: 0
; FloatMode: 240
; IeeeMode: 1
; LDSByteSize: 0 bytes/workgroup (compile time only)
; SGPRBlocks: 0
; VGPRBlocks: 0
; NumSGPRsForWavesPerEU: 4
; NumVGPRsForWavesPerEU: 1
; AccumOffset: 4
; Occupancy: 8
; WaveLimiterHint : 0
; COMPUTE_PGM_RSRC2:SCRATCH_EN: 0
; COMPUTE_PGM_RSRC2:USER_SGPR: 6
; COMPUTE_PGM_RSRC2:TRAP_HANDLER: 0
; COMPUTE_PGM_RSRC2:TGID_X_EN: 1
; COMPUTE_PGM_RSRC2:TGID_Y_EN: 0
; COMPUTE_PGM_RSRC2:TGID_Z_EN: 0
; COMPUTE_PGM_RSRC2:TIDIG_COMP_CNT: 0
; COMPUTE_PGM_RSRC3_GFX90A:ACCUM_OFFSET: 0
; COMPUTE_PGM_RSRC3_GFX90A:TG_SPLIT: 0
	.section	.text._ZN7rocprim17ROCPRIM_400000_NS6detail17trampoline_kernelINS0_14default_configENS1_25partition_config_selectorILNS1_17partition_subalgoE9EllbEEZZNS1_14partition_implILS5_9ELb0ES3_jPlS8_PNS0_10empty_typeENS0_5tupleIJS8_S9_EEENSB_IJS8_SA_EEENS0_18inequality_wrapperIZN2at6native12_GLOBAL__N_124unique_dim_cuda_templateIN3c108BFloat16EEESt5tupleIJNSF_6TensorESM_SM_EERKSM_lbbbEUlllE0_EEPmJS9_EEE10hipError_tPvRmT3_T4_T5_T6_T7_T9_mT8_P12ihipStream_tbDpT10_ENKUlT_T0_E_clISt17integral_constantIbLb0EES1B_IbLb1EEEEDaS17_S18_EUlS17_E_NS1_11comp_targetILNS1_3genE10ELNS1_11target_archE1200ELNS1_3gpuE4ELNS1_3repE0EEENS1_30default_config_static_selectorELNS0_4arch9wavefront6targetE1EEEvT1_,"axG",@progbits,_ZN7rocprim17ROCPRIM_400000_NS6detail17trampoline_kernelINS0_14default_configENS1_25partition_config_selectorILNS1_17partition_subalgoE9EllbEEZZNS1_14partition_implILS5_9ELb0ES3_jPlS8_PNS0_10empty_typeENS0_5tupleIJS8_S9_EEENSB_IJS8_SA_EEENS0_18inequality_wrapperIZN2at6native12_GLOBAL__N_124unique_dim_cuda_templateIN3c108BFloat16EEESt5tupleIJNSF_6TensorESM_SM_EERKSM_lbbbEUlllE0_EEPmJS9_EEE10hipError_tPvRmT3_T4_T5_T6_T7_T9_mT8_P12ihipStream_tbDpT10_ENKUlT_T0_E_clISt17integral_constantIbLb0EES1B_IbLb1EEEEDaS17_S18_EUlS17_E_NS1_11comp_targetILNS1_3genE10ELNS1_11target_archE1200ELNS1_3gpuE4ELNS1_3repE0EEENS1_30default_config_static_selectorELNS0_4arch9wavefront6targetE1EEEvT1_,comdat
	.globl	_ZN7rocprim17ROCPRIM_400000_NS6detail17trampoline_kernelINS0_14default_configENS1_25partition_config_selectorILNS1_17partition_subalgoE9EllbEEZZNS1_14partition_implILS5_9ELb0ES3_jPlS8_PNS0_10empty_typeENS0_5tupleIJS8_S9_EEENSB_IJS8_SA_EEENS0_18inequality_wrapperIZN2at6native12_GLOBAL__N_124unique_dim_cuda_templateIN3c108BFloat16EEESt5tupleIJNSF_6TensorESM_SM_EERKSM_lbbbEUlllE0_EEPmJS9_EEE10hipError_tPvRmT3_T4_T5_T6_T7_T9_mT8_P12ihipStream_tbDpT10_ENKUlT_T0_E_clISt17integral_constantIbLb0EES1B_IbLb1EEEEDaS17_S18_EUlS17_E_NS1_11comp_targetILNS1_3genE10ELNS1_11target_archE1200ELNS1_3gpuE4ELNS1_3repE0EEENS1_30default_config_static_selectorELNS0_4arch9wavefront6targetE1EEEvT1_ ; -- Begin function _ZN7rocprim17ROCPRIM_400000_NS6detail17trampoline_kernelINS0_14default_configENS1_25partition_config_selectorILNS1_17partition_subalgoE9EllbEEZZNS1_14partition_implILS5_9ELb0ES3_jPlS8_PNS0_10empty_typeENS0_5tupleIJS8_S9_EEENSB_IJS8_SA_EEENS0_18inequality_wrapperIZN2at6native12_GLOBAL__N_124unique_dim_cuda_templateIN3c108BFloat16EEESt5tupleIJNSF_6TensorESM_SM_EERKSM_lbbbEUlllE0_EEPmJS9_EEE10hipError_tPvRmT3_T4_T5_T6_T7_T9_mT8_P12ihipStream_tbDpT10_ENKUlT_T0_E_clISt17integral_constantIbLb0EES1B_IbLb1EEEEDaS17_S18_EUlS17_E_NS1_11comp_targetILNS1_3genE10ELNS1_11target_archE1200ELNS1_3gpuE4ELNS1_3repE0EEENS1_30default_config_static_selectorELNS0_4arch9wavefront6targetE1EEEvT1_
	.p2align	8
	.type	_ZN7rocprim17ROCPRIM_400000_NS6detail17trampoline_kernelINS0_14default_configENS1_25partition_config_selectorILNS1_17partition_subalgoE9EllbEEZZNS1_14partition_implILS5_9ELb0ES3_jPlS8_PNS0_10empty_typeENS0_5tupleIJS8_S9_EEENSB_IJS8_SA_EEENS0_18inequality_wrapperIZN2at6native12_GLOBAL__N_124unique_dim_cuda_templateIN3c108BFloat16EEESt5tupleIJNSF_6TensorESM_SM_EERKSM_lbbbEUlllE0_EEPmJS9_EEE10hipError_tPvRmT3_T4_T5_T6_T7_T9_mT8_P12ihipStream_tbDpT10_ENKUlT_T0_E_clISt17integral_constantIbLb0EES1B_IbLb1EEEEDaS17_S18_EUlS17_E_NS1_11comp_targetILNS1_3genE10ELNS1_11target_archE1200ELNS1_3gpuE4ELNS1_3repE0EEENS1_30default_config_static_selectorELNS0_4arch9wavefront6targetE1EEEvT1_,@function
_ZN7rocprim17ROCPRIM_400000_NS6detail17trampoline_kernelINS0_14default_configENS1_25partition_config_selectorILNS1_17partition_subalgoE9EllbEEZZNS1_14partition_implILS5_9ELb0ES3_jPlS8_PNS0_10empty_typeENS0_5tupleIJS8_S9_EEENSB_IJS8_SA_EEENS0_18inequality_wrapperIZN2at6native12_GLOBAL__N_124unique_dim_cuda_templateIN3c108BFloat16EEESt5tupleIJNSF_6TensorESM_SM_EERKSM_lbbbEUlllE0_EEPmJS9_EEE10hipError_tPvRmT3_T4_T5_T6_T7_T9_mT8_P12ihipStream_tbDpT10_ENKUlT_T0_E_clISt17integral_constantIbLb0EES1B_IbLb1EEEEDaS17_S18_EUlS17_E_NS1_11comp_targetILNS1_3genE10ELNS1_11target_archE1200ELNS1_3gpuE4ELNS1_3repE0EEENS1_30default_config_static_selectorELNS0_4arch9wavefront6targetE1EEEvT1_: ; @_ZN7rocprim17ROCPRIM_400000_NS6detail17trampoline_kernelINS0_14default_configENS1_25partition_config_selectorILNS1_17partition_subalgoE9EllbEEZZNS1_14partition_implILS5_9ELb0ES3_jPlS8_PNS0_10empty_typeENS0_5tupleIJS8_S9_EEENSB_IJS8_SA_EEENS0_18inequality_wrapperIZN2at6native12_GLOBAL__N_124unique_dim_cuda_templateIN3c108BFloat16EEESt5tupleIJNSF_6TensorESM_SM_EERKSM_lbbbEUlllE0_EEPmJS9_EEE10hipError_tPvRmT3_T4_T5_T6_T7_T9_mT8_P12ihipStream_tbDpT10_ENKUlT_T0_E_clISt17integral_constantIbLb0EES1B_IbLb1EEEEDaS17_S18_EUlS17_E_NS1_11comp_targetILNS1_3genE10ELNS1_11target_archE1200ELNS1_3gpuE4ELNS1_3repE0EEENS1_30default_config_static_selectorELNS0_4arch9wavefront6targetE1EEEvT1_
; %bb.0:
	.section	.rodata,"a",@progbits
	.p2align	6, 0x0
	.amdhsa_kernel _ZN7rocprim17ROCPRIM_400000_NS6detail17trampoline_kernelINS0_14default_configENS1_25partition_config_selectorILNS1_17partition_subalgoE9EllbEEZZNS1_14partition_implILS5_9ELb0ES3_jPlS8_PNS0_10empty_typeENS0_5tupleIJS8_S9_EEENSB_IJS8_SA_EEENS0_18inequality_wrapperIZN2at6native12_GLOBAL__N_124unique_dim_cuda_templateIN3c108BFloat16EEESt5tupleIJNSF_6TensorESM_SM_EERKSM_lbbbEUlllE0_EEPmJS9_EEE10hipError_tPvRmT3_T4_T5_T6_T7_T9_mT8_P12ihipStream_tbDpT10_ENKUlT_T0_E_clISt17integral_constantIbLb0EES1B_IbLb1EEEEDaS17_S18_EUlS17_E_NS1_11comp_targetILNS1_3genE10ELNS1_11target_archE1200ELNS1_3gpuE4ELNS1_3repE0EEENS1_30default_config_static_selectorELNS0_4arch9wavefront6targetE1EEEvT1_
		.amdhsa_group_segment_fixed_size 0
		.amdhsa_private_segment_fixed_size 0
		.amdhsa_kernarg_size 136
		.amdhsa_user_sgpr_count 6
		.amdhsa_user_sgpr_private_segment_buffer 1
		.amdhsa_user_sgpr_dispatch_ptr 0
		.amdhsa_user_sgpr_queue_ptr 0
		.amdhsa_user_sgpr_kernarg_segment_ptr 1
		.amdhsa_user_sgpr_dispatch_id 0
		.amdhsa_user_sgpr_flat_scratch_init 0
		.amdhsa_user_sgpr_kernarg_preload_length 0
		.amdhsa_user_sgpr_kernarg_preload_offset 0
		.amdhsa_user_sgpr_private_segment_size 0
		.amdhsa_uses_dynamic_stack 0
		.amdhsa_system_sgpr_private_segment_wavefront_offset 0
		.amdhsa_system_sgpr_workgroup_id_x 1
		.amdhsa_system_sgpr_workgroup_id_y 0
		.amdhsa_system_sgpr_workgroup_id_z 0
		.amdhsa_system_sgpr_workgroup_info 0
		.amdhsa_system_vgpr_workitem_id 0
		.amdhsa_next_free_vgpr 1
		.amdhsa_next_free_sgpr 0
		.amdhsa_accum_offset 4
		.amdhsa_reserve_vcc 0
		.amdhsa_reserve_flat_scratch 0
		.amdhsa_float_round_mode_32 0
		.amdhsa_float_round_mode_16_64 0
		.amdhsa_float_denorm_mode_32 3
		.amdhsa_float_denorm_mode_16_64 3
		.amdhsa_dx10_clamp 1
		.amdhsa_ieee_mode 1
		.amdhsa_fp16_overflow 0
		.amdhsa_tg_split 0
		.amdhsa_exception_fp_ieee_invalid_op 0
		.amdhsa_exception_fp_denorm_src 0
		.amdhsa_exception_fp_ieee_div_zero 0
		.amdhsa_exception_fp_ieee_overflow 0
		.amdhsa_exception_fp_ieee_underflow 0
		.amdhsa_exception_fp_ieee_inexact 0
		.amdhsa_exception_int_div_zero 0
	.end_amdhsa_kernel
	.section	.text._ZN7rocprim17ROCPRIM_400000_NS6detail17trampoline_kernelINS0_14default_configENS1_25partition_config_selectorILNS1_17partition_subalgoE9EllbEEZZNS1_14partition_implILS5_9ELb0ES3_jPlS8_PNS0_10empty_typeENS0_5tupleIJS8_S9_EEENSB_IJS8_SA_EEENS0_18inequality_wrapperIZN2at6native12_GLOBAL__N_124unique_dim_cuda_templateIN3c108BFloat16EEESt5tupleIJNSF_6TensorESM_SM_EERKSM_lbbbEUlllE0_EEPmJS9_EEE10hipError_tPvRmT3_T4_T5_T6_T7_T9_mT8_P12ihipStream_tbDpT10_ENKUlT_T0_E_clISt17integral_constantIbLb0EES1B_IbLb1EEEEDaS17_S18_EUlS17_E_NS1_11comp_targetILNS1_3genE10ELNS1_11target_archE1200ELNS1_3gpuE4ELNS1_3repE0EEENS1_30default_config_static_selectorELNS0_4arch9wavefront6targetE1EEEvT1_,"axG",@progbits,_ZN7rocprim17ROCPRIM_400000_NS6detail17trampoline_kernelINS0_14default_configENS1_25partition_config_selectorILNS1_17partition_subalgoE9EllbEEZZNS1_14partition_implILS5_9ELb0ES3_jPlS8_PNS0_10empty_typeENS0_5tupleIJS8_S9_EEENSB_IJS8_SA_EEENS0_18inequality_wrapperIZN2at6native12_GLOBAL__N_124unique_dim_cuda_templateIN3c108BFloat16EEESt5tupleIJNSF_6TensorESM_SM_EERKSM_lbbbEUlllE0_EEPmJS9_EEE10hipError_tPvRmT3_T4_T5_T6_T7_T9_mT8_P12ihipStream_tbDpT10_ENKUlT_T0_E_clISt17integral_constantIbLb0EES1B_IbLb1EEEEDaS17_S18_EUlS17_E_NS1_11comp_targetILNS1_3genE10ELNS1_11target_archE1200ELNS1_3gpuE4ELNS1_3repE0EEENS1_30default_config_static_selectorELNS0_4arch9wavefront6targetE1EEEvT1_,comdat
.Lfunc_end1234:
	.size	_ZN7rocprim17ROCPRIM_400000_NS6detail17trampoline_kernelINS0_14default_configENS1_25partition_config_selectorILNS1_17partition_subalgoE9EllbEEZZNS1_14partition_implILS5_9ELb0ES3_jPlS8_PNS0_10empty_typeENS0_5tupleIJS8_S9_EEENSB_IJS8_SA_EEENS0_18inequality_wrapperIZN2at6native12_GLOBAL__N_124unique_dim_cuda_templateIN3c108BFloat16EEESt5tupleIJNSF_6TensorESM_SM_EERKSM_lbbbEUlllE0_EEPmJS9_EEE10hipError_tPvRmT3_T4_T5_T6_T7_T9_mT8_P12ihipStream_tbDpT10_ENKUlT_T0_E_clISt17integral_constantIbLb0EES1B_IbLb1EEEEDaS17_S18_EUlS17_E_NS1_11comp_targetILNS1_3genE10ELNS1_11target_archE1200ELNS1_3gpuE4ELNS1_3repE0EEENS1_30default_config_static_selectorELNS0_4arch9wavefront6targetE1EEEvT1_, .Lfunc_end1234-_ZN7rocprim17ROCPRIM_400000_NS6detail17trampoline_kernelINS0_14default_configENS1_25partition_config_selectorILNS1_17partition_subalgoE9EllbEEZZNS1_14partition_implILS5_9ELb0ES3_jPlS8_PNS0_10empty_typeENS0_5tupleIJS8_S9_EEENSB_IJS8_SA_EEENS0_18inequality_wrapperIZN2at6native12_GLOBAL__N_124unique_dim_cuda_templateIN3c108BFloat16EEESt5tupleIJNSF_6TensorESM_SM_EERKSM_lbbbEUlllE0_EEPmJS9_EEE10hipError_tPvRmT3_T4_T5_T6_T7_T9_mT8_P12ihipStream_tbDpT10_ENKUlT_T0_E_clISt17integral_constantIbLb0EES1B_IbLb1EEEEDaS17_S18_EUlS17_E_NS1_11comp_targetILNS1_3genE10ELNS1_11target_archE1200ELNS1_3gpuE4ELNS1_3repE0EEENS1_30default_config_static_selectorELNS0_4arch9wavefront6targetE1EEEvT1_
                                        ; -- End function
	.section	.AMDGPU.csdata,"",@progbits
; Kernel info:
; codeLenInByte = 0
; NumSgprs: 4
; NumVgprs: 0
; NumAgprs: 0
; TotalNumVgprs: 0
; ScratchSize: 0
; MemoryBound: 0
; FloatMode: 240
; IeeeMode: 1
; LDSByteSize: 0 bytes/workgroup (compile time only)
; SGPRBlocks: 0
; VGPRBlocks: 0
; NumSGPRsForWavesPerEU: 4
; NumVGPRsForWavesPerEU: 1
; AccumOffset: 4
; Occupancy: 8
; WaveLimiterHint : 0
; COMPUTE_PGM_RSRC2:SCRATCH_EN: 0
; COMPUTE_PGM_RSRC2:USER_SGPR: 6
; COMPUTE_PGM_RSRC2:TRAP_HANDLER: 0
; COMPUTE_PGM_RSRC2:TGID_X_EN: 1
; COMPUTE_PGM_RSRC2:TGID_Y_EN: 0
; COMPUTE_PGM_RSRC2:TGID_Z_EN: 0
; COMPUTE_PGM_RSRC2:TIDIG_COMP_CNT: 0
; COMPUTE_PGM_RSRC3_GFX90A:ACCUM_OFFSET: 0
; COMPUTE_PGM_RSRC3_GFX90A:TG_SPLIT: 0
	.section	.text._ZN7rocprim17ROCPRIM_400000_NS6detail17trampoline_kernelINS0_14default_configENS1_25partition_config_selectorILNS1_17partition_subalgoE9EllbEEZZNS1_14partition_implILS5_9ELb0ES3_jPlS8_PNS0_10empty_typeENS0_5tupleIJS8_S9_EEENSB_IJS8_SA_EEENS0_18inequality_wrapperIZN2at6native12_GLOBAL__N_124unique_dim_cuda_templateIN3c108BFloat16EEESt5tupleIJNSF_6TensorESM_SM_EERKSM_lbbbEUlllE0_EEPmJS9_EEE10hipError_tPvRmT3_T4_T5_T6_T7_T9_mT8_P12ihipStream_tbDpT10_ENKUlT_T0_E_clISt17integral_constantIbLb0EES1B_IbLb1EEEEDaS17_S18_EUlS17_E_NS1_11comp_targetILNS1_3genE9ELNS1_11target_archE1100ELNS1_3gpuE3ELNS1_3repE0EEENS1_30default_config_static_selectorELNS0_4arch9wavefront6targetE1EEEvT1_,"axG",@progbits,_ZN7rocprim17ROCPRIM_400000_NS6detail17trampoline_kernelINS0_14default_configENS1_25partition_config_selectorILNS1_17partition_subalgoE9EllbEEZZNS1_14partition_implILS5_9ELb0ES3_jPlS8_PNS0_10empty_typeENS0_5tupleIJS8_S9_EEENSB_IJS8_SA_EEENS0_18inequality_wrapperIZN2at6native12_GLOBAL__N_124unique_dim_cuda_templateIN3c108BFloat16EEESt5tupleIJNSF_6TensorESM_SM_EERKSM_lbbbEUlllE0_EEPmJS9_EEE10hipError_tPvRmT3_T4_T5_T6_T7_T9_mT8_P12ihipStream_tbDpT10_ENKUlT_T0_E_clISt17integral_constantIbLb0EES1B_IbLb1EEEEDaS17_S18_EUlS17_E_NS1_11comp_targetILNS1_3genE9ELNS1_11target_archE1100ELNS1_3gpuE3ELNS1_3repE0EEENS1_30default_config_static_selectorELNS0_4arch9wavefront6targetE1EEEvT1_,comdat
	.globl	_ZN7rocprim17ROCPRIM_400000_NS6detail17trampoline_kernelINS0_14default_configENS1_25partition_config_selectorILNS1_17partition_subalgoE9EllbEEZZNS1_14partition_implILS5_9ELb0ES3_jPlS8_PNS0_10empty_typeENS0_5tupleIJS8_S9_EEENSB_IJS8_SA_EEENS0_18inequality_wrapperIZN2at6native12_GLOBAL__N_124unique_dim_cuda_templateIN3c108BFloat16EEESt5tupleIJNSF_6TensorESM_SM_EERKSM_lbbbEUlllE0_EEPmJS9_EEE10hipError_tPvRmT3_T4_T5_T6_T7_T9_mT8_P12ihipStream_tbDpT10_ENKUlT_T0_E_clISt17integral_constantIbLb0EES1B_IbLb1EEEEDaS17_S18_EUlS17_E_NS1_11comp_targetILNS1_3genE9ELNS1_11target_archE1100ELNS1_3gpuE3ELNS1_3repE0EEENS1_30default_config_static_selectorELNS0_4arch9wavefront6targetE1EEEvT1_ ; -- Begin function _ZN7rocprim17ROCPRIM_400000_NS6detail17trampoline_kernelINS0_14default_configENS1_25partition_config_selectorILNS1_17partition_subalgoE9EllbEEZZNS1_14partition_implILS5_9ELb0ES3_jPlS8_PNS0_10empty_typeENS0_5tupleIJS8_S9_EEENSB_IJS8_SA_EEENS0_18inequality_wrapperIZN2at6native12_GLOBAL__N_124unique_dim_cuda_templateIN3c108BFloat16EEESt5tupleIJNSF_6TensorESM_SM_EERKSM_lbbbEUlllE0_EEPmJS9_EEE10hipError_tPvRmT3_T4_T5_T6_T7_T9_mT8_P12ihipStream_tbDpT10_ENKUlT_T0_E_clISt17integral_constantIbLb0EES1B_IbLb1EEEEDaS17_S18_EUlS17_E_NS1_11comp_targetILNS1_3genE9ELNS1_11target_archE1100ELNS1_3gpuE3ELNS1_3repE0EEENS1_30default_config_static_selectorELNS0_4arch9wavefront6targetE1EEEvT1_
	.p2align	8
	.type	_ZN7rocprim17ROCPRIM_400000_NS6detail17trampoline_kernelINS0_14default_configENS1_25partition_config_selectorILNS1_17partition_subalgoE9EllbEEZZNS1_14partition_implILS5_9ELb0ES3_jPlS8_PNS0_10empty_typeENS0_5tupleIJS8_S9_EEENSB_IJS8_SA_EEENS0_18inequality_wrapperIZN2at6native12_GLOBAL__N_124unique_dim_cuda_templateIN3c108BFloat16EEESt5tupleIJNSF_6TensorESM_SM_EERKSM_lbbbEUlllE0_EEPmJS9_EEE10hipError_tPvRmT3_T4_T5_T6_T7_T9_mT8_P12ihipStream_tbDpT10_ENKUlT_T0_E_clISt17integral_constantIbLb0EES1B_IbLb1EEEEDaS17_S18_EUlS17_E_NS1_11comp_targetILNS1_3genE9ELNS1_11target_archE1100ELNS1_3gpuE3ELNS1_3repE0EEENS1_30default_config_static_selectorELNS0_4arch9wavefront6targetE1EEEvT1_,@function
_ZN7rocprim17ROCPRIM_400000_NS6detail17trampoline_kernelINS0_14default_configENS1_25partition_config_selectorILNS1_17partition_subalgoE9EllbEEZZNS1_14partition_implILS5_9ELb0ES3_jPlS8_PNS0_10empty_typeENS0_5tupleIJS8_S9_EEENSB_IJS8_SA_EEENS0_18inequality_wrapperIZN2at6native12_GLOBAL__N_124unique_dim_cuda_templateIN3c108BFloat16EEESt5tupleIJNSF_6TensorESM_SM_EERKSM_lbbbEUlllE0_EEPmJS9_EEE10hipError_tPvRmT3_T4_T5_T6_T7_T9_mT8_P12ihipStream_tbDpT10_ENKUlT_T0_E_clISt17integral_constantIbLb0EES1B_IbLb1EEEEDaS17_S18_EUlS17_E_NS1_11comp_targetILNS1_3genE9ELNS1_11target_archE1100ELNS1_3gpuE3ELNS1_3repE0EEENS1_30default_config_static_selectorELNS0_4arch9wavefront6targetE1EEEvT1_: ; @_ZN7rocprim17ROCPRIM_400000_NS6detail17trampoline_kernelINS0_14default_configENS1_25partition_config_selectorILNS1_17partition_subalgoE9EllbEEZZNS1_14partition_implILS5_9ELb0ES3_jPlS8_PNS0_10empty_typeENS0_5tupleIJS8_S9_EEENSB_IJS8_SA_EEENS0_18inequality_wrapperIZN2at6native12_GLOBAL__N_124unique_dim_cuda_templateIN3c108BFloat16EEESt5tupleIJNSF_6TensorESM_SM_EERKSM_lbbbEUlllE0_EEPmJS9_EEE10hipError_tPvRmT3_T4_T5_T6_T7_T9_mT8_P12ihipStream_tbDpT10_ENKUlT_T0_E_clISt17integral_constantIbLb0EES1B_IbLb1EEEEDaS17_S18_EUlS17_E_NS1_11comp_targetILNS1_3genE9ELNS1_11target_archE1100ELNS1_3gpuE3ELNS1_3repE0EEENS1_30default_config_static_selectorELNS0_4arch9wavefront6targetE1EEEvT1_
; %bb.0:
	.section	.rodata,"a",@progbits
	.p2align	6, 0x0
	.amdhsa_kernel _ZN7rocprim17ROCPRIM_400000_NS6detail17trampoline_kernelINS0_14default_configENS1_25partition_config_selectorILNS1_17partition_subalgoE9EllbEEZZNS1_14partition_implILS5_9ELb0ES3_jPlS8_PNS0_10empty_typeENS0_5tupleIJS8_S9_EEENSB_IJS8_SA_EEENS0_18inequality_wrapperIZN2at6native12_GLOBAL__N_124unique_dim_cuda_templateIN3c108BFloat16EEESt5tupleIJNSF_6TensorESM_SM_EERKSM_lbbbEUlllE0_EEPmJS9_EEE10hipError_tPvRmT3_T4_T5_T6_T7_T9_mT8_P12ihipStream_tbDpT10_ENKUlT_T0_E_clISt17integral_constantIbLb0EES1B_IbLb1EEEEDaS17_S18_EUlS17_E_NS1_11comp_targetILNS1_3genE9ELNS1_11target_archE1100ELNS1_3gpuE3ELNS1_3repE0EEENS1_30default_config_static_selectorELNS0_4arch9wavefront6targetE1EEEvT1_
		.amdhsa_group_segment_fixed_size 0
		.amdhsa_private_segment_fixed_size 0
		.amdhsa_kernarg_size 136
		.amdhsa_user_sgpr_count 6
		.amdhsa_user_sgpr_private_segment_buffer 1
		.amdhsa_user_sgpr_dispatch_ptr 0
		.amdhsa_user_sgpr_queue_ptr 0
		.amdhsa_user_sgpr_kernarg_segment_ptr 1
		.amdhsa_user_sgpr_dispatch_id 0
		.amdhsa_user_sgpr_flat_scratch_init 0
		.amdhsa_user_sgpr_kernarg_preload_length 0
		.amdhsa_user_sgpr_kernarg_preload_offset 0
		.amdhsa_user_sgpr_private_segment_size 0
		.amdhsa_uses_dynamic_stack 0
		.amdhsa_system_sgpr_private_segment_wavefront_offset 0
		.amdhsa_system_sgpr_workgroup_id_x 1
		.amdhsa_system_sgpr_workgroup_id_y 0
		.amdhsa_system_sgpr_workgroup_id_z 0
		.amdhsa_system_sgpr_workgroup_info 0
		.amdhsa_system_vgpr_workitem_id 0
		.amdhsa_next_free_vgpr 1
		.amdhsa_next_free_sgpr 0
		.amdhsa_accum_offset 4
		.amdhsa_reserve_vcc 0
		.amdhsa_reserve_flat_scratch 0
		.amdhsa_float_round_mode_32 0
		.amdhsa_float_round_mode_16_64 0
		.amdhsa_float_denorm_mode_32 3
		.amdhsa_float_denorm_mode_16_64 3
		.amdhsa_dx10_clamp 1
		.amdhsa_ieee_mode 1
		.amdhsa_fp16_overflow 0
		.amdhsa_tg_split 0
		.amdhsa_exception_fp_ieee_invalid_op 0
		.amdhsa_exception_fp_denorm_src 0
		.amdhsa_exception_fp_ieee_div_zero 0
		.amdhsa_exception_fp_ieee_overflow 0
		.amdhsa_exception_fp_ieee_underflow 0
		.amdhsa_exception_fp_ieee_inexact 0
		.amdhsa_exception_int_div_zero 0
	.end_amdhsa_kernel
	.section	.text._ZN7rocprim17ROCPRIM_400000_NS6detail17trampoline_kernelINS0_14default_configENS1_25partition_config_selectorILNS1_17partition_subalgoE9EllbEEZZNS1_14partition_implILS5_9ELb0ES3_jPlS8_PNS0_10empty_typeENS0_5tupleIJS8_S9_EEENSB_IJS8_SA_EEENS0_18inequality_wrapperIZN2at6native12_GLOBAL__N_124unique_dim_cuda_templateIN3c108BFloat16EEESt5tupleIJNSF_6TensorESM_SM_EERKSM_lbbbEUlllE0_EEPmJS9_EEE10hipError_tPvRmT3_T4_T5_T6_T7_T9_mT8_P12ihipStream_tbDpT10_ENKUlT_T0_E_clISt17integral_constantIbLb0EES1B_IbLb1EEEEDaS17_S18_EUlS17_E_NS1_11comp_targetILNS1_3genE9ELNS1_11target_archE1100ELNS1_3gpuE3ELNS1_3repE0EEENS1_30default_config_static_selectorELNS0_4arch9wavefront6targetE1EEEvT1_,"axG",@progbits,_ZN7rocprim17ROCPRIM_400000_NS6detail17trampoline_kernelINS0_14default_configENS1_25partition_config_selectorILNS1_17partition_subalgoE9EllbEEZZNS1_14partition_implILS5_9ELb0ES3_jPlS8_PNS0_10empty_typeENS0_5tupleIJS8_S9_EEENSB_IJS8_SA_EEENS0_18inequality_wrapperIZN2at6native12_GLOBAL__N_124unique_dim_cuda_templateIN3c108BFloat16EEESt5tupleIJNSF_6TensorESM_SM_EERKSM_lbbbEUlllE0_EEPmJS9_EEE10hipError_tPvRmT3_T4_T5_T6_T7_T9_mT8_P12ihipStream_tbDpT10_ENKUlT_T0_E_clISt17integral_constantIbLb0EES1B_IbLb1EEEEDaS17_S18_EUlS17_E_NS1_11comp_targetILNS1_3genE9ELNS1_11target_archE1100ELNS1_3gpuE3ELNS1_3repE0EEENS1_30default_config_static_selectorELNS0_4arch9wavefront6targetE1EEEvT1_,comdat
.Lfunc_end1235:
	.size	_ZN7rocprim17ROCPRIM_400000_NS6detail17trampoline_kernelINS0_14default_configENS1_25partition_config_selectorILNS1_17partition_subalgoE9EllbEEZZNS1_14partition_implILS5_9ELb0ES3_jPlS8_PNS0_10empty_typeENS0_5tupleIJS8_S9_EEENSB_IJS8_SA_EEENS0_18inequality_wrapperIZN2at6native12_GLOBAL__N_124unique_dim_cuda_templateIN3c108BFloat16EEESt5tupleIJNSF_6TensorESM_SM_EERKSM_lbbbEUlllE0_EEPmJS9_EEE10hipError_tPvRmT3_T4_T5_T6_T7_T9_mT8_P12ihipStream_tbDpT10_ENKUlT_T0_E_clISt17integral_constantIbLb0EES1B_IbLb1EEEEDaS17_S18_EUlS17_E_NS1_11comp_targetILNS1_3genE9ELNS1_11target_archE1100ELNS1_3gpuE3ELNS1_3repE0EEENS1_30default_config_static_selectorELNS0_4arch9wavefront6targetE1EEEvT1_, .Lfunc_end1235-_ZN7rocprim17ROCPRIM_400000_NS6detail17trampoline_kernelINS0_14default_configENS1_25partition_config_selectorILNS1_17partition_subalgoE9EllbEEZZNS1_14partition_implILS5_9ELb0ES3_jPlS8_PNS0_10empty_typeENS0_5tupleIJS8_S9_EEENSB_IJS8_SA_EEENS0_18inequality_wrapperIZN2at6native12_GLOBAL__N_124unique_dim_cuda_templateIN3c108BFloat16EEESt5tupleIJNSF_6TensorESM_SM_EERKSM_lbbbEUlllE0_EEPmJS9_EEE10hipError_tPvRmT3_T4_T5_T6_T7_T9_mT8_P12ihipStream_tbDpT10_ENKUlT_T0_E_clISt17integral_constantIbLb0EES1B_IbLb1EEEEDaS17_S18_EUlS17_E_NS1_11comp_targetILNS1_3genE9ELNS1_11target_archE1100ELNS1_3gpuE3ELNS1_3repE0EEENS1_30default_config_static_selectorELNS0_4arch9wavefront6targetE1EEEvT1_
                                        ; -- End function
	.section	.AMDGPU.csdata,"",@progbits
; Kernel info:
; codeLenInByte = 0
; NumSgprs: 4
; NumVgprs: 0
; NumAgprs: 0
; TotalNumVgprs: 0
; ScratchSize: 0
; MemoryBound: 0
; FloatMode: 240
; IeeeMode: 1
; LDSByteSize: 0 bytes/workgroup (compile time only)
; SGPRBlocks: 0
; VGPRBlocks: 0
; NumSGPRsForWavesPerEU: 4
; NumVGPRsForWavesPerEU: 1
; AccumOffset: 4
; Occupancy: 8
; WaveLimiterHint : 0
; COMPUTE_PGM_RSRC2:SCRATCH_EN: 0
; COMPUTE_PGM_RSRC2:USER_SGPR: 6
; COMPUTE_PGM_RSRC2:TRAP_HANDLER: 0
; COMPUTE_PGM_RSRC2:TGID_X_EN: 1
; COMPUTE_PGM_RSRC2:TGID_Y_EN: 0
; COMPUTE_PGM_RSRC2:TGID_Z_EN: 0
; COMPUTE_PGM_RSRC2:TIDIG_COMP_CNT: 0
; COMPUTE_PGM_RSRC3_GFX90A:ACCUM_OFFSET: 0
; COMPUTE_PGM_RSRC3_GFX90A:TG_SPLIT: 0
	.section	.text._ZN7rocprim17ROCPRIM_400000_NS6detail17trampoline_kernelINS0_14default_configENS1_25partition_config_selectorILNS1_17partition_subalgoE9EllbEEZZNS1_14partition_implILS5_9ELb0ES3_jPlS8_PNS0_10empty_typeENS0_5tupleIJS8_S9_EEENSB_IJS8_SA_EEENS0_18inequality_wrapperIZN2at6native12_GLOBAL__N_124unique_dim_cuda_templateIN3c108BFloat16EEESt5tupleIJNSF_6TensorESM_SM_EERKSM_lbbbEUlllE0_EEPmJS9_EEE10hipError_tPvRmT3_T4_T5_T6_T7_T9_mT8_P12ihipStream_tbDpT10_ENKUlT_T0_E_clISt17integral_constantIbLb0EES1B_IbLb1EEEEDaS17_S18_EUlS17_E_NS1_11comp_targetILNS1_3genE8ELNS1_11target_archE1030ELNS1_3gpuE2ELNS1_3repE0EEENS1_30default_config_static_selectorELNS0_4arch9wavefront6targetE1EEEvT1_,"axG",@progbits,_ZN7rocprim17ROCPRIM_400000_NS6detail17trampoline_kernelINS0_14default_configENS1_25partition_config_selectorILNS1_17partition_subalgoE9EllbEEZZNS1_14partition_implILS5_9ELb0ES3_jPlS8_PNS0_10empty_typeENS0_5tupleIJS8_S9_EEENSB_IJS8_SA_EEENS0_18inequality_wrapperIZN2at6native12_GLOBAL__N_124unique_dim_cuda_templateIN3c108BFloat16EEESt5tupleIJNSF_6TensorESM_SM_EERKSM_lbbbEUlllE0_EEPmJS9_EEE10hipError_tPvRmT3_T4_T5_T6_T7_T9_mT8_P12ihipStream_tbDpT10_ENKUlT_T0_E_clISt17integral_constantIbLb0EES1B_IbLb1EEEEDaS17_S18_EUlS17_E_NS1_11comp_targetILNS1_3genE8ELNS1_11target_archE1030ELNS1_3gpuE2ELNS1_3repE0EEENS1_30default_config_static_selectorELNS0_4arch9wavefront6targetE1EEEvT1_,comdat
	.globl	_ZN7rocprim17ROCPRIM_400000_NS6detail17trampoline_kernelINS0_14default_configENS1_25partition_config_selectorILNS1_17partition_subalgoE9EllbEEZZNS1_14partition_implILS5_9ELb0ES3_jPlS8_PNS0_10empty_typeENS0_5tupleIJS8_S9_EEENSB_IJS8_SA_EEENS0_18inequality_wrapperIZN2at6native12_GLOBAL__N_124unique_dim_cuda_templateIN3c108BFloat16EEESt5tupleIJNSF_6TensorESM_SM_EERKSM_lbbbEUlllE0_EEPmJS9_EEE10hipError_tPvRmT3_T4_T5_T6_T7_T9_mT8_P12ihipStream_tbDpT10_ENKUlT_T0_E_clISt17integral_constantIbLb0EES1B_IbLb1EEEEDaS17_S18_EUlS17_E_NS1_11comp_targetILNS1_3genE8ELNS1_11target_archE1030ELNS1_3gpuE2ELNS1_3repE0EEENS1_30default_config_static_selectorELNS0_4arch9wavefront6targetE1EEEvT1_ ; -- Begin function _ZN7rocprim17ROCPRIM_400000_NS6detail17trampoline_kernelINS0_14default_configENS1_25partition_config_selectorILNS1_17partition_subalgoE9EllbEEZZNS1_14partition_implILS5_9ELb0ES3_jPlS8_PNS0_10empty_typeENS0_5tupleIJS8_S9_EEENSB_IJS8_SA_EEENS0_18inequality_wrapperIZN2at6native12_GLOBAL__N_124unique_dim_cuda_templateIN3c108BFloat16EEESt5tupleIJNSF_6TensorESM_SM_EERKSM_lbbbEUlllE0_EEPmJS9_EEE10hipError_tPvRmT3_T4_T5_T6_T7_T9_mT8_P12ihipStream_tbDpT10_ENKUlT_T0_E_clISt17integral_constantIbLb0EES1B_IbLb1EEEEDaS17_S18_EUlS17_E_NS1_11comp_targetILNS1_3genE8ELNS1_11target_archE1030ELNS1_3gpuE2ELNS1_3repE0EEENS1_30default_config_static_selectorELNS0_4arch9wavefront6targetE1EEEvT1_
	.p2align	8
	.type	_ZN7rocprim17ROCPRIM_400000_NS6detail17trampoline_kernelINS0_14default_configENS1_25partition_config_selectorILNS1_17partition_subalgoE9EllbEEZZNS1_14partition_implILS5_9ELb0ES3_jPlS8_PNS0_10empty_typeENS0_5tupleIJS8_S9_EEENSB_IJS8_SA_EEENS0_18inequality_wrapperIZN2at6native12_GLOBAL__N_124unique_dim_cuda_templateIN3c108BFloat16EEESt5tupleIJNSF_6TensorESM_SM_EERKSM_lbbbEUlllE0_EEPmJS9_EEE10hipError_tPvRmT3_T4_T5_T6_T7_T9_mT8_P12ihipStream_tbDpT10_ENKUlT_T0_E_clISt17integral_constantIbLb0EES1B_IbLb1EEEEDaS17_S18_EUlS17_E_NS1_11comp_targetILNS1_3genE8ELNS1_11target_archE1030ELNS1_3gpuE2ELNS1_3repE0EEENS1_30default_config_static_selectorELNS0_4arch9wavefront6targetE1EEEvT1_,@function
_ZN7rocprim17ROCPRIM_400000_NS6detail17trampoline_kernelINS0_14default_configENS1_25partition_config_selectorILNS1_17partition_subalgoE9EllbEEZZNS1_14partition_implILS5_9ELb0ES3_jPlS8_PNS0_10empty_typeENS0_5tupleIJS8_S9_EEENSB_IJS8_SA_EEENS0_18inequality_wrapperIZN2at6native12_GLOBAL__N_124unique_dim_cuda_templateIN3c108BFloat16EEESt5tupleIJNSF_6TensorESM_SM_EERKSM_lbbbEUlllE0_EEPmJS9_EEE10hipError_tPvRmT3_T4_T5_T6_T7_T9_mT8_P12ihipStream_tbDpT10_ENKUlT_T0_E_clISt17integral_constantIbLb0EES1B_IbLb1EEEEDaS17_S18_EUlS17_E_NS1_11comp_targetILNS1_3genE8ELNS1_11target_archE1030ELNS1_3gpuE2ELNS1_3repE0EEENS1_30default_config_static_selectorELNS0_4arch9wavefront6targetE1EEEvT1_: ; @_ZN7rocprim17ROCPRIM_400000_NS6detail17trampoline_kernelINS0_14default_configENS1_25partition_config_selectorILNS1_17partition_subalgoE9EllbEEZZNS1_14partition_implILS5_9ELb0ES3_jPlS8_PNS0_10empty_typeENS0_5tupleIJS8_S9_EEENSB_IJS8_SA_EEENS0_18inequality_wrapperIZN2at6native12_GLOBAL__N_124unique_dim_cuda_templateIN3c108BFloat16EEESt5tupleIJNSF_6TensorESM_SM_EERKSM_lbbbEUlllE0_EEPmJS9_EEE10hipError_tPvRmT3_T4_T5_T6_T7_T9_mT8_P12ihipStream_tbDpT10_ENKUlT_T0_E_clISt17integral_constantIbLb0EES1B_IbLb1EEEEDaS17_S18_EUlS17_E_NS1_11comp_targetILNS1_3genE8ELNS1_11target_archE1030ELNS1_3gpuE2ELNS1_3repE0EEENS1_30default_config_static_selectorELNS0_4arch9wavefront6targetE1EEEvT1_
; %bb.0:
	.section	.rodata,"a",@progbits
	.p2align	6, 0x0
	.amdhsa_kernel _ZN7rocprim17ROCPRIM_400000_NS6detail17trampoline_kernelINS0_14default_configENS1_25partition_config_selectorILNS1_17partition_subalgoE9EllbEEZZNS1_14partition_implILS5_9ELb0ES3_jPlS8_PNS0_10empty_typeENS0_5tupleIJS8_S9_EEENSB_IJS8_SA_EEENS0_18inequality_wrapperIZN2at6native12_GLOBAL__N_124unique_dim_cuda_templateIN3c108BFloat16EEESt5tupleIJNSF_6TensorESM_SM_EERKSM_lbbbEUlllE0_EEPmJS9_EEE10hipError_tPvRmT3_T4_T5_T6_T7_T9_mT8_P12ihipStream_tbDpT10_ENKUlT_T0_E_clISt17integral_constantIbLb0EES1B_IbLb1EEEEDaS17_S18_EUlS17_E_NS1_11comp_targetILNS1_3genE8ELNS1_11target_archE1030ELNS1_3gpuE2ELNS1_3repE0EEENS1_30default_config_static_selectorELNS0_4arch9wavefront6targetE1EEEvT1_
		.amdhsa_group_segment_fixed_size 0
		.amdhsa_private_segment_fixed_size 0
		.amdhsa_kernarg_size 136
		.amdhsa_user_sgpr_count 6
		.amdhsa_user_sgpr_private_segment_buffer 1
		.amdhsa_user_sgpr_dispatch_ptr 0
		.amdhsa_user_sgpr_queue_ptr 0
		.amdhsa_user_sgpr_kernarg_segment_ptr 1
		.amdhsa_user_sgpr_dispatch_id 0
		.amdhsa_user_sgpr_flat_scratch_init 0
		.amdhsa_user_sgpr_kernarg_preload_length 0
		.amdhsa_user_sgpr_kernarg_preload_offset 0
		.amdhsa_user_sgpr_private_segment_size 0
		.amdhsa_uses_dynamic_stack 0
		.amdhsa_system_sgpr_private_segment_wavefront_offset 0
		.amdhsa_system_sgpr_workgroup_id_x 1
		.amdhsa_system_sgpr_workgroup_id_y 0
		.amdhsa_system_sgpr_workgroup_id_z 0
		.amdhsa_system_sgpr_workgroup_info 0
		.amdhsa_system_vgpr_workitem_id 0
		.amdhsa_next_free_vgpr 1
		.amdhsa_next_free_sgpr 0
		.amdhsa_accum_offset 4
		.amdhsa_reserve_vcc 0
		.amdhsa_reserve_flat_scratch 0
		.amdhsa_float_round_mode_32 0
		.amdhsa_float_round_mode_16_64 0
		.amdhsa_float_denorm_mode_32 3
		.amdhsa_float_denorm_mode_16_64 3
		.amdhsa_dx10_clamp 1
		.amdhsa_ieee_mode 1
		.amdhsa_fp16_overflow 0
		.amdhsa_tg_split 0
		.amdhsa_exception_fp_ieee_invalid_op 0
		.amdhsa_exception_fp_denorm_src 0
		.amdhsa_exception_fp_ieee_div_zero 0
		.amdhsa_exception_fp_ieee_overflow 0
		.amdhsa_exception_fp_ieee_underflow 0
		.amdhsa_exception_fp_ieee_inexact 0
		.amdhsa_exception_int_div_zero 0
	.end_amdhsa_kernel
	.section	.text._ZN7rocprim17ROCPRIM_400000_NS6detail17trampoline_kernelINS0_14default_configENS1_25partition_config_selectorILNS1_17partition_subalgoE9EllbEEZZNS1_14partition_implILS5_9ELb0ES3_jPlS8_PNS0_10empty_typeENS0_5tupleIJS8_S9_EEENSB_IJS8_SA_EEENS0_18inequality_wrapperIZN2at6native12_GLOBAL__N_124unique_dim_cuda_templateIN3c108BFloat16EEESt5tupleIJNSF_6TensorESM_SM_EERKSM_lbbbEUlllE0_EEPmJS9_EEE10hipError_tPvRmT3_T4_T5_T6_T7_T9_mT8_P12ihipStream_tbDpT10_ENKUlT_T0_E_clISt17integral_constantIbLb0EES1B_IbLb1EEEEDaS17_S18_EUlS17_E_NS1_11comp_targetILNS1_3genE8ELNS1_11target_archE1030ELNS1_3gpuE2ELNS1_3repE0EEENS1_30default_config_static_selectorELNS0_4arch9wavefront6targetE1EEEvT1_,"axG",@progbits,_ZN7rocprim17ROCPRIM_400000_NS6detail17trampoline_kernelINS0_14default_configENS1_25partition_config_selectorILNS1_17partition_subalgoE9EllbEEZZNS1_14partition_implILS5_9ELb0ES3_jPlS8_PNS0_10empty_typeENS0_5tupleIJS8_S9_EEENSB_IJS8_SA_EEENS0_18inequality_wrapperIZN2at6native12_GLOBAL__N_124unique_dim_cuda_templateIN3c108BFloat16EEESt5tupleIJNSF_6TensorESM_SM_EERKSM_lbbbEUlllE0_EEPmJS9_EEE10hipError_tPvRmT3_T4_T5_T6_T7_T9_mT8_P12ihipStream_tbDpT10_ENKUlT_T0_E_clISt17integral_constantIbLb0EES1B_IbLb1EEEEDaS17_S18_EUlS17_E_NS1_11comp_targetILNS1_3genE8ELNS1_11target_archE1030ELNS1_3gpuE2ELNS1_3repE0EEENS1_30default_config_static_selectorELNS0_4arch9wavefront6targetE1EEEvT1_,comdat
.Lfunc_end1236:
	.size	_ZN7rocprim17ROCPRIM_400000_NS6detail17trampoline_kernelINS0_14default_configENS1_25partition_config_selectorILNS1_17partition_subalgoE9EllbEEZZNS1_14partition_implILS5_9ELb0ES3_jPlS8_PNS0_10empty_typeENS0_5tupleIJS8_S9_EEENSB_IJS8_SA_EEENS0_18inequality_wrapperIZN2at6native12_GLOBAL__N_124unique_dim_cuda_templateIN3c108BFloat16EEESt5tupleIJNSF_6TensorESM_SM_EERKSM_lbbbEUlllE0_EEPmJS9_EEE10hipError_tPvRmT3_T4_T5_T6_T7_T9_mT8_P12ihipStream_tbDpT10_ENKUlT_T0_E_clISt17integral_constantIbLb0EES1B_IbLb1EEEEDaS17_S18_EUlS17_E_NS1_11comp_targetILNS1_3genE8ELNS1_11target_archE1030ELNS1_3gpuE2ELNS1_3repE0EEENS1_30default_config_static_selectorELNS0_4arch9wavefront6targetE1EEEvT1_, .Lfunc_end1236-_ZN7rocprim17ROCPRIM_400000_NS6detail17trampoline_kernelINS0_14default_configENS1_25partition_config_selectorILNS1_17partition_subalgoE9EllbEEZZNS1_14partition_implILS5_9ELb0ES3_jPlS8_PNS0_10empty_typeENS0_5tupleIJS8_S9_EEENSB_IJS8_SA_EEENS0_18inequality_wrapperIZN2at6native12_GLOBAL__N_124unique_dim_cuda_templateIN3c108BFloat16EEESt5tupleIJNSF_6TensorESM_SM_EERKSM_lbbbEUlllE0_EEPmJS9_EEE10hipError_tPvRmT3_T4_T5_T6_T7_T9_mT8_P12ihipStream_tbDpT10_ENKUlT_T0_E_clISt17integral_constantIbLb0EES1B_IbLb1EEEEDaS17_S18_EUlS17_E_NS1_11comp_targetILNS1_3genE8ELNS1_11target_archE1030ELNS1_3gpuE2ELNS1_3repE0EEENS1_30default_config_static_selectorELNS0_4arch9wavefront6targetE1EEEvT1_
                                        ; -- End function
	.section	.AMDGPU.csdata,"",@progbits
; Kernel info:
; codeLenInByte = 0
; NumSgprs: 4
; NumVgprs: 0
; NumAgprs: 0
; TotalNumVgprs: 0
; ScratchSize: 0
; MemoryBound: 0
; FloatMode: 240
; IeeeMode: 1
; LDSByteSize: 0 bytes/workgroup (compile time only)
; SGPRBlocks: 0
; VGPRBlocks: 0
; NumSGPRsForWavesPerEU: 4
; NumVGPRsForWavesPerEU: 1
; AccumOffset: 4
; Occupancy: 8
; WaveLimiterHint : 0
; COMPUTE_PGM_RSRC2:SCRATCH_EN: 0
; COMPUTE_PGM_RSRC2:USER_SGPR: 6
; COMPUTE_PGM_RSRC2:TRAP_HANDLER: 0
; COMPUTE_PGM_RSRC2:TGID_X_EN: 1
; COMPUTE_PGM_RSRC2:TGID_Y_EN: 0
; COMPUTE_PGM_RSRC2:TGID_Z_EN: 0
; COMPUTE_PGM_RSRC2:TIDIG_COMP_CNT: 0
; COMPUTE_PGM_RSRC3_GFX90A:ACCUM_OFFSET: 0
; COMPUTE_PGM_RSRC3_GFX90A:TG_SPLIT: 0
	.section	.text._ZN7rocprim17ROCPRIM_400000_NS6detail17trampoline_kernelINS0_14default_configENS1_37merge_sort_block_sort_config_selectorIlNS0_10empty_typeEEEZNS1_21merge_sort_block_sortIS3_PlS8_PS5_S9_ZN2at6native12_GLOBAL__N_124unique_dim_cuda_templateIN3c104HalfEEESt5tupleIJNSA_6TensorESH_SH_EERKSH_lbbbEUlllE_EE10hipError_tT0_T1_T2_T3_mRjT4_P12ihipStream_tbNS1_7vsmem_tEEUlT_E_NS1_11comp_targetILNS1_3genE0ELNS1_11target_archE4294967295ELNS1_3gpuE0ELNS1_3repE0EEENS1_30default_config_static_selectorELNS0_4arch9wavefront6targetE1EEEvSO_,"axG",@progbits,_ZN7rocprim17ROCPRIM_400000_NS6detail17trampoline_kernelINS0_14default_configENS1_37merge_sort_block_sort_config_selectorIlNS0_10empty_typeEEEZNS1_21merge_sort_block_sortIS3_PlS8_PS5_S9_ZN2at6native12_GLOBAL__N_124unique_dim_cuda_templateIN3c104HalfEEESt5tupleIJNSA_6TensorESH_SH_EERKSH_lbbbEUlllE_EE10hipError_tT0_T1_T2_T3_mRjT4_P12ihipStream_tbNS1_7vsmem_tEEUlT_E_NS1_11comp_targetILNS1_3genE0ELNS1_11target_archE4294967295ELNS1_3gpuE0ELNS1_3repE0EEENS1_30default_config_static_selectorELNS0_4arch9wavefront6targetE1EEEvSO_,comdat
	.globl	_ZN7rocprim17ROCPRIM_400000_NS6detail17trampoline_kernelINS0_14default_configENS1_37merge_sort_block_sort_config_selectorIlNS0_10empty_typeEEEZNS1_21merge_sort_block_sortIS3_PlS8_PS5_S9_ZN2at6native12_GLOBAL__N_124unique_dim_cuda_templateIN3c104HalfEEESt5tupleIJNSA_6TensorESH_SH_EERKSH_lbbbEUlllE_EE10hipError_tT0_T1_T2_T3_mRjT4_P12ihipStream_tbNS1_7vsmem_tEEUlT_E_NS1_11comp_targetILNS1_3genE0ELNS1_11target_archE4294967295ELNS1_3gpuE0ELNS1_3repE0EEENS1_30default_config_static_selectorELNS0_4arch9wavefront6targetE1EEEvSO_ ; -- Begin function _ZN7rocprim17ROCPRIM_400000_NS6detail17trampoline_kernelINS0_14default_configENS1_37merge_sort_block_sort_config_selectorIlNS0_10empty_typeEEEZNS1_21merge_sort_block_sortIS3_PlS8_PS5_S9_ZN2at6native12_GLOBAL__N_124unique_dim_cuda_templateIN3c104HalfEEESt5tupleIJNSA_6TensorESH_SH_EERKSH_lbbbEUlllE_EE10hipError_tT0_T1_T2_T3_mRjT4_P12ihipStream_tbNS1_7vsmem_tEEUlT_E_NS1_11comp_targetILNS1_3genE0ELNS1_11target_archE4294967295ELNS1_3gpuE0ELNS1_3repE0EEENS1_30default_config_static_selectorELNS0_4arch9wavefront6targetE1EEEvSO_
	.p2align	8
	.type	_ZN7rocprim17ROCPRIM_400000_NS6detail17trampoline_kernelINS0_14default_configENS1_37merge_sort_block_sort_config_selectorIlNS0_10empty_typeEEEZNS1_21merge_sort_block_sortIS3_PlS8_PS5_S9_ZN2at6native12_GLOBAL__N_124unique_dim_cuda_templateIN3c104HalfEEESt5tupleIJNSA_6TensorESH_SH_EERKSH_lbbbEUlllE_EE10hipError_tT0_T1_T2_T3_mRjT4_P12ihipStream_tbNS1_7vsmem_tEEUlT_E_NS1_11comp_targetILNS1_3genE0ELNS1_11target_archE4294967295ELNS1_3gpuE0ELNS1_3repE0EEENS1_30default_config_static_selectorELNS0_4arch9wavefront6targetE1EEEvSO_,@function
_ZN7rocprim17ROCPRIM_400000_NS6detail17trampoline_kernelINS0_14default_configENS1_37merge_sort_block_sort_config_selectorIlNS0_10empty_typeEEEZNS1_21merge_sort_block_sortIS3_PlS8_PS5_S9_ZN2at6native12_GLOBAL__N_124unique_dim_cuda_templateIN3c104HalfEEESt5tupleIJNSA_6TensorESH_SH_EERKSH_lbbbEUlllE_EE10hipError_tT0_T1_T2_T3_mRjT4_P12ihipStream_tbNS1_7vsmem_tEEUlT_E_NS1_11comp_targetILNS1_3genE0ELNS1_11target_archE4294967295ELNS1_3gpuE0ELNS1_3repE0EEENS1_30default_config_static_selectorELNS0_4arch9wavefront6targetE1EEEvSO_: ; @_ZN7rocprim17ROCPRIM_400000_NS6detail17trampoline_kernelINS0_14default_configENS1_37merge_sort_block_sort_config_selectorIlNS0_10empty_typeEEEZNS1_21merge_sort_block_sortIS3_PlS8_PS5_S9_ZN2at6native12_GLOBAL__N_124unique_dim_cuda_templateIN3c104HalfEEESt5tupleIJNSA_6TensorESH_SH_EERKSH_lbbbEUlllE_EE10hipError_tT0_T1_T2_T3_mRjT4_P12ihipStream_tbNS1_7vsmem_tEEUlT_E_NS1_11comp_targetILNS1_3genE0ELNS1_11target_archE4294967295ELNS1_3gpuE0ELNS1_3repE0EEENS1_30default_config_static_selectorELNS0_4arch9wavefront6targetE1EEEvSO_
; %bb.0:
	.section	.rodata,"a",@progbits
	.p2align	6, 0x0
	.amdhsa_kernel _ZN7rocprim17ROCPRIM_400000_NS6detail17trampoline_kernelINS0_14default_configENS1_37merge_sort_block_sort_config_selectorIlNS0_10empty_typeEEEZNS1_21merge_sort_block_sortIS3_PlS8_PS5_S9_ZN2at6native12_GLOBAL__N_124unique_dim_cuda_templateIN3c104HalfEEESt5tupleIJNSA_6TensorESH_SH_EERKSH_lbbbEUlllE_EE10hipError_tT0_T1_T2_T3_mRjT4_P12ihipStream_tbNS1_7vsmem_tEEUlT_E_NS1_11comp_targetILNS1_3genE0ELNS1_11target_archE4294967295ELNS1_3gpuE0ELNS1_3repE0EEENS1_30default_config_static_selectorELNS0_4arch9wavefront6targetE1EEEvSO_
		.amdhsa_group_segment_fixed_size 0
		.amdhsa_private_segment_fixed_size 0
		.amdhsa_kernarg_size 72
		.amdhsa_user_sgpr_count 6
		.amdhsa_user_sgpr_private_segment_buffer 1
		.amdhsa_user_sgpr_dispatch_ptr 0
		.amdhsa_user_sgpr_queue_ptr 0
		.amdhsa_user_sgpr_kernarg_segment_ptr 1
		.amdhsa_user_sgpr_dispatch_id 0
		.amdhsa_user_sgpr_flat_scratch_init 0
		.amdhsa_user_sgpr_kernarg_preload_length 0
		.amdhsa_user_sgpr_kernarg_preload_offset 0
		.amdhsa_user_sgpr_private_segment_size 0
		.amdhsa_uses_dynamic_stack 0
		.amdhsa_system_sgpr_private_segment_wavefront_offset 0
		.amdhsa_system_sgpr_workgroup_id_x 1
		.amdhsa_system_sgpr_workgroup_id_y 0
		.amdhsa_system_sgpr_workgroup_id_z 0
		.amdhsa_system_sgpr_workgroup_info 0
		.amdhsa_system_vgpr_workitem_id 0
		.amdhsa_next_free_vgpr 1
		.amdhsa_next_free_sgpr 0
		.amdhsa_accum_offset 4
		.amdhsa_reserve_vcc 0
		.amdhsa_reserve_flat_scratch 0
		.amdhsa_float_round_mode_32 0
		.amdhsa_float_round_mode_16_64 0
		.amdhsa_float_denorm_mode_32 3
		.amdhsa_float_denorm_mode_16_64 3
		.amdhsa_dx10_clamp 1
		.amdhsa_ieee_mode 1
		.amdhsa_fp16_overflow 0
		.amdhsa_tg_split 0
		.amdhsa_exception_fp_ieee_invalid_op 0
		.amdhsa_exception_fp_denorm_src 0
		.amdhsa_exception_fp_ieee_div_zero 0
		.amdhsa_exception_fp_ieee_overflow 0
		.amdhsa_exception_fp_ieee_underflow 0
		.amdhsa_exception_fp_ieee_inexact 0
		.amdhsa_exception_int_div_zero 0
	.end_amdhsa_kernel
	.section	.text._ZN7rocprim17ROCPRIM_400000_NS6detail17trampoline_kernelINS0_14default_configENS1_37merge_sort_block_sort_config_selectorIlNS0_10empty_typeEEEZNS1_21merge_sort_block_sortIS3_PlS8_PS5_S9_ZN2at6native12_GLOBAL__N_124unique_dim_cuda_templateIN3c104HalfEEESt5tupleIJNSA_6TensorESH_SH_EERKSH_lbbbEUlllE_EE10hipError_tT0_T1_T2_T3_mRjT4_P12ihipStream_tbNS1_7vsmem_tEEUlT_E_NS1_11comp_targetILNS1_3genE0ELNS1_11target_archE4294967295ELNS1_3gpuE0ELNS1_3repE0EEENS1_30default_config_static_selectorELNS0_4arch9wavefront6targetE1EEEvSO_,"axG",@progbits,_ZN7rocprim17ROCPRIM_400000_NS6detail17trampoline_kernelINS0_14default_configENS1_37merge_sort_block_sort_config_selectorIlNS0_10empty_typeEEEZNS1_21merge_sort_block_sortIS3_PlS8_PS5_S9_ZN2at6native12_GLOBAL__N_124unique_dim_cuda_templateIN3c104HalfEEESt5tupleIJNSA_6TensorESH_SH_EERKSH_lbbbEUlllE_EE10hipError_tT0_T1_T2_T3_mRjT4_P12ihipStream_tbNS1_7vsmem_tEEUlT_E_NS1_11comp_targetILNS1_3genE0ELNS1_11target_archE4294967295ELNS1_3gpuE0ELNS1_3repE0EEENS1_30default_config_static_selectorELNS0_4arch9wavefront6targetE1EEEvSO_,comdat
.Lfunc_end1237:
	.size	_ZN7rocprim17ROCPRIM_400000_NS6detail17trampoline_kernelINS0_14default_configENS1_37merge_sort_block_sort_config_selectorIlNS0_10empty_typeEEEZNS1_21merge_sort_block_sortIS3_PlS8_PS5_S9_ZN2at6native12_GLOBAL__N_124unique_dim_cuda_templateIN3c104HalfEEESt5tupleIJNSA_6TensorESH_SH_EERKSH_lbbbEUlllE_EE10hipError_tT0_T1_T2_T3_mRjT4_P12ihipStream_tbNS1_7vsmem_tEEUlT_E_NS1_11comp_targetILNS1_3genE0ELNS1_11target_archE4294967295ELNS1_3gpuE0ELNS1_3repE0EEENS1_30default_config_static_selectorELNS0_4arch9wavefront6targetE1EEEvSO_, .Lfunc_end1237-_ZN7rocprim17ROCPRIM_400000_NS6detail17trampoline_kernelINS0_14default_configENS1_37merge_sort_block_sort_config_selectorIlNS0_10empty_typeEEEZNS1_21merge_sort_block_sortIS3_PlS8_PS5_S9_ZN2at6native12_GLOBAL__N_124unique_dim_cuda_templateIN3c104HalfEEESt5tupleIJNSA_6TensorESH_SH_EERKSH_lbbbEUlllE_EE10hipError_tT0_T1_T2_T3_mRjT4_P12ihipStream_tbNS1_7vsmem_tEEUlT_E_NS1_11comp_targetILNS1_3genE0ELNS1_11target_archE4294967295ELNS1_3gpuE0ELNS1_3repE0EEENS1_30default_config_static_selectorELNS0_4arch9wavefront6targetE1EEEvSO_
                                        ; -- End function
	.section	.AMDGPU.csdata,"",@progbits
; Kernel info:
; codeLenInByte = 0
; NumSgprs: 4
; NumVgprs: 0
; NumAgprs: 0
; TotalNumVgprs: 0
; ScratchSize: 0
; MemoryBound: 0
; FloatMode: 240
; IeeeMode: 1
; LDSByteSize: 0 bytes/workgroup (compile time only)
; SGPRBlocks: 0
; VGPRBlocks: 0
; NumSGPRsForWavesPerEU: 4
; NumVGPRsForWavesPerEU: 1
; AccumOffset: 4
; Occupancy: 8
; WaveLimiterHint : 0
; COMPUTE_PGM_RSRC2:SCRATCH_EN: 0
; COMPUTE_PGM_RSRC2:USER_SGPR: 6
; COMPUTE_PGM_RSRC2:TRAP_HANDLER: 0
; COMPUTE_PGM_RSRC2:TGID_X_EN: 1
; COMPUTE_PGM_RSRC2:TGID_Y_EN: 0
; COMPUTE_PGM_RSRC2:TGID_Z_EN: 0
; COMPUTE_PGM_RSRC2:TIDIG_COMP_CNT: 0
; COMPUTE_PGM_RSRC3_GFX90A:ACCUM_OFFSET: 0
; COMPUTE_PGM_RSRC3_GFX90A:TG_SPLIT: 0
	.section	.text._ZN7rocprim17ROCPRIM_400000_NS6detail17trampoline_kernelINS0_14default_configENS1_37merge_sort_block_sort_config_selectorIlNS0_10empty_typeEEEZNS1_21merge_sort_block_sortIS3_PlS8_PS5_S9_ZN2at6native12_GLOBAL__N_124unique_dim_cuda_templateIN3c104HalfEEESt5tupleIJNSA_6TensorESH_SH_EERKSH_lbbbEUlllE_EE10hipError_tT0_T1_T2_T3_mRjT4_P12ihipStream_tbNS1_7vsmem_tEEUlT_E_NS1_11comp_targetILNS1_3genE5ELNS1_11target_archE942ELNS1_3gpuE9ELNS1_3repE0EEENS1_30default_config_static_selectorELNS0_4arch9wavefront6targetE1EEEvSO_,"axG",@progbits,_ZN7rocprim17ROCPRIM_400000_NS6detail17trampoline_kernelINS0_14default_configENS1_37merge_sort_block_sort_config_selectorIlNS0_10empty_typeEEEZNS1_21merge_sort_block_sortIS3_PlS8_PS5_S9_ZN2at6native12_GLOBAL__N_124unique_dim_cuda_templateIN3c104HalfEEESt5tupleIJNSA_6TensorESH_SH_EERKSH_lbbbEUlllE_EE10hipError_tT0_T1_T2_T3_mRjT4_P12ihipStream_tbNS1_7vsmem_tEEUlT_E_NS1_11comp_targetILNS1_3genE5ELNS1_11target_archE942ELNS1_3gpuE9ELNS1_3repE0EEENS1_30default_config_static_selectorELNS0_4arch9wavefront6targetE1EEEvSO_,comdat
	.globl	_ZN7rocprim17ROCPRIM_400000_NS6detail17trampoline_kernelINS0_14default_configENS1_37merge_sort_block_sort_config_selectorIlNS0_10empty_typeEEEZNS1_21merge_sort_block_sortIS3_PlS8_PS5_S9_ZN2at6native12_GLOBAL__N_124unique_dim_cuda_templateIN3c104HalfEEESt5tupleIJNSA_6TensorESH_SH_EERKSH_lbbbEUlllE_EE10hipError_tT0_T1_T2_T3_mRjT4_P12ihipStream_tbNS1_7vsmem_tEEUlT_E_NS1_11comp_targetILNS1_3genE5ELNS1_11target_archE942ELNS1_3gpuE9ELNS1_3repE0EEENS1_30default_config_static_selectorELNS0_4arch9wavefront6targetE1EEEvSO_ ; -- Begin function _ZN7rocprim17ROCPRIM_400000_NS6detail17trampoline_kernelINS0_14default_configENS1_37merge_sort_block_sort_config_selectorIlNS0_10empty_typeEEEZNS1_21merge_sort_block_sortIS3_PlS8_PS5_S9_ZN2at6native12_GLOBAL__N_124unique_dim_cuda_templateIN3c104HalfEEESt5tupleIJNSA_6TensorESH_SH_EERKSH_lbbbEUlllE_EE10hipError_tT0_T1_T2_T3_mRjT4_P12ihipStream_tbNS1_7vsmem_tEEUlT_E_NS1_11comp_targetILNS1_3genE5ELNS1_11target_archE942ELNS1_3gpuE9ELNS1_3repE0EEENS1_30default_config_static_selectorELNS0_4arch9wavefront6targetE1EEEvSO_
	.p2align	8
	.type	_ZN7rocprim17ROCPRIM_400000_NS6detail17trampoline_kernelINS0_14default_configENS1_37merge_sort_block_sort_config_selectorIlNS0_10empty_typeEEEZNS1_21merge_sort_block_sortIS3_PlS8_PS5_S9_ZN2at6native12_GLOBAL__N_124unique_dim_cuda_templateIN3c104HalfEEESt5tupleIJNSA_6TensorESH_SH_EERKSH_lbbbEUlllE_EE10hipError_tT0_T1_T2_T3_mRjT4_P12ihipStream_tbNS1_7vsmem_tEEUlT_E_NS1_11comp_targetILNS1_3genE5ELNS1_11target_archE942ELNS1_3gpuE9ELNS1_3repE0EEENS1_30default_config_static_selectorELNS0_4arch9wavefront6targetE1EEEvSO_,@function
_ZN7rocprim17ROCPRIM_400000_NS6detail17trampoline_kernelINS0_14default_configENS1_37merge_sort_block_sort_config_selectorIlNS0_10empty_typeEEEZNS1_21merge_sort_block_sortIS3_PlS8_PS5_S9_ZN2at6native12_GLOBAL__N_124unique_dim_cuda_templateIN3c104HalfEEESt5tupleIJNSA_6TensorESH_SH_EERKSH_lbbbEUlllE_EE10hipError_tT0_T1_T2_T3_mRjT4_P12ihipStream_tbNS1_7vsmem_tEEUlT_E_NS1_11comp_targetILNS1_3genE5ELNS1_11target_archE942ELNS1_3gpuE9ELNS1_3repE0EEENS1_30default_config_static_selectorELNS0_4arch9wavefront6targetE1EEEvSO_: ; @_ZN7rocprim17ROCPRIM_400000_NS6detail17trampoline_kernelINS0_14default_configENS1_37merge_sort_block_sort_config_selectorIlNS0_10empty_typeEEEZNS1_21merge_sort_block_sortIS3_PlS8_PS5_S9_ZN2at6native12_GLOBAL__N_124unique_dim_cuda_templateIN3c104HalfEEESt5tupleIJNSA_6TensorESH_SH_EERKSH_lbbbEUlllE_EE10hipError_tT0_T1_T2_T3_mRjT4_P12ihipStream_tbNS1_7vsmem_tEEUlT_E_NS1_11comp_targetILNS1_3genE5ELNS1_11target_archE942ELNS1_3gpuE9ELNS1_3repE0EEENS1_30default_config_static_selectorELNS0_4arch9wavefront6targetE1EEEvSO_
; %bb.0:
	.section	.rodata,"a",@progbits
	.p2align	6, 0x0
	.amdhsa_kernel _ZN7rocprim17ROCPRIM_400000_NS6detail17trampoline_kernelINS0_14default_configENS1_37merge_sort_block_sort_config_selectorIlNS0_10empty_typeEEEZNS1_21merge_sort_block_sortIS3_PlS8_PS5_S9_ZN2at6native12_GLOBAL__N_124unique_dim_cuda_templateIN3c104HalfEEESt5tupleIJNSA_6TensorESH_SH_EERKSH_lbbbEUlllE_EE10hipError_tT0_T1_T2_T3_mRjT4_P12ihipStream_tbNS1_7vsmem_tEEUlT_E_NS1_11comp_targetILNS1_3genE5ELNS1_11target_archE942ELNS1_3gpuE9ELNS1_3repE0EEENS1_30default_config_static_selectorELNS0_4arch9wavefront6targetE1EEEvSO_
		.amdhsa_group_segment_fixed_size 0
		.amdhsa_private_segment_fixed_size 0
		.amdhsa_kernarg_size 72
		.amdhsa_user_sgpr_count 6
		.amdhsa_user_sgpr_private_segment_buffer 1
		.amdhsa_user_sgpr_dispatch_ptr 0
		.amdhsa_user_sgpr_queue_ptr 0
		.amdhsa_user_sgpr_kernarg_segment_ptr 1
		.amdhsa_user_sgpr_dispatch_id 0
		.amdhsa_user_sgpr_flat_scratch_init 0
		.amdhsa_user_sgpr_kernarg_preload_length 0
		.amdhsa_user_sgpr_kernarg_preload_offset 0
		.amdhsa_user_sgpr_private_segment_size 0
		.amdhsa_uses_dynamic_stack 0
		.amdhsa_system_sgpr_private_segment_wavefront_offset 0
		.amdhsa_system_sgpr_workgroup_id_x 1
		.amdhsa_system_sgpr_workgroup_id_y 0
		.amdhsa_system_sgpr_workgroup_id_z 0
		.amdhsa_system_sgpr_workgroup_info 0
		.amdhsa_system_vgpr_workitem_id 0
		.amdhsa_next_free_vgpr 1
		.amdhsa_next_free_sgpr 0
		.amdhsa_accum_offset 4
		.amdhsa_reserve_vcc 0
		.amdhsa_reserve_flat_scratch 0
		.amdhsa_float_round_mode_32 0
		.amdhsa_float_round_mode_16_64 0
		.amdhsa_float_denorm_mode_32 3
		.amdhsa_float_denorm_mode_16_64 3
		.amdhsa_dx10_clamp 1
		.amdhsa_ieee_mode 1
		.amdhsa_fp16_overflow 0
		.amdhsa_tg_split 0
		.amdhsa_exception_fp_ieee_invalid_op 0
		.amdhsa_exception_fp_denorm_src 0
		.amdhsa_exception_fp_ieee_div_zero 0
		.amdhsa_exception_fp_ieee_overflow 0
		.amdhsa_exception_fp_ieee_underflow 0
		.amdhsa_exception_fp_ieee_inexact 0
		.amdhsa_exception_int_div_zero 0
	.end_amdhsa_kernel
	.section	.text._ZN7rocprim17ROCPRIM_400000_NS6detail17trampoline_kernelINS0_14default_configENS1_37merge_sort_block_sort_config_selectorIlNS0_10empty_typeEEEZNS1_21merge_sort_block_sortIS3_PlS8_PS5_S9_ZN2at6native12_GLOBAL__N_124unique_dim_cuda_templateIN3c104HalfEEESt5tupleIJNSA_6TensorESH_SH_EERKSH_lbbbEUlllE_EE10hipError_tT0_T1_T2_T3_mRjT4_P12ihipStream_tbNS1_7vsmem_tEEUlT_E_NS1_11comp_targetILNS1_3genE5ELNS1_11target_archE942ELNS1_3gpuE9ELNS1_3repE0EEENS1_30default_config_static_selectorELNS0_4arch9wavefront6targetE1EEEvSO_,"axG",@progbits,_ZN7rocprim17ROCPRIM_400000_NS6detail17trampoline_kernelINS0_14default_configENS1_37merge_sort_block_sort_config_selectorIlNS0_10empty_typeEEEZNS1_21merge_sort_block_sortIS3_PlS8_PS5_S9_ZN2at6native12_GLOBAL__N_124unique_dim_cuda_templateIN3c104HalfEEESt5tupleIJNSA_6TensorESH_SH_EERKSH_lbbbEUlllE_EE10hipError_tT0_T1_T2_T3_mRjT4_P12ihipStream_tbNS1_7vsmem_tEEUlT_E_NS1_11comp_targetILNS1_3genE5ELNS1_11target_archE942ELNS1_3gpuE9ELNS1_3repE0EEENS1_30default_config_static_selectorELNS0_4arch9wavefront6targetE1EEEvSO_,comdat
.Lfunc_end1238:
	.size	_ZN7rocprim17ROCPRIM_400000_NS6detail17trampoline_kernelINS0_14default_configENS1_37merge_sort_block_sort_config_selectorIlNS0_10empty_typeEEEZNS1_21merge_sort_block_sortIS3_PlS8_PS5_S9_ZN2at6native12_GLOBAL__N_124unique_dim_cuda_templateIN3c104HalfEEESt5tupleIJNSA_6TensorESH_SH_EERKSH_lbbbEUlllE_EE10hipError_tT0_T1_T2_T3_mRjT4_P12ihipStream_tbNS1_7vsmem_tEEUlT_E_NS1_11comp_targetILNS1_3genE5ELNS1_11target_archE942ELNS1_3gpuE9ELNS1_3repE0EEENS1_30default_config_static_selectorELNS0_4arch9wavefront6targetE1EEEvSO_, .Lfunc_end1238-_ZN7rocprim17ROCPRIM_400000_NS6detail17trampoline_kernelINS0_14default_configENS1_37merge_sort_block_sort_config_selectorIlNS0_10empty_typeEEEZNS1_21merge_sort_block_sortIS3_PlS8_PS5_S9_ZN2at6native12_GLOBAL__N_124unique_dim_cuda_templateIN3c104HalfEEESt5tupleIJNSA_6TensorESH_SH_EERKSH_lbbbEUlllE_EE10hipError_tT0_T1_T2_T3_mRjT4_P12ihipStream_tbNS1_7vsmem_tEEUlT_E_NS1_11comp_targetILNS1_3genE5ELNS1_11target_archE942ELNS1_3gpuE9ELNS1_3repE0EEENS1_30default_config_static_selectorELNS0_4arch9wavefront6targetE1EEEvSO_
                                        ; -- End function
	.section	.AMDGPU.csdata,"",@progbits
; Kernel info:
; codeLenInByte = 0
; NumSgprs: 4
; NumVgprs: 0
; NumAgprs: 0
; TotalNumVgprs: 0
; ScratchSize: 0
; MemoryBound: 0
; FloatMode: 240
; IeeeMode: 1
; LDSByteSize: 0 bytes/workgroup (compile time only)
; SGPRBlocks: 0
; VGPRBlocks: 0
; NumSGPRsForWavesPerEU: 4
; NumVGPRsForWavesPerEU: 1
; AccumOffset: 4
; Occupancy: 8
; WaveLimiterHint : 0
; COMPUTE_PGM_RSRC2:SCRATCH_EN: 0
; COMPUTE_PGM_RSRC2:USER_SGPR: 6
; COMPUTE_PGM_RSRC2:TRAP_HANDLER: 0
; COMPUTE_PGM_RSRC2:TGID_X_EN: 1
; COMPUTE_PGM_RSRC2:TGID_Y_EN: 0
; COMPUTE_PGM_RSRC2:TGID_Z_EN: 0
; COMPUTE_PGM_RSRC2:TIDIG_COMP_CNT: 0
; COMPUTE_PGM_RSRC3_GFX90A:ACCUM_OFFSET: 0
; COMPUTE_PGM_RSRC3_GFX90A:TG_SPLIT: 0
	.section	.text._ZN7rocprim17ROCPRIM_400000_NS6detail17trampoline_kernelINS0_14default_configENS1_37merge_sort_block_sort_config_selectorIlNS0_10empty_typeEEEZNS1_21merge_sort_block_sortIS3_PlS8_PS5_S9_ZN2at6native12_GLOBAL__N_124unique_dim_cuda_templateIN3c104HalfEEESt5tupleIJNSA_6TensorESH_SH_EERKSH_lbbbEUlllE_EE10hipError_tT0_T1_T2_T3_mRjT4_P12ihipStream_tbNS1_7vsmem_tEEUlT_E_NS1_11comp_targetILNS1_3genE4ELNS1_11target_archE910ELNS1_3gpuE8ELNS1_3repE0EEENS1_30default_config_static_selectorELNS0_4arch9wavefront6targetE1EEEvSO_,"axG",@progbits,_ZN7rocprim17ROCPRIM_400000_NS6detail17trampoline_kernelINS0_14default_configENS1_37merge_sort_block_sort_config_selectorIlNS0_10empty_typeEEEZNS1_21merge_sort_block_sortIS3_PlS8_PS5_S9_ZN2at6native12_GLOBAL__N_124unique_dim_cuda_templateIN3c104HalfEEESt5tupleIJNSA_6TensorESH_SH_EERKSH_lbbbEUlllE_EE10hipError_tT0_T1_T2_T3_mRjT4_P12ihipStream_tbNS1_7vsmem_tEEUlT_E_NS1_11comp_targetILNS1_3genE4ELNS1_11target_archE910ELNS1_3gpuE8ELNS1_3repE0EEENS1_30default_config_static_selectorELNS0_4arch9wavefront6targetE1EEEvSO_,comdat
	.globl	_ZN7rocprim17ROCPRIM_400000_NS6detail17trampoline_kernelINS0_14default_configENS1_37merge_sort_block_sort_config_selectorIlNS0_10empty_typeEEEZNS1_21merge_sort_block_sortIS3_PlS8_PS5_S9_ZN2at6native12_GLOBAL__N_124unique_dim_cuda_templateIN3c104HalfEEESt5tupleIJNSA_6TensorESH_SH_EERKSH_lbbbEUlllE_EE10hipError_tT0_T1_T2_T3_mRjT4_P12ihipStream_tbNS1_7vsmem_tEEUlT_E_NS1_11comp_targetILNS1_3genE4ELNS1_11target_archE910ELNS1_3gpuE8ELNS1_3repE0EEENS1_30default_config_static_selectorELNS0_4arch9wavefront6targetE1EEEvSO_ ; -- Begin function _ZN7rocprim17ROCPRIM_400000_NS6detail17trampoline_kernelINS0_14default_configENS1_37merge_sort_block_sort_config_selectorIlNS0_10empty_typeEEEZNS1_21merge_sort_block_sortIS3_PlS8_PS5_S9_ZN2at6native12_GLOBAL__N_124unique_dim_cuda_templateIN3c104HalfEEESt5tupleIJNSA_6TensorESH_SH_EERKSH_lbbbEUlllE_EE10hipError_tT0_T1_T2_T3_mRjT4_P12ihipStream_tbNS1_7vsmem_tEEUlT_E_NS1_11comp_targetILNS1_3genE4ELNS1_11target_archE910ELNS1_3gpuE8ELNS1_3repE0EEENS1_30default_config_static_selectorELNS0_4arch9wavefront6targetE1EEEvSO_
	.p2align	8
	.type	_ZN7rocprim17ROCPRIM_400000_NS6detail17trampoline_kernelINS0_14default_configENS1_37merge_sort_block_sort_config_selectorIlNS0_10empty_typeEEEZNS1_21merge_sort_block_sortIS3_PlS8_PS5_S9_ZN2at6native12_GLOBAL__N_124unique_dim_cuda_templateIN3c104HalfEEESt5tupleIJNSA_6TensorESH_SH_EERKSH_lbbbEUlllE_EE10hipError_tT0_T1_T2_T3_mRjT4_P12ihipStream_tbNS1_7vsmem_tEEUlT_E_NS1_11comp_targetILNS1_3genE4ELNS1_11target_archE910ELNS1_3gpuE8ELNS1_3repE0EEENS1_30default_config_static_selectorELNS0_4arch9wavefront6targetE1EEEvSO_,@function
_ZN7rocprim17ROCPRIM_400000_NS6detail17trampoline_kernelINS0_14default_configENS1_37merge_sort_block_sort_config_selectorIlNS0_10empty_typeEEEZNS1_21merge_sort_block_sortIS3_PlS8_PS5_S9_ZN2at6native12_GLOBAL__N_124unique_dim_cuda_templateIN3c104HalfEEESt5tupleIJNSA_6TensorESH_SH_EERKSH_lbbbEUlllE_EE10hipError_tT0_T1_T2_T3_mRjT4_P12ihipStream_tbNS1_7vsmem_tEEUlT_E_NS1_11comp_targetILNS1_3genE4ELNS1_11target_archE910ELNS1_3gpuE8ELNS1_3repE0EEENS1_30default_config_static_selectorELNS0_4arch9wavefront6targetE1EEEvSO_: ; @_ZN7rocprim17ROCPRIM_400000_NS6detail17trampoline_kernelINS0_14default_configENS1_37merge_sort_block_sort_config_selectorIlNS0_10empty_typeEEEZNS1_21merge_sort_block_sortIS3_PlS8_PS5_S9_ZN2at6native12_GLOBAL__N_124unique_dim_cuda_templateIN3c104HalfEEESt5tupleIJNSA_6TensorESH_SH_EERKSH_lbbbEUlllE_EE10hipError_tT0_T1_T2_T3_mRjT4_P12ihipStream_tbNS1_7vsmem_tEEUlT_E_NS1_11comp_targetILNS1_3genE4ELNS1_11target_archE910ELNS1_3gpuE8ELNS1_3repE0EEENS1_30default_config_static_selectorELNS0_4arch9wavefront6targetE1EEEvSO_
; %bb.0:
	s_load_dwordx2 s[18:19], s[4:5], 0x48
	s_load_dword s0, s[4:5], 0x0
	s_add_u32 s10, s4, 0x48
	s_addc_u32 s11, s5, 0
	s_waitcnt lgkmcnt(0)
	s_mul_i32 s1, s19, s8
	s_add_i32 s1, s1, s7
	s_mul_i32 s1, s1, s18
	s_add_i32 s20, s1, s6
	s_cmp_ge_u32 s20, s0
	s_cbranch_scc1 .LBB1239_879
; %bb.1:
	s_load_dwordx2 s[22:23], s[4:5], 0x8
	s_load_dwordx4 s[0:3], s[4:5], 0x18
	s_load_dwordx4 s[12:15], s[4:5], 0x38
	s_mov_b32 s21, 0
	s_lshl_b64 s[4:5], s[20:21], 13
	s_waitcnt lgkmcnt(0)
	s_lshr_b64 s[24:25], s[22:23], 10
	s_add_u32 s8, s0, s4
	s_addc_u32 s9, s1, s5
	s_add_u32 s16, s2, s4
	s_addc_u32 s17, s3, s5
	v_and_b32_e32 v12, 0x3ff, v0
	s_cmp_lg_u64 s[24:25], s[20:21]
	v_bfe_u32 v24, v0, 10, 10
	v_bfe_u32 v25, v0, 20, 10
	v_lshlrev_b32_e32 v22, 3, v12
	v_lshrrev_b32_e32 v27, 2, v12
	v_lshlrev_b32_e32 v23, 2, v12
	v_lshrrev_b32_e32 v26, 3, v12
	v_cmp_gt_i64_e64 s[4:5], s[12:13], 0
	s_cbranch_scc0 .LBB1239_10
; %bb.2:
	v_mov_b32_e32 v0, s9
	v_add_co_u32_e32 v4, vcc, s8, v22
	v_addc_co_u32_e32 v5, vcc, 0, v0, vcc
	v_add_co_u32_e32 v4, vcc, 0x1000, v4
	v_addc_co_u32_e32 v5, vcc, 0, v5, vcc
	global_load_dwordx2 v[0:1], v22, s[8:9]
	global_load_dwordx2 v[2:3], v22, s[8:9] offset:2048
	global_load_dwordx2 v[6:7], v[4:5], off
	global_load_dwordx2 v[8:9], v[4:5], off offset:2048
	v_and_b32_e32 v4, 0xf8, v27
	v_add_u32_e32 v5, 0x100, v12
	v_add_u32_e32 v10, 0x200, v12
	;; [unrolled: 1-line block ×4, first 2 shown]
	v_lshrrev_b32_e32 v4, 2, v5
	v_lshrrev_b32_e32 v5, 2, v10
	;; [unrolled: 1-line block ×3, first 2 shown]
	v_add_lshl_u32 v29, v26, v23, 3
	v_and_b32_e32 v4, 0x1f8, v4
	v_and_b32_e32 v5, 0x1f8, v5
	;; [unrolled: 1-line block ×3, first 2 shown]
	v_add_u32_e32 v30, v4, v22
	v_add_u32_e32 v31, v5, v22
	v_add_u32_e32 v32, v10, v22
	v_mov_b32_e32 v13, 0
	v_cndmask_b32_e64 v15, 0, 1, s[4:5]
	s_waitcnt vmcnt(3)
	ds_write_b64 v28, v[0:1]
	s_waitcnt vmcnt(2)
	ds_write_b64 v30, v[2:3] offset:2048
	s_waitcnt vmcnt(1)
	ds_write_b64 v31, v[6:7] offset:4096
	;; [unrolled: 2-line block ×3, first 2 shown]
	s_waitcnt lgkmcnt(0)
	s_barrier
	ds_read2_b64 v[8:11], v29 offset1:1
	ds_read2_b64 v[4:7], v29 offset0:2 offset1:3
	s_waitcnt lgkmcnt(0)
	s_barrier
	s_load_dword s0, s[10:11], 0xc
	v_mov_b32_e32 v0, v8
	v_mov_b32_e32 v1, v9
	;; [unrolled: 1-line block ×4, first 2 shown]
	s_waitcnt lgkmcnt(0)
	s_lshr_b32 s2, s0, 16
	s_cmp_lt_u32 s6, s18
	s_cselect_b32 s0, 12, 18
	s_add_u32 s0, s10, s0
	s_addc_u32 s1, s11, 0
	global_load_ushort v14, v13, s[0:1]
	v_mad_u32_u24 v16, v25, s2, v24
	s_movk_i32 s0, 0x400
	s_waitcnt vmcnt(0)
	v_mul_lo_u32 v14, v16, v14
	v_add_lshl_u32 v33, v14, v12, 2
	v_cmp_gt_u32_e32 vcc, s0, v33
	v_cmp_ne_u32_e64 s[0:1], 1, v15
	s_and_saveexec_b64 s[2:3], vcc
	s_cbranch_execz .LBB1239_72
; %bb.3:
	s_and_b64 vcc, exec, s[0:1]
	s_cbranch_vccnz .LBB1239_16
; %bb.4:
	v_mul_lo_u32 v16, v11, s12
	v_mul_lo_u32 v17, v10, s13
	v_mad_u64_u32 v[14:15], s[24:25], v10, s12, 0
	v_add3_u32 v15, v15, v17, v16
	v_lshlrev_b64 v[14:15], 1, v[14:15]
	v_mov_b32_e32 v16, s15
	v_add_co_u32_e32 v14, vcc, s14, v14
	v_addc_co_u32_e32 v15, vcc, v16, v15, vcc
	v_mul_lo_u32 v18, v9, s12
	v_mul_lo_u32 v19, v8, s13
	v_mad_u64_u32 v[16:17], s[24:25], v8, s12, 0
	v_add3_u32 v17, v17, v19, v18
	v_lshlrev_b64 v[16:17], 1, v[16:17]
	v_mov_b32_e32 v18, s15
	v_add_co_u32_e32 v16, vcc, s14, v16
	v_addc_co_u32_e32 v17, vcc, v18, v17, vcc
	s_mov_b64 s[28:29], 0
	s_mov_b64 s[36:37], s[12:13]
                                        ; implicit-def: $sgpr24_sgpr25
                                        ; implicit-def: $sgpr26_sgpr27
                                        ; implicit-def: $sgpr30_sgpr31
                                        ; implicit-def: $sgpr34_sgpr35
                                        ; implicit-def: $sgpr38_sgpr39
	s_branch .LBB1239_6
.LBB1239_5:                             ;   in Loop: Header=BB1239_6 Depth=1
	s_or_b64 exec, exec, s[42:43]
	s_and_b64 s[40:41], exec, s[40:41]
	s_or_b64 s[28:29], s[40:41], s[28:29]
	s_andn2_b64 s[26:27], s[26:27], exec
	s_and_b64 s[40:41], s[30:31], exec
	s_or_b64 s[26:27], s[26:27], s[40:41]
	s_andn2_b64 s[24:25], s[24:25], exec
	s_and_b64 s[40:41], s[34:35], exec
	s_or_b64 s[24:25], s[24:25], s[40:41]
	s_andn2_b64 exec, exec, s[28:29]
	s_cbranch_execz .LBB1239_11
.LBB1239_6:                             ; =>This Inner Loop Header: Depth=1
	global_load_ushort v18, v[14:15], off
	global_load_ushort v19, v[16:17], off
	s_or_b64 s[34:35], s[34:35], exec
	s_mov_b64 s[44:45], 0
	s_waitcnt vmcnt(0)
	v_cmp_nlt_f16_e32 vcc, v18, v19
	s_and_saveexec_b64 s[40:41], vcc
; %bb.7:                                ;   in Loop: Header=BB1239_6 Depth=1
	v_cmp_ngt_f16_e32 vcc, v18, v19
	s_and_b64 s[38:39], vcc, s[38:39]
	s_andn2_b64 s[34:35], s[34:35], exec
	s_and_b64 s[38:39], s[38:39], exec
	s_or_b64 s[34:35], s[34:35], s[38:39]
	s_and_b64 s[44:45], vcc, exec
; %bb.8:                                ;   in Loop: Header=BB1239_6 Depth=1
	s_or_b64 exec, exec, s[40:41]
	s_mov_b64 s[40:41], -1
	s_or_b64 s[30:31], s[30:31], exec
                                        ; implicit-def: $sgpr38_sgpr39
	s_and_saveexec_b64 s[42:43], s[44:45]
	s_cbranch_execz .LBB1239_5
; %bb.9:                                ;   in Loop: Header=BB1239_6 Depth=1
	s_add_u32 s36, s36, -1
	v_add_co_u32_e32 v14, vcc, 2, v14
	s_addc_u32 s37, s37, -1
	v_addc_co_u32_e32 v15, vcc, 0, v15, vcc
	s_cmp_eq_u64 s[36:37], 0
	v_add_co_u32_e32 v16, vcc, 2, v16
	s_cselect_b64 s[40:41], -1, 0
	v_addc_co_u32_e32 v17, vcc, 0, v17, vcc
	s_and_b64 s[38:39], s[34:35], exec
	s_andn2_b64 s[30:31], s[30:31], exec
	s_orn2_b64 s[40:41], s[40:41], exec
	s_branch .LBB1239_5
.LBB1239_10:
	s_mov_b64 s[24:25], 0
                                        ; implicit-def: $vgpr0_vgpr1
	s_cbranch_execnz .LBB1239_521
	s_branch .LBB1239_877
.LBB1239_11:
	s_or_b64 exec, exec, s[28:29]
	s_and_saveexec_b64 s[28:29], s[26:27]
	s_xor_b64 s[26:27], exec, s[28:29]
	s_cbranch_execz .LBB1239_15
; %bb.12:
	v_pk_mov_b32 v[14:15], v[10:11], v[10:11] op_sel:[0,1]
	s_and_saveexec_b64 s[28:29], s[24:25]
; %bb.13:
	v_mov_b32_e32 v0, v10
	v_mov_b32_e32 v1, v11
	;; [unrolled: 1-line block ×4, first 2 shown]
	v_pk_mov_b32 v[14:15], v[8:9], v[8:9] op_sel:[0,1]
	v_pk_mov_b32 v[8:9], v[10:11], v[10:11] op_sel:[0,1]
; %bb.14:
	s_or_b64 exec, exec, s[28:29]
	v_pk_mov_b32 v[10:11], v[14:15], v[14:15] op_sel:[0,1]
.LBB1239_15:
	s_or_b64 exec, exec, s[26:27]
.LBB1239_16:
	v_mov_b32_e32 v16, v6
	v_mov_b32_e32 v17, v7
	;; [unrolled: 1-line block ×3, first 2 shown]
	s_and_b64 vcc, exec, s[0:1]
	v_mov_b32_e32 v15, v5
	s_cbranch_vccnz .LBB1239_28
; %bb.17:
	v_mul_lo_u32 v20, v7, s12
	v_mul_lo_u32 v21, v6, s13
	v_mad_u64_u32 v[18:19], s[24:25], v6, s12, 0
	v_add3_u32 v19, v19, v21, v20
	v_lshlrev_b64 v[18:19], 1, v[18:19]
	v_mov_b32_e32 v20, s15
	v_add_co_u32_e32 v18, vcc, s14, v18
	v_addc_co_u32_e32 v19, vcc, v20, v19, vcc
	v_mul_lo_u32 v34, v5, s12
	v_mul_lo_u32 v35, v4, s13
	v_mad_u64_u32 v[20:21], s[24:25], v4, s12, 0
	v_add3_u32 v21, v21, v35, v34
	v_lshlrev_b64 v[20:21], 1, v[20:21]
	v_mov_b32_e32 v34, s15
	v_add_co_u32_e32 v20, vcc, s14, v20
	v_addc_co_u32_e32 v21, vcc, v34, v21, vcc
	s_mov_b64 s[28:29], 0
	s_mov_b64 s[36:37], s[12:13]
                                        ; implicit-def: $sgpr24_sgpr25
                                        ; implicit-def: $sgpr26_sgpr27
                                        ; implicit-def: $sgpr30_sgpr31
                                        ; implicit-def: $sgpr34_sgpr35
                                        ; implicit-def: $sgpr38_sgpr39
	s_branch .LBB1239_19
.LBB1239_18:                            ;   in Loop: Header=BB1239_19 Depth=1
	s_or_b64 exec, exec, s[42:43]
	s_and_b64 s[40:41], exec, s[40:41]
	s_or_b64 s[28:29], s[40:41], s[28:29]
	s_andn2_b64 s[26:27], s[26:27], exec
	s_and_b64 s[40:41], s[30:31], exec
	s_or_b64 s[26:27], s[26:27], s[40:41]
	s_andn2_b64 s[24:25], s[24:25], exec
	s_and_b64 s[40:41], s[34:35], exec
	s_or_b64 s[24:25], s[24:25], s[40:41]
	s_andn2_b64 exec, exec, s[28:29]
	s_cbranch_execz .LBB1239_23
.LBB1239_19:                            ; =>This Inner Loop Header: Depth=1
	global_load_ushort v34, v[18:19], off
	global_load_ushort v35, v[20:21], off
	s_or_b64 s[34:35], s[34:35], exec
	s_mov_b64 s[44:45], 0
	s_waitcnt vmcnt(0)
	v_cmp_nlt_f16_e32 vcc, v34, v35
	s_and_saveexec_b64 s[40:41], vcc
; %bb.20:                               ;   in Loop: Header=BB1239_19 Depth=1
	v_cmp_ngt_f16_e32 vcc, v34, v35
	s_and_b64 s[38:39], vcc, s[38:39]
	s_andn2_b64 s[34:35], s[34:35], exec
	s_and_b64 s[38:39], s[38:39], exec
	s_or_b64 s[34:35], s[34:35], s[38:39]
	s_and_b64 s[44:45], vcc, exec
; %bb.21:                               ;   in Loop: Header=BB1239_19 Depth=1
	s_or_b64 exec, exec, s[40:41]
	s_mov_b64 s[40:41], -1
	s_or_b64 s[30:31], s[30:31], exec
                                        ; implicit-def: $sgpr38_sgpr39
	s_and_saveexec_b64 s[42:43], s[44:45]
	s_cbranch_execz .LBB1239_18
; %bb.22:                               ;   in Loop: Header=BB1239_19 Depth=1
	s_add_u32 s36, s36, -1
	v_add_co_u32_e32 v18, vcc, 2, v18
	s_addc_u32 s37, s37, -1
	v_addc_co_u32_e32 v19, vcc, 0, v19, vcc
	s_cmp_eq_u64 s[36:37], 0
	v_add_co_u32_e32 v20, vcc, 2, v20
	s_cselect_b64 s[40:41], -1, 0
	v_addc_co_u32_e32 v21, vcc, 0, v21, vcc
	s_and_b64 s[38:39], s[34:35], exec
	s_andn2_b64 s[30:31], s[30:31], exec
	s_orn2_b64 s[40:41], s[40:41], exec
	s_branch .LBB1239_18
.LBB1239_23:
	s_or_b64 exec, exec, s[28:29]
	s_and_saveexec_b64 s[28:29], s[26:27]
	s_xor_b64 s[26:27], exec, s[28:29]
	s_cbranch_execz .LBB1239_27
; %bb.24:
	s_and_saveexec_b64 s[28:29], s[24:25]
	s_cbranch_execz .LBB1239_26
; %bb.25:
	v_mov_b32_e32 v34, v0
	v_mov_b32_e32 v35, v1
	;; [unrolled: 1-line block ×8, first 2 shown]
	v_pk_mov_b32 v[18:19], v[16:17], v[16:17] op_sel:[0,1]
	v_pk_mov_b32 v[0:1], v[34:35], v[34:35] op_sel:[0,1]
	;; [unrolled: 1-line block ×7, first 2 shown]
.LBB1239_26:
	s_or_b64 exec, exec, s[28:29]
.LBB1239_27:
	s_or_b64 exec, exec, s[26:27]
.LBB1239_28:
	s_and_b64 vcc, exec, s[4:5]
	s_cbranch_vccz .LBB1239_40
; %bb.29:
	v_mul_lo_u32 v20, v15, s12
	v_mul_lo_u32 v21, v14, s13
	v_mad_u64_u32 v[18:19], s[4:5], v14, s12, 0
	v_add3_u32 v19, v19, v21, v20
	v_lshlrev_b64 v[18:19], 1, v[18:19]
	v_mov_b32_e32 v20, s15
	v_add_co_u32_e32 v18, vcc, s14, v18
	v_addc_co_u32_e32 v19, vcc, v20, v19, vcc
	v_mul_lo_u32 v34, v11, s12
	v_mul_lo_u32 v35, v10, s13
	v_mad_u64_u32 v[20:21], s[4:5], v10, s12, 0
	v_add3_u32 v21, v21, v35, v34
	v_lshlrev_b64 v[20:21], 1, v[20:21]
	v_mov_b32_e32 v34, s15
	v_add_co_u32_e32 v20, vcc, s14, v20
	v_addc_co_u32_e32 v21, vcc, v34, v21, vcc
	s_mov_b64 s[26:27], 0
	s_mov_b64 s[34:35], s[12:13]
                                        ; implicit-def: $sgpr4_sgpr5
                                        ; implicit-def: $sgpr24_sgpr25
                                        ; implicit-def: $sgpr28_sgpr29
                                        ; implicit-def: $sgpr30_sgpr31
                                        ; implicit-def: $sgpr36_sgpr37
	s_branch .LBB1239_31
.LBB1239_30:                            ;   in Loop: Header=BB1239_31 Depth=1
	s_or_b64 exec, exec, s[40:41]
	s_and_b64 s[38:39], exec, s[38:39]
	s_or_b64 s[26:27], s[38:39], s[26:27]
	s_andn2_b64 s[24:25], s[24:25], exec
	s_and_b64 s[38:39], s[28:29], exec
	s_or_b64 s[24:25], s[24:25], s[38:39]
	s_andn2_b64 s[4:5], s[4:5], exec
	s_and_b64 s[38:39], s[30:31], exec
	s_or_b64 s[4:5], s[4:5], s[38:39]
	s_andn2_b64 exec, exec, s[26:27]
	s_cbranch_execz .LBB1239_35
.LBB1239_31:                            ; =>This Inner Loop Header: Depth=1
	global_load_ushort v34, v[18:19], off
	global_load_ushort v35, v[20:21], off
	s_or_b64 s[30:31], s[30:31], exec
	s_mov_b64 s[42:43], 0
	s_waitcnt vmcnt(0)
	v_cmp_nlt_f16_e32 vcc, v34, v35
	s_and_saveexec_b64 s[38:39], vcc
; %bb.32:                               ;   in Loop: Header=BB1239_31 Depth=1
	v_cmp_ngt_f16_e32 vcc, v34, v35
	s_and_b64 s[36:37], vcc, s[36:37]
	s_andn2_b64 s[30:31], s[30:31], exec
	s_and_b64 s[36:37], s[36:37], exec
	s_or_b64 s[30:31], s[30:31], s[36:37]
	s_and_b64 s[42:43], vcc, exec
; %bb.33:                               ;   in Loop: Header=BB1239_31 Depth=1
	s_or_b64 exec, exec, s[38:39]
	s_mov_b64 s[38:39], -1
	s_or_b64 s[28:29], s[28:29], exec
                                        ; implicit-def: $sgpr36_sgpr37
	s_and_saveexec_b64 s[40:41], s[42:43]
	s_cbranch_execz .LBB1239_30
; %bb.34:                               ;   in Loop: Header=BB1239_31 Depth=1
	s_add_u32 s34, s34, -1
	v_add_co_u32_e32 v18, vcc, 2, v18
	s_addc_u32 s35, s35, -1
	v_addc_co_u32_e32 v19, vcc, 0, v19, vcc
	s_cmp_eq_u64 s[34:35], 0
	v_add_co_u32_e32 v20, vcc, 2, v20
	s_cselect_b64 s[38:39], -1, 0
	v_addc_co_u32_e32 v21, vcc, 0, v21, vcc
	s_and_b64 s[36:37], s[30:31], exec
	s_andn2_b64 s[28:29], s[28:29], exec
	s_orn2_b64 s[38:39], s[38:39], exec
	s_branch .LBB1239_30
.LBB1239_35:
	s_or_b64 exec, exec, s[26:27]
	s_and_saveexec_b64 s[26:27], s[24:25]
	s_xor_b64 s[24:25], exec, s[26:27]
	s_cbranch_execz .LBB1239_39
; %bb.36:
	v_pk_mov_b32 v[18:19], v[10:11], v[10:11] op_sel:[0,1]
	s_and_saveexec_b64 s[26:27], s[4:5]
; %bb.37:
	v_mov_b32_e32 v2, v14
	v_mov_b32_e32 v3, v15
	;; [unrolled: 1-line block ×4, first 2 shown]
	v_pk_mov_b32 v[18:19], v[14:15], v[14:15] op_sel:[0,1]
	v_pk_mov_b32 v[14:15], v[10:11], v[10:11] op_sel:[0,1]
; %bb.38:
	s_or_b64 exec, exec, s[26:27]
	v_pk_mov_b32 v[10:11], v[18:19], v[18:19] op_sel:[0,1]
.LBB1239_39:
	s_or_b64 exec, exec, s[24:25]
.LBB1239_40:
	s_and_b64 vcc, exec, s[0:1]
	s_cbranch_vccnz .LBB1239_52
; %bb.41:
	v_mul_lo_u32 v20, v11, s12
	v_mul_lo_u32 v21, v10, s13
	v_mad_u64_u32 v[18:19], s[4:5], v10, s12, 0
	v_add3_u32 v19, v19, v21, v20
	v_lshlrev_b64 v[18:19], 1, v[18:19]
	v_mov_b32_e32 v20, s15
	v_add_co_u32_e32 v18, vcc, s14, v18
	v_addc_co_u32_e32 v19, vcc, v20, v19, vcc
	v_mul_lo_u32 v34, v9, s12
	v_mul_lo_u32 v35, v8, s13
	v_mad_u64_u32 v[20:21], s[4:5], v8, s12, 0
	v_add3_u32 v21, v21, v35, v34
	v_lshlrev_b64 v[20:21], 1, v[20:21]
	v_mov_b32_e32 v34, s15
	v_add_co_u32_e32 v20, vcc, s14, v20
	v_addc_co_u32_e32 v21, vcc, v34, v21, vcc
	s_mov_b64 s[26:27], 0
	s_mov_b64 s[34:35], s[12:13]
                                        ; implicit-def: $sgpr4_sgpr5
                                        ; implicit-def: $sgpr24_sgpr25
                                        ; implicit-def: $sgpr28_sgpr29
                                        ; implicit-def: $sgpr30_sgpr31
                                        ; implicit-def: $sgpr36_sgpr37
	s_branch .LBB1239_43
.LBB1239_42:                            ;   in Loop: Header=BB1239_43 Depth=1
	s_or_b64 exec, exec, s[40:41]
	s_and_b64 s[38:39], exec, s[38:39]
	s_or_b64 s[26:27], s[38:39], s[26:27]
	s_andn2_b64 s[24:25], s[24:25], exec
	s_and_b64 s[38:39], s[28:29], exec
	s_or_b64 s[24:25], s[24:25], s[38:39]
	s_andn2_b64 s[4:5], s[4:5], exec
	s_and_b64 s[38:39], s[30:31], exec
	s_or_b64 s[4:5], s[4:5], s[38:39]
	s_andn2_b64 exec, exec, s[26:27]
	s_cbranch_execz .LBB1239_47
.LBB1239_43:                            ; =>This Inner Loop Header: Depth=1
	global_load_ushort v34, v[18:19], off
	global_load_ushort v35, v[20:21], off
	s_or_b64 s[30:31], s[30:31], exec
	s_mov_b64 s[42:43], 0
	s_waitcnt vmcnt(0)
	v_cmp_nlt_f16_e32 vcc, v34, v35
	s_and_saveexec_b64 s[38:39], vcc
; %bb.44:                               ;   in Loop: Header=BB1239_43 Depth=1
	v_cmp_ngt_f16_e32 vcc, v34, v35
	s_and_b64 s[36:37], vcc, s[36:37]
	s_andn2_b64 s[30:31], s[30:31], exec
	s_and_b64 s[36:37], s[36:37], exec
	s_or_b64 s[30:31], s[30:31], s[36:37]
	s_and_b64 s[42:43], vcc, exec
; %bb.45:                               ;   in Loop: Header=BB1239_43 Depth=1
	s_or_b64 exec, exec, s[38:39]
	s_mov_b64 s[38:39], -1
	s_or_b64 s[28:29], s[28:29], exec
                                        ; implicit-def: $sgpr36_sgpr37
	s_and_saveexec_b64 s[40:41], s[42:43]
	s_cbranch_execz .LBB1239_42
; %bb.46:                               ;   in Loop: Header=BB1239_43 Depth=1
	s_add_u32 s34, s34, -1
	v_add_co_u32_e32 v18, vcc, 2, v18
	s_addc_u32 s35, s35, -1
	v_addc_co_u32_e32 v19, vcc, 0, v19, vcc
	s_cmp_eq_u64 s[34:35], 0
	v_add_co_u32_e32 v20, vcc, 2, v20
	s_cselect_b64 s[38:39], -1, 0
	v_addc_co_u32_e32 v21, vcc, 0, v21, vcc
	s_and_b64 s[36:37], s[30:31], exec
	s_andn2_b64 s[28:29], s[28:29], exec
	s_orn2_b64 s[38:39], s[38:39], exec
	s_branch .LBB1239_42
.LBB1239_47:
	s_or_b64 exec, exec, s[26:27]
	s_and_saveexec_b64 s[26:27], s[24:25]
	s_xor_b64 s[24:25], exec, s[26:27]
	s_cbranch_execz .LBB1239_51
; %bb.48:
	v_pk_mov_b32 v[18:19], v[10:11], v[10:11] op_sel:[0,1]
	s_and_saveexec_b64 s[26:27], s[4:5]
; %bb.49:
	v_mov_b32_e32 v0, v10
	v_mov_b32_e32 v1, v11
	;; [unrolled: 1-line block ×4, first 2 shown]
	v_pk_mov_b32 v[18:19], v[8:9], v[8:9] op_sel:[0,1]
	v_pk_mov_b32 v[8:9], v[10:11], v[10:11] op_sel:[0,1]
; %bb.50:
	s_or_b64 exec, exec, s[26:27]
	v_pk_mov_b32 v[10:11], v[18:19], v[18:19] op_sel:[0,1]
.LBB1239_51:
	s_or_b64 exec, exec, s[24:25]
.LBB1239_52:
	s_and_b64 vcc, exec, s[0:1]
	s_cbranch_vccnz .LBB1239_62
; %bb.53:
	v_mul_lo_u32 v20, v17, s12
	v_mul_lo_u32 v21, v16, s13
	v_mad_u64_u32 v[18:19], s[4:5], v16, s12, 0
	v_add3_u32 v19, v19, v21, v20
	v_lshlrev_b64 v[18:19], 1, v[18:19]
	v_mov_b32_e32 v20, s15
	v_add_co_u32_e32 v18, vcc, s14, v18
	v_addc_co_u32_e32 v19, vcc, v20, v19, vcc
	v_mul_lo_u32 v34, v15, s12
	v_mul_lo_u32 v35, v14, s13
	v_mad_u64_u32 v[20:21], s[4:5], v14, s12, 0
	v_add3_u32 v21, v21, v35, v34
	v_lshlrev_b64 v[20:21], 1, v[20:21]
	v_mov_b32_e32 v34, s15
	v_add_co_u32_e32 v20, vcc, s14, v20
	v_addc_co_u32_e32 v21, vcc, v34, v21, vcc
	s_mov_b64 s[24:25], 0
	s_mov_b64 s[34:35], s[12:13]
                                        ; implicit-def: $sgpr4_sgpr5
                                        ; implicit-def: $sgpr26_sgpr27
                                        ; implicit-def: $sgpr28_sgpr29
                                        ; implicit-def: $sgpr30_sgpr31
                                        ; implicit-def: $sgpr36_sgpr37
	s_branch .LBB1239_55
.LBB1239_54:                            ;   in Loop: Header=BB1239_55 Depth=1
	s_or_b64 exec, exec, s[38:39]
	s_and_b64 s[38:39], exec, s[40:41]
	s_or_b64 s[24:25], s[38:39], s[24:25]
	s_andn2_b64 s[26:27], s[26:27], exec
	s_and_b64 s[38:39], s[28:29], exec
	s_or_b64 s[26:27], s[26:27], s[38:39]
	s_andn2_b64 s[4:5], s[4:5], exec
	s_and_b64 s[38:39], s[30:31], exec
	s_or_b64 s[4:5], s[4:5], s[38:39]
	s_andn2_b64 exec, exec, s[24:25]
	s_cbranch_execz .LBB1239_59
.LBB1239_55:                            ; =>This Inner Loop Header: Depth=1
	global_load_ushort v34, v[18:19], off
	global_load_ushort v35, v[20:21], off
	s_or_b64 s[30:31], s[30:31], exec
	s_mov_b64 s[42:43], 0
	s_waitcnt vmcnt(0)
	v_cmp_nlt_f16_e32 vcc, v34, v35
	s_and_saveexec_b64 s[38:39], vcc
; %bb.56:                               ;   in Loop: Header=BB1239_55 Depth=1
	v_cmp_ngt_f16_e32 vcc, v34, v35
	s_and_b64 s[36:37], vcc, s[36:37]
	s_andn2_b64 s[30:31], s[30:31], exec
	s_and_b64 s[36:37], s[36:37], exec
	s_or_b64 s[30:31], s[30:31], s[36:37]
	s_and_b64 s[42:43], vcc, exec
; %bb.57:                               ;   in Loop: Header=BB1239_55 Depth=1
	s_or_b64 exec, exec, s[38:39]
	s_mov_b64 s[40:41], -1
	s_or_b64 s[28:29], s[28:29], exec
                                        ; implicit-def: $sgpr36_sgpr37
	s_and_saveexec_b64 s[38:39], s[42:43]
	s_cbranch_execz .LBB1239_54
; %bb.58:                               ;   in Loop: Header=BB1239_55 Depth=1
	s_add_u32 s34, s34, -1
	v_add_co_u32_e32 v18, vcc, 2, v18
	s_addc_u32 s35, s35, -1
	v_addc_co_u32_e32 v19, vcc, 0, v19, vcc
	s_cmp_eq_u64 s[34:35], 0
	v_add_co_u32_e32 v20, vcc, 2, v20
	s_cselect_b64 s[40:41], -1, 0
	v_addc_co_u32_e32 v21, vcc, 0, v21, vcc
	s_and_b64 s[36:37], s[30:31], exec
	s_andn2_b64 s[28:29], s[28:29], exec
	s_orn2_b64 s[40:41], s[40:41], exec
	s_branch .LBB1239_54
.LBB1239_59:
	s_or_b64 exec, exec, s[24:25]
	s_and_saveexec_b64 s[24:25], s[26:27]
	s_xor_b64 s[24:25], exec, s[24:25]
; %bb.60:
	v_cndmask_b32_e64 v7, v7, v15, s[4:5]
	v_cndmask_b32_e64 v6, v6, v14, s[4:5]
	;; [unrolled: 1-line block ×6, first 2 shown]
; %bb.61:
	s_or_b64 exec, exec, s[24:25]
.LBB1239_62:
	s_and_b64 vcc, exec, s[0:1]
	s_cbranch_vccnz .LBB1239_72
; %bb.63:
	v_mul_lo_u32 v18, v15, s12
	v_mul_lo_u32 v19, v14, s13
	v_mad_u64_u32 v[16:17], s[4:5], v14, s12, 0
	v_add3_u32 v17, v17, v19, v18
	v_lshlrev_b64 v[16:17], 1, v[16:17]
	v_mov_b32_e32 v18, s15
	v_add_co_u32_e32 v16, vcc, s14, v16
	v_addc_co_u32_e32 v17, vcc, v18, v17, vcc
	v_mul_lo_u32 v20, v11, s12
	v_mul_lo_u32 v21, v10, s13
	v_mad_u64_u32 v[18:19], s[4:5], v10, s12, 0
	v_add3_u32 v19, v19, v21, v20
	v_lshlrev_b64 v[18:19], 1, v[18:19]
	v_mov_b32_e32 v20, s15
	v_add_co_u32_e32 v18, vcc, s14, v18
	v_addc_co_u32_e32 v19, vcc, v20, v19, vcc
	s_mov_b64 s[24:25], 0
	s_mov_b64 s[34:35], s[12:13]
                                        ; implicit-def: $sgpr4_sgpr5
                                        ; implicit-def: $sgpr26_sgpr27
                                        ; implicit-def: $sgpr28_sgpr29
                                        ; implicit-def: $sgpr30_sgpr31
                                        ; implicit-def: $sgpr36_sgpr37
	s_branch .LBB1239_65
.LBB1239_64:                            ;   in Loop: Header=BB1239_65 Depth=1
	s_or_b64 exec, exec, s[38:39]
	s_and_b64 s[38:39], exec, s[40:41]
	s_or_b64 s[24:25], s[38:39], s[24:25]
	s_andn2_b64 s[26:27], s[26:27], exec
	s_and_b64 s[38:39], s[28:29], exec
	s_or_b64 s[26:27], s[26:27], s[38:39]
	s_andn2_b64 s[4:5], s[4:5], exec
	s_and_b64 s[38:39], s[30:31], exec
	s_or_b64 s[4:5], s[4:5], s[38:39]
	s_andn2_b64 exec, exec, s[24:25]
	s_cbranch_execz .LBB1239_69
.LBB1239_65:                            ; =>This Inner Loop Header: Depth=1
	global_load_ushort v20, v[16:17], off
	global_load_ushort v21, v[18:19], off
	s_or_b64 s[30:31], s[30:31], exec
	s_mov_b64 s[42:43], 0
	s_waitcnt vmcnt(0)
	v_cmp_nlt_f16_e32 vcc, v20, v21
	s_and_saveexec_b64 s[38:39], vcc
; %bb.66:                               ;   in Loop: Header=BB1239_65 Depth=1
	v_cmp_ngt_f16_e32 vcc, v20, v21
	s_and_b64 s[36:37], vcc, s[36:37]
	s_andn2_b64 s[30:31], s[30:31], exec
	s_and_b64 s[36:37], s[36:37], exec
	s_or_b64 s[30:31], s[30:31], s[36:37]
	s_and_b64 s[42:43], vcc, exec
; %bb.67:                               ;   in Loop: Header=BB1239_65 Depth=1
	s_or_b64 exec, exec, s[38:39]
	s_mov_b64 s[40:41], -1
	s_or_b64 s[28:29], s[28:29], exec
                                        ; implicit-def: $sgpr36_sgpr37
	s_and_saveexec_b64 s[38:39], s[42:43]
	s_cbranch_execz .LBB1239_64
; %bb.68:                               ;   in Loop: Header=BB1239_65 Depth=1
	s_add_u32 s34, s34, -1
	v_add_co_u32_e32 v16, vcc, 2, v16
	s_addc_u32 s35, s35, -1
	v_addc_co_u32_e32 v17, vcc, 0, v17, vcc
	s_cmp_eq_u64 s[34:35], 0
	v_add_co_u32_e32 v18, vcc, 2, v18
	s_cselect_b64 s[40:41], -1, 0
	v_addc_co_u32_e32 v19, vcc, 0, v19, vcc
	s_and_b64 s[36:37], s[30:31], exec
	s_andn2_b64 s[28:29], s[28:29], exec
	s_orn2_b64 s[40:41], s[40:41], exec
	s_branch .LBB1239_64
.LBB1239_69:
	s_or_b64 exec, exec, s[24:25]
	s_and_saveexec_b64 s[24:25], s[26:27]
	s_xor_b64 s[24:25], exec, s[24:25]
; %bb.70:
	v_cndmask_b32_e64 v5, v5, v11, s[4:5]
	v_cndmask_b32_e64 v4, v4, v10, s[4:5]
	;; [unrolled: 1-line block ×4, first 2 shown]
; %bb.71:
	s_or_b64 exec, exec, s[24:25]
.LBB1239_72:
	s_or_b64 exec, exec, s[2:3]
	v_mbcnt_lo_u32_b32 v10, -1, 0
	v_and_b32_e32 v11, 0xffffff00, v33
	v_mbcnt_hi_u32_b32 v10, -1, v10
	s_movk_i32 s2, 0x400
	v_lshlrev_b32_e32 v14, 3, v11
	v_sub_u32_e64 v15, s2, v11 clamp
	v_lshlrev_b32_e32 v16, 2, v10
	v_lshl_add_u32 v17, v10, 5, v14
	v_mov_b32_e32 v10, v2
	v_mov_b32_e32 v11, v3
	ds_write_b128 v17, v[8:11]
	ds_write_b128 v17, v[4:7] offset:16
	v_or_b32_e32 v8, 4, v16
	v_min_u32_e32 v18, v15, v8
	v_add_u32_e32 v8, 4, v18
	v_and_b32_e32 v33, 0x1f8, v16
	v_min_u32_e32 v19, v15, v8
	v_and_b32_e32 v8, 4, v16
	v_min_u32_e32 v34, v15, v8
	v_sub_u32_e32 v8, v18, v33
	v_sub_u32_e32 v9, v19, v18
	v_sub_u32_e64 v21, v34, v9 clamp
	v_min_u32_e32 v35, v34, v8
	v_lshl_add_u32 v20, v33, 3, v14
	v_cmp_lt_u32_e32 vcc, v21, v35
	; wave barrier
	s_and_saveexec_b64 s[2:3], vcc
	s_cbranch_execz .LBB1239_84
; %bb.73:
	v_lshlrev_b32_e32 v8, 3, v18
	v_lshlrev_b32_e32 v9, 3, v34
	v_add3_u32 v36, v14, v8, v9
	s_lshl_b64 s[24:25], s[12:13], 1
	s_mov_b64 s[4:5], 0
	s_branch .LBB1239_76
.LBB1239_74:                            ;   in Loop: Header=BB1239_76 Depth=1
	s_or_b64 exec, exec, s[28:29]
.LBB1239_75:                            ;   in Loop: Header=BB1239_76 Depth=1
	v_add_u32_e32 v8, 1, v37
	v_cndmask_b32_e64 v35, v35, v37, s[26:27]
	v_cndmask_b32_e64 v21, v8, v21, s[26:27]
	v_cmp_ge_u32_e32 vcc, v21, v35
	s_or_b64 s[4:5], vcc, s[4:5]
	s_andn2_b64 exec, exec, s[4:5]
	s_cbranch_execz .LBB1239_83
.LBB1239_76:                            ; =>This Loop Header: Depth=1
                                        ;     Child Loop BB1239_79 Depth 2
	v_add_u32_e32 v8, v35, v21
	v_lshrrev_b32_e32 v37, 1, v8
	s_and_b64 vcc, exec, s[0:1]
	s_mov_b64 s[26:27], 0
	s_cbranch_vccnz .LBB1239_75
; %bb.77:                               ;   in Loop: Header=BB1239_76 Depth=1
	v_not_b32_e32 v8, v37
	v_lshl_add_u32 v8, v8, 3, v36
	ds_read_b64 v[8:9], v8
	v_lshl_add_u32 v38, v37, 3, v20
	ds_read_b64 v[38:39], v38
	v_pk_mov_b32 v[10:11], s[14:15], s[14:15] op_sel:[0,1]
	s_mov_b64 s[28:29], 0
	s_waitcnt lgkmcnt(1)
	v_mul_lo_u32 v40, s24, v9
	v_mul_lo_u32 v41, s25, v8
	v_mad_u64_u32 v[8:9], s[26:27], s24, v8, v[10:11]
	v_add3_u32 v9, v41, v9, v40
	s_waitcnt lgkmcnt(0)
	v_mul_lo_u32 v39, s24, v39
	v_mul_lo_u32 v40, s25, v38
	v_mad_u64_u32 v[10:11], s[26:27], s24, v38, v[10:11]
	v_add3_u32 v11, v40, v11, v39
	s_mov_b64 s[34:35], s[12:13]
                                        ; implicit-def: $sgpr26_sgpr27
                                        ; implicit-def: $sgpr30_sgpr31
                                        ; implicit-def: $sgpr36_sgpr37
	s_branch .LBB1239_79
.LBB1239_78:                            ;   in Loop: Header=BB1239_79 Depth=2
	s_or_b64 exec, exec, s[42:43]
	s_and_b64 s[38:39], exec, s[38:39]
	s_or_b64 s[28:29], s[38:39], s[28:29]
	s_andn2_b64 s[26:27], s[26:27], exec
	s_and_b64 s[38:39], s[30:31], exec
	s_or_b64 s[26:27], s[26:27], s[38:39]
	s_andn2_b64 exec, exec, s[28:29]
	s_cbranch_execz .LBB1239_74
.LBB1239_79:                            ;   Parent Loop BB1239_76 Depth=1
                                        ; =>  This Inner Loop Header: Depth=2
	global_load_ushort v38, v[8:9], off
	global_load_ushort v39, v[10:11], off
	s_mov_b64 s[38:39], -1
	s_mov_b64 s[44:45], 0
	s_mov_b64 s[40:41], -1
	s_waitcnt vmcnt(0)
	v_cmp_nlt_f16_e32 vcc, v38, v39
	s_and_saveexec_b64 s[42:43], vcc
; %bb.80:                               ;   in Loop: Header=BB1239_79 Depth=2
	v_cmp_ngt_f16_e32 vcc, v38, v39
	s_and_b64 s[36:37], vcc, s[36:37]
	s_orn2_b64 s[40:41], s[36:37], exec
	s_and_b64 s[44:45], vcc, exec
; %bb.81:                               ;   in Loop: Header=BB1239_79 Depth=2
	s_or_b64 exec, exec, s[42:43]
	s_andn2_b64 s[30:31], s[30:31], exec
	s_and_b64 s[36:37], s[40:41], exec
	s_or_b64 s[30:31], s[30:31], s[36:37]
                                        ; implicit-def: $sgpr36_sgpr37
	s_and_saveexec_b64 s[42:43], s[44:45]
	s_cbranch_execz .LBB1239_78
; %bb.82:                               ;   in Loop: Header=BB1239_79 Depth=2
	s_add_u32 s34, s34, -1
	v_add_co_u32_e32 v8, vcc, 2, v8
	s_addc_u32 s35, s35, -1
	v_addc_co_u32_e32 v9, vcc, 0, v9, vcc
	s_cmp_eq_u64 s[34:35], 0
	v_add_co_u32_e32 v10, vcc, 2, v10
	s_cselect_b64 s[38:39], -1, 0
	v_addc_co_u32_e32 v11, vcc, 0, v11, vcc
	s_andn2_b64 s[30:31], s[30:31], exec
	s_and_b64 s[36:37], s[40:41], exec
	s_orn2_b64 s[38:39], s[38:39], exec
	s_branch .LBB1239_78
.LBB1239_83:
	s_or_b64 exec, exec, s[4:5]
.LBB1239_84:
	s_or_b64 exec, exec, s[2:3]
	v_add_u32_e32 v9, v18, v34
	v_add_u32_e32 v8, v21, v33
	v_sub_u32_e32 v9, v9, v21
	v_cmp_le_u32_e32 vcc, v8, v18
	v_cmp_le_u32_e64 s[2:3], v9, v19
	v_cmp_lt_i64_e64 s[24:25], s[12:13], 1
	s_or_b64 s[2:3], vcc, s[2:3]
	s_and_saveexec_b64 s[26:27], s[2:3]
	s_cbranch_execz .LBB1239_128
; %bb.85:
	v_cmp_ge_u32_e32 vcc, v8, v18
	v_cmp_lt_u32_e64 s[2:3], v8, v18
                                        ; implicit-def: $vgpr0_vgpr1
	s_and_saveexec_b64 s[4:5], s[2:3]
	s_cbranch_execz .LBB1239_87
; %bb.86:
	v_lshl_add_u32 v0, v21, 3, v20
	ds_read_b64 v[0:1], v0
.LBB1239_87:
	s_or_b64 exec, exec, s[4:5]
	v_cmp_ge_u32_e64 s[2:3], v9, v19
	v_cmp_lt_u32_e64 s[4:5], v9, v19
                                        ; implicit-def: $vgpr2_vgpr3
	s_and_saveexec_b64 s[28:29], s[4:5]
	s_cbranch_execz .LBB1239_89
; %bb.88:
	v_lshl_add_u32 v2, v9, 3, v14
	ds_read_b64 v[2:3], v2
.LBB1239_89:
	s_or_b64 exec, exec, s[28:29]
	s_or_b64 s[4:5], vcc, s[2:3]
	s_or_b64 s[4:5], s[4:5], s[24:25]
	s_xor_b64 s[28:29], s[4:5], -1
	s_xor_b64 s[4:5], vcc, -1
	s_or_b64 s[2:3], s[2:3], s[4:5]
	s_and_saveexec_b64 s[4:5], s[28:29]
	s_cbranch_execz .LBB1239_97
; %bb.90:
	s_waitcnt lgkmcnt(0)
	v_mul_lo_u32 v6, v3, s12
	v_mul_lo_u32 v7, v2, s13
	v_mad_u64_u32 v[4:5], s[28:29], v2, s12, 0
	v_add3_u32 v5, v5, v7, v6
	v_lshlrev_b64 v[4:5], 1, v[4:5]
	v_mov_b32_e32 v6, s15
	v_add_co_u32_e32 v4, vcc, s14, v4
	v_addc_co_u32_e32 v5, vcc, v6, v5, vcc
	v_mul_lo_u32 v10, v1, s12
	v_mul_lo_u32 v11, v0, s13
	v_mad_u64_u32 v[6:7], s[28:29], v0, s12, 0
	v_add3_u32 v7, v7, v11, v10
	v_lshlrev_b64 v[6:7], 1, v[6:7]
	v_mov_b32_e32 v10, s15
	v_add_co_u32_e32 v6, vcc, s14, v6
	v_addc_co_u32_e32 v7, vcc, v10, v7, vcc
	s_mov_b64 s[28:29], 0
	s_mov_b64 s[36:37], s[12:13]
                                        ; implicit-def: $sgpr30_sgpr31
                                        ; implicit-def: $sgpr34_sgpr35
                                        ; implicit-def: $sgpr38_sgpr39
	s_branch .LBB1239_92
.LBB1239_91:                            ;   in Loop: Header=BB1239_92 Depth=1
	s_or_b64 exec, exec, s[42:43]
	s_and_b64 s[40:41], exec, s[44:45]
	s_or_b64 s[28:29], s[40:41], s[28:29]
	s_andn2_b64 s[30:31], s[30:31], exec
	s_and_b64 s[40:41], s[34:35], exec
	s_or_b64 s[30:31], s[30:31], s[40:41]
	s_andn2_b64 exec, exec, s[28:29]
	s_cbranch_execz .LBB1239_96
.LBB1239_92:                            ; =>This Inner Loop Header: Depth=1
	global_load_ushort v10, v[4:5], off
	global_load_ushort v11, v[6:7], off
	s_mov_b64 s[46:47], 0
	s_mov_b64 s[40:41], -1
	s_waitcnt vmcnt(0)
	v_cmp_nlt_f16_e32 vcc, v10, v11
	s_and_saveexec_b64 s[42:43], vcc
; %bb.93:                               ;   in Loop: Header=BB1239_92 Depth=1
	v_cmp_ngt_f16_e32 vcc, v10, v11
	s_and_b64 s[38:39], vcc, s[38:39]
	s_orn2_b64 s[40:41], s[38:39], exec
	s_and_b64 s[46:47], vcc, exec
; %bb.94:                               ;   in Loop: Header=BB1239_92 Depth=1
	s_or_b64 exec, exec, s[42:43]
	s_andn2_b64 s[34:35], s[34:35], exec
	s_and_b64 s[38:39], s[40:41], exec
	s_mov_b64 s[44:45], -1
	s_or_b64 s[34:35], s[34:35], s[38:39]
                                        ; implicit-def: $sgpr38_sgpr39
	s_and_saveexec_b64 s[42:43], s[46:47]
	s_cbranch_execz .LBB1239_91
; %bb.95:                               ;   in Loop: Header=BB1239_92 Depth=1
	s_add_u32 s36, s36, -1
	v_add_co_u32_e32 v4, vcc, 2, v4
	s_addc_u32 s37, s37, -1
	v_addc_co_u32_e32 v5, vcc, 0, v5, vcc
	s_cmp_eq_u64 s[36:37], 0
	v_add_co_u32_e32 v6, vcc, 2, v6
	s_cselect_b64 s[44:45], -1, 0
	v_addc_co_u32_e32 v7, vcc, 0, v7, vcc
	s_and_b64 s[38:39], s[40:41], exec
	s_andn2_b64 s[34:35], s[34:35], exec
	s_orn2_b64 s[44:45], s[44:45], exec
	s_branch .LBB1239_91
.LBB1239_96:
	s_or_b64 exec, exec, s[28:29]
	s_xor_b64 s[28:29], s[30:31], -1
	s_andn2_b64 s[2:3], s[2:3], exec
	s_and_b64 s[28:29], s[28:29], exec
	s_or_b64 s[2:3], s[2:3], s[28:29]
.LBB1239_97:
	s_or_b64 exec, exec, s[4:5]
	v_cndmask_b32_e64 v4, v9, v8, s[2:3]
	v_cndmask_b32_e64 v5, v19, v18, s[2:3]
	v_add_u32_e32 v6, 1, v4
	v_add_u32_e32 v4, -1, v5
	v_min_u32_e32 v4, v6, v4
	v_lshl_add_u32 v4, v4, 3, v14
	ds_read_b64 v[4:5], v4
	v_cndmask_b32_e64 v9, v6, v9, s[2:3]
	v_cndmask_b32_e64 v8, v8, v6, s[2:3]
	v_cmp_lt_u32_e32 vcc, v9, v19
	s_mov_b64 s[4:5], -1
	s_waitcnt lgkmcnt(0)
	v_cndmask_b32_e64 v10, v5, v3, s[2:3]
	v_cndmask_b32_e64 v11, v4, v2, s[2:3]
	;; [unrolled: 1-line block ×4, first 2 shown]
	s_mov_b64 s[28:29], -1
	s_and_saveexec_b64 s[30:31], vcc
	s_cbranch_execz .LBB1239_107
; %bb.98:
	v_cmp_lt_u32_e64 s[28:29], v8, v18
	s_xor_b64 s[34:35], s[24:25], -1
	s_and_b64 s[36:37], s[28:29], s[34:35]
	s_and_saveexec_b64 s[34:35], s[36:37]
	s_cbranch_execz .LBB1239_106
; %bb.99:
	v_mul_lo_u32 v6, v10, s12
	v_mul_lo_u32 v7, v11, s13
	v_mad_u64_u32 v[4:5], s[36:37], v11, s12, 0
	v_add3_u32 v5, v5, v7, v6
	v_lshlrev_b64 v[4:5], 1, v[4:5]
	v_mov_b32_e32 v6, s15
	v_add_co_u32_e32 v4, vcc, s14, v4
	v_addc_co_u32_e32 v5, vcc, v6, v5, vcc
	v_mul_lo_u32 v33, v20, s12
	v_mul_lo_u32 v34, v21, s13
	v_mad_u64_u32 v[6:7], s[36:37], v21, s12, 0
	v_add3_u32 v7, v7, v34, v33
	v_lshlrev_b64 v[6:7], 1, v[6:7]
	v_mov_b32_e32 v33, s15
	v_add_co_u32_e32 v6, vcc, s14, v6
	v_addc_co_u32_e32 v7, vcc, v33, v7, vcc
	s_mov_b64 s[36:37], 0
	s_mov_b64 s[42:43], s[12:13]
                                        ; implicit-def: $sgpr38_sgpr39
                                        ; implicit-def: $sgpr40_sgpr41
                                        ; implicit-def: $sgpr44_sgpr45
	s_branch .LBB1239_101
.LBB1239_100:                           ;   in Loop: Header=BB1239_101 Depth=1
	s_or_b64 exec, exec, s[48:49]
	s_and_b64 s[46:47], exec, s[50:51]
	s_or_b64 s[36:37], s[46:47], s[36:37]
	s_andn2_b64 s[38:39], s[38:39], exec
	s_and_b64 s[46:47], s[40:41], exec
	s_or_b64 s[38:39], s[38:39], s[46:47]
	s_andn2_b64 exec, exec, s[36:37]
	s_cbranch_execz .LBB1239_105
.LBB1239_101:                           ; =>This Inner Loop Header: Depth=1
	global_load_ushort v33, v[4:5], off
	global_load_ushort v34, v[6:7], off
	s_mov_b64 s[52:53], 0
	s_mov_b64 s[46:47], -1
	s_waitcnt vmcnt(0)
	v_cmp_nlt_f16_e32 vcc, v33, v34
	s_and_saveexec_b64 s[48:49], vcc
; %bb.102:                              ;   in Loop: Header=BB1239_101 Depth=1
	v_cmp_ngt_f16_e32 vcc, v33, v34
	s_and_b64 s[44:45], vcc, s[44:45]
	s_orn2_b64 s[46:47], s[44:45], exec
	s_and_b64 s[52:53], vcc, exec
; %bb.103:                              ;   in Loop: Header=BB1239_101 Depth=1
	s_or_b64 exec, exec, s[48:49]
	s_andn2_b64 s[40:41], s[40:41], exec
	s_and_b64 s[44:45], s[46:47], exec
	s_mov_b64 s[50:51], -1
	s_or_b64 s[40:41], s[40:41], s[44:45]
                                        ; implicit-def: $sgpr44_sgpr45
	s_and_saveexec_b64 s[48:49], s[52:53]
	s_cbranch_execz .LBB1239_100
; %bb.104:                              ;   in Loop: Header=BB1239_101 Depth=1
	s_add_u32 s42, s42, -1
	v_add_co_u32_e32 v4, vcc, 2, v4
	s_addc_u32 s43, s43, -1
	v_addc_co_u32_e32 v5, vcc, 0, v5, vcc
	s_cmp_eq_u64 s[42:43], 0
	v_add_co_u32_e32 v6, vcc, 2, v6
	s_cselect_b64 s[50:51], -1, 0
	v_addc_co_u32_e32 v7, vcc, 0, v7, vcc
	s_and_b64 s[44:45], s[46:47], exec
	s_andn2_b64 s[40:41], s[40:41], exec
	s_orn2_b64 s[50:51], s[50:51], exec
	s_branch .LBB1239_100
.LBB1239_105:
	s_or_b64 exec, exec, s[36:37]
	s_xor_b64 s[36:37], s[38:39], -1
	s_andn2_b64 s[28:29], s[28:29], exec
	s_and_b64 s[36:37], s[36:37], exec
	s_or_b64 s[28:29], s[28:29], s[36:37]
.LBB1239_106:
	s_or_b64 exec, exec, s[34:35]
	s_orn2_b64 s[28:29], s[28:29], exec
.LBB1239_107:
	s_or_b64 exec, exec, s[30:31]
	v_cndmask_b32_e64 v4, v9, v8, s[28:29]
	v_cndmask_b32_e64 v5, v19, v18, s[28:29]
	v_add_u32_e32 v6, 1, v4
	v_add_u32_e32 v4, -1, v5
	v_min_u32_e32 v4, v6, v4
	v_lshl_add_u32 v4, v4, 3, v14
	ds_read_b64 v[4:5], v4
	v_cndmask_b32_e64 v9, v6, v9, s[28:29]
	v_cndmask_b32_e64 v8, v8, v6, s[28:29]
	v_cmp_lt_u32_e32 vcc, v9, v19
	s_waitcnt lgkmcnt(0)
	v_cndmask_b32_e64 v33, v5, v10, s[28:29]
	v_cndmask_b32_e64 v34, v4, v11, s[28:29]
	v_cndmask_b32_e64 v35, v20, v5, s[28:29]
	v_cndmask_b32_e64 v36, v21, v4, s[28:29]
	s_and_saveexec_b64 s[30:31], vcc
	s_cbranch_execz .LBB1239_117
; %bb.108:
	v_cmp_lt_u32_e64 s[4:5], v8, v18
	s_xor_b64 s[34:35], s[24:25], -1
	s_and_b64 s[36:37], s[4:5], s[34:35]
	s_and_saveexec_b64 s[34:35], s[36:37]
	s_cbranch_execz .LBB1239_116
; %bb.109:
	v_mul_lo_u32 v6, v33, s12
	v_mul_lo_u32 v7, v34, s13
	v_mad_u64_u32 v[4:5], s[36:37], v34, s12, 0
	v_add3_u32 v5, v5, v7, v6
	v_lshlrev_b64 v[4:5], 1, v[4:5]
	v_mov_b32_e32 v6, s15
	v_add_co_u32_e32 v4, vcc, s14, v4
	v_addc_co_u32_e32 v5, vcc, v6, v5, vcc
	v_mul_lo_u32 v37, v35, s12
	v_mul_lo_u32 v38, v36, s13
	v_mad_u64_u32 v[6:7], s[36:37], v36, s12, 0
	v_add3_u32 v7, v7, v38, v37
	v_lshlrev_b64 v[6:7], 1, v[6:7]
	v_mov_b32_e32 v37, s15
	v_add_co_u32_e32 v6, vcc, s14, v6
	v_addc_co_u32_e32 v7, vcc, v37, v7, vcc
	s_mov_b64 s[36:37], 0
	s_mov_b64 s[42:43], s[12:13]
                                        ; implicit-def: $sgpr38_sgpr39
                                        ; implicit-def: $sgpr40_sgpr41
                                        ; implicit-def: $sgpr44_sgpr45
	s_branch .LBB1239_111
.LBB1239_110:                           ;   in Loop: Header=BB1239_111 Depth=1
	s_or_b64 exec, exec, s[48:49]
	s_and_b64 s[46:47], exec, s[50:51]
	s_or_b64 s[36:37], s[46:47], s[36:37]
	s_andn2_b64 s[38:39], s[38:39], exec
	s_and_b64 s[46:47], s[40:41], exec
	s_or_b64 s[38:39], s[38:39], s[46:47]
	s_andn2_b64 exec, exec, s[36:37]
	s_cbranch_execz .LBB1239_115
.LBB1239_111:                           ; =>This Inner Loop Header: Depth=1
	global_load_ushort v37, v[4:5], off
	global_load_ushort v38, v[6:7], off
	s_mov_b64 s[52:53], 0
	s_mov_b64 s[46:47], -1
	s_waitcnt vmcnt(0)
	v_cmp_nlt_f16_e32 vcc, v37, v38
	s_and_saveexec_b64 s[48:49], vcc
; %bb.112:                              ;   in Loop: Header=BB1239_111 Depth=1
	v_cmp_ngt_f16_e32 vcc, v37, v38
	s_and_b64 s[44:45], vcc, s[44:45]
	s_orn2_b64 s[46:47], s[44:45], exec
	s_and_b64 s[52:53], vcc, exec
; %bb.113:                              ;   in Loop: Header=BB1239_111 Depth=1
	s_or_b64 exec, exec, s[48:49]
	s_andn2_b64 s[40:41], s[40:41], exec
	s_and_b64 s[44:45], s[46:47], exec
	s_mov_b64 s[50:51], -1
	s_or_b64 s[40:41], s[40:41], s[44:45]
                                        ; implicit-def: $sgpr44_sgpr45
	s_and_saveexec_b64 s[48:49], s[52:53]
	s_cbranch_execz .LBB1239_110
; %bb.114:                              ;   in Loop: Header=BB1239_111 Depth=1
	s_add_u32 s42, s42, -1
	v_add_co_u32_e32 v4, vcc, 2, v4
	s_addc_u32 s43, s43, -1
	v_addc_co_u32_e32 v5, vcc, 0, v5, vcc
	s_cmp_eq_u64 s[42:43], 0
	v_add_co_u32_e32 v6, vcc, 2, v6
	s_cselect_b64 s[50:51], -1, 0
	v_addc_co_u32_e32 v7, vcc, 0, v7, vcc
	s_and_b64 s[44:45], s[46:47], exec
	s_andn2_b64 s[40:41], s[40:41], exec
	s_orn2_b64 s[50:51], s[50:51], exec
	s_branch .LBB1239_110
.LBB1239_115:
	s_or_b64 exec, exec, s[36:37]
	s_xor_b64 s[36:37], s[38:39], -1
	s_andn2_b64 s[4:5], s[4:5], exec
	s_and_b64 s[36:37], s[36:37], exec
	s_or_b64 s[4:5], s[4:5], s[36:37]
.LBB1239_116:
	s_or_b64 exec, exec, s[34:35]
	s_orn2_b64 s[4:5], s[4:5], exec
.LBB1239_117:
	s_or_b64 exec, exec, s[30:31]
	v_cndmask_b32_e64 v4, v9, v8, s[4:5]
	v_cndmask_b32_e64 v5, v19, v18, s[4:5]
	v_add_u32_e32 v38, 1, v4
	v_add_u32_e32 v4, -1, v5
	v_min_u32_e32 v4, v38, v4
	v_lshl_add_u32 v4, v4, 3, v14
	ds_read_b64 v[4:5], v4
	v_cndmask_b32_e64 v9, v38, v9, s[4:5]
	v_cmp_lt_u32_e32 vcc, v9, v19
	s_waitcnt lgkmcnt(0)
	v_cndmask_b32_e64 v7, v35, v5, s[4:5]
	v_cndmask_b32_e64 v6, v36, v4, s[4:5]
	s_and_saveexec_b64 s[30:31], vcc
	s_cbranch_execz .LBB1239_127
; %bb.118:
	v_cndmask_b32_e64 v37, v4, v34, s[4:5]
	v_cndmask_b32_e64 v4, v8, v38, s[4:5]
	v_cmp_ge_u32_e32 vcc, v4, v18
	v_cndmask_b32_e64 v19, v5, v33, s[4:5]
	s_or_b64 s[34:35], vcc, s[24:25]
	v_cndmask_b32_e32 v5, v7, v19, vcc
	s_xor_b64 s[36:37], s[34:35], -1
	v_cndmask_b32_e32 v4, v6, v37, vcc
	s_and_saveexec_b64 s[34:35], s[36:37]
	s_cbranch_execz .LBB1239_126
; %bb.119:
	v_mul_lo_u32 v8, v19, s12
	v_mul_lo_u32 v9, v37, s13
	v_mad_u64_u32 v[4:5], s[36:37], v37, s12, 0
	v_add3_u32 v5, v5, v9, v8
	v_lshlrev_b64 v[4:5], 1, v[4:5]
	v_mov_b32_e32 v8, s15
	v_add_co_u32_e32 v4, vcc, s14, v4
	v_addc_co_u32_e32 v5, vcc, v8, v5, vcc
	v_mul_lo_u32 v18, v7, s12
	v_mul_lo_u32 v38, v6, s13
	v_mad_u64_u32 v[8:9], s[36:37], v6, s12, 0
	v_add3_u32 v9, v9, v38, v18
	v_lshlrev_b64 v[8:9], 1, v[8:9]
	v_mov_b32_e32 v18, s15
	v_add_co_u32_e32 v8, vcc, s14, v8
	v_addc_co_u32_e32 v9, vcc, v18, v9, vcc
	s_mov_b64 s[36:37], 0
	s_mov_b64 s[42:43], s[12:13]
                                        ; implicit-def: $sgpr38_sgpr39
                                        ; implicit-def: $sgpr40_sgpr41
                                        ; implicit-def: $sgpr44_sgpr45
	s_branch .LBB1239_121
.LBB1239_120:                           ;   in Loop: Header=BB1239_121 Depth=1
	s_or_b64 exec, exec, s[48:49]
	s_and_b64 s[46:47], exec, s[50:51]
	s_or_b64 s[36:37], s[46:47], s[36:37]
	s_andn2_b64 s[38:39], s[38:39], exec
	s_and_b64 s[46:47], s[40:41], exec
	s_or_b64 s[38:39], s[38:39], s[46:47]
	s_andn2_b64 exec, exec, s[36:37]
	s_cbranch_execz .LBB1239_125
.LBB1239_121:                           ; =>This Inner Loop Header: Depth=1
	global_load_ushort v18, v[4:5], off
	global_load_ushort v38, v[8:9], off
	s_mov_b64 s[52:53], 0
	s_mov_b64 s[46:47], -1
	s_waitcnt vmcnt(0)
	v_cmp_nlt_f16_e32 vcc, v18, v38
	s_and_saveexec_b64 s[48:49], vcc
; %bb.122:                              ;   in Loop: Header=BB1239_121 Depth=1
	v_cmp_ngt_f16_e32 vcc, v18, v38
	s_and_b64 s[44:45], vcc, s[44:45]
	s_orn2_b64 s[46:47], s[44:45], exec
	s_and_b64 s[52:53], vcc, exec
; %bb.123:                              ;   in Loop: Header=BB1239_121 Depth=1
	s_or_b64 exec, exec, s[48:49]
	s_andn2_b64 s[40:41], s[40:41], exec
	s_and_b64 s[44:45], s[46:47], exec
	s_mov_b64 s[50:51], -1
	s_or_b64 s[40:41], s[40:41], s[44:45]
                                        ; implicit-def: $sgpr44_sgpr45
	s_and_saveexec_b64 s[48:49], s[52:53]
	s_cbranch_execz .LBB1239_120
; %bb.124:                              ;   in Loop: Header=BB1239_121 Depth=1
	s_add_u32 s42, s42, -1
	v_add_co_u32_e32 v4, vcc, 2, v4
	s_addc_u32 s43, s43, -1
	v_addc_co_u32_e32 v5, vcc, 0, v5, vcc
	s_cmp_eq_u64 s[42:43], 0
	v_add_co_u32_e32 v8, vcc, 2, v8
	s_cselect_b64 s[50:51], -1, 0
	v_addc_co_u32_e32 v9, vcc, 0, v9, vcc
	s_and_b64 s[44:45], s[46:47], exec
	s_andn2_b64 s[40:41], s[40:41], exec
	s_orn2_b64 s[50:51], s[50:51], exec
	s_branch .LBB1239_120
.LBB1239_125:
	s_or_b64 exec, exec, s[36:37]
	v_cndmask_b32_e64 v5, v7, v19, s[38:39]
	v_cndmask_b32_e64 v4, v6, v37, s[38:39]
.LBB1239_126:
	s_or_b64 exec, exec, s[34:35]
	v_pk_mov_b32 v[6:7], v[4:5], v[4:5] op_sel:[0,1]
.LBB1239_127:
	s_or_b64 exec, exec, s[30:31]
	v_cndmask_b32_e64 v1, v3, v1, s[2:3]
	v_cndmask_b32_e64 v0, v2, v0, s[2:3]
	;; [unrolled: 1-line block ×6, first 2 shown]
.LBB1239_128:
	s_or_b64 exec, exec, s[26:27]
	v_and_b32_e32 v21, 0x1f0, v16
	v_or_b32_e32 v8, 8, v21
	v_min_u32_e32 v18, v15, v8
	v_add_u32_e32 v8, 8, v18
	v_min_u32_e32 v19, v15, v8
	v_and_b32_e32 v8, 12, v16
	v_min_u32_e32 v33, v15, v8
	v_sub_u32_e32 v8, v18, v21
	v_sub_u32_e32 v9, v19, v18
	v_sub_u32_e64 v34, v33, v9 clamp
	v_min_u32_e32 v35, v33, v8
	v_lshl_add_u32 v20, v21, 3, v14
	v_cmp_lt_u32_e32 vcc, v34, v35
	; wave barrier
	ds_write_b128 v17, v[0:3]
	ds_write_b128 v17, v[4:7] offset:16
	; wave barrier
	s_and_saveexec_b64 s[2:3], vcc
	s_cbranch_execz .LBB1239_140
; %bb.129:
	v_lshlrev_b32_e32 v8, 3, v18
	v_lshlrev_b32_e32 v9, 3, v33
	v_add3_u32 v36, v14, v8, v9
	s_lshl_b64 s[26:27], s[12:13], 1
	s_mov_b64 s[4:5], 0
	s_branch .LBB1239_132
.LBB1239_130:                           ;   in Loop: Header=BB1239_132 Depth=1
	s_or_b64 exec, exec, s[30:31]
.LBB1239_131:                           ;   in Loop: Header=BB1239_132 Depth=1
	v_add_u32_e32 v8, 1, v37
	v_cndmask_b32_e64 v35, v35, v37, s[28:29]
	v_cndmask_b32_e64 v34, v8, v34, s[28:29]
	v_cmp_ge_u32_e32 vcc, v34, v35
	s_or_b64 s[4:5], vcc, s[4:5]
	s_andn2_b64 exec, exec, s[4:5]
	s_cbranch_execz .LBB1239_139
.LBB1239_132:                           ; =>This Loop Header: Depth=1
                                        ;     Child Loop BB1239_135 Depth 2
	v_add_u32_e32 v8, v35, v34
	v_lshrrev_b32_e32 v37, 1, v8
	s_and_b64 vcc, exec, s[0:1]
	s_mov_b64 s[28:29], 0
	s_cbranch_vccnz .LBB1239_131
; %bb.133:                              ;   in Loop: Header=BB1239_132 Depth=1
	v_not_b32_e32 v8, v37
	v_lshl_add_u32 v8, v8, 3, v36
	ds_read_b64 v[8:9], v8
	v_lshl_add_u32 v38, v37, 3, v20
	ds_read_b64 v[38:39], v38
	v_pk_mov_b32 v[10:11], s[14:15], s[14:15] op_sel:[0,1]
	s_mov_b64 s[30:31], 0
	s_waitcnt lgkmcnt(1)
	v_mul_lo_u32 v40, s26, v9
	v_mul_lo_u32 v41, s27, v8
	v_mad_u64_u32 v[8:9], s[28:29], s26, v8, v[10:11]
	v_add3_u32 v9, v41, v9, v40
	s_waitcnt lgkmcnt(0)
	v_mul_lo_u32 v39, s26, v39
	v_mul_lo_u32 v40, s27, v38
	v_mad_u64_u32 v[10:11], s[28:29], s26, v38, v[10:11]
	v_add3_u32 v11, v40, v11, v39
	s_mov_b64 s[36:37], s[12:13]
                                        ; implicit-def: $sgpr28_sgpr29
                                        ; implicit-def: $sgpr34_sgpr35
                                        ; implicit-def: $sgpr38_sgpr39
	s_branch .LBB1239_135
.LBB1239_134:                           ;   in Loop: Header=BB1239_135 Depth=2
	s_or_b64 exec, exec, s[44:45]
	s_and_b64 s[40:41], exec, s[40:41]
	s_or_b64 s[30:31], s[40:41], s[30:31]
	s_andn2_b64 s[28:29], s[28:29], exec
	s_and_b64 s[40:41], s[34:35], exec
	s_or_b64 s[28:29], s[28:29], s[40:41]
	s_andn2_b64 exec, exec, s[30:31]
	s_cbranch_execz .LBB1239_130
.LBB1239_135:                           ;   Parent Loop BB1239_132 Depth=1
                                        ; =>  This Inner Loop Header: Depth=2
	global_load_ushort v38, v[8:9], off
	global_load_ushort v39, v[10:11], off
	s_mov_b64 s[40:41], -1
	s_mov_b64 s[46:47], 0
	s_mov_b64 s[42:43], -1
	s_waitcnt vmcnt(0)
	v_cmp_nlt_f16_e32 vcc, v38, v39
	s_and_saveexec_b64 s[44:45], vcc
; %bb.136:                              ;   in Loop: Header=BB1239_135 Depth=2
	v_cmp_ngt_f16_e32 vcc, v38, v39
	s_and_b64 s[38:39], vcc, s[38:39]
	s_orn2_b64 s[42:43], s[38:39], exec
	s_and_b64 s[46:47], vcc, exec
; %bb.137:                              ;   in Loop: Header=BB1239_135 Depth=2
	s_or_b64 exec, exec, s[44:45]
	s_andn2_b64 s[34:35], s[34:35], exec
	s_and_b64 s[38:39], s[42:43], exec
	s_or_b64 s[34:35], s[34:35], s[38:39]
                                        ; implicit-def: $sgpr38_sgpr39
	s_and_saveexec_b64 s[44:45], s[46:47]
	s_cbranch_execz .LBB1239_134
; %bb.138:                              ;   in Loop: Header=BB1239_135 Depth=2
	s_add_u32 s36, s36, -1
	v_add_co_u32_e32 v8, vcc, 2, v8
	s_addc_u32 s37, s37, -1
	v_addc_co_u32_e32 v9, vcc, 0, v9, vcc
	s_cmp_eq_u64 s[36:37], 0
	v_add_co_u32_e32 v10, vcc, 2, v10
	s_cselect_b64 s[40:41], -1, 0
	v_addc_co_u32_e32 v11, vcc, 0, v11, vcc
	s_andn2_b64 s[34:35], s[34:35], exec
	s_and_b64 s[38:39], s[42:43], exec
	s_orn2_b64 s[40:41], s[40:41], exec
	s_branch .LBB1239_134
.LBB1239_139:
	s_or_b64 exec, exec, s[4:5]
.LBB1239_140:
	s_or_b64 exec, exec, s[2:3]
	v_add_u32_e32 v8, v18, v33
	v_add_u32_e32 v21, v34, v21
	v_sub_u32_e32 v33, v8, v34
	v_cmp_le_u32_e32 vcc, v21, v18
	v_cmp_le_u32_e64 s[2:3], v33, v19
	s_or_b64 s[2:3], vcc, s[2:3]
	s_and_saveexec_b64 s[26:27], s[2:3]
	s_cbranch_execz .LBB1239_184
; %bb.141:
	v_cmp_ge_u32_e32 vcc, v21, v18
	v_cmp_lt_u32_e64 s[2:3], v21, v18
                                        ; implicit-def: $vgpr0_vgpr1
	s_and_saveexec_b64 s[4:5], s[2:3]
	s_cbranch_execz .LBB1239_143
; %bb.142:
	v_lshl_add_u32 v0, v34, 3, v20
	ds_read_b64 v[0:1], v0
.LBB1239_143:
	s_or_b64 exec, exec, s[4:5]
	v_cmp_ge_u32_e64 s[2:3], v33, v19
	v_cmp_lt_u32_e64 s[4:5], v33, v19
                                        ; implicit-def: $vgpr4_vgpr5
	s_and_saveexec_b64 s[28:29], s[4:5]
	s_cbranch_execz .LBB1239_145
; %bb.144:
	v_lshl_add_u32 v2, v33, 3, v14
	ds_read_b64 v[4:5], v2
.LBB1239_145:
	s_or_b64 exec, exec, s[28:29]
	s_or_b64 s[4:5], vcc, s[2:3]
	s_or_b64 s[4:5], s[4:5], s[24:25]
	s_xor_b64 s[28:29], s[4:5], -1
	s_xor_b64 s[4:5], vcc, -1
	s_or_b64 s[2:3], s[2:3], s[4:5]
	s_and_saveexec_b64 s[4:5], s[28:29]
	s_cbranch_execz .LBB1239_153
; %bb.146:
	s_waitcnt lgkmcnt(0)
	v_mul_lo_u32 v6, v5, s12
	v_mul_lo_u32 v7, v4, s13
	v_mad_u64_u32 v[2:3], s[28:29], v4, s12, 0
	v_add3_u32 v3, v3, v7, v6
	v_lshlrev_b64 v[2:3], 1, v[2:3]
	v_mov_b32_e32 v6, s15
	v_add_co_u32_e32 v2, vcc, s14, v2
	v_addc_co_u32_e32 v3, vcc, v6, v3, vcc
	v_mul_lo_u32 v8, v1, s12
	v_mul_lo_u32 v9, v0, s13
	v_mad_u64_u32 v[6:7], s[28:29], v0, s12, 0
	v_add3_u32 v7, v7, v9, v8
	v_lshlrev_b64 v[6:7], 1, v[6:7]
	v_mov_b32_e32 v8, s15
	v_add_co_u32_e32 v6, vcc, s14, v6
	v_addc_co_u32_e32 v7, vcc, v8, v7, vcc
	s_mov_b64 s[28:29], 0
	s_mov_b64 s[36:37], s[12:13]
                                        ; implicit-def: $sgpr30_sgpr31
                                        ; implicit-def: $sgpr34_sgpr35
                                        ; implicit-def: $sgpr38_sgpr39
	s_branch .LBB1239_148
.LBB1239_147:                           ;   in Loop: Header=BB1239_148 Depth=1
	s_or_b64 exec, exec, s[42:43]
	s_and_b64 s[40:41], exec, s[44:45]
	s_or_b64 s[28:29], s[40:41], s[28:29]
	s_andn2_b64 s[30:31], s[30:31], exec
	s_and_b64 s[40:41], s[34:35], exec
	s_or_b64 s[30:31], s[30:31], s[40:41]
	s_andn2_b64 exec, exec, s[28:29]
	s_cbranch_execz .LBB1239_152
.LBB1239_148:                           ; =>This Inner Loop Header: Depth=1
	global_load_ushort v8, v[2:3], off
	global_load_ushort v9, v[6:7], off
	s_mov_b64 s[46:47], 0
	s_mov_b64 s[40:41], -1
	s_waitcnt vmcnt(0)
	v_cmp_nlt_f16_e32 vcc, v8, v9
	s_and_saveexec_b64 s[42:43], vcc
; %bb.149:                              ;   in Loop: Header=BB1239_148 Depth=1
	v_cmp_ngt_f16_e32 vcc, v8, v9
	s_and_b64 s[38:39], vcc, s[38:39]
	s_orn2_b64 s[40:41], s[38:39], exec
	s_and_b64 s[46:47], vcc, exec
; %bb.150:                              ;   in Loop: Header=BB1239_148 Depth=1
	s_or_b64 exec, exec, s[42:43]
	s_andn2_b64 s[34:35], s[34:35], exec
	s_and_b64 s[38:39], s[40:41], exec
	s_mov_b64 s[44:45], -1
	s_or_b64 s[34:35], s[34:35], s[38:39]
                                        ; implicit-def: $sgpr38_sgpr39
	s_and_saveexec_b64 s[42:43], s[46:47]
	s_cbranch_execz .LBB1239_147
; %bb.151:                              ;   in Loop: Header=BB1239_148 Depth=1
	s_add_u32 s36, s36, -1
	v_add_co_u32_e32 v2, vcc, 2, v2
	s_addc_u32 s37, s37, -1
	v_addc_co_u32_e32 v3, vcc, 0, v3, vcc
	s_cmp_eq_u64 s[36:37], 0
	v_add_co_u32_e32 v6, vcc, 2, v6
	s_cselect_b64 s[44:45], -1, 0
	v_addc_co_u32_e32 v7, vcc, 0, v7, vcc
	s_and_b64 s[38:39], s[40:41], exec
	s_andn2_b64 s[34:35], s[34:35], exec
	s_orn2_b64 s[44:45], s[44:45], exec
	s_branch .LBB1239_147
.LBB1239_152:
	s_or_b64 exec, exec, s[28:29]
	s_xor_b64 s[28:29], s[30:31], -1
	s_andn2_b64 s[2:3], s[2:3], exec
	s_and_b64 s[28:29], s[28:29], exec
	s_or_b64 s[2:3], s[2:3], s[28:29]
.LBB1239_153:
	s_or_b64 exec, exec, s[4:5]
	v_cndmask_b32_e64 v2, v33, v21, s[2:3]
	v_cndmask_b32_e64 v3, v19, v18, s[2:3]
	v_add_u32_e32 v6, 1, v2
	v_add_u32_e32 v2, -1, v3
	v_min_u32_e32 v2, v6, v2
	v_lshl_add_u32 v2, v2, 3, v14
	ds_read_b64 v[2:3], v2
	v_cndmask_b32_e64 v33, v6, v33, s[2:3]
	v_cndmask_b32_e64 v37, v21, v6, s[2:3]
	v_cmp_lt_u32_e32 vcc, v33, v19
	s_mov_b64 s[4:5], -1
	s_waitcnt lgkmcnt(0)
	v_cndmask_b32_e64 v8, v3, v5, s[2:3]
	v_cndmask_b32_e64 v9, v2, v4, s[2:3]
	;; [unrolled: 1-line block ×4, first 2 shown]
	s_mov_b64 s[28:29], -1
	s_and_saveexec_b64 s[30:31], vcc
	s_cbranch_execz .LBB1239_163
; %bb.154:
	v_cmp_lt_u32_e64 s[28:29], v37, v18
	s_xor_b64 s[34:35], s[24:25], -1
	s_and_b64 s[36:37], s[28:29], s[34:35]
	s_and_saveexec_b64 s[34:35], s[36:37]
	s_cbranch_execz .LBB1239_162
; %bb.155:
	v_mul_lo_u32 v6, v8, s12
	v_mul_lo_u32 v7, v9, s13
	v_mad_u64_u32 v[2:3], s[36:37], v9, s12, 0
	v_add3_u32 v3, v3, v7, v6
	v_lshlrev_b64 v[2:3], 1, v[2:3]
	v_mov_b32_e32 v6, s15
	v_add_co_u32_e32 v2, vcc, s14, v2
	v_addc_co_u32_e32 v3, vcc, v6, v3, vcc
	v_mul_lo_u32 v20, v10, s12
	v_mul_lo_u32 v21, v11, s13
	v_mad_u64_u32 v[6:7], s[36:37], v11, s12, 0
	v_add3_u32 v7, v7, v21, v20
	v_lshlrev_b64 v[6:7], 1, v[6:7]
	v_mov_b32_e32 v20, s15
	v_add_co_u32_e32 v6, vcc, s14, v6
	v_addc_co_u32_e32 v7, vcc, v20, v7, vcc
	s_mov_b64 s[36:37], 0
	s_mov_b64 s[42:43], s[12:13]
                                        ; implicit-def: $sgpr38_sgpr39
                                        ; implicit-def: $sgpr40_sgpr41
                                        ; implicit-def: $sgpr44_sgpr45
	s_branch .LBB1239_157
.LBB1239_156:                           ;   in Loop: Header=BB1239_157 Depth=1
	s_or_b64 exec, exec, s[48:49]
	s_and_b64 s[46:47], exec, s[50:51]
	s_or_b64 s[36:37], s[46:47], s[36:37]
	s_andn2_b64 s[38:39], s[38:39], exec
	s_and_b64 s[46:47], s[40:41], exec
	s_or_b64 s[38:39], s[38:39], s[46:47]
	s_andn2_b64 exec, exec, s[36:37]
	s_cbranch_execz .LBB1239_161
.LBB1239_157:                           ; =>This Inner Loop Header: Depth=1
	global_load_ushort v20, v[2:3], off
	global_load_ushort v21, v[6:7], off
	s_mov_b64 s[52:53], 0
	s_mov_b64 s[46:47], -1
	s_waitcnt vmcnt(0)
	v_cmp_nlt_f16_e32 vcc, v20, v21
	s_and_saveexec_b64 s[48:49], vcc
; %bb.158:                              ;   in Loop: Header=BB1239_157 Depth=1
	v_cmp_ngt_f16_e32 vcc, v20, v21
	s_and_b64 s[44:45], vcc, s[44:45]
	s_orn2_b64 s[46:47], s[44:45], exec
	s_and_b64 s[52:53], vcc, exec
; %bb.159:                              ;   in Loop: Header=BB1239_157 Depth=1
	s_or_b64 exec, exec, s[48:49]
	s_andn2_b64 s[40:41], s[40:41], exec
	s_and_b64 s[44:45], s[46:47], exec
	s_mov_b64 s[50:51], -1
	s_or_b64 s[40:41], s[40:41], s[44:45]
                                        ; implicit-def: $sgpr44_sgpr45
	s_and_saveexec_b64 s[48:49], s[52:53]
	s_cbranch_execz .LBB1239_156
; %bb.160:                              ;   in Loop: Header=BB1239_157 Depth=1
	s_add_u32 s42, s42, -1
	v_add_co_u32_e32 v2, vcc, 2, v2
	s_addc_u32 s43, s43, -1
	v_addc_co_u32_e32 v3, vcc, 0, v3, vcc
	s_cmp_eq_u64 s[42:43], 0
	v_add_co_u32_e32 v6, vcc, 2, v6
	s_cselect_b64 s[50:51], -1, 0
	v_addc_co_u32_e32 v7, vcc, 0, v7, vcc
	s_and_b64 s[44:45], s[46:47], exec
	s_andn2_b64 s[40:41], s[40:41], exec
	s_orn2_b64 s[50:51], s[50:51], exec
	s_branch .LBB1239_156
.LBB1239_161:
	s_or_b64 exec, exec, s[36:37]
	s_xor_b64 s[36:37], s[38:39], -1
	s_andn2_b64 s[28:29], s[28:29], exec
	s_and_b64 s[36:37], s[36:37], exec
	s_or_b64 s[28:29], s[28:29], s[36:37]
.LBB1239_162:
	s_or_b64 exec, exec, s[34:35]
	s_orn2_b64 s[28:29], s[28:29], exec
.LBB1239_163:
	s_or_b64 exec, exec, s[30:31]
	v_cndmask_b32_e64 v2, v33, v37, s[28:29]
	v_cndmask_b32_e64 v3, v19, v18, s[28:29]
	v_add_u32_e32 v6, 1, v2
	v_add_u32_e32 v2, -1, v3
	v_min_u32_e32 v2, v6, v2
	v_lshl_add_u32 v2, v2, 3, v14
	ds_read_b64 v[2:3], v2
	v_cndmask_b32_e64 v34, v6, v33, s[28:29]
	v_cndmask_b32_e64 v33, v37, v6, s[28:29]
	v_cmp_lt_u32_e32 vcc, v34, v19
	s_waitcnt lgkmcnt(0)
	v_cndmask_b32_e64 v20, v3, v8, s[28:29]
	v_cndmask_b32_e64 v21, v2, v9, s[28:29]
	;; [unrolled: 1-line block ×4, first 2 shown]
	s_and_saveexec_b64 s[30:31], vcc
	s_cbranch_execz .LBB1239_173
; %bb.164:
	v_cmp_lt_u32_e64 s[4:5], v33, v18
	s_xor_b64 s[34:35], s[24:25], -1
	s_and_b64 s[36:37], s[4:5], s[34:35]
	s_and_saveexec_b64 s[34:35], s[36:37]
	s_cbranch_execz .LBB1239_172
; %bb.165:
	v_mul_lo_u32 v6, v20, s12
	v_mul_lo_u32 v7, v21, s13
	v_mad_u64_u32 v[2:3], s[36:37], v21, s12, 0
	v_add3_u32 v3, v3, v7, v6
	v_lshlrev_b64 v[2:3], 1, v[2:3]
	v_mov_b32_e32 v6, s15
	v_add_co_u32_e32 v2, vcc, s14, v2
	v_addc_co_u32_e32 v3, vcc, v6, v3, vcc
	v_mul_lo_u32 v37, v35, s12
	v_mul_lo_u32 v38, v36, s13
	v_mad_u64_u32 v[6:7], s[36:37], v36, s12, 0
	v_add3_u32 v7, v7, v38, v37
	v_lshlrev_b64 v[6:7], 1, v[6:7]
	v_mov_b32_e32 v37, s15
	v_add_co_u32_e32 v6, vcc, s14, v6
	v_addc_co_u32_e32 v7, vcc, v37, v7, vcc
	s_mov_b64 s[36:37], 0
	s_mov_b64 s[42:43], s[12:13]
                                        ; implicit-def: $sgpr38_sgpr39
                                        ; implicit-def: $sgpr40_sgpr41
                                        ; implicit-def: $sgpr44_sgpr45
	s_branch .LBB1239_167
.LBB1239_166:                           ;   in Loop: Header=BB1239_167 Depth=1
	s_or_b64 exec, exec, s[48:49]
	s_and_b64 s[46:47], exec, s[50:51]
	s_or_b64 s[36:37], s[46:47], s[36:37]
	s_andn2_b64 s[38:39], s[38:39], exec
	s_and_b64 s[46:47], s[40:41], exec
	s_or_b64 s[38:39], s[38:39], s[46:47]
	s_andn2_b64 exec, exec, s[36:37]
	s_cbranch_execz .LBB1239_171
.LBB1239_167:                           ; =>This Inner Loop Header: Depth=1
	global_load_ushort v37, v[2:3], off
	global_load_ushort v38, v[6:7], off
	s_mov_b64 s[52:53], 0
	s_mov_b64 s[46:47], -1
	s_waitcnt vmcnt(0)
	v_cmp_nlt_f16_e32 vcc, v37, v38
	s_and_saveexec_b64 s[48:49], vcc
; %bb.168:                              ;   in Loop: Header=BB1239_167 Depth=1
	v_cmp_ngt_f16_e32 vcc, v37, v38
	s_and_b64 s[44:45], vcc, s[44:45]
	s_orn2_b64 s[46:47], s[44:45], exec
	s_and_b64 s[52:53], vcc, exec
; %bb.169:                              ;   in Loop: Header=BB1239_167 Depth=1
	s_or_b64 exec, exec, s[48:49]
	s_andn2_b64 s[40:41], s[40:41], exec
	s_and_b64 s[44:45], s[46:47], exec
	s_mov_b64 s[50:51], -1
	s_or_b64 s[40:41], s[40:41], s[44:45]
                                        ; implicit-def: $sgpr44_sgpr45
	s_and_saveexec_b64 s[48:49], s[52:53]
	s_cbranch_execz .LBB1239_166
; %bb.170:                              ;   in Loop: Header=BB1239_167 Depth=1
	s_add_u32 s42, s42, -1
	v_add_co_u32_e32 v2, vcc, 2, v2
	s_addc_u32 s43, s43, -1
	v_addc_co_u32_e32 v3, vcc, 0, v3, vcc
	s_cmp_eq_u64 s[42:43], 0
	v_add_co_u32_e32 v6, vcc, 2, v6
	s_cselect_b64 s[50:51], -1, 0
	v_addc_co_u32_e32 v7, vcc, 0, v7, vcc
	s_and_b64 s[44:45], s[46:47], exec
	s_andn2_b64 s[40:41], s[40:41], exec
	s_orn2_b64 s[50:51], s[50:51], exec
	s_branch .LBB1239_166
.LBB1239_171:
	s_or_b64 exec, exec, s[36:37]
	s_xor_b64 s[36:37], s[38:39], -1
	s_andn2_b64 s[4:5], s[4:5], exec
	s_and_b64 s[36:37], s[36:37], exec
	s_or_b64 s[4:5], s[4:5], s[36:37]
.LBB1239_172:
	s_or_b64 exec, exec, s[34:35]
	s_orn2_b64 s[4:5], s[4:5], exec
.LBB1239_173:
	s_or_b64 exec, exec, s[30:31]
	v_cndmask_b32_e64 v6, v34, v33, s[4:5]
	v_cndmask_b32_e64 v7, v19, v18, s[4:5]
	;; [unrolled: 1-line block ×3, first 2 shown]
	v_add_u32_e32 v10, 1, v6
	v_add_u32_e32 v6, -1, v7
	v_min_u32_e32 v6, v10, v6
	v_lshl_add_u32 v6, v6, 3, v14
	v_cndmask_b32_e64 v2, v9, v11, s[28:29]
	ds_read_b64 v[8:9], v6
	v_cndmask_b32_e64 v11, v10, v34, s[4:5]
	v_cndmask_b32_e64 v1, v5, v1, s[2:3]
	;; [unrolled: 1-line block ×5, first 2 shown]
	s_waitcnt lgkmcnt(0)
	v_cndmask_b32_e64 v7, v35, v9, s[4:5]
	v_cndmask_b32_e64 v6, v36, v8, s[4:5]
	v_cmp_lt_u32_e32 vcc, v11, v19
	s_and_saveexec_b64 s[2:3], vcc
	s_cbranch_execz .LBB1239_183
; %bb.174:
	v_cndmask_b32_e64 v19, v9, v20, s[4:5]
	v_cndmask_b32_e64 v20, v8, v21, s[4:5]
	;; [unrolled: 1-line block ×3, first 2 shown]
	v_cmp_ge_u32_e32 vcc, v8, v18
	s_or_b64 s[4:5], vcc, s[24:25]
	v_cndmask_b32_e32 v9, v7, v19, vcc
	s_xor_b64 s[28:29], s[4:5], -1
	v_cndmask_b32_e32 v8, v6, v20, vcc
	s_and_saveexec_b64 s[4:5], s[28:29]
	s_cbranch_execz .LBB1239_182
; %bb.175:
	v_mul_lo_u32 v10, v19, s12
	v_mul_lo_u32 v11, v20, s13
	v_mad_u64_u32 v[8:9], s[28:29], v20, s12, 0
	v_add3_u32 v9, v9, v11, v10
	v_lshlrev_b64 v[8:9], 1, v[8:9]
	v_mov_b32_e32 v10, s15
	v_add_co_u32_e32 v8, vcc, s14, v8
	v_addc_co_u32_e32 v9, vcc, v10, v9, vcc
	v_mul_lo_u32 v18, v7, s12
	v_mul_lo_u32 v21, v6, s13
	v_mad_u64_u32 v[10:11], s[28:29], v6, s12, 0
	v_add3_u32 v11, v11, v21, v18
	v_lshlrev_b64 v[10:11], 1, v[10:11]
	v_mov_b32_e32 v18, s15
	v_add_co_u32_e32 v10, vcc, s14, v10
	v_addc_co_u32_e32 v11, vcc, v18, v11, vcc
	s_mov_b64 s[28:29], 0
	s_mov_b64 s[36:37], s[12:13]
                                        ; implicit-def: $sgpr30_sgpr31
                                        ; implicit-def: $sgpr34_sgpr35
                                        ; implicit-def: $sgpr38_sgpr39
	s_branch .LBB1239_177
.LBB1239_176:                           ;   in Loop: Header=BB1239_177 Depth=1
	s_or_b64 exec, exec, s[42:43]
	s_and_b64 s[40:41], exec, s[44:45]
	s_or_b64 s[28:29], s[40:41], s[28:29]
	s_andn2_b64 s[30:31], s[30:31], exec
	s_and_b64 s[40:41], s[34:35], exec
	s_or_b64 s[30:31], s[30:31], s[40:41]
	s_andn2_b64 exec, exec, s[28:29]
	s_cbranch_execz .LBB1239_181
.LBB1239_177:                           ; =>This Inner Loop Header: Depth=1
	global_load_ushort v18, v[8:9], off
	global_load_ushort v21, v[10:11], off
	s_mov_b64 s[46:47], 0
	s_mov_b64 s[40:41], -1
	s_waitcnt vmcnt(0)
	v_cmp_nlt_f16_e32 vcc, v18, v21
	s_and_saveexec_b64 s[42:43], vcc
; %bb.178:                              ;   in Loop: Header=BB1239_177 Depth=1
	v_cmp_ngt_f16_e32 vcc, v18, v21
	s_and_b64 s[38:39], vcc, s[38:39]
	s_orn2_b64 s[40:41], s[38:39], exec
	s_and_b64 s[46:47], vcc, exec
; %bb.179:                              ;   in Loop: Header=BB1239_177 Depth=1
	s_or_b64 exec, exec, s[42:43]
	s_andn2_b64 s[34:35], s[34:35], exec
	s_and_b64 s[38:39], s[40:41], exec
	s_mov_b64 s[44:45], -1
	s_or_b64 s[34:35], s[34:35], s[38:39]
                                        ; implicit-def: $sgpr38_sgpr39
	s_and_saveexec_b64 s[42:43], s[46:47]
	s_cbranch_execz .LBB1239_176
; %bb.180:                              ;   in Loop: Header=BB1239_177 Depth=1
	s_add_u32 s36, s36, -1
	v_add_co_u32_e32 v8, vcc, 2, v8
	s_addc_u32 s37, s37, -1
	v_addc_co_u32_e32 v9, vcc, 0, v9, vcc
	s_cmp_eq_u64 s[36:37], 0
	v_add_co_u32_e32 v10, vcc, 2, v10
	s_cselect_b64 s[44:45], -1, 0
	v_addc_co_u32_e32 v11, vcc, 0, v11, vcc
	s_and_b64 s[38:39], s[40:41], exec
	s_andn2_b64 s[34:35], s[34:35], exec
	s_orn2_b64 s[44:45], s[44:45], exec
	s_branch .LBB1239_176
.LBB1239_181:
	s_or_b64 exec, exec, s[28:29]
	v_cndmask_b32_e64 v9, v7, v19, s[30:31]
	v_cndmask_b32_e64 v8, v6, v20, s[30:31]
.LBB1239_182:
	s_or_b64 exec, exec, s[4:5]
	v_pk_mov_b32 v[6:7], v[8:9], v[8:9] op_sel:[0,1]
.LBB1239_183:
	s_or_b64 exec, exec, s[2:3]
.LBB1239_184:
	s_or_b64 exec, exec, s[26:27]
	v_and_b32_e32 v20, 0x1e0, v16
	v_or_b32_e32 v8, 16, v20
	v_min_u32_e32 v18, v15, v8
	v_add_u32_e32 v8, 16, v18
	v_min_u32_e32 v19, v15, v8
	v_and_b32_e32 v8, 28, v16
	v_min_u32_e32 v33, v15, v8
	v_sub_u32_e32 v8, v18, v20
	v_sub_u32_e32 v9, v19, v18
	v_sub_u32_e64 v34, v33, v9 clamp
	v_min_u32_e32 v35, v33, v8
	v_lshl_add_u32 v21, v20, 3, v14
	v_cmp_lt_u32_e32 vcc, v34, v35
	; wave barrier
	ds_write_b128 v17, v[0:3]
	ds_write_b128 v17, v[4:7] offset:16
	; wave barrier
	s_and_saveexec_b64 s[2:3], vcc
	s_cbranch_execz .LBB1239_196
; %bb.185:
	v_lshlrev_b32_e32 v8, 3, v18
	v_lshlrev_b32_e32 v9, 3, v33
	v_add3_u32 v36, v14, v8, v9
	s_lshl_b64 s[26:27], s[12:13], 1
	s_mov_b64 s[4:5], 0
	s_branch .LBB1239_188
.LBB1239_186:                           ;   in Loop: Header=BB1239_188 Depth=1
	s_or_b64 exec, exec, s[30:31]
.LBB1239_187:                           ;   in Loop: Header=BB1239_188 Depth=1
	v_add_u32_e32 v8, 1, v37
	v_cndmask_b32_e64 v35, v35, v37, s[28:29]
	v_cndmask_b32_e64 v34, v8, v34, s[28:29]
	v_cmp_ge_u32_e32 vcc, v34, v35
	s_or_b64 s[4:5], vcc, s[4:5]
	s_andn2_b64 exec, exec, s[4:5]
	s_cbranch_execz .LBB1239_195
.LBB1239_188:                           ; =>This Loop Header: Depth=1
                                        ;     Child Loop BB1239_191 Depth 2
	v_add_u32_e32 v8, v35, v34
	v_lshrrev_b32_e32 v37, 1, v8
	s_and_b64 vcc, exec, s[0:1]
	s_mov_b64 s[28:29], 0
	s_cbranch_vccnz .LBB1239_187
; %bb.189:                              ;   in Loop: Header=BB1239_188 Depth=1
	v_not_b32_e32 v8, v37
	v_lshl_add_u32 v8, v8, 3, v36
	ds_read_b64 v[8:9], v8
	v_lshl_add_u32 v38, v37, 3, v21
	ds_read_b64 v[38:39], v38
	v_pk_mov_b32 v[10:11], s[14:15], s[14:15] op_sel:[0,1]
	s_mov_b64 s[30:31], 0
	s_waitcnt lgkmcnt(1)
	v_mul_lo_u32 v40, s26, v9
	v_mul_lo_u32 v41, s27, v8
	v_mad_u64_u32 v[8:9], s[28:29], s26, v8, v[10:11]
	v_add3_u32 v9, v41, v9, v40
	s_waitcnt lgkmcnt(0)
	v_mul_lo_u32 v39, s26, v39
	v_mul_lo_u32 v40, s27, v38
	v_mad_u64_u32 v[10:11], s[28:29], s26, v38, v[10:11]
	v_add3_u32 v11, v40, v11, v39
	s_mov_b64 s[36:37], s[12:13]
                                        ; implicit-def: $sgpr28_sgpr29
                                        ; implicit-def: $sgpr34_sgpr35
                                        ; implicit-def: $sgpr38_sgpr39
	s_branch .LBB1239_191
.LBB1239_190:                           ;   in Loop: Header=BB1239_191 Depth=2
	s_or_b64 exec, exec, s[44:45]
	s_and_b64 s[40:41], exec, s[40:41]
	s_or_b64 s[30:31], s[40:41], s[30:31]
	s_andn2_b64 s[28:29], s[28:29], exec
	s_and_b64 s[40:41], s[34:35], exec
	s_or_b64 s[28:29], s[28:29], s[40:41]
	s_andn2_b64 exec, exec, s[30:31]
	s_cbranch_execz .LBB1239_186
.LBB1239_191:                           ;   Parent Loop BB1239_188 Depth=1
                                        ; =>  This Inner Loop Header: Depth=2
	global_load_ushort v38, v[8:9], off
	global_load_ushort v39, v[10:11], off
	s_mov_b64 s[40:41], -1
	s_mov_b64 s[46:47], 0
	s_mov_b64 s[42:43], -1
	s_waitcnt vmcnt(0)
	v_cmp_nlt_f16_e32 vcc, v38, v39
	s_and_saveexec_b64 s[44:45], vcc
; %bb.192:                              ;   in Loop: Header=BB1239_191 Depth=2
	v_cmp_ngt_f16_e32 vcc, v38, v39
	s_and_b64 s[38:39], vcc, s[38:39]
	s_orn2_b64 s[42:43], s[38:39], exec
	s_and_b64 s[46:47], vcc, exec
; %bb.193:                              ;   in Loop: Header=BB1239_191 Depth=2
	s_or_b64 exec, exec, s[44:45]
	s_andn2_b64 s[34:35], s[34:35], exec
	s_and_b64 s[38:39], s[42:43], exec
	s_or_b64 s[34:35], s[34:35], s[38:39]
                                        ; implicit-def: $sgpr38_sgpr39
	s_and_saveexec_b64 s[44:45], s[46:47]
	s_cbranch_execz .LBB1239_190
; %bb.194:                              ;   in Loop: Header=BB1239_191 Depth=2
	s_add_u32 s36, s36, -1
	v_add_co_u32_e32 v8, vcc, 2, v8
	s_addc_u32 s37, s37, -1
	v_addc_co_u32_e32 v9, vcc, 0, v9, vcc
	s_cmp_eq_u64 s[36:37], 0
	v_add_co_u32_e32 v10, vcc, 2, v10
	s_cselect_b64 s[40:41], -1, 0
	v_addc_co_u32_e32 v11, vcc, 0, v11, vcc
	s_andn2_b64 s[34:35], s[34:35], exec
	s_and_b64 s[38:39], s[42:43], exec
	s_orn2_b64 s[40:41], s[40:41], exec
	s_branch .LBB1239_190
.LBB1239_195:
	s_or_b64 exec, exec, s[4:5]
.LBB1239_196:
	s_or_b64 exec, exec, s[2:3]
	v_add_u32_e32 v8, v18, v33
	v_add_u32_e32 v20, v34, v20
	v_sub_u32_e32 v33, v8, v34
	v_cmp_le_u32_e32 vcc, v20, v18
	v_cmp_le_u32_e64 s[2:3], v33, v19
	s_or_b64 s[2:3], vcc, s[2:3]
	s_and_saveexec_b64 s[26:27], s[2:3]
	s_cbranch_execz .LBB1239_240
; %bb.197:
	v_cmp_ge_u32_e32 vcc, v20, v18
	v_cmp_lt_u32_e64 s[2:3], v20, v18
                                        ; implicit-def: $vgpr0_vgpr1
	s_and_saveexec_b64 s[4:5], s[2:3]
	s_cbranch_execz .LBB1239_199
; %bb.198:
	v_lshl_add_u32 v0, v34, 3, v21
	ds_read_b64 v[0:1], v0
.LBB1239_199:
	s_or_b64 exec, exec, s[4:5]
	v_cmp_ge_u32_e64 s[2:3], v33, v19
	v_cmp_lt_u32_e64 s[4:5], v33, v19
                                        ; implicit-def: $vgpr4_vgpr5
	s_and_saveexec_b64 s[28:29], s[4:5]
	s_cbranch_execz .LBB1239_201
; %bb.200:
	v_lshl_add_u32 v2, v33, 3, v14
	ds_read_b64 v[4:5], v2
.LBB1239_201:
	s_or_b64 exec, exec, s[28:29]
	s_or_b64 s[4:5], vcc, s[2:3]
	s_or_b64 s[4:5], s[4:5], s[24:25]
	s_xor_b64 s[28:29], s[4:5], -1
	s_xor_b64 s[4:5], vcc, -1
	s_or_b64 s[2:3], s[2:3], s[4:5]
	s_and_saveexec_b64 s[4:5], s[28:29]
	s_cbranch_execz .LBB1239_209
; %bb.202:
	s_waitcnt lgkmcnt(0)
	v_mul_lo_u32 v6, v5, s12
	v_mul_lo_u32 v7, v4, s13
	v_mad_u64_u32 v[2:3], s[28:29], v4, s12, 0
	v_add3_u32 v3, v3, v7, v6
	v_lshlrev_b64 v[2:3], 1, v[2:3]
	v_mov_b32_e32 v6, s15
	v_add_co_u32_e32 v2, vcc, s14, v2
	v_addc_co_u32_e32 v3, vcc, v6, v3, vcc
	v_mul_lo_u32 v8, v1, s12
	v_mul_lo_u32 v9, v0, s13
	v_mad_u64_u32 v[6:7], s[28:29], v0, s12, 0
	v_add3_u32 v7, v7, v9, v8
	v_lshlrev_b64 v[6:7], 1, v[6:7]
	v_mov_b32_e32 v8, s15
	v_add_co_u32_e32 v6, vcc, s14, v6
	v_addc_co_u32_e32 v7, vcc, v8, v7, vcc
	s_mov_b64 s[28:29], 0
	s_mov_b64 s[36:37], s[12:13]
                                        ; implicit-def: $sgpr30_sgpr31
                                        ; implicit-def: $sgpr34_sgpr35
                                        ; implicit-def: $sgpr38_sgpr39
	s_branch .LBB1239_204
.LBB1239_203:                           ;   in Loop: Header=BB1239_204 Depth=1
	s_or_b64 exec, exec, s[42:43]
	s_and_b64 s[40:41], exec, s[44:45]
	s_or_b64 s[28:29], s[40:41], s[28:29]
	s_andn2_b64 s[30:31], s[30:31], exec
	s_and_b64 s[40:41], s[34:35], exec
	s_or_b64 s[30:31], s[30:31], s[40:41]
	s_andn2_b64 exec, exec, s[28:29]
	s_cbranch_execz .LBB1239_208
.LBB1239_204:                           ; =>This Inner Loop Header: Depth=1
	global_load_ushort v8, v[2:3], off
	global_load_ushort v9, v[6:7], off
	s_mov_b64 s[46:47], 0
	s_mov_b64 s[40:41], -1
	s_waitcnt vmcnt(0)
	v_cmp_nlt_f16_e32 vcc, v8, v9
	s_and_saveexec_b64 s[42:43], vcc
; %bb.205:                              ;   in Loop: Header=BB1239_204 Depth=1
	v_cmp_ngt_f16_e32 vcc, v8, v9
	s_and_b64 s[38:39], vcc, s[38:39]
	s_orn2_b64 s[40:41], s[38:39], exec
	s_and_b64 s[46:47], vcc, exec
; %bb.206:                              ;   in Loop: Header=BB1239_204 Depth=1
	s_or_b64 exec, exec, s[42:43]
	s_andn2_b64 s[34:35], s[34:35], exec
	s_and_b64 s[38:39], s[40:41], exec
	s_mov_b64 s[44:45], -1
	s_or_b64 s[34:35], s[34:35], s[38:39]
                                        ; implicit-def: $sgpr38_sgpr39
	s_and_saveexec_b64 s[42:43], s[46:47]
	s_cbranch_execz .LBB1239_203
; %bb.207:                              ;   in Loop: Header=BB1239_204 Depth=1
	s_add_u32 s36, s36, -1
	v_add_co_u32_e32 v2, vcc, 2, v2
	s_addc_u32 s37, s37, -1
	v_addc_co_u32_e32 v3, vcc, 0, v3, vcc
	s_cmp_eq_u64 s[36:37], 0
	v_add_co_u32_e32 v6, vcc, 2, v6
	s_cselect_b64 s[44:45], -1, 0
	v_addc_co_u32_e32 v7, vcc, 0, v7, vcc
	s_and_b64 s[38:39], s[40:41], exec
	s_andn2_b64 s[34:35], s[34:35], exec
	s_orn2_b64 s[44:45], s[44:45], exec
	s_branch .LBB1239_203
.LBB1239_208:
	s_or_b64 exec, exec, s[28:29]
	s_xor_b64 s[28:29], s[30:31], -1
	s_andn2_b64 s[2:3], s[2:3], exec
	s_and_b64 s[28:29], s[28:29], exec
	s_or_b64 s[2:3], s[2:3], s[28:29]
.LBB1239_209:
	s_or_b64 exec, exec, s[4:5]
	v_cndmask_b32_e64 v2, v33, v20, s[2:3]
	v_cndmask_b32_e64 v3, v19, v18, s[2:3]
	v_add_u32_e32 v6, 1, v2
	v_add_u32_e32 v2, -1, v3
	v_min_u32_e32 v2, v6, v2
	v_lshl_add_u32 v2, v2, 3, v14
	ds_read_b64 v[2:3], v2
	v_cndmask_b32_e64 v33, v6, v33, s[2:3]
	v_cndmask_b32_e64 v37, v20, v6, s[2:3]
	v_cmp_lt_u32_e32 vcc, v33, v19
	s_mov_b64 s[4:5], -1
	s_waitcnt lgkmcnt(0)
	v_cndmask_b32_e64 v8, v3, v5, s[2:3]
	v_cndmask_b32_e64 v9, v2, v4, s[2:3]
	;; [unrolled: 1-line block ×4, first 2 shown]
	s_mov_b64 s[28:29], -1
	s_and_saveexec_b64 s[30:31], vcc
	s_cbranch_execz .LBB1239_219
; %bb.210:
	v_cmp_lt_u32_e64 s[28:29], v37, v18
	s_xor_b64 s[34:35], s[24:25], -1
	s_and_b64 s[36:37], s[28:29], s[34:35]
	s_and_saveexec_b64 s[34:35], s[36:37]
	s_cbranch_execz .LBB1239_218
; %bb.211:
	v_mul_lo_u32 v6, v8, s12
	v_mul_lo_u32 v7, v9, s13
	v_mad_u64_u32 v[2:3], s[36:37], v9, s12, 0
	v_add3_u32 v3, v3, v7, v6
	v_lshlrev_b64 v[2:3], 1, v[2:3]
	v_mov_b32_e32 v6, s15
	v_add_co_u32_e32 v2, vcc, s14, v2
	v_addc_co_u32_e32 v3, vcc, v6, v3, vcc
	v_mul_lo_u32 v20, v10, s12
	v_mul_lo_u32 v21, v11, s13
	v_mad_u64_u32 v[6:7], s[36:37], v11, s12, 0
	v_add3_u32 v7, v7, v21, v20
	v_lshlrev_b64 v[6:7], 1, v[6:7]
	v_mov_b32_e32 v20, s15
	v_add_co_u32_e32 v6, vcc, s14, v6
	v_addc_co_u32_e32 v7, vcc, v20, v7, vcc
	s_mov_b64 s[36:37], 0
	s_mov_b64 s[42:43], s[12:13]
                                        ; implicit-def: $sgpr38_sgpr39
                                        ; implicit-def: $sgpr40_sgpr41
                                        ; implicit-def: $sgpr44_sgpr45
	s_branch .LBB1239_213
.LBB1239_212:                           ;   in Loop: Header=BB1239_213 Depth=1
	s_or_b64 exec, exec, s[48:49]
	s_and_b64 s[46:47], exec, s[50:51]
	s_or_b64 s[36:37], s[46:47], s[36:37]
	s_andn2_b64 s[38:39], s[38:39], exec
	s_and_b64 s[46:47], s[40:41], exec
	s_or_b64 s[38:39], s[38:39], s[46:47]
	s_andn2_b64 exec, exec, s[36:37]
	s_cbranch_execz .LBB1239_217
.LBB1239_213:                           ; =>This Inner Loop Header: Depth=1
	global_load_ushort v20, v[2:3], off
	global_load_ushort v21, v[6:7], off
	s_mov_b64 s[52:53], 0
	s_mov_b64 s[46:47], -1
	s_waitcnt vmcnt(0)
	v_cmp_nlt_f16_e32 vcc, v20, v21
	s_and_saveexec_b64 s[48:49], vcc
; %bb.214:                              ;   in Loop: Header=BB1239_213 Depth=1
	v_cmp_ngt_f16_e32 vcc, v20, v21
	s_and_b64 s[44:45], vcc, s[44:45]
	s_orn2_b64 s[46:47], s[44:45], exec
	s_and_b64 s[52:53], vcc, exec
; %bb.215:                              ;   in Loop: Header=BB1239_213 Depth=1
	s_or_b64 exec, exec, s[48:49]
	s_andn2_b64 s[40:41], s[40:41], exec
	s_and_b64 s[44:45], s[46:47], exec
	s_mov_b64 s[50:51], -1
	s_or_b64 s[40:41], s[40:41], s[44:45]
                                        ; implicit-def: $sgpr44_sgpr45
	s_and_saveexec_b64 s[48:49], s[52:53]
	s_cbranch_execz .LBB1239_212
; %bb.216:                              ;   in Loop: Header=BB1239_213 Depth=1
	s_add_u32 s42, s42, -1
	v_add_co_u32_e32 v2, vcc, 2, v2
	s_addc_u32 s43, s43, -1
	v_addc_co_u32_e32 v3, vcc, 0, v3, vcc
	s_cmp_eq_u64 s[42:43], 0
	v_add_co_u32_e32 v6, vcc, 2, v6
	s_cselect_b64 s[50:51], -1, 0
	v_addc_co_u32_e32 v7, vcc, 0, v7, vcc
	s_and_b64 s[44:45], s[46:47], exec
	s_andn2_b64 s[40:41], s[40:41], exec
	s_orn2_b64 s[50:51], s[50:51], exec
	s_branch .LBB1239_212
.LBB1239_217:
	s_or_b64 exec, exec, s[36:37]
	s_xor_b64 s[36:37], s[38:39], -1
	s_andn2_b64 s[28:29], s[28:29], exec
	s_and_b64 s[36:37], s[36:37], exec
	s_or_b64 s[28:29], s[28:29], s[36:37]
.LBB1239_218:
	s_or_b64 exec, exec, s[34:35]
	s_orn2_b64 s[28:29], s[28:29], exec
.LBB1239_219:
	s_or_b64 exec, exec, s[30:31]
	v_cndmask_b32_e64 v2, v33, v37, s[28:29]
	v_cndmask_b32_e64 v3, v19, v18, s[28:29]
	v_add_u32_e32 v6, 1, v2
	v_add_u32_e32 v2, -1, v3
	v_min_u32_e32 v2, v6, v2
	v_lshl_add_u32 v2, v2, 3, v14
	ds_read_b64 v[2:3], v2
	v_cndmask_b32_e64 v34, v6, v33, s[28:29]
	v_cndmask_b32_e64 v33, v37, v6, s[28:29]
	v_cmp_lt_u32_e32 vcc, v34, v19
	s_waitcnt lgkmcnt(0)
	v_cndmask_b32_e64 v20, v3, v8, s[28:29]
	v_cndmask_b32_e64 v21, v2, v9, s[28:29]
	;; [unrolled: 1-line block ×4, first 2 shown]
	s_and_saveexec_b64 s[30:31], vcc
	s_cbranch_execz .LBB1239_229
; %bb.220:
	v_cmp_lt_u32_e64 s[4:5], v33, v18
	s_xor_b64 s[34:35], s[24:25], -1
	s_and_b64 s[36:37], s[4:5], s[34:35]
	s_and_saveexec_b64 s[34:35], s[36:37]
	s_cbranch_execz .LBB1239_228
; %bb.221:
	v_mul_lo_u32 v6, v20, s12
	v_mul_lo_u32 v7, v21, s13
	v_mad_u64_u32 v[2:3], s[36:37], v21, s12, 0
	v_add3_u32 v3, v3, v7, v6
	v_lshlrev_b64 v[2:3], 1, v[2:3]
	v_mov_b32_e32 v6, s15
	v_add_co_u32_e32 v2, vcc, s14, v2
	v_addc_co_u32_e32 v3, vcc, v6, v3, vcc
	v_mul_lo_u32 v37, v35, s12
	v_mul_lo_u32 v38, v36, s13
	v_mad_u64_u32 v[6:7], s[36:37], v36, s12, 0
	v_add3_u32 v7, v7, v38, v37
	v_lshlrev_b64 v[6:7], 1, v[6:7]
	v_mov_b32_e32 v37, s15
	v_add_co_u32_e32 v6, vcc, s14, v6
	v_addc_co_u32_e32 v7, vcc, v37, v7, vcc
	s_mov_b64 s[36:37], 0
	s_mov_b64 s[42:43], s[12:13]
                                        ; implicit-def: $sgpr38_sgpr39
                                        ; implicit-def: $sgpr40_sgpr41
                                        ; implicit-def: $sgpr44_sgpr45
	s_branch .LBB1239_223
.LBB1239_222:                           ;   in Loop: Header=BB1239_223 Depth=1
	s_or_b64 exec, exec, s[48:49]
	s_and_b64 s[46:47], exec, s[50:51]
	s_or_b64 s[36:37], s[46:47], s[36:37]
	s_andn2_b64 s[38:39], s[38:39], exec
	s_and_b64 s[46:47], s[40:41], exec
	s_or_b64 s[38:39], s[38:39], s[46:47]
	s_andn2_b64 exec, exec, s[36:37]
	s_cbranch_execz .LBB1239_227
.LBB1239_223:                           ; =>This Inner Loop Header: Depth=1
	global_load_ushort v37, v[2:3], off
	global_load_ushort v38, v[6:7], off
	s_mov_b64 s[52:53], 0
	s_mov_b64 s[46:47], -1
	s_waitcnt vmcnt(0)
	v_cmp_nlt_f16_e32 vcc, v37, v38
	s_and_saveexec_b64 s[48:49], vcc
; %bb.224:                              ;   in Loop: Header=BB1239_223 Depth=1
	v_cmp_ngt_f16_e32 vcc, v37, v38
	s_and_b64 s[44:45], vcc, s[44:45]
	s_orn2_b64 s[46:47], s[44:45], exec
	s_and_b64 s[52:53], vcc, exec
; %bb.225:                              ;   in Loop: Header=BB1239_223 Depth=1
	s_or_b64 exec, exec, s[48:49]
	s_andn2_b64 s[40:41], s[40:41], exec
	s_and_b64 s[44:45], s[46:47], exec
	s_mov_b64 s[50:51], -1
	s_or_b64 s[40:41], s[40:41], s[44:45]
                                        ; implicit-def: $sgpr44_sgpr45
	s_and_saveexec_b64 s[48:49], s[52:53]
	s_cbranch_execz .LBB1239_222
; %bb.226:                              ;   in Loop: Header=BB1239_223 Depth=1
	s_add_u32 s42, s42, -1
	v_add_co_u32_e32 v2, vcc, 2, v2
	s_addc_u32 s43, s43, -1
	v_addc_co_u32_e32 v3, vcc, 0, v3, vcc
	s_cmp_eq_u64 s[42:43], 0
	v_add_co_u32_e32 v6, vcc, 2, v6
	s_cselect_b64 s[50:51], -1, 0
	v_addc_co_u32_e32 v7, vcc, 0, v7, vcc
	s_and_b64 s[44:45], s[46:47], exec
	s_andn2_b64 s[40:41], s[40:41], exec
	s_orn2_b64 s[50:51], s[50:51], exec
	s_branch .LBB1239_222
.LBB1239_227:
	s_or_b64 exec, exec, s[36:37]
	s_xor_b64 s[36:37], s[38:39], -1
	s_andn2_b64 s[4:5], s[4:5], exec
	s_and_b64 s[36:37], s[36:37], exec
	s_or_b64 s[4:5], s[4:5], s[36:37]
.LBB1239_228:
	s_or_b64 exec, exec, s[34:35]
	s_orn2_b64 s[4:5], s[4:5], exec
.LBB1239_229:
	s_or_b64 exec, exec, s[30:31]
	v_cndmask_b32_e64 v6, v34, v33, s[4:5]
	v_cndmask_b32_e64 v7, v19, v18, s[4:5]
	;; [unrolled: 1-line block ×3, first 2 shown]
	v_add_u32_e32 v10, 1, v6
	v_add_u32_e32 v6, -1, v7
	v_min_u32_e32 v6, v10, v6
	v_lshl_add_u32 v6, v6, 3, v14
	v_cndmask_b32_e64 v2, v9, v11, s[28:29]
	ds_read_b64 v[8:9], v6
	v_cndmask_b32_e64 v11, v10, v34, s[4:5]
	v_cndmask_b32_e64 v1, v5, v1, s[2:3]
	;; [unrolled: 1-line block ×5, first 2 shown]
	s_waitcnt lgkmcnt(0)
	v_cndmask_b32_e64 v7, v35, v9, s[4:5]
	v_cndmask_b32_e64 v6, v36, v8, s[4:5]
	v_cmp_lt_u32_e32 vcc, v11, v19
	s_and_saveexec_b64 s[2:3], vcc
	s_cbranch_execz .LBB1239_239
; %bb.230:
	v_cndmask_b32_e64 v19, v9, v20, s[4:5]
	v_cndmask_b32_e64 v20, v8, v21, s[4:5]
	;; [unrolled: 1-line block ×3, first 2 shown]
	v_cmp_ge_u32_e32 vcc, v8, v18
	s_or_b64 s[4:5], vcc, s[24:25]
	v_cndmask_b32_e32 v9, v7, v19, vcc
	s_xor_b64 s[28:29], s[4:5], -1
	v_cndmask_b32_e32 v8, v6, v20, vcc
	s_and_saveexec_b64 s[4:5], s[28:29]
	s_cbranch_execz .LBB1239_238
; %bb.231:
	v_mul_lo_u32 v10, v19, s12
	v_mul_lo_u32 v11, v20, s13
	v_mad_u64_u32 v[8:9], s[28:29], v20, s12, 0
	v_add3_u32 v9, v9, v11, v10
	v_lshlrev_b64 v[8:9], 1, v[8:9]
	v_mov_b32_e32 v10, s15
	v_add_co_u32_e32 v8, vcc, s14, v8
	v_addc_co_u32_e32 v9, vcc, v10, v9, vcc
	v_mul_lo_u32 v18, v7, s12
	v_mul_lo_u32 v21, v6, s13
	v_mad_u64_u32 v[10:11], s[28:29], v6, s12, 0
	v_add3_u32 v11, v11, v21, v18
	v_lshlrev_b64 v[10:11], 1, v[10:11]
	v_mov_b32_e32 v18, s15
	v_add_co_u32_e32 v10, vcc, s14, v10
	v_addc_co_u32_e32 v11, vcc, v18, v11, vcc
	s_mov_b64 s[28:29], 0
	s_mov_b64 s[36:37], s[12:13]
                                        ; implicit-def: $sgpr30_sgpr31
                                        ; implicit-def: $sgpr34_sgpr35
                                        ; implicit-def: $sgpr38_sgpr39
	s_branch .LBB1239_233
.LBB1239_232:                           ;   in Loop: Header=BB1239_233 Depth=1
	s_or_b64 exec, exec, s[42:43]
	s_and_b64 s[40:41], exec, s[44:45]
	s_or_b64 s[28:29], s[40:41], s[28:29]
	s_andn2_b64 s[30:31], s[30:31], exec
	s_and_b64 s[40:41], s[34:35], exec
	s_or_b64 s[30:31], s[30:31], s[40:41]
	s_andn2_b64 exec, exec, s[28:29]
	s_cbranch_execz .LBB1239_237
.LBB1239_233:                           ; =>This Inner Loop Header: Depth=1
	global_load_ushort v18, v[8:9], off
	global_load_ushort v21, v[10:11], off
	s_mov_b64 s[46:47], 0
	s_mov_b64 s[40:41], -1
	s_waitcnt vmcnt(0)
	v_cmp_nlt_f16_e32 vcc, v18, v21
	s_and_saveexec_b64 s[42:43], vcc
; %bb.234:                              ;   in Loop: Header=BB1239_233 Depth=1
	v_cmp_ngt_f16_e32 vcc, v18, v21
	s_and_b64 s[38:39], vcc, s[38:39]
	s_orn2_b64 s[40:41], s[38:39], exec
	s_and_b64 s[46:47], vcc, exec
; %bb.235:                              ;   in Loop: Header=BB1239_233 Depth=1
	s_or_b64 exec, exec, s[42:43]
	s_andn2_b64 s[34:35], s[34:35], exec
	s_and_b64 s[38:39], s[40:41], exec
	s_mov_b64 s[44:45], -1
	s_or_b64 s[34:35], s[34:35], s[38:39]
                                        ; implicit-def: $sgpr38_sgpr39
	s_and_saveexec_b64 s[42:43], s[46:47]
	s_cbranch_execz .LBB1239_232
; %bb.236:                              ;   in Loop: Header=BB1239_233 Depth=1
	s_add_u32 s36, s36, -1
	v_add_co_u32_e32 v8, vcc, 2, v8
	s_addc_u32 s37, s37, -1
	v_addc_co_u32_e32 v9, vcc, 0, v9, vcc
	s_cmp_eq_u64 s[36:37], 0
	v_add_co_u32_e32 v10, vcc, 2, v10
	s_cselect_b64 s[44:45], -1, 0
	v_addc_co_u32_e32 v11, vcc, 0, v11, vcc
	s_and_b64 s[38:39], s[40:41], exec
	s_andn2_b64 s[34:35], s[34:35], exec
	s_orn2_b64 s[44:45], s[44:45], exec
	s_branch .LBB1239_232
.LBB1239_237:
	s_or_b64 exec, exec, s[28:29]
	v_cndmask_b32_e64 v9, v7, v19, s[30:31]
	v_cndmask_b32_e64 v8, v6, v20, s[30:31]
.LBB1239_238:
	s_or_b64 exec, exec, s[4:5]
	v_pk_mov_b32 v[6:7], v[8:9], v[8:9] op_sel:[0,1]
.LBB1239_239:
	s_or_b64 exec, exec, s[2:3]
.LBB1239_240:
	s_or_b64 exec, exec, s[26:27]
	v_and_b32_e32 v19, 0x1c0, v16
	v_or_b32_e32 v8, 32, v19
	; wave barrier
	ds_write_b128 v17, v[0:3]
	ds_write_b128 v17, v[4:7] offset:16
	v_min_u32_e32 v17, v15, v8
	v_add_u32_e32 v8, 32, v17
	v_min_u32_e32 v18, v15, v8
	v_and_b32_e32 v8, 60, v16
	v_min_u32_e32 v21, v15, v8
	v_sub_u32_e32 v8, v17, v19
	v_sub_u32_e32 v9, v18, v17
	v_sub_u32_e64 v20, v21, v9 clamp
	v_min_u32_e32 v15, v21, v8
	v_lshl_add_u32 v16, v19, 3, v14
	v_cmp_lt_u32_e32 vcc, v20, v15
	; wave barrier
	s_and_saveexec_b64 s[2:3], vcc
	s_cbranch_execz .LBB1239_252
; %bb.241:
	v_lshlrev_b32_e32 v8, 3, v17
	v_lshlrev_b32_e32 v9, 3, v21
	v_add3_u32 v33, v14, v8, v9
	s_lshl_b64 s[26:27], s[12:13], 1
	s_mov_b64 s[4:5], 0
	s_branch .LBB1239_244
.LBB1239_242:                           ;   in Loop: Header=BB1239_244 Depth=1
	s_or_b64 exec, exec, s[30:31]
.LBB1239_243:                           ;   in Loop: Header=BB1239_244 Depth=1
	v_add_u32_e32 v8, 1, v34
	v_cndmask_b32_e64 v15, v15, v34, s[28:29]
	v_cndmask_b32_e64 v20, v8, v20, s[28:29]
	v_cmp_ge_u32_e32 vcc, v20, v15
	s_or_b64 s[4:5], vcc, s[4:5]
	s_andn2_b64 exec, exec, s[4:5]
	s_cbranch_execz .LBB1239_251
.LBB1239_244:                           ; =>This Loop Header: Depth=1
                                        ;     Child Loop BB1239_247 Depth 2
	v_add_u32_e32 v8, v15, v20
	v_lshrrev_b32_e32 v34, 1, v8
	s_and_b64 vcc, exec, s[0:1]
	s_mov_b64 s[28:29], 0
	s_cbranch_vccnz .LBB1239_243
; %bb.245:                              ;   in Loop: Header=BB1239_244 Depth=1
	v_not_b32_e32 v8, v34
	v_lshl_add_u32 v8, v8, 3, v33
	ds_read_b64 v[8:9], v8
	v_lshl_add_u32 v35, v34, 3, v16
	ds_read_b64 v[36:37], v35
	v_pk_mov_b32 v[10:11], s[14:15], s[14:15] op_sel:[0,1]
	s_mov_b64 s[30:31], 0
	s_waitcnt lgkmcnt(1)
	v_mul_lo_u32 v35, s26, v9
	v_mul_lo_u32 v38, s27, v8
	v_mad_u64_u32 v[8:9], s[28:29], s26, v8, v[10:11]
	v_add3_u32 v9, v38, v9, v35
	s_waitcnt lgkmcnt(0)
	v_mul_lo_u32 v35, s26, v37
	v_mul_lo_u32 v37, s27, v36
	v_mad_u64_u32 v[10:11], s[28:29], s26, v36, v[10:11]
	v_add3_u32 v11, v37, v11, v35
	s_mov_b64 s[36:37], s[12:13]
                                        ; implicit-def: $sgpr28_sgpr29
                                        ; implicit-def: $sgpr34_sgpr35
                                        ; implicit-def: $sgpr38_sgpr39
	s_branch .LBB1239_247
.LBB1239_246:                           ;   in Loop: Header=BB1239_247 Depth=2
	s_or_b64 exec, exec, s[44:45]
	s_and_b64 s[40:41], exec, s[40:41]
	s_or_b64 s[30:31], s[40:41], s[30:31]
	s_andn2_b64 s[28:29], s[28:29], exec
	s_and_b64 s[40:41], s[34:35], exec
	s_or_b64 s[28:29], s[28:29], s[40:41]
	s_andn2_b64 exec, exec, s[30:31]
	s_cbranch_execz .LBB1239_242
.LBB1239_247:                           ;   Parent Loop BB1239_244 Depth=1
                                        ; =>  This Inner Loop Header: Depth=2
	global_load_ushort v35, v[8:9], off
	global_load_ushort v36, v[10:11], off
	s_mov_b64 s[40:41], -1
	s_mov_b64 s[46:47], 0
	s_mov_b64 s[42:43], -1
	s_waitcnt vmcnt(0)
	v_cmp_nlt_f16_e32 vcc, v35, v36
	s_and_saveexec_b64 s[44:45], vcc
; %bb.248:                              ;   in Loop: Header=BB1239_247 Depth=2
	v_cmp_ngt_f16_e32 vcc, v35, v36
	s_and_b64 s[38:39], vcc, s[38:39]
	s_orn2_b64 s[42:43], s[38:39], exec
	s_and_b64 s[46:47], vcc, exec
; %bb.249:                              ;   in Loop: Header=BB1239_247 Depth=2
	s_or_b64 exec, exec, s[44:45]
	s_andn2_b64 s[34:35], s[34:35], exec
	s_and_b64 s[38:39], s[42:43], exec
	s_or_b64 s[34:35], s[34:35], s[38:39]
                                        ; implicit-def: $sgpr38_sgpr39
	s_and_saveexec_b64 s[44:45], s[46:47]
	s_cbranch_execz .LBB1239_246
; %bb.250:                              ;   in Loop: Header=BB1239_247 Depth=2
	s_add_u32 s36, s36, -1
	v_add_co_u32_e32 v8, vcc, 2, v8
	s_addc_u32 s37, s37, -1
	v_addc_co_u32_e32 v9, vcc, 0, v9, vcc
	s_cmp_eq_u64 s[36:37], 0
	v_add_co_u32_e32 v10, vcc, 2, v10
	s_cselect_b64 s[40:41], -1, 0
	v_addc_co_u32_e32 v11, vcc, 0, v11, vcc
	s_andn2_b64 s[34:35], s[34:35], exec
	s_and_b64 s[38:39], s[42:43], exec
	s_orn2_b64 s[40:41], s[40:41], exec
	s_branch .LBB1239_246
.LBB1239_251:
	s_or_b64 exec, exec, s[4:5]
.LBB1239_252:
	s_or_b64 exec, exec, s[2:3]
	v_add_u32_e32 v8, v17, v21
	v_add_u32_e32 v15, v20, v19
	v_sub_u32_e32 v19, v8, v20
	v_cmp_le_u32_e32 vcc, v15, v17
	v_cmp_le_u32_e64 s[2:3], v19, v18
	s_or_b64 s[2:3], vcc, s[2:3]
	s_and_saveexec_b64 s[26:27], s[2:3]
	s_cbranch_execz .LBB1239_296
; %bb.253:
	v_cmp_ge_u32_e32 vcc, v15, v17
	v_cmp_lt_u32_e64 s[2:3], v15, v17
                                        ; implicit-def: $vgpr0_vgpr1
	s_and_saveexec_b64 s[4:5], s[2:3]
	s_cbranch_execz .LBB1239_255
; %bb.254:
	v_lshl_add_u32 v0, v20, 3, v16
	ds_read_b64 v[0:1], v0
.LBB1239_255:
	s_or_b64 exec, exec, s[4:5]
	v_cmp_ge_u32_e64 s[2:3], v19, v18
	v_cmp_lt_u32_e64 s[4:5], v19, v18
                                        ; implicit-def: $vgpr4_vgpr5
	s_and_saveexec_b64 s[28:29], s[4:5]
	s_cbranch_execz .LBB1239_257
; %bb.256:
	v_lshl_add_u32 v2, v19, 3, v14
	ds_read_b64 v[4:5], v2
.LBB1239_257:
	s_or_b64 exec, exec, s[28:29]
	s_or_b64 s[4:5], vcc, s[2:3]
	s_or_b64 s[4:5], s[4:5], s[24:25]
	s_xor_b64 s[28:29], s[4:5], -1
	s_xor_b64 s[4:5], vcc, -1
	s_or_b64 s[2:3], s[2:3], s[4:5]
	s_and_saveexec_b64 s[4:5], s[28:29]
	s_cbranch_execz .LBB1239_265
; %bb.258:
	s_waitcnt lgkmcnt(0)
	v_mul_lo_u32 v6, v5, s12
	v_mul_lo_u32 v7, v4, s13
	v_mad_u64_u32 v[2:3], s[28:29], v4, s12, 0
	v_add3_u32 v3, v3, v7, v6
	v_lshlrev_b64 v[2:3], 1, v[2:3]
	v_mov_b32_e32 v6, s15
	v_add_co_u32_e32 v2, vcc, s14, v2
	v_addc_co_u32_e32 v3, vcc, v6, v3, vcc
	v_mul_lo_u32 v8, v1, s12
	v_mul_lo_u32 v9, v0, s13
	v_mad_u64_u32 v[6:7], s[28:29], v0, s12, 0
	v_add3_u32 v7, v7, v9, v8
	v_lshlrev_b64 v[6:7], 1, v[6:7]
	v_mov_b32_e32 v8, s15
	v_add_co_u32_e32 v6, vcc, s14, v6
	v_addc_co_u32_e32 v7, vcc, v8, v7, vcc
	s_mov_b64 s[28:29], 0
	s_mov_b64 s[36:37], s[12:13]
                                        ; implicit-def: $sgpr30_sgpr31
                                        ; implicit-def: $sgpr34_sgpr35
                                        ; implicit-def: $sgpr38_sgpr39
	s_branch .LBB1239_260
.LBB1239_259:                           ;   in Loop: Header=BB1239_260 Depth=1
	s_or_b64 exec, exec, s[42:43]
	s_and_b64 s[40:41], exec, s[44:45]
	s_or_b64 s[28:29], s[40:41], s[28:29]
	s_andn2_b64 s[30:31], s[30:31], exec
	s_and_b64 s[40:41], s[34:35], exec
	s_or_b64 s[30:31], s[30:31], s[40:41]
	s_andn2_b64 exec, exec, s[28:29]
	s_cbranch_execz .LBB1239_264
.LBB1239_260:                           ; =>This Inner Loop Header: Depth=1
	global_load_ushort v8, v[2:3], off
	global_load_ushort v9, v[6:7], off
	s_mov_b64 s[46:47], 0
	s_mov_b64 s[40:41], -1
	s_waitcnt vmcnt(0)
	v_cmp_nlt_f16_e32 vcc, v8, v9
	s_and_saveexec_b64 s[42:43], vcc
; %bb.261:                              ;   in Loop: Header=BB1239_260 Depth=1
	v_cmp_ngt_f16_e32 vcc, v8, v9
	s_and_b64 s[38:39], vcc, s[38:39]
	s_orn2_b64 s[40:41], s[38:39], exec
	s_and_b64 s[46:47], vcc, exec
; %bb.262:                              ;   in Loop: Header=BB1239_260 Depth=1
	s_or_b64 exec, exec, s[42:43]
	s_andn2_b64 s[34:35], s[34:35], exec
	s_and_b64 s[38:39], s[40:41], exec
	s_mov_b64 s[44:45], -1
	s_or_b64 s[34:35], s[34:35], s[38:39]
                                        ; implicit-def: $sgpr38_sgpr39
	s_and_saveexec_b64 s[42:43], s[46:47]
	s_cbranch_execz .LBB1239_259
; %bb.263:                              ;   in Loop: Header=BB1239_260 Depth=1
	s_add_u32 s36, s36, -1
	v_add_co_u32_e32 v2, vcc, 2, v2
	s_addc_u32 s37, s37, -1
	v_addc_co_u32_e32 v3, vcc, 0, v3, vcc
	s_cmp_eq_u64 s[36:37], 0
	v_add_co_u32_e32 v6, vcc, 2, v6
	s_cselect_b64 s[44:45], -1, 0
	v_addc_co_u32_e32 v7, vcc, 0, v7, vcc
	s_and_b64 s[38:39], s[40:41], exec
	s_andn2_b64 s[34:35], s[34:35], exec
	s_orn2_b64 s[44:45], s[44:45], exec
	s_branch .LBB1239_259
.LBB1239_264:
	s_or_b64 exec, exec, s[28:29]
	s_xor_b64 s[28:29], s[30:31], -1
	s_andn2_b64 s[2:3], s[2:3], exec
	s_and_b64 s[28:29], s[28:29], exec
	s_or_b64 s[2:3], s[2:3], s[28:29]
.LBB1239_265:
	s_or_b64 exec, exec, s[4:5]
	v_cndmask_b32_e64 v2, v19, v15, s[2:3]
	v_cndmask_b32_e64 v3, v18, v17, s[2:3]
	v_add_u32_e32 v6, 1, v2
	v_add_u32_e32 v2, -1, v3
	v_min_u32_e32 v2, v6, v2
	v_lshl_add_u32 v2, v2, 3, v14
	ds_read_b64 v[2:3], v2
	v_cndmask_b32_e64 v19, v6, v19, s[2:3]
	v_cndmask_b32_e64 v34, v15, v6, s[2:3]
	v_cmp_lt_u32_e32 vcc, v19, v18
	s_mov_b64 s[4:5], -1
	s_waitcnt lgkmcnt(0)
	v_cndmask_b32_e64 v8, v3, v5, s[2:3]
	v_cndmask_b32_e64 v9, v2, v4, s[2:3]
	v_cndmask_b32_e64 v10, v1, v3, s[2:3]
	v_cndmask_b32_e64 v11, v0, v2, s[2:3]
	s_mov_b64 s[28:29], -1
	s_and_saveexec_b64 s[30:31], vcc
	s_cbranch_execz .LBB1239_275
; %bb.266:
	v_cmp_lt_u32_e64 s[28:29], v34, v17
	s_xor_b64 s[34:35], s[24:25], -1
	s_and_b64 s[36:37], s[28:29], s[34:35]
	s_and_saveexec_b64 s[34:35], s[36:37]
	s_cbranch_execz .LBB1239_274
; %bb.267:
	v_mul_lo_u32 v6, v8, s12
	v_mul_lo_u32 v7, v9, s13
	v_mad_u64_u32 v[2:3], s[36:37], v9, s12, 0
	v_add3_u32 v3, v3, v7, v6
	v_lshlrev_b64 v[2:3], 1, v[2:3]
	v_mov_b32_e32 v6, s15
	v_add_co_u32_e32 v2, vcc, s14, v2
	v_addc_co_u32_e32 v3, vcc, v6, v3, vcc
	v_mul_lo_u32 v15, v10, s12
	v_mul_lo_u32 v16, v11, s13
	v_mad_u64_u32 v[6:7], s[36:37], v11, s12, 0
	v_add3_u32 v7, v7, v16, v15
	v_lshlrev_b64 v[6:7], 1, v[6:7]
	v_mov_b32_e32 v15, s15
	v_add_co_u32_e32 v6, vcc, s14, v6
	v_addc_co_u32_e32 v7, vcc, v15, v7, vcc
	s_mov_b64 s[36:37], 0
	s_mov_b64 s[42:43], s[12:13]
                                        ; implicit-def: $sgpr38_sgpr39
                                        ; implicit-def: $sgpr40_sgpr41
                                        ; implicit-def: $sgpr44_sgpr45
	s_branch .LBB1239_269
.LBB1239_268:                           ;   in Loop: Header=BB1239_269 Depth=1
	s_or_b64 exec, exec, s[48:49]
	s_and_b64 s[46:47], exec, s[50:51]
	s_or_b64 s[36:37], s[46:47], s[36:37]
	s_andn2_b64 s[38:39], s[38:39], exec
	s_and_b64 s[46:47], s[40:41], exec
	s_or_b64 s[38:39], s[38:39], s[46:47]
	s_andn2_b64 exec, exec, s[36:37]
	s_cbranch_execz .LBB1239_273
.LBB1239_269:                           ; =>This Inner Loop Header: Depth=1
	global_load_ushort v15, v[2:3], off
	global_load_ushort v16, v[6:7], off
	s_mov_b64 s[52:53], 0
	s_mov_b64 s[46:47], -1
	s_waitcnt vmcnt(0)
	v_cmp_nlt_f16_e32 vcc, v15, v16
	s_and_saveexec_b64 s[48:49], vcc
; %bb.270:                              ;   in Loop: Header=BB1239_269 Depth=1
	v_cmp_ngt_f16_e32 vcc, v15, v16
	s_and_b64 s[44:45], vcc, s[44:45]
	s_orn2_b64 s[46:47], s[44:45], exec
	s_and_b64 s[52:53], vcc, exec
; %bb.271:                              ;   in Loop: Header=BB1239_269 Depth=1
	s_or_b64 exec, exec, s[48:49]
	s_andn2_b64 s[40:41], s[40:41], exec
	s_and_b64 s[44:45], s[46:47], exec
	s_mov_b64 s[50:51], -1
	s_or_b64 s[40:41], s[40:41], s[44:45]
                                        ; implicit-def: $sgpr44_sgpr45
	s_and_saveexec_b64 s[48:49], s[52:53]
	s_cbranch_execz .LBB1239_268
; %bb.272:                              ;   in Loop: Header=BB1239_269 Depth=1
	s_add_u32 s42, s42, -1
	v_add_co_u32_e32 v2, vcc, 2, v2
	s_addc_u32 s43, s43, -1
	v_addc_co_u32_e32 v3, vcc, 0, v3, vcc
	s_cmp_eq_u64 s[42:43], 0
	v_add_co_u32_e32 v6, vcc, 2, v6
	s_cselect_b64 s[50:51], -1, 0
	v_addc_co_u32_e32 v7, vcc, 0, v7, vcc
	s_and_b64 s[44:45], s[46:47], exec
	s_andn2_b64 s[40:41], s[40:41], exec
	s_orn2_b64 s[50:51], s[50:51], exec
	s_branch .LBB1239_268
.LBB1239_273:
	s_or_b64 exec, exec, s[36:37]
	s_xor_b64 s[36:37], s[38:39], -1
	s_andn2_b64 s[28:29], s[28:29], exec
	s_and_b64 s[36:37], s[36:37], exec
	s_or_b64 s[28:29], s[28:29], s[36:37]
.LBB1239_274:
	s_or_b64 exec, exec, s[34:35]
	s_orn2_b64 s[28:29], s[28:29], exec
.LBB1239_275:
	s_or_b64 exec, exec, s[30:31]
	v_cndmask_b32_e64 v2, v19, v34, s[28:29]
	v_cndmask_b32_e64 v3, v18, v17, s[28:29]
	v_add_u32_e32 v6, 1, v2
	v_add_u32_e32 v2, -1, v3
	v_min_u32_e32 v2, v6, v2
	v_lshl_add_u32 v2, v2, 3, v14
	ds_read_b64 v[2:3], v2
	v_cndmask_b32_e64 v20, v6, v19, s[28:29]
	v_cndmask_b32_e64 v19, v34, v6, s[28:29]
	v_cmp_lt_u32_e32 vcc, v20, v18
	s_waitcnt lgkmcnt(0)
	v_cndmask_b32_e64 v15, v3, v8, s[28:29]
	v_cndmask_b32_e64 v16, v2, v9, s[28:29]
	;; [unrolled: 1-line block ×4, first 2 shown]
	s_and_saveexec_b64 s[30:31], vcc
	s_cbranch_execz .LBB1239_285
; %bb.276:
	v_cmp_lt_u32_e64 s[4:5], v19, v17
	s_xor_b64 s[34:35], s[24:25], -1
	s_and_b64 s[36:37], s[4:5], s[34:35]
	s_and_saveexec_b64 s[34:35], s[36:37]
	s_cbranch_execz .LBB1239_284
; %bb.277:
	v_mul_lo_u32 v6, v15, s12
	v_mul_lo_u32 v7, v16, s13
	v_mad_u64_u32 v[2:3], s[36:37], v16, s12, 0
	v_add3_u32 v3, v3, v7, v6
	v_lshlrev_b64 v[2:3], 1, v[2:3]
	v_mov_b32_e32 v6, s15
	v_add_co_u32_e32 v2, vcc, s14, v2
	v_addc_co_u32_e32 v3, vcc, v6, v3, vcc
	v_mul_lo_u32 v34, v21, s12
	v_mul_lo_u32 v35, v33, s13
	v_mad_u64_u32 v[6:7], s[36:37], v33, s12, 0
	v_add3_u32 v7, v7, v35, v34
	v_lshlrev_b64 v[6:7], 1, v[6:7]
	v_mov_b32_e32 v34, s15
	v_add_co_u32_e32 v6, vcc, s14, v6
	v_addc_co_u32_e32 v7, vcc, v34, v7, vcc
	s_mov_b64 s[36:37], 0
	s_mov_b64 s[42:43], s[12:13]
                                        ; implicit-def: $sgpr38_sgpr39
                                        ; implicit-def: $sgpr40_sgpr41
                                        ; implicit-def: $sgpr44_sgpr45
	s_branch .LBB1239_279
.LBB1239_278:                           ;   in Loop: Header=BB1239_279 Depth=1
	s_or_b64 exec, exec, s[48:49]
	s_and_b64 s[46:47], exec, s[50:51]
	s_or_b64 s[36:37], s[46:47], s[36:37]
	s_andn2_b64 s[38:39], s[38:39], exec
	s_and_b64 s[46:47], s[40:41], exec
	s_or_b64 s[38:39], s[38:39], s[46:47]
	s_andn2_b64 exec, exec, s[36:37]
	s_cbranch_execz .LBB1239_283
.LBB1239_279:                           ; =>This Inner Loop Header: Depth=1
	global_load_ushort v34, v[2:3], off
	global_load_ushort v35, v[6:7], off
	s_mov_b64 s[52:53], 0
	s_mov_b64 s[46:47], -1
	s_waitcnt vmcnt(0)
	v_cmp_nlt_f16_e32 vcc, v34, v35
	s_and_saveexec_b64 s[48:49], vcc
; %bb.280:                              ;   in Loop: Header=BB1239_279 Depth=1
	v_cmp_ngt_f16_e32 vcc, v34, v35
	s_and_b64 s[44:45], vcc, s[44:45]
	s_orn2_b64 s[46:47], s[44:45], exec
	s_and_b64 s[52:53], vcc, exec
; %bb.281:                              ;   in Loop: Header=BB1239_279 Depth=1
	s_or_b64 exec, exec, s[48:49]
	s_andn2_b64 s[40:41], s[40:41], exec
	s_and_b64 s[44:45], s[46:47], exec
	s_mov_b64 s[50:51], -1
	s_or_b64 s[40:41], s[40:41], s[44:45]
                                        ; implicit-def: $sgpr44_sgpr45
	s_and_saveexec_b64 s[48:49], s[52:53]
	s_cbranch_execz .LBB1239_278
; %bb.282:                              ;   in Loop: Header=BB1239_279 Depth=1
	s_add_u32 s42, s42, -1
	v_add_co_u32_e32 v2, vcc, 2, v2
	s_addc_u32 s43, s43, -1
	v_addc_co_u32_e32 v3, vcc, 0, v3, vcc
	s_cmp_eq_u64 s[42:43], 0
	v_add_co_u32_e32 v6, vcc, 2, v6
	s_cselect_b64 s[50:51], -1, 0
	v_addc_co_u32_e32 v7, vcc, 0, v7, vcc
	s_and_b64 s[44:45], s[46:47], exec
	s_andn2_b64 s[40:41], s[40:41], exec
	s_orn2_b64 s[50:51], s[50:51], exec
	s_branch .LBB1239_278
.LBB1239_283:
	s_or_b64 exec, exec, s[36:37]
	s_xor_b64 s[36:37], s[38:39], -1
	s_andn2_b64 s[4:5], s[4:5], exec
	s_and_b64 s[36:37], s[36:37], exec
	s_or_b64 s[4:5], s[4:5], s[36:37]
.LBB1239_284:
	s_or_b64 exec, exec, s[34:35]
	s_orn2_b64 s[4:5], s[4:5], exec
.LBB1239_285:
	s_or_b64 exec, exec, s[30:31]
	v_cndmask_b32_e64 v6, v20, v19, s[4:5]
	v_cndmask_b32_e64 v7, v18, v17, s[4:5]
	;; [unrolled: 1-line block ×3, first 2 shown]
	v_add_u32_e32 v10, 1, v6
	v_add_u32_e32 v6, -1, v7
	v_min_u32_e32 v6, v10, v6
	v_lshl_add_u32 v6, v6, 3, v14
	v_cndmask_b32_e64 v2, v9, v11, s[28:29]
	ds_read_b64 v[8:9], v6
	v_cndmask_b32_e64 v11, v10, v20, s[4:5]
	v_cndmask_b32_e64 v1, v5, v1, s[2:3]
	;; [unrolled: 1-line block ×5, first 2 shown]
	s_waitcnt lgkmcnt(0)
	v_cndmask_b32_e64 v7, v21, v9, s[4:5]
	v_cndmask_b32_e64 v6, v33, v8, s[4:5]
	v_cmp_lt_u32_e32 vcc, v11, v18
	s_and_saveexec_b64 s[2:3], vcc
	s_cbranch_execz .LBB1239_295
; %bb.286:
	v_cndmask_b32_e64 v14, v9, v15, s[4:5]
	v_cndmask_b32_e64 v15, v8, v16, s[4:5]
	;; [unrolled: 1-line block ×3, first 2 shown]
	v_cmp_ge_u32_e32 vcc, v8, v17
	s_or_b64 s[4:5], vcc, s[24:25]
	v_cndmask_b32_e32 v9, v7, v14, vcc
	s_xor_b64 s[28:29], s[4:5], -1
	v_cndmask_b32_e32 v8, v6, v15, vcc
	s_and_saveexec_b64 s[4:5], s[28:29]
	s_cbranch_execz .LBB1239_294
; %bb.287:
	v_mul_lo_u32 v10, v14, s12
	v_mul_lo_u32 v11, v15, s13
	v_mad_u64_u32 v[8:9], s[28:29], v15, s12, 0
	v_add3_u32 v9, v9, v11, v10
	v_lshlrev_b64 v[8:9], 1, v[8:9]
	v_mov_b32_e32 v10, s15
	v_add_co_u32_e32 v8, vcc, s14, v8
	v_addc_co_u32_e32 v9, vcc, v10, v9, vcc
	v_mul_lo_u32 v16, v7, s12
	v_mul_lo_u32 v17, v6, s13
	v_mad_u64_u32 v[10:11], s[28:29], v6, s12, 0
	v_add3_u32 v11, v11, v17, v16
	v_lshlrev_b64 v[10:11], 1, v[10:11]
	v_mov_b32_e32 v16, s15
	v_add_co_u32_e32 v10, vcc, s14, v10
	v_addc_co_u32_e32 v11, vcc, v16, v11, vcc
	s_mov_b64 s[28:29], 0
	s_mov_b64 s[36:37], s[12:13]
                                        ; implicit-def: $sgpr30_sgpr31
                                        ; implicit-def: $sgpr34_sgpr35
                                        ; implicit-def: $sgpr38_sgpr39
	s_branch .LBB1239_289
.LBB1239_288:                           ;   in Loop: Header=BB1239_289 Depth=1
	s_or_b64 exec, exec, s[42:43]
	s_and_b64 s[40:41], exec, s[44:45]
	s_or_b64 s[28:29], s[40:41], s[28:29]
	s_andn2_b64 s[30:31], s[30:31], exec
	s_and_b64 s[40:41], s[34:35], exec
	s_or_b64 s[30:31], s[30:31], s[40:41]
	s_andn2_b64 exec, exec, s[28:29]
	s_cbranch_execz .LBB1239_293
.LBB1239_289:                           ; =>This Inner Loop Header: Depth=1
	global_load_ushort v16, v[8:9], off
	global_load_ushort v17, v[10:11], off
	s_mov_b64 s[46:47], 0
	s_mov_b64 s[40:41], -1
	s_waitcnt vmcnt(0)
	v_cmp_nlt_f16_e32 vcc, v16, v17
	s_and_saveexec_b64 s[42:43], vcc
; %bb.290:                              ;   in Loop: Header=BB1239_289 Depth=1
	v_cmp_ngt_f16_e32 vcc, v16, v17
	s_and_b64 s[38:39], vcc, s[38:39]
	s_orn2_b64 s[40:41], s[38:39], exec
	s_and_b64 s[46:47], vcc, exec
; %bb.291:                              ;   in Loop: Header=BB1239_289 Depth=1
	s_or_b64 exec, exec, s[42:43]
	s_andn2_b64 s[34:35], s[34:35], exec
	s_and_b64 s[38:39], s[40:41], exec
	s_mov_b64 s[44:45], -1
	s_or_b64 s[34:35], s[34:35], s[38:39]
                                        ; implicit-def: $sgpr38_sgpr39
	s_and_saveexec_b64 s[42:43], s[46:47]
	s_cbranch_execz .LBB1239_288
; %bb.292:                              ;   in Loop: Header=BB1239_289 Depth=1
	s_add_u32 s36, s36, -1
	v_add_co_u32_e32 v8, vcc, 2, v8
	s_addc_u32 s37, s37, -1
	v_addc_co_u32_e32 v9, vcc, 0, v9, vcc
	s_cmp_eq_u64 s[36:37], 0
	v_add_co_u32_e32 v10, vcc, 2, v10
	s_cselect_b64 s[44:45], -1, 0
	v_addc_co_u32_e32 v11, vcc, 0, v11, vcc
	s_and_b64 s[38:39], s[40:41], exec
	s_andn2_b64 s[34:35], s[34:35], exec
	s_orn2_b64 s[44:45], s[44:45], exec
	s_branch .LBB1239_288
.LBB1239_293:
	s_or_b64 exec, exec, s[28:29]
	v_cndmask_b32_e64 v9, v7, v14, s[30:31]
	v_cndmask_b32_e64 v8, v6, v15, s[30:31]
.LBB1239_294:
	s_or_b64 exec, exec, s[4:5]
	v_pk_mov_b32 v[6:7], v[8:9], v[8:9] op_sel:[0,1]
.LBB1239_295:
	s_or_b64 exec, exec, s[2:3]
.LBB1239_296:
	s_or_b64 exec, exec, s[26:27]
	v_and_b32_e32 v17, 0xf80, v23
	v_or_b32_e32 v8, 64, v17
	v_min_u32_e32 v15, 0x400, v8
	v_min_u32_e32 v8, 0x3c0, v8
	v_add_u32_e32 v16, 64, v8
	v_and_b32_e32 v18, 0x7c, v23
	v_sub_u32_e32 v8, v15, v17
	v_sub_u32_e32 v9, v16, v15
	v_sub_u32_e64 v20, v18, v9 clamp
	v_min_u32_e32 v21, v18, v8
	v_lshlrev_b32_e32 v14, 3, v23
	v_lshlrev_b32_e32 v19, 3, v17
	v_cmp_lt_u32_e32 vcc, v20, v21
	; wave barrier
	s_waitcnt lgkmcnt(0)
	s_barrier
	ds_write_b128 v14, v[0:3]
	ds_write_b128 v14, v[4:7] offset:16
	s_waitcnt lgkmcnt(0)
	s_barrier
	s_and_saveexec_b64 s[2:3], vcc
	s_cbranch_execz .LBB1239_308
; %bb.297:
	v_lshlrev_b32_e32 v8, 3, v18
	v_lshl_add_u32 v33, v15, 3, v8
	s_lshl_b64 s[26:27], s[12:13], 1
	s_mov_b64 s[4:5], 0
	s_branch .LBB1239_300
.LBB1239_298:                           ;   in Loop: Header=BB1239_300 Depth=1
	s_or_b64 exec, exec, s[30:31]
.LBB1239_299:                           ;   in Loop: Header=BB1239_300 Depth=1
	v_add_u32_e32 v8, 1, v34
	v_cndmask_b32_e64 v21, v21, v34, s[28:29]
	v_cndmask_b32_e64 v20, v8, v20, s[28:29]
	v_cmp_ge_u32_e32 vcc, v20, v21
	s_or_b64 s[4:5], vcc, s[4:5]
	s_andn2_b64 exec, exec, s[4:5]
	s_cbranch_execz .LBB1239_307
.LBB1239_300:                           ; =>This Loop Header: Depth=1
                                        ;     Child Loop BB1239_303 Depth 2
	v_add_u32_e32 v8, v21, v20
	v_lshrrev_b32_e32 v34, 1, v8
	s_and_b64 vcc, exec, s[0:1]
	s_mov_b64 s[28:29], 0
	s_cbranch_vccnz .LBB1239_299
; %bb.301:                              ;   in Loop: Header=BB1239_300 Depth=1
	v_not_b32_e32 v8, v34
	v_lshl_add_u32 v8, v8, 3, v33
	ds_read_b64 v[8:9], v8
	v_lshl_add_u32 v35, v34, 3, v19
	ds_read_b64 v[36:37], v35
	v_pk_mov_b32 v[10:11], s[14:15], s[14:15] op_sel:[0,1]
	s_mov_b64 s[30:31], 0
	s_waitcnt lgkmcnt(1)
	v_mul_lo_u32 v35, s26, v9
	v_mul_lo_u32 v38, s27, v8
	v_mad_u64_u32 v[8:9], s[28:29], s26, v8, v[10:11]
	v_add3_u32 v9, v38, v9, v35
	s_waitcnt lgkmcnt(0)
	v_mul_lo_u32 v35, s26, v37
	v_mul_lo_u32 v37, s27, v36
	v_mad_u64_u32 v[10:11], s[28:29], s26, v36, v[10:11]
	v_add3_u32 v11, v37, v11, v35
	s_mov_b64 s[36:37], s[12:13]
                                        ; implicit-def: $sgpr28_sgpr29
                                        ; implicit-def: $sgpr34_sgpr35
                                        ; implicit-def: $sgpr38_sgpr39
	s_branch .LBB1239_303
.LBB1239_302:                           ;   in Loop: Header=BB1239_303 Depth=2
	s_or_b64 exec, exec, s[44:45]
	s_and_b64 s[40:41], exec, s[40:41]
	s_or_b64 s[30:31], s[40:41], s[30:31]
	s_andn2_b64 s[28:29], s[28:29], exec
	s_and_b64 s[40:41], s[34:35], exec
	s_or_b64 s[28:29], s[28:29], s[40:41]
	s_andn2_b64 exec, exec, s[30:31]
	s_cbranch_execz .LBB1239_298
.LBB1239_303:                           ;   Parent Loop BB1239_300 Depth=1
                                        ; =>  This Inner Loop Header: Depth=2
	global_load_ushort v35, v[8:9], off
	global_load_ushort v36, v[10:11], off
	s_mov_b64 s[40:41], -1
	s_mov_b64 s[46:47], 0
	s_mov_b64 s[42:43], -1
	s_waitcnt vmcnt(0)
	v_cmp_nlt_f16_e32 vcc, v35, v36
	s_and_saveexec_b64 s[44:45], vcc
; %bb.304:                              ;   in Loop: Header=BB1239_303 Depth=2
	v_cmp_ngt_f16_e32 vcc, v35, v36
	s_and_b64 s[38:39], vcc, s[38:39]
	s_orn2_b64 s[42:43], s[38:39], exec
	s_and_b64 s[46:47], vcc, exec
; %bb.305:                              ;   in Loop: Header=BB1239_303 Depth=2
	s_or_b64 exec, exec, s[44:45]
	s_andn2_b64 s[34:35], s[34:35], exec
	s_and_b64 s[38:39], s[42:43], exec
	s_or_b64 s[34:35], s[34:35], s[38:39]
                                        ; implicit-def: $sgpr38_sgpr39
	s_and_saveexec_b64 s[44:45], s[46:47]
	s_cbranch_execz .LBB1239_302
; %bb.306:                              ;   in Loop: Header=BB1239_303 Depth=2
	s_add_u32 s36, s36, -1
	v_add_co_u32_e32 v8, vcc, 2, v8
	s_addc_u32 s37, s37, -1
	v_addc_co_u32_e32 v9, vcc, 0, v9, vcc
	s_cmp_eq_u64 s[36:37], 0
	v_add_co_u32_e32 v10, vcc, 2, v10
	s_cselect_b64 s[40:41], -1, 0
	v_addc_co_u32_e32 v11, vcc, 0, v11, vcc
	s_andn2_b64 s[34:35], s[34:35], exec
	s_and_b64 s[38:39], s[42:43], exec
	s_orn2_b64 s[40:41], s[40:41], exec
	s_branch .LBB1239_302
.LBB1239_307:
	s_or_b64 exec, exec, s[4:5]
.LBB1239_308:
	s_or_b64 exec, exec, s[2:3]
	v_sub_u32_e32 v8, v18, v20
	v_add_u32_e32 v17, v20, v17
	v_add_u32_e32 v18, v8, v15
	v_cmp_le_u32_e32 vcc, v17, v15
	v_cmp_le_u32_e64 s[2:3], v18, v16
	s_or_b64 s[2:3], vcc, s[2:3]
	s_and_saveexec_b64 s[26:27], s[2:3]
	s_cbranch_execz .LBB1239_352
; %bb.309:
	v_cmp_ge_u32_e32 vcc, v17, v15
	v_cmp_lt_u32_e64 s[2:3], v17, v15
                                        ; implicit-def: $vgpr0_vgpr1
	s_and_saveexec_b64 s[4:5], s[2:3]
	s_cbranch_execz .LBB1239_311
; %bb.310:
	v_lshl_add_u32 v0, v20, 3, v19
	ds_read_b64 v[0:1], v0
.LBB1239_311:
	s_or_b64 exec, exec, s[4:5]
	v_cmp_ge_u32_e64 s[2:3], v18, v16
	v_cmp_lt_u32_e64 s[4:5], v18, v16
                                        ; implicit-def: $vgpr4_vgpr5
	s_and_saveexec_b64 s[28:29], s[4:5]
	s_cbranch_execz .LBB1239_313
; %bb.312:
	v_lshlrev_b32_e32 v2, 3, v18
	ds_read_b64 v[4:5], v2
.LBB1239_313:
	s_or_b64 exec, exec, s[28:29]
	s_or_b64 s[4:5], vcc, s[2:3]
	s_or_b64 s[4:5], s[4:5], s[24:25]
	s_xor_b64 s[28:29], s[4:5], -1
	s_xor_b64 s[4:5], vcc, -1
	s_or_b64 s[2:3], s[2:3], s[4:5]
	s_and_saveexec_b64 s[4:5], s[28:29]
	s_cbranch_execz .LBB1239_321
; %bb.314:
	s_waitcnt lgkmcnt(0)
	v_mul_lo_u32 v6, v5, s12
	v_mul_lo_u32 v7, v4, s13
	v_mad_u64_u32 v[2:3], s[28:29], v4, s12, 0
	v_add3_u32 v3, v3, v7, v6
	v_lshlrev_b64 v[2:3], 1, v[2:3]
	v_mov_b32_e32 v6, s15
	v_add_co_u32_e32 v2, vcc, s14, v2
	v_addc_co_u32_e32 v3, vcc, v6, v3, vcc
	v_mul_lo_u32 v8, v1, s12
	v_mul_lo_u32 v9, v0, s13
	v_mad_u64_u32 v[6:7], s[28:29], v0, s12, 0
	v_add3_u32 v7, v7, v9, v8
	v_lshlrev_b64 v[6:7], 1, v[6:7]
	v_mov_b32_e32 v8, s15
	v_add_co_u32_e32 v6, vcc, s14, v6
	v_addc_co_u32_e32 v7, vcc, v8, v7, vcc
	s_mov_b64 s[28:29], 0
	s_mov_b64 s[36:37], s[12:13]
                                        ; implicit-def: $sgpr30_sgpr31
                                        ; implicit-def: $sgpr34_sgpr35
                                        ; implicit-def: $sgpr38_sgpr39
	s_branch .LBB1239_316
.LBB1239_315:                           ;   in Loop: Header=BB1239_316 Depth=1
	s_or_b64 exec, exec, s[42:43]
	s_and_b64 s[40:41], exec, s[44:45]
	s_or_b64 s[28:29], s[40:41], s[28:29]
	s_andn2_b64 s[30:31], s[30:31], exec
	s_and_b64 s[40:41], s[34:35], exec
	s_or_b64 s[30:31], s[30:31], s[40:41]
	s_andn2_b64 exec, exec, s[28:29]
	s_cbranch_execz .LBB1239_320
.LBB1239_316:                           ; =>This Inner Loop Header: Depth=1
	global_load_ushort v8, v[2:3], off
	global_load_ushort v9, v[6:7], off
	s_mov_b64 s[46:47], 0
	s_mov_b64 s[40:41], -1
	s_waitcnt vmcnt(0)
	v_cmp_nlt_f16_e32 vcc, v8, v9
	s_and_saveexec_b64 s[42:43], vcc
; %bb.317:                              ;   in Loop: Header=BB1239_316 Depth=1
	v_cmp_ngt_f16_e32 vcc, v8, v9
	s_and_b64 s[38:39], vcc, s[38:39]
	s_orn2_b64 s[40:41], s[38:39], exec
	s_and_b64 s[46:47], vcc, exec
; %bb.318:                              ;   in Loop: Header=BB1239_316 Depth=1
	s_or_b64 exec, exec, s[42:43]
	s_andn2_b64 s[34:35], s[34:35], exec
	s_and_b64 s[38:39], s[40:41], exec
	s_mov_b64 s[44:45], -1
	s_or_b64 s[34:35], s[34:35], s[38:39]
                                        ; implicit-def: $sgpr38_sgpr39
	s_and_saveexec_b64 s[42:43], s[46:47]
	s_cbranch_execz .LBB1239_315
; %bb.319:                              ;   in Loop: Header=BB1239_316 Depth=1
	s_add_u32 s36, s36, -1
	v_add_co_u32_e32 v2, vcc, 2, v2
	s_addc_u32 s37, s37, -1
	v_addc_co_u32_e32 v3, vcc, 0, v3, vcc
	s_cmp_eq_u64 s[36:37], 0
	v_add_co_u32_e32 v6, vcc, 2, v6
	s_cselect_b64 s[44:45], -1, 0
	v_addc_co_u32_e32 v7, vcc, 0, v7, vcc
	s_and_b64 s[38:39], s[40:41], exec
	s_andn2_b64 s[34:35], s[34:35], exec
	s_orn2_b64 s[44:45], s[44:45], exec
	s_branch .LBB1239_315
.LBB1239_320:
	s_or_b64 exec, exec, s[28:29]
	s_xor_b64 s[28:29], s[30:31], -1
	s_andn2_b64 s[2:3], s[2:3], exec
	s_and_b64 s[28:29], s[28:29], exec
	s_or_b64 s[2:3], s[2:3], s[28:29]
.LBB1239_321:
	s_or_b64 exec, exec, s[4:5]
	v_cndmask_b32_e64 v2, v18, v17, s[2:3]
	v_cndmask_b32_e64 v3, v16, v15, s[2:3]
	v_add_u32_e32 v6, 1, v2
	v_add_u32_e32 v2, -1, v3
	v_min_u32_e32 v2, v6, v2
	v_lshlrev_b32_e32 v2, 3, v2
	ds_read_b64 v[2:3], v2
	v_cndmask_b32_e64 v19, v6, v18, s[2:3]
	v_cndmask_b32_e64 v34, v17, v6, s[2:3]
	v_cmp_lt_u32_e32 vcc, v19, v16
	s_mov_b64 s[4:5], -1
	s_waitcnt lgkmcnt(0)
	v_cndmask_b32_e64 v8, v3, v5, s[2:3]
	v_cndmask_b32_e64 v9, v2, v4, s[2:3]
	;; [unrolled: 1-line block ×4, first 2 shown]
	s_mov_b64 s[28:29], -1
	s_and_saveexec_b64 s[30:31], vcc
	s_cbranch_execz .LBB1239_331
; %bb.322:
	v_cmp_lt_u32_e64 s[28:29], v34, v15
	s_xor_b64 s[34:35], s[24:25], -1
	s_and_b64 s[36:37], s[28:29], s[34:35]
	s_and_saveexec_b64 s[34:35], s[36:37]
	s_cbranch_execz .LBB1239_330
; %bb.323:
	v_mul_lo_u32 v6, v8, s12
	v_mul_lo_u32 v7, v9, s13
	v_mad_u64_u32 v[2:3], s[36:37], v9, s12, 0
	v_add3_u32 v3, v3, v7, v6
	v_lshlrev_b64 v[2:3], 1, v[2:3]
	v_mov_b32_e32 v6, s15
	v_add_co_u32_e32 v2, vcc, s14, v2
	v_addc_co_u32_e32 v3, vcc, v6, v3, vcc
	v_mul_lo_u32 v17, v10, s12
	v_mul_lo_u32 v18, v11, s13
	v_mad_u64_u32 v[6:7], s[36:37], v11, s12, 0
	v_add3_u32 v7, v7, v18, v17
	v_lshlrev_b64 v[6:7], 1, v[6:7]
	v_mov_b32_e32 v17, s15
	v_add_co_u32_e32 v6, vcc, s14, v6
	v_addc_co_u32_e32 v7, vcc, v17, v7, vcc
	s_mov_b64 s[36:37], 0
	s_mov_b64 s[42:43], s[12:13]
                                        ; implicit-def: $sgpr38_sgpr39
                                        ; implicit-def: $sgpr40_sgpr41
                                        ; implicit-def: $sgpr44_sgpr45
	s_branch .LBB1239_325
.LBB1239_324:                           ;   in Loop: Header=BB1239_325 Depth=1
	s_or_b64 exec, exec, s[48:49]
	s_and_b64 s[46:47], exec, s[50:51]
	s_or_b64 s[36:37], s[46:47], s[36:37]
	s_andn2_b64 s[38:39], s[38:39], exec
	s_and_b64 s[46:47], s[40:41], exec
	s_or_b64 s[38:39], s[38:39], s[46:47]
	s_andn2_b64 exec, exec, s[36:37]
	s_cbranch_execz .LBB1239_329
.LBB1239_325:                           ; =>This Inner Loop Header: Depth=1
	global_load_ushort v17, v[2:3], off
	global_load_ushort v18, v[6:7], off
	s_mov_b64 s[52:53], 0
	s_mov_b64 s[46:47], -1
	s_waitcnt vmcnt(0)
	v_cmp_nlt_f16_e32 vcc, v17, v18
	s_and_saveexec_b64 s[48:49], vcc
; %bb.326:                              ;   in Loop: Header=BB1239_325 Depth=1
	v_cmp_ngt_f16_e32 vcc, v17, v18
	s_and_b64 s[44:45], vcc, s[44:45]
	s_orn2_b64 s[46:47], s[44:45], exec
	s_and_b64 s[52:53], vcc, exec
; %bb.327:                              ;   in Loop: Header=BB1239_325 Depth=1
	s_or_b64 exec, exec, s[48:49]
	s_andn2_b64 s[40:41], s[40:41], exec
	s_and_b64 s[44:45], s[46:47], exec
	s_mov_b64 s[50:51], -1
	s_or_b64 s[40:41], s[40:41], s[44:45]
                                        ; implicit-def: $sgpr44_sgpr45
	s_and_saveexec_b64 s[48:49], s[52:53]
	s_cbranch_execz .LBB1239_324
; %bb.328:                              ;   in Loop: Header=BB1239_325 Depth=1
	s_add_u32 s42, s42, -1
	v_add_co_u32_e32 v2, vcc, 2, v2
	s_addc_u32 s43, s43, -1
	v_addc_co_u32_e32 v3, vcc, 0, v3, vcc
	s_cmp_eq_u64 s[42:43], 0
	v_add_co_u32_e32 v6, vcc, 2, v6
	s_cselect_b64 s[50:51], -1, 0
	v_addc_co_u32_e32 v7, vcc, 0, v7, vcc
	s_and_b64 s[44:45], s[46:47], exec
	s_andn2_b64 s[40:41], s[40:41], exec
	s_orn2_b64 s[50:51], s[50:51], exec
	s_branch .LBB1239_324
.LBB1239_329:
	s_or_b64 exec, exec, s[36:37]
	s_xor_b64 s[36:37], s[38:39], -1
	s_andn2_b64 s[28:29], s[28:29], exec
	s_and_b64 s[36:37], s[36:37], exec
	s_or_b64 s[28:29], s[28:29], s[36:37]
.LBB1239_330:
	s_or_b64 exec, exec, s[34:35]
	s_orn2_b64 s[28:29], s[28:29], exec
.LBB1239_331:
	s_or_b64 exec, exec, s[30:31]
	v_cndmask_b32_e64 v2, v19, v34, s[28:29]
	v_cndmask_b32_e64 v3, v16, v15, s[28:29]
	v_add_u32_e32 v6, 1, v2
	v_add_u32_e32 v2, -1, v3
	v_min_u32_e32 v2, v6, v2
	v_lshlrev_b32_e32 v2, 3, v2
	ds_read_b64 v[2:3], v2
	v_cndmask_b32_e64 v20, v6, v19, s[28:29]
	v_cndmask_b32_e64 v19, v34, v6, s[28:29]
	v_cmp_lt_u32_e32 vcc, v20, v16
	s_waitcnt lgkmcnt(0)
	v_cndmask_b32_e64 v17, v3, v8, s[28:29]
	v_cndmask_b32_e64 v18, v2, v9, s[28:29]
	;; [unrolled: 1-line block ×4, first 2 shown]
	s_and_saveexec_b64 s[30:31], vcc
	s_cbranch_execz .LBB1239_341
; %bb.332:
	v_cmp_lt_u32_e64 s[4:5], v19, v15
	s_xor_b64 s[34:35], s[24:25], -1
	s_and_b64 s[36:37], s[4:5], s[34:35]
	s_and_saveexec_b64 s[34:35], s[36:37]
	s_cbranch_execz .LBB1239_340
; %bb.333:
	v_mul_lo_u32 v6, v17, s12
	v_mul_lo_u32 v7, v18, s13
	v_mad_u64_u32 v[2:3], s[36:37], v18, s12, 0
	v_add3_u32 v3, v3, v7, v6
	v_lshlrev_b64 v[2:3], 1, v[2:3]
	v_mov_b32_e32 v6, s15
	v_add_co_u32_e32 v2, vcc, s14, v2
	v_addc_co_u32_e32 v3, vcc, v6, v3, vcc
	v_mul_lo_u32 v34, v21, s12
	v_mul_lo_u32 v35, v33, s13
	v_mad_u64_u32 v[6:7], s[36:37], v33, s12, 0
	v_add3_u32 v7, v7, v35, v34
	v_lshlrev_b64 v[6:7], 1, v[6:7]
	v_mov_b32_e32 v34, s15
	v_add_co_u32_e32 v6, vcc, s14, v6
	v_addc_co_u32_e32 v7, vcc, v34, v7, vcc
	s_mov_b64 s[36:37], 0
	s_mov_b64 s[42:43], s[12:13]
                                        ; implicit-def: $sgpr38_sgpr39
                                        ; implicit-def: $sgpr40_sgpr41
                                        ; implicit-def: $sgpr44_sgpr45
	s_branch .LBB1239_335
.LBB1239_334:                           ;   in Loop: Header=BB1239_335 Depth=1
	s_or_b64 exec, exec, s[48:49]
	s_and_b64 s[46:47], exec, s[50:51]
	s_or_b64 s[36:37], s[46:47], s[36:37]
	s_andn2_b64 s[38:39], s[38:39], exec
	s_and_b64 s[46:47], s[40:41], exec
	s_or_b64 s[38:39], s[38:39], s[46:47]
	s_andn2_b64 exec, exec, s[36:37]
	s_cbranch_execz .LBB1239_339
.LBB1239_335:                           ; =>This Inner Loop Header: Depth=1
	global_load_ushort v34, v[2:3], off
	global_load_ushort v35, v[6:7], off
	s_mov_b64 s[52:53], 0
	s_mov_b64 s[46:47], -1
	s_waitcnt vmcnt(0)
	v_cmp_nlt_f16_e32 vcc, v34, v35
	s_and_saveexec_b64 s[48:49], vcc
; %bb.336:                              ;   in Loop: Header=BB1239_335 Depth=1
	v_cmp_ngt_f16_e32 vcc, v34, v35
	s_and_b64 s[44:45], vcc, s[44:45]
	s_orn2_b64 s[46:47], s[44:45], exec
	s_and_b64 s[52:53], vcc, exec
; %bb.337:                              ;   in Loop: Header=BB1239_335 Depth=1
	s_or_b64 exec, exec, s[48:49]
	s_andn2_b64 s[40:41], s[40:41], exec
	s_and_b64 s[44:45], s[46:47], exec
	s_mov_b64 s[50:51], -1
	s_or_b64 s[40:41], s[40:41], s[44:45]
                                        ; implicit-def: $sgpr44_sgpr45
	s_and_saveexec_b64 s[48:49], s[52:53]
	s_cbranch_execz .LBB1239_334
; %bb.338:                              ;   in Loop: Header=BB1239_335 Depth=1
	s_add_u32 s42, s42, -1
	v_add_co_u32_e32 v2, vcc, 2, v2
	s_addc_u32 s43, s43, -1
	v_addc_co_u32_e32 v3, vcc, 0, v3, vcc
	s_cmp_eq_u64 s[42:43], 0
	v_add_co_u32_e32 v6, vcc, 2, v6
	s_cselect_b64 s[50:51], -1, 0
	v_addc_co_u32_e32 v7, vcc, 0, v7, vcc
	s_and_b64 s[44:45], s[46:47], exec
	s_andn2_b64 s[40:41], s[40:41], exec
	s_orn2_b64 s[50:51], s[50:51], exec
	s_branch .LBB1239_334
.LBB1239_339:
	s_or_b64 exec, exec, s[36:37]
	s_xor_b64 s[36:37], s[38:39], -1
	s_andn2_b64 s[4:5], s[4:5], exec
	s_and_b64 s[36:37], s[36:37], exec
	s_or_b64 s[4:5], s[4:5], s[36:37]
.LBB1239_340:
	s_or_b64 exec, exec, s[34:35]
	s_orn2_b64 s[4:5], s[4:5], exec
.LBB1239_341:
	s_or_b64 exec, exec, s[30:31]
	v_cndmask_b32_e64 v6, v20, v19, s[4:5]
	v_cndmask_b32_e64 v7, v16, v15, s[4:5]
	;; [unrolled: 1-line block ×3, first 2 shown]
	v_add_u32_e32 v10, 1, v6
	v_add_u32_e32 v6, -1, v7
	v_min_u32_e32 v6, v10, v6
	v_lshlrev_b32_e32 v6, 3, v6
	v_cndmask_b32_e64 v2, v9, v11, s[28:29]
	ds_read_b64 v[8:9], v6
	v_cndmask_b32_e64 v11, v10, v20, s[4:5]
	v_cndmask_b32_e64 v1, v5, v1, s[2:3]
	;; [unrolled: 1-line block ×5, first 2 shown]
	s_waitcnt lgkmcnt(0)
	v_cndmask_b32_e64 v7, v21, v9, s[4:5]
	v_cndmask_b32_e64 v6, v33, v8, s[4:5]
	v_cmp_lt_u32_e32 vcc, v11, v16
	s_and_saveexec_b64 s[2:3], vcc
	s_cbranch_execz .LBB1239_351
; %bb.342:
	v_cndmask_b32_e64 v16, v9, v17, s[4:5]
	v_cndmask_b32_e64 v17, v8, v18, s[4:5]
	;; [unrolled: 1-line block ×3, first 2 shown]
	v_cmp_ge_u32_e32 vcc, v8, v15
	s_or_b64 s[4:5], vcc, s[24:25]
	v_cndmask_b32_e32 v9, v7, v16, vcc
	s_xor_b64 s[28:29], s[4:5], -1
	v_cndmask_b32_e32 v8, v6, v17, vcc
	s_and_saveexec_b64 s[4:5], s[28:29]
	s_cbranch_execz .LBB1239_350
; %bb.343:
	v_mul_lo_u32 v10, v16, s12
	v_mul_lo_u32 v11, v17, s13
	v_mad_u64_u32 v[8:9], s[28:29], v17, s12, 0
	v_add3_u32 v9, v9, v11, v10
	v_lshlrev_b64 v[8:9], 1, v[8:9]
	v_mov_b32_e32 v10, s15
	v_add_co_u32_e32 v8, vcc, s14, v8
	v_addc_co_u32_e32 v9, vcc, v10, v9, vcc
	v_mul_lo_u32 v15, v7, s12
	v_mul_lo_u32 v18, v6, s13
	v_mad_u64_u32 v[10:11], s[28:29], v6, s12, 0
	v_add3_u32 v11, v11, v18, v15
	v_lshlrev_b64 v[10:11], 1, v[10:11]
	v_mov_b32_e32 v15, s15
	v_add_co_u32_e32 v10, vcc, s14, v10
	v_addc_co_u32_e32 v11, vcc, v15, v11, vcc
	s_mov_b64 s[28:29], 0
	s_mov_b64 s[36:37], s[12:13]
                                        ; implicit-def: $sgpr30_sgpr31
                                        ; implicit-def: $sgpr34_sgpr35
                                        ; implicit-def: $sgpr38_sgpr39
	s_branch .LBB1239_345
.LBB1239_344:                           ;   in Loop: Header=BB1239_345 Depth=1
	s_or_b64 exec, exec, s[42:43]
	s_and_b64 s[40:41], exec, s[44:45]
	s_or_b64 s[28:29], s[40:41], s[28:29]
	s_andn2_b64 s[30:31], s[30:31], exec
	s_and_b64 s[40:41], s[34:35], exec
	s_or_b64 s[30:31], s[30:31], s[40:41]
	s_andn2_b64 exec, exec, s[28:29]
	s_cbranch_execz .LBB1239_349
.LBB1239_345:                           ; =>This Inner Loop Header: Depth=1
	global_load_ushort v15, v[8:9], off
	global_load_ushort v18, v[10:11], off
	s_mov_b64 s[46:47], 0
	s_mov_b64 s[40:41], -1
	s_waitcnt vmcnt(0)
	v_cmp_nlt_f16_e32 vcc, v15, v18
	s_and_saveexec_b64 s[42:43], vcc
; %bb.346:                              ;   in Loop: Header=BB1239_345 Depth=1
	v_cmp_ngt_f16_e32 vcc, v15, v18
	s_and_b64 s[38:39], vcc, s[38:39]
	s_orn2_b64 s[40:41], s[38:39], exec
	s_and_b64 s[46:47], vcc, exec
; %bb.347:                              ;   in Loop: Header=BB1239_345 Depth=1
	s_or_b64 exec, exec, s[42:43]
	s_andn2_b64 s[34:35], s[34:35], exec
	s_and_b64 s[38:39], s[40:41], exec
	s_mov_b64 s[44:45], -1
	s_or_b64 s[34:35], s[34:35], s[38:39]
                                        ; implicit-def: $sgpr38_sgpr39
	s_and_saveexec_b64 s[42:43], s[46:47]
	s_cbranch_execz .LBB1239_344
; %bb.348:                              ;   in Loop: Header=BB1239_345 Depth=1
	s_add_u32 s36, s36, -1
	v_add_co_u32_e32 v8, vcc, 2, v8
	s_addc_u32 s37, s37, -1
	v_addc_co_u32_e32 v9, vcc, 0, v9, vcc
	s_cmp_eq_u64 s[36:37], 0
	v_add_co_u32_e32 v10, vcc, 2, v10
	s_cselect_b64 s[44:45], -1, 0
	v_addc_co_u32_e32 v11, vcc, 0, v11, vcc
	s_and_b64 s[38:39], s[40:41], exec
	s_andn2_b64 s[34:35], s[34:35], exec
	s_orn2_b64 s[44:45], s[44:45], exec
	s_branch .LBB1239_344
.LBB1239_349:
	s_or_b64 exec, exec, s[28:29]
	v_cndmask_b32_e64 v9, v7, v16, s[30:31]
	v_cndmask_b32_e64 v8, v6, v17, s[30:31]
.LBB1239_350:
	s_or_b64 exec, exec, s[4:5]
	v_pk_mov_b32 v[6:7], v[8:9], v[8:9] op_sel:[0,1]
.LBB1239_351:
	s_or_b64 exec, exec, s[2:3]
.LBB1239_352:
	s_or_b64 exec, exec, s[26:27]
	v_and_b32_e32 v17, 0xf00, v23
	v_or_b32_e32 v8, 0x80, v17
	v_min_u32_e32 v15, 0x400, v8
	v_min_u32_e32 v8, 0x380, v8
	v_add_u32_e32 v16, 0x80, v8
	v_and_b32_e32 v18, 0xfc, v23
	v_sub_u32_e32 v8, v15, v17
	v_sub_u32_e32 v9, v16, v15
	v_sub_u32_e64 v20, v18, v9 clamp
	v_min_u32_e32 v21, v18, v8
	v_lshlrev_b32_e32 v19, 3, v17
	v_cmp_lt_u32_e32 vcc, v20, v21
	s_barrier
	ds_write_b128 v14, v[0:3]
	ds_write_b128 v14, v[4:7] offset:16
	s_waitcnt lgkmcnt(0)
	s_barrier
	s_and_saveexec_b64 s[2:3], vcc
	s_cbranch_execz .LBB1239_364
; %bb.353:
	v_lshlrev_b32_e32 v8, 3, v18
	v_lshl_add_u32 v33, v15, 3, v8
	s_lshl_b64 s[26:27], s[12:13], 1
	s_mov_b64 s[4:5], 0
	s_branch .LBB1239_356
.LBB1239_354:                           ;   in Loop: Header=BB1239_356 Depth=1
	s_or_b64 exec, exec, s[30:31]
.LBB1239_355:                           ;   in Loop: Header=BB1239_356 Depth=1
	v_add_u32_e32 v8, 1, v34
	v_cndmask_b32_e64 v21, v21, v34, s[28:29]
	v_cndmask_b32_e64 v20, v8, v20, s[28:29]
	v_cmp_ge_u32_e32 vcc, v20, v21
	s_or_b64 s[4:5], vcc, s[4:5]
	s_andn2_b64 exec, exec, s[4:5]
	s_cbranch_execz .LBB1239_363
.LBB1239_356:                           ; =>This Loop Header: Depth=1
                                        ;     Child Loop BB1239_359 Depth 2
	v_add_u32_e32 v8, v21, v20
	v_lshrrev_b32_e32 v34, 1, v8
	s_and_b64 vcc, exec, s[0:1]
	s_mov_b64 s[28:29], 0
	s_cbranch_vccnz .LBB1239_355
; %bb.357:                              ;   in Loop: Header=BB1239_356 Depth=1
	v_not_b32_e32 v8, v34
	v_lshl_add_u32 v8, v8, 3, v33
	ds_read_b64 v[8:9], v8
	v_lshl_add_u32 v35, v34, 3, v19
	ds_read_b64 v[36:37], v35
	v_pk_mov_b32 v[10:11], s[14:15], s[14:15] op_sel:[0,1]
	s_mov_b64 s[30:31], 0
	s_waitcnt lgkmcnt(1)
	v_mul_lo_u32 v35, s26, v9
	v_mul_lo_u32 v38, s27, v8
	v_mad_u64_u32 v[8:9], s[28:29], s26, v8, v[10:11]
	v_add3_u32 v9, v38, v9, v35
	s_waitcnt lgkmcnt(0)
	v_mul_lo_u32 v35, s26, v37
	v_mul_lo_u32 v37, s27, v36
	v_mad_u64_u32 v[10:11], s[28:29], s26, v36, v[10:11]
	v_add3_u32 v11, v37, v11, v35
	s_mov_b64 s[36:37], s[12:13]
                                        ; implicit-def: $sgpr28_sgpr29
                                        ; implicit-def: $sgpr34_sgpr35
                                        ; implicit-def: $sgpr38_sgpr39
	s_branch .LBB1239_359
.LBB1239_358:                           ;   in Loop: Header=BB1239_359 Depth=2
	s_or_b64 exec, exec, s[44:45]
	s_and_b64 s[40:41], exec, s[40:41]
	s_or_b64 s[30:31], s[40:41], s[30:31]
	s_andn2_b64 s[28:29], s[28:29], exec
	s_and_b64 s[40:41], s[34:35], exec
	s_or_b64 s[28:29], s[28:29], s[40:41]
	s_andn2_b64 exec, exec, s[30:31]
	s_cbranch_execz .LBB1239_354
.LBB1239_359:                           ;   Parent Loop BB1239_356 Depth=1
                                        ; =>  This Inner Loop Header: Depth=2
	global_load_ushort v35, v[8:9], off
	global_load_ushort v36, v[10:11], off
	s_mov_b64 s[40:41], -1
	s_mov_b64 s[46:47], 0
	s_mov_b64 s[42:43], -1
	s_waitcnt vmcnt(0)
	v_cmp_nlt_f16_e32 vcc, v35, v36
	s_and_saveexec_b64 s[44:45], vcc
; %bb.360:                              ;   in Loop: Header=BB1239_359 Depth=2
	v_cmp_ngt_f16_e32 vcc, v35, v36
	s_and_b64 s[38:39], vcc, s[38:39]
	s_orn2_b64 s[42:43], s[38:39], exec
	s_and_b64 s[46:47], vcc, exec
; %bb.361:                              ;   in Loop: Header=BB1239_359 Depth=2
	s_or_b64 exec, exec, s[44:45]
	s_andn2_b64 s[34:35], s[34:35], exec
	s_and_b64 s[38:39], s[42:43], exec
	s_or_b64 s[34:35], s[34:35], s[38:39]
                                        ; implicit-def: $sgpr38_sgpr39
	s_and_saveexec_b64 s[44:45], s[46:47]
	s_cbranch_execz .LBB1239_358
; %bb.362:                              ;   in Loop: Header=BB1239_359 Depth=2
	s_add_u32 s36, s36, -1
	v_add_co_u32_e32 v8, vcc, 2, v8
	s_addc_u32 s37, s37, -1
	v_addc_co_u32_e32 v9, vcc, 0, v9, vcc
	s_cmp_eq_u64 s[36:37], 0
	v_add_co_u32_e32 v10, vcc, 2, v10
	s_cselect_b64 s[40:41], -1, 0
	v_addc_co_u32_e32 v11, vcc, 0, v11, vcc
	s_andn2_b64 s[34:35], s[34:35], exec
	s_and_b64 s[38:39], s[42:43], exec
	s_orn2_b64 s[40:41], s[40:41], exec
	s_branch .LBB1239_358
.LBB1239_363:
	s_or_b64 exec, exec, s[4:5]
.LBB1239_364:
	s_or_b64 exec, exec, s[2:3]
	v_sub_u32_e32 v8, v18, v20
	v_add_u32_e32 v17, v20, v17
	v_add_u32_e32 v18, v8, v15
	v_cmp_le_u32_e32 vcc, v17, v15
	v_cmp_le_u32_e64 s[2:3], v18, v16
	s_or_b64 s[2:3], vcc, s[2:3]
	s_and_saveexec_b64 s[26:27], s[2:3]
	s_cbranch_execz .LBB1239_408
; %bb.365:
	v_cmp_ge_u32_e32 vcc, v17, v15
	v_cmp_lt_u32_e64 s[2:3], v17, v15
                                        ; implicit-def: $vgpr0_vgpr1
	s_and_saveexec_b64 s[4:5], s[2:3]
	s_cbranch_execz .LBB1239_367
; %bb.366:
	v_lshl_add_u32 v0, v20, 3, v19
	ds_read_b64 v[0:1], v0
.LBB1239_367:
	s_or_b64 exec, exec, s[4:5]
	v_cmp_ge_u32_e64 s[2:3], v18, v16
	v_cmp_lt_u32_e64 s[4:5], v18, v16
                                        ; implicit-def: $vgpr4_vgpr5
	s_and_saveexec_b64 s[28:29], s[4:5]
	s_cbranch_execz .LBB1239_369
; %bb.368:
	v_lshlrev_b32_e32 v2, 3, v18
	ds_read_b64 v[4:5], v2
.LBB1239_369:
	s_or_b64 exec, exec, s[28:29]
	s_or_b64 s[4:5], vcc, s[2:3]
	s_or_b64 s[4:5], s[4:5], s[24:25]
	s_xor_b64 s[28:29], s[4:5], -1
	s_xor_b64 s[4:5], vcc, -1
	s_or_b64 s[2:3], s[2:3], s[4:5]
	s_and_saveexec_b64 s[4:5], s[28:29]
	s_cbranch_execz .LBB1239_377
; %bb.370:
	s_waitcnt lgkmcnt(0)
	v_mul_lo_u32 v6, v5, s12
	v_mul_lo_u32 v7, v4, s13
	v_mad_u64_u32 v[2:3], s[28:29], v4, s12, 0
	v_add3_u32 v3, v3, v7, v6
	v_lshlrev_b64 v[2:3], 1, v[2:3]
	v_mov_b32_e32 v6, s15
	v_add_co_u32_e32 v2, vcc, s14, v2
	v_addc_co_u32_e32 v3, vcc, v6, v3, vcc
	v_mul_lo_u32 v8, v1, s12
	v_mul_lo_u32 v9, v0, s13
	v_mad_u64_u32 v[6:7], s[28:29], v0, s12, 0
	v_add3_u32 v7, v7, v9, v8
	v_lshlrev_b64 v[6:7], 1, v[6:7]
	v_mov_b32_e32 v8, s15
	v_add_co_u32_e32 v6, vcc, s14, v6
	v_addc_co_u32_e32 v7, vcc, v8, v7, vcc
	s_mov_b64 s[28:29], 0
	s_mov_b64 s[36:37], s[12:13]
                                        ; implicit-def: $sgpr30_sgpr31
                                        ; implicit-def: $sgpr34_sgpr35
                                        ; implicit-def: $sgpr38_sgpr39
	s_branch .LBB1239_372
.LBB1239_371:                           ;   in Loop: Header=BB1239_372 Depth=1
	s_or_b64 exec, exec, s[42:43]
	s_and_b64 s[40:41], exec, s[44:45]
	s_or_b64 s[28:29], s[40:41], s[28:29]
	s_andn2_b64 s[30:31], s[30:31], exec
	s_and_b64 s[40:41], s[34:35], exec
	s_or_b64 s[30:31], s[30:31], s[40:41]
	s_andn2_b64 exec, exec, s[28:29]
	s_cbranch_execz .LBB1239_376
.LBB1239_372:                           ; =>This Inner Loop Header: Depth=1
	global_load_ushort v8, v[2:3], off
	global_load_ushort v9, v[6:7], off
	s_mov_b64 s[46:47], 0
	s_mov_b64 s[40:41], -1
	s_waitcnt vmcnt(0)
	v_cmp_nlt_f16_e32 vcc, v8, v9
	s_and_saveexec_b64 s[42:43], vcc
; %bb.373:                              ;   in Loop: Header=BB1239_372 Depth=1
	v_cmp_ngt_f16_e32 vcc, v8, v9
	s_and_b64 s[38:39], vcc, s[38:39]
	s_orn2_b64 s[40:41], s[38:39], exec
	s_and_b64 s[46:47], vcc, exec
; %bb.374:                              ;   in Loop: Header=BB1239_372 Depth=1
	s_or_b64 exec, exec, s[42:43]
	s_andn2_b64 s[34:35], s[34:35], exec
	s_and_b64 s[38:39], s[40:41], exec
	s_mov_b64 s[44:45], -1
	s_or_b64 s[34:35], s[34:35], s[38:39]
                                        ; implicit-def: $sgpr38_sgpr39
	s_and_saveexec_b64 s[42:43], s[46:47]
	s_cbranch_execz .LBB1239_371
; %bb.375:                              ;   in Loop: Header=BB1239_372 Depth=1
	s_add_u32 s36, s36, -1
	v_add_co_u32_e32 v2, vcc, 2, v2
	s_addc_u32 s37, s37, -1
	v_addc_co_u32_e32 v3, vcc, 0, v3, vcc
	s_cmp_eq_u64 s[36:37], 0
	v_add_co_u32_e32 v6, vcc, 2, v6
	s_cselect_b64 s[44:45], -1, 0
	v_addc_co_u32_e32 v7, vcc, 0, v7, vcc
	s_and_b64 s[38:39], s[40:41], exec
	s_andn2_b64 s[34:35], s[34:35], exec
	s_orn2_b64 s[44:45], s[44:45], exec
	s_branch .LBB1239_371
.LBB1239_376:
	s_or_b64 exec, exec, s[28:29]
	s_xor_b64 s[28:29], s[30:31], -1
	s_andn2_b64 s[2:3], s[2:3], exec
	s_and_b64 s[28:29], s[28:29], exec
	s_or_b64 s[2:3], s[2:3], s[28:29]
.LBB1239_377:
	s_or_b64 exec, exec, s[4:5]
	v_cndmask_b32_e64 v2, v18, v17, s[2:3]
	v_cndmask_b32_e64 v3, v16, v15, s[2:3]
	v_add_u32_e32 v6, 1, v2
	v_add_u32_e32 v2, -1, v3
	v_min_u32_e32 v2, v6, v2
	v_lshlrev_b32_e32 v2, 3, v2
	ds_read_b64 v[2:3], v2
	v_cndmask_b32_e64 v19, v6, v18, s[2:3]
	v_cndmask_b32_e64 v34, v17, v6, s[2:3]
	v_cmp_lt_u32_e32 vcc, v19, v16
	s_mov_b64 s[4:5], -1
	s_waitcnt lgkmcnt(0)
	v_cndmask_b32_e64 v8, v3, v5, s[2:3]
	v_cndmask_b32_e64 v9, v2, v4, s[2:3]
	;; [unrolled: 1-line block ×4, first 2 shown]
	s_mov_b64 s[28:29], -1
	s_and_saveexec_b64 s[30:31], vcc
	s_cbranch_execz .LBB1239_387
; %bb.378:
	v_cmp_lt_u32_e64 s[28:29], v34, v15
	s_xor_b64 s[34:35], s[24:25], -1
	s_and_b64 s[36:37], s[28:29], s[34:35]
	s_and_saveexec_b64 s[34:35], s[36:37]
	s_cbranch_execz .LBB1239_386
; %bb.379:
	v_mul_lo_u32 v6, v8, s12
	v_mul_lo_u32 v7, v9, s13
	v_mad_u64_u32 v[2:3], s[36:37], v9, s12, 0
	v_add3_u32 v3, v3, v7, v6
	v_lshlrev_b64 v[2:3], 1, v[2:3]
	v_mov_b32_e32 v6, s15
	v_add_co_u32_e32 v2, vcc, s14, v2
	v_addc_co_u32_e32 v3, vcc, v6, v3, vcc
	v_mul_lo_u32 v17, v10, s12
	v_mul_lo_u32 v18, v11, s13
	v_mad_u64_u32 v[6:7], s[36:37], v11, s12, 0
	v_add3_u32 v7, v7, v18, v17
	v_lshlrev_b64 v[6:7], 1, v[6:7]
	v_mov_b32_e32 v17, s15
	v_add_co_u32_e32 v6, vcc, s14, v6
	v_addc_co_u32_e32 v7, vcc, v17, v7, vcc
	s_mov_b64 s[36:37], 0
	s_mov_b64 s[42:43], s[12:13]
                                        ; implicit-def: $sgpr38_sgpr39
                                        ; implicit-def: $sgpr40_sgpr41
                                        ; implicit-def: $sgpr44_sgpr45
	s_branch .LBB1239_381
.LBB1239_380:                           ;   in Loop: Header=BB1239_381 Depth=1
	s_or_b64 exec, exec, s[48:49]
	s_and_b64 s[46:47], exec, s[50:51]
	s_or_b64 s[36:37], s[46:47], s[36:37]
	s_andn2_b64 s[38:39], s[38:39], exec
	s_and_b64 s[46:47], s[40:41], exec
	s_or_b64 s[38:39], s[38:39], s[46:47]
	s_andn2_b64 exec, exec, s[36:37]
	s_cbranch_execz .LBB1239_385
.LBB1239_381:                           ; =>This Inner Loop Header: Depth=1
	global_load_ushort v17, v[2:3], off
	global_load_ushort v18, v[6:7], off
	s_mov_b64 s[52:53], 0
	s_mov_b64 s[46:47], -1
	s_waitcnt vmcnt(0)
	v_cmp_nlt_f16_e32 vcc, v17, v18
	s_and_saveexec_b64 s[48:49], vcc
; %bb.382:                              ;   in Loop: Header=BB1239_381 Depth=1
	v_cmp_ngt_f16_e32 vcc, v17, v18
	s_and_b64 s[44:45], vcc, s[44:45]
	s_orn2_b64 s[46:47], s[44:45], exec
	s_and_b64 s[52:53], vcc, exec
; %bb.383:                              ;   in Loop: Header=BB1239_381 Depth=1
	s_or_b64 exec, exec, s[48:49]
	s_andn2_b64 s[40:41], s[40:41], exec
	s_and_b64 s[44:45], s[46:47], exec
	s_mov_b64 s[50:51], -1
	s_or_b64 s[40:41], s[40:41], s[44:45]
                                        ; implicit-def: $sgpr44_sgpr45
	s_and_saveexec_b64 s[48:49], s[52:53]
	s_cbranch_execz .LBB1239_380
; %bb.384:                              ;   in Loop: Header=BB1239_381 Depth=1
	s_add_u32 s42, s42, -1
	v_add_co_u32_e32 v2, vcc, 2, v2
	s_addc_u32 s43, s43, -1
	v_addc_co_u32_e32 v3, vcc, 0, v3, vcc
	s_cmp_eq_u64 s[42:43], 0
	v_add_co_u32_e32 v6, vcc, 2, v6
	s_cselect_b64 s[50:51], -1, 0
	v_addc_co_u32_e32 v7, vcc, 0, v7, vcc
	s_and_b64 s[44:45], s[46:47], exec
	s_andn2_b64 s[40:41], s[40:41], exec
	s_orn2_b64 s[50:51], s[50:51], exec
	s_branch .LBB1239_380
.LBB1239_385:
	s_or_b64 exec, exec, s[36:37]
	s_xor_b64 s[36:37], s[38:39], -1
	s_andn2_b64 s[28:29], s[28:29], exec
	s_and_b64 s[36:37], s[36:37], exec
	s_or_b64 s[28:29], s[28:29], s[36:37]
.LBB1239_386:
	s_or_b64 exec, exec, s[34:35]
	s_orn2_b64 s[28:29], s[28:29], exec
.LBB1239_387:
	s_or_b64 exec, exec, s[30:31]
	v_cndmask_b32_e64 v2, v19, v34, s[28:29]
	v_cndmask_b32_e64 v3, v16, v15, s[28:29]
	v_add_u32_e32 v6, 1, v2
	v_add_u32_e32 v2, -1, v3
	v_min_u32_e32 v2, v6, v2
	v_lshlrev_b32_e32 v2, 3, v2
	ds_read_b64 v[2:3], v2
	v_cndmask_b32_e64 v20, v6, v19, s[28:29]
	v_cndmask_b32_e64 v19, v34, v6, s[28:29]
	v_cmp_lt_u32_e32 vcc, v20, v16
	s_waitcnt lgkmcnt(0)
	v_cndmask_b32_e64 v17, v3, v8, s[28:29]
	v_cndmask_b32_e64 v18, v2, v9, s[28:29]
	;; [unrolled: 1-line block ×4, first 2 shown]
	s_and_saveexec_b64 s[30:31], vcc
	s_cbranch_execz .LBB1239_397
; %bb.388:
	v_cmp_lt_u32_e64 s[4:5], v19, v15
	s_xor_b64 s[34:35], s[24:25], -1
	s_and_b64 s[36:37], s[4:5], s[34:35]
	s_and_saveexec_b64 s[34:35], s[36:37]
	s_cbranch_execz .LBB1239_396
; %bb.389:
	v_mul_lo_u32 v6, v17, s12
	v_mul_lo_u32 v7, v18, s13
	v_mad_u64_u32 v[2:3], s[36:37], v18, s12, 0
	v_add3_u32 v3, v3, v7, v6
	v_lshlrev_b64 v[2:3], 1, v[2:3]
	v_mov_b32_e32 v6, s15
	v_add_co_u32_e32 v2, vcc, s14, v2
	v_addc_co_u32_e32 v3, vcc, v6, v3, vcc
	v_mul_lo_u32 v34, v21, s12
	v_mul_lo_u32 v35, v33, s13
	v_mad_u64_u32 v[6:7], s[36:37], v33, s12, 0
	v_add3_u32 v7, v7, v35, v34
	v_lshlrev_b64 v[6:7], 1, v[6:7]
	v_mov_b32_e32 v34, s15
	v_add_co_u32_e32 v6, vcc, s14, v6
	v_addc_co_u32_e32 v7, vcc, v34, v7, vcc
	s_mov_b64 s[36:37], 0
	s_mov_b64 s[42:43], s[12:13]
                                        ; implicit-def: $sgpr38_sgpr39
                                        ; implicit-def: $sgpr40_sgpr41
                                        ; implicit-def: $sgpr44_sgpr45
	s_branch .LBB1239_391
.LBB1239_390:                           ;   in Loop: Header=BB1239_391 Depth=1
	s_or_b64 exec, exec, s[48:49]
	s_and_b64 s[46:47], exec, s[50:51]
	s_or_b64 s[36:37], s[46:47], s[36:37]
	s_andn2_b64 s[38:39], s[38:39], exec
	s_and_b64 s[46:47], s[40:41], exec
	s_or_b64 s[38:39], s[38:39], s[46:47]
	s_andn2_b64 exec, exec, s[36:37]
	s_cbranch_execz .LBB1239_395
.LBB1239_391:                           ; =>This Inner Loop Header: Depth=1
	global_load_ushort v34, v[2:3], off
	global_load_ushort v35, v[6:7], off
	s_mov_b64 s[52:53], 0
	s_mov_b64 s[46:47], -1
	s_waitcnt vmcnt(0)
	v_cmp_nlt_f16_e32 vcc, v34, v35
	s_and_saveexec_b64 s[48:49], vcc
; %bb.392:                              ;   in Loop: Header=BB1239_391 Depth=1
	v_cmp_ngt_f16_e32 vcc, v34, v35
	s_and_b64 s[44:45], vcc, s[44:45]
	s_orn2_b64 s[46:47], s[44:45], exec
	s_and_b64 s[52:53], vcc, exec
; %bb.393:                              ;   in Loop: Header=BB1239_391 Depth=1
	s_or_b64 exec, exec, s[48:49]
	s_andn2_b64 s[40:41], s[40:41], exec
	s_and_b64 s[44:45], s[46:47], exec
	s_mov_b64 s[50:51], -1
	s_or_b64 s[40:41], s[40:41], s[44:45]
                                        ; implicit-def: $sgpr44_sgpr45
	s_and_saveexec_b64 s[48:49], s[52:53]
	s_cbranch_execz .LBB1239_390
; %bb.394:                              ;   in Loop: Header=BB1239_391 Depth=1
	s_add_u32 s42, s42, -1
	v_add_co_u32_e32 v2, vcc, 2, v2
	s_addc_u32 s43, s43, -1
	v_addc_co_u32_e32 v3, vcc, 0, v3, vcc
	s_cmp_eq_u64 s[42:43], 0
	v_add_co_u32_e32 v6, vcc, 2, v6
	s_cselect_b64 s[50:51], -1, 0
	v_addc_co_u32_e32 v7, vcc, 0, v7, vcc
	s_and_b64 s[44:45], s[46:47], exec
	s_andn2_b64 s[40:41], s[40:41], exec
	s_orn2_b64 s[50:51], s[50:51], exec
	s_branch .LBB1239_390
.LBB1239_395:
	s_or_b64 exec, exec, s[36:37]
	s_xor_b64 s[36:37], s[38:39], -1
	s_andn2_b64 s[4:5], s[4:5], exec
	s_and_b64 s[36:37], s[36:37], exec
	s_or_b64 s[4:5], s[4:5], s[36:37]
.LBB1239_396:
	s_or_b64 exec, exec, s[34:35]
	s_orn2_b64 s[4:5], s[4:5], exec
.LBB1239_397:
	s_or_b64 exec, exec, s[30:31]
	v_cndmask_b32_e64 v6, v20, v19, s[4:5]
	v_cndmask_b32_e64 v7, v16, v15, s[4:5]
	;; [unrolled: 1-line block ×3, first 2 shown]
	v_add_u32_e32 v10, 1, v6
	v_add_u32_e32 v6, -1, v7
	v_min_u32_e32 v6, v10, v6
	v_lshlrev_b32_e32 v6, 3, v6
	v_cndmask_b32_e64 v2, v9, v11, s[28:29]
	ds_read_b64 v[8:9], v6
	v_cndmask_b32_e64 v11, v10, v20, s[4:5]
	v_cndmask_b32_e64 v1, v5, v1, s[2:3]
	v_cndmask_b32_e64 v0, v4, v0, s[2:3]
	v_cndmask_b32_e64 v5, v17, v21, s[4:5]
	v_cndmask_b32_e64 v4, v18, v33, s[4:5]
	s_waitcnt lgkmcnt(0)
	v_cndmask_b32_e64 v7, v21, v9, s[4:5]
	v_cndmask_b32_e64 v6, v33, v8, s[4:5]
	v_cmp_lt_u32_e32 vcc, v11, v16
	s_and_saveexec_b64 s[2:3], vcc
	s_cbranch_execz .LBB1239_407
; %bb.398:
	v_cndmask_b32_e64 v16, v9, v17, s[4:5]
	v_cndmask_b32_e64 v17, v8, v18, s[4:5]
	;; [unrolled: 1-line block ×3, first 2 shown]
	v_cmp_ge_u32_e32 vcc, v8, v15
	s_or_b64 s[4:5], vcc, s[24:25]
	v_cndmask_b32_e32 v9, v7, v16, vcc
	s_xor_b64 s[28:29], s[4:5], -1
	v_cndmask_b32_e32 v8, v6, v17, vcc
	s_and_saveexec_b64 s[4:5], s[28:29]
	s_cbranch_execz .LBB1239_406
; %bb.399:
	v_mul_lo_u32 v10, v16, s12
	v_mul_lo_u32 v11, v17, s13
	v_mad_u64_u32 v[8:9], s[28:29], v17, s12, 0
	v_add3_u32 v9, v9, v11, v10
	v_lshlrev_b64 v[8:9], 1, v[8:9]
	v_mov_b32_e32 v10, s15
	v_add_co_u32_e32 v8, vcc, s14, v8
	v_addc_co_u32_e32 v9, vcc, v10, v9, vcc
	v_mul_lo_u32 v15, v7, s12
	v_mul_lo_u32 v18, v6, s13
	v_mad_u64_u32 v[10:11], s[28:29], v6, s12, 0
	v_add3_u32 v11, v11, v18, v15
	v_lshlrev_b64 v[10:11], 1, v[10:11]
	v_mov_b32_e32 v15, s15
	v_add_co_u32_e32 v10, vcc, s14, v10
	v_addc_co_u32_e32 v11, vcc, v15, v11, vcc
	s_mov_b64 s[28:29], 0
	s_mov_b64 s[36:37], s[12:13]
                                        ; implicit-def: $sgpr30_sgpr31
                                        ; implicit-def: $sgpr34_sgpr35
                                        ; implicit-def: $sgpr38_sgpr39
	s_branch .LBB1239_401
.LBB1239_400:                           ;   in Loop: Header=BB1239_401 Depth=1
	s_or_b64 exec, exec, s[42:43]
	s_and_b64 s[40:41], exec, s[44:45]
	s_or_b64 s[28:29], s[40:41], s[28:29]
	s_andn2_b64 s[30:31], s[30:31], exec
	s_and_b64 s[40:41], s[34:35], exec
	s_or_b64 s[30:31], s[30:31], s[40:41]
	s_andn2_b64 exec, exec, s[28:29]
	s_cbranch_execz .LBB1239_405
.LBB1239_401:                           ; =>This Inner Loop Header: Depth=1
	global_load_ushort v15, v[8:9], off
	global_load_ushort v18, v[10:11], off
	s_mov_b64 s[46:47], 0
	s_mov_b64 s[40:41], -1
	s_waitcnt vmcnt(0)
	v_cmp_nlt_f16_e32 vcc, v15, v18
	s_and_saveexec_b64 s[42:43], vcc
; %bb.402:                              ;   in Loop: Header=BB1239_401 Depth=1
	v_cmp_ngt_f16_e32 vcc, v15, v18
	s_and_b64 s[38:39], vcc, s[38:39]
	s_orn2_b64 s[40:41], s[38:39], exec
	s_and_b64 s[46:47], vcc, exec
; %bb.403:                              ;   in Loop: Header=BB1239_401 Depth=1
	s_or_b64 exec, exec, s[42:43]
	s_andn2_b64 s[34:35], s[34:35], exec
	s_and_b64 s[38:39], s[40:41], exec
	s_mov_b64 s[44:45], -1
	s_or_b64 s[34:35], s[34:35], s[38:39]
                                        ; implicit-def: $sgpr38_sgpr39
	s_and_saveexec_b64 s[42:43], s[46:47]
	s_cbranch_execz .LBB1239_400
; %bb.404:                              ;   in Loop: Header=BB1239_401 Depth=1
	s_add_u32 s36, s36, -1
	v_add_co_u32_e32 v8, vcc, 2, v8
	s_addc_u32 s37, s37, -1
	v_addc_co_u32_e32 v9, vcc, 0, v9, vcc
	s_cmp_eq_u64 s[36:37], 0
	v_add_co_u32_e32 v10, vcc, 2, v10
	s_cselect_b64 s[44:45], -1, 0
	v_addc_co_u32_e32 v11, vcc, 0, v11, vcc
	s_and_b64 s[38:39], s[40:41], exec
	s_andn2_b64 s[34:35], s[34:35], exec
	s_orn2_b64 s[44:45], s[44:45], exec
	s_branch .LBB1239_400
.LBB1239_405:
	s_or_b64 exec, exec, s[28:29]
	v_cndmask_b32_e64 v9, v7, v16, s[30:31]
	v_cndmask_b32_e64 v8, v6, v17, s[30:31]
.LBB1239_406:
	s_or_b64 exec, exec, s[4:5]
	v_pk_mov_b32 v[6:7], v[8:9], v[8:9] op_sel:[0,1]
.LBB1239_407:
	s_or_b64 exec, exec, s[2:3]
.LBB1239_408:
	s_or_b64 exec, exec, s[26:27]
	v_and_b32_e32 v17, 0xe00, v23
	v_or_b32_e32 v8, 0x100, v17
	v_min_u32_e32 v15, 0x400, v8
	v_min_u32_e32 v8, 0x300, v8
	v_add_u32_e32 v16, 0x100, v8
	v_and_b32_e32 v18, 0x1fc, v23
	v_sub_u32_e32 v8, v15, v17
	v_sub_u32_e32 v9, v16, v15
	v_sub_u32_e64 v20, v18, v9 clamp
	v_min_u32_e32 v21, v18, v8
	v_lshlrev_b32_e32 v19, 3, v17
	v_cmp_lt_u32_e32 vcc, v20, v21
	s_barrier
	ds_write_b128 v14, v[0:3]
	ds_write_b128 v14, v[4:7] offset:16
	s_waitcnt lgkmcnt(0)
	s_barrier
	s_and_saveexec_b64 s[2:3], vcc
	s_cbranch_execz .LBB1239_420
; %bb.409:
	v_lshlrev_b32_e32 v8, 3, v18
	v_lshl_add_u32 v33, v15, 3, v8
	s_lshl_b64 s[26:27], s[12:13], 1
	s_mov_b64 s[4:5], 0
	s_branch .LBB1239_412
.LBB1239_410:                           ;   in Loop: Header=BB1239_412 Depth=1
	s_or_b64 exec, exec, s[30:31]
.LBB1239_411:                           ;   in Loop: Header=BB1239_412 Depth=1
	v_add_u32_e32 v8, 1, v34
	v_cndmask_b32_e64 v21, v21, v34, s[28:29]
	v_cndmask_b32_e64 v20, v8, v20, s[28:29]
	v_cmp_ge_u32_e32 vcc, v20, v21
	s_or_b64 s[4:5], vcc, s[4:5]
	s_andn2_b64 exec, exec, s[4:5]
	s_cbranch_execz .LBB1239_419
.LBB1239_412:                           ; =>This Loop Header: Depth=1
                                        ;     Child Loop BB1239_415 Depth 2
	v_add_u32_e32 v8, v21, v20
	v_lshrrev_b32_e32 v34, 1, v8
	s_and_b64 vcc, exec, s[0:1]
	s_mov_b64 s[28:29], 0
	s_cbranch_vccnz .LBB1239_411
; %bb.413:                              ;   in Loop: Header=BB1239_412 Depth=1
	v_not_b32_e32 v8, v34
	v_lshl_add_u32 v8, v8, 3, v33
	ds_read_b64 v[8:9], v8
	v_lshl_add_u32 v35, v34, 3, v19
	ds_read_b64 v[36:37], v35
	v_pk_mov_b32 v[10:11], s[14:15], s[14:15] op_sel:[0,1]
	s_mov_b64 s[30:31], 0
	s_waitcnt lgkmcnt(1)
	v_mul_lo_u32 v35, s26, v9
	v_mul_lo_u32 v38, s27, v8
	v_mad_u64_u32 v[8:9], s[28:29], s26, v8, v[10:11]
	v_add3_u32 v9, v38, v9, v35
	s_waitcnt lgkmcnt(0)
	v_mul_lo_u32 v35, s26, v37
	v_mul_lo_u32 v37, s27, v36
	v_mad_u64_u32 v[10:11], s[28:29], s26, v36, v[10:11]
	v_add3_u32 v11, v37, v11, v35
	s_mov_b64 s[36:37], s[12:13]
                                        ; implicit-def: $sgpr28_sgpr29
                                        ; implicit-def: $sgpr34_sgpr35
                                        ; implicit-def: $sgpr38_sgpr39
	s_branch .LBB1239_415
.LBB1239_414:                           ;   in Loop: Header=BB1239_415 Depth=2
	s_or_b64 exec, exec, s[44:45]
	s_and_b64 s[40:41], exec, s[40:41]
	s_or_b64 s[30:31], s[40:41], s[30:31]
	s_andn2_b64 s[28:29], s[28:29], exec
	s_and_b64 s[40:41], s[34:35], exec
	s_or_b64 s[28:29], s[28:29], s[40:41]
	s_andn2_b64 exec, exec, s[30:31]
	s_cbranch_execz .LBB1239_410
.LBB1239_415:                           ;   Parent Loop BB1239_412 Depth=1
                                        ; =>  This Inner Loop Header: Depth=2
	global_load_ushort v35, v[8:9], off
	global_load_ushort v36, v[10:11], off
	s_mov_b64 s[40:41], -1
	s_mov_b64 s[46:47], 0
	s_mov_b64 s[42:43], -1
	s_waitcnt vmcnt(0)
	v_cmp_nlt_f16_e32 vcc, v35, v36
	s_and_saveexec_b64 s[44:45], vcc
; %bb.416:                              ;   in Loop: Header=BB1239_415 Depth=2
	v_cmp_ngt_f16_e32 vcc, v35, v36
	s_and_b64 s[38:39], vcc, s[38:39]
	s_orn2_b64 s[42:43], s[38:39], exec
	s_and_b64 s[46:47], vcc, exec
; %bb.417:                              ;   in Loop: Header=BB1239_415 Depth=2
	s_or_b64 exec, exec, s[44:45]
	s_andn2_b64 s[34:35], s[34:35], exec
	s_and_b64 s[38:39], s[42:43], exec
	s_or_b64 s[34:35], s[34:35], s[38:39]
                                        ; implicit-def: $sgpr38_sgpr39
	s_and_saveexec_b64 s[44:45], s[46:47]
	s_cbranch_execz .LBB1239_414
; %bb.418:                              ;   in Loop: Header=BB1239_415 Depth=2
	s_add_u32 s36, s36, -1
	v_add_co_u32_e32 v8, vcc, 2, v8
	s_addc_u32 s37, s37, -1
	v_addc_co_u32_e32 v9, vcc, 0, v9, vcc
	s_cmp_eq_u64 s[36:37], 0
	v_add_co_u32_e32 v10, vcc, 2, v10
	s_cselect_b64 s[40:41], -1, 0
	v_addc_co_u32_e32 v11, vcc, 0, v11, vcc
	s_andn2_b64 s[34:35], s[34:35], exec
	s_and_b64 s[38:39], s[42:43], exec
	s_orn2_b64 s[40:41], s[40:41], exec
	s_branch .LBB1239_414
.LBB1239_419:
	s_or_b64 exec, exec, s[4:5]
.LBB1239_420:
	s_or_b64 exec, exec, s[2:3]
	v_sub_u32_e32 v8, v18, v20
	v_add_u32_e32 v17, v20, v17
	v_add_u32_e32 v18, v8, v15
	v_cmp_le_u32_e32 vcc, v17, v15
	v_cmp_le_u32_e64 s[2:3], v18, v16
	s_or_b64 s[2:3], vcc, s[2:3]
	s_and_saveexec_b64 s[26:27], s[2:3]
	s_cbranch_execz .LBB1239_464
; %bb.421:
	v_cmp_ge_u32_e32 vcc, v17, v15
	v_cmp_lt_u32_e64 s[2:3], v17, v15
                                        ; implicit-def: $vgpr0_vgpr1
	s_and_saveexec_b64 s[4:5], s[2:3]
	s_cbranch_execz .LBB1239_423
; %bb.422:
	v_lshl_add_u32 v0, v20, 3, v19
	ds_read_b64 v[0:1], v0
.LBB1239_423:
	s_or_b64 exec, exec, s[4:5]
	v_cmp_ge_u32_e64 s[2:3], v18, v16
	v_cmp_lt_u32_e64 s[4:5], v18, v16
                                        ; implicit-def: $vgpr4_vgpr5
	s_and_saveexec_b64 s[28:29], s[4:5]
	s_cbranch_execz .LBB1239_425
; %bb.424:
	v_lshlrev_b32_e32 v2, 3, v18
	ds_read_b64 v[4:5], v2
.LBB1239_425:
	s_or_b64 exec, exec, s[28:29]
	s_or_b64 s[4:5], vcc, s[2:3]
	s_or_b64 s[4:5], s[4:5], s[24:25]
	s_xor_b64 s[28:29], s[4:5], -1
	s_xor_b64 s[4:5], vcc, -1
	s_or_b64 s[2:3], s[2:3], s[4:5]
	s_and_saveexec_b64 s[4:5], s[28:29]
	s_cbranch_execz .LBB1239_433
; %bb.426:
	s_waitcnt lgkmcnt(0)
	v_mul_lo_u32 v6, v5, s12
	v_mul_lo_u32 v7, v4, s13
	v_mad_u64_u32 v[2:3], s[28:29], v4, s12, 0
	v_add3_u32 v3, v3, v7, v6
	v_lshlrev_b64 v[2:3], 1, v[2:3]
	v_mov_b32_e32 v6, s15
	v_add_co_u32_e32 v2, vcc, s14, v2
	v_addc_co_u32_e32 v3, vcc, v6, v3, vcc
	v_mul_lo_u32 v8, v1, s12
	v_mul_lo_u32 v9, v0, s13
	v_mad_u64_u32 v[6:7], s[28:29], v0, s12, 0
	v_add3_u32 v7, v7, v9, v8
	v_lshlrev_b64 v[6:7], 1, v[6:7]
	v_mov_b32_e32 v8, s15
	v_add_co_u32_e32 v6, vcc, s14, v6
	v_addc_co_u32_e32 v7, vcc, v8, v7, vcc
	s_mov_b64 s[28:29], 0
	s_mov_b64 s[36:37], s[12:13]
                                        ; implicit-def: $sgpr30_sgpr31
                                        ; implicit-def: $sgpr34_sgpr35
                                        ; implicit-def: $sgpr38_sgpr39
	s_branch .LBB1239_428
.LBB1239_427:                           ;   in Loop: Header=BB1239_428 Depth=1
	s_or_b64 exec, exec, s[42:43]
	s_and_b64 s[40:41], exec, s[44:45]
	s_or_b64 s[28:29], s[40:41], s[28:29]
	s_andn2_b64 s[30:31], s[30:31], exec
	s_and_b64 s[40:41], s[34:35], exec
	s_or_b64 s[30:31], s[30:31], s[40:41]
	s_andn2_b64 exec, exec, s[28:29]
	s_cbranch_execz .LBB1239_432
.LBB1239_428:                           ; =>This Inner Loop Header: Depth=1
	global_load_ushort v8, v[2:3], off
	global_load_ushort v9, v[6:7], off
	s_mov_b64 s[46:47], 0
	s_mov_b64 s[40:41], -1
	s_waitcnt vmcnt(0)
	v_cmp_nlt_f16_e32 vcc, v8, v9
	s_and_saveexec_b64 s[42:43], vcc
; %bb.429:                              ;   in Loop: Header=BB1239_428 Depth=1
	v_cmp_ngt_f16_e32 vcc, v8, v9
	s_and_b64 s[38:39], vcc, s[38:39]
	s_orn2_b64 s[40:41], s[38:39], exec
	s_and_b64 s[46:47], vcc, exec
; %bb.430:                              ;   in Loop: Header=BB1239_428 Depth=1
	s_or_b64 exec, exec, s[42:43]
	s_andn2_b64 s[34:35], s[34:35], exec
	s_and_b64 s[38:39], s[40:41], exec
	s_mov_b64 s[44:45], -1
	s_or_b64 s[34:35], s[34:35], s[38:39]
                                        ; implicit-def: $sgpr38_sgpr39
	s_and_saveexec_b64 s[42:43], s[46:47]
	s_cbranch_execz .LBB1239_427
; %bb.431:                              ;   in Loop: Header=BB1239_428 Depth=1
	s_add_u32 s36, s36, -1
	v_add_co_u32_e32 v2, vcc, 2, v2
	s_addc_u32 s37, s37, -1
	v_addc_co_u32_e32 v3, vcc, 0, v3, vcc
	s_cmp_eq_u64 s[36:37], 0
	v_add_co_u32_e32 v6, vcc, 2, v6
	s_cselect_b64 s[44:45], -1, 0
	v_addc_co_u32_e32 v7, vcc, 0, v7, vcc
	s_and_b64 s[38:39], s[40:41], exec
	s_andn2_b64 s[34:35], s[34:35], exec
	s_orn2_b64 s[44:45], s[44:45], exec
	s_branch .LBB1239_427
.LBB1239_432:
	s_or_b64 exec, exec, s[28:29]
	s_xor_b64 s[28:29], s[30:31], -1
	s_andn2_b64 s[2:3], s[2:3], exec
	s_and_b64 s[28:29], s[28:29], exec
	s_or_b64 s[2:3], s[2:3], s[28:29]
.LBB1239_433:
	s_or_b64 exec, exec, s[4:5]
	v_cndmask_b32_e64 v2, v18, v17, s[2:3]
	v_cndmask_b32_e64 v3, v16, v15, s[2:3]
	v_add_u32_e32 v6, 1, v2
	v_add_u32_e32 v2, -1, v3
	v_min_u32_e32 v2, v6, v2
	v_lshlrev_b32_e32 v2, 3, v2
	ds_read_b64 v[2:3], v2
	v_cndmask_b32_e64 v19, v6, v18, s[2:3]
	v_cndmask_b32_e64 v34, v17, v6, s[2:3]
	v_cmp_lt_u32_e32 vcc, v19, v16
	s_mov_b64 s[4:5], -1
	s_waitcnt lgkmcnt(0)
	v_cndmask_b32_e64 v8, v3, v5, s[2:3]
	v_cndmask_b32_e64 v9, v2, v4, s[2:3]
	;; [unrolled: 1-line block ×4, first 2 shown]
	s_mov_b64 s[28:29], -1
	s_and_saveexec_b64 s[30:31], vcc
	s_cbranch_execz .LBB1239_443
; %bb.434:
	v_cmp_lt_u32_e64 s[28:29], v34, v15
	s_xor_b64 s[34:35], s[24:25], -1
	s_and_b64 s[36:37], s[28:29], s[34:35]
	s_and_saveexec_b64 s[34:35], s[36:37]
	s_cbranch_execz .LBB1239_442
; %bb.435:
	v_mul_lo_u32 v6, v8, s12
	v_mul_lo_u32 v7, v9, s13
	v_mad_u64_u32 v[2:3], s[36:37], v9, s12, 0
	v_add3_u32 v3, v3, v7, v6
	v_lshlrev_b64 v[2:3], 1, v[2:3]
	v_mov_b32_e32 v6, s15
	v_add_co_u32_e32 v2, vcc, s14, v2
	v_addc_co_u32_e32 v3, vcc, v6, v3, vcc
	v_mul_lo_u32 v17, v10, s12
	v_mul_lo_u32 v18, v11, s13
	v_mad_u64_u32 v[6:7], s[36:37], v11, s12, 0
	v_add3_u32 v7, v7, v18, v17
	v_lshlrev_b64 v[6:7], 1, v[6:7]
	v_mov_b32_e32 v17, s15
	v_add_co_u32_e32 v6, vcc, s14, v6
	v_addc_co_u32_e32 v7, vcc, v17, v7, vcc
	s_mov_b64 s[36:37], 0
	s_mov_b64 s[42:43], s[12:13]
                                        ; implicit-def: $sgpr38_sgpr39
                                        ; implicit-def: $sgpr40_sgpr41
                                        ; implicit-def: $sgpr44_sgpr45
	s_branch .LBB1239_437
.LBB1239_436:                           ;   in Loop: Header=BB1239_437 Depth=1
	s_or_b64 exec, exec, s[48:49]
	s_and_b64 s[46:47], exec, s[50:51]
	s_or_b64 s[36:37], s[46:47], s[36:37]
	s_andn2_b64 s[38:39], s[38:39], exec
	s_and_b64 s[46:47], s[40:41], exec
	s_or_b64 s[38:39], s[38:39], s[46:47]
	s_andn2_b64 exec, exec, s[36:37]
	s_cbranch_execz .LBB1239_441
.LBB1239_437:                           ; =>This Inner Loop Header: Depth=1
	global_load_ushort v17, v[2:3], off
	global_load_ushort v18, v[6:7], off
	s_mov_b64 s[52:53], 0
	s_mov_b64 s[46:47], -1
	s_waitcnt vmcnt(0)
	v_cmp_nlt_f16_e32 vcc, v17, v18
	s_and_saveexec_b64 s[48:49], vcc
; %bb.438:                              ;   in Loop: Header=BB1239_437 Depth=1
	v_cmp_ngt_f16_e32 vcc, v17, v18
	s_and_b64 s[44:45], vcc, s[44:45]
	s_orn2_b64 s[46:47], s[44:45], exec
	s_and_b64 s[52:53], vcc, exec
; %bb.439:                              ;   in Loop: Header=BB1239_437 Depth=1
	s_or_b64 exec, exec, s[48:49]
	s_andn2_b64 s[40:41], s[40:41], exec
	s_and_b64 s[44:45], s[46:47], exec
	s_mov_b64 s[50:51], -1
	s_or_b64 s[40:41], s[40:41], s[44:45]
                                        ; implicit-def: $sgpr44_sgpr45
	s_and_saveexec_b64 s[48:49], s[52:53]
	s_cbranch_execz .LBB1239_436
; %bb.440:                              ;   in Loop: Header=BB1239_437 Depth=1
	s_add_u32 s42, s42, -1
	v_add_co_u32_e32 v2, vcc, 2, v2
	s_addc_u32 s43, s43, -1
	v_addc_co_u32_e32 v3, vcc, 0, v3, vcc
	s_cmp_eq_u64 s[42:43], 0
	v_add_co_u32_e32 v6, vcc, 2, v6
	s_cselect_b64 s[50:51], -1, 0
	v_addc_co_u32_e32 v7, vcc, 0, v7, vcc
	s_and_b64 s[44:45], s[46:47], exec
	s_andn2_b64 s[40:41], s[40:41], exec
	s_orn2_b64 s[50:51], s[50:51], exec
	s_branch .LBB1239_436
.LBB1239_441:
	s_or_b64 exec, exec, s[36:37]
	s_xor_b64 s[36:37], s[38:39], -1
	s_andn2_b64 s[28:29], s[28:29], exec
	s_and_b64 s[36:37], s[36:37], exec
	s_or_b64 s[28:29], s[28:29], s[36:37]
.LBB1239_442:
	s_or_b64 exec, exec, s[34:35]
	s_orn2_b64 s[28:29], s[28:29], exec
.LBB1239_443:
	s_or_b64 exec, exec, s[30:31]
	v_cndmask_b32_e64 v2, v19, v34, s[28:29]
	v_cndmask_b32_e64 v3, v16, v15, s[28:29]
	v_add_u32_e32 v6, 1, v2
	v_add_u32_e32 v2, -1, v3
	v_min_u32_e32 v2, v6, v2
	v_lshlrev_b32_e32 v2, 3, v2
	ds_read_b64 v[2:3], v2
	v_cndmask_b32_e64 v20, v6, v19, s[28:29]
	v_cndmask_b32_e64 v19, v34, v6, s[28:29]
	v_cmp_lt_u32_e32 vcc, v20, v16
	s_waitcnt lgkmcnt(0)
	v_cndmask_b32_e64 v17, v3, v8, s[28:29]
	v_cndmask_b32_e64 v18, v2, v9, s[28:29]
	;; [unrolled: 1-line block ×4, first 2 shown]
	s_and_saveexec_b64 s[30:31], vcc
	s_cbranch_execz .LBB1239_453
; %bb.444:
	v_cmp_lt_u32_e64 s[4:5], v19, v15
	s_xor_b64 s[34:35], s[24:25], -1
	s_and_b64 s[36:37], s[4:5], s[34:35]
	s_and_saveexec_b64 s[34:35], s[36:37]
	s_cbranch_execz .LBB1239_452
; %bb.445:
	v_mul_lo_u32 v6, v17, s12
	v_mul_lo_u32 v7, v18, s13
	v_mad_u64_u32 v[2:3], s[36:37], v18, s12, 0
	v_add3_u32 v3, v3, v7, v6
	v_lshlrev_b64 v[2:3], 1, v[2:3]
	v_mov_b32_e32 v6, s15
	v_add_co_u32_e32 v2, vcc, s14, v2
	v_addc_co_u32_e32 v3, vcc, v6, v3, vcc
	v_mul_lo_u32 v34, v21, s12
	v_mul_lo_u32 v35, v33, s13
	v_mad_u64_u32 v[6:7], s[36:37], v33, s12, 0
	v_add3_u32 v7, v7, v35, v34
	v_lshlrev_b64 v[6:7], 1, v[6:7]
	v_mov_b32_e32 v34, s15
	v_add_co_u32_e32 v6, vcc, s14, v6
	v_addc_co_u32_e32 v7, vcc, v34, v7, vcc
	s_mov_b64 s[36:37], 0
	s_mov_b64 s[42:43], s[12:13]
                                        ; implicit-def: $sgpr38_sgpr39
                                        ; implicit-def: $sgpr40_sgpr41
                                        ; implicit-def: $sgpr44_sgpr45
	s_branch .LBB1239_447
.LBB1239_446:                           ;   in Loop: Header=BB1239_447 Depth=1
	s_or_b64 exec, exec, s[48:49]
	s_and_b64 s[46:47], exec, s[50:51]
	s_or_b64 s[36:37], s[46:47], s[36:37]
	s_andn2_b64 s[38:39], s[38:39], exec
	s_and_b64 s[46:47], s[40:41], exec
	s_or_b64 s[38:39], s[38:39], s[46:47]
	s_andn2_b64 exec, exec, s[36:37]
	s_cbranch_execz .LBB1239_451
.LBB1239_447:                           ; =>This Inner Loop Header: Depth=1
	global_load_ushort v34, v[2:3], off
	global_load_ushort v35, v[6:7], off
	s_mov_b64 s[52:53], 0
	s_mov_b64 s[46:47], -1
	s_waitcnt vmcnt(0)
	v_cmp_nlt_f16_e32 vcc, v34, v35
	s_and_saveexec_b64 s[48:49], vcc
; %bb.448:                              ;   in Loop: Header=BB1239_447 Depth=1
	v_cmp_ngt_f16_e32 vcc, v34, v35
	s_and_b64 s[44:45], vcc, s[44:45]
	s_orn2_b64 s[46:47], s[44:45], exec
	s_and_b64 s[52:53], vcc, exec
; %bb.449:                              ;   in Loop: Header=BB1239_447 Depth=1
	s_or_b64 exec, exec, s[48:49]
	s_andn2_b64 s[40:41], s[40:41], exec
	s_and_b64 s[44:45], s[46:47], exec
	s_mov_b64 s[50:51], -1
	s_or_b64 s[40:41], s[40:41], s[44:45]
                                        ; implicit-def: $sgpr44_sgpr45
	s_and_saveexec_b64 s[48:49], s[52:53]
	s_cbranch_execz .LBB1239_446
; %bb.450:                              ;   in Loop: Header=BB1239_447 Depth=1
	s_add_u32 s42, s42, -1
	v_add_co_u32_e32 v2, vcc, 2, v2
	s_addc_u32 s43, s43, -1
	v_addc_co_u32_e32 v3, vcc, 0, v3, vcc
	s_cmp_eq_u64 s[42:43], 0
	v_add_co_u32_e32 v6, vcc, 2, v6
	s_cselect_b64 s[50:51], -1, 0
	v_addc_co_u32_e32 v7, vcc, 0, v7, vcc
	s_and_b64 s[44:45], s[46:47], exec
	s_andn2_b64 s[40:41], s[40:41], exec
	s_orn2_b64 s[50:51], s[50:51], exec
	s_branch .LBB1239_446
.LBB1239_451:
	s_or_b64 exec, exec, s[36:37]
	s_xor_b64 s[36:37], s[38:39], -1
	s_andn2_b64 s[4:5], s[4:5], exec
	s_and_b64 s[36:37], s[36:37], exec
	s_or_b64 s[4:5], s[4:5], s[36:37]
.LBB1239_452:
	s_or_b64 exec, exec, s[34:35]
	s_orn2_b64 s[4:5], s[4:5], exec
.LBB1239_453:
	s_or_b64 exec, exec, s[30:31]
	v_cndmask_b32_e64 v6, v20, v19, s[4:5]
	v_cndmask_b32_e64 v7, v16, v15, s[4:5]
	v_cndmask_b32_e64 v3, v8, v10, s[28:29]
	v_add_u32_e32 v10, 1, v6
	v_add_u32_e32 v6, -1, v7
	v_min_u32_e32 v6, v10, v6
	v_lshlrev_b32_e32 v6, 3, v6
	v_cndmask_b32_e64 v2, v9, v11, s[28:29]
	ds_read_b64 v[8:9], v6
	v_cndmask_b32_e64 v11, v10, v20, s[4:5]
	v_cndmask_b32_e64 v1, v5, v1, s[2:3]
	;; [unrolled: 1-line block ×5, first 2 shown]
	s_waitcnt lgkmcnt(0)
	v_cndmask_b32_e64 v7, v21, v9, s[4:5]
	v_cndmask_b32_e64 v6, v33, v8, s[4:5]
	v_cmp_lt_u32_e32 vcc, v11, v16
	s_and_saveexec_b64 s[2:3], vcc
	s_cbranch_execz .LBB1239_463
; %bb.454:
	v_cndmask_b32_e64 v16, v9, v17, s[4:5]
	v_cndmask_b32_e64 v17, v8, v18, s[4:5]
	;; [unrolled: 1-line block ×3, first 2 shown]
	v_cmp_ge_u32_e32 vcc, v8, v15
	s_or_b64 s[4:5], vcc, s[24:25]
	v_cndmask_b32_e32 v9, v7, v16, vcc
	s_xor_b64 s[28:29], s[4:5], -1
	v_cndmask_b32_e32 v8, v6, v17, vcc
	s_and_saveexec_b64 s[4:5], s[28:29]
	s_cbranch_execz .LBB1239_462
; %bb.455:
	v_mul_lo_u32 v10, v16, s12
	v_mul_lo_u32 v11, v17, s13
	v_mad_u64_u32 v[8:9], s[28:29], v17, s12, 0
	v_add3_u32 v9, v9, v11, v10
	v_lshlrev_b64 v[8:9], 1, v[8:9]
	v_mov_b32_e32 v10, s15
	v_add_co_u32_e32 v8, vcc, s14, v8
	v_addc_co_u32_e32 v9, vcc, v10, v9, vcc
	v_mul_lo_u32 v15, v7, s12
	v_mul_lo_u32 v18, v6, s13
	v_mad_u64_u32 v[10:11], s[28:29], v6, s12, 0
	v_add3_u32 v11, v11, v18, v15
	v_lshlrev_b64 v[10:11], 1, v[10:11]
	v_mov_b32_e32 v15, s15
	v_add_co_u32_e32 v10, vcc, s14, v10
	v_addc_co_u32_e32 v11, vcc, v15, v11, vcc
	s_mov_b64 s[28:29], 0
	s_mov_b64 s[36:37], s[12:13]
                                        ; implicit-def: $sgpr30_sgpr31
                                        ; implicit-def: $sgpr34_sgpr35
                                        ; implicit-def: $sgpr38_sgpr39
	s_branch .LBB1239_457
.LBB1239_456:                           ;   in Loop: Header=BB1239_457 Depth=1
	s_or_b64 exec, exec, s[42:43]
	s_and_b64 s[40:41], exec, s[44:45]
	s_or_b64 s[28:29], s[40:41], s[28:29]
	s_andn2_b64 s[30:31], s[30:31], exec
	s_and_b64 s[40:41], s[34:35], exec
	s_or_b64 s[30:31], s[30:31], s[40:41]
	s_andn2_b64 exec, exec, s[28:29]
	s_cbranch_execz .LBB1239_461
.LBB1239_457:                           ; =>This Inner Loop Header: Depth=1
	global_load_ushort v15, v[8:9], off
	global_load_ushort v18, v[10:11], off
	s_mov_b64 s[46:47], 0
	s_mov_b64 s[40:41], -1
	s_waitcnt vmcnt(0)
	v_cmp_nlt_f16_e32 vcc, v15, v18
	s_and_saveexec_b64 s[42:43], vcc
; %bb.458:                              ;   in Loop: Header=BB1239_457 Depth=1
	v_cmp_ngt_f16_e32 vcc, v15, v18
	s_and_b64 s[38:39], vcc, s[38:39]
	s_orn2_b64 s[40:41], s[38:39], exec
	s_and_b64 s[46:47], vcc, exec
; %bb.459:                              ;   in Loop: Header=BB1239_457 Depth=1
	s_or_b64 exec, exec, s[42:43]
	s_andn2_b64 s[34:35], s[34:35], exec
	s_and_b64 s[38:39], s[40:41], exec
	s_mov_b64 s[44:45], -1
	s_or_b64 s[34:35], s[34:35], s[38:39]
                                        ; implicit-def: $sgpr38_sgpr39
	s_and_saveexec_b64 s[42:43], s[46:47]
	s_cbranch_execz .LBB1239_456
; %bb.460:                              ;   in Loop: Header=BB1239_457 Depth=1
	s_add_u32 s36, s36, -1
	v_add_co_u32_e32 v8, vcc, 2, v8
	s_addc_u32 s37, s37, -1
	v_addc_co_u32_e32 v9, vcc, 0, v9, vcc
	s_cmp_eq_u64 s[36:37], 0
	v_add_co_u32_e32 v10, vcc, 2, v10
	s_cselect_b64 s[44:45], -1, 0
	v_addc_co_u32_e32 v11, vcc, 0, v11, vcc
	s_and_b64 s[38:39], s[40:41], exec
	s_andn2_b64 s[34:35], s[34:35], exec
	s_orn2_b64 s[44:45], s[44:45], exec
	s_branch .LBB1239_456
.LBB1239_461:
	s_or_b64 exec, exec, s[28:29]
	v_cndmask_b32_e64 v9, v7, v16, s[30:31]
	v_cndmask_b32_e64 v8, v6, v17, s[30:31]
.LBB1239_462:
	s_or_b64 exec, exec, s[4:5]
	v_pk_mov_b32 v[6:7], v[8:9], v[8:9] op_sel:[0,1]
.LBB1239_463:
	s_or_b64 exec, exec, s[2:3]
.LBB1239_464:
	s_or_b64 exec, exec, s[26:27]
	v_and_b32_e32 v16, 0xc00, v23
	v_or_b32_e32 v8, 0x200, v16
	s_barrier
	ds_write_b128 v14, v[0:3]
	ds_write_b128 v14, v[4:7] offset:16
	v_min_u32_e32 v14, 0x400, v8
	v_and_b32_e32 v17, 0x3fc, v23
	v_sub_u32_e32 v8, v14, v16
	v_sub_u32_e32 v9, 0x400, v14
	v_sub_u32_e64 v18, v17, v9 clamp
	v_min_u32_e32 v19, v17, v8
	v_lshlrev_b32_e32 v15, 3, v16
	v_cmp_lt_u32_e32 vcc, v18, v19
	s_waitcnt lgkmcnt(0)
	s_barrier
	s_and_saveexec_b64 s[2:3], vcc
	s_cbranch_execz .LBB1239_476
; %bb.465:
	v_lshlrev_b32_e32 v8, 3, v17
	v_lshl_add_u32 v20, v14, 3, v8
	s_lshl_b64 s[26:27], s[12:13], 1
	s_mov_b64 s[4:5], 0
	s_branch .LBB1239_468
.LBB1239_466:                           ;   in Loop: Header=BB1239_468 Depth=1
	s_or_b64 exec, exec, s[30:31]
.LBB1239_467:                           ;   in Loop: Header=BB1239_468 Depth=1
	v_add_u32_e32 v8, 1, v21
	v_cndmask_b32_e64 v19, v19, v21, s[28:29]
	v_cndmask_b32_e64 v18, v8, v18, s[28:29]
	v_cmp_ge_u32_e32 vcc, v18, v19
	s_or_b64 s[4:5], vcc, s[4:5]
	s_andn2_b64 exec, exec, s[4:5]
	s_cbranch_execz .LBB1239_475
.LBB1239_468:                           ; =>This Loop Header: Depth=1
                                        ;     Child Loop BB1239_471 Depth 2
	v_add_u32_e32 v8, v19, v18
	v_lshrrev_b32_e32 v21, 1, v8
	s_and_b64 vcc, exec, s[0:1]
	s_mov_b64 s[28:29], 0
	s_cbranch_vccnz .LBB1239_467
; %bb.469:                              ;   in Loop: Header=BB1239_468 Depth=1
	v_not_b32_e32 v8, v21
	v_lshl_add_u32 v8, v8, 3, v20
	ds_read_b64 v[8:9], v8
	v_lshl_add_u32 v33, v21, 3, v15
	ds_read_b64 v[34:35], v33
	v_pk_mov_b32 v[10:11], s[14:15], s[14:15] op_sel:[0,1]
	s_mov_b64 s[30:31], 0
	s_waitcnt lgkmcnt(1)
	v_mul_lo_u32 v33, s26, v9
	v_mul_lo_u32 v36, s27, v8
	v_mad_u64_u32 v[8:9], s[28:29], s26, v8, v[10:11]
	v_add3_u32 v9, v36, v9, v33
	s_waitcnt lgkmcnt(0)
	v_mul_lo_u32 v33, s26, v35
	v_mul_lo_u32 v35, s27, v34
	v_mad_u64_u32 v[10:11], s[28:29], s26, v34, v[10:11]
	v_add3_u32 v11, v35, v11, v33
	s_mov_b64 s[36:37], s[12:13]
                                        ; implicit-def: $sgpr28_sgpr29
                                        ; implicit-def: $sgpr34_sgpr35
                                        ; implicit-def: $sgpr38_sgpr39
	s_branch .LBB1239_471
.LBB1239_470:                           ;   in Loop: Header=BB1239_471 Depth=2
	s_or_b64 exec, exec, s[44:45]
	s_and_b64 s[40:41], exec, s[40:41]
	s_or_b64 s[30:31], s[40:41], s[30:31]
	s_andn2_b64 s[28:29], s[28:29], exec
	s_and_b64 s[40:41], s[34:35], exec
	s_or_b64 s[28:29], s[28:29], s[40:41]
	s_andn2_b64 exec, exec, s[30:31]
	s_cbranch_execz .LBB1239_466
.LBB1239_471:                           ;   Parent Loop BB1239_468 Depth=1
                                        ; =>  This Inner Loop Header: Depth=2
	global_load_ushort v33, v[8:9], off
	global_load_ushort v34, v[10:11], off
	s_mov_b64 s[40:41], -1
	s_mov_b64 s[46:47], 0
	s_mov_b64 s[42:43], -1
	s_waitcnt vmcnt(0)
	v_cmp_nlt_f16_e32 vcc, v33, v34
	s_and_saveexec_b64 s[44:45], vcc
; %bb.472:                              ;   in Loop: Header=BB1239_471 Depth=2
	v_cmp_ngt_f16_e32 vcc, v33, v34
	s_and_b64 s[38:39], vcc, s[38:39]
	s_orn2_b64 s[42:43], s[38:39], exec
	s_and_b64 s[46:47], vcc, exec
; %bb.473:                              ;   in Loop: Header=BB1239_471 Depth=2
	s_or_b64 exec, exec, s[44:45]
	s_andn2_b64 s[34:35], s[34:35], exec
	s_and_b64 s[38:39], s[42:43], exec
	s_or_b64 s[34:35], s[34:35], s[38:39]
                                        ; implicit-def: $sgpr38_sgpr39
	s_and_saveexec_b64 s[44:45], s[46:47]
	s_cbranch_execz .LBB1239_470
; %bb.474:                              ;   in Loop: Header=BB1239_471 Depth=2
	s_add_u32 s36, s36, -1
	v_add_co_u32_e32 v8, vcc, 2, v8
	s_addc_u32 s37, s37, -1
	v_addc_co_u32_e32 v9, vcc, 0, v9, vcc
	s_cmp_eq_u64 s[36:37], 0
	v_add_co_u32_e32 v10, vcc, 2, v10
	s_cselect_b64 s[40:41], -1, 0
	v_addc_co_u32_e32 v11, vcc, 0, v11, vcc
	s_andn2_b64 s[34:35], s[34:35], exec
	s_and_b64 s[38:39], s[42:43], exec
	s_orn2_b64 s[40:41], s[40:41], exec
	s_branch .LBB1239_470
.LBB1239_475:
	s_or_b64 exec, exec, s[4:5]
.LBB1239_476:
	s_or_b64 exec, exec, s[2:3]
	v_sub_u32_e32 v8, v17, v18
	v_add_u32_e32 v16, v18, v16
	v_add_u32_e32 v17, v8, v14
	s_movk_i32 s0, 0x401
	v_cmp_le_u32_e32 vcc, v16, v14
	v_cmp_gt_u32_e64 s[0:1], s0, v17
	s_or_b64 s[0:1], vcc, s[0:1]
	s_and_saveexec_b64 s[4:5], s[0:1]
	s_cbranch_execz .LBB1239_520
; %bb.477:
	v_cmp_ge_u32_e32 vcc, v16, v14
	v_cmp_lt_u32_e64 s[0:1], v16, v14
                                        ; implicit-def: $vgpr0_vgpr1
	s_and_saveexec_b64 s[2:3], s[0:1]
	s_cbranch_execz .LBB1239_479
; %bb.478:
	v_lshl_add_u32 v0, v18, 3, v15
	ds_read_b64 v[0:1], v0
.LBB1239_479:
	s_or_b64 exec, exec, s[2:3]
	s_movk_i32 s0, 0x3ff
	s_movk_i32 s2, 0x400
	v_cmp_lt_u32_e64 s[0:1], s0, v17
	v_cmp_gt_u32_e64 s[2:3], s2, v17
                                        ; implicit-def: $vgpr4_vgpr5
	s_and_saveexec_b64 s[26:27], s[2:3]
	s_cbranch_execz .LBB1239_481
; %bb.480:
	v_lshlrev_b32_e32 v2, 3, v17
	ds_read_b64 v[4:5], v2
.LBB1239_481:
	s_or_b64 exec, exec, s[26:27]
	s_or_b64 s[2:3], vcc, s[0:1]
	s_or_b64 s[2:3], s[2:3], s[24:25]
	s_xor_b64 s[26:27], s[2:3], -1
	s_xor_b64 s[2:3], vcc, -1
	s_or_b64 s[0:1], s[0:1], s[2:3]
	s_and_saveexec_b64 s[2:3], s[26:27]
	s_cbranch_execz .LBB1239_489
; %bb.482:
	s_waitcnt lgkmcnt(0)
	v_mul_lo_u32 v6, v5, s12
	v_mul_lo_u32 v7, v4, s13
	v_mad_u64_u32 v[2:3], s[26:27], v4, s12, 0
	v_add3_u32 v3, v3, v7, v6
	v_lshlrev_b64 v[2:3], 1, v[2:3]
	v_mov_b32_e32 v6, s15
	v_add_co_u32_e32 v2, vcc, s14, v2
	v_addc_co_u32_e32 v3, vcc, v6, v3, vcc
	v_mul_lo_u32 v8, v1, s12
	v_mul_lo_u32 v9, v0, s13
	v_mad_u64_u32 v[6:7], s[26:27], v0, s12, 0
	v_add3_u32 v7, v7, v9, v8
	v_lshlrev_b64 v[6:7], 1, v[6:7]
	v_mov_b32_e32 v8, s15
	v_add_co_u32_e32 v6, vcc, s14, v6
	v_addc_co_u32_e32 v7, vcc, v8, v7, vcc
	s_mov_b64 s[26:27], 0
	s_mov_b64 s[34:35], s[12:13]
                                        ; implicit-def: $sgpr28_sgpr29
                                        ; implicit-def: $sgpr30_sgpr31
                                        ; implicit-def: $sgpr36_sgpr37
	s_branch .LBB1239_484
.LBB1239_483:                           ;   in Loop: Header=BB1239_484 Depth=1
	s_or_b64 exec, exec, s[40:41]
	s_and_b64 s[38:39], exec, s[42:43]
	s_or_b64 s[26:27], s[38:39], s[26:27]
	s_andn2_b64 s[28:29], s[28:29], exec
	s_and_b64 s[38:39], s[30:31], exec
	s_or_b64 s[28:29], s[28:29], s[38:39]
	s_andn2_b64 exec, exec, s[26:27]
	s_cbranch_execz .LBB1239_488
.LBB1239_484:                           ; =>This Inner Loop Header: Depth=1
	global_load_ushort v8, v[2:3], off
	global_load_ushort v9, v[6:7], off
	s_mov_b64 s[44:45], 0
	s_mov_b64 s[38:39], -1
	s_waitcnt vmcnt(0)
	v_cmp_nlt_f16_e32 vcc, v8, v9
	s_and_saveexec_b64 s[40:41], vcc
; %bb.485:                              ;   in Loop: Header=BB1239_484 Depth=1
	v_cmp_ngt_f16_e32 vcc, v8, v9
	s_and_b64 s[36:37], vcc, s[36:37]
	s_orn2_b64 s[38:39], s[36:37], exec
	s_and_b64 s[44:45], vcc, exec
; %bb.486:                              ;   in Loop: Header=BB1239_484 Depth=1
	s_or_b64 exec, exec, s[40:41]
	s_andn2_b64 s[30:31], s[30:31], exec
	s_and_b64 s[36:37], s[38:39], exec
	s_mov_b64 s[42:43], -1
	s_or_b64 s[30:31], s[30:31], s[36:37]
                                        ; implicit-def: $sgpr36_sgpr37
	s_and_saveexec_b64 s[40:41], s[44:45]
	s_cbranch_execz .LBB1239_483
; %bb.487:                              ;   in Loop: Header=BB1239_484 Depth=1
	s_add_u32 s34, s34, -1
	v_add_co_u32_e32 v2, vcc, 2, v2
	s_addc_u32 s35, s35, -1
	v_addc_co_u32_e32 v3, vcc, 0, v3, vcc
	s_cmp_eq_u64 s[34:35], 0
	v_add_co_u32_e32 v6, vcc, 2, v6
	s_cselect_b64 s[42:43], -1, 0
	v_addc_co_u32_e32 v7, vcc, 0, v7, vcc
	s_and_b64 s[36:37], s[38:39], exec
	s_andn2_b64 s[30:31], s[30:31], exec
	s_orn2_b64 s[42:43], s[42:43], exec
	s_branch .LBB1239_483
.LBB1239_488:
	s_or_b64 exec, exec, s[26:27]
	s_xor_b64 s[26:27], s[28:29], -1
	s_andn2_b64 s[0:1], s[0:1], exec
	s_and_b64 s[26:27], s[26:27], exec
	s_or_b64 s[0:1], s[0:1], s[26:27]
.LBB1239_489:
	s_or_b64 exec, exec, s[2:3]
	v_cndmask_b32_e64 v2, v17, v16, s[0:1]
	v_add_u32_e32 v8, -1, v14
	v_mov_b32_e32 v18, 0x3ff
	v_add_u32_e32 v6, 1, v2
	v_cndmask_b32_e64 v2, v18, v8, s[0:1]
	v_min_u32_e32 v2, v6, v2
	v_lshlrev_b32_e32 v2, 3, v2
	ds_read_b64 v[2:3], v2
	v_cndmask_b32_e64 v19, v6, v17, s[0:1]
	s_movk_i32 s7, 0x400
	v_cndmask_b32_e64 v33, v16, v6, s[0:1]
	v_cmp_gt_u32_e32 vcc, s7, v19
	s_waitcnt lgkmcnt(0)
	v_cndmask_b32_e64 v9, v3, v5, s[0:1]
	v_cndmask_b32_e64 v10, v2, v4, s[0:1]
	;; [unrolled: 1-line block ×4, first 2 shown]
	s_mov_b64 s[2:3], -1
	s_mov_b64 s[26:27], -1
	s_and_saveexec_b64 s[28:29], vcc
	s_cbranch_execz .LBB1239_499
; %bb.490:
	v_cmp_lt_u32_e64 s[26:27], v33, v14
	s_xor_b64 s[30:31], s[24:25], -1
	s_and_b64 s[34:35], s[26:27], s[30:31]
	s_and_saveexec_b64 s[30:31], s[34:35]
	s_cbranch_execz .LBB1239_498
; %bb.491:
	v_mul_lo_u32 v6, v9, s12
	v_mul_lo_u32 v7, v10, s13
	v_mad_u64_u32 v[2:3], s[34:35], v10, s12, 0
	v_add3_u32 v3, v3, v7, v6
	v_lshlrev_b64 v[2:3], 1, v[2:3]
	v_mov_b32_e32 v6, s15
	v_add_co_u32_e32 v2, vcc, s14, v2
	v_addc_co_u32_e32 v3, vcc, v6, v3, vcc
	v_mul_lo_u32 v16, v11, s12
	v_mul_lo_u32 v17, v15, s13
	v_mad_u64_u32 v[6:7], s[34:35], v15, s12, 0
	v_add3_u32 v7, v7, v17, v16
	v_lshlrev_b64 v[6:7], 1, v[6:7]
	v_mov_b32_e32 v16, s15
	v_add_co_u32_e32 v6, vcc, s14, v6
	v_addc_co_u32_e32 v7, vcc, v16, v7, vcc
	s_mov_b64 s[34:35], 0
	s_mov_b64 s[40:41], s[12:13]
                                        ; implicit-def: $sgpr36_sgpr37
                                        ; implicit-def: $sgpr38_sgpr39
                                        ; implicit-def: $sgpr42_sgpr43
	s_branch .LBB1239_493
.LBB1239_492:                           ;   in Loop: Header=BB1239_493 Depth=1
	s_or_b64 exec, exec, s[46:47]
	s_and_b64 s[44:45], exec, s[48:49]
	s_or_b64 s[34:35], s[44:45], s[34:35]
	s_andn2_b64 s[36:37], s[36:37], exec
	s_and_b64 s[44:45], s[38:39], exec
	s_or_b64 s[36:37], s[36:37], s[44:45]
	s_andn2_b64 exec, exec, s[34:35]
	s_cbranch_execz .LBB1239_497
.LBB1239_493:                           ; =>This Inner Loop Header: Depth=1
	global_load_ushort v16, v[2:3], off
	global_load_ushort v17, v[6:7], off
	s_mov_b64 s[50:51], 0
	s_mov_b64 s[44:45], -1
	s_waitcnt vmcnt(0)
	v_cmp_nlt_f16_e32 vcc, v16, v17
	s_and_saveexec_b64 s[46:47], vcc
; %bb.494:                              ;   in Loop: Header=BB1239_493 Depth=1
	v_cmp_ngt_f16_e32 vcc, v16, v17
	s_and_b64 s[42:43], vcc, s[42:43]
	s_orn2_b64 s[44:45], s[42:43], exec
	s_and_b64 s[50:51], vcc, exec
; %bb.495:                              ;   in Loop: Header=BB1239_493 Depth=1
	s_or_b64 exec, exec, s[46:47]
	s_andn2_b64 s[38:39], s[38:39], exec
	s_and_b64 s[42:43], s[44:45], exec
	s_mov_b64 s[48:49], -1
	s_or_b64 s[38:39], s[38:39], s[42:43]
                                        ; implicit-def: $sgpr42_sgpr43
	s_and_saveexec_b64 s[46:47], s[50:51]
	s_cbranch_execz .LBB1239_492
; %bb.496:                              ;   in Loop: Header=BB1239_493 Depth=1
	s_add_u32 s40, s40, -1
	v_add_co_u32_e32 v2, vcc, 2, v2
	s_addc_u32 s41, s41, -1
	v_addc_co_u32_e32 v3, vcc, 0, v3, vcc
	s_cmp_eq_u64 s[40:41], 0
	v_add_co_u32_e32 v6, vcc, 2, v6
	s_cselect_b64 s[48:49], -1, 0
	v_addc_co_u32_e32 v7, vcc, 0, v7, vcc
	s_and_b64 s[42:43], s[44:45], exec
	s_andn2_b64 s[38:39], s[38:39], exec
	s_orn2_b64 s[48:49], s[48:49], exec
	s_branch .LBB1239_492
.LBB1239_497:
	s_or_b64 exec, exec, s[34:35]
	s_xor_b64 s[34:35], s[36:37], -1
	s_andn2_b64 s[26:27], s[26:27], exec
	s_and_b64 s[34:35], s[34:35], exec
	s_or_b64 s[26:27], s[26:27], s[34:35]
.LBB1239_498:
	s_or_b64 exec, exec, s[30:31]
	s_orn2_b64 s[26:27], s[26:27], exec
.LBB1239_499:
	s_or_b64 exec, exec, s[28:29]
	v_cndmask_b32_e64 v2, v19, v33, s[26:27]
	v_add_u32_e32 v6, 1, v2
	v_cndmask_b32_e64 v2, v18, v8, s[26:27]
	v_min_u32_e32 v2, v6, v2
	v_lshlrev_b32_e32 v2, 3, v2
	ds_read_b64 v[2:3], v2
	v_cndmask_b32_e64 v19, v6, v19, s[26:27]
	v_cndmask_b32_e64 v18, v33, v6, s[26:27]
	v_cmp_gt_u32_e32 vcc, s7, v19
	s_waitcnt lgkmcnt(0)
	v_cndmask_b32_e64 v16, v3, v9, s[26:27]
	v_cndmask_b32_e64 v17, v2, v10, s[26:27]
	;; [unrolled: 1-line block ×4, first 2 shown]
	s_and_saveexec_b64 s[28:29], vcc
	s_cbranch_execz .LBB1239_509
; %bb.500:
	v_cmp_lt_u32_e64 s[2:3], v18, v14
	s_xor_b64 s[30:31], s[24:25], -1
	s_and_b64 s[34:35], s[2:3], s[30:31]
	s_and_saveexec_b64 s[30:31], s[34:35]
	s_cbranch_execz .LBB1239_508
; %bb.501:
	v_mul_lo_u32 v6, v16, s12
	v_mul_lo_u32 v7, v17, s13
	v_mad_u64_u32 v[2:3], s[34:35], v17, s12, 0
	v_add3_u32 v3, v3, v7, v6
	v_lshlrev_b64 v[2:3], 1, v[2:3]
	v_mov_b32_e32 v6, s15
	v_add_co_u32_e32 v2, vcc, s14, v2
	v_addc_co_u32_e32 v3, vcc, v6, v3, vcc
	v_mul_lo_u32 v33, v20, s12
	v_mul_lo_u32 v34, v21, s13
	v_mad_u64_u32 v[6:7], s[34:35], v21, s12, 0
	v_add3_u32 v7, v7, v34, v33
	v_lshlrev_b64 v[6:7], 1, v[6:7]
	v_mov_b32_e32 v33, s15
	v_add_co_u32_e32 v6, vcc, s14, v6
	v_addc_co_u32_e32 v7, vcc, v33, v7, vcc
	s_mov_b64 s[34:35], 0
	s_mov_b64 s[40:41], s[12:13]
                                        ; implicit-def: $sgpr36_sgpr37
                                        ; implicit-def: $sgpr38_sgpr39
                                        ; implicit-def: $sgpr42_sgpr43
	s_branch .LBB1239_503
.LBB1239_502:                           ;   in Loop: Header=BB1239_503 Depth=1
	s_or_b64 exec, exec, s[46:47]
	s_and_b64 s[44:45], exec, s[48:49]
	s_or_b64 s[34:35], s[44:45], s[34:35]
	s_andn2_b64 s[36:37], s[36:37], exec
	s_and_b64 s[44:45], s[38:39], exec
	s_or_b64 s[36:37], s[36:37], s[44:45]
	s_andn2_b64 exec, exec, s[34:35]
	s_cbranch_execz .LBB1239_507
.LBB1239_503:                           ; =>This Inner Loop Header: Depth=1
	global_load_ushort v33, v[2:3], off
	global_load_ushort v34, v[6:7], off
	s_mov_b64 s[50:51], 0
	s_mov_b64 s[44:45], -1
	s_waitcnt vmcnt(0)
	v_cmp_nlt_f16_e32 vcc, v33, v34
	s_and_saveexec_b64 s[46:47], vcc
; %bb.504:                              ;   in Loop: Header=BB1239_503 Depth=1
	v_cmp_ngt_f16_e32 vcc, v33, v34
	s_and_b64 s[42:43], vcc, s[42:43]
	s_orn2_b64 s[44:45], s[42:43], exec
	s_and_b64 s[50:51], vcc, exec
; %bb.505:                              ;   in Loop: Header=BB1239_503 Depth=1
	s_or_b64 exec, exec, s[46:47]
	s_andn2_b64 s[38:39], s[38:39], exec
	s_and_b64 s[42:43], s[44:45], exec
	s_mov_b64 s[48:49], -1
	s_or_b64 s[38:39], s[38:39], s[42:43]
                                        ; implicit-def: $sgpr42_sgpr43
	s_and_saveexec_b64 s[46:47], s[50:51]
	s_cbranch_execz .LBB1239_502
; %bb.506:                              ;   in Loop: Header=BB1239_503 Depth=1
	s_add_u32 s40, s40, -1
	v_add_co_u32_e32 v2, vcc, 2, v2
	s_addc_u32 s41, s41, -1
	v_addc_co_u32_e32 v3, vcc, 0, v3, vcc
	s_cmp_eq_u64 s[40:41], 0
	v_add_co_u32_e32 v6, vcc, 2, v6
	s_cselect_b64 s[48:49], -1, 0
	v_addc_co_u32_e32 v7, vcc, 0, v7, vcc
	s_and_b64 s[42:43], s[44:45], exec
	s_andn2_b64 s[38:39], s[38:39], exec
	s_orn2_b64 s[48:49], s[48:49], exec
	s_branch .LBB1239_502
.LBB1239_507:
	s_or_b64 exec, exec, s[34:35]
	s_xor_b64 s[34:35], s[36:37], -1
	s_andn2_b64 s[2:3], s[2:3], exec
	s_and_b64 s[34:35], s[34:35], exec
	s_or_b64 s[2:3], s[2:3], s[34:35]
.LBB1239_508:
	s_or_b64 exec, exec, s[30:31]
	s_orn2_b64 s[2:3], s[2:3], exec
.LBB1239_509:
	s_or_b64 exec, exec, s[28:29]
	v_cndmask_b32_e64 v6, v19, v18, s[2:3]
	v_cndmask_b32_e64 v2, v10, v15, s[26:27]
	v_add_u32_e32 v10, 1, v6
	v_mov_b32_e32 v6, 0x3ff
	v_cndmask_b32_e64 v6, v6, v8, s[2:3]
	v_min_u32_e32 v6, v10, v6
	v_lshlrev_b32_e32 v6, 3, v6
	v_cndmask_b32_e64 v3, v9, v11, s[26:27]
	ds_read_b64 v[8:9], v6
	v_cndmask_b32_e64 v1, v5, v1, s[0:1]
	v_cndmask_b32_e64 v0, v4, v0, s[0:1]
	;; [unrolled: 1-line block ×3, first 2 shown]
	s_movk_i32 s0, 0x400
	v_cndmask_b32_e64 v5, v16, v20, s[2:3]
	v_cndmask_b32_e64 v4, v17, v21, s[2:3]
	s_waitcnt lgkmcnt(0)
	v_cndmask_b32_e64 v7, v20, v9, s[2:3]
	v_cndmask_b32_e64 v6, v21, v8, s[2:3]
	v_cmp_gt_u32_e32 vcc, s0, v11
	s_and_saveexec_b64 s[0:1], vcc
	s_cbranch_execz .LBB1239_519
; %bb.510:
	v_cndmask_b32_e64 v15, v9, v16, s[2:3]
	v_cndmask_b32_e64 v16, v8, v17, s[2:3]
	;; [unrolled: 1-line block ×3, first 2 shown]
	v_cmp_ge_u32_e32 vcc, v8, v14
	s_or_b64 s[2:3], vcc, s[24:25]
	v_cndmask_b32_e32 v9, v7, v15, vcc
	s_xor_b64 s[24:25], s[2:3], -1
	v_cndmask_b32_e32 v8, v6, v16, vcc
	s_and_saveexec_b64 s[2:3], s[24:25]
	s_cbranch_execz .LBB1239_518
; %bb.511:
	v_mul_lo_u32 v10, v15, s12
	v_mul_lo_u32 v11, v16, s13
	v_mad_u64_u32 v[8:9], s[24:25], v16, s12, 0
	v_add3_u32 v9, v9, v11, v10
	v_lshlrev_b64 v[8:9], 1, v[8:9]
	v_mov_b32_e32 v10, s15
	v_add_co_u32_e32 v8, vcc, s14, v8
	v_addc_co_u32_e32 v9, vcc, v10, v9, vcc
	v_mul_lo_u32 v14, v7, s12
	v_mul_lo_u32 v17, v6, s13
	v_mad_u64_u32 v[10:11], s[24:25], v6, s12, 0
	v_add3_u32 v11, v11, v17, v14
	v_lshlrev_b64 v[10:11], 1, v[10:11]
	v_mov_b32_e32 v14, s15
	v_add_co_u32_e32 v10, vcc, s14, v10
	v_addc_co_u32_e32 v11, vcc, v14, v11, vcc
	s_mov_b64 s[24:25], 0
	s_mov_b64 s[30:31], s[12:13]
                                        ; implicit-def: $sgpr26_sgpr27
                                        ; implicit-def: $sgpr28_sgpr29
                                        ; implicit-def: $sgpr34_sgpr35
	s_branch .LBB1239_513
.LBB1239_512:                           ;   in Loop: Header=BB1239_513 Depth=1
	s_or_b64 exec, exec, s[38:39]
	s_and_b64 s[36:37], exec, s[40:41]
	s_or_b64 s[24:25], s[36:37], s[24:25]
	s_andn2_b64 s[26:27], s[26:27], exec
	s_and_b64 s[36:37], s[28:29], exec
	s_or_b64 s[26:27], s[26:27], s[36:37]
	s_andn2_b64 exec, exec, s[24:25]
	s_cbranch_execz .LBB1239_517
.LBB1239_513:                           ; =>This Inner Loop Header: Depth=1
	global_load_ushort v14, v[8:9], off
	global_load_ushort v17, v[10:11], off
	s_mov_b64 s[42:43], 0
	s_mov_b64 s[36:37], -1
	s_waitcnt vmcnt(0)
	v_cmp_nlt_f16_e32 vcc, v14, v17
	s_and_saveexec_b64 s[38:39], vcc
; %bb.514:                              ;   in Loop: Header=BB1239_513 Depth=1
	v_cmp_ngt_f16_e32 vcc, v14, v17
	s_and_b64 s[34:35], vcc, s[34:35]
	s_orn2_b64 s[36:37], s[34:35], exec
	s_and_b64 s[42:43], vcc, exec
; %bb.515:                              ;   in Loop: Header=BB1239_513 Depth=1
	s_or_b64 exec, exec, s[38:39]
	s_andn2_b64 s[28:29], s[28:29], exec
	s_and_b64 s[34:35], s[36:37], exec
	s_mov_b64 s[40:41], -1
	s_or_b64 s[28:29], s[28:29], s[34:35]
                                        ; implicit-def: $sgpr34_sgpr35
	s_and_saveexec_b64 s[38:39], s[42:43]
	s_cbranch_execz .LBB1239_512
; %bb.516:                              ;   in Loop: Header=BB1239_513 Depth=1
	s_add_u32 s30, s30, -1
	v_add_co_u32_e32 v8, vcc, 2, v8
	s_addc_u32 s31, s31, -1
	v_addc_co_u32_e32 v9, vcc, 0, v9, vcc
	s_cmp_eq_u64 s[30:31], 0
	v_add_co_u32_e32 v10, vcc, 2, v10
	s_cselect_b64 s[40:41], -1, 0
	v_addc_co_u32_e32 v11, vcc, 0, v11, vcc
	s_and_b64 s[34:35], s[36:37], exec
	s_andn2_b64 s[28:29], s[28:29], exec
	s_orn2_b64 s[40:41], s[40:41], exec
	s_branch .LBB1239_512
.LBB1239_517:
	s_or_b64 exec, exec, s[24:25]
	v_cndmask_b32_e64 v9, v7, v15, s[26:27]
	v_cndmask_b32_e64 v8, v6, v16, s[26:27]
.LBB1239_518:
	s_or_b64 exec, exec, s[2:3]
	v_pk_mov_b32 v[6:7], v[8:9], v[8:9] op_sel:[0,1]
.LBB1239_519:
	s_or_b64 exec, exec, s[0:1]
.LBB1239_520:
	s_or_b64 exec, exec, s[4:5]
	s_barrier
	s_barrier
	ds_write2_b64 v29, v[0:1], v[2:3] offset1:1
	ds_write2_b64 v29, v[4:5], v[6:7] offset0:2 offset1:3
	s_waitcnt lgkmcnt(0)
	s_barrier
	ds_read_b64 v[2:3], v28
	ds_read_b64 v[4:5], v30 offset:2048
	ds_read_b64 v[6:7], v31 offset:4096
	;; [unrolled: 1-line block ×3, first 2 shown]
	v_mov_b32_e32 v8, s17
	v_add_co_u32_e32 v9, vcc, s16, v22
	v_addc_co_u32_e32 v8, vcc, 0, v8, vcc
	s_waitcnt lgkmcnt(3)
	global_store_dwordx2 v22, v[2:3], s[16:17]
	s_waitcnt lgkmcnt(2)
	global_store_dwordx2 v22, v[4:5], s[16:17] offset:2048
	v_add_co_u32_e32 v2, vcc, 0x1000, v9
	v_addc_co_u32_e32 v3, vcc, 0, v8, vcc
	s_waitcnt lgkmcnt(1)
	global_store_dwordx2 v[2:3], v[6:7], off
	s_mov_b64 s[24:25], -1
	s_branch .LBB1239_877
.LBB1239_521:
	s_lshl_b64 s[0:1], s[20:21], 10
	s_sub_i32 s33, s22, s0
	v_cmp_gt_u32_e64 s[0:1], s33, v12
                                        ; implicit-def: $vgpr0_vgpr1_vgpr2_vgpr3_vgpr4_vgpr5_vgpr6_vgpr7
	s_and_saveexec_b64 s[2:3], s[0:1]
	s_cbranch_execz .LBB1239_523
; %bb.522:
	s_waitcnt lgkmcnt(0)
	global_load_dwordx2 v[0:1], v22, s[8:9]
.LBB1239_523:
	s_or_b64 exec, exec, s[2:3]
	v_add_u32_e32 v8, 0x100, v12
	v_cmp_gt_u32_e64 s[2:3], s33, v8
	s_and_saveexec_b64 s[4:5], s[2:3]
	s_cbranch_execz .LBB1239_525
; %bb.524:
	global_load_dwordx2 v[2:3], v22, s[8:9] offset:2048
.LBB1239_525:
	s_or_b64 exec, exec, s[4:5]
	v_add_u32_e32 v9, 0x200, v12
	v_cmp_gt_u32_e64 s[4:5], s33, v9
	s_and_saveexec_b64 s[20:21], s[4:5]
	s_cbranch_execz .LBB1239_527
; %bb.526:
	v_lshlrev_b32_e32 v4, 3, v9
	global_load_dwordx2 v[4:5], v4, s[8:9]
.LBB1239_527:
	s_or_b64 exec, exec, s[20:21]
	v_add_u32_e32 v10, 0x300, v12
	v_cmp_gt_u32_e64 s[24:25], s33, v10
	s_and_saveexec_b64 s[20:21], s[24:25]
	s_cbranch_execz .LBB1239_529
; %bb.528:
	v_lshlrev_b32_e32 v6, 3, v10
	global_load_dwordx2 v[6:7], v6, s[8:9]
.LBB1239_529:
	s_or_b64 exec, exec, s[20:21]
	v_and_b32_e32 v11, 0xf8, v27
	v_add_u32_e32 v14, v11, v22
	s_waitcnt vmcnt(0) lgkmcnt(0)
	ds_write_b64 v14, v[0:1]
	v_lshrrev_b32_e32 v0, 2, v8
	v_and_b32_e32 v0, 0x1f8, v0
	v_add_u32_e32 v13, v0, v22
	v_lshrrev_b32_e32 v0, 2, v9
	v_and_b32_e32 v0, 0x1f8, v0
	v_add_u32_e32 v15, v0, v22
	;; [unrolled: 3-line block ×3, first 2 shown]
	v_add_lshl_u32 v17, v26, v23, 3
	ds_write_b64 v13, v[2:3] offset:2048
	ds_write_b64 v15, v[4:5] offset:4096
	;; [unrolled: 1-line block ×3, first 2 shown]
	s_waitcnt lgkmcnt(0)
	s_barrier
	ds_read2_b64 v[0:3], v17 offset1:1
	ds_read2_b64 v[4:7], v17 offset0:2 offset1:3
	s_waitcnt lgkmcnt(0)
	s_barrier
	s_load_dword s7, s[10:11], 0xc
	v_mov_b32_e32 v8, 0
	s_mov_b64 s[20:21], 0
	s_waitcnt lgkmcnt(0)
	s_lshr_b32 s8, s7, 16
	s_cmp_lt_u32 s6, s18
	s_cselect_b32 s6, 12, 18
	s_add_u32 s6, s10, s6
	s_addc_u32 s7, s11, 0
	global_load_ushort v8, v8, s[6:7]
	v_mad_u32_u24 v9, v25, s8, v24
	v_cmp_gt_i64_e64 s[6:7], s[12:13], 0
	v_cmp_lt_i64_e64 s[18:19], s[12:13], 1
	s_waitcnt vmcnt(0)
	v_mul_lo_u32 v8, v9, v8
	v_add_lshl_u32 v18, v8, v12, 2
	v_sub_u32_e64 v19, s33, v18 clamp
	v_cmp_lt_u32_e32 vcc, 1, v19
	s_and_b64 s[8:9], vcc, s[6:7]
	s_and_saveexec_b64 s[10:11], s[8:9]
	s_cbranch_execz .LBB1239_539
; %bb.530:
	v_mul_lo_u32 v10, v3, s12
	v_mul_lo_u32 v11, v2, s13
	v_mad_u64_u32 v[8:9], s[22:23], v2, s12, 0
	v_add3_u32 v9, v9, v11, v10
	v_lshlrev_b64 v[8:9], 1, v[8:9]
	v_mov_b32_e32 v10, s15
	v_add_co_u32_e32 v8, vcc, s14, v8
	v_addc_co_u32_e32 v9, vcc, v10, v9, vcc
	v_mul_lo_u32 v20, v1, s12
	v_mul_lo_u32 v21, v0, s13
	v_mad_u64_u32 v[10:11], s[22:23], v0, s12, 0
	v_add3_u32 v11, v11, v21, v20
	v_lshlrev_b64 v[10:11], 1, v[10:11]
	v_mov_b32_e32 v20, s15
	v_add_co_u32_e32 v10, vcc, s14, v10
	v_addc_co_u32_e32 v11, vcc, v20, v11, vcc
	s_mov_b64 s[34:35], s[12:13]
                                        ; implicit-def: $sgpr22_sgpr23
                                        ; implicit-def: $sgpr26_sgpr27
                                        ; implicit-def: $sgpr28_sgpr29
                                        ; implicit-def: $sgpr30_sgpr31
                                        ; implicit-def: $sgpr36_sgpr37
	s_branch .LBB1239_532
.LBB1239_531:                           ;   in Loop: Header=BB1239_532 Depth=1
	s_or_b64 exec, exec, s[38:39]
	s_and_b64 s[38:39], exec, s[40:41]
	s_or_b64 s[20:21], s[38:39], s[20:21]
	s_andn2_b64 s[26:27], s[26:27], exec
	s_and_b64 s[38:39], s[28:29], exec
	s_or_b64 s[26:27], s[26:27], s[38:39]
	s_andn2_b64 s[22:23], s[22:23], exec
	s_and_b64 s[38:39], s[30:31], exec
	s_or_b64 s[22:23], s[22:23], s[38:39]
	s_andn2_b64 exec, exec, s[20:21]
	s_cbranch_execz .LBB1239_536
.LBB1239_532:                           ; =>This Inner Loop Header: Depth=1
	global_load_ushort v20, v[8:9], off
	global_load_ushort v21, v[10:11], off
	s_mov_b64 s[42:43], 0
	s_or_b64 s[30:31], s[30:31], exec
	s_waitcnt vmcnt(0)
	v_cmp_nlt_f16_e32 vcc, v20, v21
	s_and_saveexec_b64 s[38:39], vcc
; %bb.533:                              ;   in Loop: Header=BB1239_532 Depth=1
	v_cmp_ngt_f16_e32 vcc, v20, v21
	s_and_b64 s[36:37], vcc, s[36:37]
	s_andn2_b64 s[30:31], s[30:31], exec
	s_and_b64 s[36:37], s[36:37], exec
	s_or_b64 s[30:31], s[30:31], s[36:37]
	s_and_b64 s[42:43], vcc, exec
; %bb.534:                              ;   in Loop: Header=BB1239_532 Depth=1
	s_or_b64 exec, exec, s[38:39]
	s_mov_b64 s[40:41], -1
	s_or_b64 s[28:29], s[28:29], exec
                                        ; implicit-def: $sgpr36_sgpr37
	s_and_saveexec_b64 s[38:39], s[42:43]
	s_cbranch_execz .LBB1239_531
; %bb.535:                              ;   in Loop: Header=BB1239_532 Depth=1
	s_add_u32 s34, s34, -1
	v_add_co_u32_e32 v8, vcc, 2, v8
	s_addc_u32 s35, s35, -1
	v_addc_co_u32_e32 v9, vcc, 0, v9, vcc
	s_cmp_eq_u64 s[34:35], 0
	v_add_co_u32_e32 v10, vcc, 2, v10
	s_cselect_b64 s[40:41], -1, 0
	v_addc_co_u32_e32 v11, vcc, 0, v11, vcc
	s_and_b64 s[36:37], s[30:31], exec
	s_andn2_b64 s[28:29], s[28:29], exec
	s_orn2_b64 s[40:41], s[40:41], exec
	s_branch .LBB1239_531
.LBB1239_536:
	s_or_b64 exec, exec, s[20:21]
	s_and_saveexec_b64 s[20:21], s[26:27]
	s_xor_b64 s[20:21], exec, s[20:21]
	s_cbranch_execz .LBB1239_538
; %bb.537:
	v_cndmask_b32_e64 v25, v1, v3, s[22:23]
	v_cndmask_b32_e64 v24, v0, v2, s[22:23]
	;; [unrolled: 1-line block ×4, first 2 shown]
	v_mov_b32_e32 v28, v4
	v_mov_b32_e32 v29, v5
	;; [unrolled: 1-line block ×4, first 2 shown]
	v_pk_mov_b32 v[0:1], v[24:25], v[24:25] op_sel:[0,1]
	v_pk_mov_b32 v[2:3], v[26:27], v[26:27] op_sel:[0,1]
	;; [unrolled: 1-line block ×4, first 2 shown]
.LBB1239_538:
	s_or_b64 exec, exec, s[20:21]
.LBB1239_539:
	s_or_b64 exec, exec, s[10:11]
	v_cmp_lt_u32_e32 vcc, 3, v19
	s_xor_b64 s[20:21], s[18:19], -1
	s_and_b64 s[10:11], vcc, s[20:21]
	s_and_saveexec_b64 s[22:23], s[10:11]
	s_cbranch_execz .LBB1239_549
; %bb.540:
	v_mul_lo_u32 v10, v7, s12
	v_mul_lo_u32 v11, v6, s13
	v_mad_u64_u32 v[8:9], s[26:27], v6, s12, 0
	v_add3_u32 v9, v9, v11, v10
	v_lshlrev_b64 v[8:9], 1, v[8:9]
	v_mov_b32_e32 v10, s15
	v_add_co_u32_e32 v8, vcc, s14, v8
	v_addc_co_u32_e32 v9, vcc, v10, v9, vcc
	v_mul_lo_u32 v20, v5, s12
	v_mul_lo_u32 v21, v4, s13
	v_mad_u64_u32 v[10:11], s[26:27], v4, s12, 0
	v_add3_u32 v11, v11, v21, v20
	v_lshlrev_b64 v[10:11], 1, v[10:11]
	v_mov_b32_e32 v20, s15
	v_add_co_u32_e32 v10, vcc, s14, v10
	v_addc_co_u32_e32 v11, vcc, v20, v11, vcc
	s_mov_b64 s[28:29], 0
	s_mov_b64 s[38:39], s[12:13]
                                        ; implicit-def: $sgpr26_sgpr27
                                        ; implicit-def: $sgpr30_sgpr31
                                        ; implicit-def: $sgpr34_sgpr35
                                        ; implicit-def: $sgpr36_sgpr37
                                        ; implicit-def: $sgpr40_sgpr41
	s_branch .LBB1239_542
.LBB1239_541:                           ;   in Loop: Header=BB1239_542 Depth=1
	s_or_b64 exec, exec, s[42:43]
	s_and_b64 s[42:43], exec, s[44:45]
	s_or_b64 s[28:29], s[42:43], s[28:29]
	s_andn2_b64 s[30:31], s[30:31], exec
	s_and_b64 s[42:43], s[34:35], exec
	s_or_b64 s[30:31], s[30:31], s[42:43]
	s_andn2_b64 s[26:27], s[26:27], exec
	s_and_b64 s[42:43], s[36:37], exec
	s_or_b64 s[26:27], s[26:27], s[42:43]
	s_andn2_b64 exec, exec, s[28:29]
	s_cbranch_execz .LBB1239_546
.LBB1239_542:                           ; =>This Inner Loop Header: Depth=1
	global_load_ushort v20, v[8:9], off
	global_load_ushort v21, v[10:11], off
	s_or_b64 s[36:37], s[36:37], exec
	s_mov_b64 s[46:47], 0
	s_waitcnt vmcnt(0)
	v_cmp_nlt_f16_e32 vcc, v20, v21
	s_and_saveexec_b64 s[42:43], vcc
; %bb.543:                              ;   in Loop: Header=BB1239_542 Depth=1
	v_cmp_ngt_f16_e32 vcc, v20, v21
	s_and_b64 s[40:41], vcc, s[40:41]
	s_andn2_b64 s[36:37], s[36:37], exec
	s_and_b64 s[40:41], s[40:41], exec
	s_or_b64 s[36:37], s[36:37], s[40:41]
	s_and_b64 s[46:47], vcc, exec
; %bb.544:                              ;   in Loop: Header=BB1239_542 Depth=1
	s_or_b64 exec, exec, s[42:43]
	s_mov_b64 s[44:45], -1
	s_or_b64 s[34:35], s[34:35], exec
                                        ; implicit-def: $sgpr40_sgpr41
	s_and_saveexec_b64 s[42:43], s[46:47]
	s_cbranch_execz .LBB1239_541
; %bb.545:                              ;   in Loop: Header=BB1239_542 Depth=1
	s_add_u32 s38, s38, -1
	v_add_co_u32_e32 v8, vcc, 2, v8
	s_addc_u32 s39, s39, -1
	v_addc_co_u32_e32 v9, vcc, 0, v9, vcc
	s_cmp_eq_u64 s[38:39], 0
	v_add_co_u32_e32 v10, vcc, 2, v10
	s_cselect_b64 s[44:45], -1, 0
	v_addc_co_u32_e32 v11, vcc, 0, v11, vcc
	s_and_b64 s[40:41], s[36:37], exec
	s_andn2_b64 s[34:35], s[34:35], exec
	s_orn2_b64 s[44:45], s[44:45], exec
	s_branch .LBB1239_541
.LBB1239_546:
	s_or_b64 exec, exec, s[28:29]
	s_and_saveexec_b64 s[28:29], s[30:31]
	s_xor_b64 s[28:29], exec, s[28:29]
; %bb.547:
	v_cndmask_b32_e64 v8, v7, v5, s[26:27]
	v_cndmask_b32_e64 v9, v6, v4, s[26:27]
	;; [unrolled: 1-line block ×4, first 2 shown]
	v_mov_b32_e32 v6, v9
	v_mov_b32_e32 v7, v8
; %bb.548:
	s_or_b64 exec, exec, s[28:29]
.LBB1239_549:
	s_or_b64 exec, exec, s[22:23]
	v_cmp_lt_u32_e32 vcc, 2, v19
	s_and_b64 s[22:23], vcc, s[20:21]
	s_and_saveexec_b64 s[26:27], s[22:23]
	s_xor_b64 s[26:27], exec, s[26:27]
	s_cbranch_execnz .LBB1239_553
; %bb.550:
	s_or_b64 exec, exec, s[26:27]
	s_and_saveexec_b64 s[26:27], s[8:9]
	s_cbranch_execnz .LBB1239_562
.LBB1239_551:
	s_or_b64 exec, exec, s[26:27]
	s_and_saveexec_b64 s[8:9], s[10:11]
	s_cbranch_execnz .LBB1239_571
.LBB1239_552:
	s_or_b64 exec, exec, s[8:9]
	s_and_saveexec_b64 s[8:9], s[22:23]
	s_cbranch_execnz .LBB1239_580
	s_branch .LBB1239_589
.LBB1239_553:
	v_mul_lo_u32 v10, v5, s12
	v_mul_lo_u32 v11, v4, s13
	v_mad_u64_u32 v[8:9], s[28:29], v4, s12, 0
	v_add3_u32 v9, v9, v11, v10
	v_lshlrev_b64 v[8:9], 1, v[8:9]
	v_mov_b32_e32 v10, s15
	v_add_co_u32_e32 v8, vcc, s14, v8
	v_addc_co_u32_e32 v9, vcc, v10, v9, vcc
	v_mul_lo_u32 v19, v3, s12
	v_mul_lo_u32 v20, v2, s13
	v_mad_u64_u32 v[10:11], s[28:29], v2, s12, 0
	v_add3_u32 v11, v11, v20, v19
	v_lshlrev_b64 v[10:11], 1, v[10:11]
	v_mov_b32_e32 v19, s15
	v_add_co_u32_e32 v10, vcc, s14, v10
	v_addc_co_u32_e32 v11, vcc, v19, v11, vcc
	s_mov_b64 s[30:31], 0
	s_mov_b64 s[40:41], s[12:13]
                                        ; implicit-def: $sgpr28_sgpr29
                                        ; implicit-def: $sgpr34_sgpr35
                                        ; implicit-def: $sgpr36_sgpr37
                                        ; implicit-def: $sgpr38_sgpr39
                                        ; implicit-def: $sgpr42_sgpr43
	s_branch .LBB1239_555
.LBB1239_554:                           ;   in Loop: Header=BB1239_555 Depth=1
	s_or_b64 exec, exec, s[44:45]
	s_and_b64 s[44:45], exec, s[46:47]
	s_or_b64 s[30:31], s[44:45], s[30:31]
	s_andn2_b64 s[34:35], s[34:35], exec
	s_and_b64 s[44:45], s[36:37], exec
	s_or_b64 s[34:35], s[34:35], s[44:45]
	s_andn2_b64 s[28:29], s[28:29], exec
	s_and_b64 s[44:45], s[38:39], exec
	s_or_b64 s[28:29], s[28:29], s[44:45]
	s_andn2_b64 exec, exec, s[30:31]
	s_cbranch_execz .LBB1239_559
.LBB1239_555:                           ; =>This Inner Loop Header: Depth=1
	global_load_ushort v19, v[8:9], off
	global_load_ushort v20, v[10:11], off
	s_or_b64 s[38:39], s[38:39], exec
	s_mov_b64 s[48:49], 0
	s_waitcnt vmcnt(0)
	v_cmp_nlt_f16_e32 vcc, v19, v20
	s_and_saveexec_b64 s[44:45], vcc
; %bb.556:                              ;   in Loop: Header=BB1239_555 Depth=1
	v_cmp_ngt_f16_e32 vcc, v19, v20
	s_and_b64 s[42:43], vcc, s[42:43]
	s_andn2_b64 s[38:39], s[38:39], exec
	s_and_b64 s[42:43], s[42:43], exec
	s_or_b64 s[38:39], s[38:39], s[42:43]
	s_and_b64 s[48:49], vcc, exec
; %bb.557:                              ;   in Loop: Header=BB1239_555 Depth=1
	s_or_b64 exec, exec, s[44:45]
	s_mov_b64 s[46:47], -1
	s_or_b64 s[36:37], s[36:37], exec
                                        ; implicit-def: $sgpr42_sgpr43
	s_and_saveexec_b64 s[44:45], s[48:49]
	s_cbranch_execz .LBB1239_554
; %bb.558:                              ;   in Loop: Header=BB1239_555 Depth=1
	s_add_u32 s40, s40, -1
	v_add_co_u32_e32 v8, vcc, 2, v8
	s_addc_u32 s41, s41, -1
	v_addc_co_u32_e32 v9, vcc, 0, v9, vcc
	s_cmp_eq_u64 s[40:41], 0
	v_add_co_u32_e32 v10, vcc, 2, v10
	s_cselect_b64 s[46:47], -1, 0
	v_addc_co_u32_e32 v11, vcc, 0, v11, vcc
	s_and_b64 s[42:43], s[38:39], exec
	s_andn2_b64 s[36:37], s[36:37], exec
	s_orn2_b64 s[46:47], s[46:47], exec
	s_branch .LBB1239_554
.LBB1239_559:
	s_or_b64 exec, exec, s[30:31]
	s_and_saveexec_b64 s[30:31], s[34:35]
	s_xor_b64 s[30:31], exec, s[30:31]
; %bb.560:
	v_cndmask_b32_e64 v8, v5, v3, s[28:29]
	v_cndmask_b32_e64 v9, v4, v2, s[28:29]
	;; [unrolled: 1-line block ×4, first 2 shown]
	v_mov_b32_e32 v4, v9
	v_mov_b32_e32 v5, v8
; %bb.561:
	s_or_b64 exec, exec, s[30:31]
	s_or_b64 exec, exec, s[26:27]
	s_and_saveexec_b64 s[26:27], s[8:9]
	s_cbranch_execz .LBB1239_551
.LBB1239_562:
	v_mul_lo_u32 v10, v3, s12
	v_mul_lo_u32 v11, v2, s13
	v_mad_u64_u32 v[8:9], s[8:9], v2, s12, 0
	v_add3_u32 v9, v9, v11, v10
	v_lshlrev_b64 v[8:9], 1, v[8:9]
	v_mov_b32_e32 v10, s15
	v_add_co_u32_e32 v8, vcc, s14, v8
	v_addc_co_u32_e32 v9, vcc, v10, v9, vcc
	v_mul_lo_u32 v19, v1, s12
	v_mul_lo_u32 v20, v0, s13
	v_mad_u64_u32 v[10:11], s[8:9], v0, s12, 0
	v_add3_u32 v11, v11, v20, v19
	v_lshlrev_b64 v[10:11], 1, v[10:11]
	v_mov_b32_e32 v19, s15
	v_add_co_u32_e32 v10, vcc, s14, v10
	v_addc_co_u32_e32 v11, vcc, v19, v11, vcc
	s_mov_b64 s[28:29], 0
	s_mov_b64 s[38:39], s[12:13]
                                        ; implicit-def: $sgpr8_sgpr9
                                        ; implicit-def: $sgpr30_sgpr31
                                        ; implicit-def: $sgpr34_sgpr35
                                        ; implicit-def: $sgpr36_sgpr37
                                        ; implicit-def: $sgpr40_sgpr41
	s_branch .LBB1239_564
.LBB1239_563:                           ;   in Loop: Header=BB1239_564 Depth=1
	s_or_b64 exec, exec, s[42:43]
	s_and_b64 s[42:43], exec, s[44:45]
	s_or_b64 s[28:29], s[42:43], s[28:29]
	s_andn2_b64 s[30:31], s[30:31], exec
	s_and_b64 s[42:43], s[34:35], exec
	s_or_b64 s[30:31], s[30:31], s[42:43]
	s_andn2_b64 s[8:9], s[8:9], exec
	s_and_b64 s[42:43], s[36:37], exec
	s_or_b64 s[8:9], s[8:9], s[42:43]
	s_andn2_b64 exec, exec, s[28:29]
	s_cbranch_execz .LBB1239_568
.LBB1239_564:                           ; =>This Inner Loop Header: Depth=1
	global_load_ushort v19, v[8:9], off
	global_load_ushort v20, v[10:11], off
	s_or_b64 s[36:37], s[36:37], exec
	s_mov_b64 s[46:47], 0
	s_waitcnt vmcnt(0)
	v_cmp_nlt_f16_e32 vcc, v19, v20
	s_and_saveexec_b64 s[42:43], vcc
; %bb.565:                              ;   in Loop: Header=BB1239_564 Depth=1
	v_cmp_ngt_f16_e32 vcc, v19, v20
	s_and_b64 s[40:41], vcc, s[40:41]
	s_andn2_b64 s[36:37], s[36:37], exec
	s_and_b64 s[40:41], s[40:41], exec
	s_or_b64 s[36:37], s[36:37], s[40:41]
	s_and_b64 s[46:47], vcc, exec
; %bb.566:                              ;   in Loop: Header=BB1239_564 Depth=1
	s_or_b64 exec, exec, s[42:43]
	s_mov_b64 s[44:45], -1
	s_or_b64 s[34:35], s[34:35], exec
                                        ; implicit-def: $sgpr40_sgpr41
	s_and_saveexec_b64 s[42:43], s[46:47]
	s_cbranch_execz .LBB1239_563
; %bb.567:                              ;   in Loop: Header=BB1239_564 Depth=1
	s_add_u32 s38, s38, -1
	v_add_co_u32_e32 v8, vcc, 2, v8
	s_addc_u32 s39, s39, -1
	v_addc_co_u32_e32 v9, vcc, 0, v9, vcc
	s_cmp_eq_u64 s[38:39], 0
	v_add_co_u32_e32 v10, vcc, 2, v10
	s_cselect_b64 s[44:45], -1, 0
	v_addc_co_u32_e32 v11, vcc, 0, v11, vcc
	s_and_b64 s[40:41], s[36:37], exec
	s_andn2_b64 s[34:35], s[34:35], exec
	s_orn2_b64 s[44:45], s[44:45], exec
	s_branch .LBB1239_563
.LBB1239_568:
	s_or_b64 exec, exec, s[28:29]
	s_and_saveexec_b64 s[28:29], s[30:31]
	s_xor_b64 s[28:29], exec, s[28:29]
	s_cbranch_execz .LBB1239_570
; %bb.569:
	v_cndmask_b32_e64 v25, v1, v3, s[8:9]
	v_cndmask_b32_e64 v24, v0, v2, s[8:9]
	;; [unrolled: 1-line block ×4, first 2 shown]
	v_mov_b32_e32 v28, v4
	v_mov_b32_e32 v29, v5
	;; [unrolled: 1-line block ×4, first 2 shown]
	v_pk_mov_b32 v[0:1], v[24:25], v[24:25] op_sel:[0,1]
	v_pk_mov_b32 v[2:3], v[26:27], v[26:27] op_sel:[0,1]
	;; [unrolled: 1-line block ×4, first 2 shown]
.LBB1239_570:
	s_or_b64 exec, exec, s[28:29]
	s_or_b64 exec, exec, s[26:27]
	s_and_saveexec_b64 s[8:9], s[10:11]
	s_cbranch_execz .LBB1239_552
.LBB1239_571:
	v_mul_lo_u32 v10, v7, s12
	v_mul_lo_u32 v11, v6, s13
	v_mad_u64_u32 v[8:9], s[10:11], v6, s12, 0
	v_add3_u32 v9, v9, v11, v10
	v_lshlrev_b64 v[8:9], 1, v[8:9]
	v_mov_b32_e32 v10, s15
	v_add_co_u32_e32 v8, vcc, s14, v8
	v_addc_co_u32_e32 v9, vcc, v10, v9, vcc
	v_mul_lo_u32 v19, v5, s12
	v_mul_lo_u32 v20, v4, s13
	v_mad_u64_u32 v[10:11], s[10:11], v4, s12, 0
	v_add3_u32 v11, v11, v20, v19
	v_lshlrev_b64 v[10:11], 1, v[10:11]
	v_mov_b32_e32 v19, s15
	v_add_co_u32_e32 v10, vcc, s14, v10
	v_addc_co_u32_e32 v11, vcc, v19, v11, vcc
	s_mov_b64 s[26:27], 0
	s_mov_b64 s[36:37], s[12:13]
                                        ; implicit-def: $sgpr10_sgpr11
                                        ; implicit-def: $sgpr28_sgpr29
                                        ; implicit-def: $sgpr30_sgpr31
                                        ; implicit-def: $sgpr34_sgpr35
                                        ; implicit-def: $sgpr38_sgpr39
	s_branch .LBB1239_573
.LBB1239_572:                           ;   in Loop: Header=BB1239_573 Depth=1
	s_or_b64 exec, exec, s[40:41]
	s_and_b64 s[40:41], exec, s[42:43]
	s_or_b64 s[26:27], s[40:41], s[26:27]
	s_andn2_b64 s[28:29], s[28:29], exec
	s_and_b64 s[40:41], s[30:31], exec
	s_or_b64 s[28:29], s[28:29], s[40:41]
	s_andn2_b64 s[10:11], s[10:11], exec
	s_and_b64 s[40:41], s[34:35], exec
	s_or_b64 s[10:11], s[10:11], s[40:41]
	s_andn2_b64 exec, exec, s[26:27]
	s_cbranch_execz .LBB1239_577
.LBB1239_573:                           ; =>This Inner Loop Header: Depth=1
	global_load_ushort v19, v[8:9], off
	global_load_ushort v20, v[10:11], off
	s_or_b64 s[34:35], s[34:35], exec
	s_mov_b64 s[44:45], 0
	s_waitcnt vmcnt(0)
	v_cmp_nlt_f16_e32 vcc, v19, v20
	s_and_saveexec_b64 s[40:41], vcc
; %bb.574:                              ;   in Loop: Header=BB1239_573 Depth=1
	v_cmp_ngt_f16_e32 vcc, v19, v20
	s_and_b64 s[38:39], vcc, s[38:39]
	s_andn2_b64 s[34:35], s[34:35], exec
	s_and_b64 s[38:39], s[38:39], exec
	s_or_b64 s[34:35], s[34:35], s[38:39]
	s_and_b64 s[44:45], vcc, exec
; %bb.575:                              ;   in Loop: Header=BB1239_573 Depth=1
	s_or_b64 exec, exec, s[40:41]
	s_mov_b64 s[42:43], -1
	s_or_b64 s[30:31], s[30:31], exec
                                        ; implicit-def: $sgpr38_sgpr39
	s_and_saveexec_b64 s[40:41], s[44:45]
	s_cbranch_execz .LBB1239_572
; %bb.576:                              ;   in Loop: Header=BB1239_573 Depth=1
	s_add_u32 s36, s36, -1
	v_add_co_u32_e32 v8, vcc, 2, v8
	s_addc_u32 s37, s37, -1
	v_addc_co_u32_e32 v9, vcc, 0, v9, vcc
	s_cmp_eq_u64 s[36:37], 0
	v_add_co_u32_e32 v10, vcc, 2, v10
	s_cselect_b64 s[42:43], -1, 0
	v_addc_co_u32_e32 v11, vcc, 0, v11, vcc
	s_and_b64 s[38:39], s[34:35], exec
	s_andn2_b64 s[30:31], s[30:31], exec
	s_orn2_b64 s[42:43], s[42:43], exec
	s_branch .LBB1239_572
.LBB1239_577:
	s_or_b64 exec, exec, s[26:27]
	s_and_saveexec_b64 s[26:27], s[28:29]
	s_xor_b64 s[26:27], exec, s[26:27]
; %bb.578:
	v_cndmask_b32_e64 v8, v7, v5, s[10:11]
	v_cndmask_b32_e64 v9, v6, v4, s[10:11]
	;; [unrolled: 1-line block ×4, first 2 shown]
	v_mov_b32_e32 v6, v9
	v_mov_b32_e32 v7, v8
; %bb.579:
	s_or_b64 exec, exec, s[26:27]
	s_or_b64 exec, exec, s[8:9]
	s_and_saveexec_b64 s[8:9], s[22:23]
	s_cbranch_execz .LBB1239_589
.LBB1239_580:
	v_mul_lo_u32 v10, v5, s12
	v_mul_lo_u32 v11, v4, s13
	v_mad_u64_u32 v[8:9], s[10:11], v4, s12, 0
	v_add3_u32 v9, v9, v11, v10
	v_lshlrev_b64 v[8:9], 1, v[8:9]
	v_mov_b32_e32 v10, s15
	v_add_co_u32_e32 v8, vcc, s14, v8
	v_addc_co_u32_e32 v9, vcc, v10, v9, vcc
	v_mul_lo_u32 v19, v3, s12
	v_mul_lo_u32 v20, v2, s13
	v_mad_u64_u32 v[10:11], s[10:11], v2, s12, 0
	v_add3_u32 v11, v11, v20, v19
	v_lshlrev_b64 v[10:11], 1, v[10:11]
	v_mov_b32_e32 v19, s15
	v_add_co_u32_e32 v10, vcc, s14, v10
	v_addc_co_u32_e32 v11, vcc, v19, v11, vcc
	s_mov_b64 s[22:23], 0
	s_mov_b64 s[34:35], s[12:13]
                                        ; implicit-def: $sgpr10_sgpr11
                                        ; implicit-def: $sgpr26_sgpr27
                                        ; implicit-def: $sgpr28_sgpr29
                                        ; implicit-def: $sgpr30_sgpr31
                                        ; implicit-def: $sgpr36_sgpr37
	s_branch .LBB1239_582
.LBB1239_581:                           ;   in Loop: Header=BB1239_582 Depth=1
	s_or_b64 exec, exec, s[38:39]
	s_and_b64 s[38:39], exec, s[40:41]
	s_or_b64 s[22:23], s[38:39], s[22:23]
	s_andn2_b64 s[26:27], s[26:27], exec
	s_and_b64 s[38:39], s[28:29], exec
	s_or_b64 s[26:27], s[26:27], s[38:39]
	s_andn2_b64 s[10:11], s[10:11], exec
	s_and_b64 s[38:39], s[30:31], exec
	s_or_b64 s[10:11], s[10:11], s[38:39]
	s_andn2_b64 exec, exec, s[22:23]
	s_cbranch_execz .LBB1239_586
.LBB1239_582:                           ; =>This Inner Loop Header: Depth=1
	global_load_ushort v19, v[8:9], off
	global_load_ushort v20, v[10:11], off
	s_or_b64 s[30:31], s[30:31], exec
	s_mov_b64 s[42:43], 0
	s_waitcnt vmcnt(0)
	v_cmp_nlt_f16_e32 vcc, v19, v20
	s_and_saveexec_b64 s[38:39], vcc
; %bb.583:                              ;   in Loop: Header=BB1239_582 Depth=1
	v_cmp_ngt_f16_e32 vcc, v19, v20
	s_and_b64 s[36:37], vcc, s[36:37]
	s_andn2_b64 s[30:31], s[30:31], exec
	s_and_b64 s[36:37], s[36:37], exec
	s_or_b64 s[30:31], s[30:31], s[36:37]
	s_and_b64 s[42:43], vcc, exec
; %bb.584:                              ;   in Loop: Header=BB1239_582 Depth=1
	s_or_b64 exec, exec, s[38:39]
	s_mov_b64 s[40:41], -1
	s_or_b64 s[28:29], s[28:29], exec
                                        ; implicit-def: $sgpr36_sgpr37
	s_and_saveexec_b64 s[38:39], s[42:43]
	s_cbranch_execz .LBB1239_581
; %bb.585:                              ;   in Loop: Header=BB1239_582 Depth=1
	s_add_u32 s34, s34, -1
	v_add_co_u32_e32 v8, vcc, 2, v8
	s_addc_u32 s35, s35, -1
	v_addc_co_u32_e32 v9, vcc, 0, v9, vcc
	s_cmp_eq_u64 s[34:35], 0
	v_add_co_u32_e32 v10, vcc, 2, v10
	s_cselect_b64 s[40:41], -1, 0
	v_addc_co_u32_e32 v11, vcc, 0, v11, vcc
	s_and_b64 s[36:37], s[30:31], exec
	s_andn2_b64 s[28:29], s[28:29], exec
	s_orn2_b64 s[40:41], s[40:41], exec
	s_branch .LBB1239_581
.LBB1239_586:
	s_or_b64 exec, exec, s[22:23]
	s_and_saveexec_b64 s[22:23], s[26:27]
	s_xor_b64 s[22:23], exec, s[22:23]
; %bb.587:
	v_cndmask_b32_e64 v8, v5, v3, s[10:11]
	v_cndmask_b32_e64 v9, v4, v2, s[10:11]
	;; [unrolled: 1-line block ×4, first 2 shown]
	v_mov_b32_e32 v4, v9
	v_mov_b32_e32 v5, v8
; %bb.588:
	s_or_b64 exec, exec, s[22:23]
.LBB1239_589:
	s_or_b64 exec, exec, s[8:9]
	v_mbcnt_lo_u32_b32 v8, -1, 0
	v_mbcnt_hi_u32_b32 v8, -1, v8
	v_and_b32_e32 v9, 0xffffff00, v18
	v_lshlrev_b32_e32 v18, 3, v9
	v_lshlrev_b32_e32 v20, 2, v8
	v_sub_u32_e64 v19, s33, v9 clamp
	v_lshl_add_u32 v21, v8, 5, v18
	v_or_b32_e32 v8, 4, v20
	v_min_u32_e32 v24, v19, v8
	v_add_u32_e32 v8, 4, v24
	v_and_b32_e32 v28, 0x1f8, v20
	v_min_u32_e32 v25, v19, v8
	v_and_b32_e32 v8, 4, v20
	v_min_u32_e32 v29, v19, v8
	v_sub_u32_e32 v8, v24, v28
	v_sub_u32_e32 v9, v25, v24
	v_sub_u32_e64 v27, v29, v9 clamp
	v_min_u32_e32 v30, v29, v8
	v_cndmask_b32_e64 v8, 0, 1, s[6:7]
	v_lshl_add_u32 v26, v28, 3, v18
	v_cmp_lt_u32_e32 vcc, v27, v30
	v_cmp_ne_u32_e64 s[6:7], 1, v8
	ds_write_b128 v21, v[0:3]
	ds_write_b128 v21, v[4:7] offset:16
	; wave barrier
	s_and_saveexec_b64 s[8:9], vcc
	s_cbranch_execz .LBB1239_601
; %bb.590:
	v_lshlrev_b32_e32 v8, 3, v24
	v_lshlrev_b32_e32 v9, 3, v29
	v_add3_u32 v31, v18, v8, v9
	s_lshl_b64 s[22:23], s[12:13], 1
	s_mov_b64 s[10:11], 0
	s_branch .LBB1239_593
.LBB1239_591:                           ;   in Loop: Header=BB1239_593 Depth=1
	s_or_b64 exec, exec, s[28:29]
.LBB1239_592:                           ;   in Loop: Header=BB1239_593 Depth=1
	v_add_u32_e32 v8, 1, v32
	v_cndmask_b32_e64 v30, v30, v32, s[26:27]
	v_cndmask_b32_e64 v27, v8, v27, s[26:27]
	v_cmp_ge_u32_e32 vcc, v27, v30
	s_or_b64 s[10:11], vcc, s[10:11]
	s_andn2_b64 exec, exec, s[10:11]
	s_cbranch_execz .LBB1239_600
.LBB1239_593:                           ; =>This Loop Header: Depth=1
                                        ;     Child Loop BB1239_596 Depth 2
	v_add_u32_e32 v8, v30, v27
	v_lshrrev_b32_e32 v32, 1, v8
	s_and_b64 vcc, exec, s[6:7]
	s_mov_b64 s[26:27], 0
	s_cbranch_vccnz .LBB1239_592
; %bb.594:                              ;   in Loop: Header=BB1239_593 Depth=1
	v_not_b32_e32 v8, v32
	v_lshl_add_u32 v8, v8, 3, v31
	ds_read_b64 v[8:9], v8
	v_lshl_add_u32 v33, v32, 3, v26
	ds_read_b64 v[34:35], v33
	v_pk_mov_b32 v[10:11], s[14:15], s[14:15] op_sel:[0,1]
	s_mov_b64 s[28:29], 0
	s_waitcnt lgkmcnt(1)
	v_mul_lo_u32 v33, s22, v9
	v_mul_lo_u32 v36, s23, v8
	v_mad_u64_u32 v[8:9], s[26:27], s22, v8, v[10:11]
	v_add3_u32 v9, v36, v9, v33
	s_waitcnt lgkmcnt(0)
	v_mul_lo_u32 v33, s22, v35
	v_mul_lo_u32 v35, s23, v34
	v_mad_u64_u32 v[10:11], s[26:27], s22, v34, v[10:11]
	v_add3_u32 v11, v35, v11, v33
	s_mov_b64 s[34:35], s[12:13]
                                        ; implicit-def: $sgpr26_sgpr27
                                        ; implicit-def: $sgpr30_sgpr31
                                        ; implicit-def: $sgpr36_sgpr37
	s_branch .LBB1239_596
.LBB1239_595:                           ;   in Loop: Header=BB1239_596 Depth=2
	s_or_b64 exec, exec, s[42:43]
	s_and_b64 s[38:39], exec, s[38:39]
	s_or_b64 s[28:29], s[38:39], s[28:29]
	s_andn2_b64 s[26:27], s[26:27], exec
	s_and_b64 s[38:39], s[30:31], exec
	s_or_b64 s[26:27], s[26:27], s[38:39]
	s_andn2_b64 exec, exec, s[28:29]
	s_cbranch_execz .LBB1239_591
.LBB1239_596:                           ;   Parent Loop BB1239_593 Depth=1
                                        ; =>  This Inner Loop Header: Depth=2
	global_load_ushort v33, v[8:9], off
	global_load_ushort v34, v[10:11], off
	s_mov_b64 s[38:39], -1
	s_mov_b64 s[44:45], 0
	s_mov_b64 s[40:41], -1
	s_waitcnt vmcnt(0)
	v_cmp_nlt_f16_e32 vcc, v33, v34
	s_and_saveexec_b64 s[42:43], vcc
; %bb.597:                              ;   in Loop: Header=BB1239_596 Depth=2
	v_cmp_ngt_f16_e32 vcc, v33, v34
	s_and_b64 s[36:37], vcc, s[36:37]
	s_orn2_b64 s[40:41], s[36:37], exec
	s_and_b64 s[44:45], vcc, exec
; %bb.598:                              ;   in Loop: Header=BB1239_596 Depth=2
	s_or_b64 exec, exec, s[42:43]
	s_andn2_b64 s[30:31], s[30:31], exec
	s_and_b64 s[36:37], s[40:41], exec
	s_or_b64 s[30:31], s[30:31], s[36:37]
                                        ; implicit-def: $sgpr36_sgpr37
	s_and_saveexec_b64 s[42:43], s[44:45]
	s_cbranch_execz .LBB1239_595
; %bb.599:                              ;   in Loop: Header=BB1239_596 Depth=2
	s_add_u32 s34, s34, -1
	v_add_co_u32_e32 v8, vcc, 2, v8
	s_addc_u32 s35, s35, -1
	v_addc_co_u32_e32 v9, vcc, 0, v9, vcc
	s_cmp_eq_u64 s[34:35], 0
	v_add_co_u32_e32 v10, vcc, 2, v10
	s_cselect_b64 s[38:39], -1, 0
	v_addc_co_u32_e32 v11, vcc, 0, v11, vcc
	s_andn2_b64 s[30:31], s[30:31], exec
	s_and_b64 s[36:37], s[40:41], exec
	s_orn2_b64 s[38:39], s[38:39], exec
	s_branch .LBB1239_595
.LBB1239_600:
	s_or_b64 exec, exec, s[10:11]
.LBB1239_601:
	s_or_b64 exec, exec, s[8:9]
	v_add_u32_e32 v9, v24, v29
	v_add_u32_e32 v8, v27, v28
	v_sub_u32_e32 v9, v9, v27
	v_cmp_le_u32_e32 vcc, v8, v24
	v_cmp_le_u32_e64 s[8:9], v9, v25
	s_or_b64 s[8:9], vcc, s[8:9]
	s_and_saveexec_b64 s[22:23], s[8:9]
	s_cbranch_execz .LBB1239_645
; %bb.602:
	v_cmp_ge_u32_e32 vcc, v8, v24
	v_cmp_lt_u32_e64 s[8:9], v8, v24
                                        ; implicit-def: $vgpr0_vgpr1
	s_and_saveexec_b64 s[10:11], s[8:9]
	s_cbranch_execz .LBB1239_604
; %bb.603:
	v_lshl_add_u32 v0, v27, 3, v26
	ds_read_b64 v[0:1], v0
.LBB1239_604:
	s_or_b64 exec, exec, s[10:11]
	v_cmp_ge_u32_e64 s[8:9], v9, v25
	v_cmp_lt_u32_e64 s[10:11], v9, v25
                                        ; implicit-def: $vgpr2_vgpr3
	s_and_saveexec_b64 s[26:27], s[10:11]
	s_cbranch_execz .LBB1239_606
; %bb.605:
	v_lshl_add_u32 v2, v9, 3, v18
	ds_read_b64 v[2:3], v2
.LBB1239_606:
	s_or_b64 exec, exec, s[26:27]
	s_or_b64 s[10:11], vcc, s[8:9]
	s_or_b64 s[10:11], s[10:11], s[18:19]
	s_xor_b64 s[26:27], s[10:11], -1
	s_xor_b64 s[10:11], vcc, -1
	s_or_b64 s[8:9], s[8:9], s[10:11]
	s_and_saveexec_b64 s[10:11], s[26:27]
	s_cbranch_execz .LBB1239_614
; %bb.607:
	s_waitcnt lgkmcnt(0)
	v_mul_lo_u32 v6, v3, s12
	v_mul_lo_u32 v7, v2, s13
	v_mad_u64_u32 v[4:5], s[26:27], v2, s12, 0
	v_add3_u32 v5, v5, v7, v6
	v_lshlrev_b64 v[4:5], 1, v[4:5]
	v_mov_b32_e32 v6, s15
	v_add_co_u32_e32 v4, vcc, s14, v4
	v_addc_co_u32_e32 v5, vcc, v6, v5, vcc
	v_mul_lo_u32 v10, v1, s12
	v_mul_lo_u32 v11, v0, s13
	v_mad_u64_u32 v[6:7], s[26:27], v0, s12, 0
	v_add3_u32 v7, v7, v11, v10
	v_lshlrev_b64 v[6:7], 1, v[6:7]
	v_mov_b32_e32 v10, s15
	v_add_co_u32_e32 v6, vcc, s14, v6
	v_addc_co_u32_e32 v7, vcc, v10, v7, vcc
	s_mov_b64 s[26:27], 0
	s_mov_b64 s[34:35], s[12:13]
                                        ; implicit-def: $sgpr28_sgpr29
                                        ; implicit-def: $sgpr30_sgpr31
                                        ; implicit-def: $sgpr36_sgpr37
	s_branch .LBB1239_609
.LBB1239_608:                           ;   in Loop: Header=BB1239_609 Depth=1
	s_or_b64 exec, exec, s[40:41]
	s_and_b64 s[38:39], exec, s[42:43]
	s_or_b64 s[26:27], s[38:39], s[26:27]
	s_andn2_b64 s[28:29], s[28:29], exec
	s_and_b64 s[38:39], s[30:31], exec
	s_or_b64 s[28:29], s[28:29], s[38:39]
	s_andn2_b64 exec, exec, s[26:27]
	s_cbranch_execz .LBB1239_613
.LBB1239_609:                           ; =>This Inner Loop Header: Depth=1
	global_load_ushort v10, v[4:5], off
	global_load_ushort v11, v[6:7], off
	s_mov_b64 s[44:45], 0
	s_mov_b64 s[38:39], -1
	s_waitcnt vmcnt(0)
	v_cmp_nlt_f16_e32 vcc, v10, v11
	s_and_saveexec_b64 s[40:41], vcc
; %bb.610:                              ;   in Loop: Header=BB1239_609 Depth=1
	v_cmp_ngt_f16_e32 vcc, v10, v11
	s_and_b64 s[36:37], vcc, s[36:37]
	s_orn2_b64 s[38:39], s[36:37], exec
	s_and_b64 s[44:45], vcc, exec
; %bb.611:                              ;   in Loop: Header=BB1239_609 Depth=1
	s_or_b64 exec, exec, s[40:41]
	s_andn2_b64 s[30:31], s[30:31], exec
	s_and_b64 s[36:37], s[38:39], exec
	s_mov_b64 s[42:43], -1
	s_or_b64 s[30:31], s[30:31], s[36:37]
                                        ; implicit-def: $sgpr36_sgpr37
	s_and_saveexec_b64 s[40:41], s[44:45]
	s_cbranch_execz .LBB1239_608
; %bb.612:                              ;   in Loop: Header=BB1239_609 Depth=1
	s_add_u32 s34, s34, -1
	v_add_co_u32_e32 v4, vcc, 2, v4
	s_addc_u32 s35, s35, -1
	v_addc_co_u32_e32 v5, vcc, 0, v5, vcc
	s_cmp_eq_u64 s[34:35], 0
	v_add_co_u32_e32 v6, vcc, 2, v6
	s_cselect_b64 s[42:43], -1, 0
	v_addc_co_u32_e32 v7, vcc, 0, v7, vcc
	s_and_b64 s[36:37], s[38:39], exec
	s_andn2_b64 s[30:31], s[30:31], exec
	s_orn2_b64 s[42:43], s[42:43], exec
	s_branch .LBB1239_608
.LBB1239_613:
	s_or_b64 exec, exec, s[26:27]
	s_xor_b64 s[26:27], s[28:29], -1
	s_andn2_b64 s[8:9], s[8:9], exec
	s_and_b64 s[26:27], s[26:27], exec
	s_or_b64 s[8:9], s[8:9], s[26:27]
.LBB1239_614:
	s_or_b64 exec, exec, s[10:11]
	v_cndmask_b32_e64 v4, v9, v8, s[8:9]
	v_cndmask_b32_e64 v5, v25, v24, s[8:9]
	v_add_u32_e32 v6, 1, v4
	v_add_u32_e32 v4, -1, v5
	v_min_u32_e32 v4, v6, v4
	v_lshl_add_u32 v4, v4, 3, v18
	ds_read_b64 v[4:5], v4
	v_cndmask_b32_e64 v9, v6, v9, s[8:9]
	v_cndmask_b32_e64 v8, v8, v6, s[8:9]
	v_cmp_lt_u32_e32 vcc, v9, v25
	s_mov_b64 s[10:11], -1
	s_waitcnt lgkmcnt(0)
	v_cndmask_b32_e64 v10, v5, v3, s[8:9]
	v_cndmask_b32_e64 v11, v4, v2, s[8:9]
	;; [unrolled: 1-line block ×4, first 2 shown]
	s_mov_b64 s[26:27], -1
	s_and_saveexec_b64 s[28:29], vcc
	s_cbranch_execz .LBB1239_624
; %bb.615:
	v_cmp_lt_u32_e64 s[26:27], v8, v24
	s_and_b64 s[34:35], s[26:27], s[20:21]
	s_and_saveexec_b64 s[30:31], s[34:35]
	s_cbranch_execz .LBB1239_623
; %bb.616:
	v_mul_lo_u32 v6, v10, s12
	v_mul_lo_u32 v7, v11, s13
	v_mad_u64_u32 v[4:5], s[34:35], v11, s12, 0
	v_add3_u32 v5, v5, v7, v6
	v_lshlrev_b64 v[4:5], 1, v[4:5]
	v_mov_b32_e32 v6, s15
	v_add_co_u32_e32 v4, vcc, s14, v4
	v_addc_co_u32_e32 v5, vcc, v6, v5, vcc
	v_mul_lo_u32 v28, v26, s12
	v_mul_lo_u32 v29, v27, s13
	v_mad_u64_u32 v[6:7], s[34:35], v27, s12, 0
	v_add3_u32 v7, v7, v29, v28
	v_lshlrev_b64 v[6:7], 1, v[6:7]
	v_mov_b32_e32 v28, s15
	v_add_co_u32_e32 v6, vcc, s14, v6
	v_addc_co_u32_e32 v7, vcc, v28, v7, vcc
	s_mov_b64 s[34:35], 0
	s_mov_b64 s[40:41], s[12:13]
                                        ; implicit-def: $sgpr36_sgpr37
                                        ; implicit-def: $sgpr38_sgpr39
                                        ; implicit-def: $sgpr42_sgpr43
	s_branch .LBB1239_618
.LBB1239_617:                           ;   in Loop: Header=BB1239_618 Depth=1
	s_or_b64 exec, exec, s[46:47]
	s_and_b64 s[44:45], exec, s[48:49]
	s_or_b64 s[34:35], s[44:45], s[34:35]
	s_andn2_b64 s[36:37], s[36:37], exec
	s_and_b64 s[44:45], s[38:39], exec
	s_or_b64 s[36:37], s[36:37], s[44:45]
	s_andn2_b64 exec, exec, s[34:35]
	s_cbranch_execz .LBB1239_622
.LBB1239_618:                           ; =>This Inner Loop Header: Depth=1
	global_load_ushort v28, v[4:5], off
	global_load_ushort v29, v[6:7], off
	s_mov_b64 s[50:51], 0
	s_mov_b64 s[44:45], -1
	s_waitcnt vmcnt(0)
	v_cmp_nlt_f16_e32 vcc, v28, v29
	s_and_saveexec_b64 s[46:47], vcc
; %bb.619:                              ;   in Loop: Header=BB1239_618 Depth=1
	v_cmp_ngt_f16_e32 vcc, v28, v29
	s_and_b64 s[42:43], vcc, s[42:43]
	s_orn2_b64 s[44:45], s[42:43], exec
	s_and_b64 s[50:51], vcc, exec
; %bb.620:                              ;   in Loop: Header=BB1239_618 Depth=1
	s_or_b64 exec, exec, s[46:47]
	s_andn2_b64 s[38:39], s[38:39], exec
	s_and_b64 s[42:43], s[44:45], exec
	s_mov_b64 s[48:49], -1
	s_or_b64 s[38:39], s[38:39], s[42:43]
                                        ; implicit-def: $sgpr42_sgpr43
	s_and_saveexec_b64 s[46:47], s[50:51]
	s_cbranch_execz .LBB1239_617
; %bb.621:                              ;   in Loop: Header=BB1239_618 Depth=1
	s_add_u32 s40, s40, -1
	v_add_co_u32_e32 v4, vcc, 2, v4
	s_addc_u32 s41, s41, -1
	v_addc_co_u32_e32 v5, vcc, 0, v5, vcc
	s_cmp_eq_u64 s[40:41], 0
	v_add_co_u32_e32 v6, vcc, 2, v6
	s_cselect_b64 s[48:49], -1, 0
	v_addc_co_u32_e32 v7, vcc, 0, v7, vcc
	s_and_b64 s[42:43], s[44:45], exec
	s_andn2_b64 s[38:39], s[38:39], exec
	s_orn2_b64 s[48:49], s[48:49], exec
	s_branch .LBB1239_617
.LBB1239_622:
	s_or_b64 exec, exec, s[34:35]
	s_xor_b64 s[34:35], s[36:37], -1
	s_andn2_b64 s[26:27], s[26:27], exec
	s_and_b64 s[34:35], s[34:35], exec
	s_or_b64 s[26:27], s[26:27], s[34:35]
.LBB1239_623:
	s_or_b64 exec, exec, s[30:31]
	s_orn2_b64 s[26:27], s[26:27], exec
.LBB1239_624:
	s_or_b64 exec, exec, s[28:29]
	v_cndmask_b32_e64 v4, v9, v8, s[26:27]
	v_cndmask_b32_e64 v5, v25, v24, s[26:27]
	v_add_u32_e32 v6, 1, v4
	v_add_u32_e32 v4, -1, v5
	v_min_u32_e32 v4, v6, v4
	v_lshl_add_u32 v4, v4, 3, v18
	ds_read_b64 v[4:5], v4
	v_cndmask_b32_e64 v9, v6, v9, s[26:27]
	v_cndmask_b32_e64 v8, v8, v6, s[26:27]
	v_cmp_lt_u32_e32 vcc, v9, v25
	s_waitcnt lgkmcnt(0)
	v_cndmask_b32_e64 v28, v5, v10, s[26:27]
	v_cndmask_b32_e64 v29, v4, v11, s[26:27]
	;; [unrolled: 1-line block ×4, first 2 shown]
	s_and_saveexec_b64 s[28:29], vcc
	s_cbranch_execz .LBB1239_634
; %bb.625:
	v_cmp_lt_u32_e64 s[10:11], v8, v24
	s_and_b64 s[34:35], s[10:11], s[20:21]
	s_and_saveexec_b64 s[30:31], s[34:35]
	s_cbranch_execz .LBB1239_633
; %bb.626:
	v_mul_lo_u32 v6, v28, s12
	v_mul_lo_u32 v7, v29, s13
	v_mad_u64_u32 v[4:5], s[34:35], v29, s12, 0
	v_add3_u32 v5, v5, v7, v6
	v_lshlrev_b64 v[4:5], 1, v[4:5]
	v_mov_b32_e32 v6, s15
	v_add_co_u32_e32 v4, vcc, s14, v4
	v_addc_co_u32_e32 v5, vcc, v6, v5, vcc
	v_mul_lo_u32 v32, v30, s12
	v_mul_lo_u32 v33, v31, s13
	v_mad_u64_u32 v[6:7], s[34:35], v31, s12, 0
	v_add3_u32 v7, v7, v33, v32
	v_lshlrev_b64 v[6:7], 1, v[6:7]
	v_mov_b32_e32 v32, s15
	v_add_co_u32_e32 v6, vcc, s14, v6
	v_addc_co_u32_e32 v7, vcc, v32, v7, vcc
	s_mov_b64 s[34:35], 0
	s_mov_b64 s[40:41], s[12:13]
                                        ; implicit-def: $sgpr36_sgpr37
                                        ; implicit-def: $sgpr38_sgpr39
                                        ; implicit-def: $sgpr42_sgpr43
	s_branch .LBB1239_628
.LBB1239_627:                           ;   in Loop: Header=BB1239_628 Depth=1
	s_or_b64 exec, exec, s[46:47]
	s_and_b64 s[44:45], exec, s[48:49]
	s_or_b64 s[34:35], s[44:45], s[34:35]
	s_andn2_b64 s[36:37], s[36:37], exec
	s_and_b64 s[44:45], s[38:39], exec
	s_or_b64 s[36:37], s[36:37], s[44:45]
	s_andn2_b64 exec, exec, s[34:35]
	s_cbranch_execz .LBB1239_632
.LBB1239_628:                           ; =>This Inner Loop Header: Depth=1
	global_load_ushort v32, v[4:5], off
	global_load_ushort v33, v[6:7], off
	s_mov_b64 s[50:51], 0
	s_mov_b64 s[44:45], -1
	s_waitcnt vmcnt(0)
	v_cmp_nlt_f16_e32 vcc, v32, v33
	s_and_saveexec_b64 s[46:47], vcc
; %bb.629:                              ;   in Loop: Header=BB1239_628 Depth=1
	v_cmp_ngt_f16_e32 vcc, v32, v33
	s_and_b64 s[42:43], vcc, s[42:43]
	s_orn2_b64 s[44:45], s[42:43], exec
	s_and_b64 s[50:51], vcc, exec
; %bb.630:                              ;   in Loop: Header=BB1239_628 Depth=1
	s_or_b64 exec, exec, s[46:47]
	s_andn2_b64 s[38:39], s[38:39], exec
	s_and_b64 s[42:43], s[44:45], exec
	s_mov_b64 s[48:49], -1
	s_or_b64 s[38:39], s[38:39], s[42:43]
                                        ; implicit-def: $sgpr42_sgpr43
	s_and_saveexec_b64 s[46:47], s[50:51]
	s_cbranch_execz .LBB1239_627
; %bb.631:                              ;   in Loop: Header=BB1239_628 Depth=1
	s_add_u32 s40, s40, -1
	v_add_co_u32_e32 v4, vcc, 2, v4
	s_addc_u32 s41, s41, -1
	v_addc_co_u32_e32 v5, vcc, 0, v5, vcc
	s_cmp_eq_u64 s[40:41], 0
	v_add_co_u32_e32 v6, vcc, 2, v6
	s_cselect_b64 s[48:49], -1, 0
	v_addc_co_u32_e32 v7, vcc, 0, v7, vcc
	s_and_b64 s[42:43], s[44:45], exec
	s_andn2_b64 s[38:39], s[38:39], exec
	s_orn2_b64 s[48:49], s[48:49], exec
	s_branch .LBB1239_627
.LBB1239_632:
	s_or_b64 exec, exec, s[34:35]
	s_xor_b64 s[34:35], s[36:37], -1
	s_andn2_b64 s[10:11], s[10:11], exec
	s_and_b64 s[34:35], s[34:35], exec
	s_or_b64 s[10:11], s[10:11], s[34:35]
.LBB1239_633:
	s_or_b64 exec, exec, s[30:31]
	s_orn2_b64 s[10:11], s[10:11], exec
.LBB1239_634:
	s_or_b64 exec, exec, s[28:29]
	v_cndmask_b32_e64 v4, v9, v8, s[10:11]
	v_cndmask_b32_e64 v5, v25, v24, s[10:11]
	v_add_u32_e32 v33, 1, v4
	v_add_u32_e32 v4, -1, v5
	v_min_u32_e32 v4, v33, v4
	v_lshl_add_u32 v4, v4, 3, v18
	ds_read_b64 v[4:5], v4
	v_cndmask_b32_e64 v9, v33, v9, s[10:11]
	v_cmp_lt_u32_e32 vcc, v9, v25
	s_waitcnt lgkmcnt(0)
	v_cndmask_b32_e64 v7, v30, v5, s[10:11]
	v_cndmask_b32_e64 v6, v31, v4, s[10:11]
	s_and_saveexec_b64 s[28:29], vcc
	s_cbranch_execz .LBB1239_644
; %bb.635:
	v_cndmask_b32_e64 v32, v4, v29, s[10:11]
	v_cndmask_b32_e64 v4, v8, v33, s[10:11]
	v_cmp_ge_u32_e32 vcc, v4, v24
	v_cndmask_b32_e64 v25, v5, v28, s[10:11]
	s_or_b64 s[30:31], vcc, s[18:19]
	v_cndmask_b32_e32 v5, v7, v25, vcc
	s_xor_b64 s[34:35], s[30:31], -1
	v_cndmask_b32_e32 v4, v6, v32, vcc
	s_and_saveexec_b64 s[30:31], s[34:35]
	s_cbranch_execz .LBB1239_643
; %bb.636:
	v_mul_lo_u32 v8, v25, s12
	v_mul_lo_u32 v9, v32, s13
	v_mad_u64_u32 v[4:5], s[34:35], v32, s12, 0
	v_add3_u32 v5, v5, v9, v8
	v_lshlrev_b64 v[4:5], 1, v[4:5]
	v_mov_b32_e32 v8, s15
	v_add_co_u32_e32 v4, vcc, s14, v4
	v_addc_co_u32_e32 v5, vcc, v8, v5, vcc
	v_mul_lo_u32 v24, v7, s12
	v_mul_lo_u32 v33, v6, s13
	v_mad_u64_u32 v[8:9], s[34:35], v6, s12, 0
	v_add3_u32 v9, v9, v33, v24
	v_lshlrev_b64 v[8:9], 1, v[8:9]
	v_mov_b32_e32 v24, s15
	v_add_co_u32_e32 v8, vcc, s14, v8
	v_addc_co_u32_e32 v9, vcc, v24, v9, vcc
	s_mov_b64 s[34:35], 0
	s_mov_b64 s[40:41], s[12:13]
                                        ; implicit-def: $sgpr36_sgpr37
                                        ; implicit-def: $sgpr38_sgpr39
                                        ; implicit-def: $sgpr42_sgpr43
	s_branch .LBB1239_638
.LBB1239_637:                           ;   in Loop: Header=BB1239_638 Depth=1
	s_or_b64 exec, exec, s[46:47]
	s_and_b64 s[44:45], exec, s[48:49]
	s_or_b64 s[34:35], s[44:45], s[34:35]
	s_andn2_b64 s[36:37], s[36:37], exec
	s_and_b64 s[44:45], s[38:39], exec
	s_or_b64 s[36:37], s[36:37], s[44:45]
	s_andn2_b64 exec, exec, s[34:35]
	s_cbranch_execz .LBB1239_642
.LBB1239_638:                           ; =>This Inner Loop Header: Depth=1
	global_load_ushort v24, v[4:5], off
	global_load_ushort v33, v[8:9], off
	s_mov_b64 s[50:51], 0
	s_mov_b64 s[44:45], -1
	s_waitcnt vmcnt(0)
	v_cmp_nlt_f16_e32 vcc, v24, v33
	s_and_saveexec_b64 s[46:47], vcc
; %bb.639:                              ;   in Loop: Header=BB1239_638 Depth=1
	v_cmp_ngt_f16_e32 vcc, v24, v33
	s_and_b64 s[42:43], vcc, s[42:43]
	s_orn2_b64 s[44:45], s[42:43], exec
	s_and_b64 s[50:51], vcc, exec
; %bb.640:                              ;   in Loop: Header=BB1239_638 Depth=1
	s_or_b64 exec, exec, s[46:47]
	s_andn2_b64 s[38:39], s[38:39], exec
	s_and_b64 s[42:43], s[44:45], exec
	s_mov_b64 s[48:49], -1
	s_or_b64 s[38:39], s[38:39], s[42:43]
                                        ; implicit-def: $sgpr42_sgpr43
	s_and_saveexec_b64 s[46:47], s[50:51]
	s_cbranch_execz .LBB1239_637
; %bb.641:                              ;   in Loop: Header=BB1239_638 Depth=1
	s_add_u32 s40, s40, -1
	v_add_co_u32_e32 v4, vcc, 2, v4
	s_addc_u32 s41, s41, -1
	v_addc_co_u32_e32 v5, vcc, 0, v5, vcc
	s_cmp_eq_u64 s[40:41], 0
	v_add_co_u32_e32 v8, vcc, 2, v8
	s_cselect_b64 s[48:49], -1, 0
	v_addc_co_u32_e32 v9, vcc, 0, v9, vcc
	s_and_b64 s[42:43], s[44:45], exec
	s_andn2_b64 s[38:39], s[38:39], exec
	s_orn2_b64 s[48:49], s[48:49], exec
	s_branch .LBB1239_637
.LBB1239_642:
	s_or_b64 exec, exec, s[34:35]
	v_cndmask_b32_e64 v5, v7, v25, s[36:37]
	v_cndmask_b32_e64 v4, v6, v32, s[36:37]
.LBB1239_643:
	s_or_b64 exec, exec, s[30:31]
	v_pk_mov_b32 v[6:7], v[4:5], v[4:5] op_sel:[0,1]
.LBB1239_644:
	s_or_b64 exec, exec, s[28:29]
	v_cndmask_b32_e64 v1, v3, v1, s[8:9]
	v_cndmask_b32_e64 v0, v2, v0, s[8:9]
	;; [unrolled: 1-line block ×6, first 2 shown]
.LBB1239_645:
	s_or_b64 exec, exec, s[22:23]
	v_and_b32_e32 v28, 0x1f0, v20
	v_or_b32_e32 v8, 8, v28
	v_min_u32_e32 v24, v19, v8
	v_add_u32_e32 v8, 8, v24
	v_min_u32_e32 v25, v19, v8
	v_and_b32_e32 v8, 12, v20
	v_min_u32_e32 v29, v19, v8
	v_sub_u32_e32 v8, v24, v28
	v_sub_u32_e32 v9, v25, v24
	v_sub_u32_e64 v27, v29, v9 clamp
	v_min_u32_e32 v30, v29, v8
	v_lshl_add_u32 v26, v28, 3, v18
	v_cmp_lt_u32_e32 vcc, v27, v30
	; wave barrier
	ds_write_b128 v21, v[0:3]
	ds_write_b128 v21, v[4:7] offset:16
	; wave barrier
	s_and_saveexec_b64 s[8:9], vcc
	s_cbranch_execz .LBB1239_657
; %bb.646:
	v_lshlrev_b32_e32 v8, 3, v24
	v_lshlrev_b32_e32 v9, 3, v29
	v_add3_u32 v31, v18, v8, v9
	s_lshl_b64 s[22:23], s[12:13], 1
	s_mov_b64 s[10:11], 0
	s_branch .LBB1239_649
.LBB1239_647:                           ;   in Loop: Header=BB1239_649 Depth=1
	s_or_b64 exec, exec, s[28:29]
.LBB1239_648:                           ;   in Loop: Header=BB1239_649 Depth=1
	v_add_u32_e32 v8, 1, v32
	v_cndmask_b32_e64 v30, v30, v32, s[26:27]
	v_cndmask_b32_e64 v27, v8, v27, s[26:27]
	v_cmp_ge_u32_e32 vcc, v27, v30
	s_or_b64 s[10:11], vcc, s[10:11]
	s_andn2_b64 exec, exec, s[10:11]
	s_cbranch_execz .LBB1239_656
.LBB1239_649:                           ; =>This Loop Header: Depth=1
                                        ;     Child Loop BB1239_652 Depth 2
	v_add_u32_e32 v8, v30, v27
	v_lshrrev_b32_e32 v32, 1, v8
	s_and_b64 vcc, exec, s[6:7]
	s_mov_b64 s[26:27], 0
	s_cbranch_vccnz .LBB1239_648
; %bb.650:                              ;   in Loop: Header=BB1239_649 Depth=1
	v_not_b32_e32 v8, v32
	v_lshl_add_u32 v8, v8, 3, v31
	ds_read_b64 v[8:9], v8
	v_lshl_add_u32 v33, v32, 3, v26
	ds_read_b64 v[34:35], v33
	v_pk_mov_b32 v[10:11], s[14:15], s[14:15] op_sel:[0,1]
	s_mov_b64 s[28:29], 0
	s_waitcnt lgkmcnt(1)
	v_mul_lo_u32 v33, s22, v9
	v_mul_lo_u32 v36, s23, v8
	v_mad_u64_u32 v[8:9], s[26:27], s22, v8, v[10:11]
	v_add3_u32 v9, v36, v9, v33
	s_waitcnt lgkmcnt(0)
	v_mul_lo_u32 v33, s22, v35
	v_mul_lo_u32 v35, s23, v34
	v_mad_u64_u32 v[10:11], s[26:27], s22, v34, v[10:11]
	v_add3_u32 v11, v35, v11, v33
	s_mov_b64 s[34:35], s[12:13]
                                        ; implicit-def: $sgpr26_sgpr27
                                        ; implicit-def: $sgpr30_sgpr31
                                        ; implicit-def: $sgpr36_sgpr37
	s_branch .LBB1239_652
.LBB1239_651:                           ;   in Loop: Header=BB1239_652 Depth=2
	s_or_b64 exec, exec, s[42:43]
	s_and_b64 s[38:39], exec, s[38:39]
	s_or_b64 s[28:29], s[38:39], s[28:29]
	s_andn2_b64 s[26:27], s[26:27], exec
	s_and_b64 s[38:39], s[30:31], exec
	s_or_b64 s[26:27], s[26:27], s[38:39]
	s_andn2_b64 exec, exec, s[28:29]
	s_cbranch_execz .LBB1239_647
.LBB1239_652:                           ;   Parent Loop BB1239_649 Depth=1
                                        ; =>  This Inner Loop Header: Depth=2
	global_load_ushort v33, v[8:9], off
	global_load_ushort v34, v[10:11], off
	s_mov_b64 s[38:39], -1
	s_mov_b64 s[44:45], 0
	s_mov_b64 s[40:41], -1
	s_waitcnt vmcnt(0)
	v_cmp_nlt_f16_e32 vcc, v33, v34
	s_and_saveexec_b64 s[42:43], vcc
; %bb.653:                              ;   in Loop: Header=BB1239_652 Depth=2
	v_cmp_ngt_f16_e32 vcc, v33, v34
	s_and_b64 s[36:37], vcc, s[36:37]
	s_orn2_b64 s[40:41], s[36:37], exec
	s_and_b64 s[44:45], vcc, exec
; %bb.654:                              ;   in Loop: Header=BB1239_652 Depth=2
	s_or_b64 exec, exec, s[42:43]
	s_andn2_b64 s[30:31], s[30:31], exec
	s_and_b64 s[36:37], s[40:41], exec
	s_or_b64 s[30:31], s[30:31], s[36:37]
                                        ; implicit-def: $sgpr36_sgpr37
	s_and_saveexec_b64 s[42:43], s[44:45]
	s_cbranch_execz .LBB1239_651
; %bb.655:                              ;   in Loop: Header=BB1239_652 Depth=2
	s_add_u32 s34, s34, -1
	v_add_co_u32_e32 v8, vcc, 2, v8
	s_addc_u32 s35, s35, -1
	v_addc_co_u32_e32 v9, vcc, 0, v9, vcc
	s_cmp_eq_u64 s[34:35], 0
	v_add_co_u32_e32 v10, vcc, 2, v10
	s_cselect_b64 s[38:39], -1, 0
	v_addc_co_u32_e32 v11, vcc, 0, v11, vcc
	s_andn2_b64 s[30:31], s[30:31], exec
	s_and_b64 s[36:37], s[40:41], exec
	s_orn2_b64 s[38:39], s[38:39], exec
	s_branch .LBB1239_651
.LBB1239_656:
	s_or_b64 exec, exec, s[10:11]
.LBB1239_657:
	s_or_b64 exec, exec, s[8:9]
	v_add_u32_e32 v9, v24, v29
	v_add_u32_e32 v8, v27, v28
	v_sub_u32_e32 v9, v9, v27
	v_cmp_le_u32_e32 vcc, v8, v24
	v_cmp_le_u32_e64 s[8:9], v9, v25
	s_or_b64 s[8:9], vcc, s[8:9]
	s_and_saveexec_b64 s[22:23], s[8:9]
	s_cbranch_execz .LBB1239_701
; %bb.658:
	v_cmp_ge_u32_e32 vcc, v8, v24
	v_cmp_lt_u32_e64 s[8:9], v8, v24
                                        ; implicit-def: $vgpr0_vgpr1
	s_and_saveexec_b64 s[10:11], s[8:9]
	s_cbranch_execz .LBB1239_660
; %bb.659:
	v_lshl_add_u32 v0, v27, 3, v26
	ds_read_b64 v[0:1], v0
.LBB1239_660:
	s_or_b64 exec, exec, s[10:11]
	v_cmp_ge_u32_e64 s[8:9], v9, v25
	v_cmp_lt_u32_e64 s[10:11], v9, v25
                                        ; implicit-def: $vgpr2_vgpr3
	s_and_saveexec_b64 s[26:27], s[10:11]
	s_cbranch_execz .LBB1239_662
; %bb.661:
	v_lshl_add_u32 v2, v9, 3, v18
	ds_read_b64 v[2:3], v2
.LBB1239_662:
	s_or_b64 exec, exec, s[26:27]
	s_or_b64 s[10:11], vcc, s[8:9]
	s_or_b64 s[10:11], s[10:11], s[18:19]
	s_xor_b64 s[26:27], s[10:11], -1
	s_xor_b64 s[10:11], vcc, -1
	s_or_b64 s[8:9], s[8:9], s[10:11]
	s_and_saveexec_b64 s[10:11], s[26:27]
	s_cbranch_execz .LBB1239_670
; %bb.663:
	s_waitcnt lgkmcnt(0)
	v_mul_lo_u32 v6, v3, s12
	v_mul_lo_u32 v7, v2, s13
	v_mad_u64_u32 v[4:5], s[26:27], v2, s12, 0
	v_add3_u32 v5, v5, v7, v6
	v_lshlrev_b64 v[4:5], 1, v[4:5]
	v_mov_b32_e32 v6, s15
	v_add_co_u32_e32 v4, vcc, s14, v4
	v_addc_co_u32_e32 v5, vcc, v6, v5, vcc
	v_mul_lo_u32 v10, v1, s12
	v_mul_lo_u32 v11, v0, s13
	v_mad_u64_u32 v[6:7], s[26:27], v0, s12, 0
	v_add3_u32 v7, v7, v11, v10
	v_lshlrev_b64 v[6:7], 1, v[6:7]
	v_mov_b32_e32 v10, s15
	v_add_co_u32_e32 v6, vcc, s14, v6
	v_addc_co_u32_e32 v7, vcc, v10, v7, vcc
	s_mov_b64 s[26:27], 0
	s_mov_b64 s[34:35], s[12:13]
                                        ; implicit-def: $sgpr28_sgpr29
                                        ; implicit-def: $sgpr30_sgpr31
                                        ; implicit-def: $sgpr36_sgpr37
	s_branch .LBB1239_665
.LBB1239_664:                           ;   in Loop: Header=BB1239_665 Depth=1
	s_or_b64 exec, exec, s[40:41]
	s_and_b64 s[38:39], exec, s[42:43]
	s_or_b64 s[26:27], s[38:39], s[26:27]
	s_andn2_b64 s[28:29], s[28:29], exec
	s_and_b64 s[38:39], s[30:31], exec
	s_or_b64 s[28:29], s[28:29], s[38:39]
	s_andn2_b64 exec, exec, s[26:27]
	s_cbranch_execz .LBB1239_669
.LBB1239_665:                           ; =>This Inner Loop Header: Depth=1
	global_load_ushort v10, v[4:5], off
	global_load_ushort v11, v[6:7], off
	s_mov_b64 s[44:45], 0
	s_mov_b64 s[38:39], -1
	s_waitcnt vmcnt(0)
	v_cmp_nlt_f16_e32 vcc, v10, v11
	s_and_saveexec_b64 s[40:41], vcc
; %bb.666:                              ;   in Loop: Header=BB1239_665 Depth=1
	v_cmp_ngt_f16_e32 vcc, v10, v11
	s_and_b64 s[36:37], vcc, s[36:37]
	s_orn2_b64 s[38:39], s[36:37], exec
	s_and_b64 s[44:45], vcc, exec
; %bb.667:                              ;   in Loop: Header=BB1239_665 Depth=1
	s_or_b64 exec, exec, s[40:41]
	s_andn2_b64 s[30:31], s[30:31], exec
	s_and_b64 s[36:37], s[38:39], exec
	s_mov_b64 s[42:43], -1
	s_or_b64 s[30:31], s[30:31], s[36:37]
                                        ; implicit-def: $sgpr36_sgpr37
	s_and_saveexec_b64 s[40:41], s[44:45]
	s_cbranch_execz .LBB1239_664
; %bb.668:                              ;   in Loop: Header=BB1239_665 Depth=1
	s_add_u32 s34, s34, -1
	v_add_co_u32_e32 v4, vcc, 2, v4
	s_addc_u32 s35, s35, -1
	v_addc_co_u32_e32 v5, vcc, 0, v5, vcc
	s_cmp_eq_u64 s[34:35], 0
	v_add_co_u32_e32 v6, vcc, 2, v6
	s_cselect_b64 s[42:43], -1, 0
	v_addc_co_u32_e32 v7, vcc, 0, v7, vcc
	s_and_b64 s[36:37], s[38:39], exec
	s_andn2_b64 s[30:31], s[30:31], exec
	s_orn2_b64 s[42:43], s[42:43], exec
	s_branch .LBB1239_664
.LBB1239_669:
	s_or_b64 exec, exec, s[26:27]
	s_xor_b64 s[26:27], s[28:29], -1
	s_andn2_b64 s[8:9], s[8:9], exec
	s_and_b64 s[26:27], s[26:27], exec
	s_or_b64 s[8:9], s[8:9], s[26:27]
.LBB1239_670:
	s_or_b64 exec, exec, s[10:11]
	v_cndmask_b32_e64 v4, v9, v8, s[8:9]
	v_cndmask_b32_e64 v5, v25, v24, s[8:9]
	v_add_u32_e32 v6, 1, v4
	v_add_u32_e32 v4, -1, v5
	v_min_u32_e32 v4, v6, v4
	v_lshl_add_u32 v4, v4, 3, v18
	ds_read_b64 v[4:5], v4
	v_cndmask_b32_e64 v9, v6, v9, s[8:9]
	v_cndmask_b32_e64 v8, v8, v6, s[8:9]
	v_cmp_lt_u32_e32 vcc, v9, v25
	s_mov_b64 s[10:11], -1
	s_waitcnt lgkmcnt(0)
	v_cndmask_b32_e64 v10, v5, v3, s[8:9]
	v_cndmask_b32_e64 v11, v4, v2, s[8:9]
	;; [unrolled: 1-line block ×4, first 2 shown]
	s_mov_b64 s[26:27], -1
	s_and_saveexec_b64 s[28:29], vcc
	s_cbranch_execz .LBB1239_680
; %bb.671:
	v_cmp_lt_u32_e64 s[26:27], v8, v24
	s_and_b64 s[34:35], s[26:27], s[20:21]
	s_and_saveexec_b64 s[30:31], s[34:35]
	s_cbranch_execz .LBB1239_679
; %bb.672:
	v_mul_lo_u32 v6, v10, s12
	v_mul_lo_u32 v7, v11, s13
	v_mad_u64_u32 v[4:5], s[34:35], v11, s12, 0
	v_add3_u32 v5, v5, v7, v6
	v_lshlrev_b64 v[4:5], 1, v[4:5]
	v_mov_b32_e32 v6, s15
	v_add_co_u32_e32 v4, vcc, s14, v4
	v_addc_co_u32_e32 v5, vcc, v6, v5, vcc
	v_mul_lo_u32 v28, v26, s12
	v_mul_lo_u32 v29, v27, s13
	v_mad_u64_u32 v[6:7], s[34:35], v27, s12, 0
	v_add3_u32 v7, v7, v29, v28
	v_lshlrev_b64 v[6:7], 1, v[6:7]
	v_mov_b32_e32 v28, s15
	v_add_co_u32_e32 v6, vcc, s14, v6
	v_addc_co_u32_e32 v7, vcc, v28, v7, vcc
	s_mov_b64 s[34:35], 0
	s_mov_b64 s[40:41], s[12:13]
                                        ; implicit-def: $sgpr36_sgpr37
                                        ; implicit-def: $sgpr38_sgpr39
                                        ; implicit-def: $sgpr42_sgpr43
	s_branch .LBB1239_674
.LBB1239_673:                           ;   in Loop: Header=BB1239_674 Depth=1
	s_or_b64 exec, exec, s[46:47]
	s_and_b64 s[44:45], exec, s[48:49]
	s_or_b64 s[34:35], s[44:45], s[34:35]
	s_andn2_b64 s[36:37], s[36:37], exec
	s_and_b64 s[44:45], s[38:39], exec
	s_or_b64 s[36:37], s[36:37], s[44:45]
	s_andn2_b64 exec, exec, s[34:35]
	s_cbranch_execz .LBB1239_678
.LBB1239_674:                           ; =>This Inner Loop Header: Depth=1
	global_load_ushort v28, v[4:5], off
	global_load_ushort v29, v[6:7], off
	s_mov_b64 s[50:51], 0
	s_mov_b64 s[44:45], -1
	s_waitcnt vmcnt(0)
	v_cmp_nlt_f16_e32 vcc, v28, v29
	s_and_saveexec_b64 s[46:47], vcc
; %bb.675:                              ;   in Loop: Header=BB1239_674 Depth=1
	v_cmp_ngt_f16_e32 vcc, v28, v29
	s_and_b64 s[42:43], vcc, s[42:43]
	s_orn2_b64 s[44:45], s[42:43], exec
	s_and_b64 s[50:51], vcc, exec
; %bb.676:                              ;   in Loop: Header=BB1239_674 Depth=1
	s_or_b64 exec, exec, s[46:47]
	s_andn2_b64 s[38:39], s[38:39], exec
	s_and_b64 s[42:43], s[44:45], exec
	s_mov_b64 s[48:49], -1
	s_or_b64 s[38:39], s[38:39], s[42:43]
                                        ; implicit-def: $sgpr42_sgpr43
	s_and_saveexec_b64 s[46:47], s[50:51]
	s_cbranch_execz .LBB1239_673
; %bb.677:                              ;   in Loop: Header=BB1239_674 Depth=1
	s_add_u32 s40, s40, -1
	v_add_co_u32_e32 v4, vcc, 2, v4
	s_addc_u32 s41, s41, -1
	v_addc_co_u32_e32 v5, vcc, 0, v5, vcc
	s_cmp_eq_u64 s[40:41], 0
	v_add_co_u32_e32 v6, vcc, 2, v6
	s_cselect_b64 s[48:49], -1, 0
	v_addc_co_u32_e32 v7, vcc, 0, v7, vcc
	s_and_b64 s[42:43], s[44:45], exec
	s_andn2_b64 s[38:39], s[38:39], exec
	s_orn2_b64 s[48:49], s[48:49], exec
	s_branch .LBB1239_673
.LBB1239_678:
	s_or_b64 exec, exec, s[34:35]
	s_xor_b64 s[34:35], s[36:37], -1
	s_andn2_b64 s[26:27], s[26:27], exec
	s_and_b64 s[34:35], s[34:35], exec
	s_or_b64 s[26:27], s[26:27], s[34:35]
.LBB1239_679:
	s_or_b64 exec, exec, s[30:31]
	s_orn2_b64 s[26:27], s[26:27], exec
.LBB1239_680:
	s_or_b64 exec, exec, s[28:29]
	v_cndmask_b32_e64 v4, v9, v8, s[26:27]
	v_cndmask_b32_e64 v5, v25, v24, s[26:27]
	v_add_u32_e32 v6, 1, v4
	v_add_u32_e32 v4, -1, v5
	v_min_u32_e32 v4, v6, v4
	v_lshl_add_u32 v4, v4, 3, v18
	ds_read_b64 v[4:5], v4
	v_cndmask_b32_e64 v9, v6, v9, s[26:27]
	v_cndmask_b32_e64 v8, v8, v6, s[26:27]
	v_cmp_lt_u32_e32 vcc, v9, v25
	s_waitcnt lgkmcnt(0)
	v_cndmask_b32_e64 v28, v5, v10, s[26:27]
	v_cndmask_b32_e64 v29, v4, v11, s[26:27]
	;; [unrolled: 1-line block ×4, first 2 shown]
	s_and_saveexec_b64 s[28:29], vcc
	s_cbranch_execz .LBB1239_690
; %bb.681:
	v_cmp_lt_u32_e64 s[10:11], v8, v24
	s_and_b64 s[34:35], s[10:11], s[20:21]
	s_and_saveexec_b64 s[30:31], s[34:35]
	s_cbranch_execz .LBB1239_689
; %bb.682:
	v_mul_lo_u32 v6, v28, s12
	v_mul_lo_u32 v7, v29, s13
	v_mad_u64_u32 v[4:5], s[34:35], v29, s12, 0
	v_add3_u32 v5, v5, v7, v6
	v_lshlrev_b64 v[4:5], 1, v[4:5]
	v_mov_b32_e32 v6, s15
	v_add_co_u32_e32 v4, vcc, s14, v4
	v_addc_co_u32_e32 v5, vcc, v6, v5, vcc
	v_mul_lo_u32 v32, v30, s12
	v_mul_lo_u32 v33, v31, s13
	v_mad_u64_u32 v[6:7], s[34:35], v31, s12, 0
	v_add3_u32 v7, v7, v33, v32
	v_lshlrev_b64 v[6:7], 1, v[6:7]
	v_mov_b32_e32 v32, s15
	v_add_co_u32_e32 v6, vcc, s14, v6
	v_addc_co_u32_e32 v7, vcc, v32, v7, vcc
	s_mov_b64 s[34:35], 0
	s_mov_b64 s[40:41], s[12:13]
                                        ; implicit-def: $sgpr36_sgpr37
                                        ; implicit-def: $sgpr38_sgpr39
                                        ; implicit-def: $sgpr42_sgpr43
	s_branch .LBB1239_684
.LBB1239_683:                           ;   in Loop: Header=BB1239_684 Depth=1
	s_or_b64 exec, exec, s[46:47]
	s_and_b64 s[44:45], exec, s[48:49]
	s_or_b64 s[34:35], s[44:45], s[34:35]
	s_andn2_b64 s[36:37], s[36:37], exec
	s_and_b64 s[44:45], s[38:39], exec
	s_or_b64 s[36:37], s[36:37], s[44:45]
	s_andn2_b64 exec, exec, s[34:35]
	s_cbranch_execz .LBB1239_688
.LBB1239_684:                           ; =>This Inner Loop Header: Depth=1
	global_load_ushort v32, v[4:5], off
	global_load_ushort v33, v[6:7], off
	s_mov_b64 s[50:51], 0
	s_mov_b64 s[44:45], -1
	s_waitcnt vmcnt(0)
	v_cmp_nlt_f16_e32 vcc, v32, v33
	s_and_saveexec_b64 s[46:47], vcc
; %bb.685:                              ;   in Loop: Header=BB1239_684 Depth=1
	v_cmp_ngt_f16_e32 vcc, v32, v33
	s_and_b64 s[42:43], vcc, s[42:43]
	s_orn2_b64 s[44:45], s[42:43], exec
	s_and_b64 s[50:51], vcc, exec
; %bb.686:                              ;   in Loop: Header=BB1239_684 Depth=1
	s_or_b64 exec, exec, s[46:47]
	s_andn2_b64 s[38:39], s[38:39], exec
	s_and_b64 s[42:43], s[44:45], exec
	s_mov_b64 s[48:49], -1
	s_or_b64 s[38:39], s[38:39], s[42:43]
                                        ; implicit-def: $sgpr42_sgpr43
	s_and_saveexec_b64 s[46:47], s[50:51]
	s_cbranch_execz .LBB1239_683
; %bb.687:                              ;   in Loop: Header=BB1239_684 Depth=1
	s_add_u32 s40, s40, -1
	v_add_co_u32_e32 v4, vcc, 2, v4
	s_addc_u32 s41, s41, -1
	v_addc_co_u32_e32 v5, vcc, 0, v5, vcc
	s_cmp_eq_u64 s[40:41], 0
	v_add_co_u32_e32 v6, vcc, 2, v6
	s_cselect_b64 s[48:49], -1, 0
	v_addc_co_u32_e32 v7, vcc, 0, v7, vcc
	s_and_b64 s[42:43], s[44:45], exec
	s_andn2_b64 s[38:39], s[38:39], exec
	s_orn2_b64 s[48:49], s[48:49], exec
	s_branch .LBB1239_683
.LBB1239_688:
	s_or_b64 exec, exec, s[34:35]
	s_xor_b64 s[34:35], s[36:37], -1
	s_andn2_b64 s[10:11], s[10:11], exec
	s_and_b64 s[34:35], s[34:35], exec
	s_or_b64 s[10:11], s[10:11], s[34:35]
.LBB1239_689:
	s_or_b64 exec, exec, s[30:31]
	s_orn2_b64 s[10:11], s[10:11], exec
.LBB1239_690:
	s_or_b64 exec, exec, s[28:29]
	v_cndmask_b32_e64 v4, v9, v8, s[10:11]
	v_cndmask_b32_e64 v5, v25, v24, s[10:11]
	v_add_u32_e32 v33, 1, v4
	v_add_u32_e32 v4, -1, v5
	v_min_u32_e32 v4, v33, v4
	v_lshl_add_u32 v4, v4, 3, v18
	ds_read_b64 v[4:5], v4
	v_cndmask_b32_e64 v9, v33, v9, s[10:11]
	v_cmp_lt_u32_e32 vcc, v9, v25
	s_waitcnt lgkmcnt(0)
	v_cndmask_b32_e64 v7, v30, v5, s[10:11]
	v_cndmask_b32_e64 v6, v31, v4, s[10:11]
	s_and_saveexec_b64 s[28:29], vcc
	s_cbranch_execz .LBB1239_700
; %bb.691:
	v_cndmask_b32_e64 v32, v4, v29, s[10:11]
	v_cndmask_b32_e64 v4, v8, v33, s[10:11]
	v_cmp_ge_u32_e32 vcc, v4, v24
	v_cndmask_b32_e64 v25, v5, v28, s[10:11]
	s_or_b64 s[30:31], vcc, s[18:19]
	v_cndmask_b32_e32 v5, v7, v25, vcc
	s_xor_b64 s[34:35], s[30:31], -1
	v_cndmask_b32_e32 v4, v6, v32, vcc
	s_and_saveexec_b64 s[30:31], s[34:35]
	s_cbranch_execz .LBB1239_699
; %bb.692:
	v_mul_lo_u32 v8, v25, s12
	v_mul_lo_u32 v9, v32, s13
	v_mad_u64_u32 v[4:5], s[34:35], v32, s12, 0
	v_add3_u32 v5, v5, v9, v8
	v_lshlrev_b64 v[4:5], 1, v[4:5]
	v_mov_b32_e32 v8, s15
	v_add_co_u32_e32 v4, vcc, s14, v4
	v_addc_co_u32_e32 v5, vcc, v8, v5, vcc
	v_mul_lo_u32 v24, v7, s12
	v_mul_lo_u32 v33, v6, s13
	v_mad_u64_u32 v[8:9], s[34:35], v6, s12, 0
	v_add3_u32 v9, v9, v33, v24
	v_lshlrev_b64 v[8:9], 1, v[8:9]
	v_mov_b32_e32 v24, s15
	v_add_co_u32_e32 v8, vcc, s14, v8
	v_addc_co_u32_e32 v9, vcc, v24, v9, vcc
	s_mov_b64 s[34:35], 0
	s_mov_b64 s[40:41], s[12:13]
                                        ; implicit-def: $sgpr36_sgpr37
                                        ; implicit-def: $sgpr38_sgpr39
                                        ; implicit-def: $sgpr42_sgpr43
	s_branch .LBB1239_694
.LBB1239_693:                           ;   in Loop: Header=BB1239_694 Depth=1
	s_or_b64 exec, exec, s[46:47]
	s_and_b64 s[44:45], exec, s[48:49]
	s_or_b64 s[34:35], s[44:45], s[34:35]
	s_andn2_b64 s[36:37], s[36:37], exec
	s_and_b64 s[44:45], s[38:39], exec
	s_or_b64 s[36:37], s[36:37], s[44:45]
	s_andn2_b64 exec, exec, s[34:35]
	s_cbranch_execz .LBB1239_698
.LBB1239_694:                           ; =>This Inner Loop Header: Depth=1
	global_load_ushort v24, v[4:5], off
	global_load_ushort v33, v[8:9], off
	s_mov_b64 s[50:51], 0
	s_mov_b64 s[44:45], -1
	s_waitcnt vmcnt(0)
	v_cmp_nlt_f16_e32 vcc, v24, v33
	s_and_saveexec_b64 s[46:47], vcc
; %bb.695:                              ;   in Loop: Header=BB1239_694 Depth=1
	v_cmp_ngt_f16_e32 vcc, v24, v33
	s_and_b64 s[42:43], vcc, s[42:43]
	s_orn2_b64 s[44:45], s[42:43], exec
	s_and_b64 s[50:51], vcc, exec
; %bb.696:                              ;   in Loop: Header=BB1239_694 Depth=1
	s_or_b64 exec, exec, s[46:47]
	s_andn2_b64 s[38:39], s[38:39], exec
	s_and_b64 s[42:43], s[44:45], exec
	s_mov_b64 s[48:49], -1
	s_or_b64 s[38:39], s[38:39], s[42:43]
                                        ; implicit-def: $sgpr42_sgpr43
	s_and_saveexec_b64 s[46:47], s[50:51]
	s_cbranch_execz .LBB1239_693
; %bb.697:                              ;   in Loop: Header=BB1239_694 Depth=1
	s_add_u32 s40, s40, -1
	v_add_co_u32_e32 v4, vcc, 2, v4
	s_addc_u32 s41, s41, -1
	v_addc_co_u32_e32 v5, vcc, 0, v5, vcc
	s_cmp_eq_u64 s[40:41], 0
	v_add_co_u32_e32 v8, vcc, 2, v8
	s_cselect_b64 s[48:49], -1, 0
	v_addc_co_u32_e32 v9, vcc, 0, v9, vcc
	s_and_b64 s[42:43], s[44:45], exec
	s_andn2_b64 s[38:39], s[38:39], exec
	s_orn2_b64 s[48:49], s[48:49], exec
	s_branch .LBB1239_693
.LBB1239_698:
	s_or_b64 exec, exec, s[34:35]
	v_cndmask_b32_e64 v5, v7, v25, s[36:37]
	v_cndmask_b32_e64 v4, v6, v32, s[36:37]
.LBB1239_699:
	s_or_b64 exec, exec, s[30:31]
	v_pk_mov_b32 v[6:7], v[4:5], v[4:5] op_sel:[0,1]
.LBB1239_700:
	s_or_b64 exec, exec, s[28:29]
	v_cndmask_b32_e64 v1, v3, v1, s[8:9]
	v_cndmask_b32_e64 v0, v2, v0, s[8:9]
	;; [unrolled: 1-line block ×6, first 2 shown]
.LBB1239_701:
	s_or_b64 exec, exec, s[22:23]
	v_and_b32_e32 v28, 0x1e0, v20
	v_or_b32_e32 v8, 16, v28
	v_min_u32_e32 v24, v19, v8
	v_add_u32_e32 v8, 16, v24
	v_min_u32_e32 v25, v19, v8
	v_and_b32_e32 v8, 28, v20
	v_min_u32_e32 v29, v19, v8
	v_sub_u32_e32 v8, v24, v28
	v_sub_u32_e32 v9, v25, v24
	v_sub_u32_e64 v27, v29, v9 clamp
	v_min_u32_e32 v30, v29, v8
	v_lshl_add_u32 v26, v28, 3, v18
	v_cmp_lt_u32_e32 vcc, v27, v30
	; wave barrier
	ds_write_b128 v21, v[0:3]
	ds_write_b128 v21, v[4:7] offset:16
	; wave barrier
	s_and_saveexec_b64 s[8:9], vcc
	s_cbranch_execz .LBB1239_713
; %bb.702:
	v_lshlrev_b32_e32 v8, 3, v24
	v_lshlrev_b32_e32 v9, 3, v29
	v_add3_u32 v31, v18, v8, v9
	s_lshl_b64 s[22:23], s[12:13], 1
	s_mov_b64 s[10:11], 0
	s_branch .LBB1239_705
.LBB1239_703:                           ;   in Loop: Header=BB1239_705 Depth=1
	s_or_b64 exec, exec, s[28:29]
.LBB1239_704:                           ;   in Loop: Header=BB1239_705 Depth=1
	v_add_u32_e32 v8, 1, v32
	v_cndmask_b32_e64 v30, v30, v32, s[26:27]
	v_cndmask_b32_e64 v27, v8, v27, s[26:27]
	v_cmp_ge_u32_e32 vcc, v27, v30
	s_or_b64 s[10:11], vcc, s[10:11]
	s_andn2_b64 exec, exec, s[10:11]
	s_cbranch_execz .LBB1239_712
.LBB1239_705:                           ; =>This Loop Header: Depth=1
                                        ;     Child Loop BB1239_708 Depth 2
	v_add_u32_e32 v8, v30, v27
	v_lshrrev_b32_e32 v32, 1, v8
	s_and_b64 vcc, exec, s[6:7]
	s_mov_b64 s[26:27], 0
	s_cbranch_vccnz .LBB1239_704
; %bb.706:                              ;   in Loop: Header=BB1239_705 Depth=1
	v_not_b32_e32 v8, v32
	v_lshl_add_u32 v8, v8, 3, v31
	ds_read_b64 v[8:9], v8
	v_lshl_add_u32 v33, v32, 3, v26
	ds_read_b64 v[34:35], v33
	v_pk_mov_b32 v[10:11], s[14:15], s[14:15] op_sel:[0,1]
	s_mov_b64 s[28:29], 0
	s_waitcnt lgkmcnt(1)
	v_mul_lo_u32 v33, s22, v9
	v_mul_lo_u32 v36, s23, v8
	v_mad_u64_u32 v[8:9], s[26:27], s22, v8, v[10:11]
	v_add3_u32 v9, v36, v9, v33
	s_waitcnt lgkmcnt(0)
	v_mul_lo_u32 v33, s22, v35
	v_mul_lo_u32 v35, s23, v34
	v_mad_u64_u32 v[10:11], s[26:27], s22, v34, v[10:11]
	v_add3_u32 v11, v35, v11, v33
	s_mov_b64 s[34:35], s[12:13]
                                        ; implicit-def: $sgpr26_sgpr27
                                        ; implicit-def: $sgpr30_sgpr31
                                        ; implicit-def: $sgpr36_sgpr37
	s_branch .LBB1239_708
.LBB1239_707:                           ;   in Loop: Header=BB1239_708 Depth=2
	s_or_b64 exec, exec, s[42:43]
	s_and_b64 s[38:39], exec, s[38:39]
	s_or_b64 s[28:29], s[38:39], s[28:29]
	s_andn2_b64 s[26:27], s[26:27], exec
	s_and_b64 s[38:39], s[30:31], exec
	s_or_b64 s[26:27], s[26:27], s[38:39]
	s_andn2_b64 exec, exec, s[28:29]
	s_cbranch_execz .LBB1239_703
.LBB1239_708:                           ;   Parent Loop BB1239_705 Depth=1
                                        ; =>  This Inner Loop Header: Depth=2
	global_load_ushort v33, v[8:9], off
	global_load_ushort v34, v[10:11], off
	s_mov_b64 s[38:39], -1
	s_mov_b64 s[44:45], 0
	s_mov_b64 s[40:41], -1
	s_waitcnt vmcnt(0)
	v_cmp_nlt_f16_e32 vcc, v33, v34
	s_and_saveexec_b64 s[42:43], vcc
; %bb.709:                              ;   in Loop: Header=BB1239_708 Depth=2
	v_cmp_ngt_f16_e32 vcc, v33, v34
	s_and_b64 s[36:37], vcc, s[36:37]
	s_orn2_b64 s[40:41], s[36:37], exec
	s_and_b64 s[44:45], vcc, exec
; %bb.710:                              ;   in Loop: Header=BB1239_708 Depth=2
	s_or_b64 exec, exec, s[42:43]
	s_andn2_b64 s[30:31], s[30:31], exec
	s_and_b64 s[36:37], s[40:41], exec
	s_or_b64 s[30:31], s[30:31], s[36:37]
                                        ; implicit-def: $sgpr36_sgpr37
	s_and_saveexec_b64 s[42:43], s[44:45]
	s_cbranch_execz .LBB1239_707
; %bb.711:                              ;   in Loop: Header=BB1239_708 Depth=2
	s_add_u32 s34, s34, -1
	v_add_co_u32_e32 v8, vcc, 2, v8
	s_addc_u32 s35, s35, -1
	v_addc_co_u32_e32 v9, vcc, 0, v9, vcc
	s_cmp_eq_u64 s[34:35], 0
	v_add_co_u32_e32 v10, vcc, 2, v10
	s_cselect_b64 s[38:39], -1, 0
	v_addc_co_u32_e32 v11, vcc, 0, v11, vcc
	s_andn2_b64 s[30:31], s[30:31], exec
	s_and_b64 s[36:37], s[40:41], exec
	s_orn2_b64 s[38:39], s[38:39], exec
	s_branch .LBB1239_707
.LBB1239_712:
	s_or_b64 exec, exec, s[10:11]
.LBB1239_713:
	s_or_b64 exec, exec, s[8:9]
	v_add_u32_e32 v9, v24, v29
	v_add_u32_e32 v8, v27, v28
	v_sub_u32_e32 v9, v9, v27
	v_cmp_le_u32_e32 vcc, v8, v24
	v_cmp_le_u32_e64 s[8:9], v9, v25
	s_or_b64 s[8:9], vcc, s[8:9]
	s_and_saveexec_b64 s[22:23], s[8:9]
	s_cbranch_execz .LBB1239_757
; %bb.714:
	v_cmp_ge_u32_e32 vcc, v8, v24
	v_cmp_lt_u32_e64 s[8:9], v8, v24
                                        ; implicit-def: $vgpr0_vgpr1
	s_and_saveexec_b64 s[10:11], s[8:9]
	s_cbranch_execz .LBB1239_716
; %bb.715:
	v_lshl_add_u32 v0, v27, 3, v26
	ds_read_b64 v[0:1], v0
.LBB1239_716:
	s_or_b64 exec, exec, s[10:11]
	v_cmp_ge_u32_e64 s[8:9], v9, v25
	v_cmp_lt_u32_e64 s[10:11], v9, v25
                                        ; implicit-def: $vgpr2_vgpr3
	s_and_saveexec_b64 s[26:27], s[10:11]
	s_cbranch_execz .LBB1239_718
; %bb.717:
	v_lshl_add_u32 v2, v9, 3, v18
	ds_read_b64 v[2:3], v2
.LBB1239_718:
	s_or_b64 exec, exec, s[26:27]
	s_or_b64 s[10:11], vcc, s[8:9]
	s_or_b64 s[10:11], s[10:11], s[18:19]
	s_xor_b64 s[26:27], s[10:11], -1
	s_xor_b64 s[10:11], vcc, -1
	s_or_b64 s[8:9], s[8:9], s[10:11]
	s_and_saveexec_b64 s[10:11], s[26:27]
	s_cbranch_execz .LBB1239_726
; %bb.719:
	s_waitcnt lgkmcnt(0)
	v_mul_lo_u32 v6, v3, s12
	v_mul_lo_u32 v7, v2, s13
	v_mad_u64_u32 v[4:5], s[26:27], v2, s12, 0
	v_add3_u32 v5, v5, v7, v6
	v_lshlrev_b64 v[4:5], 1, v[4:5]
	v_mov_b32_e32 v6, s15
	v_add_co_u32_e32 v4, vcc, s14, v4
	v_addc_co_u32_e32 v5, vcc, v6, v5, vcc
	v_mul_lo_u32 v10, v1, s12
	v_mul_lo_u32 v11, v0, s13
	v_mad_u64_u32 v[6:7], s[26:27], v0, s12, 0
	v_add3_u32 v7, v7, v11, v10
	v_lshlrev_b64 v[6:7], 1, v[6:7]
	v_mov_b32_e32 v10, s15
	v_add_co_u32_e32 v6, vcc, s14, v6
	v_addc_co_u32_e32 v7, vcc, v10, v7, vcc
	s_mov_b64 s[26:27], 0
	s_mov_b64 s[34:35], s[12:13]
                                        ; implicit-def: $sgpr28_sgpr29
                                        ; implicit-def: $sgpr30_sgpr31
                                        ; implicit-def: $sgpr36_sgpr37
	s_branch .LBB1239_721
.LBB1239_720:                           ;   in Loop: Header=BB1239_721 Depth=1
	s_or_b64 exec, exec, s[40:41]
	s_and_b64 s[38:39], exec, s[42:43]
	s_or_b64 s[26:27], s[38:39], s[26:27]
	s_andn2_b64 s[28:29], s[28:29], exec
	s_and_b64 s[38:39], s[30:31], exec
	s_or_b64 s[28:29], s[28:29], s[38:39]
	s_andn2_b64 exec, exec, s[26:27]
	s_cbranch_execz .LBB1239_725
.LBB1239_721:                           ; =>This Inner Loop Header: Depth=1
	global_load_ushort v10, v[4:5], off
	global_load_ushort v11, v[6:7], off
	s_mov_b64 s[44:45], 0
	s_mov_b64 s[38:39], -1
	s_waitcnt vmcnt(0)
	v_cmp_nlt_f16_e32 vcc, v10, v11
	s_and_saveexec_b64 s[40:41], vcc
; %bb.722:                              ;   in Loop: Header=BB1239_721 Depth=1
	v_cmp_ngt_f16_e32 vcc, v10, v11
	s_and_b64 s[36:37], vcc, s[36:37]
	s_orn2_b64 s[38:39], s[36:37], exec
	s_and_b64 s[44:45], vcc, exec
; %bb.723:                              ;   in Loop: Header=BB1239_721 Depth=1
	s_or_b64 exec, exec, s[40:41]
	s_andn2_b64 s[30:31], s[30:31], exec
	s_and_b64 s[36:37], s[38:39], exec
	s_mov_b64 s[42:43], -1
	s_or_b64 s[30:31], s[30:31], s[36:37]
                                        ; implicit-def: $sgpr36_sgpr37
	s_and_saveexec_b64 s[40:41], s[44:45]
	s_cbranch_execz .LBB1239_720
; %bb.724:                              ;   in Loop: Header=BB1239_721 Depth=1
	s_add_u32 s34, s34, -1
	v_add_co_u32_e32 v4, vcc, 2, v4
	s_addc_u32 s35, s35, -1
	v_addc_co_u32_e32 v5, vcc, 0, v5, vcc
	s_cmp_eq_u64 s[34:35], 0
	v_add_co_u32_e32 v6, vcc, 2, v6
	s_cselect_b64 s[42:43], -1, 0
	v_addc_co_u32_e32 v7, vcc, 0, v7, vcc
	s_and_b64 s[36:37], s[38:39], exec
	s_andn2_b64 s[30:31], s[30:31], exec
	s_orn2_b64 s[42:43], s[42:43], exec
	s_branch .LBB1239_720
.LBB1239_725:
	s_or_b64 exec, exec, s[26:27]
	s_xor_b64 s[26:27], s[28:29], -1
	s_andn2_b64 s[8:9], s[8:9], exec
	s_and_b64 s[26:27], s[26:27], exec
	s_or_b64 s[8:9], s[8:9], s[26:27]
.LBB1239_726:
	s_or_b64 exec, exec, s[10:11]
	v_cndmask_b32_e64 v4, v9, v8, s[8:9]
	v_cndmask_b32_e64 v5, v25, v24, s[8:9]
	v_add_u32_e32 v6, 1, v4
	v_add_u32_e32 v4, -1, v5
	v_min_u32_e32 v4, v6, v4
	v_lshl_add_u32 v4, v4, 3, v18
	ds_read_b64 v[4:5], v4
	v_cndmask_b32_e64 v9, v6, v9, s[8:9]
	v_cndmask_b32_e64 v8, v8, v6, s[8:9]
	v_cmp_lt_u32_e32 vcc, v9, v25
	s_mov_b64 s[10:11], -1
	s_waitcnt lgkmcnt(0)
	v_cndmask_b32_e64 v10, v5, v3, s[8:9]
	v_cndmask_b32_e64 v11, v4, v2, s[8:9]
	;; [unrolled: 1-line block ×4, first 2 shown]
	s_mov_b64 s[26:27], -1
	s_and_saveexec_b64 s[28:29], vcc
	s_cbranch_execz .LBB1239_736
; %bb.727:
	v_cmp_lt_u32_e64 s[26:27], v8, v24
	s_and_b64 s[34:35], s[26:27], s[20:21]
	s_and_saveexec_b64 s[30:31], s[34:35]
	s_cbranch_execz .LBB1239_735
; %bb.728:
	v_mul_lo_u32 v6, v10, s12
	v_mul_lo_u32 v7, v11, s13
	v_mad_u64_u32 v[4:5], s[34:35], v11, s12, 0
	v_add3_u32 v5, v5, v7, v6
	v_lshlrev_b64 v[4:5], 1, v[4:5]
	v_mov_b32_e32 v6, s15
	v_add_co_u32_e32 v4, vcc, s14, v4
	v_addc_co_u32_e32 v5, vcc, v6, v5, vcc
	v_mul_lo_u32 v28, v26, s12
	v_mul_lo_u32 v29, v27, s13
	v_mad_u64_u32 v[6:7], s[34:35], v27, s12, 0
	v_add3_u32 v7, v7, v29, v28
	v_lshlrev_b64 v[6:7], 1, v[6:7]
	v_mov_b32_e32 v28, s15
	v_add_co_u32_e32 v6, vcc, s14, v6
	v_addc_co_u32_e32 v7, vcc, v28, v7, vcc
	s_mov_b64 s[34:35], 0
	s_mov_b64 s[40:41], s[12:13]
                                        ; implicit-def: $sgpr36_sgpr37
                                        ; implicit-def: $sgpr38_sgpr39
                                        ; implicit-def: $sgpr42_sgpr43
	s_branch .LBB1239_730
.LBB1239_729:                           ;   in Loop: Header=BB1239_730 Depth=1
	s_or_b64 exec, exec, s[46:47]
	s_and_b64 s[44:45], exec, s[48:49]
	s_or_b64 s[34:35], s[44:45], s[34:35]
	s_andn2_b64 s[36:37], s[36:37], exec
	s_and_b64 s[44:45], s[38:39], exec
	s_or_b64 s[36:37], s[36:37], s[44:45]
	s_andn2_b64 exec, exec, s[34:35]
	s_cbranch_execz .LBB1239_734
.LBB1239_730:                           ; =>This Inner Loop Header: Depth=1
	global_load_ushort v28, v[4:5], off
	global_load_ushort v29, v[6:7], off
	s_mov_b64 s[50:51], 0
	s_mov_b64 s[44:45], -1
	s_waitcnt vmcnt(0)
	v_cmp_nlt_f16_e32 vcc, v28, v29
	s_and_saveexec_b64 s[46:47], vcc
; %bb.731:                              ;   in Loop: Header=BB1239_730 Depth=1
	v_cmp_ngt_f16_e32 vcc, v28, v29
	s_and_b64 s[42:43], vcc, s[42:43]
	s_orn2_b64 s[44:45], s[42:43], exec
	s_and_b64 s[50:51], vcc, exec
; %bb.732:                              ;   in Loop: Header=BB1239_730 Depth=1
	s_or_b64 exec, exec, s[46:47]
	s_andn2_b64 s[38:39], s[38:39], exec
	s_and_b64 s[42:43], s[44:45], exec
	s_mov_b64 s[48:49], -1
	s_or_b64 s[38:39], s[38:39], s[42:43]
                                        ; implicit-def: $sgpr42_sgpr43
	s_and_saveexec_b64 s[46:47], s[50:51]
	s_cbranch_execz .LBB1239_729
; %bb.733:                              ;   in Loop: Header=BB1239_730 Depth=1
	s_add_u32 s40, s40, -1
	v_add_co_u32_e32 v4, vcc, 2, v4
	s_addc_u32 s41, s41, -1
	v_addc_co_u32_e32 v5, vcc, 0, v5, vcc
	s_cmp_eq_u64 s[40:41], 0
	v_add_co_u32_e32 v6, vcc, 2, v6
	s_cselect_b64 s[48:49], -1, 0
	v_addc_co_u32_e32 v7, vcc, 0, v7, vcc
	s_and_b64 s[42:43], s[44:45], exec
	s_andn2_b64 s[38:39], s[38:39], exec
	s_orn2_b64 s[48:49], s[48:49], exec
	s_branch .LBB1239_729
.LBB1239_734:
	s_or_b64 exec, exec, s[34:35]
	s_xor_b64 s[34:35], s[36:37], -1
	s_andn2_b64 s[26:27], s[26:27], exec
	s_and_b64 s[34:35], s[34:35], exec
	s_or_b64 s[26:27], s[26:27], s[34:35]
.LBB1239_735:
	s_or_b64 exec, exec, s[30:31]
	s_orn2_b64 s[26:27], s[26:27], exec
.LBB1239_736:
	s_or_b64 exec, exec, s[28:29]
	v_cndmask_b32_e64 v4, v9, v8, s[26:27]
	v_cndmask_b32_e64 v5, v25, v24, s[26:27]
	v_add_u32_e32 v6, 1, v4
	v_add_u32_e32 v4, -1, v5
	v_min_u32_e32 v4, v6, v4
	v_lshl_add_u32 v4, v4, 3, v18
	ds_read_b64 v[4:5], v4
	v_cndmask_b32_e64 v9, v6, v9, s[26:27]
	v_cndmask_b32_e64 v8, v8, v6, s[26:27]
	v_cmp_lt_u32_e32 vcc, v9, v25
	s_waitcnt lgkmcnt(0)
	v_cndmask_b32_e64 v28, v5, v10, s[26:27]
	v_cndmask_b32_e64 v29, v4, v11, s[26:27]
	;; [unrolled: 1-line block ×4, first 2 shown]
	s_and_saveexec_b64 s[28:29], vcc
	s_cbranch_execz .LBB1239_746
; %bb.737:
	v_cmp_lt_u32_e64 s[10:11], v8, v24
	s_and_b64 s[34:35], s[10:11], s[20:21]
	s_and_saveexec_b64 s[30:31], s[34:35]
	s_cbranch_execz .LBB1239_745
; %bb.738:
	v_mul_lo_u32 v6, v28, s12
	v_mul_lo_u32 v7, v29, s13
	v_mad_u64_u32 v[4:5], s[34:35], v29, s12, 0
	v_add3_u32 v5, v5, v7, v6
	v_lshlrev_b64 v[4:5], 1, v[4:5]
	v_mov_b32_e32 v6, s15
	v_add_co_u32_e32 v4, vcc, s14, v4
	v_addc_co_u32_e32 v5, vcc, v6, v5, vcc
	v_mul_lo_u32 v32, v30, s12
	v_mul_lo_u32 v33, v31, s13
	v_mad_u64_u32 v[6:7], s[34:35], v31, s12, 0
	v_add3_u32 v7, v7, v33, v32
	v_lshlrev_b64 v[6:7], 1, v[6:7]
	v_mov_b32_e32 v32, s15
	v_add_co_u32_e32 v6, vcc, s14, v6
	v_addc_co_u32_e32 v7, vcc, v32, v7, vcc
	s_mov_b64 s[34:35], 0
	s_mov_b64 s[40:41], s[12:13]
                                        ; implicit-def: $sgpr36_sgpr37
                                        ; implicit-def: $sgpr38_sgpr39
                                        ; implicit-def: $sgpr42_sgpr43
	s_branch .LBB1239_740
.LBB1239_739:                           ;   in Loop: Header=BB1239_740 Depth=1
	s_or_b64 exec, exec, s[46:47]
	s_and_b64 s[44:45], exec, s[48:49]
	s_or_b64 s[34:35], s[44:45], s[34:35]
	s_andn2_b64 s[36:37], s[36:37], exec
	s_and_b64 s[44:45], s[38:39], exec
	s_or_b64 s[36:37], s[36:37], s[44:45]
	s_andn2_b64 exec, exec, s[34:35]
	s_cbranch_execz .LBB1239_744
.LBB1239_740:                           ; =>This Inner Loop Header: Depth=1
	global_load_ushort v32, v[4:5], off
	global_load_ushort v33, v[6:7], off
	s_mov_b64 s[50:51], 0
	s_mov_b64 s[44:45], -1
	s_waitcnt vmcnt(0)
	v_cmp_nlt_f16_e32 vcc, v32, v33
	s_and_saveexec_b64 s[46:47], vcc
; %bb.741:                              ;   in Loop: Header=BB1239_740 Depth=1
	v_cmp_ngt_f16_e32 vcc, v32, v33
	s_and_b64 s[42:43], vcc, s[42:43]
	s_orn2_b64 s[44:45], s[42:43], exec
	s_and_b64 s[50:51], vcc, exec
; %bb.742:                              ;   in Loop: Header=BB1239_740 Depth=1
	s_or_b64 exec, exec, s[46:47]
	s_andn2_b64 s[38:39], s[38:39], exec
	s_and_b64 s[42:43], s[44:45], exec
	s_mov_b64 s[48:49], -1
	s_or_b64 s[38:39], s[38:39], s[42:43]
                                        ; implicit-def: $sgpr42_sgpr43
	s_and_saveexec_b64 s[46:47], s[50:51]
	s_cbranch_execz .LBB1239_739
; %bb.743:                              ;   in Loop: Header=BB1239_740 Depth=1
	s_add_u32 s40, s40, -1
	v_add_co_u32_e32 v4, vcc, 2, v4
	s_addc_u32 s41, s41, -1
	v_addc_co_u32_e32 v5, vcc, 0, v5, vcc
	s_cmp_eq_u64 s[40:41], 0
	v_add_co_u32_e32 v6, vcc, 2, v6
	s_cselect_b64 s[48:49], -1, 0
	v_addc_co_u32_e32 v7, vcc, 0, v7, vcc
	s_and_b64 s[42:43], s[44:45], exec
	s_andn2_b64 s[38:39], s[38:39], exec
	s_orn2_b64 s[48:49], s[48:49], exec
	s_branch .LBB1239_739
.LBB1239_744:
	s_or_b64 exec, exec, s[34:35]
	s_xor_b64 s[34:35], s[36:37], -1
	s_andn2_b64 s[10:11], s[10:11], exec
	s_and_b64 s[34:35], s[34:35], exec
	s_or_b64 s[10:11], s[10:11], s[34:35]
.LBB1239_745:
	s_or_b64 exec, exec, s[30:31]
	s_orn2_b64 s[10:11], s[10:11], exec
.LBB1239_746:
	s_or_b64 exec, exec, s[28:29]
	v_cndmask_b32_e64 v4, v9, v8, s[10:11]
	v_cndmask_b32_e64 v5, v25, v24, s[10:11]
	v_add_u32_e32 v33, 1, v4
	v_add_u32_e32 v4, -1, v5
	v_min_u32_e32 v4, v33, v4
	v_lshl_add_u32 v4, v4, 3, v18
	ds_read_b64 v[4:5], v4
	v_cndmask_b32_e64 v9, v33, v9, s[10:11]
	v_cmp_lt_u32_e32 vcc, v9, v25
	s_waitcnt lgkmcnt(0)
	v_cndmask_b32_e64 v7, v30, v5, s[10:11]
	v_cndmask_b32_e64 v6, v31, v4, s[10:11]
	s_and_saveexec_b64 s[28:29], vcc
	s_cbranch_execz .LBB1239_756
; %bb.747:
	v_cndmask_b32_e64 v32, v4, v29, s[10:11]
	v_cndmask_b32_e64 v4, v8, v33, s[10:11]
	v_cmp_ge_u32_e32 vcc, v4, v24
	v_cndmask_b32_e64 v25, v5, v28, s[10:11]
	s_or_b64 s[30:31], vcc, s[18:19]
	v_cndmask_b32_e32 v5, v7, v25, vcc
	s_xor_b64 s[34:35], s[30:31], -1
	v_cndmask_b32_e32 v4, v6, v32, vcc
	s_and_saveexec_b64 s[30:31], s[34:35]
	s_cbranch_execz .LBB1239_755
; %bb.748:
	v_mul_lo_u32 v8, v25, s12
	v_mul_lo_u32 v9, v32, s13
	v_mad_u64_u32 v[4:5], s[34:35], v32, s12, 0
	v_add3_u32 v5, v5, v9, v8
	v_lshlrev_b64 v[4:5], 1, v[4:5]
	v_mov_b32_e32 v8, s15
	v_add_co_u32_e32 v4, vcc, s14, v4
	v_addc_co_u32_e32 v5, vcc, v8, v5, vcc
	v_mul_lo_u32 v24, v7, s12
	v_mul_lo_u32 v33, v6, s13
	v_mad_u64_u32 v[8:9], s[34:35], v6, s12, 0
	v_add3_u32 v9, v9, v33, v24
	v_lshlrev_b64 v[8:9], 1, v[8:9]
	v_mov_b32_e32 v24, s15
	v_add_co_u32_e32 v8, vcc, s14, v8
	v_addc_co_u32_e32 v9, vcc, v24, v9, vcc
	s_mov_b64 s[34:35], 0
	s_mov_b64 s[40:41], s[12:13]
                                        ; implicit-def: $sgpr36_sgpr37
                                        ; implicit-def: $sgpr38_sgpr39
                                        ; implicit-def: $sgpr42_sgpr43
	s_branch .LBB1239_750
.LBB1239_749:                           ;   in Loop: Header=BB1239_750 Depth=1
	s_or_b64 exec, exec, s[46:47]
	s_and_b64 s[44:45], exec, s[48:49]
	s_or_b64 s[34:35], s[44:45], s[34:35]
	s_andn2_b64 s[36:37], s[36:37], exec
	s_and_b64 s[44:45], s[38:39], exec
	s_or_b64 s[36:37], s[36:37], s[44:45]
	s_andn2_b64 exec, exec, s[34:35]
	s_cbranch_execz .LBB1239_754
.LBB1239_750:                           ; =>This Inner Loop Header: Depth=1
	global_load_ushort v24, v[4:5], off
	global_load_ushort v33, v[8:9], off
	s_mov_b64 s[50:51], 0
	s_mov_b64 s[44:45], -1
	s_waitcnt vmcnt(0)
	v_cmp_nlt_f16_e32 vcc, v24, v33
	s_and_saveexec_b64 s[46:47], vcc
; %bb.751:                              ;   in Loop: Header=BB1239_750 Depth=1
	v_cmp_ngt_f16_e32 vcc, v24, v33
	s_and_b64 s[42:43], vcc, s[42:43]
	s_orn2_b64 s[44:45], s[42:43], exec
	s_and_b64 s[50:51], vcc, exec
; %bb.752:                              ;   in Loop: Header=BB1239_750 Depth=1
	s_or_b64 exec, exec, s[46:47]
	s_andn2_b64 s[38:39], s[38:39], exec
	s_and_b64 s[42:43], s[44:45], exec
	s_mov_b64 s[48:49], -1
	s_or_b64 s[38:39], s[38:39], s[42:43]
                                        ; implicit-def: $sgpr42_sgpr43
	s_and_saveexec_b64 s[46:47], s[50:51]
	s_cbranch_execz .LBB1239_749
; %bb.753:                              ;   in Loop: Header=BB1239_750 Depth=1
	s_add_u32 s40, s40, -1
	v_add_co_u32_e32 v4, vcc, 2, v4
	s_addc_u32 s41, s41, -1
	v_addc_co_u32_e32 v5, vcc, 0, v5, vcc
	s_cmp_eq_u64 s[40:41], 0
	v_add_co_u32_e32 v8, vcc, 2, v8
	s_cselect_b64 s[48:49], -1, 0
	v_addc_co_u32_e32 v9, vcc, 0, v9, vcc
	s_and_b64 s[42:43], s[44:45], exec
	s_andn2_b64 s[38:39], s[38:39], exec
	s_orn2_b64 s[48:49], s[48:49], exec
	s_branch .LBB1239_749
.LBB1239_754:
	s_or_b64 exec, exec, s[34:35]
	v_cndmask_b32_e64 v5, v7, v25, s[36:37]
	v_cndmask_b32_e64 v4, v6, v32, s[36:37]
.LBB1239_755:
	s_or_b64 exec, exec, s[30:31]
	v_pk_mov_b32 v[6:7], v[4:5], v[4:5] op_sel:[0,1]
.LBB1239_756:
	s_or_b64 exec, exec, s[28:29]
	v_cndmask_b32_e64 v1, v3, v1, s[8:9]
	v_cndmask_b32_e64 v0, v2, v0, s[8:9]
	;; [unrolled: 1-line block ×6, first 2 shown]
.LBB1239_757:
	s_or_b64 exec, exec, s[22:23]
	v_and_b32_e32 v25, 0x1c0, v20
	v_or_b32_e32 v8, 32, v25
	; wave barrier
	ds_write_b128 v21, v[0:3]
	ds_write_b128 v21, v[4:7] offset:16
	v_min_u32_e32 v21, v19, v8
	v_add_u32_e32 v8, 32, v21
	v_min_u32_e32 v24, v19, v8
	v_and_b32_e32 v8, 60, v20
	v_min_u32_e32 v26, v19, v8
	v_sub_u32_e32 v8, v21, v25
	v_sub_u32_e32 v9, v24, v21
	v_sub_u32_e64 v20, v26, v9 clamp
	v_min_u32_e32 v27, v26, v8
	v_lshl_add_u32 v19, v25, 3, v18
	v_cmp_lt_u32_e32 vcc, v20, v27
	; wave barrier
	s_and_saveexec_b64 s[8:9], vcc
	s_cbranch_execz .LBB1239_769
; %bb.758:
	v_lshlrev_b32_e32 v8, 3, v21
	v_lshlrev_b32_e32 v9, 3, v26
	v_add3_u32 v28, v18, v8, v9
	s_lshl_b64 s[22:23], s[12:13], 1
	s_mov_b64 s[10:11], 0
	s_branch .LBB1239_761
.LBB1239_759:                           ;   in Loop: Header=BB1239_761 Depth=1
	s_or_b64 exec, exec, s[28:29]
.LBB1239_760:                           ;   in Loop: Header=BB1239_761 Depth=1
	v_add_u32_e32 v8, 1, v29
	v_cndmask_b32_e64 v27, v27, v29, s[26:27]
	v_cndmask_b32_e64 v20, v8, v20, s[26:27]
	v_cmp_ge_u32_e32 vcc, v20, v27
	s_or_b64 s[10:11], vcc, s[10:11]
	s_andn2_b64 exec, exec, s[10:11]
	s_cbranch_execz .LBB1239_768
.LBB1239_761:                           ; =>This Loop Header: Depth=1
                                        ;     Child Loop BB1239_764 Depth 2
	v_add_u32_e32 v8, v27, v20
	v_lshrrev_b32_e32 v29, 1, v8
	s_and_b64 vcc, exec, s[6:7]
	s_mov_b64 s[26:27], 0
	s_cbranch_vccnz .LBB1239_760
; %bb.762:                              ;   in Loop: Header=BB1239_761 Depth=1
	v_not_b32_e32 v8, v29
	v_lshl_add_u32 v8, v8, 3, v28
	ds_read_b64 v[8:9], v8
	v_lshl_add_u32 v30, v29, 3, v19
	ds_read_b64 v[30:31], v30
	v_pk_mov_b32 v[10:11], s[14:15], s[14:15] op_sel:[0,1]
	s_mov_b64 s[28:29], 0
	s_waitcnt lgkmcnt(1)
	v_mul_lo_u32 v32, s22, v9
	v_mul_lo_u32 v33, s23, v8
	v_mad_u64_u32 v[8:9], s[26:27], s22, v8, v[10:11]
	v_add3_u32 v9, v33, v9, v32
	s_waitcnt lgkmcnt(0)
	v_mul_lo_u32 v31, s22, v31
	v_mul_lo_u32 v32, s23, v30
	v_mad_u64_u32 v[10:11], s[26:27], s22, v30, v[10:11]
	v_add3_u32 v11, v32, v11, v31
	s_mov_b64 s[34:35], s[12:13]
                                        ; implicit-def: $sgpr26_sgpr27
                                        ; implicit-def: $sgpr30_sgpr31
                                        ; implicit-def: $sgpr36_sgpr37
	s_branch .LBB1239_764
.LBB1239_763:                           ;   in Loop: Header=BB1239_764 Depth=2
	s_or_b64 exec, exec, s[42:43]
	s_and_b64 s[38:39], exec, s[38:39]
	s_or_b64 s[28:29], s[38:39], s[28:29]
	s_andn2_b64 s[26:27], s[26:27], exec
	s_and_b64 s[38:39], s[30:31], exec
	s_or_b64 s[26:27], s[26:27], s[38:39]
	s_andn2_b64 exec, exec, s[28:29]
	s_cbranch_execz .LBB1239_759
.LBB1239_764:                           ;   Parent Loop BB1239_761 Depth=1
                                        ; =>  This Inner Loop Header: Depth=2
	global_load_ushort v30, v[8:9], off
	global_load_ushort v31, v[10:11], off
	s_mov_b64 s[38:39], -1
	s_mov_b64 s[44:45], 0
	s_mov_b64 s[40:41], -1
	s_waitcnt vmcnt(0)
	v_cmp_nlt_f16_e32 vcc, v30, v31
	s_and_saveexec_b64 s[42:43], vcc
; %bb.765:                              ;   in Loop: Header=BB1239_764 Depth=2
	v_cmp_ngt_f16_e32 vcc, v30, v31
	s_and_b64 s[36:37], vcc, s[36:37]
	s_orn2_b64 s[40:41], s[36:37], exec
	s_and_b64 s[44:45], vcc, exec
; %bb.766:                              ;   in Loop: Header=BB1239_764 Depth=2
	s_or_b64 exec, exec, s[42:43]
	s_andn2_b64 s[30:31], s[30:31], exec
	s_and_b64 s[36:37], s[40:41], exec
	s_or_b64 s[30:31], s[30:31], s[36:37]
                                        ; implicit-def: $sgpr36_sgpr37
	s_and_saveexec_b64 s[42:43], s[44:45]
	s_cbranch_execz .LBB1239_763
; %bb.767:                              ;   in Loop: Header=BB1239_764 Depth=2
	s_add_u32 s34, s34, -1
	v_add_co_u32_e32 v8, vcc, 2, v8
	s_addc_u32 s35, s35, -1
	v_addc_co_u32_e32 v9, vcc, 0, v9, vcc
	s_cmp_eq_u64 s[34:35], 0
	v_add_co_u32_e32 v10, vcc, 2, v10
	s_cselect_b64 s[38:39], -1, 0
	v_addc_co_u32_e32 v11, vcc, 0, v11, vcc
	s_andn2_b64 s[30:31], s[30:31], exec
	s_and_b64 s[36:37], s[40:41], exec
	s_orn2_b64 s[38:39], s[38:39], exec
	s_branch .LBB1239_763
.LBB1239_768:
	s_or_b64 exec, exec, s[10:11]
.LBB1239_769:
	s_or_b64 exec, exec, s[8:9]
	v_add_u32_e32 v9, v21, v26
	v_add_u32_e32 v8, v20, v25
	v_sub_u32_e32 v9, v9, v20
	v_cmp_le_u32_e32 vcc, v8, v21
	v_cmp_le_u32_e64 s[8:9], v9, v24
	s_or_b64 s[8:9], vcc, s[8:9]
	s_and_saveexec_b64 s[22:23], s[8:9]
	s_cbranch_execz .LBB1239_813
; %bb.770:
	v_cmp_ge_u32_e32 vcc, v8, v21
	v_cmp_lt_u32_e64 s[8:9], v8, v21
                                        ; implicit-def: $vgpr0_vgpr1
	s_and_saveexec_b64 s[10:11], s[8:9]
	s_cbranch_execz .LBB1239_772
; %bb.771:
	v_lshl_add_u32 v0, v20, 3, v19
	ds_read_b64 v[0:1], v0
.LBB1239_772:
	s_or_b64 exec, exec, s[10:11]
	v_cmp_ge_u32_e64 s[8:9], v9, v24
	v_cmp_lt_u32_e64 s[10:11], v9, v24
                                        ; implicit-def: $vgpr2_vgpr3
	s_and_saveexec_b64 s[26:27], s[10:11]
	s_cbranch_execz .LBB1239_774
; %bb.773:
	v_lshl_add_u32 v2, v9, 3, v18
	ds_read_b64 v[2:3], v2
.LBB1239_774:
	s_or_b64 exec, exec, s[26:27]
	s_or_b64 s[10:11], vcc, s[8:9]
	s_or_b64 s[10:11], s[10:11], s[18:19]
	s_xor_b64 s[26:27], s[10:11], -1
	s_xor_b64 s[10:11], vcc, -1
	s_or_b64 s[8:9], s[8:9], s[10:11]
	s_and_saveexec_b64 s[10:11], s[26:27]
	s_cbranch_execz .LBB1239_782
; %bb.775:
	s_waitcnt lgkmcnt(0)
	v_mul_lo_u32 v6, v3, s12
	v_mul_lo_u32 v7, v2, s13
	v_mad_u64_u32 v[4:5], s[26:27], v2, s12, 0
	v_add3_u32 v5, v5, v7, v6
	v_lshlrev_b64 v[4:5], 1, v[4:5]
	v_mov_b32_e32 v6, s15
	v_add_co_u32_e32 v4, vcc, s14, v4
	v_addc_co_u32_e32 v5, vcc, v6, v5, vcc
	v_mul_lo_u32 v10, v1, s12
	v_mul_lo_u32 v11, v0, s13
	v_mad_u64_u32 v[6:7], s[26:27], v0, s12, 0
	v_add3_u32 v7, v7, v11, v10
	v_lshlrev_b64 v[6:7], 1, v[6:7]
	v_mov_b32_e32 v10, s15
	v_add_co_u32_e32 v6, vcc, s14, v6
	v_addc_co_u32_e32 v7, vcc, v10, v7, vcc
	s_mov_b64 s[26:27], 0
	s_mov_b64 s[34:35], s[12:13]
                                        ; implicit-def: $sgpr28_sgpr29
                                        ; implicit-def: $sgpr30_sgpr31
                                        ; implicit-def: $sgpr36_sgpr37
	s_branch .LBB1239_777
.LBB1239_776:                           ;   in Loop: Header=BB1239_777 Depth=1
	s_or_b64 exec, exec, s[40:41]
	s_and_b64 s[38:39], exec, s[42:43]
	s_or_b64 s[26:27], s[38:39], s[26:27]
	s_andn2_b64 s[28:29], s[28:29], exec
	s_and_b64 s[38:39], s[30:31], exec
	s_or_b64 s[28:29], s[28:29], s[38:39]
	s_andn2_b64 exec, exec, s[26:27]
	s_cbranch_execz .LBB1239_781
.LBB1239_777:                           ; =>This Inner Loop Header: Depth=1
	global_load_ushort v10, v[4:5], off
	global_load_ushort v11, v[6:7], off
	s_mov_b64 s[44:45], 0
	s_mov_b64 s[38:39], -1
	s_waitcnt vmcnt(0)
	v_cmp_nlt_f16_e32 vcc, v10, v11
	s_and_saveexec_b64 s[40:41], vcc
; %bb.778:                              ;   in Loop: Header=BB1239_777 Depth=1
	v_cmp_ngt_f16_e32 vcc, v10, v11
	s_and_b64 s[36:37], vcc, s[36:37]
	s_orn2_b64 s[38:39], s[36:37], exec
	s_and_b64 s[44:45], vcc, exec
; %bb.779:                              ;   in Loop: Header=BB1239_777 Depth=1
	s_or_b64 exec, exec, s[40:41]
	s_andn2_b64 s[30:31], s[30:31], exec
	s_and_b64 s[36:37], s[38:39], exec
	s_mov_b64 s[42:43], -1
	s_or_b64 s[30:31], s[30:31], s[36:37]
                                        ; implicit-def: $sgpr36_sgpr37
	s_and_saveexec_b64 s[40:41], s[44:45]
	s_cbranch_execz .LBB1239_776
; %bb.780:                              ;   in Loop: Header=BB1239_777 Depth=1
	s_add_u32 s34, s34, -1
	v_add_co_u32_e32 v4, vcc, 2, v4
	s_addc_u32 s35, s35, -1
	v_addc_co_u32_e32 v5, vcc, 0, v5, vcc
	s_cmp_eq_u64 s[34:35], 0
	v_add_co_u32_e32 v6, vcc, 2, v6
	s_cselect_b64 s[42:43], -1, 0
	v_addc_co_u32_e32 v7, vcc, 0, v7, vcc
	s_and_b64 s[36:37], s[38:39], exec
	s_andn2_b64 s[30:31], s[30:31], exec
	s_orn2_b64 s[42:43], s[42:43], exec
	s_branch .LBB1239_776
.LBB1239_781:
	s_or_b64 exec, exec, s[26:27]
	s_xor_b64 s[26:27], s[28:29], -1
	s_andn2_b64 s[8:9], s[8:9], exec
	s_and_b64 s[26:27], s[26:27], exec
	s_or_b64 s[8:9], s[8:9], s[26:27]
.LBB1239_782:
	s_or_b64 exec, exec, s[10:11]
	v_cndmask_b32_e64 v4, v9, v8, s[8:9]
	v_cndmask_b32_e64 v5, v24, v21, s[8:9]
	v_add_u32_e32 v6, 1, v4
	v_add_u32_e32 v4, -1, v5
	v_min_u32_e32 v4, v6, v4
	v_lshl_add_u32 v4, v4, 3, v18
	ds_read_b64 v[4:5], v4
	v_cndmask_b32_e64 v9, v6, v9, s[8:9]
	v_cndmask_b32_e64 v8, v8, v6, s[8:9]
	v_cmp_lt_u32_e32 vcc, v9, v24
	s_mov_b64 s[10:11], -1
	s_waitcnt lgkmcnt(0)
	v_cndmask_b32_e64 v10, v5, v3, s[8:9]
	v_cndmask_b32_e64 v11, v4, v2, s[8:9]
	;; [unrolled: 1-line block ×4, first 2 shown]
	s_mov_b64 s[26:27], -1
	s_and_saveexec_b64 s[28:29], vcc
	s_cbranch_execz .LBB1239_792
; %bb.783:
	v_cmp_lt_u32_e64 s[26:27], v8, v21
	s_and_b64 s[34:35], s[26:27], s[20:21]
	s_and_saveexec_b64 s[30:31], s[34:35]
	s_cbranch_execz .LBB1239_791
; %bb.784:
	v_mul_lo_u32 v6, v10, s12
	v_mul_lo_u32 v7, v11, s13
	v_mad_u64_u32 v[4:5], s[34:35], v11, s12, 0
	v_add3_u32 v5, v5, v7, v6
	v_lshlrev_b64 v[4:5], 1, v[4:5]
	v_mov_b32_e32 v6, s15
	v_add_co_u32_e32 v4, vcc, s14, v4
	v_addc_co_u32_e32 v5, vcc, v6, v5, vcc
	v_mul_lo_u32 v25, v19, s12
	v_mul_lo_u32 v26, v20, s13
	v_mad_u64_u32 v[6:7], s[34:35], v20, s12, 0
	v_add3_u32 v7, v7, v26, v25
	v_lshlrev_b64 v[6:7], 1, v[6:7]
	v_mov_b32_e32 v25, s15
	v_add_co_u32_e32 v6, vcc, s14, v6
	v_addc_co_u32_e32 v7, vcc, v25, v7, vcc
	s_mov_b64 s[34:35], 0
	s_mov_b64 s[40:41], s[12:13]
                                        ; implicit-def: $sgpr36_sgpr37
                                        ; implicit-def: $sgpr38_sgpr39
                                        ; implicit-def: $sgpr42_sgpr43
	s_branch .LBB1239_786
.LBB1239_785:                           ;   in Loop: Header=BB1239_786 Depth=1
	s_or_b64 exec, exec, s[46:47]
	s_and_b64 s[44:45], exec, s[48:49]
	s_or_b64 s[34:35], s[44:45], s[34:35]
	s_andn2_b64 s[36:37], s[36:37], exec
	s_and_b64 s[44:45], s[38:39], exec
	s_or_b64 s[36:37], s[36:37], s[44:45]
	s_andn2_b64 exec, exec, s[34:35]
	s_cbranch_execz .LBB1239_790
.LBB1239_786:                           ; =>This Inner Loop Header: Depth=1
	global_load_ushort v25, v[4:5], off
	global_load_ushort v26, v[6:7], off
	s_mov_b64 s[50:51], 0
	s_mov_b64 s[44:45], -1
	s_waitcnt vmcnt(0)
	v_cmp_nlt_f16_e32 vcc, v25, v26
	s_and_saveexec_b64 s[46:47], vcc
; %bb.787:                              ;   in Loop: Header=BB1239_786 Depth=1
	v_cmp_ngt_f16_e32 vcc, v25, v26
	s_and_b64 s[42:43], vcc, s[42:43]
	s_orn2_b64 s[44:45], s[42:43], exec
	s_and_b64 s[50:51], vcc, exec
; %bb.788:                              ;   in Loop: Header=BB1239_786 Depth=1
	s_or_b64 exec, exec, s[46:47]
	s_andn2_b64 s[38:39], s[38:39], exec
	s_and_b64 s[42:43], s[44:45], exec
	s_mov_b64 s[48:49], -1
	s_or_b64 s[38:39], s[38:39], s[42:43]
                                        ; implicit-def: $sgpr42_sgpr43
	s_and_saveexec_b64 s[46:47], s[50:51]
	s_cbranch_execz .LBB1239_785
; %bb.789:                              ;   in Loop: Header=BB1239_786 Depth=1
	s_add_u32 s40, s40, -1
	v_add_co_u32_e32 v4, vcc, 2, v4
	s_addc_u32 s41, s41, -1
	v_addc_co_u32_e32 v5, vcc, 0, v5, vcc
	s_cmp_eq_u64 s[40:41], 0
	v_add_co_u32_e32 v6, vcc, 2, v6
	s_cselect_b64 s[48:49], -1, 0
	v_addc_co_u32_e32 v7, vcc, 0, v7, vcc
	s_and_b64 s[42:43], s[44:45], exec
	s_andn2_b64 s[38:39], s[38:39], exec
	s_orn2_b64 s[48:49], s[48:49], exec
	s_branch .LBB1239_785
.LBB1239_790:
	s_or_b64 exec, exec, s[34:35]
	s_xor_b64 s[34:35], s[36:37], -1
	s_andn2_b64 s[26:27], s[26:27], exec
	s_and_b64 s[34:35], s[34:35], exec
	s_or_b64 s[26:27], s[26:27], s[34:35]
.LBB1239_791:
	s_or_b64 exec, exec, s[30:31]
	s_orn2_b64 s[26:27], s[26:27], exec
.LBB1239_792:
	s_or_b64 exec, exec, s[28:29]
	v_cndmask_b32_e64 v4, v9, v8, s[26:27]
	v_cndmask_b32_e64 v5, v24, v21, s[26:27]
	v_add_u32_e32 v6, 1, v4
	v_add_u32_e32 v4, -1, v5
	v_min_u32_e32 v4, v6, v4
	v_lshl_add_u32 v4, v4, 3, v18
	ds_read_b64 v[4:5], v4
	v_cndmask_b32_e64 v9, v6, v9, s[26:27]
	v_cndmask_b32_e64 v8, v8, v6, s[26:27]
	v_cmp_lt_u32_e32 vcc, v9, v24
	s_waitcnt lgkmcnt(0)
	v_cndmask_b32_e64 v25, v5, v10, s[26:27]
	v_cndmask_b32_e64 v26, v4, v11, s[26:27]
	;; [unrolled: 1-line block ×4, first 2 shown]
	s_and_saveexec_b64 s[28:29], vcc
	s_cbranch_execz .LBB1239_802
; %bb.793:
	v_cmp_lt_u32_e64 s[10:11], v8, v21
	s_and_b64 s[34:35], s[10:11], s[20:21]
	s_and_saveexec_b64 s[30:31], s[34:35]
	s_cbranch_execz .LBB1239_801
; %bb.794:
	v_mul_lo_u32 v6, v25, s12
	v_mul_lo_u32 v7, v26, s13
	v_mad_u64_u32 v[4:5], s[34:35], v26, s12, 0
	v_add3_u32 v5, v5, v7, v6
	v_lshlrev_b64 v[4:5], 1, v[4:5]
	v_mov_b32_e32 v6, s15
	v_add_co_u32_e32 v4, vcc, s14, v4
	v_addc_co_u32_e32 v5, vcc, v6, v5, vcc
	v_mul_lo_u32 v29, v27, s12
	v_mul_lo_u32 v30, v28, s13
	v_mad_u64_u32 v[6:7], s[34:35], v28, s12, 0
	v_add3_u32 v7, v7, v30, v29
	v_lshlrev_b64 v[6:7], 1, v[6:7]
	v_mov_b32_e32 v29, s15
	v_add_co_u32_e32 v6, vcc, s14, v6
	v_addc_co_u32_e32 v7, vcc, v29, v7, vcc
	s_mov_b64 s[34:35], 0
	s_mov_b64 s[40:41], s[12:13]
                                        ; implicit-def: $sgpr36_sgpr37
                                        ; implicit-def: $sgpr38_sgpr39
                                        ; implicit-def: $sgpr42_sgpr43
	s_branch .LBB1239_796
.LBB1239_795:                           ;   in Loop: Header=BB1239_796 Depth=1
	s_or_b64 exec, exec, s[46:47]
	s_and_b64 s[44:45], exec, s[48:49]
	s_or_b64 s[34:35], s[44:45], s[34:35]
	s_andn2_b64 s[36:37], s[36:37], exec
	s_and_b64 s[44:45], s[38:39], exec
	s_or_b64 s[36:37], s[36:37], s[44:45]
	s_andn2_b64 exec, exec, s[34:35]
	s_cbranch_execz .LBB1239_800
.LBB1239_796:                           ; =>This Inner Loop Header: Depth=1
	global_load_ushort v29, v[4:5], off
	global_load_ushort v30, v[6:7], off
	s_mov_b64 s[50:51], 0
	s_mov_b64 s[44:45], -1
	s_waitcnt vmcnt(0)
	v_cmp_nlt_f16_e32 vcc, v29, v30
	s_and_saveexec_b64 s[46:47], vcc
; %bb.797:                              ;   in Loop: Header=BB1239_796 Depth=1
	v_cmp_ngt_f16_e32 vcc, v29, v30
	s_and_b64 s[42:43], vcc, s[42:43]
	s_orn2_b64 s[44:45], s[42:43], exec
	s_and_b64 s[50:51], vcc, exec
; %bb.798:                              ;   in Loop: Header=BB1239_796 Depth=1
	s_or_b64 exec, exec, s[46:47]
	s_andn2_b64 s[38:39], s[38:39], exec
	s_and_b64 s[42:43], s[44:45], exec
	s_mov_b64 s[48:49], -1
	s_or_b64 s[38:39], s[38:39], s[42:43]
                                        ; implicit-def: $sgpr42_sgpr43
	s_and_saveexec_b64 s[46:47], s[50:51]
	s_cbranch_execz .LBB1239_795
; %bb.799:                              ;   in Loop: Header=BB1239_796 Depth=1
	s_add_u32 s40, s40, -1
	v_add_co_u32_e32 v4, vcc, 2, v4
	s_addc_u32 s41, s41, -1
	v_addc_co_u32_e32 v5, vcc, 0, v5, vcc
	s_cmp_eq_u64 s[40:41], 0
	v_add_co_u32_e32 v6, vcc, 2, v6
	s_cselect_b64 s[48:49], -1, 0
	v_addc_co_u32_e32 v7, vcc, 0, v7, vcc
	s_and_b64 s[42:43], s[44:45], exec
	s_andn2_b64 s[38:39], s[38:39], exec
	s_orn2_b64 s[48:49], s[48:49], exec
	s_branch .LBB1239_795
.LBB1239_800:
	s_or_b64 exec, exec, s[34:35]
	s_xor_b64 s[34:35], s[36:37], -1
	s_andn2_b64 s[10:11], s[10:11], exec
	s_and_b64 s[34:35], s[34:35], exec
	s_or_b64 s[10:11], s[10:11], s[34:35]
.LBB1239_801:
	s_or_b64 exec, exec, s[30:31]
	s_orn2_b64 s[10:11], s[10:11], exec
.LBB1239_802:
	s_or_b64 exec, exec, s[28:29]
	v_cndmask_b32_e64 v4, v9, v8, s[10:11]
	v_cndmask_b32_e64 v5, v24, v21, s[10:11]
	v_add_u32_e32 v29, 1, v4
	v_add_u32_e32 v4, -1, v5
	v_min_u32_e32 v4, v29, v4
	v_lshl_add_u32 v4, v4, 3, v18
	ds_read_b64 v[4:5], v4
	v_cndmask_b32_e64 v9, v29, v9, s[10:11]
	v_cmp_lt_u32_e32 vcc, v9, v24
	s_waitcnt lgkmcnt(0)
	v_cndmask_b32_e64 v7, v27, v5, s[10:11]
	v_cndmask_b32_e64 v6, v28, v4, s[10:11]
	s_and_saveexec_b64 s[28:29], vcc
	s_cbranch_execz .LBB1239_812
; %bb.803:
	v_cndmask_b32_e64 v24, v4, v26, s[10:11]
	v_cndmask_b32_e64 v4, v8, v29, s[10:11]
	v_cmp_ge_u32_e32 vcc, v4, v21
	v_cndmask_b32_e64 v18, v5, v25, s[10:11]
	s_or_b64 s[30:31], vcc, s[18:19]
	v_cndmask_b32_e32 v5, v7, v18, vcc
	s_xor_b64 s[34:35], s[30:31], -1
	v_cndmask_b32_e32 v4, v6, v24, vcc
	s_and_saveexec_b64 s[30:31], s[34:35]
	s_cbranch_execz .LBB1239_811
; %bb.804:
	v_mul_lo_u32 v8, v18, s12
	v_mul_lo_u32 v9, v24, s13
	v_mad_u64_u32 v[4:5], s[34:35], v24, s12, 0
	v_add3_u32 v5, v5, v9, v8
	v_lshlrev_b64 v[4:5], 1, v[4:5]
	v_mov_b32_e32 v8, s15
	v_add_co_u32_e32 v4, vcc, s14, v4
	v_addc_co_u32_e32 v5, vcc, v8, v5, vcc
	v_mul_lo_u32 v21, v7, s12
	v_mul_lo_u32 v29, v6, s13
	v_mad_u64_u32 v[8:9], s[34:35], v6, s12, 0
	v_add3_u32 v9, v9, v29, v21
	v_lshlrev_b64 v[8:9], 1, v[8:9]
	v_mov_b32_e32 v21, s15
	v_add_co_u32_e32 v8, vcc, s14, v8
	v_addc_co_u32_e32 v9, vcc, v21, v9, vcc
	s_mov_b64 s[34:35], 0
	s_mov_b64 s[40:41], s[12:13]
                                        ; implicit-def: $sgpr36_sgpr37
                                        ; implicit-def: $sgpr38_sgpr39
                                        ; implicit-def: $sgpr42_sgpr43
	s_branch .LBB1239_806
.LBB1239_805:                           ;   in Loop: Header=BB1239_806 Depth=1
	s_or_b64 exec, exec, s[46:47]
	s_and_b64 s[44:45], exec, s[48:49]
	s_or_b64 s[34:35], s[44:45], s[34:35]
	s_andn2_b64 s[36:37], s[36:37], exec
	s_and_b64 s[44:45], s[38:39], exec
	s_or_b64 s[36:37], s[36:37], s[44:45]
	s_andn2_b64 exec, exec, s[34:35]
	s_cbranch_execz .LBB1239_810
.LBB1239_806:                           ; =>This Inner Loop Header: Depth=1
	global_load_ushort v21, v[4:5], off
	global_load_ushort v29, v[8:9], off
	s_mov_b64 s[50:51], 0
	s_mov_b64 s[44:45], -1
	s_waitcnt vmcnt(0)
	v_cmp_nlt_f16_e32 vcc, v21, v29
	s_and_saveexec_b64 s[46:47], vcc
; %bb.807:                              ;   in Loop: Header=BB1239_806 Depth=1
	v_cmp_ngt_f16_e32 vcc, v21, v29
	s_and_b64 s[42:43], vcc, s[42:43]
	s_orn2_b64 s[44:45], s[42:43], exec
	s_and_b64 s[50:51], vcc, exec
; %bb.808:                              ;   in Loop: Header=BB1239_806 Depth=1
	s_or_b64 exec, exec, s[46:47]
	s_andn2_b64 s[38:39], s[38:39], exec
	s_and_b64 s[42:43], s[44:45], exec
	s_mov_b64 s[48:49], -1
	s_or_b64 s[38:39], s[38:39], s[42:43]
                                        ; implicit-def: $sgpr42_sgpr43
	s_and_saveexec_b64 s[46:47], s[50:51]
	s_cbranch_execz .LBB1239_805
; %bb.809:                              ;   in Loop: Header=BB1239_806 Depth=1
	s_add_u32 s40, s40, -1
	v_add_co_u32_e32 v4, vcc, 2, v4
	s_addc_u32 s41, s41, -1
	v_addc_co_u32_e32 v5, vcc, 0, v5, vcc
	s_cmp_eq_u64 s[40:41], 0
	v_add_co_u32_e32 v8, vcc, 2, v8
	s_cselect_b64 s[48:49], -1, 0
	v_addc_co_u32_e32 v9, vcc, 0, v9, vcc
	s_and_b64 s[42:43], s[44:45], exec
	s_andn2_b64 s[38:39], s[38:39], exec
	s_orn2_b64 s[48:49], s[48:49], exec
	s_branch .LBB1239_805
.LBB1239_810:
	s_or_b64 exec, exec, s[34:35]
	v_cndmask_b32_e64 v5, v7, v18, s[36:37]
	v_cndmask_b32_e64 v4, v6, v24, s[36:37]
.LBB1239_811:
	s_or_b64 exec, exec, s[30:31]
	v_pk_mov_b32 v[6:7], v[4:5], v[4:5] op_sel:[0,1]
.LBB1239_812:
	s_or_b64 exec, exec, s[28:29]
	v_cndmask_b32_e64 v1, v3, v1, s[8:9]
	v_cndmask_b32_e64 v0, v2, v0, s[8:9]
	;; [unrolled: 1-line block ×6, first 2 shown]
.LBB1239_813:
	s_or_b64 exec, exec, s[22:23]
	s_cmpk_lt_u32 s33, 0x41
	; wave barrier
	s_waitcnt lgkmcnt(0)
	s_barrier
	s_cbranch_scc1 .LBB1239_872
; %bb.814:
	v_lshlrev_b32_e32 v18, 3, v23
	s_lshl_b64 s[22:23], s[12:13], 1
	s_mov_b32 s54, 64
	s_branch .LBB1239_819
.LBB1239_815:                           ;   in Loop: Header=BB1239_819 Depth=1
	s_or_b64 exec, exec, s[36:37]
	v_cndmask_b32_e64 v5, v7, v20, s[38:39]
	v_cndmask_b32_e64 v4, v6, v29, s[38:39]
.LBB1239_816:                           ;   in Loop: Header=BB1239_819 Depth=1
	s_or_b64 exec, exec, s[34:35]
	v_pk_mov_b32 v[6:7], v[4:5], v[4:5] op_sel:[0,1]
.LBB1239_817:                           ;   in Loop: Header=BB1239_819 Depth=1
	s_or_b64 exec, exec, s[30:31]
	v_cndmask_b32_e64 v1, v3, v1, s[8:9]
	v_cndmask_b32_e64 v0, v2, v0, s[8:9]
	;; [unrolled: 1-line block ×6, first 2 shown]
.LBB1239_818:                           ;   in Loop: Header=BB1239_819 Depth=1
	s_or_b64 exec, exec, s[26:27]
	s_cmp_lt_u32 s54, s33
	s_barrier
	s_cbranch_scc0 .LBB1239_872
.LBB1239_819:                           ; =>This Loop Header: Depth=1
                                        ;     Child Loop BB1239_823 Depth 2
                                        ;       Child Loop BB1239_826 Depth 3
                                        ;     Child Loop BB1239_839 Depth 2
                                        ;     Child Loop BB1239_848 Depth 2
	;; [unrolled: 1-line block ×4, first 2 shown]
	s_mov_b32 s8, s54
	s_lshl_b32 s54, s54, 1
	s_sub_i32 s10, 0, s54
	v_and_b32_e32 v25, s10, v23
	v_add_u32_e32 v8, s8, v25
	v_min_u32_e32 v19, s33, v8
	s_add_i32 s9, s54, -1
	v_add_u32_e32 v8, s8, v19
	v_min_u32_e32 v20, s33, v8
	v_and_b32_e32 v8, s9, v23
	v_min_u32_e32 v26, s33, v8
	v_sub_u32_e32 v8, v19, v25
	v_sub_u32_e32 v9, v20, v19
	v_sub_u32_e64 v24, v26, v9 clamp
	v_min_u32_e32 v27, v26, v8
	v_lshlrev_b32_e32 v21, 3, v25
	v_cmp_lt_u32_e32 vcc, v24, v27
	ds_write_b128 v18, v[0:3]
	ds_write_b128 v18, v[4:7] offset:16
	s_waitcnt lgkmcnt(0)
	s_barrier
	s_and_saveexec_b64 s[8:9], vcc
	s_cbranch_execz .LBB1239_831
; %bb.820:                              ;   in Loop: Header=BB1239_819 Depth=1
	v_lshlrev_b32_e32 v8, 3, v26
	v_lshl_add_u32 v28, v19, 3, v8
	s_mov_b64 s[10:11], 0
	s_branch .LBB1239_823
.LBB1239_821:                           ;   in Loop: Header=BB1239_823 Depth=2
	s_or_b64 exec, exec, s[28:29]
.LBB1239_822:                           ;   in Loop: Header=BB1239_823 Depth=2
	v_add_u32_e32 v8, 1, v29
	v_cndmask_b32_e64 v27, v27, v29, s[26:27]
	v_cndmask_b32_e64 v24, v8, v24, s[26:27]
	v_cmp_ge_u32_e32 vcc, v24, v27
	s_or_b64 s[10:11], vcc, s[10:11]
	s_andn2_b64 exec, exec, s[10:11]
	s_cbranch_execz .LBB1239_830
.LBB1239_823:                           ;   Parent Loop BB1239_819 Depth=1
                                        ; =>  This Loop Header: Depth=2
                                        ;       Child Loop BB1239_826 Depth 3
	v_add_u32_e32 v8, v27, v24
	v_lshrrev_b32_e32 v29, 1, v8
	s_and_b64 vcc, exec, s[6:7]
	s_mov_b64 s[26:27], 0
	s_cbranch_vccnz .LBB1239_822
; %bb.824:                              ;   in Loop: Header=BB1239_823 Depth=2
	v_not_b32_e32 v8, v29
	v_lshl_add_u32 v8, v8, 3, v28
	ds_read_b64 v[8:9], v8
	v_lshl_add_u32 v30, v29, 3, v21
	ds_read_b64 v[30:31], v30
	v_pk_mov_b32 v[10:11], s[14:15], s[14:15] op_sel:[0,1]
	s_mov_b64 s[28:29], 0
	s_waitcnt lgkmcnt(1)
	v_mul_lo_u32 v32, s22, v9
	v_mul_lo_u32 v33, s23, v8
	v_mad_u64_u32 v[8:9], s[26:27], s22, v8, v[10:11]
	v_add3_u32 v9, v33, v9, v32
	s_waitcnt lgkmcnt(0)
	v_mul_lo_u32 v31, s22, v31
	v_mul_lo_u32 v32, s23, v30
	v_mad_u64_u32 v[10:11], s[26:27], s22, v30, v[10:11]
	v_add3_u32 v11, v32, v11, v31
	s_mov_b64 s[34:35], s[12:13]
                                        ; implicit-def: $sgpr26_sgpr27
                                        ; implicit-def: $sgpr30_sgpr31
                                        ; implicit-def: $sgpr36_sgpr37
	s_branch .LBB1239_826
.LBB1239_825:                           ;   in Loop: Header=BB1239_826 Depth=3
	s_or_b64 exec, exec, s[42:43]
	s_and_b64 s[38:39], exec, s[38:39]
	s_or_b64 s[28:29], s[38:39], s[28:29]
	s_andn2_b64 s[26:27], s[26:27], exec
	s_and_b64 s[38:39], s[30:31], exec
	s_or_b64 s[26:27], s[26:27], s[38:39]
	s_andn2_b64 exec, exec, s[28:29]
	s_cbranch_execz .LBB1239_821
.LBB1239_826:                           ;   Parent Loop BB1239_819 Depth=1
                                        ;     Parent Loop BB1239_823 Depth=2
                                        ; =>    This Inner Loop Header: Depth=3
	global_load_ushort v30, v[8:9], off
	global_load_ushort v31, v[10:11], off
	s_mov_b64 s[38:39], -1
	s_mov_b64 s[44:45], 0
	s_mov_b64 s[40:41], -1
	s_waitcnt vmcnt(0)
	v_cmp_nlt_f16_e32 vcc, v30, v31
	s_and_saveexec_b64 s[42:43], vcc
; %bb.827:                              ;   in Loop: Header=BB1239_826 Depth=3
	v_cmp_ngt_f16_e32 vcc, v30, v31
	s_and_b64 s[36:37], vcc, s[36:37]
	s_orn2_b64 s[40:41], s[36:37], exec
	s_and_b64 s[44:45], vcc, exec
; %bb.828:                              ;   in Loop: Header=BB1239_826 Depth=3
	s_or_b64 exec, exec, s[42:43]
	s_andn2_b64 s[30:31], s[30:31], exec
	s_and_b64 s[36:37], s[40:41], exec
	s_or_b64 s[30:31], s[30:31], s[36:37]
                                        ; implicit-def: $sgpr36_sgpr37
	s_and_saveexec_b64 s[42:43], s[44:45]
	s_cbranch_execz .LBB1239_825
; %bb.829:                              ;   in Loop: Header=BB1239_826 Depth=3
	s_add_u32 s34, s34, -1
	v_add_co_u32_e32 v8, vcc, 2, v8
	s_addc_u32 s35, s35, -1
	v_addc_co_u32_e32 v9, vcc, 0, v9, vcc
	s_cmp_eq_u64 s[34:35], 0
	v_add_co_u32_e32 v10, vcc, 2, v10
	s_cselect_b64 s[38:39], -1, 0
	v_addc_co_u32_e32 v11, vcc, 0, v11, vcc
	s_andn2_b64 s[30:31], s[30:31], exec
	s_and_b64 s[36:37], s[40:41], exec
	s_orn2_b64 s[38:39], s[38:39], exec
	s_branch .LBB1239_825
.LBB1239_830:                           ;   in Loop: Header=BB1239_819 Depth=1
	s_or_b64 exec, exec, s[10:11]
.LBB1239_831:                           ;   in Loop: Header=BB1239_819 Depth=1
	s_or_b64 exec, exec, s[8:9]
	v_sub_u32_e32 v9, v26, v24
	v_add_u32_e32 v8, v24, v25
	v_add_u32_e32 v9, v9, v19
	v_cmp_le_u32_e32 vcc, v8, v19
	v_cmp_le_u32_e64 s[8:9], v9, v20
	s_or_b64 s[8:9], vcc, s[8:9]
	s_and_saveexec_b64 s[26:27], s[8:9]
	s_cbranch_execz .LBB1239_818
; %bb.832:                              ;   in Loop: Header=BB1239_819 Depth=1
	v_cmp_ge_u32_e32 vcc, v8, v19
	v_cmp_lt_u32_e64 s[8:9], v8, v19
                                        ; implicit-def: $vgpr0_vgpr1
	s_and_saveexec_b64 s[10:11], s[8:9]
	s_cbranch_execz .LBB1239_834
; %bb.833:                              ;   in Loop: Header=BB1239_819 Depth=1
	v_lshl_add_u32 v0, v24, 3, v21
	ds_read_b64 v[0:1], v0
.LBB1239_834:                           ;   in Loop: Header=BB1239_819 Depth=1
	s_or_b64 exec, exec, s[10:11]
	v_cmp_ge_u32_e64 s[8:9], v9, v20
	v_cmp_lt_u32_e64 s[10:11], v9, v20
                                        ; implicit-def: $vgpr2_vgpr3
	s_and_saveexec_b64 s[28:29], s[10:11]
	s_cbranch_execz .LBB1239_836
; %bb.835:                              ;   in Loop: Header=BB1239_819 Depth=1
	v_lshlrev_b32_e32 v2, 3, v9
	ds_read_b64 v[2:3], v2
.LBB1239_836:                           ;   in Loop: Header=BB1239_819 Depth=1
	s_or_b64 exec, exec, s[28:29]
	s_or_b64 s[10:11], vcc, s[8:9]
	s_or_b64 s[10:11], s[10:11], s[18:19]
	s_xor_b64 s[28:29], s[10:11], -1
	s_xor_b64 s[10:11], vcc, -1
	s_or_b64 s[8:9], s[8:9], s[10:11]
	s_and_saveexec_b64 s[10:11], s[28:29]
	s_cbranch_execz .LBB1239_844
; %bb.837:                              ;   in Loop: Header=BB1239_819 Depth=1
	v_pk_mov_b32 v[6:7], s[14:15], s[14:15] op_sel:[0,1]
	s_waitcnt lgkmcnt(0)
	v_mad_u64_u32 v[4:5], s[28:29], s22, v2, v[6:7]
	v_mul_lo_u32 v10, s22, v3
	v_mul_lo_u32 v11, s23, v2
	v_add3_u32 v5, v11, v5, v10
	v_mad_u64_u32 v[6:7], s[28:29], s22, v0, v[6:7]
	v_mul_lo_u32 v10, s22, v1
	v_mul_lo_u32 v11, s23, v0
	v_add3_u32 v7, v11, v7, v10
	s_mov_b64 s[28:29], 0
	s_mov_b64 s[36:37], s[12:13]
                                        ; implicit-def: $sgpr30_sgpr31
                                        ; implicit-def: $sgpr34_sgpr35
                                        ; implicit-def: $sgpr38_sgpr39
	s_branch .LBB1239_839
.LBB1239_838:                           ;   in Loop: Header=BB1239_839 Depth=2
	s_or_b64 exec, exec, s[44:45]
	s_and_b64 s[40:41], exec, s[40:41]
	s_or_b64 s[28:29], s[40:41], s[28:29]
	s_andn2_b64 s[30:31], s[30:31], exec
	s_and_b64 s[40:41], s[34:35], exec
	s_or_b64 s[30:31], s[30:31], s[40:41]
	s_andn2_b64 exec, exec, s[28:29]
	s_cbranch_execz .LBB1239_843
.LBB1239_839:                           ;   Parent Loop BB1239_819 Depth=1
                                        ; =>  This Inner Loop Header: Depth=2
	global_load_ushort v10, v[4:5], off
	global_load_ushort v11, v[6:7], off
	s_mov_b64 s[40:41], -1
	s_mov_b64 s[46:47], 0
	s_mov_b64 s[42:43], -1
	s_waitcnt vmcnt(0)
	v_cmp_nlt_f16_e32 vcc, v10, v11
	s_and_saveexec_b64 s[44:45], vcc
; %bb.840:                              ;   in Loop: Header=BB1239_839 Depth=2
	v_cmp_ngt_f16_e32 vcc, v10, v11
	s_and_b64 s[38:39], vcc, s[38:39]
	s_orn2_b64 s[42:43], s[38:39], exec
	s_and_b64 s[46:47], vcc, exec
; %bb.841:                              ;   in Loop: Header=BB1239_839 Depth=2
	s_or_b64 exec, exec, s[44:45]
	s_andn2_b64 s[34:35], s[34:35], exec
	s_and_b64 s[38:39], s[42:43], exec
	s_or_b64 s[34:35], s[34:35], s[38:39]
                                        ; implicit-def: $sgpr38_sgpr39
	s_and_saveexec_b64 s[44:45], s[46:47]
	s_cbranch_execz .LBB1239_838
; %bb.842:                              ;   in Loop: Header=BB1239_839 Depth=2
	s_add_u32 s36, s36, -1
	v_add_co_u32_e32 v4, vcc, 2, v4
	s_addc_u32 s37, s37, -1
	v_addc_co_u32_e32 v5, vcc, 0, v5, vcc
	s_cmp_eq_u64 s[36:37], 0
	v_add_co_u32_e32 v6, vcc, 2, v6
	s_cselect_b64 s[40:41], -1, 0
	v_addc_co_u32_e32 v7, vcc, 0, v7, vcc
	s_and_b64 s[38:39], s[42:43], exec
	s_andn2_b64 s[34:35], s[34:35], exec
	s_orn2_b64 s[40:41], s[40:41], exec
	s_branch .LBB1239_838
.LBB1239_843:                           ;   in Loop: Header=BB1239_819 Depth=1
	s_or_b64 exec, exec, s[28:29]
	s_xor_b64 s[28:29], s[30:31], -1
	s_andn2_b64 s[8:9], s[8:9], exec
	s_and_b64 s[28:29], s[28:29], exec
	s_or_b64 s[8:9], s[8:9], s[28:29]
.LBB1239_844:                           ;   in Loop: Header=BB1239_819 Depth=1
	s_or_b64 exec, exec, s[10:11]
	v_cndmask_b32_e64 v4, v9, v8, s[8:9]
	v_cndmask_b32_e64 v5, v20, v19, s[8:9]
	v_add_u32_e32 v6, 1, v4
	v_add_u32_e32 v4, -1, v5
	v_min_u32_e32 v4, v6, v4
	v_lshlrev_b32_e32 v4, 3, v4
	ds_read_b64 v[4:5], v4
	v_cndmask_b32_e64 v9, v6, v9, s[8:9]
	v_cndmask_b32_e64 v8, v8, v6, s[8:9]
	v_cmp_lt_u32_e32 vcc, v9, v20
	s_mov_b64 s[10:11], -1
	s_waitcnt lgkmcnt(0)
	v_cndmask_b32_e64 v10, v5, v3, s[8:9]
	v_cndmask_b32_e64 v11, v4, v2, s[8:9]
	;; [unrolled: 1-line block ×4, first 2 shown]
	s_mov_b64 s[28:29], -1
	s_and_saveexec_b64 s[30:31], vcc
	s_cbranch_execz .LBB1239_854
; %bb.845:                              ;   in Loop: Header=BB1239_819 Depth=1
	v_cmp_lt_u32_e64 s[28:29], v8, v19
	s_and_b64 s[36:37], s[28:29], s[20:21]
	s_and_saveexec_b64 s[34:35], s[36:37]
	s_cbranch_execz .LBB1239_853
; %bb.846:                              ;   in Loop: Header=BB1239_819 Depth=1
	v_pk_mov_b32 v[6:7], s[14:15], s[14:15] op_sel:[0,1]
	v_mad_u64_u32 v[4:5], s[36:37], s22, v11, v[6:7]
	v_mul_lo_u32 v25, s22, v10
	v_mul_lo_u32 v26, s23, v11
	v_add3_u32 v5, v26, v5, v25
	v_mad_u64_u32 v[6:7], s[36:37], s22, v24, v[6:7]
	v_mul_lo_u32 v25, s22, v21
	v_mul_lo_u32 v26, s23, v24
	v_add3_u32 v7, v26, v7, v25
	s_mov_b64 s[36:37], 0
	s_mov_b64 s[42:43], s[12:13]
                                        ; implicit-def: $sgpr38_sgpr39
                                        ; implicit-def: $sgpr40_sgpr41
                                        ; implicit-def: $sgpr44_sgpr45
	s_branch .LBB1239_848
.LBB1239_847:                           ;   in Loop: Header=BB1239_848 Depth=2
	s_or_b64 exec, exec, s[50:51]
	s_and_b64 s[46:47], exec, s[46:47]
	s_or_b64 s[36:37], s[46:47], s[36:37]
	s_andn2_b64 s[38:39], s[38:39], exec
	s_and_b64 s[46:47], s[40:41], exec
	s_or_b64 s[38:39], s[38:39], s[46:47]
	s_andn2_b64 exec, exec, s[36:37]
	s_cbranch_execz .LBB1239_852
.LBB1239_848:                           ;   Parent Loop BB1239_819 Depth=1
                                        ; =>  This Inner Loop Header: Depth=2
	global_load_ushort v25, v[4:5], off
	global_load_ushort v26, v[6:7], off
	s_mov_b64 s[46:47], -1
	s_mov_b64 s[52:53], 0
	s_mov_b64 s[48:49], -1
	s_waitcnt vmcnt(0)
	v_cmp_nlt_f16_e32 vcc, v25, v26
	s_and_saveexec_b64 s[50:51], vcc
; %bb.849:                              ;   in Loop: Header=BB1239_848 Depth=2
	v_cmp_ngt_f16_e32 vcc, v25, v26
	s_and_b64 s[44:45], vcc, s[44:45]
	s_orn2_b64 s[48:49], s[44:45], exec
	s_and_b64 s[52:53], vcc, exec
; %bb.850:                              ;   in Loop: Header=BB1239_848 Depth=2
	s_or_b64 exec, exec, s[50:51]
	s_andn2_b64 s[40:41], s[40:41], exec
	s_and_b64 s[44:45], s[48:49], exec
	s_or_b64 s[40:41], s[40:41], s[44:45]
                                        ; implicit-def: $sgpr44_sgpr45
	s_and_saveexec_b64 s[50:51], s[52:53]
	s_cbranch_execz .LBB1239_847
; %bb.851:                              ;   in Loop: Header=BB1239_848 Depth=2
	s_add_u32 s42, s42, -1
	v_add_co_u32_e32 v4, vcc, 2, v4
	s_addc_u32 s43, s43, -1
	v_addc_co_u32_e32 v5, vcc, 0, v5, vcc
	s_cmp_eq_u64 s[42:43], 0
	v_add_co_u32_e32 v6, vcc, 2, v6
	s_cselect_b64 s[46:47], -1, 0
	v_addc_co_u32_e32 v7, vcc, 0, v7, vcc
	s_and_b64 s[44:45], s[48:49], exec
	s_andn2_b64 s[40:41], s[40:41], exec
	s_orn2_b64 s[46:47], s[46:47], exec
	s_branch .LBB1239_847
.LBB1239_852:                           ;   in Loop: Header=BB1239_819 Depth=1
	s_or_b64 exec, exec, s[36:37]
	s_xor_b64 s[36:37], s[38:39], -1
	s_andn2_b64 s[28:29], s[28:29], exec
	s_and_b64 s[36:37], s[36:37], exec
	s_or_b64 s[28:29], s[28:29], s[36:37]
.LBB1239_853:                           ;   in Loop: Header=BB1239_819 Depth=1
	s_or_b64 exec, exec, s[34:35]
	s_orn2_b64 s[28:29], s[28:29], exec
.LBB1239_854:                           ;   in Loop: Header=BB1239_819 Depth=1
	s_or_b64 exec, exec, s[30:31]
	v_cndmask_b32_e64 v4, v9, v8, s[28:29]
	v_cndmask_b32_e64 v5, v20, v19, s[28:29]
	v_add_u32_e32 v6, 1, v4
	v_add_u32_e32 v4, -1, v5
	v_min_u32_e32 v4, v6, v4
	v_lshlrev_b32_e32 v4, 3, v4
	ds_read_b64 v[4:5], v4
	v_cndmask_b32_e64 v9, v6, v9, s[28:29]
	v_cndmask_b32_e64 v8, v8, v6, s[28:29]
	v_cmp_lt_u32_e32 vcc, v9, v20
	s_waitcnt lgkmcnt(0)
	v_cndmask_b32_e64 v25, v5, v10, s[28:29]
	v_cndmask_b32_e64 v26, v4, v11, s[28:29]
	;; [unrolled: 1-line block ×4, first 2 shown]
	s_and_saveexec_b64 s[30:31], vcc
	s_cbranch_execz .LBB1239_864
; %bb.855:                              ;   in Loop: Header=BB1239_819 Depth=1
	v_cmp_lt_u32_e64 s[10:11], v8, v19
	s_and_b64 s[36:37], s[10:11], s[20:21]
	s_and_saveexec_b64 s[34:35], s[36:37]
	s_cbranch_execz .LBB1239_863
; %bb.856:                              ;   in Loop: Header=BB1239_819 Depth=1
	v_pk_mov_b32 v[6:7], s[14:15], s[14:15] op_sel:[0,1]
	v_mad_u64_u32 v[4:5], s[36:37], s22, v26, v[6:7]
	v_mul_lo_u32 v29, s22, v25
	v_mul_lo_u32 v30, s23, v26
	v_add3_u32 v5, v30, v5, v29
	v_mad_u64_u32 v[6:7], s[36:37], s22, v28, v[6:7]
	v_mul_lo_u32 v29, s22, v27
	v_mul_lo_u32 v30, s23, v28
	v_add3_u32 v7, v30, v7, v29
	s_mov_b64 s[36:37], 0
	s_mov_b64 s[42:43], s[12:13]
                                        ; implicit-def: $sgpr38_sgpr39
                                        ; implicit-def: $sgpr40_sgpr41
                                        ; implicit-def: $sgpr44_sgpr45
	s_branch .LBB1239_858
.LBB1239_857:                           ;   in Loop: Header=BB1239_858 Depth=2
	s_or_b64 exec, exec, s[50:51]
	s_and_b64 s[46:47], exec, s[46:47]
	s_or_b64 s[36:37], s[46:47], s[36:37]
	s_andn2_b64 s[38:39], s[38:39], exec
	s_and_b64 s[46:47], s[40:41], exec
	s_or_b64 s[38:39], s[38:39], s[46:47]
	s_andn2_b64 exec, exec, s[36:37]
	s_cbranch_execz .LBB1239_862
.LBB1239_858:                           ;   Parent Loop BB1239_819 Depth=1
                                        ; =>  This Inner Loop Header: Depth=2
	global_load_ushort v29, v[4:5], off
	global_load_ushort v30, v[6:7], off
	s_mov_b64 s[46:47], -1
	s_mov_b64 s[52:53], 0
	s_mov_b64 s[48:49], -1
	s_waitcnt vmcnt(0)
	v_cmp_nlt_f16_e32 vcc, v29, v30
	s_and_saveexec_b64 s[50:51], vcc
; %bb.859:                              ;   in Loop: Header=BB1239_858 Depth=2
	v_cmp_ngt_f16_e32 vcc, v29, v30
	s_and_b64 s[44:45], vcc, s[44:45]
	s_orn2_b64 s[48:49], s[44:45], exec
	s_and_b64 s[52:53], vcc, exec
; %bb.860:                              ;   in Loop: Header=BB1239_858 Depth=2
	s_or_b64 exec, exec, s[50:51]
	s_andn2_b64 s[40:41], s[40:41], exec
	s_and_b64 s[44:45], s[48:49], exec
	s_or_b64 s[40:41], s[40:41], s[44:45]
                                        ; implicit-def: $sgpr44_sgpr45
	s_and_saveexec_b64 s[50:51], s[52:53]
	s_cbranch_execz .LBB1239_857
; %bb.861:                              ;   in Loop: Header=BB1239_858 Depth=2
	s_add_u32 s42, s42, -1
	v_add_co_u32_e32 v4, vcc, 2, v4
	s_addc_u32 s43, s43, -1
	v_addc_co_u32_e32 v5, vcc, 0, v5, vcc
	s_cmp_eq_u64 s[42:43], 0
	v_add_co_u32_e32 v6, vcc, 2, v6
	s_cselect_b64 s[46:47], -1, 0
	v_addc_co_u32_e32 v7, vcc, 0, v7, vcc
	s_and_b64 s[44:45], s[48:49], exec
	s_andn2_b64 s[40:41], s[40:41], exec
	s_orn2_b64 s[46:47], s[46:47], exec
	s_branch .LBB1239_857
.LBB1239_862:                           ;   in Loop: Header=BB1239_819 Depth=1
	s_or_b64 exec, exec, s[36:37]
	s_xor_b64 s[36:37], s[38:39], -1
	s_andn2_b64 s[10:11], s[10:11], exec
	s_and_b64 s[36:37], s[36:37], exec
	s_or_b64 s[10:11], s[10:11], s[36:37]
.LBB1239_863:                           ;   in Loop: Header=BB1239_819 Depth=1
	s_or_b64 exec, exec, s[34:35]
	s_orn2_b64 s[10:11], s[10:11], exec
.LBB1239_864:                           ;   in Loop: Header=BB1239_819 Depth=1
	s_or_b64 exec, exec, s[30:31]
	v_cndmask_b32_e64 v4, v9, v8, s[10:11]
	v_cndmask_b32_e64 v5, v20, v19, s[10:11]
	v_add_u32_e32 v30, 1, v4
	v_add_u32_e32 v4, -1, v5
	v_min_u32_e32 v4, v30, v4
	v_lshlrev_b32_e32 v4, 3, v4
	ds_read_b64 v[4:5], v4
	v_cndmask_b32_e64 v9, v30, v9, s[10:11]
	v_cmp_lt_u32_e32 vcc, v9, v20
	s_waitcnt lgkmcnt(0)
	v_cndmask_b32_e64 v7, v27, v5, s[10:11]
	v_cndmask_b32_e64 v6, v28, v4, s[10:11]
	s_and_saveexec_b64 s[30:31], vcc
	s_cbranch_execz .LBB1239_817
; %bb.865:                              ;   in Loop: Header=BB1239_819 Depth=1
	v_cndmask_b32_e64 v29, v4, v26, s[10:11]
	v_cndmask_b32_e64 v4, v8, v30, s[10:11]
	v_cmp_ge_u32_e32 vcc, v4, v19
	v_cndmask_b32_e64 v20, v5, v25, s[10:11]
	s_or_b64 s[34:35], vcc, s[18:19]
	v_cndmask_b32_e32 v5, v7, v20, vcc
	s_xor_b64 s[36:37], s[34:35], -1
	v_cndmask_b32_e32 v4, v6, v29, vcc
	s_and_saveexec_b64 s[34:35], s[36:37]
	s_cbranch_execz .LBB1239_816
; %bb.866:                              ;   in Loop: Header=BB1239_819 Depth=1
	v_pk_mov_b32 v[8:9], s[14:15], s[14:15] op_sel:[0,1]
	v_mad_u64_u32 v[4:5], s[36:37], s22, v29, v[8:9]
	v_mul_lo_u32 v19, s22, v20
	v_mul_lo_u32 v30, s23, v29
	v_add3_u32 v5, v30, v5, v19
	v_mad_u64_u32 v[8:9], s[36:37], s22, v6, v[8:9]
	v_mul_lo_u32 v19, s22, v7
	v_mul_lo_u32 v30, s23, v6
	v_add3_u32 v9, v30, v9, v19
	s_mov_b64 s[36:37], 0
	s_mov_b64 s[42:43], s[12:13]
                                        ; implicit-def: $sgpr38_sgpr39
                                        ; implicit-def: $sgpr40_sgpr41
                                        ; implicit-def: $sgpr44_sgpr45
	s_branch .LBB1239_868
.LBB1239_867:                           ;   in Loop: Header=BB1239_868 Depth=2
	s_or_b64 exec, exec, s[50:51]
	s_and_b64 s[46:47], exec, s[46:47]
	s_or_b64 s[36:37], s[46:47], s[36:37]
	s_andn2_b64 s[38:39], s[38:39], exec
	s_and_b64 s[46:47], s[40:41], exec
	s_or_b64 s[38:39], s[38:39], s[46:47]
	s_andn2_b64 exec, exec, s[36:37]
	s_cbranch_execz .LBB1239_815
.LBB1239_868:                           ;   Parent Loop BB1239_819 Depth=1
                                        ; =>  This Inner Loop Header: Depth=2
	global_load_ushort v19, v[4:5], off
	global_load_ushort v30, v[8:9], off
	s_mov_b64 s[46:47], -1
	s_mov_b64 s[52:53], 0
	s_mov_b64 s[48:49], -1
	s_waitcnt vmcnt(0)
	v_cmp_nlt_f16_e32 vcc, v19, v30
	s_and_saveexec_b64 s[50:51], vcc
; %bb.869:                              ;   in Loop: Header=BB1239_868 Depth=2
	v_cmp_ngt_f16_e32 vcc, v19, v30
	s_and_b64 s[44:45], vcc, s[44:45]
	s_orn2_b64 s[48:49], s[44:45], exec
	s_and_b64 s[52:53], vcc, exec
; %bb.870:                              ;   in Loop: Header=BB1239_868 Depth=2
	s_or_b64 exec, exec, s[50:51]
	s_andn2_b64 s[40:41], s[40:41], exec
	s_and_b64 s[44:45], s[48:49], exec
	s_or_b64 s[40:41], s[40:41], s[44:45]
                                        ; implicit-def: $sgpr44_sgpr45
	s_and_saveexec_b64 s[50:51], s[52:53]
	s_cbranch_execz .LBB1239_867
; %bb.871:                              ;   in Loop: Header=BB1239_868 Depth=2
	s_add_u32 s42, s42, -1
	v_add_co_u32_e32 v4, vcc, 2, v4
	s_addc_u32 s43, s43, -1
	v_addc_co_u32_e32 v5, vcc, 0, v5, vcc
	s_cmp_eq_u64 s[42:43], 0
	v_add_co_u32_e32 v8, vcc, 2, v8
	s_cselect_b64 s[46:47], -1, 0
	v_addc_co_u32_e32 v9, vcc, 0, v9, vcc
	s_and_b64 s[44:45], s[48:49], exec
	s_andn2_b64 s[40:41], s[40:41], exec
	s_orn2_b64 s[46:47], s[46:47], exec
	s_branch .LBB1239_867
.LBB1239_872:
	s_barrier
	ds_write2_b64 v17, v[0:1], v[2:3] offset1:1
	ds_write2_b64 v17, v[4:5], v[6:7] offset0:2 offset1:3
	s_waitcnt lgkmcnt(0)
	s_barrier
	ds_read_b64 v[6:7], v13 offset:2048
	ds_read_b64 v[2:3], v15 offset:4096
	;; [unrolled: 1-line block ×3, first 2 shown]
	v_mov_b32_e32 v5, s17
	v_add_co_u32_e32 v4, vcc, s16, v22
	v_mov_b32_e32 v13, 0
	v_addc_co_u32_e32 v5, vcc, 0, v5, vcc
	s_and_saveexec_b64 s[6:7], s[0:1]
	s_cbranch_execnz .LBB1239_880
; %bb.873:
	s_or_b64 exec, exec, s[6:7]
	s_and_saveexec_b64 s[0:1], s[2:3]
	s_cbranch_execnz .LBB1239_881
.LBB1239_874:
	s_or_b64 exec, exec, s[0:1]
	s_and_saveexec_b64 s[0:1], s[4:5]
	s_cbranch_execz .LBB1239_876
.LBB1239_875:
	v_add_co_u32_e32 v4, vcc, 0x1000, v4
	v_addc_co_u32_e32 v5, vcc, 0, v5, vcc
	s_waitcnt lgkmcnt(1)
	global_store_dwordx2 v[4:5], v[2:3], off
.LBB1239_876:
	s_or_b64 exec, exec, s[0:1]
.LBB1239_877:
	s_and_saveexec_b64 s[0:1], s[24:25]
	s_cbranch_execz .LBB1239_879
; %bb.878:
	s_waitcnt lgkmcnt(1)
	v_lshlrev_b64 v[2:3], 3, v[12:13]
	v_mov_b32_e32 v4, s17
	v_add_co_u32_e32 v2, vcc, s16, v2
	v_addc_co_u32_e32 v3, vcc, v4, v3, vcc
	v_add_co_u32_e32 v2, vcc, 0x1000, v2
	v_addc_co_u32_e32 v3, vcc, 0, v3, vcc
	s_waitcnt lgkmcnt(0)
	global_store_dwordx2 v[2:3], v[0:1], off offset:2048
.LBB1239_879:
	s_endpgm
.LBB1239_880:
	ds_read_b64 v[8:9], v14
	s_waitcnt lgkmcnt(0)
	global_store_dwordx2 v[4:5], v[8:9], off
	s_or_b64 exec, exec, s[6:7]
	s_and_saveexec_b64 s[0:1], s[2:3]
	s_cbranch_execz .LBB1239_874
.LBB1239_881:
	s_waitcnt lgkmcnt(2)
	global_store_dwordx2 v[4:5], v[6:7], off offset:2048
	s_or_b64 exec, exec, s[0:1]
	s_and_saveexec_b64 s[0:1], s[4:5]
	s_cbranch_execnz .LBB1239_875
	s_branch .LBB1239_876
	.section	.rodata,"a",@progbits
	.p2align	6, 0x0
	.amdhsa_kernel _ZN7rocprim17ROCPRIM_400000_NS6detail17trampoline_kernelINS0_14default_configENS1_37merge_sort_block_sort_config_selectorIlNS0_10empty_typeEEEZNS1_21merge_sort_block_sortIS3_PlS8_PS5_S9_ZN2at6native12_GLOBAL__N_124unique_dim_cuda_templateIN3c104HalfEEESt5tupleIJNSA_6TensorESH_SH_EERKSH_lbbbEUlllE_EE10hipError_tT0_T1_T2_T3_mRjT4_P12ihipStream_tbNS1_7vsmem_tEEUlT_E_NS1_11comp_targetILNS1_3genE4ELNS1_11target_archE910ELNS1_3gpuE8ELNS1_3repE0EEENS1_30default_config_static_selectorELNS0_4arch9wavefront6targetE1EEEvSO_
		.amdhsa_group_segment_fixed_size 8448
		.amdhsa_private_segment_fixed_size 0
		.amdhsa_kernarg_size 328
		.amdhsa_user_sgpr_count 6
		.amdhsa_user_sgpr_private_segment_buffer 1
		.amdhsa_user_sgpr_dispatch_ptr 0
		.amdhsa_user_sgpr_queue_ptr 0
		.amdhsa_user_sgpr_kernarg_segment_ptr 1
		.amdhsa_user_sgpr_dispatch_id 0
		.amdhsa_user_sgpr_flat_scratch_init 0
		.amdhsa_user_sgpr_kernarg_preload_length 0
		.amdhsa_user_sgpr_kernarg_preload_offset 0
		.amdhsa_user_sgpr_private_segment_size 0
		.amdhsa_uses_dynamic_stack 0
		.amdhsa_system_sgpr_private_segment_wavefront_offset 0
		.amdhsa_system_sgpr_workgroup_id_x 1
		.amdhsa_system_sgpr_workgroup_id_y 1
		.amdhsa_system_sgpr_workgroup_id_z 1
		.amdhsa_system_sgpr_workgroup_info 0
		.amdhsa_system_vgpr_workitem_id 2
		.amdhsa_next_free_vgpr 42
		.amdhsa_next_free_sgpr 55
		.amdhsa_accum_offset 44
		.amdhsa_reserve_vcc 1
		.amdhsa_reserve_flat_scratch 0
		.amdhsa_float_round_mode_32 0
		.amdhsa_float_round_mode_16_64 0
		.amdhsa_float_denorm_mode_32 3
		.amdhsa_float_denorm_mode_16_64 3
		.amdhsa_dx10_clamp 1
		.amdhsa_ieee_mode 1
		.amdhsa_fp16_overflow 0
		.amdhsa_tg_split 0
		.amdhsa_exception_fp_ieee_invalid_op 0
		.amdhsa_exception_fp_denorm_src 0
		.amdhsa_exception_fp_ieee_div_zero 0
		.amdhsa_exception_fp_ieee_overflow 0
		.amdhsa_exception_fp_ieee_underflow 0
		.amdhsa_exception_fp_ieee_inexact 0
		.amdhsa_exception_int_div_zero 0
	.end_amdhsa_kernel
	.section	.text._ZN7rocprim17ROCPRIM_400000_NS6detail17trampoline_kernelINS0_14default_configENS1_37merge_sort_block_sort_config_selectorIlNS0_10empty_typeEEEZNS1_21merge_sort_block_sortIS3_PlS8_PS5_S9_ZN2at6native12_GLOBAL__N_124unique_dim_cuda_templateIN3c104HalfEEESt5tupleIJNSA_6TensorESH_SH_EERKSH_lbbbEUlllE_EE10hipError_tT0_T1_T2_T3_mRjT4_P12ihipStream_tbNS1_7vsmem_tEEUlT_E_NS1_11comp_targetILNS1_3genE4ELNS1_11target_archE910ELNS1_3gpuE8ELNS1_3repE0EEENS1_30default_config_static_selectorELNS0_4arch9wavefront6targetE1EEEvSO_,"axG",@progbits,_ZN7rocprim17ROCPRIM_400000_NS6detail17trampoline_kernelINS0_14default_configENS1_37merge_sort_block_sort_config_selectorIlNS0_10empty_typeEEEZNS1_21merge_sort_block_sortIS3_PlS8_PS5_S9_ZN2at6native12_GLOBAL__N_124unique_dim_cuda_templateIN3c104HalfEEESt5tupleIJNSA_6TensorESH_SH_EERKSH_lbbbEUlllE_EE10hipError_tT0_T1_T2_T3_mRjT4_P12ihipStream_tbNS1_7vsmem_tEEUlT_E_NS1_11comp_targetILNS1_3genE4ELNS1_11target_archE910ELNS1_3gpuE8ELNS1_3repE0EEENS1_30default_config_static_selectorELNS0_4arch9wavefront6targetE1EEEvSO_,comdat
.Lfunc_end1239:
	.size	_ZN7rocprim17ROCPRIM_400000_NS6detail17trampoline_kernelINS0_14default_configENS1_37merge_sort_block_sort_config_selectorIlNS0_10empty_typeEEEZNS1_21merge_sort_block_sortIS3_PlS8_PS5_S9_ZN2at6native12_GLOBAL__N_124unique_dim_cuda_templateIN3c104HalfEEESt5tupleIJNSA_6TensorESH_SH_EERKSH_lbbbEUlllE_EE10hipError_tT0_T1_T2_T3_mRjT4_P12ihipStream_tbNS1_7vsmem_tEEUlT_E_NS1_11comp_targetILNS1_3genE4ELNS1_11target_archE910ELNS1_3gpuE8ELNS1_3repE0EEENS1_30default_config_static_selectorELNS0_4arch9wavefront6targetE1EEEvSO_, .Lfunc_end1239-_ZN7rocprim17ROCPRIM_400000_NS6detail17trampoline_kernelINS0_14default_configENS1_37merge_sort_block_sort_config_selectorIlNS0_10empty_typeEEEZNS1_21merge_sort_block_sortIS3_PlS8_PS5_S9_ZN2at6native12_GLOBAL__N_124unique_dim_cuda_templateIN3c104HalfEEESt5tupleIJNSA_6TensorESH_SH_EERKSH_lbbbEUlllE_EE10hipError_tT0_T1_T2_T3_mRjT4_P12ihipStream_tbNS1_7vsmem_tEEUlT_E_NS1_11comp_targetILNS1_3genE4ELNS1_11target_archE910ELNS1_3gpuE8ELNS1_3repE0EEENS1_30default_config_static_selectorELNS0_4arch9wavefront6targetE1EEEvSO_
                                        ; -- End function
	.section	.AMDGPU.csdata,"",@progbits
; Kernel info:
; codeLenInByte = 35936
; NumSgprs: 59
; NumVgprs: 42
; NumAgprs: 0
; TotalNumVgprs: 42
; ScratchSize: 0
; MemoryBound: 0
; FloatMode: 240
; IeeeMode: 1
; LDSByteSize: 8448 bytes/workgroup (compile time only)
; SGPRBlocks: 7
; VGPRBlocks: 5
; NumSGPRsForWavesPerEU: 59
; NumVGPRsForWavesPerEU: 42
; AccumOffset: 44
; Occupancy: 7
; WaveLimiterHint : 1
; COMPUTE_PGM_RSRC2:SCRATCH_EN: 0
; COMPUTE_PGM_RSRC2:USER_SGPR: 6
; COMPUTE_PGM_RSRC2:TRAP_HANDLER: 0
; COMPUTE_PGM_RSRC2:TGID_X_EN: 1
; COMPUTE_PGM_RSRC2:TGID_Y_EN: 1
; COMPUTE_PGM_RSRC2:TGID_Z_EN: 1
; COMPUTE_PGM_RSRC2:TIDIG_COMP_CNT: 2
; COMPUTE_PGM_RSRC3_GFX90A:ACCUM_OFFSET: 10
; COMPUTE_PGM_RSRC3_GFX90A:TG_SPLIT: 0
	.section	.text._ZN7rocprim17ROCPRIM_400000_NS6detail17trampoline_kernelINS0_14default_configENS1_37merge_sort_block_sort_config_selectorIlNS0_10empty_typeEEEZNS1_21merge_sort_block_sortIS3_PlS8_PS5_S9_ZN2at6native12_GLOBAL__N_124unique_dim_cuda_templateIN3c104HalfEEESt5tupleIJNSA_6TensorESH_SH_EERKSH_lbbbEUlllE_EE10hipError_tT0_T1_T2_T3_mRjT4_P12ihipStream_tbNS1_7vsmem_tEEUlT_E_NS1_11comp_targetILNS1_3genE3ELNS1_11target_archE908ELNS1_3gpuE7ELNS1_3repE0EEENS1_30default_config_static_selectorELNS0_4arch9wavefront6targetE1EEEvSO_,"axG",@progbits,_ZN7rocprim17ROCPRIM_400000_NS6detail17trampoline_kernelINS0_14default_configENS1_37merge_sort_block_sort_config_selectorIlNS0_10empty_typeEEEZNS1_21merge_sort_block_sortIS3_PlS8_PS5_S9_ZN2at6native12_GLOBAL__N_124unique_dim_cuda_templateIN3c104HalfEEESt5tupleIJNSA_6TensorESH_SH_EERKSH_lbbbEUlllE_EE10hipError_tT0_T1_T2_T3_mRjT4_P12ihipStream_tbNS1_7vsmem_tEEUlT_E_NS1_11comp_targetILNS1_3genE3ELNS1_11target_archE908ELNS1_3gpuE7ELNS1_3repE0EEENS1_30default_config_static_selectorELNS0_4arch9wavefront6targetE1EEEvSO_,comdat
	.globl	_ZN7rocprim17ROCPRIM_400000_NS6detail17trampoline_kernelINS0_14default_configENS1_37merge_sort_block_sort_config_selectorIlNS0_10empty_typeEEEZNS1_21merge_sort_block_sortIS3_PlS8_PS5_S9_ZN2at6native12_GLOBAL__N_124unique_dim_cuda_templateIN3c104HalfEEESt5tupleIJNSA_6TensorESH_SH_EERKSH_lbbbEUlllE_EE10hipError_tT0_T1_T2_T3_mRjT4_P12ihipStream_tbNS1_7vsmem_tEEUlT_E_NS1_11comp_targetILNS1_3genE3ELNS1_11target_archE908ELNS1_3gpuE7ELNS1_3repE0EEENS1_30default_config_static_selectorELNS0_4arch9wavefront6targetE1EEEvSO_ ; -- Begin function _ZN7rocprim17ROCPRIM_400000_NS6detail17trampoline_kernelINS0_14default_configENS1_37merge_sort_block_sort_config_selectorIlNS0_10empty_typeEEEZNS1_21merge_sort_block_sortIS3_PlS8_PS5_S9_ZN2at6native12_GLOBAL__N_124unique_dim_cuda_templateIN3c104HalfEEESt5tupleIJNSA_6TensorESH_SH_EERKSH_lbbbEUlllE_EE10hipError_tT0_T1_T2_T3_mRjT4_P12ihipStream_tbNS1_7vsmem_tEEUlT_E_NS1_11comp_targetILNS1_3genE3ELNS1_11target_archE908ELNS1_3gpuE7ELNS1_3repE0EEENS1_30default_config_static_selectorELNS0_4arch9wavefront6targetE1EEEvSO_
	.p2align	8
	.type	_ZN7rocprim17ROCPRIM_400000_NS6detail17trampoline_kernelINS0_14default_configENS1_37merge_sort_block_sort_config_selectorIlNS0_10empty_typeEEEZNS1_21merge_sort_block_sortIS3_PlS8_PS5_S9_ZN2at6native12_GLOBAL__N_124unique_dim_cuda_templateIN3c104HalfEEESt5tupleIJNSA_6TensorESH_SH_EERKSH_lbbbEUlllE_EE10hipError_tT0_T1_T2_T3_mRjT4_P12ihipStream_tbNS1_7vsmem_tEEUlT_E_NS1_11comp_targetILNS1_3genE3ELNS1_11target_archE908ELNS1_3gpuE7ELNS1_3repE0EEENS1_30default_config_static_selectorELNS0_4arch9wavefront6targetE1EEEvSO_,@function
_ZN7rocprim17ROCPRIM_400000_NS6detail17trampoline_kernelINS0_14default_configENS1_37merge_sort_block_sort_config_selectorIlNS0_10empty_typeEEEZNS1_21merge_sort_block_sortIS3_PlS8_PS5_S9_ZN2at6native12_GLOBAL__N_124unique_dim_cuda_templateIN3c104HalfEEESt5tupleIJNSA_6TensorESH_SH_EERKSH_lbbbEUlllE_EE10hipError_tT0_T1_T2_T3_mRjT4_P12ihipStream_tbNS1_7vsmem_tEEUlT_E_NS1_11comp_targetILNS1_3genE3ELNS1_11target_archE908ELNS1_3gpuE7ELNS1_3repE0EEENS1_30default_config_static_selectorELNS0_4arch9wavefront6targetE1EEEvSO_: ; @_ZN7rocprim17ROCPRIM_400000_NS6detail17trampoline_kernelINS0_14default_configENS1_37merge_sort_block_sort_config_selectorIlNS0_10empty_typeEEEZNS1_21merge_sort_block_sortIS3_PlS8_PS5_S9_ZN2at6native12_GLOBAL__N_124unique_dim_cuda_templateIN3c104HalfEEESt5tupleIJNSA_6TensorESH_SH_EERKSH_lbbbEUlllE_EE10hipError_tT0_T1_T2_T3_mRjT4_P12ihipStream_tbNS1_7vsmem_tEEUlT_E_NS1_11comp_targetILNS1_3genE3ELNS1_11target_archE908ELNS1_3gpuE7ELNS1_3repE0EEENS1_30default_config_static_selectorELNS0_4arch9wavefront6targetE1EEEvSO_
; %bb.0:
	.section	.rodata,"a",@progbits
	.p2align	6, 0x0
	.amdhsa_kernel _ZN7rocprim17ROCPRIM_400000_NS6detail17trampoline_kernelINS0_14default_configENS1_37merge_sort_block_sort_config_selectorIlNS0_10empty_typeEEEZNS1_21merge_sort_block_sortIS3_PlS8_PS5_S9_ZN2at6native12_GLOBAL__N_124unique_dim_cuda_templateIN3c104HalfEEESt5tupleIJNSA_6TensorESH_SH_EERKSH_lbbbEUlllE_EE10hipError_tT0_T1_T2_T3_mRjT4_P12ihipStream_tbNS1_7vsmem_tEEUlT_E_NS1_11comp_targetILNS1_3genE3ELNS1_11target_archE908ELNS1_3gpuE7ELNS1_3repE0EEENS1_30default_config_static_selectorELNS0_4arch9wavefront6targetE1EEEvSO_
		.amdhsa_group_segment_fixed_size 0
		.amdhsa_private_segment_fixed_size 0
		.amdhsa_kernarg_size 72
		.amdhsa_user_sgpr_count 6
		.amdhsa_user_sgpr_private_segment_buffer 1
		.amdhsa_user_sgpr_dispatch_ptr 0
		.amdhsa_user_sgpr_queue_ptr 0
		.amdhsa_user_sgpr_kernarg_segment_ptr 1
		.amdhsa_user_sgpr_dispatch_id 0
		.amdhsa_user_sgpr_flat_scratch_init 0
		.amdhsa_user_sgpr_kernarg_preload_length 0
		.amdhsa_user_sgpr_kernarg_preload_offset 0
		.amdhsa_user_sgpr_private_segment_size 0
		.amdhsa_uses_dynamic_stack 0
		.amdhsa_system_sgpr_private_segment_wavefront_offset 0
		.amdhsa_system_sgpr_workgroup_id_x 1
		.amdhsa_system_sgpr_workgroup_id_y 0
		.amdhsa_system_sgpr_workgroup_id_z 0
		.amdhsa_system_sgpr_workgroup_info 0
		.amdhsa_system_vgpr_workitem_id 0
		.amdhsa_next_free_vgpr 1
		.amdhsa_next_free_sgpr 0
		.amdhsa_accum_offset 4
		.amdhsa_reserve_vcc 0
		.amdhsa_reserve_flat_scratch 0
		.amdhsa_float_round_mode_32 0
		.amdhsa_float_round_mode_16_64 0
		.amdhsa_float_denorm_mode_32 3
		.amdhsa_float_denorm_mode_16_64 3
		.amdhsa_dx10_clamp 1
		.amdhsa_ieee_mode 1
		.amdhsa_fp16_overflow 0
		.amdhsa_tg_split 0
		.amdhsa_exception_fp_ieee_invalid_op 0
		.amdhsa_exception_fp_denorm_src 0
		.amdhsa_exception_fp_ieee_div_zero 0
		.amdhsa_exception_fp_ieee_overflow 0
		.amdhsa_exception_fp_ieee_underflow 0
		.amdhsa_exception_fp_ieee_inexact 0
		.amdhsa_exception_int_div_zero 0
	.end_amdhsa_kernel
	.section	.text._ZN7rocprim17ROCPRIM_400000_NS6detail17trampoline_kernelINS0_14default_configENS1_37merge_sort_block_sort_config_selectorIlNS0_10empty_typeEEEZNS1_21merge_sort_block_sortIS3_PlS8_PS5_S9_ZN2at6native12_GLOBAL__N_124unique_dim_cuda_templateIN3c104HalfEEESt5tupleIJNSA_6TensorESH_SH_EERKSH_lbbbEUlllE_EE10hipError_tT0_T1_T2_T3_mRjT4_P12ihipStream_tbNS1_7vsmem_tEEUlT_E_NS1_11comp_targetILNS1_3genE3ELNS1_11target_archE908ELNS1_3gpuE7ELNS1_3repE0EEENS1_30default_config_static_selectorELNS0_4arch9wavefront6targetE1EEEvSO_,"axG",@progbits,_ZN7rocprim17ROCPRIM_400000_NS6detail17trampoline_kernelINS0_14default_configENS1_37merge_sort_block_sort_config_selectorIlNS0_10empty_typeEEEZNS1_21merge_sort_block_sortIS3_PlS8_PS5_S9_ZN2at6native12_GLOBAL__N_124unique_dim_cuda_templateIN3c104HalfEEESt5tupleIJNSA_6TensorESH_SH_EERKSH_lbbbEUlllE_EE10hipError_tT0_T1_T2_T3_mRjT4_P12ihipStream_tbNS1_7vsmem_tEEUlT_E_NS1_11comp_targetILNS1_3genE3ELNS1_11target_archE908ELNS1_3gpuE7ELNS1_3repE0EEENS1_30default_config_static_selectorELNS0_4arch9wavefront6targetE1EEEvSO_,comdat
.Lfunc_end1240:
	.size	_ZN7rocprim17ROCPRIM_400000_NS6detail17trampoline_kernelINS0_14default_configENS1_37merge_sort_block_sort_config_selectorIlNS0_10empty_typeEEEZNS1_21merge_sort_block_sortIS3_PlS8_PS5_S9_ZN2at6native12_GLOBAL__N_124unique_dim_cuda_templateIN3c104HalfEEESt5tupleIJNSA_6TensorESH_SH_EERKSH_lbbbEUlllE_EE10hipError_tT0_T1_T2_T3_mRjT4_P12ihipStream_tbNS1_7vsmem_tEEUlT_E_NS1_11comp_targetILNS1_3genE3ELNS1_11target_archE908ELNS1_3gpuE7ELNS1_3repE0EEENS1_30default_config_static_selectorELNS0_4arch9wavefront6targetE1EEEvSO_, .Lfunc_end1240-_ZN7rocprim17ROCPRIM_400000_NS6detail17trampoline_kernelINS0_14default_configENS1_37merge_sort_block_sort_config_selectorIlNS0_10empty_typeEEEZNS1_21merge_sort_block_sortIS3_PlS8_PS5_S9_ZN2at6native12_GLOBAL__N_124unique_dim_cuda_templateIN3c104HalfEEESt5tupleIJNSA_6TensorESH_SH_EERKSH_lbbbEUlllE_EE10hipError_tT0_T1_T2_T3_mRjT4_P12ihipStream_tbNS1_7vsmem_tEEUlT_E_NS1_11comp_targetILNS1_3genE3ELNS1_11target_archE908ELNS1_3gpuE7ELNS1_3repE0EEENS1_30default_config_static_selectorELNS0_4arch9wavefront6targetE1EEEvSO_
                                        ; -- End function
	.section	.AMDGPU.csdata,"",@progbits
; Kernel info:
; codeLenInByte = 0
; NumSgprs: 4
; NumVgprs: 0
; NumAgprs: 0
; TotalNumVgprs: 0
; ScratchSize: 0
; MemoryBound: 0
; FloatMode: 240
; IeeeMode: 1
; LDSByteSize: 0 bytes/workgroup (compile time only)
; SGPRBlocks: 0
; VGPRBlocks: 0
; NumSGPRsForWavesPerEU: 4
; NumVGPRsForWavesPerEU: 1
; AccumOffset: 4
; Occupancy: 8
; WaveLimiterHint : 0
; COMPUTE_PGM_RSRC2:SCRATCH_EN: 0
; COMPUTE_PGM_RSRC2:USER_SGPR: 6
; COMPUTE_PGM_RSRC2:TRAP_HANDLER: 0
; COMPUTE_PGM_RSRC2:TGID_X_EN: 1
; COMPUTE_PGM_RSRC2:TGID_Y_EN: 0
; COMPUTE_PGM_RSRC2:TGID_Z_EN: 0
; COMPUTE_PGM_RSRC2:TIDIG_COMP_CNT: 0
; COMPUTE_PGM_RSRC3_GFX90A:ACCUM_OFFSET: 0
; COMPUTE_PGM_RSRC3_GFX90A:TG_SPLIT: 0
	.section	.text._ZN7rocprim17ROCPRIM_400000_NS6detail17trampoline_kernelINS0_14default_configENS1_37merge_sort_block_sort_config_selectorIlNS0_10empty_typeEEEZNS1_21merge_sort_block_sortIS3_PlS8_PS5_S9_ZN2at6native12_GLOBAL__N_124unique_dim_cuda_templateIN3c104HalfEEESt5tupleIJNSA_6TensorESH_SH_EERKSH_lbbbEUlllE_EE10hipError_tT0_T1_T2_T3_mRjT4_P12ihipStream_tbNS1_7vsmem_tEEUlT_E_NS1_11comp_targetILNS1_3genE2ELNS1_11target_archE906ELNS1_3gpuE6ELNS1_3repE0EEENS1_30default_config_static_selectorELNS0_4arch9wavefront6targetE1EEEvSO_,"axG",@progbits,_ZN7rocprim17ROCPRIM_400000_NS6detail17trampoline_kernelINS0_14default_configENS1_37merge_sort_block_sort_config_selectorIlNS0_10empty_typeEEEZNS1_21merge_sort_block_sortIS3_PlS8_PS5_S9_ZN2at6native12_GLOBAL__N_124unique_dim_cuda_templateIN3c104HalfEEESt5tupleIJNSA_6TensorESH_SH_EERKSH_lbbbEUlllE_EE10hipError_tT0_T1_T2_T3_mRjT4_P12ihipStream_tbNS1_7vsmem_tEEUlT_E_NS1_11comp_targetILNS1_3genE2ELNS1_11target_archE906ELNS1_3gpuE6ELNS1_3repE0EEENS1_30default_config_static_selectorELNS0_4arch9wavefront6targetE1EEEvSO_,comdat
	.globl	_ZN7rocprim17ROCPRIM_400000_NS6detail17trampoline_kernelINS0_14default_configENS1_37merge_sort_block_sort_config_selectorIlNS0_10empty_typeEEEZNS1_21merge_sort_block_sortIS3_PlS8_PS5_S9_ZN2at6native12_GLOBAL__N_124unique_dim_cuda_templateIN3c104HalfEEESt5tupleIJNSA_6TensorESH_SH_EERKSH_lbbbEUlllE_EE10hipError_tT0_T1_T2_T3_mRjT4_P12ihipStream_tbNS1_7vsmem_tEEUlT_E_NS1_11comp_targetILNS1_3genE2ELNS1_11target_archE906ELNS1_3gpuE6ELNS1_3repE0EEENS1_30default_config_static_selectorELNS0_4arch9wavefront6targetE1EEEvSO_ ; -- Begin function _ZN7rocprim17ROCPRIM_400000_NS6detail17trampoline_kernelINS0_14default_configENS1_37merge_sort_block_sort_config_selectorIlNS0_10empty_typeEEEZNS1_21merge_sort_block_sortIS3_PlS8_PS5_S9_ZN2at6native12_GLOBAL__N_124unique_dim_cuda_templateIN3c104HalfEEESt5tupleIJNSA_6TensorESH_SH_EERKSH_lbbbEUlllE_EE10hipError_tT0_T1_T2_T3_mRjT4_P12ihipStream_tbNS1_7vsmem_tEEUlT_E_NS1_11comp_targetILNS1_3genE2ELNS1_11target_archE906ELNS1_3gpuE6ELNS1_3repE0EEENS1_30default_config_static_selectorELNS0_4arch9wavefront6targetE1EEEvSO_
	.p2align	8
	.type	_ZN7rocprim17ROCPRIM_400000_NS6detail17trampoline_kernelINS0_14default_configENS1_37merge_sort_block_sort_config_selectorIlNS0_10empty_typeEEEZNS1_21merge_sort_block_sortIS3_PlS8_PS5_S9_ZN2at6native12_GLOBAL__N_124unique_dim_cuda_templateIN3c104HalfEEESt5tupleIJNSA_6TensorESH_SH_EERKSH_lbbbEUlllE_EE10hipError_tT0_T1_T2_T3_mRjT4_P12ihipStream_tbNS1_7vsmem_tEEUlT_E_NS1_11comp_targetILNS1_3genE2ELNS1_11target_archE906ELNS1_3gpuE6ELNS1_3repE0EEENS1_30default_config_static_selectorELNS0_4arch9wavefront6targetE1EEEvSO_,@function
_ZN7rocprim17ROCPRIM_400000_NS6detail17trampoline_kernelINS0_14default_configENS1_37merge_sort_block_sort_config_selectorIlNS0_10empty_typeEEEZNS1_21merge_sort_block_sortIS3_PlS8_PS5_S9_ZN2at6native12_GLOBAL__N_124unique_dim_cuda_templateIN3c104HalfEEESt5tupleIJNSA_6TensorESH_SH_EERKSH_lbbbEUlllE_EE10hipError_tT0_T1_T2_T3_mRjT4_P12ihipStream_tbNS1_7vsmem_tEEUlT_E_NS1_11comp_targetILNS1_3genE2ELNS1_11target_archE906ELNS1_3gpuE6ELNS1_3repE0EEENS1_30default_config_static_selectorELNS0_4arch9wavefront6targetE1EEEvSO_: ; @_ZN7rocprim17ROCPRIM_400000_NS6detail17trampoline_kernelINS0_14default_configENS1_37merge_sort_block_sort_config_selectorIlNS0_10empty_typeEEEZNS1_21merge_sort_block_sortIS3_PlS8_PS5_S9_ZN2at6native12_GLOBAL__N_124unique_dim_cuda_templateIN3c104HalfEEESt5tupleIJNSA_6TensorESH_SH_EERKSH_lbbbEUlllE_EE10hipError_tT0_T1_T2_T3_mRjT4_P12ihipStream_tbNS1_7vsmem_tEEUlT_E_NS1_11comp_targetILNS1_3genE2ELNS1_11target_archE906ELNS1_3gpuE6ELNS1_3repE0EEENS1_30default_config_static_selectorELNS0_4arch9wavefront6targetE1EEEvSO_
; %bb.0:
	.section	.rodata,"a",@progbits
	.p2align	6, 0x0
	.amdhsa_kernel _ZN7rocprim17ROCPRIM_400000_NS6detail17trampoline_kernelINS0_14default_configENS1_37merge_sort_block_sort_config_selectorIlNS0_10empty_typeEEEZNS1_21merge_sort_block_sortIS3_PlS8_PS5_S9_ZN2at6native12_GLOBAL__N_124unique_dim_cuda_templateIN3c104HalfEEESt5tupleIJNSA_6TensorESH_SH_EERKSH_lbbbEUlllE_EE10hipError_tT0_T1_T2_T3_mRjT4_P12ihipStream_tbNS1_7vsmem_tEEUlT_E_NS1_11comp_targetILNS1_3genE2ELNS1_11target_archE906ELNS1_3gpuE6ELNS1_3repE0EEENS1_30default_config_static_selectorELNS0_4arch9wavefront6targetE1EEEvSO_
		.amdhsa_group_segment_fixed_size 0
		.amdhsa_private_segment_fixed_size 0
		.amdhsa_kernarg_size 72
		.amdhsa_user_sgpr_count 6
		.amdhsa_user_sgpr_private_segment_buffer 1
		.amdhsa_user_sgpr_dispatch_ptr 0
		.amdhsa_user_sgpr_queue_ptr 0
		.amdhsa_user_sgpr_kernarg_segment_ptr 1
		.amdhsa_user_sgpr_dispatch_id 0
		.amdhsa_user_sgpr_flat_scratch_init 0
		.amdhsa_user_sgpr_kernarg_preload_length 0
		.amdhsa_user_sgpr_kernarg_preload_offset 0
		.amdhsa_user_sgpr_private_segment_size 0
		.amdhsa_uses_dynamic_stack 0
		.amdhsa_system_sgpr_private_segment_wavefront_offset 0
		.amdhsa_system_sgpr_workgroup_id_x 1
		.amdhsa_system_sgpr_workgroup_id_y 0
		.amdhsa_system_sgpr_workgroup_id_z 0
		.amdhsa_system_sgpr_workgroup_info 0
		.amdhsa_system_vgpr_workitem_id 0
		.amdhsa_next_free_vgpr 1
		.amdhsa_next_free_sgpr 0
		.amdhsa_accum_offset 4
		.amdhsa_reserve_vcc 0
		.amdhsa_reserve_flat_scratch 0
		.amdhsa_float_round_mode_32 0
		.amdhsa_float_round_mode_16_64 0
		.amdhsa_float_denorm_mode_32 3
		.amdhsa_float_denorm_mode_16_64 3
		.amdhsa_dx10_clamp 1
		.amdhsa_ieee_mode 1
		.amdhsa_fp16_overflow 0
		.amdhsa_tg_split 0
		.amdhsa_exception_fp_ieee_invalid_op 0
		.amdhsa_exception_fp_denorm_src 0
		.amdhsa_exception_fp_ieee_div_zero 0
		.amdhsa_exception_fp_ieee_overflow 0
		.amdhsa_exception_fp_ieee_underflow 0
		.amdhsa_exception_fp_ieee_inexact 0
		.amdhsa_exception_int_div_zero 0
	.end_amdhsa_kernel
	.section	.text._ZN7rocprim17ROCPRIM_400000_NS6detail17trampoline_kernelINS0_14default_configENS1_37merge_sort_block_sort_config_selectorIlNS0_10empty_typeEEEZNS1_21merge_sort_block_sortIS3_PlS8_PS5_S9_ZN2at6native12_GLOBAL__N_124unique_dim_cuda_templateIN3c104HalfEEESt5tupleIJNSA_6TensorESH_SH_EERKSH_lbbbEUlllE_EE10hipError_tT0_T1_T2_T3_mRjT4_P12ihipStream_tbNS1_7vsmem_tEEUlT_E_NS1_11comp_targetILNS1_3genE2ELNS1_11target_archE906ELNS1_3gpuE6ELNS1_3repE0EEENS1_30default_config_static_selectorELNS0_4arch9wavefront6targetE1EEEvSO_,"axG",@progbits,_ZN7rocprim17ROCPRIM_400000_NS6detail17trampoline_kernelINS0_14default_configENS1_37merge_sort_block_sort_config_selectorIlNS0_10empty_typeEEEZNS1_21merge_sort_block_sortIS3_PlS8_PS5_S9_ZN2at6native12_GLOBAL__N_124unique_dim_cuda_templateIN3c104HalfEEESt5tupleIJNSA_6TensorESH_SH_EERKSH_lbbbEUlllE_EE10hipError_tT0_T1_T2_T3_mRjT4_P12ihipStream_tbNS1_7vsmem_tEEUlT_E_NS1_11comp_targetILNS1_3genE2ELNS1_11target_archE906ELNS1_3gpuE6ELNS1_3repE0EEENS1_30default_config_static_selectorELNS0_4arch9wavefront6targetE1EEEvSO_,comdat
.Lfunc_end1241:
	.size	_ZN7rocprim17ROCPRIM_400000_NS6detail17trampoline_kernelINS0_14default_configENS1_37merge_sort_block_sort_config_selectorIlNS0_10empty_typeEEEZNS1_21merge_sort_block_sortIS3_PlS8_PS5_S9_ZN2at6native12_GLOBAL__N_124unique_dim_cuda_templateIN3c104HalfEEESt5tupleIJNSA_6TensorESH_SH_EERKSH_lbbbEUlllE_EE10hipError_tT0_T1_T2_T3_mRjT4_P12ihipStream_tbNS1_7vsmem_tEEUlT_E_NS1_11comp_targetILNS1_3genE2ELNS1_11target_archE906ELNS1_3gpuE6ELNS1_3repE0EEENS1_30default_config_static_selectorELNS0_4arch9wavefront6targetE1EEEvSO_, .Lfunc_end1241-_ZN7rocprim17ROCPRIM_400000_NS6detail17trampoline_kernelINS0_14default_configENS1_37merge_sort_block_sort_config_selectorIlNS0_10empty_typeEEEZNS1_21merge_sort_block_sortIS3_PlS8_PS5_S9_ZN2at6native12_GLOBAL__N_124unique_dim_cuda_templateIN3c104HalfEEESt5tupleIJNSA_6TensorESH_SH_EERKSH_lbbbEUlllE_EE10hipError_tT0_T1_T2_T3_mRjT4_P12ihipStream_tbNS1_7vsmem_tEEUlT_E_NS1_11comp_targetILNS1_3genE2ELNS1_11target_archE906ELNS1_3gpuE6ELNS1_3repE0EEENS1_30default_config_static_selectorELNS0_4arch9wavefront6targetE1EEEvSO_
                                        ; -- End function
	.section	.AMDGPU.csdata,"",@progbits
; Kernel info:
; codeLenInByte = 0
; NumSgprs: 4
; NumVgprs: 0
; NumAgprs: 0
; TotalNumVgprs: 0
; ScratchSize: 0
; MemoryBound: 0
; FloatMode: 240
; IeeeMode: 1
; LDSByteSize: 0 bytes/workgroup (compile time only)
; SGPRBlocks: 0
; VGPRBlocks: 0
; NumSGPRsForWavesPerEU: 4
; NumVGPRsForWavesPerEU: 1
; AccumOffset: 4
; Occupancy: 8
; WaveLimiterHint : 0
; COMPUTE_PGM_RSRC2:SCRATCH_EN: 0
; COMPUTE_PGM_RSRC2:USER_SGPR: 6
; COMPUTE_PGM_RSRC2:TRAP_HANDLER: 0
; COMPUTE_PGM_RSRC2:TGID_X_EN: 1
; COMPUTE_PGM_RSRC2:TGID_Y_EN: 0
; COMPUTE_PGM_RSRC2:TGID_Z_EN: 0
; COMPUTE_PGM_RSRC2:TIDIG_COMP_CNT: 0
; COMPUTE_PGM_RSRC3_GFX90A:ACCUM_OFFSET: 0
; COMPUTE_PGM_RSRC3_GFX90A:TG_SPLIT: 0
	.section	.text._ZN7rocprim17ROCPRIM_400000_NS6detail17trampoline_kernelINS0_14default_configENS1_37merge_sort_block_sort_config_selectorIlNS0_10empty_typeEEEZNS1_21merge_sort_block_sortIS3_PlS8_PS5_S9_ZN2at6native12_GLOBAL__N_124unique_dim_cuda_templateIN3c104HalfEEESt5tupleIJNSA_6TensorESH_SH_EERKSH_lbbbEUlllE_EE10hipError_tT0_T1_T2_T3_mRjT4_P12ihipStream_tbNS1_7vsmem_tEEUlT_E_NS1_11comp_targetILNS1_3genE10ELNS1_11target_archE1201ELNS1_3gpuE5ELNS1_3repE0EEENS1_30default_config_static_selectorELNS0_4arch9wavefront6targetE1EEEvSO_,"axG",@progbits,_ZN7rocprim17ROCPRIM_400000_NS6detail17trampoline_kernelINS0_14default_configENS1_37merge_sort_block_sort_config_selectorIlNS0_10empty_typeEEEZNS1_21merge_sort_block_sortIS3_PlS8_PS5_S9_ZN2at6native12_GLOBAL__N_124unique_dim_cuda_templateIN3c104HalfEEESt5tupleIJNSA_6TensorESH_SH_EERKSH_lbbbEUlllE_EE10hipError_tT0_T1_T2_T3_mRjT4_P12ihipStream_tbNS1_7vsmem_tEEUlT_E_NS1_11comp_targetILNS1_3genE10ELNS1_11target_archE1201ELNS1_3gpuE5ELNS1_3repE0EEENS1_30default_config_static_selectorELNS0_4arch9wavefront6targetE1EEEvSO_,comdat
	.globl	_ZN7rocprim17ROCPRIM_400000_NS6detail17trampoline_kernelINS0_14default_configENS1_37merge_sort_block_sort_config_selectorIlNS0_10empty_typeEEEZNS1_21merge_sort_block_sortIS3_PlS8_PS5_S9_ZN2at6native12_GLOBAL__N_124unique_dim_cuda_templateIN3c104HalfEEESt5tupleIJNSA_6TensorESH_SH_EERKSH_lbbbEUlllE_EE10hipError_tT0_T1_T2_T3_mRjT4_P12ihipStream_tbNS1_7vsmem_tEEUlT_E_NS1_11comp_targetILNS1_3genE10ELNS1_11target_archE1201ELNS1_3gpuE5ELNS1_3repE0EEENS1_30default_config_static_selectorELNS0_4arch9wavefront6targetE1EEEvSO_ ; -- Begin function _ZN7rocprim17ROCPRIM_400000_NS6detail17trampoline_kernelINS0_14default_configENS1_37merge_sort_block_sort_config_selectorIlNS0_10empty_typeEEEZNS1_21merge_sort_block_sortIS3_PlS8_PS5_S9_ZN2at6native12_GLOBAL__N_124unique_dim_cuda_templateIN3c104HalfEEESt5tupleIJNSA_6TensorESH_SH_EERKSH_lbbbEUlllE_EE10hipError_tT0_T1_T2_T3_mRjT4_P12ihipStream_tbNS1_7vsmem_tEEUlT_E_NS1_11comp_targetILNS1_3genE10ELNS1_11target_archE1201ELNS1_3gpuE5ELNS1_3repE0EEENS1_30default_config_static_selectorELNS0_4arch9wavefront6targetE1EEEvSO_
	.p2align	8
	.type	_ZN7rocprim17ROCPRIM_400000_NS6detail17trampoline_kernelINS0_14default_configENS1_37merge_sort_block_sort_config_selectorIlNS0_10empty_typeEEEZNS1_21merge_sort_block_sortIS3_PlS8_PS5_S9_ZN2at6native12_GLOBAL__N_124unique_dim_cuda_templateIN3c104HalfEEESt5tupleIJNSA_6TensorESH_SH_EERKSH_lbbbEUlllE_EE10hipError_tT0_T1_T2_T3_mRjT4_P12ihipStream_tbNS1_7vsmem_tEEUlT_E_NS1_11comp_targetILNS1_3genE10ELNS1_11target_archE1201ELNS1_3gpuE5ELNS1_3repE0EEENS1_30default_config_static_selectorELNS0_4arch9wavefront6targetE1EEEvSO_,@function
_ZN7rocprim17ROCPRIM_400000_NS6detail17trampoline_kernelINS0_14default_configENS1_37merge_sort_block_sort_config_selectorIlNS0_10empty_typeEEEZNS1_21merge_sort_block_sortIS3_PlS8_PS5_S9_ZN2at6native12_GLOBAL__N_124unique_dim_cuda_templateIN3c104HalfEEESt5tupleIJNSA_6TensorESH_SH_EERKSH_lbbbEUlllE_EE10hipError_tT0_T1_T2_T3_mRjT4_P12ihipStream_tbNS1_7vsmem_tEEUlT_E_NS1_11comp_targetILNS1_3genE10ELNS1_11target_archE1201ELNS1_3gpuE5ELNS1_3repE0EEENS1_30default_config_static_selectorELNS0_4arch9wavefront6targetE1EEEvSO_: ; @_ZN7rocprim17ROCPRIM_400000_NS6detail17trampoline_kernelINS0_14default_configENS1_37merge_sort_block_sort_config_selectorIlNS0_10empty_typeEEEZNS1_21merge_sort_block_sortIS3_PlS8_PS5_S9_ZN2at6native12_GLOBAL__N_124unique_dim_cuda_templateIN3c104HalfEEESt5tupleIJNSA_6TensorESH_SH_EERKSH_lbbbEUlllE_EE10hipError_tT0_T1_T2_T3_mRjT4_P12ihipStream_tbNS1_7vsmem_tEEUlT_E_NS1_11comp_targetILNS1_3genE10ELNS1_11target_archE1201ELNS1_3gpuE5ELNS1_3repE0EEENS1_30default_config_static_selectorELNS0_4arch9wavefront6targetE1EEEvSO_
; %bb.0:
	.section	.rodata,"a",@progbits
	.p2align	6, 0x0
	.amdhsa_kernel _ZN7rocprim17ROCPRIM_400000_NS6detail17trampoline_kernelINS0_14default_configENS1_37merge_sort_block_sort_config_selectorIlNS0_10empty_typeEEEZNS1_21merge_sort_block_sortIS3_PlS8_PS5_S9_ZN2at6native12_GLOBAL__N_124unique_dim_cuda_templateIN3c104HalfEEESt5tupleIJNSA_6TensorESH_SH_EERKSH_lbbbEUlllE_EE10hipError_tT0_T1_T2_T3_mRjT4_P12ihipStream_tbNS1_7vsmem_tEEUlT_E_NS1_11comp_targetILNS1_3genE10ELNS1_11target_archE1201ELNS1_3gpuE5ELNS1_3repE0EEENS1_30default_config_static_selectorELNS0_4arch9wavefront6targetE1EEEvSO_
		.amdhsa_group_segment_fixed_size 0
		.amdhsa_private_segment_fixed_size 0
		.amdhsa_kernarg_size 72
		.amdhsa_user_sgpr_count 6
		.amdhsa_user_sgpr_private_segment_buffer 1
		.amdhsa_user_sgpr_dispatch_ptr 0
		.amdhsa_user_sgpr_queue_ptr 0
		.amdhsa_user_sgpr_kernarg_segment_ptr 1
		.amdhsa_user_sgpr_dispatch_id 0
		.amdhsa_user_sgpr_flat_scratch_init 0
		.amdhsa_user_sgpr_kernarg_preload_length 0
		.amdhsa_user_sgpr_kernarg_preload_offset 0
		.amdhsa_user_sgpr_private_segment_size 0
		.amdhsa_uses_dynamic_stack 0
		.amdhsa_system_sgpr_private_segment_wavefront_offset 0
		.amdhsa_system_sgpr_workgroup_id_x 1
		.amdhsa_system_sgpr_workgroup_id_y 0
		.amdhsa_system_sgpr_workgroup_id_z 0
		.amdhsa_system_sgpr_workgroup_info 0
		.amdhsa_system_vgpr_workitem_id 0
		.amdhsa_next_free_vgpr 1
		.amdhsa_next_free_sgpr 0
		.amdhsa_accum_offset 4
		.amdhsa_reserve_vcc 0
		.amdhsa_reserve_flat_scratch 0
		.amdhsa_float_round_mode_32 0
		.amdhsa_float_round_mode_16_64 0
		.amdhsa_float_denorm_mode_32 3
		.amdhsa_float_denorm_mode_16_64 3
		.amdhsa_dx10_clamp 1
		.amdhsa_ieee_mode 1
		.amdhsa_fp16_overflow 0
		.amdhsa_tg_split 0
		.amdhsa_exception_fp_ieee_invalid_op 0
		.amdhsa_exception_fp_denorm_src 0
		.amdhsa_exception_fp_ieee_div_zero 0
		.amdhsa_exception_fp_ieee_overflow 0
		.amdhsa_exception_fp_ieee_underflow 0
		.amdhsa_exception_fp_ieee_inexact 0
		.amdhsa_exception_int_div_zero 0
	.end_amdhsa_kernel
	.section	.text._ZN7rocprim17ROCPRIM_400000_NS6detail17trampoline_kernelINS0_14default_configENS1_37merge_sort_block_sort_config_selectorIlNS0_10empty_typeEEEZNS1_21merge_sort_block_sortIS3_PlS8_PS5_S9_ZN2at6native12_GLOBAL__N_124unique_dim_cuda_templateIN3c104HalfEEESt5tupleIJNSA_6TensorESH_SH_EERKSH_lbbbEUlllE_EE10hipError_tT0_T1_T2_T3_mRjT4_P12ihipStream_tbNS1_7vsmem_tEEUlT_E_NS1_11comp_targetILNS1_3genE10ELNS1_11target_archE1201ELNS1_3gpuE5ELNS1_3repE0EEENS1_30default_config_static_selectorELNS0_4arch9wavefront6targetE1EEEvSO_,"axG",@progbits,_ZN7rocprim17ROCPRIM_400000_NS6detail17trampoline_kernelINS0_14default_configENS1_37merge_sort_block_sort_config_selectorIlNS0_10empty_typeEEEZNS1_21merge_sort_block_sortIS3_PlS8_PS5_S9_ZN2at6native12_GLOBAL__N_124unique_dim_cuda_templateIN3c104HalfEEESt5tupleIJNSA_6TensorESH_SH_EERKSH_lbbbEUlllE_EE10hipError_tT0_T1_T2_T3_mRjT4_P12ihipStream_tbNS1_7vsmem_tEEUlT_E_NS1_11comp_targetILNS1_3genE10ELNS1_11target_archE1201ELNS1_3gpuE5ELNS1_3repE0EEENS1_30default_config_static_selectorELNS0_4arch9wavefront6targetE1EEEvSO_,comdat
.Lfunc_end1242:
	.size	_ZN7rocprim17ROCPRIM_400000_NS6detail17trampoline_kernelINS0_14default_configENS1_37merge_sort_block_sort_config_selectorIlNS0_10empty_typeEEEZNS1_21merge_sort_block_sortIS3_PlS8_PS5_S9_ZN2at6native12_GLOBAL__N_124unique_dim_cuda_templateIN3c104HalfEEESt5tupleIJNSA_6TensorESH_SH_EERKSH_lbbbEUlllE_EE10hipError_tT0_T1_T2_T3_mRjT4_P12ihipStream_tbNS1_7vsmem_tEEUlT_E_NS1_11comp_targetILNS1_3genE10ELNS1_11target_archE1201ELNS1_3gpuE5ELNS1_3repE0EEENS1_30default_config_static_selectorELNS0_4arch9wavefront6targetE1EEEvSO_, .Lfunc_end1242-_ZN7rocprim17ROCPRIM_400000_NS6detail17trampoline_kernelINS0_14default_configENS1_37merge_sort_block_sort_config_selectorIlNS0_10empty_typeEEEZNS1_21merge_sort_block_sortIS3_PlS8_PS5_S9_ZN2at6native12_GLOBAL__N_124unique_dim_cuda_templateIN3c104HalfEEESt5tupleIJNSA_6TensorESH_SH_EERKSH_lbbbEUlllE_EE10hipError_tT0_T1_T2_T3_mRjT4_P12ihipStream_tbNS1_7vsmem_tEEUlT_E_NS1_11comp_targetILNS1_3genE10ELNS1_11target_archE1201ELNS1_3gpuE5ELNS1_3repE0EEENS1_30default_config_static_selectorELNS0_4arch9wavefront6targetE1EEEvSO_
                                        ; -- End function
	.section	.AMDGPU.csdata,"",@progbits
; Kernel info:
; codeLenInByte = 0
; NumSgprs: 4
; NumVgprs: 0
; NumAgprs: 0
; TotalNumVgprs: 0
; ScratchSize: 0
; MemoryBound: 0
; FloatMode: 240
; IeeeMode: 1
; LDSByteSize: 0 bytes/workgroup (compile time only)
; SGPRBlocks: 0
; VGPRBlocks: 0
; NumSGPRsForWavesPerEU: 4
; NumVGPRsForWavesPerEU: 1
; AccumOffset: 4
; Occupancy: 8
; WaveLimiterHint : 0
; COMPUTE_PGM_RSRC2:SCRATCH_EN: 0
; COMPUTE_PGM_RSRC2:USER_SGPR: 6
; COMPUTE_PGM_RSRC2:TRAP_HANDLER: 0
; COMPUTE_PGM_RSRC2:TGID_X_EN: 1
; COMPUTE_PGM_RSRC2:TGID_Y_EN: 0
; COMPUTE_PGM_RSRC2:TGID_Z_EN: 0
; COMPUTE_PGM_RSRC2:TIDIG_COMP_CNT: 0
; COMPUTE_PGM_RSRC3_GFX90A:ACCUM_OFFSET: 0
; COMPUTE_PGM_RSRC3_GFX90A:TG_SPLIT: 0
	.section	.text._ZN7rocprim17ROCPRIM_400000_NS6detail17trampoline_kernelINS0_14default_configENS1_37merge_sort_block_sort_config_selectorIlNS0_10empty_typeEEEZNS1_21merge_sort_block_sortIS3_PlS8_PS5_S9_ZN2at6native12_GLOBAL__N_124unique_dim_cuda_templateIN3c104HalfEEESt5tupleIJNSA_6TensorESH_SH_EERKSH_lbbbEUlllE_EE10hipError_tT0_T1_T2_T3_mRjT4_P12ihipStream_tbNS1_7vsmem_tEEUlT_E_NS1_11comp_targetILNS1_3genE10ELNS1_11target_archE1200ELNS1_3gpuE4ELNS1_3repE0EEENS1_30default_config_static_selectorELNS0_4arch9wavefront6targetE1EEEvSO_,"axG",@progbits,_ZN7rocprim17ROCPRIM_400000_NS6detail17trampoline_kernelINS0_14default_configENS1_37merge_sort_block_sort_config_selectorIlNS0_10empty_typeEEEZNS1_21merge_sort_block_sortIS3_PlS8_PS5_S9_ZN2at6native12_GLOBAL__N_124unique_dim_cuda_templateIN3c104HalfEEESt5tupleIJNSA_6TensorESH_SH_EERKSH_lbbbEUlllE_EE10hipError_tT0_T1_T2_T3_mRjT4_P12ihipStream_tbNS1_7vsmem_tEEUlT_E_NS1_11comp_targetILNS1_3genE10ELNS1_11target_archE1200ELNS1_3gpuE4ELNS1_3repE0EEENS1_30default_config_static_selectorELNS0_4arch9wavefront6targetE1EEEvSO_,comdat
	.globl	_ZN7rocprim17ROCPRIM_400000_NS6detail17trampoline_kernelINS0_14default_configENS1_37merge_sort_block_sort_config_selectorIlNS0_10empty_typeEEEZNS1_21merge_sort_block_sortIS3_PlS8_PS5_S9_ZN2at6native12_GLOBAL__N_124unique_dim_cuda_templateIN3c104HalfEEESt5tupleIJNSA_6TensorESH_SH_EERKSH_lbbbEUlllE_EE10hipError_tT0_T1_T2_T3_mRjT4_P12ihipStream_tbNS1_7vsmem_tEEUlT_E_NS1_11comp_targetILNS1_3genE10ELNS1_11target_archE1200ELNS1_3gpuE4ELNS1_3repE0EEENS1_30default_config_static_selectorELNS0_4arch9wavefront6targetE1EEEvSO_ ; -- Begin function _ZN7rocprim17ROCPRIM_400000_NS6detail17trampoline_kernelINS0_14default_configENS1_37merge_sort_block_sort_config_selectorIlNS0_10empty_typeEEEZNS1_21merge_sort_block_sortIS3_PlS8_PS5_S9_ZN2at6native12_GLOBAL__N_124unique_dim_cuda_templateIN3c104HalfEEESt5tupleIJNSA_6TensorESH_SH_EERKSH_lbbbEUlllE_EE10hipError_tT0_T1_T2_T3_mRjT4_P12ihipStream_tbNS1_7vsmem_tEEUlT_E_NS1_11comp_targetILNS1_3genE10ELNS1_11target_archE1200ELNS1_3gpuE4ELNS1_3repE0EEENS1_30default_config_static_selectorELNS0_4arch9wavefront6targetE1EEEvSO_
	.p2align	8
	.type	_ZN7rocprim17ROCPRIM_400000_NS6detail17trampoline_kernelINS0_14default_configENS1_37merge_sort_block_sort_config_selectorIlNS0_10empty_typeEEEZNS1_21merge_sort_block_sortIS3_PlS8_PS5_S9_ZN2at6native12_GLOBAL__N_124unique_dim_cuda_templateIN3c104HalfEEESt5tupleIJNSA_6TensorESH_SH_EERKSH_lbbbEUlllE_EE10hipError_tT0_T1_T2_T3_mRjT4_P12ihipStream_tbNS1_7vsmem_tEEUlT_E_NS1_11comp_targetILNS1_3genE10ELNS1_11target_archE1200ELNS1_3gpuE4ELNS1_3repE0EEENS1_30default_config_static_selectorELNS0_4arch9wavefront6targetE1EEEvSO_,@function
_ZN7rocprim17ROCPRIM_400000_NS6detail17trampoline_kernelINS0_14default_configENS1_37merge_sort_block_sort_config_selectorIlNS0_10empty_typeEEEZNS1_21merge_sort_block_sortIS3_PlS8_PS5_S9_ZN2at6native12_GLOBAL__N_124unique_dim_cuda_templateIN3c104HalfEEESt5tupleIJNSA_6TensorESH_SH_EERKSH_lbbbEUlllE_EE10hipError_tT0_T1_T2_T3_mRjT4_P12ihipStream_tbNS1_7vsmem_tEEUlT_E_NS1_11comp_targetILNS1_3genE10ELNS1_11target_archE1200ELNS1_3gpuE4ELNS1_3repE0EEENS1_30default_config_static_selectorELNS0_4arch9wavefront6targetE1EEEvSO_: ; @_ZN7rocprim17ROCPRIM_400000_NS6detail17trampoline_kernelINS0_14default_configENS1_37merge_sort_block_sort_config_selectorIlNS0_10empty_typeEEEZNS1_21merge_sort_block_sortIS3_PlS8_PS5_S9_ZN2at6native12_GLOBAL__N_124unique_dim_cuda_templateIN3c104HalfEEESt5tupleIJNSA_6TensorESH_SH_EERKSH_lbbbEUlllE_EE10hipError_tT0_T1_T2_T3_mRjT4_P12ihipStream_tbNS1_7vsmem_tEEUlT_E_NS1_11comp_targetILNS1_3genE10ELNS1_11target_archE1200ELNS1_3gpuE4ELNS1_3repE0EEENS1_30default_config_static_selectorELNS0_4arch9wavefront6targetE1EEEvSO_
; %bb.0:
	.section	.rodata,"a",@progbits
	.p2align	6, 0x0
	.amdhsa_kernel _ZN7rocprim17ROCPRIM_400000_NS6detail17trampoline_kernelINS0_14default_configENS1_37merge_sort_block_sort_config_selectorIlNS0_10empty_typeEEEZNS1_21merge_sort_block_sortIS3_PlS8_PS5_S9_ZN2at6native12_GLOBAL__N_124unique_dim_cuda_templateIN3c104HalfEEESt5tupleIJNSA_6TensorESH_SH_EERKSH_lbbbEUlllE_EE10hipError_tT0_T1_T2_T3_mRjT4_P12ihipStream_tbNS1_7vsmem_tEEUlT_E_NS1_11comp_targetILNS1_3genE10ELNS1_11target_archE1200ELNS1_3gpuE4ELNS1_3repE0EEENS1_30default_config_static_selectorELNS0_4arch9wavefront6targetE1EEEvSO_
		.amdhsa_group_segment_fixed_size 0
		.amdhsa_private_segment_fixed_size 0
		.amdhsa_kernarg_size 72
		.amdhsa_user_sgpr_count 6
		.amdhsa_user_sgpr_private_segment_buffer 1
		.amdhsa_user_sgpr_dispatch_ptr 0
		.amdhsa_user_sgpr_queue_ptr 0
		.amdhsa_user_sgpr_kernarg_segment_ptr 1
		.amdhsa_user_sgpr_dispatch_id 0
		.amdhsa_user_sgpr_flat_scratch_init 0
		.amdhsa_user_sgpr_kernarg_preload_length 0
		.amdhsa_user_sgpr_kernarg_preload_offset 0
		.amdhsa_user_sgpr_private_segment_size 0
		.amdhsa_uses_dynamic_stack 0
		.amdhsa_system_sgpr_private_segment_wavefront_offset 0
		.amdhsa_system_sgpr_workgroup_id_x 1
		.amdhsa_system_sgpr_workgroup_id_y 0
		.amdhsa_system_sgpr_workgroup_id_z 0
		.amdhsa_system_sgpr_workgroup_info 0
		.amdhsa_system_vgpr_workitem_id 0
		.amdhsa_next_free_vgpr 1
		.amdhsa_next_free_sgpr 0
		.amdhsa_accum_offset 4
		.amdhsa_reserve_vcc 0
		.amdhsa_reserve_flat_scratch 0
		.amdhsa_float_round_mode_32 0
		.amdhsa_float_round_mode_16_64 0
		.amdhsa_float_denorm_mode_32 3
		.amdhsa_float_denorm_mode_16_64 3
		.amdhsa_dx10_clamp 1
		.amdhsa_ieee_mode 1
		.amdhsa_fp16_overflow 0
		.amdhsa_tg_split 0
		.amdhsa_exception_fp_ieee_invalid_op 0
		.amdhsa_exception_fp_denorm_src 0
		.amdhsa_exception_fp_ieee_div_zero 0
		.amdhsa_exception_fp_ieee_overflow 0
		.amdhsa_exception_fp_ieee_underflow 0
		.amdhsa_exception_fp_ieee_inexact 0
		.amdhsa_exception_int_div_zero 0
	.end_amdhsa_kernel
	.section	.text._ZN7rocprim17ROCPRIM_400000_NS6detail17trampoline_kernelINS0_14default_configENS1_37merge_sort_block_sort_config_selectorIlNS0_10empty_typeEEEZNS1_21merge_sort_block_sortIS3_PlS8_PS5_S9_ZN2at6native12_GLOBAL__N_124unique_dim_cuda_templateIN3c104HalfEEESt5tupleIJNSA_6TensorESH_SH_EERKSH_lbbbEUlllE_EE10hipError_tT0_T1_T2_T3_mRjT4_P12ihipStream_tbNS1_7vsmem_tEEUlT_E_NS1_11comp_targetILNS1_3genE10ELNS1_11target_archE1200ELNS1_3gpuE4ELNS1_3repE0EEENS1_30default_config_static_selectorELNS0_4arch9wavefront6targetE1EEEvSO_,"axG",@progbits,_ZN7rocprim17ROCPRIM_400000_NS6detail17trampoline_kernelINS0_14default_configENS1_37merge_sort_block_sort_config_selectorIlNS0_10empty_typeEEEZNS1_21merge_sort_block_sortIS3_PlS8_PS5_S9_ZN2at6native12_GLOBAL__N_124unique_dim_cuda_templateIN3c104HalfEEESt5tupleIJNSA_6TensorESH_SH_EERKSH_lbbbEUlllE_EE10hipError_tT0_T1_T2_T3_mRjT4_P12ihipStream_tbNS1_7vsmem_tEEUlT_E_NS1_11comp_targetILNS1_3genE10ELNS1_11target_archE1200ELNS1_3gpuE4ELNS1_3repE0EEENS1_30default_config_static_selectorELNS0_4arch9wavefront6targetE1EEEvSO_,comdat
.Lfunc_end1243:
	.size	_ZN7rocprim17ROCPRIM_400000_NS6detail17trampoline_kernelINS0_14default_configENS1_37merge_sort_block_sort_config_selectorIlNS0_10empty_typeEEEZNS1_21merge_sort_block_sortIS3_PlS8_PS5_S9_ZN2at6native12_GLOBAL__N_124unique_dim_cuda_templateIN3c104HalfEEESt5tupleIJNSA_6TensorESH_SH_EERKSH_lbbbEUlllE_EE10hipError_tT0_T1_T2_T3_mRjT4_P12ihipStream_tbNS1_7vsmem_tEEUlT_E_NS1_11comp_targetILNS1_3genE10ELNS1_11target_archE1200ELNS1_3gpuE4ELNS1_3repE0EEENS1_30default_config_static_selectorELNS0_4arch9wavefront6targetE1EEEvSO_, .Lfunc_end1243-_ZN7rocprim17ROCPRIM_400000_NS6detail17trampoline_kernelINS0_14default_configENS1_37merge_sort_block_sort_config_selectorIlNS0_10empty_typeEEEZNS1_21merge_sort_block_sortIS3_PlS8_PS5_S9_ZN2at6native12_GLOBAL__N_124unique_dim_cuda_templateIN3c104HalfEEESt5tupleIJNSA_6TensorESH_SH_EERKSH_lbbbEUlllE_EE10hipError_tT0_T1_T2_T3_mRjT4_P12ihipStream_tbNS1_7vsmem_tEEUlT_E_NS1_11comp_targetILNS1_3genE10ELNS1_11target_archE1200ELNS1_3gpuE4ELNS1_3repE0EEENS1_30default_config_static_selectorELNS0_4arch9wavefront6targetE1EEEvSO_
                                        ; -- End function
	.section	.AMDGPU.csdata,"",@progbits
; Kernel info:
; codeLenInByte = 0
; NumSgprs: 4
; NumVgprs: 0
; NumAgprs: 0
; TotalNumVgprs: 0
; ScratchSize: 0
; MemoryBound: 0
; FloatMode: 240
; IeeeMode: 1
; LDSByteSize: 0 bytes/workgroup (compile time only)
; SGPRBlocks: 0
; VGPRBlocks: 0
; NumSGPRsForWavesPerEU: 4
; NumVGPRsForWavesPerEU: 1
; AccumOffset: 4
; Occupancy: 8
; WaveLimiterHint : 0
; COMPUTE_PGM_RSRC2:SCRATCH_EN: 0
; COMPUTE_PGM_RSRC2:USER_SGPR: 6
; COMPUTE_PGM_RSRC2:TRAP_HANDLER: 0
; COMPUTE_PGM_RSRC2:TGID_X_EN: 1
; COMPUTE_PGM_RSRC2:TGID_Y_EN: 0
; COMPUTE_PGM_RSRC2:TGID_Z_EN: 0
; COMPUTE_PGM_RSRC2:TIDIG_COMP_CNT: 0
; COMPUTE_PGM_RSRC3_GFX90A:ACCUM_OFFSET: 0
; COMPUTE_PGM_RSRC3_GFX90A:TG_SPLIT: 0
	.section	.text._ZN7rocprim17ROCPRIM_400000_NS6detail17trampoline_kernelINS0_14default_configENS1_37merge_sort_block_sort_config_selectorIlNS0_10empty_typeEEEZNS1_21merge_sort_block_sortIS3_PlS8_PS5_S9_ZN2at6native12_GLOBAL__N_124unique_dim_cuda_templateIN3c104HalfEEESt5tupleIJNSA_6TensorESH_SH_EERKSH_lbbbEUlllE_EE10hipError_tT0_T1_T2_T3_mRjT4_P12ihipStream_tbNS1_7vsmem_tEEUlT_E_NS1_11comp_targetILNS1_3genE9ELNS1_11target_archE1100ELNS1_3gpuE3ELNS1_3repE0EEENS1_30default_config_static_selectorELNS0_4arch9wavefront6targetE1EEEvSO_,"axG",@progbits,_ZN7rocprim17ROCPRIM_400000_NS6detail17trampoline_kernelINS0_14default_configENS1_37merge_sort_block_sort_config_selectorIlNS0_10empty_typeEEEZNS1_21merge_sort_block_sortIS3_PlS8_PS5_S9_ZN2at6native12_GLOBAL__N_124unique_dim_cuda_templateIN3c104HalfEEESt5tupleIJNSA_6TensorESH_SH_EERKSH_lbbbEUlllE_EE10hipError_tT0_T1_T2_T3_mRjT4_P12ihipStream_tbNS1_7vsmem_tEEUlT_E_NS1_11comp_targetILNS1_3genE9ELNS1_11target_archE1100ELNS1_3gpuE3ELNS1_3repE0EEENS1_30default_config_static_selectorELNS0_4arch9wavefront6targetE1EEEvSO_,comdat
	.globl	_ZN7rocprim17ROCPRIM_400000_NS6detail17trampoline_kernelINS0_14default_configENS1_37merge_sort_block_sort_config_selectorIlNS0_10empty_typeEEEZNS1_21merge_sort_block_sortIS3_PlS8_PS5_S9_ZN2at6native12_GLOBAL__N_124unique_dim_cuda_templateIN3c104HalfEEESt5tupleIJNSA_6TensorESH_SH_EERKSH_lbbbEUlllE_EE10hipError_tT0_T1_T2_T3_mRjT4_P12ihipStream_tbNS1_7vsmem_tEEUlT_E_NS1_11comp_targetILNS1_3genE9ELNS1_11target_archE1100ELNS1_3gpuE3ELNS1_3repE0EEENS1_30default_config_static_selectorELNS0_4arch9wavefront6targetE1EEEvSO_ ; -- Begin function _ZN7rocprim17ROCPRIM_400000_NS6detail17trampoline_kernelINS0_14default_configENS1_37merge_sort_block_sort_config_selectorIlNS0_10empty_typeEEEZNS1_21merge_sort_block_sortIS3_PlS8_PS5_S9_ZN2at6native12_GLOBAL__N_124unique_dim_cuda_templateIN3c104HalfEEESt5tupleIJNSA_6TensorESH_SH_EERKSH_lbbbEUlllE_EE10hipError_tT0_T1_T2_T3_mRjT4_P12ihipStream_tbNS1_7vsmem_tEEUlT_E_NS1_11comp_targetILNS1_3genE9ELNS1_11target_archE1100ELNS1_3gpuE3ELNS1_3repE0EEENS1_30default_config_static_selectorELNS0_4arch9wavefront6targetE1EEEvSO_
	.p2align	8
	.type	_ZN7rocprim17ROCPRIM_400000_NS6detail17trampoline_kernelINS0_14default_configENS1_37merge_sort_block_sort_config_selectorIlNS0_10empty_typeEEEZNS1_21merge_sort_block_sortIS3_PlS8_PS5_S9_ZN2at6native12_GLOBAL__N_124unique_dim_cuda_templateIN3c104HalfEEESt5tupleIJNSA_6TensorESH_SH_EERKSH_lbbbEUlllE_EE10hipError_tT0_T1_T2_T3_mRjT4_P12ihipStream_tbNS1_7vsmem_tEEUlT_E_NS1_11comp_targetILNS1_3genE9ELNS1_11target_archE1100ELNS1_3gpuE3ELNS1_3repE0EEENS1_30default_config_static_selectorELNS0_4arch9wavefront6targetE1EEEvSO_,@function
_ZN7rocprim17ROCPRIM_400000_NS6detail17trampoline_kernelINS0_14default_configENS1_37merge_sort_block_sort_config_selectorIlNS0_10empty_typeEEEZNS1_21merge_sort_block_sortIS3_PlS8_PS5_S9_ZN2at6native12_GLOBAL__N_124unique_dim_cuda_templateIN3c104HalfEEESt5tupleIJNSA_6TensorESH_SH_EERKSH_lbbbEUlllE_EE10hipError_tT0_T1_T2_T3_mRjT4_P12ihipStream_tbNS1_7vsmem_tEEUlT_E_NS1_11comp_targetILNS1_3genE9ELNS1_11target_archE1100ELNS1_3gpuE3ELNS1_3repE0EEENS1_30default_config_static_selectorELNS0_4arch9wavefront6targetE1EEEvSO_: ; @_ZN7rocprim17ROCPRIM_400000_NS6detail17trampoline_kernelINS0_14default_configENS1_37merge_sort_block_sort_config_selectorIlNS0_10empty_typeEEEZNS1_21merge_sort_block_sortIS3_PlS8_PS5_S9_ZN2at6native12_GLOBAL__N_124unique_dim_cuda_templateIN3c104HalfEEESt5tupleIJNSA_6TensorESH_SH_EERKSH_lbbbEUlllE_EE10hipError_tT0_T1_T2_T3_mRjT4_P12ihipStream_tbNS1_7vsmem_tEEUlT_E_NS1_11comp_targetILNS1_3genE9ELNS1_11target_archE1100ELNS1_3gpuE3ELNS1_3repE0EEENS1_30default_config_static_selectorELNS0_4arch9wavefront6targetE1EEEvSO_
; %bb.0:
	.section	.rodata,"a",@progbits
	.p2align	6, 0x0
	.amdhsa_kernel _ZN7rocprim17ROCPRIM_400000_NS6detail17trampoline_kernelINS0_14default_configENS1_37merge_sort_block_sort_config_selectorIlNS0_10empty_typeEEEZNS1_21merge_sort_block_sortIS3_PlS8_PS5_S9_ZN2at6native12_GLOBAL__N_124unique_dim_cuda_templateIN3c104HalfEEESt5tupleIJNSA_6TensorESH_SH_EERKSH_lbbbEUlllE_EE10hipError_tT0_T1_T2_T3_mRjT4_P12ihipStream_tbNS1_7vsmem_tEEUlT_E_NS1_11comp_targetILNS1_3genE9ELNS1_11target_archE1100ELNS1_3gpuE3ELNS1_3repE0EEENS1_30default_config_static_selectorELNS0_4arch9wavefront6targetE1EEEvSO_
		.amdhsa_group_segment_fixed_size 0
		.amdhsa_private_segment_fixed_size 0
		.amdhsa_kernarg_size 72
		.amdhsa_user_sgpr_count 6
		.amdhsa_user_sgpr_private_segment_buffer 1
		.amdhsa_user_sgpr_dispatch_ptr 0
		.amdhsa_user_sgpr_queue_ptr 0
		.amdhsa_user_sgpr_kernarg_segment_ptr 1
		.amdhsa_user_sgpr_dispatch_id 0
		.amdhsa_user_sgpr_flat_scratch_init 0
		.amdhsa_user_sgpr_kernarg_preload_length 0
		.amdhsa_user_sgpr_kernarg_preload_offset 0
		.amdhsa_user_sgpr_private_segment_size 0
		.amdhsa_uses_dynamic_stack 0
		.amdhsa_system_sgpr_private_segment_wavefront_offset 0
		.amdhsa_system_sgpr_workgroup_id_x 1
		.amdhsa_system_sgpr_workgroup_id_y 0
		.amdhsa_system_sgpr_workgroup_id_z 0
		.amdhsa_system_sgpr_workgroup_info 0
		.amdhsa_system_vgpr_workitem_id 0
		.amdhsa_next_free_vgpr 1
		.amdhsa_next_free_sgpr 0
		.amdhsa_accum_offset 4
		.amdhsa_reserve_vcc 0
		.amdhsa_reserve_flat_scratch 0
		.amdhsa_float_round_mode_32 0
		.amdhsa_float_round_mode_16_64 0
		.amdhsa_float_denorm_mode_32 3
		.amdhsa_float_denorm_mode_16_64 3
		.amdhsa_dx10_clamp 1
		.amdhsa_ieee_mode 1
		.amdhsa_fp16_overflow 0
		.amdhsa_tg_split 0
		.amdhsa_exception_fp_ieee_invalid_op 0
		.amdhsa_exception_fp_denorm_src 0
		.amdhsa_exception_fp_ieee_div_zero 0
		.amdhsa_exception_fp_ieee_overflow 0
		.amdhsa_exception_fp_ieee_underflow 0
		.amdhsa_exception_fp_ieee_inexact 0
		.amdhsa_exception_int_div_zero 0
	.end_amdhsa_kernel
	.section	.text._ZN7rocprim17ROCPRIM_400000_NS6detail17trampoline_kernelINS0_14default_configENS1_37merge_sort_block_sort_config_selectorIlNS0_10empty_typeEEEZNS1_21merge_sort_block_sortIS3_PlS8_PS5_S9_ZN2at6native12_GLOBAL__N_124unique_dim_cuda_templateIN3c104HalfEEESt5tupleIJNSA_6TensorESH_SH_EERKSH_lbbbEUlllE_EE10hipError_tT0_T1_T2_T3_mRjT4_P12ihipStream_tbNS1_7vsmem_tEEUlT_E_NS1_11comp_targetILNS1_3genE9ELNS1_11target_archE1100ELNS1_3gpuE3ELNS1_3repE0EEENS1_30default_config_static_selectorELNS0_4arch9wavefront6targetE1EEEvSO_,"axG",@progbits,_ZN7rocprim17ROCPRIM_400000_NS6detail17trampoline_kernelINS0_14default_configENS1_37merge_sort_block_sort_config_selectorIlNS0_10empty_typeEEEZNS1_21merge_sort_block_sortIS3_PlS8_PS5_S9_ZN2at6native12_GLOBAL__N_124unique_dim_cuda_templateIN3c104HalfEEESt5tupleIJNSA_6TensorESH_SH_EERKSH_lbbbEUlllE_EE10hipError_tT0_T1_T2_T3_mRjT4_P12ihipStream_tbNS1_7vsmem_tEEUlT_E_NS1_11comp_targetILNS1_3genE9ELNS1_11target_archE1100ELNS1_3gpuE3ELNS1_3repE0EEENS1_30default_config_static_selectorELNS0_4arch9wavefront6targetE1EEEvSO_,comdat
.Lfunc_end1244:
	.size	_ZN7rocprim17ROCPRIM_400000_NS6detail17trampoline_kernelINS0_14default_configENS1_37merge_sort_block_sort_config_selectorIlNS0_10empty_typeEEEZNS1_21merge_sort_block_sortIS3_PlS8_PS5_S9_ZN2at6native12_GLOBAL__N_124unique_dim_cuda_templateIN3c104HalfEEESt5tupleIJNSA_6TensorESH_SH_EERKSH_lbbbEUlllE_EE10hipError_tT0_T1_T2_T3_mRjT4_P12ihipStream_tbNS1_7vsmem_tEEUlT_E_NS1_11comp_targetILNS1_3genE9ELNS1_11target_archE1100ELNS1_3gpuE3ELNS1_3repE0EEENS1_30default_config_static_selectorELNS0_4arch9wavefront6targetE1EEEvSO_, .Lfunc_end1244-_ZN7rocprim17ROCPRIM_400000_NS6detail17trampoline_kernelINS0_14default_configENS1_37merge_sort_block_sort_config_selectorIlNS0_10empty_typeEEEZNS1_21merge_sort_block_sortIS3_PlS8_PS5_S9_ZN2at6native12_GLOBAL__N_124unique_dim_cuda_templateIN3c104HalfEEESt5tupleIJNSA_6TensorESH_SH_EERKSH_lbbbEUlllE_EE10hipError_tT0_T1_T2_T3_mRjT4_P12ihipStream_tbNS1_7vsmem_tEEUlT_E_NS1_11comp_targetILNS1_3genE9ELNS1_11target_archE1100ELNS1_3gpuE3ELNS1_3repE0EEENS1_30default_config_static_selectorELNS0_4arch9wavefront6targetE1EEEvSO_
                                        ; -- End function
	.section	.AMDGPU.csdata,"",@progbits
; Kernel info:
; codeLenInByte = 0
; NumSgprs: 4
; NumVgprs: 0
; NumAgprs: 0
; TotalNumVgprs: 0
; ScratchSize: 0
; MemoryBound: 0
; FloatMode: 240
; IeeeMode: 1
; LDSByteSize: 0 bytes/workgroup (compile time only)
; SGPRBlocks: 0
; VGPRBlocks: 0
; NumSGPRsForWavesPerEU: 4
; NumVGPRsForWavesPerEU: 1
; AccumOffset: 4
; Occupancy: 8
; WaveLimiterHint : 0
; COMPUTE_PGM_RSRC2:SCRATCH_EN: 0
; COMPUTE_PGM_RSRC2:USER_SGPR: 6
; COMPUTE_PGM_RSRC2:TRAP_HANDLER: 0
; COMPUTE_PGM_RSRC2:TGID_X_EN: 1
; COMPUTE_PGM_RSRC2:TGID_Y_EN: 0
; COMPUTE_PGM_RSRC2:TGID_Z_EN: 0
; COMPUTE_PGM_RSRC2:TIDIG_COMP_CNT: 0
; COMPUTE_PGM_RSRC3_GFX90A:ACCUM_OFFSET: 0
; COMPUTE_PGM_RSRC3_GFX90A:TG_SPLIT: 0
	.section	.text._ZN7rocprim17ROCPRIM_400000_NS6detail17trampoline_kernelINS0_14default_configENS1_37merge_sort_block_sort_config_selectorIlNS0_10empty_typeEEEZNS1_21merge_sort_block_sortIS3_PlS8_PS5_S9_ZN2at6native12_GLOBAL__N_124unique_dim_cuda_templateIN3c104HalfEEESt5tupleIJNSA_6TensorESH_SH_EERKSH_lbbbEUlllE_EE10hipError_tT0_T1_T2_T3_mRjT4_P12ihipStream_tbNS1_7vsmem_tEEUlT_E_NS1_11comp_targetILNS1_3genE8ELNS1_11target_archE1030ELNS1_3gpuE2ELNS1_3repE0EEENS1_30default_config_static_selectorELNS0_4arch9wavefront6targetE1EEEvSO_,"axG",@progbits,_ZN7rocprim17ROCPRIM_400000_NS6detail17trampoline_kernelINS0_14default_configENS1_37merge_sort_block_sort_config_selectorIlNS0_10empty_typeEEEZNS1_21merge_sort_block_sortIS3_PlS8_PS5_S9_ZN2at6native12_GLOBAL__N_124unique_dim_cuda_templateIN3c104HalfEEESt5tupleIJNSA_6TensorESH_SH_EERKSH_lbbbEUlllE_EE10hipError_tT0_T1_T2_T3_mRjT4_P12ihipStream_tbNS1_7vsmem_tEEUlT_E_NS1_11comp_targetILNS1_3genE8ELNS1_11target_archE1030ELNS1_3gpuE2ELNS1_3repE0EEENS1_30default_config_static_selectorELNS0_4arch9wavefront6targetE1EEEvSO_,comdat
	.globl	_ZN7rocprim17ROCPRIM_400000_NS6detail17trampoline_kernelINS0_14default_configENS1_37merge_sort_block_sort_config_selectorIlNS0_10empty_typeEEEZNS1_21merge_sort_block_sortIS3_PlS8_PS5_S9_ZN2at6native12_GLOBAL__N_124unique_dim_cuda_templateIN3c104HalfEEESt5tupleIJNSA_6TensorESH_SH_EERKSH_lbbbEUlllE_EE10hipError_tT0_T1_T2_T3_mRjT4_P12ihipStream_tbNS1_7vsmem_tEEUlT_E_NS1_11comp_targetILNS1_3genE8ELNS1_11target_archE1030ELNS1_3gpuE2ELNS1_3repE0EEENS1_30default_config_static_selectorELNS0_4arch9wavefront6targetE1EEEvSO_ ; -- Begin function _ZN7rocprim17ROCPRIM_400000_NS6detail17trampoline_kernelINS0_14default_configENS1_37merge_sort_block_sort_config_selectorIlNS0_10empty_typeEEEZNS1_21merge_sort_block_sortIS3_PlS8_PS5_S9_ZN2at6native12_GLOBAL__N_124unique_dim_cuda_templateIN3c104HalfEEESt5tupleIJNSA_6TensorESH_SH_EERKSH_lbbbEUlllE_EE10hipError_tT0_T1_T2_T3_mRjT4_P12ihipStream_tbNS1_7vsmem_tEEUlT_E_NS1_11comp_targetILNS1_3genE8ELNS1_11target_archE1030ELNS1_3gpuE2ELNS1_3repE0EEENS1_30default_config_static_selectorELNS0_4arch9wavefront6targetE1EEEvSO_
	.p2align	8
	.type	_ZN7rocprim17ROCPRIM_400000_NS6detail17trampoline_kernelINS0_14default_configENS1_37merge_sort_block_sort_config_selectorIlNS0_10empty_typeEEEZNS1_21merge_sort_block_sortIS3_PlS8_PS5_S9_ZN2at6native12_GLOBAL__N_124unique_dim_cuda_templateIN3c104HalfEEESt5tupleIJNSA_6TensorESH_SH_EERKSH_lbbbEUlllE_EE10hipError_tT0_T1_T2_T3_mRjT4_P12ihipStream_tbNS1_7vsmem_tEEUlT_E_NS1_11comp_targetILNS1_3genE8ELNS1_11target_archE1030ELNS1_3gpuE2ELNS1_3repE0EEENS1_30default_config_static_selectorELNS0_4arch9wavefront6targetE1EEEvSO_,@function
_ZN7rocprim17ROCPRIM_400000_NS6detail17trampoline_kernelINS0_14default_configENS1_37merge_sort_block_sort_config_selectorIlNS0_10empty_typeEEEZNS1_21merge_sort_block_sortIS3_PlS8_PS5_S9_ZN2at6native12_GLOBAL__N_124unique_dim_cuda_templateIN3c104HalfEEESt5tupleIJNSA_6TensorESH_SH_EERKSH_lbbbEUlllE_EE10hipError_tT0_T1_T2_T3_mRjT4_P12ihipStream_tbNS1_7vsmem_tEEUlT_E_NS1_11comp_targetILNS1_3genE8ELNS1_11target_archE1030ELNS1_3gpuE2ELNS1_3repE0EEENS1_30default_config_static_selectorELNS0_4arch9wavefront6targetE1EEEvSO_: ; @_ZN7rocprim17ROCPRIM_400000_NS6detail17trampoline_kernelINS0_14default_configENS1_37merge_sort_block_sort_config_selectorIlNS0_10empty_typeEEEZNS1_21merge_sort_block_sortIS3_PlS8_PS5_S9_ZN2at6native12_GLOBAL__N_124unique_dim_cuda_templateIN3c104HalfEEESt5tupleIJNSA_6TensorESH_SH_EERKSH_lbbbEUlllE_EE10hipError_tT0_T1_T2_T3_mRjT4_P12ihipStream_tbNS1_7vsmem_tEEUlT_E_NS1_11comp_targetILNS1_3genE8ELNS1_11target_archE1030ELNS1_3gpuE2ELNS1_3repE0EEENS1_30default_config_static_selectorELNS0_4arch9wavefront6targetE1EEEvSO_
; %bb.0:
	.section	.rodata,"a",@progbits
	.p2align	6, 0x0
	.amdhsa_kernel _ZN7rocprim17ROCPRIM_400000_NS6detail17trampoline_kernelINS0_14default_configENS1_37merge_sort_block_sort_config_selectorIlNS0_10empty_typeEEEZNS1_21merge_sort_block_sortIS3_PlS8_PS5_S9_ZN2at6native12_GLOBAL__N_124unique_dim_cuda_templateIN3c104HalfEEESt5tupleIJNSA_6TensorESH_SH_EERKSH_lbbbEUlllE_EE10hipError_tT0_T1_T2_T3_mRjT4_P12ihipStream_tbNS1_7vsmem_tEEUlT_E_NS1_11comp_targetILNS1_3genE8ELNS1_11target_archE1030ELNS1_3gpuE2ELNS1_3repE0EEENS1_30default_config_static_selectorELNS0_4arch9wavefront6targetE1EEEvSO_
		.amdhsa_group_segment_fixed_size 0
		.amdhsa_private_segment_fixed_size 0
		.amdhsa_kernarg_size 72
		.amdhsa_user_sgpr_count 6
		.amdhsa_user_sgpr_private_segment_buffer 1
		.amdhsa_user_sgpr_dispatch_ptr 0
		.amdhsa_user_sgpr_queue_ptr 0
		.amdhsa_user_sgpr_kernarg_segment_ptr 1
		.amdhsa_user_sgpr_dispatch_id 0
		.amdhsa_user_sgpr_flat_scratch_init 0
		.amdhsa_user_sgpr_kernarg_preload_length 0
		.amdhsa_user_sgpr_kernarg_preload_offset 0
		.amdhsa_user_sgpr_private_segment_size 0
		.amdhsa_uses_dynamic_stack 0
		.amdhsa_system_sgpr_private_segment_wavefront_offset 0
		.amdhsa_system_sgpr_workgroup_id_x 1
		.amdhsa_system_sgpr_workgroup_id_y 0
		.amdhsa_system_sgpr_workgroup_id_z 0
		.amdhsa_system_sgpr_workgroup_info 0
		.amdhsa_system_vgpr_workitem_id 0
		.amdhsa_next_free_vgpr 1
		.amdhsa_next_free_sgpr 0
		.amdhsa_accum_offset 4
		.amdhsa_reserve_vcc 0
		.amdhsa_reserve_flat_scratch 0
		.amdhsa_float_round_mode_32 0
		.amdhsa_float_round_mode_16_64 0
		.amdhsa_float_denorm_mode_32 3
		.amdhsa_float_denorm_mode_16_64 3
		.amdhsa_dx10_clamp 1
		.amdhsa_ieee_mode 1
		.amdhsa_fp16_overflow 0
		.amdhsa_tg_split 0
		.amdhsa_exception_fp_ieee_invalid_op 0
		.amdhsa_exception_fp_denorm_src 0
		.amdhsa_exception_fp_ieee_div_zero 0
		.amdhsa_exception_fp_ieee_overflow 0
		.amdhsa_exception_fp_ieee_underflow 0
		.amdhsa_exception_fp_ieee_inexact 0
		.amdhsa_exception_int_div_zero 0
	.end_amdhsa_kernel
	.section	.text._ZN7rocprim17ROCPRIM_400000_NS6detail17trampoline_kernelINS0_14default_configENS1_37merge_sort_block_sort_config_selectorIlNS0_10empty_typeEEEZNS1_21merge_sort_block_sortIS3_PlS8_PS5_S9_ZN2at6native12_GLOBAL__N_124unique_dim_cuda_templateIN3c104HalfEEESt5tupleIJNSA_6TensorESH_SH_EERKSH_lbbbEUlllE_EE10hipError_tT0_T1_T2_T3_mRjT4_P12ihipStream_tbNS1_7vsmem_tEEUlT_E_NS1_11comp_targetILNS1_3genE8ELNS1_11target_archE1030ELNS1_3gpuE2ELNS1_3repE0EEENS1_30default_config_static_selectorELNS0_4arch9wavefront6targetE1EEEvSO_,"axG",@progbits,_ZN7rocprim17ROCPRIM_400000_NS6detail17trampoline_kernelINS0_14default_configENS1_37merge_sort_block_sort_config_selectorIlNS0_10empty_typeEEEZNS1_21merge_sort_block_sortIS3_PlS8_PS5_S9_ZN2at6native12_GLOBAL__N_124unique_dim_cuda_templateIN3c104HalfEEESt5tupleIJNSA_6TensorESH_SH_EERKSH_lbbbEUlllE_EE10hipError_tT0_T1_T2_T3_mRjT4_P12ihipStream_tbNS1_7vsmem_tEEUlT_E_NS1_11comp_targetILNS1_3genE8ELNS1_11target_archE1030ELNS1_3gpuE2ELNS1_3repE0EEENS1_30default_config_static_selectorELNS0_4arch9wavefront6targetE1EEEvSO_,comdat
.Lfunc_end1245:
	.size	_ZN7rocprim17ROCPRIM_400000_NS6detail17trampoline_kernelINS0_14default_configENS1_37merge_sort_block_sort_config_selectorIlNS0_10empty_typeEEEZNS1_21merge_sort_block_sortIS3_PlS8_PS5_S9_ZN2at6native12_GLOBAL__N_124unique_dim_cuda_templateIN3c104HalfEEESt5tupleIJNSA_6TensorESH_SH_EERKSH_lbbbEUlllE_EE10hipError_tT0_T1_T2_T3_mRjT4_P12ihipStream_tbNS1_7vsmem_tEEUlT_E_NS1_11comp_targetILNS1_3genE8ELNS1_11target_archE1030ELNS1_3gpuE2ELNS1_3repE0EEENS1_30default_config_static_selectorELNS0_4arch9wavefront6targetE1EEEvSO_, .Lfunc_end1245-_ZN7rocprim17ROCPRIM_400000_NS6detail17trampoline_kernelINS0_14default_configENS1_37merge_sort_block_sort_config_selectorIlNS0_10empty_typeEEEZNS1_21merge_sort_block_sortIS3_PlS8_PS5_S9_ZN2at6native12_GLOBAL__N_124unique_dim_cuda_templateIN3c104HalfEEESt5tupleIJNSA_6TensorESH_SH_EERKSH_lbbbEUlllE_EE10hipError_tT0_T1_T2_T3_mRjT4_P12ihipStream_tbNS1_7vsmem_tEEUlT_E_NS1_11comp_targetILNS1_3genE8ELNS1_11target_archE1030ELNS1_3gpuE2ELNS1_3repE0EEENS1_30default_config_static_selectorELNS0_4arch9wavefront6targetE1EEEvSO_
                                        ; -- End function
	.section	.AMDGPU.csdata,"",@progbits
; Kernel info:
; codeLenInByte = 0
; NumSgprs: 4
; NumVgprs: 0
; NumAgprs: 0
; TotalNumVgprs: 0
; ScratchSize: 0
; MemoryBound: 0
; FloatMode: 240
; IeeeMode: 1
; LDSByteSize: 0 bytes/workgroup (compile time only)
; SGPRBlocks: 0
; VGPRBlocks: 0
; NumSGPRsForWavesPerEU: 4
; NumVGPRsForWavesPerEU: 1
; AccumOffset: 4
; Occupancy: 8
; WaveLimiterHint : 0
; COMPUTE_PGM_RSRC2:SCRATCH_EN: 0
; COMPUTE_PGM_RSRC2:USER_SGPR: 6
; COMPUTE_PGM_RSRC2:TRAP_HANDLER: 0
; COMPUTE_PGM_RSRC2:TGID_X_EN: 1
; COMPUTE_PGM_RSRC2:TGID_Y_EN: 0
; COMPUTE_PGM_RSRC2:TGID_Z_EN: 0
; COMPUTE_PGM_RSRC2:TIDIG_COMP_CNT: 0
; COMPUTE_PGM_RSRC3_GFX90A:ACCUM_OFFSET: 0
; COMPUTE_PGM_RSRC3_GFX90A:TG_SPLIT: 0
	.section	.text._ZN7rocprim17ROCPRIM_400000_NS6detail17trampoline_kernelINS0_14default_configENS1_38merge_sort_block_merge_config_selectorIlNS0_10empty_typeEEEZZNS1_27merge_sort_block_merge_implIS3_PlPS5_mZN2at6native12_GLOBAL__N_124unique_dim_cuda_templateIN3c104HalfEEESt5tupleIJNSA_6TensorESH_SH_EERKSH_lbbbEUlllE_EE10hipError_tT0_T1_T2_jT3_P12ihipStream_tbPNSt15iterator_traitsISN_E10value_typeEPNST_ISO_E10value_typeEPSP_NS1_7vsmem_tEENKUlT_SN_SO_SP_E_clIS8_S8_S9_S9_EESM_S12_SN_SO_SP_EUlS12_E_NS1_11comp_targetILNS1_3genE0ELNS1_11target_archE4294967295ELNS1_3gpuE0ELNS1_3repE0EEENS1_48merge_mergepath_partition_config_static_selectorELNS0_4arch9wavefront6targetE1EEEvSO_,"axG",@progbits,_ZN7rocprim17ROCPRIM_400000_NS6detail17trampoline_kernelINS0_14default_configENS1_38merge_sort_block_merge_config_selectorIlNS0_10empty_typeEEEZZNS1_27merge_sort_block_merge_implIS3_PlPS5_mZN2at6native12_GLOBAL__N_124unique_dim_cuda_templateIN3c104HalfEEESt5tupleIJNSA_6TensorESH_SH_EERKSH_lbbbEUlllE_EE10hipError_tT0_T1_T2_jT3_P12ihipStream_tbPNSt15iterator_traitsISN_E10value_typeEPNST_ISO_E10value_typeEPSP_NS1_7vsmem_tEENKUlT_SN_SO_SP_E_clIS8_S8_S9_S9_EESM_S12_SN_SO_SP_EUlS12_E_NS1_11comp_targetILNS1_3genE0ELNS1_11target_archE4294967295ELNS1_3gpuE0ELNS1_3repE0EEENS1_48merge_mergepath_partition_config_static_selectorELNS0_4arch9wavefront6targetE1EEEvSO_,comdat
	.globl	_ZN7rocprim17ROCPRIM_400000_NS6detail17trampoline_kernelINS0_14default_configENS1_38merge_sort_block_merge_config_selectorIlNS0_10empty_typeEEEZZNS1_27merge_sort_block_merge_implIS3_PlPS5_mZN2at6native12_GLOBAL__N_124unique_dim_cuda_templateIN3c104HalfEEESt5tupleIJNSA_6TensorESH_SH_EERKSH_lbbbEUlllE_EE10hipError_tT0_T1_T2_jT3_P12ihipStream_tbPNSt15iterator_traitsISN_E10value_typeEPNST_ISO_E10value_typeEPSP_NS1_7vsmem_tEENKUlT_SN_SO_SP_E_clIS8_S8_S9_S9_EESM_S12_SN_SO_SP_EUlS12_E_NS1_11comp_targetILNS1_3genE0ELNS1_11target_archE4294967295ELNS1_3gpuE0ELNS1_3repE0EEENS1_48merge_mergepath_partition_config_static_selectorELNS0_4arch9wavefront6targetE1EEEvSO_ ; -- Begin function _ZN7rocprim17ROCPRIM_400000_NS6detail17trampoline_kernelINS0_14default_configENS1_38merge_sort_block_merge_config_selectorIlNS0_10empty_typeEEEZZNS1_27merge_sort_block_merge_implIS3_PlPS5_mZN2at6native12_GLOBAL__N_124unique_dim_cuda_templateIN3c104HalfEEESt5tupleIJNSA_6TensorESH_SH_EERKSH_lbbbEUlllE_EE10hipError_tT0_T1_T2_jT3_P12ihipStream_tbPNSt15iterator_traitsISN_E10value_typeEPNST_ISO_E10value_typeEPSP_NS1_7vsmem_tEENKUlT_SN_SO_SP_E_clIS8_S8_S9_S9_EESM_S12_SN_SO_SP_EUlS12_E_NS1_11comp_targetILNS1_3genE0ELNS1_11target_archE4294967295ELNS1_3gpuE0ELNS1_3repE0EEENS1_48merge_mergepath_partition_config_static_selectorELNS0_4arch9wavefront6targetE1EEEvSO_
	.p2align	8
	.type	_ZN7rocprim17ROCPRIM_400000_NS6detail17trampoline_kernelINS0_14default_configENS1_38merge_sort_block_merge_config_selectorIlNS0_10empty_typeEEEZZNS1_27merge_sort_block_merge_implIS3_PlPS5_mZN2at6native12_GLOBAL__N_124unique_dim_cuda_templateIN3c104HalfEEESt5tupleIJNSA_6TensorESH_SH_EERKSH_lbbbEUlllE_EE10hipError_tT0_T1_T2_jT3_P12ihipStream_tbPNSt15iterator_traitsISN_E10value_typeEPNST_ISO_E10value_typeEPSP_NS1_7vsmem_tEENKUlT_SN_SO_SP_E_clIS8_S8_S9_S9_EESM_S12_SN_SO_SP_EUlS12_E_NS1_11comp_targetILNS1_3genE0ELNS1_11target_archE4294967295ELNS1_3gpuE0ELNS1_3repE0EEENS1_48merge_mergepath_partition_config_static_selectorELNS0_4arch9wavefront6targetE1EEEvSO_,@function
_ZN7rocprim17ROCPRIM_400000_NS6detail17trampoline_kernelINS0_14default_configENS1_38merge_sort_block_merge_config_selectorIlNS0_10empty_typeEEEZZNS1_27merge_sort_block_merge_implIS3_PlPS5_mZN2at6native12_GLOBAL__N_124unique_dim_cuda_templateIN3c104HalfEEESt5tupleIJNSA_6TensorESH_SH_EERKSH_lbbbEUlllE_EE10hipError_tT0_T1_T2_jT3_P12ihipStream_tbPNSt15iterator_traitsISN_E10value_typeEPNST_ISO_E10value_typeEPSP_NS1_7vsmem_tEENKUlT_SN_SO_SP_E_clIS8_S8_S9_S9_EESM_S12_SN_SO_SP_EUlS12_E_NS1_11comp_targetILNS1_3genE0ELNS1_11target_archE4294967295ELNS1_3gpuE0ELNS1_3repE0EEENS1_48merge_mergepath_partition_config_static_selectorELNS0_4arch9wavefront6targetE1EEEvSO_: ; @_ZN7rocprim17ROCPRIM_400000_NS6detail17trampoline_kernelINS0_14default_configENS1_38merge_sort_block_merge_config_selectorIlNS0_10empty_typeEEEZZNS1_27merge_sort_block_merge_implIS3_PlPS5_mZN2at6native12_GLOBAL__N_124unique_dim_cuda_templateIN3c104HalfEEESt5tupleIJNSA_6TensorESH_SH_EERKSH_lbbbEUlllE_EE10hipError_tT0_T1_T2_jT3_P12ihipStream_tbPNSt15iterator_traitsISN_E10value_typeEPNST_ISO_E10value_typeEPSP_NS1_7vsmem_tEENKUlT_SN_SO_SP_E_clIS8_S8_S9_S9_EESM_S12_SN_SO_SP_EUlS12_E_NS1_11comp_targetILNS1_3genE0ELNS1_11target_archE4294967295ELNS1_3gpuE0ELNS1_3repE0EEENS1_48merge_mergepath_partition_config_static_selectorELNS0_4arch9wavefront6targetE1EEEvSO_
; %bb.0:
	.section	.rodata,"a",@progbits
	.p2align	6, 0x0
	.amdhsa_kernel _ZN7rocprim17ROCPRIM_400000_NS6detail17trampoline_kernelINS0_14default_configENS1_38merge_sort_block_merge_config_selectorIlNS0_10empty_typeEEEZZNS1_27merge_sort_block_merge_implIS3_PlPS5_mZN2at6native12_GLOBAL__N_124unique_dim_cuda_templateIN3c104HalfEEESt5tupleIJNSA_6TensorESH_SH_EERKSH_lbbbEUlllE_EE10hipError_tT0_T1_T2_jT3_P12ihipStream_tbPNSt15iterator_traitsISN_E10value_typeEPNST_ISO_E10value_typeEPSP_NS1_7vsmem_tEENKUlT_SN_SO_SP_E_clIS8_S8_S9_S9_EESM_S12_SN_SO_SP_EUlS12_E_NS1_11comp_targetILNS1_3genE0ELNS1_11target_archE4294967295ELNS1_3gpuE0ELNS1_3repE0EEENS1_48merge_mergepath_partition_config_static_selectorELNS0_4arch9wavefront6targetE1EEEvSO_
		.amdhsa_group_segment_fixed_size 0
		.amdhsa_private_segment_fixed_size 0
		.amdhsa_kernarg_size 56
		.amdhsa_user_sgpr_count 6
		.amdhsa_user_sgpr_private_segment_buffer 1
		.amdhsa_user_sgpr_dispatch_ptr 0
		.amdhsa_user_sgpr_queue_ptr 0
		.amdhsa_user_sgpr_kernarg_segment_ptr 1
		.amdhsa_user_sgpr_dispatch_id 0
		.amdhsa_user_sgpr_flat_scratch_init 0
		.amdhsa_user_sgpr_kernarg_preload_length 0
		.amdhsa_user_sgpr_kernarg_preload_offset 0
		.amdhsa_user_sgpr_private_segment_size 0
		.amdhsa_uses_dynamic_stack 0
		.amdhsa_system_sgpr_private_segment_wavefront_offset 0
		.amdhsa_system_sgpr_workgroup_id_x 1
		.amdhsa_system_sgpr_workgroup_id_y 0
		.amdhsa_system_sgpr_workgroup_id_z 0
		.amdhsa_system_sgpr_workgroup_info 0
		.amdhsa_system_vgpr_workitem_id 0
		.amdhsa_next_free_vgpr 1
		.amdhsa_next_free_sgpr 0
		.amdhsa_accum_offset 4
		.amdhsa_reserve_vcc 0
		.amdhsa_reserve_flat_scratch 0
		.amdhsa_float_round_mode_32 0
		.amdhsa_float_round_mode_16_64 0
		.amdhsa_float_denorm_mode_32 3
		.amdhsa_float_denorm_mode_16_64 3
		.amdhsa_dx10_clamp 1
		.amdhsa_ieee_mode 1
		.amdhsa_fp16_overflow 0
		.amdhsa_tg_split 0
		.amdhsa_exception_fp_ieee_invalid_op 0
		.amdhsa_exception_fp_denorm_src 0
		.amdhsa_exception_fp_ieee_div_zero 0
		.amdhsa_exception_fp_ieee_overflow 0
		.amdhsa_exception_fp_ieee_underflow 0
		.amdhsa_exception_fp_ieee_inexact 0
		.amdhsa_exception_int_div_zero 0
	.end_amdhsa_kernel
	.section	.text._ZN7rocprim17ROCPRIM_400000_NS6detail17trampoline_kernelINS0_14default_configENS1_38merge_sort_block_merge_config_selectorIlNS0_10empty_typeEEEZZNS1_27merge_sort_block_merge_implIS3_PlPS5_mZN2at6native12_GLOBAL__N_124unique_dim_cuda_templateIN3c104HalfEEESt5tupleIJNSA_6TensorESH_SH_EERKSH_lbbbEUlllE_EE10hipError_tT0_T1_T2_jT3_P12ihipStream_tbPNSt15iterator_traitsISN_E10value_typeEPNST_ISO_E10value_typeEPSP_NS1_7vsmem_tEENKUlT_SN_SO_SP_E_clIS8_S8_S9_S9_EESM_S12_SN_SO_SP_EUlS12_E_NS1_11comp_targetILNS1_3genE0ELNS1_11target_archE4294967295ELNS1_3gpuE0ELNS1_3repE0EEENS1_48merge_mergepath_partition_config_static_selectorELNS0_4arch9wavefront6targetE1EEEvSO_,"axG",@progbits,_ZN7rocprim17ROCPRIM_400000_NS6detail17trampoline_kernelINS0_14default_configENS1_38merge_sort_block_merge_config_selectorIlNS0_10empty_typeEEEZZNS1_27merge_sort_block_merge_implIS3_PlPS5_mZN2at6native12_GLOBAL__N_124unique_dim_cuda_templateIN3c104HalfEEESt5tupleIJNSA_6TensorESH_SH_EERKSH_lbbbEUlllE_EE10hipError_tT0_T1_T2_jT3_P12ihipStream_tbPNSt15iterator_traitsISN_E10value_typeEPNST_ISO_E10value_typeEPSP_NS1_7vsmem_tEENKUlT_SN_SO_SP_E_clIS8_S8_S9_S9_EESM_S12_SN_SO_SP_EUlS12_E_NS1_11comp_targetILNS1_3genE0ELNS1_11target_archE4294967295ELNS1_3gpuE0ELNS1_3repE0EEENS1_48merge_mergepath_partition_config_static_selectorELNS0_4arch9wavefront6targetE1EEEvSO_,comdat
.Lfunc_end1246:
	.size	_ZN7rocprim17ROCPRIM_400000_NS6detail17trampoline_kernelINS0_14default_configENS1_38merge_sort_block_merge_config_selectorIlNS0_10empty_typeEEEZZNS1_27merge_sort_block_merge_implIS3_PlPS5_mZN2at6native12_GLOBAL__N_124unique_dim_cuda_templateIN3c104HalfEEESt5tupleIJNSA_6TensorESH_SH_EERKSH_lbbbEUlllE_EE10hipError_tT0_T1_T2_jT3_P12ihipStream_tbPNSt15iterator_traitsISN_E10value_typeEPNST_ISO_E10value_typeEPSP_NS1_7vsmem_tEENKUlT_SN_SO_SP_E_clIS8_S8_S9_S9_EESM_S12_SN_SO_SP_EUlS12_E_NS1_11comp_targetILNS1_3genE0ELNS1_11target_archE4294967295ELNS1_3gpuE0ELNS1_3repE0EEENS1_48merge_mergepath_partition_config_static_selectorELNS0_4arch9wavefront6targetE1EEEvSO_, .Lfunc_end1246-_ZN7rocprim17ROCPRIM_400000_NS6detail17trampoline_kernelINS0_14default_configENS1_38merge_sort_block_merge_config_selectorIlNS0_10empty_typeEEEZZNS1_27merge_sort_block_merge_implIS3_PlPS5_mZN2at6native12_GLOBAL__N_124unique_dim_cuda_templateIN3c104HalfEEESt5tupleIJNSA_6TensorESH_SH_EERKSH_lbbbEUlllE_EE10hipError_tT0_T1_T2_jT3_P12ihipStream_tbPNSt15iterator_traitsISN_E10value_typeEPNST_ISO_E10value_typeEPSP_NS1_7vsmem_tEENKUlT_SN_SO_SP_E_clIS8_S8_S9_S9_EESM_S12_SN_SO_SP_EUlS12_E_NS1_11comp_targetILNS1_3genE0ELNS1_11target_archE4294967295ELNS1_3gpuE0ELNS1_3repE0EEENS1_48merge_mergepath_partition_config_static_selectorELNS0_4arch9wavefront6targetE1EEEvSO_
                                        ; -- End function
	.section	.AMDGPU.csdata,"",@progbits
; Kernel info:
; codeLenInByte = 0
; NumSgprs: 4
; NumVgprs: 0
; NumAgprs: 0
; TotalNumVgprs: 0
; ScratchSize: 0
; MemoryBound: 0
; FloatMode: 240
; IeeeMode: 1
; LDSByteSize: 0 bytes/workgroup (compile time only)
; SGPRBlocks: 0
; VGPRBlocks: 0
; NumSGPRsForWavesPerEU: 4
; NumVGPRsForWavesPerEU: 1
; AccumOffset: 4
; Occupancy: 8
; WaveLimiterHint : 0
; COMPUTE_PGM_RSRC2:SCRATCH_EN: 0
; COMPUTE_PGM_RSRC2:USER_SGPR: 6
; COMPUTE_PGM_RSRC2:TRAP_HANDLER: 0
; COMPUTE_PGM_RSRC2:TGID_X_EN: 1
; COMPUTE_PGM_RSRC2:TGID_Y_EN: 0
; COMPUTE_PGM_RSRC2:TGID_Z_EN: 0
; COMPUTE_PGM_RSRC2:TIDIG_COMP_CNT: 0
; COMPUTE_PGM_RSRC3_GFX90A:ACCUM_OFFSET: 0
; COMPUTE_PGM_RSRC3_GFX90A:TG_SPLIT: 0
	.section	.text._ZN7rocprim17ROCPRIM_400000_NS6detail17trampoline_kernelINS0_14default_configENS1_38merge_sort_block_merge_config_selectorIlNS0_10empty_typeEEEZZNS1_27merge_sort_block_merge_implIS3_PlPS5_mZN2at6native12_GLOBAL__N_124unique_dim_cuda_templateIN3c104HalfEEESt5tupleIJNSA_6TensorESH_SH_EERKSH_lbbbEUlllE_EE10hipError_tT0_T1_T2_jT3_P12ihipStream_tbPNSt15iterator_traitsISN_E10value_typeEPNST_ISO_E10value_typeEPSP_NS1_7vsmem_tEENKUlT_SN_SO_SP_E_clIS8_S8_S9_S9_EESM_S12_SN_SO_SP_EUlS12_E_NS1_11comp_targetILNS1_3genE10ELNS1_11target_archE1201ELNS1_3gpuE5ELNS1_3repE0EEENS1_48merge_mergepath_partition_config_static_selectorELNS0_4arch9wavefront6targetE1EEEvSO_,"axG",@progbits,_ZN7rocprim17ROCPRIM_400000_NS6detail17trampoline_kernelINS0_14default_configENS1_38merge_sort_block_merge_config_selectorIlNS0_10empty_typeEEEZZNS1_27merge_sort_block_merge_implIS3_PlPS5_mZN2at6native12_GLOBAL__N_124unique_dim_cuda_templateIN3c104HalfEEESt5tupleIJNSA_6TensorESH_SH_EERKSH_lbbbEUlllE_EE10hipError_tT0_T1_T2_jT3_P12ihipStream_tbPNSt15iterator_traitsISN_E10value_typeEPNST_ISO_E10value_typeEPSP_NS1_7vsmem_tEENKUlT_SN_SO_SP_E_clIS8_S8_S9_S9_EESM_S12_SN_SO_SP_EUlS12_E_NS1_11comp_targetILNS1_3genE10ELNS1_11target_archE1201ELNS1_3gpuE5ELNS1_3repE0EEENS1_48merge_mergepath_partition_config_static_selectorELNS0_4arch9wavefront6targetE1EEEvSO_,comdat
	.globl	_ZN7rocprim17ROCPRIM_400000_NS6detail17trampoline_kernelINS0_14default_configENS1_38merge_sort_block_merge_config_selectorIlNS0_10empty_typeEEEZZNS1_27merge_sort_block_merge_implIS3_PlPS5_mZN2at6native12_GLOBAL__N_124unique_dim_cuda_templateIN3c104HalfEEESt5tupleIJNSA_6TensorESH_SH_EERKSH_lbbbEUlllE_EE10hipError_tT0_T1_T2_jT3_P12ihipStream_tbPNSt15iterator_traitsISN_E10value_typeEPNST_ISO_E10value_typeEPSP_NS1_7vsmem_tEENKUlT_SN_SO_SP_E_clIS8_S8_S9_S9_EESM_S12_SN_SO_SP_EUlS12_E_NS1_11comp_targetILNS1_3genE10ELNS1_11target_archE1201ELNS1_3gpuE5ELNS1_3repE0EEENS1_48merge_mergepath_partition_config_static_selectorELNS0_4arch9wavefront6targetE1EEEvSO_ ; -- Begin function _ZN7rocprim17ROCPRIM_400000_NS6detail17trampoline_kernelINS0_14default_configENS1_38merge_sort_block_merge_config_selectorIlNS0_10empty_typeEEEZZNS1_27merge_sort_block_merge_implIS3_PlPS5_mZN2at6native12_GLOBAL__N_124unique_dim_cuda_templateIN3c104HalfEEESt5tupleIJNSA_6TensorESH_SH_EERKSH_lbbbEUlllE_EE10hipError_tT0_T1_T2_jT3_P12ihipStream_tbPNSt15iterator_traitsISN_E10value_typeEPNST_ISO_E10value_typeEPSP_NS1_7vsmem_tEENKUlT_SN_SO_SP_E_clIS8_S8_S9_S9_EESM_S12_SN_SO_SP_EUlS12_E_NS1_11comp_targetILNS1_3genE10ELNS1_11target_archE1201ELNS1_3gpuE5ELNS1_3repE0EEENS1_48merge_mergepath_partition_config_static_selectorELNS0_4arch9wavefront6targetE1EEEvSO_
	.p2align	8
	.type	_ZN7rocprim17ROCPRIM_400000_NS6detail17trampoline_kernelINS0_14default_configENS1_38merge_sort_block_merge_config_selectorIlNS0_10empty_typeEEEZZNS1_27merge_sort_block_merge_implIS3_PlPS5_mZN2at6native12_GLOBAL__N_124unique_dim_cuda_templateIN3c104HalfEEESt5tupleIJNSA_6TensorESH_SH_EERKSH_lbbbEUlllE_EE10hipError_tT0_T1_T2_jT3_P12ihipStream_tbPNSt15iterator_traitsISN_E10value_typeEPNST_ISO_E10value_typeEPSP_NS1_7vsmem_tEENKUlT_SN_SO_SP_E_clIS8_S8_S9_S9_EESM_S12_SN_SO_SP_EUlS12_E_NS1_11comp_targetILNS1_3genE10ELNS1_11target_archE1201ELNS1_3gpuE5ELNS1_3repE0EEENS1_48merge_mergepath_partition_config_static_selectorELNS0_4arch9wavefront6targetE1EEEvSO_,@function
_ZN7rocprim17ROCPRIM_400000_NS6detail17trampoline_kernelINS0_14default_configENS1_38merge_sort_block_merge_config_selectorIlNS0_10empty_typeEEEZZNS1_27merge_sort_block_merge_implIS3_PlPS5_mZN2at6native12_GLOBAL__N_124unique_dim_cuda_templateIN3c104HalfEEESt5tupleIJNSA_6TensorESH_SH_EERKSH_lbbbEUlllE_EE10hipError_tT0_T1_T2_jT3_P12ihipStream_tbPNSt15iterator_traitsISN_E10value_typeEPNST_ISO_E10value_typeEPSP_NS1_7vsmem_tEENKUlT_SN_SO_SP_E_clIS8_S8_S9_S9_EESM_S12_SN_SO_SP_EUlS12_E_NS1_11comp_targetILNS1_3genE10ELNS1_11target_archE1201ELNS1_3gpuE5ELNS1_3repE0EEENS1_48merge_mergepath_partition_config_static_selectorELNS0_4arch9wavefront6targetE1EEEvSO_: ; @_ZN7rocprim17ROCPRIM_400000_NS6detail17trampoline_kernelINS0_14default_configENS1_38merge_sort_block_merge_config_selectorIlNS0_10empty_typeEEEZZNS1_27merge_sort_block_merge_implIS3_PlPS5_mZN2at6native12_GLOBAL__N_124unique_dim_cuda_templateIN3c104HalfEEESt5tupleIJNSA_6TensorESH_SH_EERKSH_lbbbEUlllE_EE10hipError_tT0_T1_T2_jT3_P12ihipStream_tbPNSt15iterator_traitsISN_E10value_typeEPNST_ISO_E10value_typeEPSP_NS1_7vsmem_tEENKUlT_SN_SO_SP_E_clIS8_S8_S9_S9_EESM_S12_SN_SO_SP_EUlS12_E_NS1_11comp_targetILNS1_3genE10ELNS1_11target_archE1201ELNS1_3gpuE5ELNS1_3repE0EEENS1_48merge_mergepath_partition_config_static_selectorELNS0_4arch9wavefront6targetE1EEEvSO_
; %bb.0:
	.section	.rodata,"a",@progbits
	.p2align	6, 0x0
	.amdhsa_kernel _ZN7rocprim17ROCPRIM_400000_NS6detail17trampoline_kernelINS0_14default_configENS1_38merge_sort_block_merge_config_selectorIlNS0_10empty_typeEEEZZNS1_27merge_sort_block_merge_implIS3_PlPS5_mZN2at6native12_GLOBAL__N_124unique_dim_cuda_templateIN3c104HalfEEESt5tupleIJNSA_6TensorESH_SH_EERKSH_lbbbEUlllE_EE10hipError_tT0_T1_T2_jT3_P12ihipStream_tbPNSt15iterator_traitsISN_E10value_typeEPNST_ISO_E10value_typeEPSP_NS1_7vsmem_tEENKUlT_SN_SO_SP_E_clIS8_S8_S9_S9_EESM_S12_SN_SO_SP_EUlS12_E_NS1_11comp_targetILNS1_3genE10ELNS1_11target_archE1201ELNS1_3gpuE5ELNS1_3repE0EEENS1_48merge_mergepath_partition_config_static_selectorELNS0_4arch9wavefront6targetE1EEEvSO_
		.amdhsa_group_segment_fixed_size 0
		.amdhsa_private_segment_fixed_size 0
		.amdhsa_kernarg_size 56
		.amdhsa_user_sgpr_count 6
		.amdhsa_user_sgpr_private_segment_buffer 1
		.amdhsa_user_sgpr_dispatch_ptr 0
		.amdhsa_user_sgpr_queue_ptr 0
		.amdhsa_user_sgpr_kernarg_segment_ptr 1
		.amdhsa_user_sgpr_dispatch_id 0
		.amdhsa_user_sgpr_flat_scratch_init 0
		.amdhsa_user_sgpr_kernarg_preload_length 0
		.amdhsa_user_sgpr_kernarg_preload_offset 0
		.amdhsa_user_sgpr_private_segment_size 0
		.amdhsa_uses_dynamic_stack 0
		.amdhsa_system_sgpr_private_segment_wavefront_offset 0
		.amdhsa_system_sgpr_workgroup_id_x 1
		.amdhsa_system_sgpr_workgroup_id_y 0
		.amdhsa_system_sgpr_workgroup_id_z 0
		.amdhsa_system_sgpr_workgroup_info 0
		.amdhsa_system_vgpr_workitem_id 0
		.amdhsa_next_free_vgpr 1
		.amdhsa_next_free_sgpr 0
		.amdhsa_accum_offset 4
		.amdhsa_reserve_vcc 0
		.amdhsa_reserve_flat_scratch 0
		.amdhsa_float_round_mode_32 0
		.amdhsa_float_round_mode_16_64 0
		.amdhsa_float_denorm_mode_32 3
		.amdhsa_float_denorm_mode_16_64 3
		.amdhsa_dx10_clamp 1
		.amdhsa_ieee_mode 1
		.amdhsa_fp16_overflow 0
		.amdhsa_tg_split 0
		.amdhsa_exception_fp_ieee_invalid_op 0
		.amdhsa_exception_fp_denorm_src 0
		.amdhsa_exception_fp_ieee_div_zero 0
		.amdhsa_exception_fp_ieee_overflow 0
		.amdhsa_exception_fp_ieee_underflow 0
		.amdhsa_exception_fp_ieee_inexact 0
		.amdhsa_exception_int_div_zero 0
	.end_amdhsa_kernel
	.section	.text._ZN7rocprim17ROCPRIM_400000_NS6detail17trampoline_kernelINS0_14default_configENS1_38merge_sort_block_merge_config_selectorIlNS0_10empty_typeEEEZZNS1_27merge_sort_block_merge_implIS3_PlPS5_mZN2at6native12_GLOBAL__N_124unique_dim_cuda_templateIN3c104HalfEEESt5tupleIJNSA_6TensorESH_SH_EERKSH_lbbbEUlllE_EE10hipError_tT0_T1_T2_jT3_P12ihipStream_tbPNSt15iterator_traitsISN_E10value_typeEPNST_ISO_E10value_typeEPSP_NS1_7vsmem_tEENKUlT_SN_SO_SP_E_clIS8_S8_S9_S9_EESM_S12_SN_SO_SP_EUlS12_E_NS1_11comp_targetILNS1_3genE10ELNS1_11target_archE1201ELNS1_3gpuE5ELNS1_3repE0EEENS1_48merge_mergepath_partition_config_static_selectorELNS0_4arch9wavefront6targetE1EEEvSO_,"axG",@progbits,_ZN7rocprim17ROCPRIM_400000_NS6detail17trampoline_kernelINS0_14default_configENS1_38merge_sort_block_merge_config_selectorIlNS0_10empty_typeEEEZZNS1_27merge_sort_block_merge_implIS3_PlPS5_mZN2at6native12_GLOBAL__N_124unique_dim_cuda_templateIN3c104HalfEEESt5tupleIJNSA_6TensorESH_SH_EERKSH_lbbbEUlllE_EE10hipError_tT0_T1_T2_jT3_P12ihipStream_tbPNSt15iterator_traitsISN_E10value_typeEPNST_ISO_E10value_typeEPSP_NS1_7vsmem_tEENKUlT_SN_SO_SP_E_clIS8_S8_S9_S9_EESM_S12_SN_SO_SP_EUlS12_E_NS1_11comp_targetILNS1_3genE10ELNS1_11target_archE1201ELNS1_3gpuE5ELNS1_3repE0EEENS1_48merge_mergepath_partition_config_static_selectorELNS0_4arch9wavefront6targetE1EEEvSO_,comdat
.Lfunc_end1247:
	.size	_ZN7rocprim17ROCPRIM_400000_NS6detail17trampoline_kernelINS0_14default_configENS1_38merge_sort_block_merge_config_selectorIlNS0_10empty_typeEEEZZNS1_27merge_sort_block_merge_implIS3_PlPS5_mZN2at6native12_GLOBAL__N_124unique_dim_cuda_templateIN3c104HalfEEESt5tupleIJNSA_6TensorESH_SH_EERKSH_lbbbEUlllE_EE10hipError_tT0_T1_T2_jT3_P12ihipStream_tbPNSt15iterator_traitsISN_E10value_typeEPNST_ISO_E10value_typeEPSP_NS1_7vsmem_tEENKUlT_SN_SO_SP_E_clIS8_S8_S9_S9_EESM_S12_SN_SO_SP_EUlS12_E_NS1_11comp_targetILNS1_3genE10ELNS1_11target_archE1201ELNS1_3gpuE5ELNS1_3repE0EEENS1_48merge_mergepath_partition_config_static_selectorELNS0_4arch9wavefront6targetE1EEEvSO_, .Lfunc_end1247-_ZN7rocprim17ROCPRIM_400000_NS6detail17trampoline_kernelINS0_14default_configENS1_38merge_sort_block_merge_config_selectorIlNS0_10empty_typeEEEZZNS1_27merge_sort_block_merge_implIS3_PlPS5_mZN2at6native12_GLOBAL__N_124unique_dim_cuda_templateIN3c104HalfEEESt5tupleIJNSA_6TensorESH_SH_EERKSH_lbbbEUlllE_EE10hipError_tT0_T1_T2_jT3_P12ihipStream_tbPNSt15iterator_traitsISN_E10value_typeEPNST_ISO_E10value_typeEPSP_NS1_7vsmem_tEENKUlT_SN_SO_SP_E_clIS8_S8_S9_S9_EESM_S12_SN_SO_SP_EUlS12_E_NS1_11comp_targetILNS1_3genE10ELNS1_11target_archE1201ELNS1_3gpuE5ELNS1_3repE0EEENS1_48merge_mergepath_partition_config_static_selectorELNS0_4arch9wavefront6targetE1EEEvSO_
                                        ; -- End function
	.section	.AMDGPU.csdata,"",@progbits
; Kernel info:
; codeLenInByte = 0
; NumSgprs: 4
; NumVgprs: 0
; NumAgprs: 0
; TotalNumVgprs: 0
; ScratchSize: 0
; MemoryBound: 0
; FloatMode: 240
; IeeeMode: 1
; LDSByteSize: 0 bytes/workgroup (compile time only)
; SGPRBlocks: 0
; VGPRBlocks: 0
; NumSGPRsForWavesPerEU: 4
; NumVGPRsForWavesPerEU: 1
; AccumOffset: 4
; Occupancy: 8
; WaveLimiterHint : 0
; COMPUTE_PGM_RSRC2:SCRATCH_EN: 0
; COMPUTE_PGM_RSRC2:USER_SGPR: 6
; COMPUTE_PGM_RSRC2:TRAP_HANDLER: 0
; COMPUTE_PGM_RSRC2:TGID_X_EN: 1
; COMPUTE_PGM_RSRC2:TGID_Y_EN: 0
; COMPUTE_PGM_RSRC2:TGID_Z_EN: 0
; COMPUTE_PGM_RSRC2:TIDIG_COMP_CNT: 0
; COMPUTE_PGM_RSRC3_GFX90A:ACCUM_OFFSET: 0
; COMPUTE_PGM_RSRC3_GFX90A:TG_SPLIT: 0
	.section	.text._ZN7rocprim17ROCPRIM_400000_NS6detail17trampoline_kernelINS0_14default_configENS1_38merge_sort_block_merge_config_selectorIlNS0_10empty_typeEEEZZNS1_27merge_sort_block_merge_implIS3_PlPS5_mZN2at6native12_GLOBAL__N_124unique_dim_cuda_templateIN3c104HalfEEESt5tupleIJNSA_6TensorESH_SH_EERKSH_lbbbEUlllE_EE10hipError_tT0_T1_T2_jT3_P12ihipStream_tbPNSt15iterator_traitsISN_E10value_typeEPNST_ISO_E10value_typeEPSP_NS1_7vsmem_tEENKUlT_SN_SO_SP_E_clIS8_S8_S9_S9_EESM_S12_SN_SO_SP_EUlS12_E_NS1_11comp_targetILNS1_3genE5ELNS1_11target_archE942ELNS1_3gpuE9ELNS1_3repE0EEENS1_48merge_mergepath_partition_config_static_selectorELNS0_4arch9wavefront6targetE1EEEvSO_,"axG",@progbits,_ZN7rocprim17ROCPRIM_400000_NS6detail17trampoline_kernelINS0_14default_configENS1_38merge_sort_block_merge_config_selectorIlNS0_10empty_typeEEEZZNS1_27merge_sort_block_merge_implIS3_PlPS5_mZN2at6native12_GLOBAL__N_124unique_dim_cuda_templateIN3c104HalfEEESt5tupleIJNSA_6TensorESH_SH_EERKSH_lbbbEUlllE_EE10hipError_tT0_T1_T2_jT3_P12ihipStream_tbPNSt15iterator_traitsISN_E10value_typeEPNST_ISO_E10value_typeEPSP_NS1_7vsmem_tEENKUlT_SN_SO_SP_E_clIS8_S8_S9_S9_EESM_S12_SN_SO_SP_EUlS12_E_NS1_11comp_targetILNS1_3genE5ELNS1_11target_archE942ELNS1_3gpuE9ELNS1_3repE0EEENS1_48merge_mergepath_partition_config_static_selectorELNS0_4arch9wavefront6targetE1EEEvSO_,comdat
	.globl	_ZN7rocprim17ROCPRIM_400000_NS6detail17trampoline_kernelINS0_14default_configENS1_38merge_sort_block_merge_config_selectorIlNS0_10empty_typeEEEZZNS1_27merge_sort_block_merge_implIS3_PlPS5_mZN2at6native12_GLOBAL__N_124unique_dim_cuda_templateIN3c104HalfEEESt5tupleIJNSA_6TensorESH_SH_EERKSH_lbbbEUlllE_EE10hipError_tT0_T1_T2_jT3_P12ihipStream_tbPNSt15iterator_traitsISN_E10value_typeEPNST_ISO_E10value_typeEPSP_NS1_7vsmem_tEENKUlT_SN_SO_SP_E_clIS8_S8_S9_S9_EESM_S12_SN_SO_SP_EUlS12_E_NS1_11comp_targetILNS1_3genE5ELNS1_11target_archE942ELNS1_3gpuE9ELNS1_3repE0EEENS1_48merge_mergepath_partition_config_static_selectorELNS0_4arch9wavefront6targetE1EEEvSO_ ; -- Begin function _ZN7rocprim17ROCPRIM_400000_NS6detail17trampoline_kernelINS0_14default_configENS1_38merge_sort_block_merge_config_selectorIlNS0_10empty_typeEEEZZNS1_27merge_sort_block_merge_implIS3_PlPS5_mZN2at6native12_GLOBAL__N_124unique_dim_cuda_templateIN3c104HalfEEESt5tupleIJNSA_6TensorESH_SH_EERKSH_lbbbEUlllE_EE10hipError_tT0_T1_T2_jT3_P12ihipStream_tbPNSt15iterator_traitsISN_E10value_typeEPNST_ISO_E10value_typeEPSP_NS1_7vsmem_tEENKUlT_SN_SO_SP_E_clIS8_S8_S9_S9_EESM_S12_SN_SO_SP_EUlS12_E_NS1_11comp_targetILNS1_3genE5ELNS1_11target_archE942ELNS1_3gpuE9ELNS1_3repE0EEENS1_48merge_mergepath_partition_config_static_selectorELNS0_4arch9wavefront6targetE1EEEvSO_
	.p2align	8
	.type	_ZN7rocprim17ROCPRIM_400000_NS6detail17trampoline_kernelINS0_14default_configENS1_38merge_sort_block_merge_config_selectorIlNS0_10empty_typeEEEZZNS1_27merge_sort_block_merge_implIS3_PlPS5_mZN2at6native12_GLOBAL__N_124unique_dim_cuda_templateIN3c104HalfEEESt5tupleIJNSA_6TensorESH_SH_EERKSH_lbbbEUlllE_EE10hipError_tT0_T1_T2_jT3_P12ihipStream_tbPNSt15iterator_traitsISN_E10value_typeEPNST_ISO_E10value_typeEPSP_NS1_7vsmem_tEENKUlT_SN_SO_SP_E_clIS8_S8_S9_S9_EESM_S12_SN_SO_SP_EUlS12_E_NS1_11comp_targetILNS1_3genE5ELNS1_11target_archE942ELNS1_3gpuE9ELNS1_3repE0EEENS1_48merge_mergepath_partition_config_static_selectorELNS0_4arch9wavefront6targetE1EEEvSO_,@function
_ZN7rocprim17ROCPRIM_400000_NS6detail17trampoline_kernelINS0_14default_configENS1_38merge_sort_block_merge_config_selectorIlNS0_10empty_typeEEEZZNS1_27merge_sort_block_merge_implIS3_PlPS5_mZN2at6native12_GLOBAL__N_124unique_dim_cuda_templateIN3c104HalfEEESt5tupleIJNSA_6TensorESH_SH_EERKSH_lbbbEUlllE_EE10hipError_tT0_T1_T2_jT3_P12ihipStream_tbPNSt15iterator_traitsISN_E10value_typeEPNST_ISO_E10value_typeEPSP_NS1_7vsmem_tEENKUlT_SN_SO_SP_E_clIS8_S8_S9_S9_EESM_S12_SN_SO_SP_EUlS12_E_NS1_11comp_targetILNS1_3genE5ELNS1_11target_archE942ELNS1_3gpuE9ELNS1_3repE0EEENS1_48merge_mergepath_partition_config_static_selectorELNS0_4arch9wavefront6targetE1EEEvSO_: ; @_ZN7rocprim17ROCPRIM_400000_NS6detail17trampoline_kernelINS0_14default_configENS1_38merge_sort_block_merge_config_selectorIlNS0_10empty_typeEEEZZNS1_27merge_sort_block_merge_implIS3_PlPS5_mZN2at6native12_GLOBAL__N_124unique_dim_cuda_templateIN3c104HalfEEESt5tupleIJNSA_6TensorESH_SH_EERKSH_lbbbEUlllE_EE10hipError_tT0_T1_T2_jT3_P12ihipStream_tbPNSt15iterator_traitsISN_E10value_typeEPNST_ISO_E10value_typeEPSP_NS1_7vsmem_tEENKUlT_SN_SO_SP_E_clIS8_S8_S9_S9_EESM_S12_SN_SO_SP_EUlS12_E_NS1_11comp_targetILNS1_3genE5ELNS1_11target_archE942ELNS1_3gpuE9ELNS1_3repE0EEENS1_48merge_mergepath_partition_config_static_selectorELNS0_4arch9wavefront6targetE1EEEvSO_
; %bb.0:
	.section	.rodata,"a",@progbits
	.p2align	6, 0x0
	.amdhsa_kernel _ZN7rocprim17ROCPRIM_400000_NS6detail17trampoline_kernelINS0_14default_configENS1_38merge_sort_block_merge_config_selectorIlNS0_10empty_typeEEEZZNS1_27merge_sort_block_merge_implIS3_PlPS5_mZN2at6native12_GLOBAL__N_124unique_dim_cuda_templateIN3c104HalfEEESt5tupleIJNSA_6TensorESH_SH_EERKSH_lbbbEUlllE_EE10hipError_tT0_T1_T2_jT3_P12ihipStream_tbPNSt15iterator_traitsISN_E10value_typeEPNST_ISO_E10value_typeEPSP_NS1_7vsmem_tEENKUlT_SN_SO_SP_E_clIS8_S8_S9_S9_EESM_S12_SN_SO_SP_EUlS12_E_NS1_11comp_targetILNS1_3genE5ELNS1_11target_archE942ELNS1_3gpuE9ELNS1_3repE0EEENS1_48merge_mergepath_partition_config_static_selectorELNS0_4arch9wavefront6targetE1EEEvSO_
		.amdhsa_group_segment_fixed_size 0
		.amdhsa_private_segment_fixed_size 0
		.amdhsa_kernarg_size 56
		.amdhsa_user_sgpr_count 6
		.amdhsa_user_sgpr_private_segment_buffer 1
		.amdhsa_user_sgpr_dispatch_ptr 0
		.amdhsa_user_sgpr_queue_ptr 0
		.amdhsa_user_sgpr_kernarg_segment_ptr 1
		.amdhsa_user_sgpr_dispatch_id 0
		.amdhsa_user_sgpr_flat_scratch_init 0
		.amdhsa_user_sgpr_kernarg_preload_length 0
		.amdhsa_user_sgpr_kernarg_preload_offset 0
		.amdhsa_user_sgpr_private_segment_size 0
		.amdhsa_uses_dynamic_stack 0
		.amdhsa_system_sgpr_private_segment_wavefront_offset 0
		.amdhsa_system_sgpr_workgroup_id_x 1
		.amdhsa_system_sgpr_workgroup_id_y 0
		.amdhsa_system_sgpr_workgroup_id_z 0
		.amdhsa_system_sgpr_workgroup_info 0
		.amdhsa_system_vgpr_workitem_id 0
		.amdhsa_next_free_vgpr 1
		.amdhsa_next_free_sgpr 0
		.amdhsa_accum_offset 4
		.amdhsa_reserve_vcc 0
		.amdhsa_reserve_flat_scratch 0
		.amdhsa_float_round_mode_32 0
		.amdhsa_float_round_mode_16_64 0
		.amdhsa_float_denorm_mode_32 3
		.amdhsa_float_denorm_mode_16_64 3
		.amdhsa_dx10_clamp 1
		.amdhsa_ieee_mode 1
		.amdhsa_fp16_overflow 0
		.amdhsa_tg_split 0
		.amdhsa_exception_fp_ieee_invalid_op 0
		.amdhsa_exception_fp_denorm_src 0
		.amdhsa_exception_fp_ieee_div_zero 0
		.amdhsa_exception_fp_ieee_overflow 0
		.amdhsa_exception_fp_ieee_underflow 0
		.amdhsa_exception_fp_ieee_inexact 0
		.amdhsa_exception_int_div_zero 0
	.end_amdhsa_kernel
	.section	.text._ZN7rocprim17ROCPRIM_400000_NS6detail17trampoline_kernelINS0_14default_configENS1_38merge_sort_block_merge_config_selectorIlNS0_10empty_typeEEEZZNS1_27merge_sort_block_merge_implIS3_PlPS5_mZN2at6native12_GLOBAL__N_124unique_dim_cuda_templateIN3c104HalfEEESt5tupleIJNSA_6TensorESH_SH_EERKSH_lbbbEUlllE_EE10hipError_tT0_T1_T2_jT3_P12ihipStream_tbPNSt15iterator_traitsISN_E10value_typeEPNST_ISO_E10value_typeEPSP_NS1_7vsmem_tEENKUlT_SN_SO_SP_E_clIS8_S8_S9_S9_EESM_S12_SN_SO_SP_EUlS12_E_NS1_11comp_targetILNS1_3genE5ELNS1_11target_archE942ELNS1_3gpuE9ELNS1_3repE0EEENS1_48merge_mergepath_partition_config_static_selectorELNS0_4arch9wavefront6targetE1EEEvSO_,"axG",@progbits,_ZN7rocprim17ROCPRIM_400000_NS6detail17trampoline_kernelINS0_14default_configENS1_38merge_sort_block_merge_config_selectorIlNS0_10empty_typeEEEZZNS1_27merge_sort_block_merge_implIS3_PlPS5_mZN2at6native12_GLOBAL__N_124unique_dim_cuda_templateIN3c104HalfEEESt5tupleIJNSA_6TensorESH_SH_EERKSH_lbbbEUlllE_EE10hipError_tT0_T1_T2_jT3_P12ihipStream_tbPNSt15iterator_traitsISN_E10value_typeEPNST_ISO_E10value_typeEPSP_NS1_7vsmem_tEENKUlT_SN_SO_SP_E_clIS8_S8_S9_S9_EESM_S12_SN_SO_SP_EUlS12_E_NS1_11comp_targetILNS1_3genE5ELNS1_11target_archE942ELNS1_3gpuE9ELNS1_3repE0EEENS1_48merge_mergepath_partition_config_static_selectorELNS0_4arch9wavefront6targetE1EEEvSO_,comdat
.Lfunc_end1248:
	.size	_ZN7rocprim17ROCPRIM_400000_NS6detail17trampoline_kernelINS0_14default_configENS1_38merge_sort_block_merge_config_selectorIlNS0_10empty_typeEEEZZNS1_27merge_sort_block_merge_implIS3_PlPS5_mZN2at6native12_GLOBAL__N_124unique_dim_cuda_templateIN3c104HalfEEESt5tupleIJNSA_6TensorESH_SH_EERKSH_lbbbEUlllE_EE10hipError_tT0_T1_T2_jT3_P12ihipStream_tbPNSt15iterator_traitsISN_E10value_typeEPNST_ISO_E10value_typeEPSP_NS1_7vsmem_tEENKUlT_SN_SO_SP_E_clIS8_S8_S9_S9_EESM_S12_SN_SO_SP_EUlS12_E_NS1_11comp_targetILNS1_3genE5ELNS1_11target_archE942ELNS1_3gpuE9ELNS1_3repE0EEENS1_48merge_mergepath_partition_config_static_selectorELNS0_4arch9wavefront6targetE1EEEvSO_, .Lfunc_end1248-_ZN7rocprim17ROCPRIM_400000_NS6detail17trampoline_kernelINS0_14default_configENS1_38merge_sort_block_merge_config_selectorIlNS0_10empty_typeEEEZZNS1_27merge_sort_block_merge_implIS3_PlPS5_mZN2at6native12_GLOBAL__N_124unique_dim_cuda_templateIN3c104HalfEEESt5tupleIJNSA_6TensorESH_SH_EERKSH_lbbbEUlllE_EE10hipError_tT0_T1_T2_jT3_P12ihipStream_tbPNSt15iterator_traitsISN_E10value_typeEPNST_ISO_E10value_typeEPSP_NS1_7vsmem_tEENKUlT_SN_SO_SP_E_clIS8_S8_S9_S9_EESM_S12_SN_SO_SP_EUlS12_E_NS1_11comp_targetILNS1_3genE5ELNS1_11target_archE942ELNS1_3gpuE9ELNS1_3repE0EEENS1_48merge_mergepath_partition_config_static_selectorELNS0_4arch9wavefront6targetE1EEEvSO_
                                        ; -- End function
	.section	.AMDGPU.csdata,"",@progbits
; Kernel info:
; codeLenInByte = 0
; NumSgprs: 4
; NumVgprs: 0
; NumAgprs: 0
; TotalNumVgprs: 0
; ScratchSize: 0
; MemoryBound: 0
; FloatMode: 240
; IeeeMode: 1
; LDSByteSize: 0 bytes/workgroup (compile time only)
; SGPRBlocks: 0
; VGPRBlocks: 0
; NumSGPRsForWavesPerEU: 4
; NumVGPRsForWavesPerEU: 1
; AccumOffset: 4
; Occupancy: 8
; WaveLimiterHint : 0
; COMPUTE_PGM_RSRC2:SCRATCH_EN: 0
; COMPUTE_PGM_RSRC2:USER_SGPR: 6
; COMPUTE_PGM_RSRC2:TRAP_HANDLER: 0
; COMPUTE_PGM_RSRC2:TGID_X_EN: 1
; COMPUTE_PGM_RSRC2:TGID_Y_EN: 0
; COMPUTE_PGM_RSRC2:TGID_Z_EN: 0
; COMPUTE_PGM_RSRC2:TIDIG_COMP_CNT: 0
; COMPUTE_PGM_RSRC3_GFX90A:ACCUM_OFFSET: 0
; COMPUTE_PGM_RSRC3_GFX90A:TG_SPLIT: 0
	.section	.text._ZN7rocprim17ROCPRIM_400000_NS6detail17trampoline_kernelINS0_14default_configENS1_38merge_sort_block_merge_config_selectorIlNS0_10empty_typeEEEZZNS1_27merge_sort_block_merge_implIS3_PlPS5_mZN2at6native12_GLOBAL__N_124unique_dim_cuda_templateIN3c104HalfEEESt5tupleIJNSA_6TensorESH_SH_EERKSH_lbbbEUlllE_EE10hipError_tT0_T1_T2_jT3_P12ihipStream_tbPNSt15iterator_traitsISN_E10value_typeEPNST_ISO_E10value_typeEPSP_NS1_7vsmem_tEENKUlT_SN_SO_SP_E_clIS8_S8_S9_S9_EESM_S12_SN_SO_SP_EUlS12_E_NS1_11comp_targetILNS1_3genE4ELNS1_11target_archE910ELNS1_3gpuE8ELNS1_3repE0EEENS1_48merge_mergepath_partition_config_static_selectorELNS0_4arch9wavefront6targetE1EEEvSO_,"axG",@progbits,_ZN7rocprim17ROCPRIM_400000_NS6detail17trampoline_kernelINS0_14default_configENS1_38merge_sort_block_merge_config_selectorIlNS0_10empty_typeEEEZZNS1_27merge_sort_block_merge_implIS3_PlPS5_mZN2at6native12_GLOBAL__N_124unique_dim_cuda_templateIN3c104HalfEEESt5tupleIJNSA_6TensorESH_SH_EERKSH_lbbbEUlllE_EE10hipError_tT0_T1_T2_jT3_P12ihipStream_tbPNSt15iterator_traitsISN_E10value_typeEPNST_ISO_E10value_typeEPSP_NS1_7vsmem_tEENKUlT_SN_SO_SP_E_clIS8_S8_S9_S9_EESM_S12_SN_SO_SP_EUlS12_E_NS1_11comp_targetILNS1_3genE4ELNS1_11target_archE910ELNS1_3gpuE8ELNS1_3repE0EEENS1_48merge_mergepath_partition_config_static_selectorELNS0_4arch9wavefront6targetE1EEEvSO_,comdat
	.globl	_ZN7rocprim17ROCPRIM_400000_NS6detail17trampoline_kernelINS0_14default_configENS1_38merge_sort_block_merge_config_selectorIlNS0_10empty_typeEEEZZNS1_27merge_sort_block_merge_implIS3_PlPS5_mZN2at6native12_GLOBAL__N_124unique_dim_cuda_templateIN3c104HalfEEESt5tupleIJNSA_6TensorESH_SH_EERKSH_lbbbEUlllE_EE10hipError_tT0_T1_T2_jT3_P12ihipStream_tbPNSt15iterator_traitsISN_E10value_typeEPNST_ISO_E10value_typeEPSP_NS1_7vsmem_tEENKUlT_SN_SO_SP_E_clIS8_S8_S9_S9_EESM_S12_SN_SO_SP_EUlS12_E_NS1_11comp_targetILNS1_3genE4ELNS1_11target_archE910ELNS1_3gpuE8ELNS1_3repE0EEENS1_48merge_mergepath_partition_config_static_selectorELNS0_4arch9wavefront6targetE1EEEvSO_ ; -- Begin function _ZN7rocprim17ROCPRIM_400000_NS6detail17trampoline_kernelINS0_14default_configENS1_38merge_sort_block_merge_config_selectorIlNS0_10empty_typeEEEZZNS1_27merge_sort_block_merge_implIS3_PlPS5_mZN2at6native12_GLOBAL__N_124unique_dim_cuda_templateIN3c104HalfEEESt5tupleIJNSA_6TensorESH_SH_EERKSH_lbbbEUlllE_EE10hipError_tT0_T1_T2_jT3_P12ihipStream_tbPNSt15iterator_traitsISN_E10value_typeEPNST_ISO_E10value_typeEPSP_NS1_7vsmem_tEENKUlT_SN_SO_SP_E_clIS8_S8_S9_S9_EESM_S12_SN_SO_SP_EUlS12_E_NS1_11comp_targetILNS1_3genE4ELNS1_11target_archE910ELNS1_3gpuE8ELNS1_3repE0EEENS1_48merge_mergepath_partition_config_static_selectorELNS0_4arch9wavefront6targetE1EEEvSO_
	.p2align	8
	.type	_ZN7rocprim17ROCPRIM_400000_NS6detail17trampoline_kernelINS0_14default_configENS1_38merge_sort_block_merge_config_selectorIlNS0_10empty_typeEEEZZNS1_27merge_sort_block_merge_implIS3_PlPS5_mZN2at6native12_GLOBAL__N_124unique_dim_cuda_templateIN3c104HalfEEESt5tupleIJNSA_6TensorESH_SH_EERKSH_lbbbEUlllE_EE10hipError_tT0_T1_T2_jT3_P12ihipStream_tbPNSt15iterator_traitsISN_E10value_typeEPNST_ISO_E10value_typeEPSP_NS1_7vsmem_tEENKUlT_SN_SO_SP_E_clIS8_S8_S9_S9_EESM_S12_SN_SO_SP_EUlS12_E_NS1_11comp_targetILNS1_3genE4ELNS1_11target_archE910ELNS1_3gpuE8ELNS1_3repE0EEENS1_48merge_mergepath_partition_config_static_selectorELNS0_4arch9wavefront6targetE1EEEvSO_,@function
_ZN7rocprim17ROCPRIM_400000_NS6detail17trampoline_kernelINS0_14default_configENS1_38merge_sort_block_merge_config_selectorIlNS0_10empty_typeEEEZZNS1_27merge_sort_block_merge_implIS3_PlPS5_mZN2at6native12_GLOBAL__N_124unique_dim_cuda_templateIN3c104HalfEEESt5tupleIJNSA_6TensorESH_SH_EERKSH_lbbbEUlllE_EE10hipError_tT0_T1_T2_jT3_P12ihipStream_tbPNSt15iterator_traitsISN_E10value_typeEPNST_ISO_E10value_typeEPSP_NS1_7vsmem_tEENKUlT_SN_SO_SP_E_clIS8_S8_S9_S9_EESM_S12_SN_SO_SP_EUlS12_E_NS1_11comp_targetILNS1_3genE4ELNS1_11target_archE910ELNS1_3gpuE8ELNS1_3repE0EEENS1_48merge_mergepath_partition_config_static_selectorELNS0_4arch9wavefront6targetE1EEEvSO_: ; @_ZN7rocprim17ROCPRIM_400000_NS6detail17trampoline_kernelINS0_14default_configENS1_38merge_sort_block_merge_config_selectorIlNS0_10empty_typeEEEZZNS1_27merge_sort_block_merge_implIS3_PlPS5_mZN2at6native12_GLOBAL__N_124unique_dim_cuda_templateIN3c104HalfEEESt5tupleIJNSA_6TensorESH_SH_EERKSH_lbbbEUlllE_EE10hipError_tT0_T1_T2_jT3_P12ihipStream_tbPNSt15iterator_traitsISN_E10value_typeEPNST_ISO_E10value_typeEPSP_NS1_7vsmem_tEENKUlT_SN_SO_SP_E_clIS8_S8_S9_S9_EESM_S12_SN_SO_SP_EUlS12_E_NS1_11comp_targetILNS1_3genE4ELNS1_11target_archE910ELNS1_3gpuE8ELNS1_3repE0EEENS1_48merge_mergepath_partition_config_static_selectorELNS0_4arch9wavefront6targetE1EEEvSO_
; %bb.0:
	s_load_dword s0, s[4:5], 0x0
	v_lshl_or_b32 v0, s6, 7, v0
	s_waitcnt lgkmcnt(0)
	v_cmp_gt_u32_e32 vcc, s0, v0
	s_and_saveexec_b64 s[0:1], vcc
	s_cbranch_execz .LBB1249_14
; %bb.1:
	s_load_dwordx4 s[0:3], s[4:5], 0x8
	s_load_dwordx8 s[8:15], s[4:5], 0x18
	v_mov_b32_e32 v5, 0
	s_waitcnt lgkmcnt(0)
	v_mov_b32_e32 v1, s0
	v_alignbit_b32 v1, s1, v1, 9
	v_and_b32_e32 v1, -2, v1
	v_add_u32_e32 v2, -1, v1
	v_sub_u32_e32 v1, 0, v1
	v_and_b32_e32 v4, v0, v1
	v_lshlrev_b64 v[8:9], 10, v[4:5]
	v_mov_b32_e32 v1, s3
	v_cmp_lt_u64_e32 vcc, s[2:3], v[8:9]
	v_mov_b32_e32 v4, s2
	v_and_b32_e32 v6, v2, v0
	v_cndmask_b32_e32 v3, v9, v1, vcc
	v_cndmask_b32_e32 v2, v8, v4, vcc
	v_mov_b32_e32 v7, s1
	v_add_co_u32_e32 v8, vcc, s0, v8
	v_addc_co_u32_e32 v9, vcc, v9, v7, vcc
	v_cmp_lt_u64_e32 vcc, s[2:3], v[8:9]
	v_cndmask_b32_e32 v8, v8, v4, vcc
	v_cndmask_b32_e32 v9, v9, v1, vcc
	v_add_co_u32_e32 v10, vcc, s0, v8
	v_addc_co_u32_e32 v11, vcc, v9, v7, vcc
	v_cmp_lt_u64_e32 vcc, s[2:3], v[10:11]
	v_cndmask_b32_e32 v12, v10, v4, vcc
	v_cndmask_b32_e32 v1, v11, v1, vcc
	v_sub_co_u32_e32 v10, vcc, v12, v2
	v_mov_b32_e32 v7, v5
	v_subb_co_u32_e32 v11, vcc, v1, v3, vcc
	v_lshlrev_b64 v[4:5], 10, v[6:7]
	v_cmp_lt_u64_e32 vcc, v[10:11], v[4:5]
	v_cndmask_b32_e32 v11, v5, v11, vcc
	v_cndmask_b32_e32 v10, v4, v10, vcc
	v_sub_co_u32_e32 v6, vcc, v8, v2
	v_subb_co_u32_e32 v7, vcc, v9, v3, vcc
	v_sub_co_u32_e32 v4, vcc, v8, v12
	v_subb_co_u32_e32 v1, vcc, v9, v1, vcc
	v_add_co_u32_e32 v4, vcc, v10, v4
	v_addc_co_u32_e32 v5, vcc, v11, v1, vcc
	v_cmp_gt_u64_e32 vcc, v[4:5], v[10:11]
	v_cndmask_b32_e64 v5, v5, 0, vcc
	v_cndmask_b32_e64 v4, v4, 0, vcc
	v_cmp_lt_u64_e32 vcc, v[10:11], v[6:7]
	v_cndmask_b32_e32 v7, v7, v11, vcc
	v_cndmask_b32_e32 v6, v6, v10, vcc
	v_cmp_lt_u64_e32 vcc, v[4:5], v[6:7]
	s_and_saveexec_b64 s[2:3], vcc
	s_cbranch_execz .LBB1249_13
; %bb.2:
	v_lshlrev_b64 v[12:13], 3, v[2:3]
	v_mov_b32_e32 v14, s9
	v_add_co_u32_e32 v1, vcc, s8, v12
	v_addc_co_u32_e32 v14, vcc, v14, v13, vcc
	v_lshlrev_b64 v[8:9], 3, v[8:9]
	v_mov_b32_e32 v12, s9
	v_add_co_u32_e32 v13, vcc, s8, v8
	v_addc_co_u32_e32 v12, vcc, v12, v9, vcc
	v_lshlrev_b64 v[8:9], 3, v[10:11]
	v_cmp_gt_i64_e64 s[0:1], s[10:11], 0
	v_add_co_u32_e32 v15, vcc, v13, v8
	v_cndmask_b32_e64 v8, 0, 1, s[0:1]
	s_mov_b64 s[4:5], 0
	v_addc_co_u32_e32 v16, vcc, v12, v9, vcc
	s_lshl_b64 s[6:7], s[10:11], 1
	v_cmp_ne_u32_e64 s[0:1], 1, v8
	s_branch .LBB1249_5
.LBB1249_3:                             ;   in Loop: Header=BB1249_5 Depth=1
	s_or_b64 exec, exec, s[16:17]
.LBB1249_4:                             ;   in Loop: Header=BB1249_5 Depth=1
	v_add_co_u32_e32 v10, vcc, 1, v8
	v_addc_co_u32_e32 v11, vcc, 0, v9, vcc
	v_cndmask_b32_e64 v7, v7, v9, s[8:9]
	v_cndmask_b32_e64 v6, v6, v8, s[8:9]
	;; [unrolled: 1-line block ×4, first 2 shown]
	v_cmp_ge_u64_e32 vcc, v[4:5], v[6:7]
	s_or_b64 s[4:5], vcc, s[4:5]
	s_andn2_b64 exec, exec, s[4:5]
	s_cbranch_execz .LBB1249_12
.LBB1249_5:                             ; =>This Loop Header: Depth=1
                                        ;     Child Loop BB1249_8 Depth 2
	v_add_co_u32_e32 v8, vcc, v6, v4
	v_addc_co_u32_e32 v9, vcc, v7, v5, vcc
	v_lshrrev_b64 v[8:9], 1, v[8:9]
	s_and_b64 vcc, exec, s[0:1]
	s_mov_b64 s[8:9], 0
	s_cbranch_vccnz .LBB1249_4
; %bb.6:                                ;   in Loop: Header=BB1249_5 Depth=1
	v_not_b32_e32 v11, v9
	v_not_b32_e32 v10, v8
	v_lshlrev_b64 v[10:11], 3, v[10:11]
	v_add_co_u32_e32 v10, vcc, v15, v10
	v_addc_co_u32_e32 v11, vcc, v16, v11, vcc
	v_lshlrev_b64 v[12:13], 3, v[8:9]
	v_add_co_u32_e32 v12, vcc, v1, v12
	v_addc_co_u32_e32 v13, vcc, v14, v13, vcc
	global_load_dwordx2 v[10:11], v[10:11], off
	v_pk_mov_b32 v[18:19], s[12:13], s[12:13] op_sel:[0,1]
	global_load_dwordx2 v[12:13], v[12:13], off
	s_mov_b64 s[16:17], 0
                                        ; implicit-def: $sgpr8_sgpr9
                                        ; implicit-def: $sgpr18_sgpr19
                                        ; implicit-def: $sgpr22_sgpr23
	s_waitcnt vmcnt(1)
	v_mul_lo_u32 v17, s6, v11
	v_mul_lo_u32 v20, s7, v10
	v_mad_u64_u32 v[10:11], s[20:21], s6, v10, v[18:19]
	s_waitcnt vmcnt(0)
	v_mul_lo_u32 v21, s6, v13
	v_mul_lo_u32 v22, s7, v12
	v_mad_u64_u32 v[12:13], s[20:21], s6, v12, v[18:19]
	v_add3_u32 v11, v20, v11, v17
	v_add3_u32 v13, v22, v13, v21
	s_mov_b64 s[20:21], s[10:11]
	s_branch .LBB1249_8
.LBB1249_7:                             ;   in Loop: Header=BB1249_8 Depth=2
	s_or_b64 exec, exec, s[28:29]
	s_and_b64 s[24:25], exec, s[24:25]
	s_or_b64 s[16:17], s[24:25], s[16:17]
	s_andn2_b64 s[8:9], s[8:9], exec
	s_and_b64 s[24:25], s[18:19], exec
	s_or_b64 s[8:9], s[8:9], s[24:25]
	s_andn2_b64 exec, exec, s[16:17]
	s_cbranch_execz .LBB1249_3
.LBB1249_8:                             ;   Parent Loop BB1249_5 Depth=1
                                        ; =>  This Inner Loop Header: Depth=2
	global_load_ushort v17, v[10:11], off
	global_load_ushort v18, v[12:13], off
	s_mov_b64 s[24:25], -1
	s_mov_b64 s[30:31], 0
	s_mov_b64 s[26:27], -1
	s_waitcnt vmcnt(0)
	v_cmp_nlt_f16_e32 vcc, v17, v18
	s_and_saveexec_b64 s[28:29], vcc
; %bb.9:                                ;   in Loop: Header=BB1249_8 Depth=2
	v_cmp_ngt_f16_e32 vcc, v17, v18
	s_and_b64 s[22:23], vcc, s[22:23]
	s_orn2_b64 s[26:27], s[22:23], exec
	s_and_b64 s[30:31], vcc, exec
; %bb.10:                               ;   in Loop: Header=BB1249_8 Depth=2
	s_or_b64 exec, exec, s[28:29]
	s_andn2_b64 s[18:19], s[18:19], exec
	s_and_b64 s[22:23], s[26:27], exec
	s_or_b64 s[18:19], s[18:19], s[22:23]
                                        ; implicit-def: $sgpr22_sgpr23
	s_and_saveexec_b64 s[28:29], s[30:31]
	s_cbranch_execz .LBB1249_7
; %bb.11:                               ;   in Loop: Header=BB1249_8 Depth=2
	s_add_u32 s20, s20, -1
	v_add_co_u32_e32 v10, vcc, 2, v10
	s_addc_u32 s21, s21, -1
	v_addc_co_u32_e32 v11, vcc, 0, v11, vcc
	s_cmp_eq_u64 s[20:21], 0
	v_add_co_u32_e32 v12, vcc, 2, v12
	s_cselect_b64 s[24:25], -1, 0
	v_addc_co_u32_e32 v13, vcc, 0, v13, vcc
	s_andn2_b64 s[18:19], s[18:19], exec
	s_and_b64 s[22:23], s[26:27], exec
	s_orn2_b64 s[24:25], s[24:25], exec
	s_branch .LBB1249_7
.LBB1249_12:
	s_or_b64 exec, exec, s[4:5]
.LBB1249_13:
	s_or_b64 exec, exec, s[2:3]
	v_add_co_u32_e32 v2, vcc, v4, v2
	v_mov_b32_e32 v1, 0
	v_addc_co_u32_e32 v3, vcc, v5, v3, vcc
	v_lshlrev_b64 v[0:1], 3, v[0:1]
	v_mov_b32_e32 v4, s15
	v_add_co_u32_e32 v0, vcc, s14, v0
	v_addc_co_u32_e32 v1, vcc, v4, v1, vcc
	global_store_dwordx2 v[0:1], v[2:3], off
.LBB1249_14:
	s_endpgm
	.section	.rodata,"a",@progbits
	.p2align	6, 0x0
	.amdhsa_kernel _ZN7rocprim17ROCPRIM_400000_NS6detail17trampoline_kernelINS0_14default_configENS1_38merge_sort_block_merge_config_selectorIlNS0_10empty_typeEEEZZNS1_27merge_sort_block_merge_implIS3_PlPS5_mZN2at6native12_GLOBAL__N_124unique_dim_cuda_templateIN3c104HalfEEESt5tupleIJNSA_6TensorESH_SH_EERKSH_lbbbEUlllE_EE10hipError_tT0_T1_T2_jT3_P12ihipStream_tbPNSt15iterator_traitsISN_E10value_typeEPNST_ISO_E10value_typeEPSP_NS1_7vsmem_tEENKUlT_SN_SO_SP_E_clIS8_S8_S9_S9_EESM_S12_SN_SO_SP_EUlS12_E_NS1_11comp_targetILNS1_3genE4ELNS1_11target_archE910ELNS1_3gpuE8ELNS1_3repE0EEENS1_48merge_mergepath_partition_config_static_selectorELNS0_4arch9wavefront6targetE1EEEvSO_
		.amdhsa_group_segment_fixed_size 0
		.amdhsa_private_segment_fixed_size 0
		.amdhsa_kernarg_size 56
		.amdhsa_user_sgpr_count 6
		.amdhsa_user_sgpr_private_segment_buffer 1
		.amdhsa_user_sgpr_dispatch_ptr 0
		.amdhsa_user_sgpr_queue_ptr 0
		.amdhsa_user_sgpr_kernarg_segment_ptr 1
		.amdhsa_user_sgpr_dispatch_id 0
		.amdhsa_user_sgpr_flat_scratch_init 0
		.amdhsa_user_sgpr_kernarg_preload_length 0
		.amdhsa_user_sgpr_kernarg_preload_offset 0
		.amdhsa_user_sgpr_private_segment_size 0
		.amdhsa_uses_dynamic_stack 0
		.amdhsa_system_sgpr_private_segment_wavefront_offset 0
		.amdhsa_system_sgpr_workgroup_id_x 1
		.amdhsa_system_sgpr_workgroup_id_y 0
		.amdhsa_system_sgpr_workgroup_id_z 0
		.amdhsa_system_sgpr_workgroup_info 0
		.amdhsa_system_vgpr_workitem_id 0
		.amdhsa_next_free_vgpr 23
		.amdhsa_next_free_sgpr 32
		.amdhsa_accum_offset 24
		.amdhsa_reserve_vcc 1
		.amdhsa_reserve_flat_scratch 0
		.amdhsa_float_round_mode_32 0
		.amdhsa_float_round_mode_16_64 0
		.amdhsa_float_denorm_mode_32 3
		.amdhsa_float_denorm_mode_16_64 3
		.amdhsa_dx10_clamp 1
		.amdhsa_ieee_mode 1
		.amdhsa_fp16_overflow 0
		.amdhsa_tg_split 0
		.amdhsa_exception_fp_ieee_invalid_op 0
		.amdhsa_exception_fp_denorm_src 0
		.amdhsa_exception_fp_ieee_div_zero 0
		.amdhsa_exception_fp_ieee_overflow 0
		.amdhsa_exception_fp_ieee_underflow 0
		.amdhsa_exception_fp_ieee_inexact 0
		.amdhsa_exception_int_div_zero 0
	.end_amdhsa_kernel
	.section	.text._ZN7rocprim17ROCPRIM_400000_NS6detail17trampoline_kernelINS0_14default_configENS1_38merge_sort_block_merge_config_selectorIlNS0_10empty_typeEEEZZNS1_27merge_sort_block_merge_implIS3_PlPS5_mZN2at6native12_GLOBAL__N_124unique_dim_cuda_templateIN3c104HalfEEESt5tupleIJNSA_6TensorESH_SH_EERKSH_lbbbEUlllE_EE10hipError_tT0_T1_T2_jT3_P12ihipStream_tbPNSt15iterator_traitsISN_E10value_typeEPNST_ISO_E10value_typeEPSP_NS1_7vsmem_tEENKUlT_SN_SO_SP_E_clIS8_S8_S9_S9_EESM_S12_SN_SO_SP_EUlS12_E_NS1_11comp_targetILNS1_3genE4ELNS1_11target_archE910ELNS1_3gpuE8ELNS1_3repE0EEENS1_48merge_mergepath_partition_config_static_selectorELNS0_4arch9wavefront6targetE1EEEvSO_,"axG",@progbits,_ZN7rocprim17ROCPRIM_400000_NS6detail17trampoline_kernelINS0_14default_configENS1_38merge_sort_block_merge_config_selectorIlNS0_10empty_typeEEEZZNS1_27merge_sort_block_merge_implIS3_PlPS5_mZN2at6native12_GLOBAL__N_124unique_dim_cuda_templateIN3c104HalfEEESt5tupleIJNSA_6TensorESH_SH_EERKSH_lbbbEUlllE_EE10hipError_tT0_T1_T2_jT3_P12ihipStream_tbPNSt15iterator_traitsISN_E10value_typeEPNST_ISO_E10value_typeEPSP_NS1_7vsmem_tEENKUlT_SN_SO_SP_E_clIS8_S8_S9_S9_EESM_S12_SN_SO_SP_EUlS12_E_NS1_11comp_targetILNS1_3genE4ELNS1_11target_archE910ELNS1_3gpuE8ELNS1_3repE0EEENS1_48merge_mergepath_partition_config_static_selectorELNS0_4arch9wavefront6targetE1EEEvSO_,comdat
.Lfunc_end1249:
	.size	_ZN7rocprim17ROCPRIM_400000_NS6detail17trampoline_kernelINS0_14default_configENS1_38merge_sort_block_merge_config_selectorIlNS0_10empty_typeEEEZZNS1_27merge_sort_block_merge_implIS3_PlPS5_mZN2at6native12_GLOBAL__N_124unique_dim_cuda_templateIN3c104HalfEEESt5tupleIJNSA_6TensorESH_SH_EERKSH_lbbbEUlllE_EE10hipError_tT0_T1_T2_jT3_P12ihipStream_tbPNSt15iterator_traitsISN_E10value_typeEPNST_ISO_E10value_typeEPSP_NS1_7vsmem_tEENKUlT_SN_SO_SP_E_clIS8_S8_S9_S9_EESM_S12_SN_SO_SP_EUlS12_E_NS1_11comp_targetILNS1_3genE4ELNS1_11target_archE910ELNS1_3gpuE8ELNS1_3repE0EEENS1_48merge_mergepath_partition_config_static_selectorELNS0_4arch9wavefront6targetE1EEEvSO_, .Lfunc_end1249-_ZN7rocprim17ROCPRIM_400000_NS6detail17trampoline_kernelINS0_14default_configENS1_38merge_sort_block_merge_config_selectorIlNS0_10empty_typeEEEZZNS1_27merge_sort_block_merge_implIS3_PlPS5_mZN2at6native12_GLOBAL__N_124unique_dim_cuda_templateIN3c104HalfEEESt5tupleIJNSA_6TensorESH_SH_EERKSH_lbbbEUlllE_EE10hipError_tT0_T1_T2_jT3_P12ihipStream_tbPNSt15iterator_traitsISN_E10value_typeEPNST_ISO_E10value_typeEPSP_NS1_7vsmem_tEENKUlT_SN_SO_SP_E_clIS8_S8_S9_S9_EESM_S12_SN_SO_SP_EUlS12_E_NS1_11comp_targetILNS1_3genE4ELNS1_11target_archE910ELNS1_3gpuE8ELNS1_3repE0EEENS1_48merge_mergepath_partition_config_static_selectorELNS0_4arch9wavefront6targetE1EEEvSO_
                                        ; -- End function
	.section	.AMDGPU.csdata,"",@progbits
; Kernel info:
; codeLenInByte = 800
; NumSgprs: 36
; NumVgprs: 23
; NumAgprs: 0
; TotalNumVgprs: 23
; ScratchSize: 0
; MemoryBound: 0
; FloatMode: 240
; IeeeMode: 1
; LDSByteSize: 0 bytes/workgroup (compile time only)
; SGPRBlocks: 4
; VGPRBlocks: 2
; NumSGPRsForWavesPerEU: 36
; NumVGPRsForWavesPerEU: 23
; AccumOffset: 24
; Occupancy: 8
; WaveLimiterHint : 0
; COMPUTE_PGM_RSRC2:SCRATCH_EN: 0
; COMPUTE_PGM_RSRC2:USER_SGPR: 6
; COMPUTE_PGM_RSRC2:TRAP_HANDLER: 0
; COMPUTE_PGM_RSRC2:TGID_X_EN: 1
; COMPUTE_PGM_RSRC2:TGID_Y_EN: 0
; COMPUTE_PGM_RSRC2:TGID_Z_EN: 0
; COMPUTE_PGM_RSRC2:TIDIG_COMP_CNT: 0
; COMPUTE_PGM_RSRC3_GFX90A:ACCUM_OFFSET: 5
; COMPUTE_PGM_RSRC3_GFX90A:TG_SPLIT: 0
	.section	.text._ZN7rocprim17ROCPRIM_400000_NS6detail17trampoline_kernelINS0_14default_configENS1_38merge_sort_block_merge_config_selectorIlNS0_10empty_typeEEEZZNS1_27merge_sort_block_merge_implIS3_PlPS5_mZN2at6native12_GLOBAL__N_124unique_dim_cuda_templateIN3c104HalfEEESt5tupleIJNSA_6TensorESH_SH_EERKSH_lbbbEUlllE_EE10hipError_tT0_T1_T2_jT3_P12ihipStream_tbPNSt15iterator_traitsISN_E10value_typeEPNST_ISO_E10value_typeEPSP_NS1_7vsmem_tEENKUlT_SN_SO_SP_E_clIS8_S8_S9_S9_EESM_S12_SN_SO_SP_EUlS12_E_NS1_11comp_targetILNS1_3genE3ELNS1_11target_archE908ELNS1_3gpuE7ELNS1_3repE0EEENS1_48merge_mergepath_partition_config_static_selectorELNS0_4arch9wavefront6targetE1EEEvSO_,"axG",@progbits,_ZN7rocprim17ROCPRIM_400000_NS6detail17trampoline_kernelINS0_14default_configENS1_38merge_sort_block_merge_config_selectorIlNS0_10empty_typeEEEZZNS1_27merge_sort_block_merge_implIS3_PlPS5_mZN2at6native12_GLOBAL__N_124unique_dim_cuda_templateIN3c104HalfEEESt5tupleIJNSA_6TensorESH_SH_EERKSH_lbbbEUlllE_EE10hipError_tT0_T1_T2_jT3_P12ihipStream_tbPNSt15iterator_traitsISN_E10value_typeEPNST_ISO_E10value_typeEPSP_NS1_7vsmem_tEENKUlT_SN_SO_SP_E_clIS8_S8_S9_S9_EESM_S12_SN_SO_SP_EUlS12_E_NS1_11comp_targetILNS1_3genE3ELNS1_11target_archE908ELNS1_3gpuE7ELNS1_3repE0EEENS1_48merge_mergepath_partition_config_static_selectorELNS0_4arch9wavefront6targetE1EEEvSO_,comdat
	.globl	_ZN7rocprim17ROCPRIM_400000_NS6detail17trampoline_kernelINS0_14default_configENS1_38merge_sort_block_merge_config_selectorIlNS0_10empty_typeEEEZZNS1_27merge_sort_block_merge_implIS3_PlPS5_mZN2at6native12_GLOBAL__N_124unique_dim_cuda_templateIN3c104HalfEEESt5tupleIJNSA_6TensorESH_SH_EERKSH_lbbbEUlllE_EE10hipError_tT0_T1_T2_jT3_P12ihipStream_tbPNSt15iterator_traitsISN_E10value_typeEPNST_ISO_E10value_typeEPSP_NS1_7vsmem_tEENKUlT_SN_SO_SP_E_clIS8_S8_S9_S9_EESM_S12_SN_SO_SP_EUlS12_E_NS1_11comp_targetILNS1_3genE3ELNS1_11target_archE908ELNS1_3gpuE7ELNS1_3repE0EEENS1_48merge_mergepath_partition_config_static_selectorELNS0_4arch9wavefront6targetE1EEEvSO_ ; -- Begin function _ZN7rocprim17ROCPRIM_400000_NS6detail17trampoline_kernelINS0_14default_configENS1_38merge_sort_block_merge_config_selectorIlNS0_10empty_typeEEEZZNS1_27merge_sort_block_merge_implIS3_PlPS5_mZN2at6native12_GLOBAL__N_124unique_dim_cuda_templateIN3c104HalfEEESt5tupleIJNSA_6TensorESH_SH_EERKSH_lbbbEUlllE_EE10hipError_tT0_T1_T2_jT3_P12ihipStream_tbPNSt15iterator_traitsISN_E10value_typeEPNST_ISO_E10value_typeEPSP_NS1_7vsmem_tEENKUlT_SN_SO_SP_E_clIS8_S8_S9_S9_EESM_S12_SN_SO_SP_EUlS12_E_NS1_11comp_targetILNS1_3genE3ELNS1_11target_archE908ELNS1_3gpuE7ELNS1_3repE0EEENS1_48merge_mergepath_partition_config_static_selectorELNS0_4arch9wavefront6targetE1EEEvSO_
	.p2align	8
	.type	_ZN7rocprim17ROCPRIM_400000_NS6detail17trampoline_kernelINS0_14default_configENS1_38merge_sort_block_merge_config_selectorIlNS0_10empty_typeEEEZZNS1_27merge_sort_block_merge_implIS3_PlPS5_mZN2at6native12_GLOBAL__N_124unique_dim_cuda_templateIN3c104HalfEEESt5tupleIJNSA_6TensorESH_SH_EERKSH_lbbbEUlllE_EE10hipError_tT0_T1_T2_jT3_P12ihipStream_tbPNSt15iterator_traitsISN_E10value_typeEPNST_ISO_E10value_typeEPSP_NS1_7vsmem_tEENKUlT_SN_SO_SP_E_clIS8_S8_S9_S9_EESM_S12_SN_SO_SP_EUlS12_E_NS1_11comp_targetILNS1_3genE3ELNS1_11target_archE908ELNS1_3gpuE7ELNS1_3repE0EEENS1_48merge_mergepath_partition_config_static_selectorELNS0_4arch9wavefront6targetE1EEEvSO_,@function
_ZN7rocprim17ROCPRIM_400000_NS6detail17trampoline_kernelINS0_14default_configENS1_38merge_sort_block_merge_config_selectorIlNS0_10empty_typeEEEZZNS1_27merge_sort_block_merge_implIS3_PlPS5_mZN2at6native12_GLOBAL__N_124unique_dim_cuda_templateIN3c104HalfEEESt5tupleIJNSA_6TensorESH_SH_EERKSH_lbbbEUlllE_EE10hipError_tT0_T1_T2_jT3_P12ihipStream_tbPNSt15iterator_traitsISN_E10value_typeEPNST_ISO_E10value_typeEPSP_NS1_7vsmem_tEENKUlT_SN_SO_SP_E_clIS8_S8_S9_S9_EESM_S12_SN_SO_SP_EUlS12_E_NS1_11comp_targetILNS1_3genE3ELNS1_11target_archE908ELNS1_3gpuE7ELNS1_3repE0EEENS1_48merge_mergepath_partition_config_static_selectorELNS0_4arch9wavefront6targetE1EEEvSO_: ; @_ZN7rocprim17ROCPRIM_400000_NS6detail17trampoline_kernelINS0_14default_configENS1_38merge_sort_block_merge_config_selectorIlNS0_10empty_typeEEEZZNS1_27merge_sort_block_merge_implIS3_PlPS5_mZN2at6native12_GLOBAL__N_124unique_dim_cuda_templateIN3c104HalfEEESt5tupleIJNSA_6TensorESH_SH_EERKSH_lbbbEUlllE_EE10hipError_tT0_T1_T2_jT3_P12ihipStream_tbPNSt15iterator_traitsISN_E10value_typeEPNST_ISO_E10value_typeEPSP_NS1_7vsmem_tEENKUlT_SN_SO_SP_E_clIS8_S8_S9_S9_EESM_S12_SN_SO_SP_EUlS12_E_NS1_11comp_targetILNS1_3genE3ELNS1_11target_archE908ELNS1_3gpuE7ELNS1_3repE0EEENS1_48merge_mergepath_partition_config_static_selectorELNS0_4arch9wavefront6targetE1EEEvSO_
; %bb.0:
	.section	.rodata,"a",@progbits
	.p2align	6, 0x0
	.amdhsa_kernel _ZN7rocprim17ROCPRIM_400000_NS6detail17trampoline_kernelINS0_14default_configENS1_38merge_sort_block_merge_config_selectorIlNS0_10empty_typeEEEZZNS1_27merge_sort_block_merge_implIS3_PlPS5_mZN2at6native12_GLOBAL__N_124unique_dim_cuda_templateIN3c104HalfEEESt5tupleIJNSA_6TensorESH_SH_EERKSH_lbbbEUlllE_EE10hipError_tT0_T1_T2_jT3_P12ihipStream_tbPNSt15iterator_traitsISN_E10value_typeEPNST_ISO_E10value_typeEPSP_NS1_7vsmem_tEENKUlT_SN_SO_SP_E_clIS8_S8_S9_S9_EESM_S12_SN_SO_SP_EUlS12_E_NS1_11comp_targetILNS1_3genE3ELNS1_11target_archE908ELNS1_3gpuE7ELNS1_3repE0EEENS1_48merge_mergepath_partition_config_static_selectorELNS0_4arch9wavefront6targetE1EEEvSO_
		.amdhsa_group_segment_fixed_size 0
		.amdhsa_private_segment_fixed_size 0
		.amdhsa_kernarg_size 56
		.amdhsa_user_sgpr_count 6
		.amdhsa_user_sgpr_private_segment_buffer 1
		.amdhsa_user_sgpr_dispatch_ptr 0
		.amdhsa_user_sgpr_queue_ptr 0
		.amdhsa_user_sgpr_kernarg_segment_ptr 1
		.amdhsa_user_sgpr_dispatch_id 0
		.amdhsa_user_sgpr_flat_scratch_init 0
		.amdhsa_user_sgpr_kernarg_preload_length 0
		.amdhsa_user_sgpr_kernarg_preload_offset 0
		.amdhsa_user_sgpr_private_segment_size 0
		.amdhsa_uses_dynamic_stack 0
		.amdhsa_system_sgpr_private_segment_wavefront_offset 0
		.amdhsa_system_sgpr_workgroup_id_x 1
		.amdhsa_system_sgpr_workgroup_id_y 0
		.amdhsa_system_sgpr_workgroup_id_z 0
		.amdhsa_system_sgpr_workgroup_info 0
		.amdhsa_system_vgpr_workitem_id 0
		.amdhsa_next_free_vgpr 1
		.amdhsa_next_free_sgpr 0
		.amdhsa_accum_offset 4
		.amdhsa_reserve_vcc 0
		.amdhsa_reserve_flat_scratch 0
		.amdhsa_float_round_mode_32 0
		.amdhsa_float_round_mode_16_64 0
		.amdhsa_float_denorm_mode_32 3
		.amdhsa_float_denorm_mode_16_64 3
		.amdhsa_dx10_clamp 1
		.amdhsa_ieee_mode 1
		.amdhsa_fp16_overflow 0
		.amdhsa_tg_split 0
		.amdhsa_exception_fp_ieee_invalid_op 0
		.amdhsa_exception_fp_denorm_src 0
		.amdhsa_exception_fp_ieee_div_zero 0
		.amdhsa_exception_fp_ieee_overflow 0
		.amdhsa_exception_fp_ieee_underflow 0
		.amdhsa_exception_fp_ieee_inexact 0
		.amdhsa_exception_int_div_zero 0
	.end_amdhsa_kernel
	.section	.text._ZN7rocprim17ROCPRIM_400000_NS6detail17trampoline_kernelINS0_14default_configENS1_38merge_sort_block_merge_config_selectorIlNS0_10empty_typeEEEZZNS1_27merge_sort_block_merge_implIS3_PlPS5_mZN2at6native12_GLOBAL__N_124unique_dim_cuda_templateIN3c104HalfEEESt5tupleIJNSA_6TensorESH_SH_EERKSH_lbbbEUlllE_EE10hipError_tT0_T1_T2_jT3_P12ihipStream_tbPNSt15iterator_traitsISN_E10value_typeEPNST_ISO_E10value_typeEPSP_NS1_7vsmem_tEENKUlT_SN_SO_SP_E_clIS8_S8_S9_S9_EESM_S12_SN_SO_SP_EUlS12_E_NS1_11comp_targetILNS1_3genE3ELNS1_11target_archE908ELNS1_3gpuE7ELNS1_3repE0EEENS1_48merge_mergepath_partition_config_static_selectorELNS0_4arch9wavefront6targetE1EEEvSO_,"axG",@progbits,_ZN7rocprim17ROCPRIM_400000_NS6detail17trampoline_kernelINS0_14default_configENS1_38merge_sort_block_merge_config_selectorIlNS0_10empty_typeEEEZZNS1_27merge_sort_block_merge_implIS3_PlPS5_mZN2at6native12_GLOBAL__N_124unique_dim_cuda_templateIN3c104HalfEEESt5tupleIJNSA_6TensorESH_SH_EERKSH_lbbbEUlllE_EE10hipError_tT0_T1_T2_jT3_P12ihipStream_tbPNSt15iterator_traitsISN_E10value_typeEPNST_ISO_E10value_typeEPSP_NS1_7vsmem_tEENKUlT_SN_SO_SP_E_clIS8_S8_S9_S9_EESM_S12_SN_SO_SP_EUlS12_E_NS1_11comp_targetILNS1_3genE3ELNS1_11target_archE908ELNS1_3gpuE7ELNS1_3repE0EEENS1_48merge_mergepath_partition_config_static_selectorELNS0_4arch9wavefront6targetE1EEEvSO_,comdat
.Lfunc_end1250:
	.size	_ZN7rocprim17ROCPRIM_400000_NS6detail17trampoline_kernelINS0_14default_configENS1_38merge_sort_block_merge_config_selectorIlNS0_10empty_typeEEEZZNS1_27merge_sort_block_merge_implIS3_PlPS5_mZN2at6native12_GLOBAL__N_124unique_dim_cuda_templateIN3c104HalfEEESt5tupleIJNSA_6TensorESH_SH_EERKSH_lbbbEUlllE_EE10hipError_tT0_T1_T2_jT3_P12ihipStream_tbPNSt15iterator_traitsISN_E10value_typeEPNST_ISO_E10value_typeEPSP_NS1_7vsmem_tEENKUlT_SN_SO_SP_E_clIS8_S8_S9_S9_EESM_S12_SN_SO_SP_EUlS12_E_NS1_11comp_targetILNS1_3genE3ELNS1_11target_archE908ELNS1_3gpuE7ELNS1_3repE0EEENS1_48merge_mergepath_partition_config_static_selectorELNS0_4arch9wavefront6targetE1EEEvSO_, .Lfunc_end1250-_ZN7rocprim17ROCPRIM_400000_NS6detail17trampoline_kernelINS0_14default_configENS1_38merge_sort_block_merge_config_selectorIlNS0_10empty_typeEEEZZNS1_27merge_sort_block_merge_implIS3_PlPS5_mZN2at6native12_GLOBAL__N_124unique_dim_cuda_templateIN3c104HalfEEESt5tupleIJNSA_6TensorESH_SH_EERKSH_lbbbEUlllE_EE10hipError_tT0_T1_T2_jT3_P12ihipStream_tbPNSt15iterator_traitsISN_E10value_typeEPNST_ISO_E10value_typeEPSP_NS1_7vsmem_tEENKUlT_SN_SO_SP_E_clIS8_S8_S9_S9_EESM_S12_SN_SO_SP_EUlS12_E_NS1_11comp_targetILNS1_3genE3ELNS1_11target_archE908ELNS1_3gpuE7ELNS1_3repE0EEENS1_48merge_mergepath_partition_config_static_selectorELNS0_4arch9wavefront6targetE1EEEvSO_
                                        ; -- End function
	.section	.AMDGPU.csdata,"",@progbits
; Kernel info:
; codeLenInByte = 0
; NumSgprs: 4
; NumVgprs: 0
; NumAgprs: 0
; TotalNumVgprs: 0
; ScratchSize: 0
; MemoryBound: 0
; FloatMode: 240
; IeeeMode: 1
; LDSByteSize: 0 bytes/workgroup (compile time only)
; SGPRBlocks: 0
; VGPRBlocks: 0
; NumSGPRsForWavesPerEU: 4
; NumVGPRsForWavesPerEU: 1
; AccumOffset: 4
; Occupancy: 8
; WaveLimiterHint : 0
; COMPUTE_PGM_RSRC2:SCRATCH_EN: 0
; COMPUTE_PGM_RSRC2:USER_SGPR: 6
; COMPUTE_PGM_RSRC2:TRAP_HANDLER: 0
; COMPUTE_PGM_RSRC2:TGID_X_EN: 1
; COMPUTE_PGM_RSRC2:TGID_Y_EN: 0
; COMPUTE_PGM_RSRC2:TGID_Z_EN: 0
; COMPUTE_PGM_RSRC2:TIDIG_COMP_CNT: 0
; COMPUTE_PGM_RSRC3_GFX90A:ACCUM_OFFSET: 0
; COMPUTE_PGM_RSRC3_GFX90A:TG_SPLIT: 0
	.section	.text._ZN7rocprim17ROCPRIM_400000_NS6detail17trampoline_kernelINS0_14default_configENS1_38merge_sort_block_merge_config_selectorIlNS0_10empty_typeEEEZZNS1_27merge_sort_block_merge_implIS3_PlPS5_mZN2at6native12_GLOBAL__N_124unique_dim_cuda_templateIN3c104HalfEEESt5tupleIJNSA_6TensorESH_SH_EERKSH_lbbbEUlllE_EE10hipError_tT0_T1_T2_jT3_P12ihipStream_tbPNSt15iterator_traitsISN_E10value_typeEPNST_ISO_E10value_typeEPSP_NS1_7vsmem_tEENKUlT_SN_SO_SP_E_clIS8_S8_S9_S9_EESM_S12_SN_SO_SP_EUlS12_E_NS1_11comp_targetILNS1_3genE2ELNS1_11target_archE906ELNS1_3gpuE6ELNS1_3repE0EEENS1_48merge_mergepath_partition_config_static_selectorELNS0_4arch9wavefront6targetE1EEEvSO_,"axG",@progbits,_ZN7rocprim17ROCPRIM_400000_NS6detail17trampoline_kernelINS0_14default_configENS1_38merge_sort_block_merge_config_selectorIlNS0_10empty_typeEEEZZNS1_27merge_sort_block_merge_implIS3_PlPS5_mZN2at6native12_GLOBAL__N_124unique_dim_cuda_templateIN3c104HalfEEESt5tupleIJNSA_6TensorESH_SH_EERKSH_lbbbEUlllE_EE10hipError_tT0_T1_T2_jT3_P12ihipStream_tbPNSt15iterator_traitsISN_E10value_typeEPNST_ISO_E10value_typeEPSP_NS1_7vsmem_tEENKUlT_SN_SO_SP_E_clIS8_S8_S9_S9_EESM_S12_SN_SO_SP_EUlS12_E_NS1_11comp_targetILNS1_3genE2ELNS1_11target_archE906ELNS1_3gpuE6ELNS1_3repE0EEENS1_48merge_mergepath_partition_config_static_selectorELNS0_4arch9wavefront6targetE1EEEvSO_,comdat
	.globl	_ZN7rocprim17ROCPRIM_400000_NS6detail17trampoline_kernelINS0_14default_configENS1_38merge_sort_block_merge_config_selectorIlNS0_10empty_typeEEEZZNS1_27merge_sort_block_merge_implIS3_PlPS5_mZN2at6native12_GLOBAL__N_124unique_dim_cuda_templateIN3c104HalfEEESt5tupleIJNSA_6TensorESH_SH_EERKSH_lbbbEUlllE_EE10hipError_tT0_T1_T2_jT3_P12ihipStream_tbPNSt15iterator_traitsISN_E10value_typeEPNST_ISO_E10value_typeEPSP_NS1_7vsmem_tEENKUlT_SN_SO_SP_E_clIS8_S8_S9_S9_EESM_S12_SN_SO_SP_EUlS12_E_NS1_11comp_targetILNS1_3genE2ELNS1_11target_archE906ELNS1_3gpuE6ELNS1_3repE0EEENS1_48merge_mergepath_partition_config_static_selectorELNS0_4arch9wavefront6targetE1EEEvSO_ ; -- Begin function _ZN7rocprim17ROCPRIM_400000_NS6detail17trampoline_kernelINS0_14default_configENS1_38merge_sort_block_merge_config_selectorIlNS0_10empty_typeEEEZZNS1_27merge_sort_block_merge_implIS3_PlPS5_mZN2at6native12_GLOBAL__N_124unique_dim_cuda_templateIN3c104HalfEEESt5tupleIJNSA_6TensorESH_SH_EERKSH_lbbbEUlllE_EE10hipError_tT0_T1_T2_jT3_P12ihipStream_tbPNSt15iterator_traitsISN_E10value_typeEPNST_ISO_E10value_typeEPSP_NS1_7vsmem_tEENKUlT_SN_SO_SP_E_clIS8_S8_S9_S9_EESM_S12_SN_SO_SP_EUlS12_E_NS1_11comp_targetILNS1_3genE2ELNS1_11target_archE906ELNS1_3gpuE6ELNS1_3repE0EEENS1_48merge_mergepath_partition_config_static_selectorELNS0_4arch9wavefront6targetE1EEEvSO_
	.p2align	8
	.type	_ZN7rocprim17ROCPRIM_400000_NS6detail17trampoline_kernelINS0_14default_configENS1_38merge_sort_block_merge_config_selectorIlNS0_10empty_typeEEEZZNS1_27merge_sort_block_merge_implIS3_PlPS5_mZN2at6native12_GLOBAL__N_124unique_dim_cuda_templateIN3c104HalfEEESt5tupleIJNSA_6TensorESH_SH_EERKSH_lbbbEUlllE_EE10hipError_tT0_T1_T2_jT3_P12ihipStream_tbPNSt15iterator_traitsISN_E10value_typeEPNST_ISO_E10value_typeEPSP_NS1_7vsmem_tEENKUlT_SN_SO_SP_E_clIS8_S8_S9_S9_EESM_S12_SN_SO_SP_EUlS12_E_NS1_11comp_targetILNS1_3genE2ELNS1_11target_archE906ELNS1_3gpuE6ELNS1_3repE0EEENS1_48merge_mergepath_partition_config_static_selectorELNS0_4arch9wavefront6targetE1EEEvSO_,@function
_ZN7rocprim17ROCPRIM_400000_NS6detail17trampoline_kernelINS0_14default_configENS1_38merge_sort_block_merge_config_selectorIlNS0_10empty_typeEEEZZNS1_27merge_sort_block_merge_implIS3_PlPS5_mZN2at6native12_GLOBAL__N_124unique_dim_cuda_templateIN3c104HalfEEESt5tupleIJNSA_6TensorESH_SH_EERKSH_lbbbEUlllE_EE10hipError_tT0_T1_T2_jT3_P12ihipStream_tbPNSt15iterator_traitsISN_E10value_typeEPNST_ISO_E10value_typeEPSP_NS1_7vsmem_tEENKUlT_SN_SO_SP_E_clIS8_S8_S9_S9_EESM_S12_SN_SO_SP_EUlS12_E_NS1_11comp_targetILNS1_3genE2ELNS1_11target_archE906ELNS1_3gpuE6ELNS1_3repE0EEENS1_48merge_mergepath_partition_config_static_selectorELNS0_4arch9wavefront6targetE1EEEvSO_: ; @_ZN7rocprim17ROCPRIM_400000_NS6detail17trampoline_kernelINS0_14default_configENS1_38merge_sort_block_merge_config_selectorIlNS0_10empty_typeEEEZZNS1_27merge_sort_block_merge_implIS3_PlPS5_mZN2at6native12_GLOBAL__N_124unique_dim_cuda_templateIN3c104HalfEEESt5tupleIJNSA_6TensorESH_SH_EERKSH_lbbbEUlllE_EE10hipError_tT0_T1_T2_jT3_P12ihipStream_tbPNSt15iterator_traitsISN_E10value_typeEPNST_ISO_E10value_typeEPSP_NS1_7vsmem_tEENKUlT_SN_SO_SP_E_clIS8_S8_S9_S9_EESM_S12_SN_SO_SP_EUlS12_E_NS1_11comp_targetILNS1_3genE2ELNS1_11target_archE906ELNS1_3gpuE6ELNS1_3repE0EEENS1_48merge_mergepath_partition_config_static_selectorELNS0_4arch9wavefront6targetE1EEEvSO_
; %bb.0:
	.section	.rodata,"a",@progbits
	.p2align	6, 0x0
	.amdhsa_kernel _ZN7rocprim17ROCPRIM_400000_NS6detail17trampoline_kernelINS0_14default_configENS1_38merge_sort_block_merge_config_selectorIlNS0_10empty_typeEEEZZNS1_27merge_sort_block_merge_implIS3_PlPS5_mZN2at6native12_GLOBAL__N_124unique_dim_cuda_templateIN3c104HalfEEESt5tupleIJNSA_6TensorESH_SH_EERKSH_lbbbEUlllE_EE10hipError_tT0_T1_T2_jT3_P12ihipStream_tbPNSt15iterator_traitsISN_E10value_typeEPNST_ISO_E10value_typeEPSP_NS1_7vsmem_tEENKUlT_SN_SO_SP_E_clIS8_S8_S9_S9_EESM_S12_SN_SO_SP_EUlS12_E_NS1_11comp_targetILNS1_3genE2ELNS1_11target_archE906ELNS1_3gpuE6ELNS1_3repE0EEENS1_48merge_mergepath_partition_config_static_selectorELNS0_4arch9wavefront6targetE1EEEvSO_
		.amdhsa_group_segment_fixed_size 0
		.amdhsa_private_segment_fixed_size 0
		.amdhsa_kernarg_size 56
		.amdhsa_user_sgpr_count 6
		.amdhsa_user_sgpr_private_segment_buffer 1
		.amdhsa_user_sgpr_dispatch_ptr 0
		.amdhsa_user_sgpr_queue_ptr 0
		.amdhsa_user_sgpr_kernarg_segment_ptr 1
		.amdhsa_user_sgpr_dispatch_id 0
		.amdhsa_user_sgpr_flat_scratch_init 0
		.amdhsa_user_sgpr_kernarg_preload_length 0
		.amdhsa_user_sgpr_kernarg_preload_offset 0
		.amdhsa_user_sgpr_private_segment_size 0
		.amdhsa_uses_dynamic_stack 0
		.amdhsa_system_sgpr_private_segment_wavefront_offset 0
		.amdhsa_system_sgpr_workgroup_id_x 1
		.amdhsa_system_sgpr_workgroup_id_y 0
		.amdhsa_system_sgpr_workgroup_id_z 0
		.amdhsa_system_sgpr_workgroup_info 0
		.amdhsa_system_vgpr_workitem_id 0
		.amdhsa_next_free_vgpr 1
		.amdhsa_next_free_sgpr 0
		.amdhsa_accum_offset 4
		.amdhsa_reserve_vcc 0
		.amdhsa_reserve_flat_scratch 0
		.amdhsa_float_round_mode_32 0
		.amdhsa_float_round_mode_16_64 0
		.amdhsa_float_denorm_mode_32 3
		.amdhsa_float_denorm_mode_16_64 3
		.amdhsa_dx10_clamp 1
		.amdhsa_ieee_mode 1
		.amdhsa_fp16_overflow 0
		.amdhsa_tg_split 0
		.amdhsa_exception_fp_ieee_invalid_op 0
		.amdhsa_exception_fp_denorm_src 0
		.amdhsa_exception_fp_ieee_div_zero 0
		.amdhsa_exception_fp_ieee_overflow 0
		.amdhsa_exception_fp_ieee_underflow 0
		.amdhsa_exception_fp_ieee_inexact 0
		.amdhsa_exception_int_div_zero 0
	.end_amdhsa_kernel
	.section	.text._ZN7rocprim17ROCPRIM_400000_NS6detail17trampoline_kernelINS0_14default_configENS1_38merge_sort_block_merge_config_selectorIlNS0_10empty_typeEEEZZNS1_27merge_sort_block_merge_implIS3_PlPS5_mZN2at6native12_GLOBAL__N_124unique_dim_cuda_templateIN3c104HalfEEESt5tupleIJNSA_6TensorESH_SH_EERKSH_lbbbEUlllE_EE10hipError_tT0_T1_T2_jT3_P12ihipStream_tbPNSt15iterator_traitsISN_E10value_typeEPNST_ISO_E10value_typeEPSP_NS1_7vsmem_tEENKUlT_SN_SO_SP_E_clIS8_S8_S9_S9_EESM_S12_SN_SO_SP_EUlS12_E_NS1_11comp_targetILNS1_3genE2ELNS1_11target_archE906ELNS1_3gpuE6ELNS1_3repE0EEENS1_48merge_mergepath_partition_config_static_selectorELNS0_4arch9wavefront6targetE1EEEvSO_,"axG",@progbits,_ZN7rocprim17ROCPRIM_400000_NS6detail17trampoline_kernelINS0_14default_configENS1_38merge_sort_block_merge_config_selectorIlNS0_10empty_typeEEEZZNS1_27merge_sort_block_merge_implIS3_PlPS5_mZN2at6native12_GLOBAL__N_124unique_dim_cuda_templateIN3c104HalfEEESt5tupleIJNSA_6TensorESH_SH_EERKSH_lbbbEUlllE_EE10hipError_tT0_T1_T2_jT3_P12ihipStream_tbPNSt15iterator_traitsISN_E10value_typeEPNST_ISO_E10value_typeEPSP_NS1_7vsmem_tEENKUlT_SN_SO_SP_E_clIS8_S8_S9_S9_EESM_S12_SN_SO_SP_EUlS12_E_NS1_11comp_targetILNS1_3genE2ELNS1_11target_archE906ELNS1_3gpuE6ELNS1_3repE0EEENS1_48merge_mergepath_partition_config_static_selectorELNS0_4arch9wavefront6targetE1EEEvSO_,comdat
.Lfunc_end1251:
	.size	_ZN7rocprim17ROCPRIM_400000_NS6detail17trampoline_kernelINS0_14default_configENS1_38merge_sort_block_merge_config_selectorIlNS0_10empty_typeEEEZZNS1_27merge_sort_block_merge_implIS3_PlPS5_mZN2at6native12_GLOBAL__N_124unique_dim_cuda_templateIN3c104HalfEEESt5tupleIJNSA_6TensorESH_SH_EERKSH_lbbbEUlllE_EE10hipError_tT0_T1_T2_jT3_P12ihipStream_tbPNSt15iterator_traitsISN_E10value_typeEPNST_ISO_E10value_typeEPSP_NS1_7vsmem_tEENKUlT_SN_SO_SP_E_clIS8_S8_S9_S9_EESM_S12_SN_SO_SP_EUlS12_E_NS1_11comp_targetILNS1_3genE2ELNS1_11target_archE906ELNS1_3gpuE6ELNS1_3repE0EEENS1_48merge_mergepath_partition_config_static_selectorELNS0_4arch9wavefront6targetE1EEEvSO_, .Lfunc_end1251-_ZN7rocprim17ROCPRIM_400000_NS6detail17trampoline_kernelINS0_14default_configENS1_38merge_sort_block_merge_config_selectorIlNS0_10empty_typeEEEZZNS1_27merge_sort_block_merge_implIS3_PlPS5_mZN2at6native12_GLOBAL__N_124unique_dim_cuda_templateIN3c104HalfEEESt5tupleIJNSA_6TensorESH_SH_EERKSH_lbbbEUlllE_EE10hipError_tT0_T1_T2_jT3_P12ihipStream_tbPNSt15iterator_traitsISN_E10value_typeEPNST_ISO_E10value_typeEPSP_NS1_7vsmem_tEENKUlT_SN_SO_SP_E_clIS8_S8_S9_S9_EESM_S12_SN_SO_SP_EUlS12_E_NS1_11comp_targetILNS1_3genE2ELNS1_11target_archE906ELNS1_3gpuE6ELNS1_3repE0EEENS1_48merge_mergepath_partition_config_static_selectorELNS0_4arch9wavefront6targetE1EEEvSO_
                                        ; -- End function
	.section	.AMDGPU.csdata,"",@progbits
; Kernel info:
; codeLenInByte = 0
; NumSgprs: 4
; NumVgprs: 0
; NumAgprs: 0
; TotalNumVgprs: 0
; ScratchSize: 0
; MemoryBound: 0
; FloatMode: 240
; IeeeMode: 1
; LDSByteSize: 0 bytes/workgroup (compile time only)
; SGPRBlocks: 0
; VGPRBlocks: 0
; NumSGPRsForWavesPerEU: 4
; NumVGPRsForWavesPerEU: 1
; AccumOffset: 4
; Occupancy: 8
; WaveLimiterHint : 0
; COMPUTE_PGM_RSRC2:SCRATCH_EN: 0
; COMPUTE_PGM_RSRC2:USER_SGPR: 6
; COMPUTE_PGM_RSRC2:TRAP_HANDLER: 0
; COMPUTE_PGM_RSRC2:TGID_X_EN: 1
; COMPUTE_PGM_RSRC2:TGID_Y_EN: 0
; COMPUTE_PGM_RSRC2:TGID_Z_EN: 0
; COMPUTE_PGM_RSRC2:TIDIG_COMP_CNT: 0
; COMPUTE_PGM_RSRC3_GFX90A:ACCUM_OFFSET: 0
; COMPUTE_PGM_RSRC3_GFX90A:TG_SPLIT: 0
	.section	.text._ZN7rocprim17ROCPRIM_400000_NS6detail17trampoline_kernelINS0_14default_configENS1_38merge_sort_block_merge_config_selectorIlNS0_10empty_typeEEEZZNS1_27merge_sort_block_merge_implIS3_PlPS5_mZN2at6native12_GLOBAL__N_124unique_dim_cuda_templateIN3c104HalfEEESt5tupleIJNSA_6TensorESH_SH_EERKSH_lbbbEUlllE_EE10hipError_tT0_T1_T2_jT3_P12ihipStream_tbPNSt15iterator_traitsISN_E10value_typeEPNST_ISO_E10value_typeEPSP_NS1_7vsmem_tEENKUlT_SN_SO_SP_E_clIS8_S8_S9_S9_EESM_S12_SN_SO_SP_EUlS12_E_NS1_11comp_targetILNS1_3genE9ELNS1_11target_archE1100ELNS1_3gpuE3ELNS1_3repE0EEENS1_48merge_mergepath_partition_config_static_selectorELNS0_4arch9wavefront6targetE1EEEvSO_,"axG",@progbits,_ZN7rocprim17ROCPRIM_400000_NS6detail17trampoline_kernelINS0_14default_configENS1_38merge_sort_block_merge_config_selectorIlNS0_10empty_typeEEEZZNS1_27merge_sort_block_merge_implIS3_PlPS5_mZN2at6native12_GLOBAL__N_124unique_dim_cuda_templateIN3c104HalfEEESt5tupleIJNSA_6TensorESH_SH_EERKSH_lbbbEUlllE_EE10hipError_tT0_T1_T2_jT3_P12ihipStream_tbPNSt15iterator_traitsISN_E10value_typeEPNST_ISO_E10value_typeEPSP_NS1_7vsmem_tEENKUlT_SN_SO_SP_E_clIS8_S8_S9_S9_EESM_S12_SN_SO_SP_EUlS12_E_NS1_11comp_targetILNS1_3genE9ELNS1_11target_archE1100ELNS1_3gpuE3ELNS1_3repE0EEENS1_48merge_mergepath_partition_config_static_selectorELNS0_4arch9wavefront6targetE1EEEvSO_,comdat
	.globl	_ZN7rocprim17ROCPRIM_400000_NS6detail17trampoline_kernelINS0_14default_configENS1_38merge_sort_block_merge_config_selectorIlNS0_10empty_typeEEEZZNS1_27merge_sort_block_merge_implIS3_PlPS5_mZN2at6native12_GLOBAL__N_124unique_dim_cuda_templateIN3c104HalfEEESt5tupleIJNSA_6TensorESH_SH_EERKSH_lbbbEUlllE_EE10hipError_tT0_T1_T2_jT3_P12ihipStream_tbPNSt15iterator_traitsISN_E10value_typeEPNST_ISO_E10value_typeEPSP_NS1_7vsmem_tEENKUlT_SN_SO_SP_E_clIS8_S8_S9_S9_EESM_S12_SN_SO_SP_EUlS12_E_NS1_11comp_targetILNS1_3genE9ELNS1_11target_archE1100ELNS1_3gpuE3ELNS1_3repE0EEENS1_48merge_mergepath_partition_config_static_selectorELNS0_4arch9wavefront6targetE1EEEvSO_ ; -- Begin function _ZN7rocprim17ROCPRIM_400000_NS6detail17trampoline_kernelINS0_14default_configENS1_38merge_sort_block_merge_config_selectorIlNS0_10empty_typeEEEZZNS1_27merge_sort_block_merge_implIS3_PlPS5_mZN2at6native12_GLOBAL__N_124unique_dim_cuda_templateIN3c104HalfEEESt5tupleIJNSA_6TensorESH_SH_EERKSH_lbbbEUlllE_EE10hipError_tT0_T1_T2_jT3_P12ihipStream_tbPNSt15iterator_traitsISN_E10value_typeEPNST_ISO_E10value_typeEPSP_NS1_7vsmem_tEENKUlT_SN_SO_SP_E_clIS8_S8_S9_S9_EESM_S12_SN_SO_SP_EUlS12_E_NS1_11comp_targetILNS1_3genE9ELNS1_11target_archE1100ELNS1_3gpuE3ELNS1_3repE0EEENS1_48merge_mergepath_partition_config_static_selectorELNS0_4arch9wavefront6targetE1EEEvSO_
	.p2align	8
	.type	_ZN7rocprim17ROCPRIM_400000_NS6detail17trampoline_kernelINS0_14default_configENS1_38merge_sort_block_merge_config_selectorIlNS0_10empty_typeEEEZZNS1_27merge_sort_block_merge_implIS3_PlPS5_mZN2at6native12_GLOBAL__N_124unique_dim_cuda_templateIN3c104HalfEEESt5tupleIJNSA_6TensorESH_SH_EERKSH_lbbbEUlllE_EE10hipError_tT0_T1_T2_jT3_P12ihipStream_tbPNSt15iterator_traitsISN_E10value_typeEPNST_ISO_E10value_typeEPSP_NS1_7vsmem_tEENKUlT_SN_SO_SP_E_clIS8_S8_S9_S9_EESM_S12_SN_SO_SP_EUlS12_E_NS1_11comp_targetILNS1_3genE9ELNS1_11target_archE1100ELNS1_3gpuE3ELNS1_3repE0EEENS1_48merge_mergepath_partition_config_static_selectorELNS0_4arch9wavefront6targetE1EEEvSO_,@function
_ZN7rocprim17ROCPRIM_400000_NS6detail17trampoline_kernelINS0_14default_configENS1_38merge_sort_block_merge_config_selectorIlNS0_10empty_typeEEEZZNS1_27merge_sort_block_merge_implIS3_PlPS5_mZN2at6native12_GLOBAL__N_124unique_dim_cuda_templateIN3c104HalfEEESt5tupleIJNSA_6TensorESH_SH_EERKSH_lbbbEUlllE_EE10hipError_tT0_T1_T2_jT3_P12ihipStream_tbPNSt15iterator_traitsISN_E10value_typeEPNST_ISO_E10value_typeEPSP_NS1_7vsmem_tEENKUlT_SN_SO_SP_E_clIS8_S8_S9_S9_EESM_S12_SN_SO_SP_EUlS12_E_NS1_11comp_targetILNS1_3genE9ELNS1_11target_archE1100ELNS1_3gpuE3ELNS1_3repE0EEENS1_48merge_mergepath_partition_config_static_selectorELNS0_4arch9wavefront6targetE1EEEvSO_: ; @_ZN7rocprim17ROCPRIM_400000_NS6detail17trampoline_kernelINS0_14default_configENS1_38merge_sort_block_merge_config_selectorIlNS0_10empty_typeEEEZZNS1_27merge_sort_block_merge_implIS3_PlPS5_mZN2at6native12_GLOBAL__N_124unique_dim_cuda_templateIN3c104HalfEEESt5tupleIJNSA_6TensorESH_SH_EERKSH_lbbbEUlllE_EE10hipError_tT0_T1_T2_jT3_P12ihipStream_tbPNSt15iterator_traitsISN_E10value_typeEPNST_ISO_E10value_typeEPSP_NS1_7vsmem_tEENKUlT_SN_SO_SP_E_clIS8_S8_S9_S9_EESM_S12_SN_SO_SP_EUlS12_E_NS1_11comp_targetILNS1_3genE9ELNS1_11target_archE1100ELNS1_3gpuE3ELNS1_3repE0EEENS1_48merge_mergepath_partition_config_static_selectorELNS0_4arch9wavefront6targetE1EEEvSO_
; %bb.0:
	.section	.rodata,"a",@progbits
	.p2align	6, 0x0
	.amdhsa_kernel _ZN7rocprim17ROCPRIM_400000_NS6detail17trampoline_kernelINS0_14default_configENS1_38merge_sort_block_merge_config_selectorIlNS0_10empty_typeEEEZZNS1_27merge_sort_block_merge_implIS3_PlPS5_mZN2at6native12_GLOBAL__N_124unique_dim_cuda_templateIN3c104HalfEEESt5tupleIJNSA_6TensorESH_SH_EERKSH_lbbbEUlllE_EE10hipError_tT0_T1_T2_jT3_P12ihipStream_tbPNSt15iterator_traitsISN_E10value_typeEPNST_ISO_E10value_typeEPSP_NS1_7vsmem_tEENKUlT_SN_SO_SP_E_clIS8_S8_S9_S9_EESM_S12_SN_SO_SP_EUlS12_E_NS1_11comp_targetILNS1_3genE9ELNS1_11target_archE1100ELNS1_3gpuE3ELNS1_3repE0EEENS1_48merge_mergepath_partition_config_static_selectorELNS0_4arch9wavefront6targetE1EEEvSO_
		.amdhsa_group_segment_fixed_size 0
		.amdhsa_private_segment_fixed_size 0
		.amdhsa_kernarg_size 56
		.amdhsa_user_sgpr_count 6
		.amdhsa_user_sgpr_private_segment_buffer 1
		.amdhsa_user_sgpr_dispatch_ptr 0
		.amdhsa_user_sgpr_queue_ptr 0
		.amdhsa_user_sgpr_kernarg_segment_ptr 1
		.amdhsa_user_sgpr_dispatch_id 0
		.amdhsa_user_sgpr_flat_scratch_init 0
		.amdhsa_user_sgpr_kernarg_preload_length 0
		.amdhsa_user_sgpr_kernarg_preload_offset 0
		.amdhsa_user_sgpr_private_segment_size 0
		.amdhsa_uses_dynamic_stack 0
		.amdhsa_system_sgpr_private_segment_wavefront_offset 0
		.amdhsa_system_sgpr_workgroup_id_x 1
		.amdhsa_system_sgpr_workgroup_id_y 0
		.amdhsa_system_sgpr_workgroup_id_z 0
		.amdhsa_system_sgpr_workgroup_info 0
		.amdhsa_system_vgpr_workitem_id 0
		.amdhsa_next_free_vgpr 1
		.amdhsa_next_free_sgpr 0
		.amdhsa_accum_offset 4
		.amdhsa_reserve_vcc 0
		.amdhsa_reserve_flat_scratch 0
		.amdhsa_float_round_mode_32 0
		.amdhsa_float_round_mode_16_64 0
		.amdhsa_float_denorm_mode_32 3
		.amdhsa_float_denorm_mode_16_64 3
		.amdhsa_dx10_clamp 1
		.amdhsa_ieee_mode 1
		.amdhsa_fp16_overflow 0
		.amdhsa_tg_split 0
		.amdhsa_exception_fp_ieee_invalid_op 0
		.amdhsa_exception_fp_denorm_src 0
		.amdhsa_exception_fp_ieee_div_zero 0
		.amdhsa_exception_fp_ieee_overflow 0
		.amdhsa_exception_fp_ieee_underflow 0
		.amdhsa_exception_fp_ieee_inexact 0
		.amdhsa_exception_int_div_zero 0
	.end_amdhsa_kernel
	.section	.text._ZN7rocprim17ROCPRIM_400000_NS6detail17trampoline_kernelINS0_14default_configENS1_38merge_sort_block_merge_config_selectorIlNS0_10empty_typeEEEZZNS1_27merge_sort_block_merge_implIS3_PlPS5_mZN2at6native12_GLOBAL__N_124unique_dim_cuda_templateIN3c104HalfEEESt5tupleIJNSA_6TensorESH_SH_EERKSH_lbbbEUlllE_EE10hipError_tT0_T1_T2_jT3_P12ihipStream_tbPNSt15iterator_traitsISN_E10value_typeEPNST_ISO_E10value_typeEPSP_NS1_7vsmem_tEENKUlT_SN_SO_SP_E_clIS8_S8_S9_S9_EESM_S12_SN_SO_SP_EUlS12_E_NS1_11comp_targetILNS1_3genE9ELNS1_11target_archE1100ELNS1_3gpuE3ELNS1_3repE0EEENS1_48merge_mergepath_partition_config_static_selectorELNS0_4arch9wavefront6targetE1EEEvSO_,"axG",@progbits,_ZN7rocprim17ROCPRIM_400000_NS6detail17trampoline_kernelINS0_14default_configENS1_38merge_sort_block_merge_config_selectorIlNS0_10empty_typeEEEZZNS1_27merge_sort_block_merge_implIS3_PlPS5_mZN2at6native12_GLOBAL__N_124unique_dim_cuda_templateIN3c104HalfEEESt5tupleIJNSA_6TensorESH_SH_EERKSH_lbbbEUlllE_EE10hipError_tT0_T1_T2_jT3_P12ihipStream_tbPNSt15iterator_traitsISN_E10value_typeEPNST_ISO_E10value_typeEPSP_NS1_7vsmem_tEENKUlT_SN_SO_SP_E_clIS8_S8_S9_S9_EESM_S12_SN_SO_SP_EUlS12_E_NS1_11comp_targetILNS1_3genE9ELNS1_11target_archE1100ELNS1_3gpuE3ELNS1_3repE0EEENS1_48merge_mergepath_partition_config_static_selectorELNS0_4arch9wavefront6targetE1EEEvSO_,comdat
.Lfunc_end1252:
	.size	_ZN7rocprim17ROCPRIM_400000_NS6detail17trampoline_kernelINS0_14default_configENS1_38merge_sort_block_merge_config_selectorIlNS0_10empty_typeEEEZZNS1_27merge_sort_block_merge_implIS3_PlPS5_mZN2at6native12_GLOBAL__N_124unique_dim_cuda_templateIN3c104HalfEEESt5tupleIJNSA_6TensorESH_SH_EERKSH_lbbbEUlllE_EE10hipError_tT0_T1_T2_jT3_P12ihipStream_tbPNSt15iterator_traitsISN_E10value_typeEPNST_ISO_E10value_typeEPSP_NS1_7vsmem_tEENKUlT_SN_SO_SP_E_clIS8_S8_S9_S9_EESM_S12_SN_SO_SP_EUlS12_E_NS1_11comp_targetILNS1_3genE9ELNS1_11target_archE1100ELNS1_3gpuE3ELNS1_3repE0EEENS1_48merge_mergepath_partition_config_static_selectorELNS0_4arch9wavefront6targetE1EEEvSO_, .Lfunc_end1252-_ZN7rocprim17ROCPRIM_400000_NS6detail17trampoline_kernelINS0_14default_configENS1_38merge_sort_block_merge_config_selectorIlNS0_10empty_typeEEEZZNS1_27merge_sort_block_merge_implIS3_PlPS5_mZN2at6native12_GLOBAL__N_124unique_dim_cuda_templateIN3c104HalfEEESt5tupleIJNSA_6TensorESH_SH_EERKSH_lbbbEUlllE_EE10hipError_tT0_T1_T2_jT3_P12ihipStream_tbPNSt15iterator_traitsISN_E10value_typeEPNST_ISO_E10value_typeEPSP_NS1_7vsmem_tEENKUlT_SN_SO_SP_E_clIS8_S8_S9_S9_EESM_S12_SN_SO_SP_EUlS12_E_NS1_11comp_targetILNS1_3genE9ELNS1_11target_archE1100ELNS1_3gpuE3ELNS1_3repE0EEENS1_48merge_mergepath_partition_config_static_selectorELNS0_4arch9wavefront6targetE1EEEvSO_
                                        ; -- End function
	.section	.AMDGPU.csdata,"",@progbits
; Kernel info:
; codeLenInByte = 0
; NumSgprs: 4
; NumVgprs: 0
; NumAgprs: 0
; TotalNumVgprs: 0
; ScratchSize: 0
; MemoryBound: 0
; FloatMode: 240
; IeeeMode: 1
; LDSByteSize: 0 bytes/workgroup (compile time only)
; SGPRBlocks: 0
; VGPRBlocks: 0
; NumSGPRsForWavesPerEU: 4
; NumVGPRsForWavesPerEU: 1
; AccumOffset: 4
; Occupancy: 8
; WaveLimiterHint : 0
; COMPUTE_PGM_RSRC2:SCRATCH_EN: 0
; COMPUTE_PGM_RSRC2:USER_SGPR: 6
; COMPUTE_PGM_RSRC2:TRAP_HANDLER: 0
; COMPUTE_PGM_RSRC2:TGID_X_EN: 1
; COMPUTE_PGM_RSRC2:TGID_Y_EN: 0
; COMPUTE_PGM_RSRC2:TGID_Z_EN: 0
; COMPUTE_PGM_RSRC2:TIDIG_COMP_CNT: 0
; COMPUTE_PGM_RSRC3_GFX90A:ACCUM_OFFSET: 0
; COMPUTE_PGM_RSRC3_GFX90A:TG_SPLIT: 0
	.section	.text._ZN7rocprim17ROCPRIM_400000_NS6detail17trampoline_kernelINS0_14default_configENS1_38merge_sort_block_merge_config_selectorIlNS0_10empty_typeEEEZZNS1_27merge_sort_block_merge_implIS3_PlPS5_mZN2at6native12_GLOBAL__N_124unique_dim_cuda_templateIN3c104HalfEEESt5tupleIJNSA_6TensorESH_SH_EERKSH_lbbbEUlllE_EE10hipError_tT0_T1_T2_jT3_P12ihipStream_tbPNSt15iterator_traitsISN_E10value_typeEPNST_ISO_E10value_typeEPSP_NS1_7vsmem_tEENKUlT_SN_SO_SP_E_clIS8_S8_S9_S9_EESM_S12_SN_SO_SP_EUlS12_E_NS1_11comp_targetILNS1_3genE8ELNS1_11target_archE1030ELNS1_3gpuE2ELNS1_3repE0EEENS1_48merge_mergepath_partition_config_static_selectorELNS0_4arch9wavefront6targetE1EEEvSO_,"axG",@progbits,_ZN7rocprim17ROCPRIM_400000_NS6detail17trampoline_kernelINS0_14default_configENS1_38merge_sort_block_merge_config_selectorIlNS0_10empty_typeEEEZZNS1_27merge_sort_block_merge_implIS3_PlPS5_mZN2at6native12_GLOBAL__N_124unique_dim_cuda_templateIN3c104HalfEEESt5tupleIJNSA_6TensorESH_SH_EERKSH_lbbbEUlllE_EE10hipError_tT0_T1_T2_jT3_P12ihipStream_tbPNSt15iterator_traitsISN_E10value_typeEPNST_ISO_E10value_typeEPSP_NS1_7vsmem_tEENKUlT_SN_SO_SP_E_clIS8_S8_S9_S9_EESM_S12_SN_SO_SP_EUlS12_E_NS1_11comp_targetILNS1_3genE8ELNS1_11target_archE1030ELNS1_3gpuE2ELNS1_3repE0EEENS1_48merge_mergepath_partition_config_static_selectorELNS0_4arch9wavefront6targetE1EEEvSO_,comdat
	.globl	_ZN7rocprim17ROCPRIM_400000_NS6detail17trampoline_kernelINS0_14default_configENS1_38merge_sort_block_merge_config_selectorIlNS0_10empty_typeEEEZZNS1_27merge_sort_block_merge_implIS3_PlPS5_mZN2at6native12_GLOBAL__N_124unique_dim_cuda_templateIN3c104HalfEEESt5tupleIJNSA_6TensorESH_SH_EERKSH_lbbbEUlllE_EE10hipError_tT0_T1_T2_jT3_P12ihipStream_tbPNSt15iterator_traitsISN_E10value_typeEPNST_ISO_E10value_typeEPSP_NS1_7vsmem_tEENKUlT_SN_SO_SP_E_clIS8_S8_S9_S9_EESM_S12_SN_SO_SP_EUlS12_E_NS1_11comp_targetILNS1_3genE8ELNS1_11target_archE1030ELNS1_3gpuE2ELNS1_3repE0EEENS1_48merge_mergepath_partition_config_static_selectorELNS0_4arch9wavefront6targetE1EEEvSO_ ; -- Begin function _ZN7rocprim17ROCPRIM_400000_NS6detail17trampoline_kernelINS0_14default_configENS1_38merge_sort_block_merge_config_selectorIlNS0_10empty_typeEEEZZNS1_27merge_sort_block_merge_implIS3_PlPS5_mZN2at6native12_GLOBAL__N_124unique_dim_cuda_templateIN3c104HalfEEESt5tupleIJNSA_6TensorESH_SH_EERKSH_lbbbEUlllE_EE10hipError_tT0_T1_T2_jT3_P12ihipStream_tbPNSt15iterator_traitsISN_E10value_typeEPNST_ISO_E10value_typeEPSP_NS1_7vsmem_tEENKUlT_SN_SO_SP_E_clIS8_S8_S9_S9_EESM_S12_SN_SO_SP_EUlS12_E_NS1_11comp_targetILNS1_3genE8ELNS1_11target_archE1030ELNS1_3gpuE2ELNS1_3repE0EEENS1_48merge_mergepath_partition_config_static_selectorELNS0_4arch9wavefront6targetE1EEEvSO_
	.p2align	8
	.type	_ZN7rocprim17ROCPRIM_400000_NS6detail17trampoline_kernelINS0_14default_configENS1_38merge_sort_block_merge_config_selectorIlNS0_10empty_typeEEEZZNS1_27merge_sort_block_merge_implIS3_PlPS5_mZN2at6native12_GLOBAL__N_124unique_dim_cuda_templateIN3c104HalfEEESt5tupleIJNSA_6TensorESH_SH_EERKSH_lbbbEUlllE_EE10hipError_tT0_T1_T2_jT3_P12ihipStream_tbPNSt15iterator_traitsISN_E10value_typeEPNST_ISO_E10value_typeEPSP_NS1_7vsmem_tEENKUlT_SN_SO_SP_E_clIS8_S8_S9_S9_EESM_S12_SN_SO_SP_EUlS12_E_NS1_11comp_targetILNS1_3genE8ELNS1_11target_archE1030ELNS1_3gpuE2ELNS1_3repE0EEENS1_48merge_mergepath_partition_config_static_selectorELNS0_4arch9wavefront6targetE1EEEvSO_,@function
_ZN7rocprim17ROCPRIM_400000_NS6detail17trampoline_kernelINS0_14default_configENS1_38merge_sort_block_merge_config_selectorIlNS0_10empty_typeEEEZZNS1_27merge_sort_block_merge_implIS3_PlPS5_mZN2at6native12_GLOBAL__N_124unique_dim_cuda_templateIN3c104HalfEEESt5tupleIJNSA_6TensorESH_SH_EERKSH_lbbbEUlllE_EE10hipError_tT0_T1_T2_jT3_P12ihipStream_tbPNSt15iterator_traitsISN_E10value_typeEPNST_ISO_E10value_typeEPSP_NS1_7vsmem_tEENKUlT_SN_SO_SP_E_clIS8_S8_S9_S9_EESM_S12_SN_SO_SP_EUlS12_E_NS1_11comp_targetILNS1_3genE8ELNS1_11target_archE1030ELNS1_3gpuE2ELNS1_3repE0EEENS1_48merge_mergepath_partition_config_static_selectorELNS0_4arch9wavefront6targetE1EEEvSO_: ; @_ZN7rocprim17ROCPRIM_400000_NS6detail17trampoline_kernelINS0_14default_configENS1_38merge_sort_block_merge_config_selectorIlNS0_10empty_typeEEEZZNS1_27merge_sort_block_merge_implIS3_PlPS5_mZN2at6native12_GLOBAL__N_124unique_dim_cuda_templateIN3c104HalfEEESt5tupleIJNSA_6TensorESH_SH_EERKSH_lbbbEUlllE_EE10hipError_tT0_T1_T2_jT3_P12ihipStream_tbPNSt15iterator_traitsISN_E10value_typeEPNST_ISO_E10value_typeEPSP_NS1_7vsmem_tEENKUlT_SN_SO_SP_E_clIS8_S8_S9_S9_EESM_S12_SN_SO_SP_EUlS12_E_NS1_11comp_targetILNS1_3genE8ELNS1_11target_archE1030ELNS1_3gpuE2ELNS1_3repE0EEENS1_48merge_mergepath_partition_config_static_selectorELNS0_4arch9wavefront6targetE1EEEvSO_
; %bb.0:
	.section	.rodata,"a",@progbits
	.p2align	6, 0x0
	.amdhsa_kernel _ZN7rocprim17ROCPRIM_400000_NS6detail17trampoline_kernelINS0_14default_configENS1_38merge_sort_block_merge_config_selectorIlNS0_10empty_typeEEEZZNS1_27merge_sort_block_merge_implIS3_PlPS5_mZN2at6native12_GLOBAL__N_124unique_dim_cuda_templateIN3c104HalfEEESt5tupleIJNSA_6TensorESH_SH_EERKSH_lbbbEUlllE_EE10hipError_tT0_T1_T2_jT3_P12ihipStream_tbPNSt15iterator_traitsISN_E10value_typeEPNST_ISO_E10value_typeEPSP_NS1_7vsmem_tEENKUlT_SN_SO_SP_E_clIS8_S8_S9_S9_EESM_S12_SN_SO_SP_EUlS12_E_NS1_11comp_targetILNS1_3genE8ELNS1_11target_archE1030ELNS1_3gpuE2ELNS1_3repE0EEENS1_48merge_mergepath_partition_config_static_selectorELNS0_4arch9wavefront6targetE1EEEvSO_
		.amdhsa_group_segment_fixed_size 0
		.amdhsa_private_segment_fixed_size 0
		.amdhsa_kernarg_size 56
		.amdhsa_user_sgpr_count 6
		.amdhsa_user_sgpr_private_segment_buffer 1
		.amdhsa_user_sgpr_dispatch_ptr 0
		.amdhsa_user_sgpr_queue_ptr 0
		.amdhsa_user_sgpr_kernarg_segment_ptr 1
		.amdhsa_user_sgpr_dispatch_id 0
		.amdhsa_user_sgpr_flat_scratch_init 0
		.amdhsa_user_sgpr_kernarg_preload_length 0
		.amdhsa_user_sgpr_kernarg_preload_offset 0
		.amdhsa_user_sgpr_private_segment_size 0
		.amdhsa_uses_dynamic_stack 0
		.amdhsa_system_sgpr_private_segment_wavefront_offset 0
		.amdhsa_system_sgpr_workgroup_id_x 1
		.amdhsa_system_sgpr_workgroup_id_y 0
		.amdhsa_system_sgpr_workgroup_id_z 0
		.amdhsa_system_sgpr_workgroup_info 0
		.amdhsa_system_vgpr_workitem_id 0
		.amdhsa_next_free_vgpr 1
		.amdhsa_next_free_sgpr 0
		.amdhsa_accum_offset 4
		.amdhsa_reserve_vcc 0
		.amdhsa_reserve_flat_scratch 0
		.amdhsa_float_round_mode_32 0
		.amdhsa_float_round_mode_16_64 0
		.amdhsa_float_denorm_mode_32 3
		.amdhsa_float_denorm_mode_16_64 3
		.amdhsa_dx10_clamp 1
		.amdhsa_ieee_mode 1
		.amdhsa_fp16_overflow 0
		.amdhsa_tg_split 0
		.amdhsa_exception_fp_ieee_invalid_op 0
		.amdhsa_exception_fp_denorm_src 0
		.amdhsa_exception_fp_ieee_div_zero 0
		.amdhsa_exception_fp_ieee_overflow 0
		.amdhsa_exception_fp_ieee_underflow 0
		.amdhsa_exception_fp_ieee_inexact 0
		.amdhsa_exception_int_div_zero 0
	.end_amdhsa_kernel
	.section	.text._ZN7rocprim17ROCPRIM_400000_NS6detail17trampoline_kernelINS0_14default_configENS1_38merge_sort_block_merge_config_selectorIlNS0_10empty_typeEEEZZNS1_27merge_sort_block_merge_implIS3_PlPS5_mZN2at6native12_GLOBAL__N_124unique_dim_cuda_templateIN3c104HalfEEESt5tupleIJNSA_6TensorESH_SH_EERKSH_lbbbEUlllE_EE10hipError_tT0_T1_T2_jT3_P12ihipStream_tbPNSt15iterator_traitsISN_E10value_typeEPNST_ISO_E10value_typeEPSP_NS1_7vsmem_tEENKUlT_SN_SO_SP_E_clIS8_S8_S9_S9_EESM_S12_SN_SO_SP_EUlS12_E_NS1_11comp_targetILNS1_3genE8ELNS1_11target_archE1030ELNS1_3gpuE2ELNS1_3repE0EEENS1_48merge_mergepath_partition_config_static_selectorELNS0_4arch9wavefront6targetE1EEEvSO_,"axG",@progbits,_ZN7rocprim17ROCPRIM_400000_NS6detail17trampoline_kernelINS0_14default_configENS1_38merge_sort_block_merge_config_selectorIlNS0_10empty_typeEEEZZNS1_27merge_sort_block_merge_implIS3_PlPS5_mZN2at6native12_GLOBAL__N_124unique_dim_cuda_templateIN3c104HalfEEESt5tupleIJNSA_6TensorESH_SH_EERKSH_lbbbEUlllE_EE10hipError_tT0_T1_T2_jT3_P12ihipStream_tbPNSt15iterator_traitsISN_E10value_typeEPNST_ISO_E10value_typeEPSP_NS1_7vsmem_tEENKUlT_SN_SO_SP_E_clIS8_S8_S9_S9_EESM_S12_SN_SO_SP_EUlS12_E_NS1_11comp_targetILNS1_3genE8ELNS1_11target_archE1030ELNS1_3gpuE2ELNS1_3repE0EEENS1_48merge_mergepath_partition_config_static_selectorELNS0_4arch9wavefront6targetE1EEEvSO_,comdat
.Lfunc_end1253:
	.size	_ZN7rocprim17ROCPRIM_400000_NS6detail17trampoline_kernelINS0_14default_configENS1_38merge_sort_block_merge_config_selectorIlNS0_10empty_typeEEEZZNS1_27merge_sort_block_merge_implIS3_PlPS5_mZN2at6native12_GLOBAL__N_124unique_dim_cuda_templateIN3c104HalfEEESt5tupleIJNSA_6TensorESH_SH_EERKSH_lbbbEUlllE_EE10hipError_tT0_T1_T2_jT3_P12ihipStream_tbPNSt15iterator_traitsISN_E10value_typeEPNST_ISO_E10value_typeEPSP_NS1_7vsmem_tEENKUlT_SN_SO_SP_E_clIS8_S8_S9_S9_EESM_S12_SN_SO_SP_EUlS12_E_NS1_11comp_targetILNS1_3genE8ELNS1_11target_archE1030ELNS1_3gpuE2ELNS1_3repE0EEENS1_48merge_mergepath_partition_config_static_selectorELNS0_4arch9wavefront6targetE1EEEvSO_, .Lfunc_end1253-_ZN7rocprim17ROCPRIM_400000_NS6detail17trampoline_kernelINS0_14default_configENS1_38merge_sort_block_merge_config_selectorIlNS0_10empty_typeEEEZZNS1_27merge_sort_block_merge_implIS3_PlPS5_mZN2at6native12_GLOBAL__N_124unique_dim_cuda_templateIN3c104HalfEEESt5tupleIJNSA_6TensorESH_SH_EERKSH_lbbbEUlllE_EE10hipError_tT0_T1_T2_jT3_P12ihipStream_tbPNSt15iterator_traitsISN_E10value_typeEPNST_ISO_E10value_typeEPSP_NS1_7vsmem_tEENKUlT_SN_SO_SP_E_clIS8_S8_S9_S9_EESM_S12_SN_SO_SP_EUlS12_E_NS1_11comp_targetILNS1_3genE8ELNS1_11target_archE1030ELNS1_3gpuE2ELNS1_3repE0EEENS1_48merge_mergepath_partition_config_static_selectorELNS0_4arch9wavefront6targetE1EEEvSO_
                                        ; -- End function
	.section	.AMDGPU.csdata,"",@progbits
; Kernel info:
; codeLenInByte = 0
; NumSgprs: 4
; NumVgprs: 0
; NumAgprs: 0
; TotalNumVgprs: 0
; ScratchSize: 0
; MemoryBound: 0
; FloatMode: 240
; IeeeMode: 1
; LDSByteSize: 0 bytes/workgroup (compile time only)
; SGPRBlocks: 0
; VGPRBlocks: 0
; NumSGPRsForWavesPerEU: 4
; NumVGPRsForWavesPerEU: 1
; AccumOffset: 4
; Occupancy: 8
; WaveLimiterHint : 0
; COMPUTE_PGM_RSRC2:SCRATCH_EN: 0
; COMPUTE_PGM_RSRC2:USER_SGPR: 6
; COMPUTE_PGM_RSRC2:TRAP_HANDLER: 0
; COMPUTE_PGM_RSRC2:TGID_X_EN: 1
; COMPUTE_PGM_RSRC2:TGID_Y_EN: 0
; COMPUTE_PGM_RSRC2:TGID_Z_EN: 0
; COMPUTE_PGM_RSRC2:TIDIG_COMP_CNT: 0
; COMPUTE_PGM_RSRC3_GFX90A:ACCUM_OFFSET: 0
; COMPUTE_PGM_RSRC3_GFX90A:TG_SPLIT: 0
	.section	.text._ZN7rocprim17ROCPRIM_400000_NS6detail17trampoline_kernelINS0_14default_configENS1_38merge_sort_block_merge_config_selectorIlNS0_10empty_typeEEEZZNS1_27merge_sort_block_merge_implIS3_PlPS5_mZN2at6native12_GLOBAL__N_124unique_dim_cuda_templateIN3c104HalfEEESt5tupleIJNSA_6TensorESH_SH_EERKSH_lbbbEUlllE_EE10hipError_tT0_T1_T2_jT3_P12ihipStream_tbPNSt15iterator_traitsISN_E10value_typeEPNST_ISO_E10value_typeEPSP_NS1_7vsmem_tEENKUlT_SN_SO_SP_E_clIS8_S8_S9_S9_EESM_S12_SN_SO_SP_EUlS12_E0_NS1_11comp_targetILNS1_3genE0ELNS1_11target_archE4294967295ELNS1_3gpuE0ELNS1_3repE0EEENS1_38merge_mergepath_config_static_selectorELNS0_4arch9wavefront6targetE1EEEvSO_,"axG",@progbits,_ZN7rocprim17ROCPRIM_400000_NS6detail17trampoline_kernelINS0_14default_configENS1_38merge_sort_block_merge_config_selectorIlNS0_10empty_typeEEEZZNS1_27merge_sort_block_merge_implIS3_PlPS5_mZN2at6native12_GLOBAL__N_124unique_dim_cuda_templateIN3c104HalfEEESt5tupleIJNSA_6TensorESH_SH_EERKSH_lbbbEUlllE_EE10hipError_tT0_T1_T2_jT3_P12ihipStream_tbPNSt15iterator_traitsISN_E10value_typeEPNST_ISO_E10value_typeEPSP_NS1_7vsmem_tEENKUlT_SN_SO_SP_E_clIS8_S8_S9_S9_EESM_S12_SN_SO_SP_EUlS12_E0_NS1_11comp_targetILNS1_3genE0ELNS1_11target_archE4294967295ELNS1_3gpuE0ELNS1_3repE0EEENS1_38merge_mergepath_config_static_selectorELNS0_4arch9wavefront6targetE1EEEvSO_,comdat
	.globl	_ZN7rocprim17ROCPRIM_400000_NS6detail17trampoline_kernelINS0_14default_configENS1_38merge_sort_block_merge_config_selectorIlNS0_10empty_typeEEEZZNS1_27merge_sort_block_merge_implIS3_PlPS5_mZN2at6native12_GLOBAL__N_124unique_dim_cuda_templateIN3c104HalfEEESt5tupleIJNSA_6TensorESH_SH_EERKSH_lbbbEUlllE_EE10hipError_tT0_T1_T2_jT3_P12ihipStream_tbPNSt15iterator_traitsISN_E10value_typeEPNST_ISO_E10value_typeEPSP_NS1_7vsmem_tEENKUlT_SN_SO_SP_E_clIS8_S8_S9_S9_EESM_S12_SN_SO_SP_EUlS12_E0_NS1_11comp_targetILNS1_3genE0ELNS1_11target_archE4294967295ELNS1_3gpuE0ELNS1_3repE0EEENS1_38merge_mergepath_config_static_selectorELNS0_4arch9wavefront6targetE1EEEvSO_ ; -- Begin function _ZN7rocprim17ROCPRIM_400000_NS6detail17trampoline_kernelINS0_14default_configENS1_38merge_sort_block_merge_config_selectorIlNS0_10empty_typeEEEZZNS1_27merge_sort_block_merge_implIS3_PlPS5_mZN2at6native12_GLOBAL__N_124unique_dim_cuda_templateIN3c104HalfEEESt5tupleIJNSA_6TensorESH_SH_EERKSH_lbbbEUlllE_EE10hipError_tT0_T1_T2_jT3_P12ihipStream_tbPNSt15iterator_traitsISN_E10value_typeEPNST_ISO_E10value_typeEPSP_NS1_7vsmem_tEENKUlT_SN_SO_SP_E_clIS8_S8_S9_S9_EESM_S12_SN_SO_SP_EUlS12_E0_NS1_11comp_targetILNS1_3genE0ELNS1_11target_archE4294967295ELNS1_3gpuE0ELNS1_3repE0EEENS1_38merge_mergepath_config_static_selectorELNS0_4arch9wavefront6targetE1EEEvSO_
	.p2align	8
	.type	_ZN7rocprim17ROCPRIM_400000_NS6detail17trampoline_kernelINS0_14default_configENS1_38merge_sort_block_merge_config_selectorIlNS0_10empty_typeEEEZZNS1_27merge_sort_block_merge_implIS3_PlPS5_mZN2at6native12_GLOBAL__N_124unique_dim_cuda_templateIN3c104HalfEEESt5tupleIJNSA_6TensorESH_SH_EERKSH_lbbbEUlllE_EE10hipError_tT0_T1_T2_jT3_P12ihipStream_tbPNSt15iterator_traitsISN_E10value_typeEPNST_ISO_E10value_typeEPSP_NS1_7vsmem_tEENKUlT_SN_SO_SP_E_clIS8_S8_S9_S9_EESM_S12_SN_SO_SP_EUlS12_E0_NS1_11comp_targetILNS1_3genE0ELNS1_11target_archE4294967295ELNS1_3gpuE0ELNS1_3repE0EEENS1_38merge_mergepath_config_static_selectorELNS0_4arch9wavefront6targetE1EEEvSO_,@function
_ZN7rocprim17ROCPRIM_400000_NS6detail17trampoline_kernelINS0_14default_configENS1_38merge_sort_block_merge_config_selectorIlNS0_10empty_typeEEEZZNS1_27merge_sort_block_merge_implIS3_PlPS5_mZN2at6native12_GLOBAL__N_124unique_dim_cuda_templateIN3c104HalfEEESt5tupleIJNSA_6TensorESH_SH_EERKSH_lbbbEUlllE_EE10hipError_tT0_T1_T2_jT3_P12ihipStream_tbPNSt15iterator_traitsISN_E10value_typeEPNST_ISO_E10value_typeEPSP_NS1_7vsmem_tEENKUlT_SN_SO_SP_E_clIS8_S8_S9_S9_EESM_S12_SN_SO_SP_EUlS12_E0_NS1_11comp_targetILNS1_3genE0ELNS1_11target_archE4294967295ELNS1_3gpuE0ELNS1_3repE0EEENS1_38merge_mergepath_config_static_selectorELNS0_4arch9wavefront6targetE1EEEvSO_: ; @_ZN7rocprim17ROCPRIM_400000_NS6detail17trampoline_kernelINS0_14default_configENS1_38merge_sort_block_merge_config_selectorIlNS0_10empty_typeEEEZZNS1_27merge_sort_block_merge_implIS3_PlPS5_mZN2at6native12_GLOBAL__N_124unique_dim_cuda_templateIN3c104HalfEEESt5tupleIJNSA_6TensorESH_SH_EERKSH_lbbbEUlllE_EE10hipError_tT0_T1_T2_jT3_P12ihipStream_tbPNSt15iterator_traitsISN_E10value_typeEPNST_ISO_E10value_typeEPSP_NS1_7vsmem_tEENKUlT_SN_SO_SP_E_clIS8_S8_S9_S9_EESM_S12_SN_SO_SP_EUlS12_E0_NS1_11comp_targetILNS1_3genE0ELNS1_11target_archE4294967295ELNS1_3gpuE0ELNS1_3repE0EEENS1_38merge_mergepath_config_static_selectorELNS0_4arch9wavefront6targetE1EEEvSO_
; %bb.0:
	.section	.rodata,"a",@progbits
	.p2align	6, 0x0
	.amdhsa_kernel _ZN7rocprim17ROCPRIM_400000_NS6detail17trampoline_kernelINS0_14default_configENS1_38merge_sort_block_merge_config_selectorIlNS0_10empty_typeEEEZZNS1_27merge_sort_block_merge_implIS3_PlPS5_mZN2at6native12_GLOBAL__N_124unique_dim_cuda_templateIN3c104HalfEEESt5tupleIJNSA_6TensorESH_SH_EERKSH_lbbbEUlllE_EE10hipError_tT0_T1_T2_jT3_P12ihipStream_tbPNSt15iterator_traitsISN_E10value_typeEPNST_ISO_E10value_typeEPSP_NS1_7vsmem_tEENKUlT_SN_SO_SP_E_clIS8_S8_S9_S9_EESM_S12_SN_SO_SP_EUlS12_E0_NS1_11comp_targetILNS1_3genE0ELNS1_11target_archE4294967295ELNS1_3gpuE0ELNS1_3repE0EEENS1_38merge_mergepath_config_static_selectorELNS0_4arch9wavefront6targetE1EEEvSO_
		.amdhsa_group_segment_fixed_size 0
		.amdhsa_private_segment_fixed_size 0
		.amdhsa_kernarg_size 88
		.amdhsa_user_sgpr_count 6
		.amdhsa_user_sgpr_private_segment_buffer 1
		.amdhsa_user_sgpr_dispatch_ptr 0
		.amdhsa_user_sgpr_queue_ptr 0
		.amdhsa_user_sgpr_kernarg_segment_ptr 1
		.amdhsa_user_sgpr_dispatch_id 0
		.amdhsa_user_sgpr_flat_scratch_init 0
		.amdhsa_user_sgpr_kernarg_preload_length 0
		.amdhsa_user_sgpr_kernarg_preload_offset 0
		.amdhsa_user_sgpr_private_segment_size 0
		.amdhsa_uses_dynamic_stack 0
		.amdhsa_system_sgpr_private_segment_wavefront_offset 0
		.amdhsa_system_sgpr_workgroup_id_x 1
		.amdhsa_system_sgpr_workgroup_id_y 0
		.amdhsa_system_sgpr_workgroup_id_z 0
		.amdhsa_system_sgpr_workgroup_info 0
		.amdhsa_system_vgpr_workitem_id 0
		.amdhsa_next_free_vgpr 1
		.amdhsa_next_free_sgpr 0
		.amdhsa_accum_offset 4
		.amdhsa_reserve_vcc 0
		.amdhsa_reserve_flat_scratch 0
		.amdhsa_float_round_mode_32 0
		.amdhsa_float_round_mode_16_64 0
		.amdhsa_float_denorm_mode_32 3
		.amdhsa_float_denorm_mode_16_64 3
		.amdhsa_dx10_clamp 1
		.amdhsa_ieee_mode 1
		.amdhsa_fp16_overflow 0
		.amdhsa_tg_split 0
		.amdhsa_exception_fp_ieee_invalid_op 0
		.amdhsa_exception_fp_denorm_src 0
		.amdhsa_exception_fp_ieee_div_zero 0
		.amdhsa_exception_fp_ieee_overflow 0
		.amdhsa_exception_fp_ieee_underflow 0
		.amdhsa_exception_fp_ieee_inexact 0
		.amdhsa_exception_int_div_zero 0
	.end_amdhsa_kernel
	.section	.text._ZN7rocprim17ROCPRIM_400000_NS6detail17trampoline_kernelINS0_14default_configENS1_38merge_sort_block_merge_config_selectorIlNS0_10empty_typeEEEZZNS1_27merge_sort_block_merge_implIS3_PlPS5_mZN2at6native12_GLOBAL__N_124unique_dim_cuda_templateIN3c104HalfEEESt5tupleIJNSA_6TensorESH_SH_EERKSH_lbbbEUlllE_EE10hipError_tT0_T1_T2_jT3_P12ihipStream_tbPNSt15iterator_traitsISN_E10value_typeEPNST_ISO_E10value_typeEPSP_NS1_7vsmem_tEENKUlT_SN_SO_SP_E_clIS8_S8_S9_S9_EESM_S12_SN_SO_SP_EUlS12_E0_NS1_11comp_targetILNS1_3genE0ELNS1_11target_archE4294967295ELNS1_3gpuE0ELNS1_3repE0EEENS1_38merge_mergepath_config_static_selectorELNS0_4arch9wavefront6targetE1EEEvSO_,"axG",@progbits,_ZN7rocprim17ROCPRIM_400000_NS6detail17trampoline_kernelINS0_14default_configENS1_38merge_sort_block_merge_config_selectorIlNS0_10empty_typeEEEZZNS1_27merge_sort_block_merge_implIS3_PlPS5_mZN2at6native12_GLOBAL__N_124unique_dim_cuda_templateIN3c104HalfEEESt5tupleIJNSA_6TensorESH_SH_EERKSH_lbbbEUlllE_EE10hipError_tT0_T1_T2_jT3_P12ihipStream_tbPNSt15iterator_traitsISN_E10value_typeEPNST_ISO_E10value_typeEPSP_NS1_7vsmem_tEENKUlT_SN_SO_SP_E_clIS8_S8_S9_S9_EESM_S12_SN_SO_SP_EUlS12_E0_NS1_11comp_targetILNS1_3genE0ELNS1_11target_archE4294967295ELNS1_3gpuE0ELNS1_3repE0EEENS1_38merge_mergepath_config_static_selectorELNS0_4arch9wavefront6targetE1EEEvSO_,comdat
.Lfunc_end1254:
	.size	_ZN7rocprim17ROCPRIM_400000_NS6detail17trampoline_kernelINS0_14default_configENS1_38merge_sort_block_merge_config_selectorIlNS0_10empty_typeEEEZZNS1_27merge_sort_block_merge_implIS3_PlPS5_mZN2at6native12_GLOBAL__N_124unique_dim_cuda_templateIN3c104HalfEEESt5tupleIJNSA_6TensorESH_SH_EERKSH_lbbbEUlllE_EE10hipError_tT0_T1_T2_jT3_P12ihipStream_tbPNSt15iterator_traitsISN_E10value_typeEPNST_ISO_E10value_typeEPSP_NS1_7vsmem_tEENKUlT_SN_SO_SP_E_clIS8_S8_S9_S9_EESM_S12_SN_SO_SP_EUlS12_E0_NS1_11comp_targetILNS1_3genE0ELNS1_11target_archE4294967295ELNS1_3gpuE0ELNS1_3repE0EEENS1_38merge_mergepath_config_static_selectorELNS0_4arch9wavefront6targetE1EEEvSO_, .Lfunc_end1254-_ZN7rocprim17ROCPRIM_400000_NS6detail17trampoline_kernelINS0_14default_configENS1_38merge_sort_block_merge_config_selectorIlNS0_10empty_typeEEEZZNS1_27merge_sort_block_merge_implIS3_PlPS5_mZN2at6native12_GLOBAL__N_124unique_dim_cuda_templateIN3c104HalfEEESt5tupleIJNSA_6TensorESH_SH_EERKSH_lbbbEUlllE_EE10hipError_tT0_T1_T2_jT3_P12ihipStream_tbPNSt15iterator_traitsISN_E10value_typeEPNST_ISO_E10value_typeEPSP_NS1_7vsmem_tEENKUlT_SN_SO_SP_E_clIS8_S8_S9_S9_EESM_S12_SN_SO_SP_EUlS12_E0_NS1_11comp_targetILNS1_3genE0ELNS1_11target_archE4294967295ELNS1_3gpuE0ELNS1_3repE0EEENS1_38merge_mergepath_config_static_selectorELNS0_4arch9wavefront6targetE1EEEvSO_
                                        ; -- End function
	.section	.AMDGPU.csdata,"",@progbits
; Kernel info:
; codeLenInByte = 0
; NumSgprs: 4
; NumVgprs: 0
; NumAgprs: 0
; TotalNumVgprs: 0
; ScratchSize: 0
; MemoryBound: 0
; FloatMode: 240
; IeeeMode: 1
; LDSByteSize: 0 bytes/workgroup (compile time only)
; SGPRBlocks: 0
; VGPRBlocks: 0
; NumSGPRsForWavesPerEU: 4
; NumVGPRsForWavesPerEU: 1
; AccumOffset: 4
; Occupancy: 8
; WaveLimiterHint : 0
; COMPUTE_PGM_RSRC2:SCRATCH_EN: 0
; COMPUTE_PGM_RSRC2:USER_SGPR: 6
; COMPUTE_PGM_RSRC2:TRAP_HANDLER: 0
; COMPUTE_PGM_RSRC2:TGID_X_EN: 1
; COMPUTE_PGM_RSRC2:TGID_Y_EN: 0
; COMPUTE_PGM_RSRC2:TGID_Z_EN: 0
; COMPUTE_PGM_RSRC2:TIDIG_COMP_CNT: 0
; COMPUTE_PGM_RSRC3_GFX90A:ACCUM_OFFSET: 0
; COMPUTE_PGM_RSRC3_GFX90A:TG_SPLIT: 0
	.section	.text._ZN7rocprim17ROCPRIM_400000_NS6detail17trampoline_kernelINS0_14default_configENS1_38merge_sort_block_merge_config_selectorIlNS0_10empty_typeEEEZZNS1_27merge_sort_block_merge_implIS3_PlPS5_mZN2at6native12_GLOBAL__N_124unique_dim_cuda_templateIN3c104HalfEEESt5tupleIJNSA_6TensorESH_SH_EERKSH_lbbbEUlllE_EE10hipError_tT0_T1_T2_jT3_P12ihipStream_tbPNSt15iterator_traitsISN_E10value_typeEPNST_ISO_E10value_typeEPSP_NS1_7vsmem_tEENKUlT_SN_SO_SP_E_clIS8_S8_S9_S9_EESM_S12_SN_SO_SP_EUlS12_E0_NS1_11comp_targetILNS1_3genE10ELNS1_11target_archE1201ELNS1_3gpuE5ELNS1_3repE0EEENS1_38merge_mergepath_config_static_selectorELNS0_4arch9wavefront6targetE1EEEvSO_,"axG",@progbits,_ZN7rocprim17ROCPRIM_400000_NS6detail17trampoline_kernelINS0_14default_configENS1_38merge_sort_block_merge_config_selectorIlNS0_10empty_typeEEEZZNS1_27merge_sort_block_merge_implIS3_PlPS5_mZN2at6native12_GLOBAL__N_124unique_dim_cuda_templateIN3c104HalfEEESt5tupleIJNSA_6TensorESH_SH_EERKSH_lbbbEUlllE_EE10hipError_tT0_T1_T2_jT3_P12ihipStream_tbPNSt15iterator_traitsISN_E10value_typeEPNST_ISO_E10value_typeEPSP_NS1_7vsmem_tEENKUlT_SN_SO_SP_E_clIS8_S8_S9_S9_EESM_S12_SN_SO_SP_EUlS12_E0_NS1_11comp_targetILNS1_3genE10ELNS1_11target_archE1201ELNS1_3gpuE5ELNS1_3repE0EEENS1_38merge_mergepath_config_static_selectorELNS0_4arch9wavefront6targetE1EEEvSO_,comdat
	.globl	_ZN7rocprim17ROCPRIM_400000_NS6detail17trampoline_kernelINS0_14default_configENS1_38merge_sort_block_merge_config_selectorIlNS0_10empty_typeEEEZZNS1_27merge_sort_block_merge_implIS3_PlPS5_mZN2at6native12_GLOBAL__N_124unique_dim_cuda_templateIN3c104HalfEEESt5tupleIJNSA_6TensorESH_SH_EERKSH_lbbbEUlllE_EE10hipError_tT0_T1_T2_jT3_P12ihipStream_tbPNSt15iterator_traitsISN_E10value_typeEPNST_ISO_E10value_typeEPSP_NS1_7vsmem_tEENKUlT_SN_SO_SP_E_clIS8_S8_S9_S9_EESM_S12_SN_SO_SP_EUlS12_E0_NS1_11comp_targetILNS1_3genE10ELNS1_11target_archE1201ELNS1_3gpuE5ELNS1_3repE0EEENS1_38merge_mergepath_config_static_selectorELNS0_4arch9wavefront6targetE1EEEvSO_ ; -- Begin function _ZN7rocprim17ROCPRIM_400000_NS6detail17trampoline_kernelINS0_14default_configENS1_38merge_sort_block_merge_config_selectorIlNS0_10empty_typeEEEZZNS1_27merge_sort_block_merge_implIS3_PlPS5_mZN2at6native12_GLOBAL__N_124unique_dim_cuda_templateIN3c104HalfEEESt5tupleIJNSA_6TensorESH_SH_EERKSH_lbbbEUlllE_EE10hipError_tT0_T1_T2_jT3_P12ihipStream_tbPNSt15iterator_traitsISN_E10value_typeEPNST_ISO_E10value_typeEPSP_NS1_7vsmem_tEENKUlT_SN_SO_SP_E_clIS8_S8_S9_S9_EESM_S12_SN_SO_SP_EUlS12_E0_NS1_11comp_targetILNS1_3genE10ELNS1_11target_archE1201ELNS1_3gpuE5ELNS1_3repE0EEENS1_38merge_mergepath_config_static_selectorELNS0_4arch9wavefront6targetE1EEEvSO_
	.p2align	8
	.type	_ZN7rocprim17ROCPRIM_400000_NS6detail17trampoline_kernelINS0_14default_configENS1_38merge_sort_block_merge_config_selectorIlNS0_10empty_typeEEEZZNS1_27merge_sort_block_merge_implIS3_PlPS5_mZN2at6native12_GLOBAL__N_124unique_dim_cuda_templateIN3c104HalfEEESt5tupleIJNSA_6TensorESH_SH_EERKSH_lbbbEUlllE_EE10hipError_tT0_T1_T2_jT3_P12ihipStream_tbPNSt15iterator_traitsISN_E10value_typeEPNST_ISO_E10value_typeEPSP_NS1_7vsmem_tEENKUlT_SN_SO_SP_E_clIS8_S8_S9_S9_EESM_S12_SN_SO_SP_EUlS12_E0_NS1_11comp_targetILNS1_3genE10ELNS1_11target_archE1201ELNS1_3gpuE5ELNS1_3repE0EEENS1_38merge_mergepath_config_static_selectorELNS0_4arch9wavefront6targetE1EEEvSO_,@function
_ZN7rocprim17ROCPRIM_400000_NS6detail17trampoline_kernelINS0_14default_configENS1_38merge_sort_block_merge_config_selectorIlNS0_10empty_typeEEEZZNS1_27merge_sort_block_merge_implIS3_PlPS5_mZN2at6native12_GLOBAL__N_124unique_dim_cuda_templateIN3c104HalfEEESt5tupleIJNSA_6TensorESH_SH_EERKSH_lbbbEUlllE_EE10hipError_tT0_T1_T2_jT3_P12ihipStream_tbPNSt15iterator_traitsISN_E10value_typeEPNST_ISO_E10value_typeEPSP_NS1_7vsmem_tEENKUlT_SN_SO_SP_E_clIS8_S8_S9_S9_EESM_S12_SN_SO_SP_EUlS12_E0_NS1_11comp_targetILNS1_3genE10ELNS1_11target_archE1201ELNS1_3gpuE5ELNS1_3repE0EEENS1_38merge_mergepath_config_static_selectorELNS0_4arch9wavefront6targetE1EEEvSO_: ; @_ZN7rocprim17ROCPRIM_400000_NS6detail17trampoline_kernelINS0_14default_configENS1_38merge_sort_block_merge_config_selectorIlNS0_10empty_typeEEEZZNS1_27merge_sort_block_merge_implIS3_PlPS5_mZN2at6native12_GLOBAL__N_124unique_dim_cuda_templateIN3c104HalfEEESt5tupleIJNSA_6TensorESH_SH_EERKSH_lbbbEUlllE_EE10hipError_tT0_T1_T2_jT3_P12ihipStream_tbPNSt15iterator_traitsISN_E10value_typeEPNST_ISO_E10value_typeEPSP_NS1_7vsmem_tEENKUlT_SN_SO_SP_E_clIS8_S8_S9_S9_EESM_S12_SN_SO_SP_EUlS12_E0_NS1_11comp_targetILNS1_3genE10ELNS1_11target_archE1201ELNS1_3gpuE5ELNS1_3repE0EEENS1_38merge_mergepath_config_static_selectorELNS0_4arch9wavefront6targetE1EEEvSO_
; %bb.0:
	.section	.rodata,"a",@progbits
	.p2align	6, 0x0
	.amdhsa_kernel _ZN7rocprim17ROCPRIM_400000_NS6detail17trampoline_kernelINS0_14default_configENS1_38merge_sort_block_merge_config_selectorIlNS0_10empty_typeEEEZZNS1_27merge_sort_block_merge_implIS3_PlPS5_mZN2at6native12_GLOBAL__N_124unique_dim_cuda_templateIN3c104HalfEEESt5tupleIJNSA_6TensorESH_SH_EERKSH_lbbbEUlllE_EE10hipError_tT0_T1_T2_jT3_P12ihipStream_tbPNSt15iterator_traitsISN_E10value_typeEPNST_ISO_E10value_typeEPSP_NS1_7vsmem_tEENKUlT_SN_SO_SP_E_clIS8_S8_S9_S9_EESM_S12_SN_SO_SP_EUlS12_E0_NS1_11comp_targetILNS1_3genE10ELNS1_11target_archE1201ELNS1_3gpuE5ELNS1_3repE0EEENS1_38merge_mergepath_config_static_selectorELNS0_4arch9wavefront6targetE1EEEvSO_
		.amdhsa_group_segment_fixed_size 0
		.amdhsa_private_segment_fixed_size 0
		.amdhsa_kernarg_size 88
		.amdhsa_user_sgpr_count 6
		.amdhsa_user_sgpr_private_segment_buffer 1
		.amdhsa_user_sgpr_dispatch_ptr 0
		.amdhsa_user_sgpr_queue_ptr 0
		.amdhsa_user_sgpr_kernarg_segment_ptr 1
		.amdhsa_user_sgpr_dispatch_id 0
		.amdhsa_user_sgpr_flat_scratch_init 0
		.amdhsa_user_sgpr_kernarg_preload_length 0
		.amdhsa_user_sgpr_kernarg_preload_offset 0
		.amdhsa_user_sgpr_private_segment_size 0
		.amdhsa_uses_dynamic_stack 0
		.amdhsa_system_sgpr_private_segment_wavefront_offset 0
		.amdhsa_system_sgpr_workgroup_id_x 1
		.amdhsa_system_sgpr_workgroup_id_y 0
		.amdhsa_system_sgpr_workgroup_id_z 0
		.amdhsa_system_sgpr_workgroup_info 0
		.amdhsa_system_vgpr_workitem_id 0
		.amdhsa_next_free_vgpr 1
		.amdhsa_next_free_sgpr 0
		.amdhsa_accum_offset 4
		.amdhsa_reserve_vcc 0
		.amdhsa_reserve_flat_scratch 0
		.amdhsa_float_round_mode_32 0
		.amdhsa_float_round_mode_16_64 0
		.amdhsa_float_denorm_mode_32 3
		.amdhsa_float_denorm_mode_16_64 3
		.amdhsa_dx10_clamp 1
		.amdhsa_ieee_mode 1
		.amdhsa_fp16_overflow 0
		.amdhsa_tg_split 0
		.amdhsa_exception_fp_ieee_invalid_op 0
		.amdhsa_exception_fp_denorm_src 0
		.amdhsa_exception_fp_ieee_div_zero 0
		.amdhsa_exception_fp_ieee_overflow 0
		.amdhsa_exception_fp_ieee_underflow 0
		.amdhsa_exception_fp_ieee_inexact 0
		.amdhsa_exception_int_div_zero 0
	.end_amdhsa_kernel
	.section	.text._ZN7rocprim17ROCPRIM_400000_NS6detail17trampoline_kernelINS0_14default_configENS1_38merge_sort_block_merge_config_selectorIlNS0_10empty_typeEEEZZNS1_27merge_sort_block_merge_implIS3_PlPS5_mZN2at6native12_GLOBAL__N_124unique_dim_cuda_templateIN3c104HalfEEESt5tupleIJNSA_6TensorESH_SH_EERKSH_lbbbEUlllE_EE10hipError_tT0_T1_T2_jT3_P12ihipStream_tbPNSt15iterator_traitsISN_E10value_typeEPNST_ISO_E10value_typeEPSP_NS1_7vsmem_tEENKUlT_SN_SO_SP_E_clIS8_S8_S9_S9_EESM_S12_SN_SO_SP_EUlS12_E0_NS1_11comp_targetILNS1_3genE10ELNS1_11target_archE1201ELNS1_3gpuE5ELNS1_3repE0EEENS1_38merge_mergepath_config_static_selectorELNS0_4arch9wavefront6targetE1EEEvSO_,"axG",@progbits,_ZN7rocprim17ROCPRIM_400000_NS6detail17trampoline_kernelINS0_14default_configENS1_38merge_sort_block_merge_config_selectorIlNS0_10empty_typeEEEZZNS1_27merge_sort_block_merge_implIS3_PlPS5_mZN2at6native12_GLOBAL__N_124unique_dim_cuda_templateIN3c104HalfEEESt5tupleIJNSA_6TensorESH_SH_EERKSH_lbbbEUlllE_EE10hipError_tT0_T1_T2_jT3_P12ihipStream_tbPNSt15iterator_traitsISN_E10value_typeEPNST_ISO_E10value_typeEPSP_NS1_7vsmem_tEENKUlT_SN_SO_SP_E_clIS8_S8_S9_S9_EESM_S12_SN_SO_SP_EUlS12_E0_NS1_11comp_targetILNS1_3genE10ELNS1_11target_archE1201ELNS1_3gpuE5ELNS1_3repE0EEENS1_38merge_mergepath_config_static_selectorELNS0_4arch9wavefront6targetE1EEEvSO_,comdat
.Lfunc_end1255:
	.size	_ZN7rocprim17ROCPRIM_400000_NS6detail17trampoline_kernelINS0_14default_configENS1_38merge_sort_block_merge_config_selectorIlNS0_10empty_typeEEEZZNS1_27merge_sort_block_merge_implIS3_PlPS5_mZN2at6native12_GLOBAL__N_124unique_dim_cuda_templateIN3c104HalfEEESt5tupleIJNSA_6TensorESH_SH_EERKSH_lbbbEUlllE_EE10hipError_tT0_T1_T2_jT3_P12ihipStream_tbPNSt15iterator_traitsISN_E10value_typeEPNST_ISO_E10value_typeEPSP_NS1_7vsmem_tEENKUlT_SN_SO_SP_E_clIS8_S8_S9_S9_EESM_S12_SN_SO_SP_EUlS12_E0_NS1_11comp_targetILNS1_3genE10ELNS1_11target_archE1201ELNS1_3gpuE5ELNS1_3repE0EEENS1_38merge_mergepath_config_static_selectorELNS0_4arch9wavefront6targetE1EEEvSO_, .Lfunc_end1255-_ZN7rocprim17ROCPRIM_400000_NS6detail17trampoline_kernelINS0_14default_configENS1_38merge_sort_block_merge_config_selectorIlNS0_10empty_typeEEEZZNS1_27merge_sort_block_merge_implIS3_PlPS5_mZN2at6native12_GLOBAL__N_124unique_dim_cuda_templateIN3c104HalfEEESt5tupleIJNSA_6TensorESH_SH_EERKSH_lbbbEUlllE_EE10hipError_tT0_T1_T2_jT3_P12ihipStream_tbPNSt15iterator_traitsISN_E10value_typeEPNST_ISO_E10value_typeEPSP_NS1_7vsmem_tEENKUlT_SN_SO_SP_E_clIS8_S8_S9_S9_EESM_S12_SN_SO_SP_EUlS12_E0_NS1_11comp_targetILNS1_3genE10ELNS1_11target_archE1201ELNS1_3gpuE5ELNS1_3repE0EEENS1_38merge_mergepath_config_static_selectorELNS0_4arch9wavefront6targetE1EEEvSO_
                                        ; -- End function
	.section	.AMDGPU.csdata,"",@progbits
; Kernel info:
; codeLenInByte = 0
; NumSgprs: 4
; NumVgprs: 0
; NumAgprs: 0
; TotalNumVgprs: 0
; ScratchSize: 0
; MemoryBound: 0
; FloatMode: 240
; IeeeMode: 1
; LDSByteSize: 0 bytes/workgroup (compile time only)
; SGPRBlocks: 0
; VGPRBlocks: 0
; NumSGPRsForWavesPerEU: 4
; NumVGPRsForWavesPerEU: 1
; AccumOffset: 4
; Occupancy: 8
; WaveLimiterHint : 0
; COMPUTE_PGM_RSRC2:SCRATCH_EN: 0
; COMPUTE_PGM_RSRC2:USER_SGPR: 6
; COMPUTE_PGM_RSRC2:TRAP_HANDLER: 0
; COMPUTE_PGM_RSRC2:TGID_X_EN: 1
; COMPUTE_PGM_RSRC2:TGID_Y_EN: 0
; COMPUTE_PGM_RSRC2:TGID_Z_EN: 0
; COMPUTE_PGM_RSRC2:TIDIG_COMP_CNT: 0
; COMPUTE_PGM_RSRC3_GFX90A:ACCUM_OFFSET: 0
; COMPUTE_PGM_RSRC3_GFX90A:TG_SPLIT: 0
	.section	.text._ZN7rocprim17ROCPRIM_400000_NS6detail17trampoline_kernelINS0_14default_configENS1_38merge_sort_block_merge_config_selectorIlNS0_10empty_typeEEEZZNS1_27merge_sort_block_merge_implIS3_PlPS5_mZN2at6native12_GLOBAL__N_124unique_dim_cuda_templateIN3c104HalfEEESt5tupleIJNSA_6TensorESH_SH_EERKSH_lbbbEUlllE_EE10hipError_tT0_T1_T2_jT3_P12ihipStream_tbPNSt15iterator_traitsISN_E10value_typeEPNST_ISO_E10value_typeEPSP_NS1_7vsmem_tEENKUlT_SN_SO_SP_E_clIS8_S8_S9_S9_EESM_S12_SN_SO_SP_EUlS12_E0_NS1_11comp_targetILNS1_3genE5ELNS1_11target_archE942ELNS1_3gpuE9ELNS1_3repE0EEENS1_38merge_mergepath_config_static_selectorELNS0_4arch9wavefront6targetE1EEEvSO_,"axG",@progbits,_ZN7rocprim17ROCPRIM_400000_NS6detail17trampoline_kernelINS0_14default_configENS1_38merge_sort_block_merge_config_selectorIlNS0_10empty_typeEEEZZNS1_27merge_sort_block_merge_implIS3_PlPS5_mZN2at6native12_GLOBAL__N_124unique_dim_cuda_templateIN3c104HalfEEESt5tupleIJNSA_6TensorESH_SH_EERKSH_lbbbEUlllE_EE10hipError_tT0_T1_T2_jT3_P12ihipStream_tbPNSt15iterator_traitsISN_E10value_typeEPNST_ISO_E10value_typeEPSP_NS1_7vsmem_tEENKUlT_SN_SO_SP_E_clIS8_S8_S9_S9_EESM_S12_SN_SO_SP_EUlS12_E0_NS1_11comp_targetILNS1_3genE5ELNS1_11target_archE942ELNS1_3gpuE9ELNS1_3repE0EEENS1_38merge_mergepath_config_static_selectorELNS0_4arch9wavefront6targetE1EEEvSO_,comdat
	.globl	_ZN7rocprim17ROCPRIM_400000_NS6detail17trampoline_kernelINS0_14default_configENS1_38merge_sort_block_merge_config_selectorIlNS0_10empty_typeEEEZZNS1_27merge_sort_block_merge_implIS3_PlPS5_mZN2at6native12_GLOBAL__N_124unique_dim_cuda_templateIN3c104HalfEEESt5tupleIJNSA_6TensorESH_SH_EERKSH_lbbbEUlllE_EE10hipError_tT0_T1_T2_jT3_P12ihipStream_tbPNSt15iterator_traitsISN_E10value_typeEPNST_ISO_E10value_typeEPSP_NS1_7vsmem_tEENKUlT_SN_SO_SP_E_clIS8_S8_S9_S9_EESM_S12_SN_SO_SP_EUlS12_E0_NS1_11comp_targetILNS1_3genE5ELNS1_11target_archE942ELNS1_3gpuE9ELNS1_3repE0EEENS1_38merge_mergepath_config_static_selectorELNS0_4arch9wavefront6targetE1EEEvSO_ ; -- Begin function _ZN7rocprim17ROCPRIM_400000_NS6detail17trampoline_kernelINS0_14default_configENS1_38merge_sort_block_merge_config_selectorIlNS0_10empty_typeEEEZZNS1_27merge_sort_block_merge_implIS3_PlPS5_mZN2at6native12_GLOBAL__N_124unique_dim_cuda_templateIN3c104HalfEEESt5tupleIJNSA_6TensorESH_SH_EERKSH_lbbbEUlllE_EE10hipError_tT0_T1_T2_jT3_P12ihipStream_tbPNSt15iterator_traitsISN_E10value_typeEPNST_ISO_E10value_typeEPSP_NS1_7vsmem_tEENKUlT_SN_SO_SP_E_clIS8_S8_S9_S9_EESM_S12_SN_SO_SP_EUlS12_E0_NS1_11comp_targetILNS1_3genE5ELNS1_11target_archE942ELNS1_3gpuE9ELNS1_3repE0EEENS1_38merge_mergepath_config_static_selectorELNS0_4arch9wavefront6targetE1EEEvSO_
	.p2align	8
	.type	_ZN7rocprim17ROCPRIM_400000_NS6detail17trampoline_kernelINS0_14default_configENS1_38merge_sort_block_merge_config_selectorIlNS0_10empty_typeEEEZZNS1_27merge_sort_block_merge_implIS3_PlPS5_mZN2at6native12_GLOBAL__N_124unique_dim_cuda_templateIN3c104HalfEEESt5tupleIJNSA_6TensorESH_SH_EERKSH_lbbbEUlllE_EE10hipError_tT0_T1_T2_jT3_P12ihipStream_tbPNSt15iterator_traitsISN_E10value_typeEPNST_ISO_E10value_typeEPSP_NS1_7vsmem_tEENKUlT_SN_SO_SP_E_clIS8_S8_S9_S9_EESM_S12_SN_SO_SP_EUlS12_E0_NS1_11comp_targetILNS1_3genE5ELNS1_11target_archE942ELNS1_3gpuE9ELNS1_3repE0EEENS1_38merge_mergepath_config_static_selectorELNS0_4arch9wavefront6targetE1EEEvSO_,@function
_ZN7rocprim17ROCPRIM_400000_NS6detail17trampoline_kernelINS0_14default_configENS1_38merge_sort_block_merge_config_selectorIlNS0_10empty_typeEEEZZNS1_27merge_sort_block_merge_implIS3_PlPS5_mZN2at6native12_GLOBAL__N_124unique_dim_cuda_templateIN3c104HalfEEESt5tupleIJNSA_6TensorESH_SH_EERKSH_lbbbEUlllE_EE10hipError_tT0_T1_T2_jT3_P12ihipStream_tbPNSt15iterator_traitsISN_E10value_typeEPNST_ISO_E10value_typeEPSP_NS1_7vsmem_tEENKUlT_SN_SO_SP_E_clIS8_S8_S9_S9_EESM_S12_SN_SO_SP_EUlS12_E0_NS1_11comp_targetILNS1_3genE5ELNS1_11target_archE942ELNS1_3gpuE9ELNS1_3repE0EEENS1_38merge_mergepath_config_static_selectorELNS0_4arch9wavefront6targetE1EEEvSO_: ; @_ZN7rocprim17ROCPRIM_400000_NS6detail17trampoline_kernelINS0_14default_configENS1_38merge_sort_block_merge_config_selectorIlNS0_10empty_typeEEEZZNS1_27merge_sort_block_merge_implIS3_PlPS5_mZN2at6native12_GLOBAL__N_124unique_dim_cuda_templateIN3c104HalfEEESt5tupleIJNSA_6TensorESH_SH_EERKSH_lbbbEUlllE_EE10hipError_tT0_T1_T2_jT3_P12ihipStream_tbPNSt15iterator_traitsISN_E10value_typeEPNST_ISO_E10value_typeEPSP_NS1_7vsmem_tEENKUlT_SN_SO_SP_E_clIS8_S8_S9_S9_EESM_S12_SN_SO_SP_EUlS12_E0_NS1_11comp_targetILNS1_3genE5ELNS1_11target_archE942ELNS1_3gpuE9ELNS1_3repE0EEENS1_38merge_mergepath_config_static_selectorELNS0_4arch9wavefront6targetE1EEEvSO_
; %bb.0:
	.section	.rodata,"a",@progbits
	.p2align	6, 0x0
	.amdhsa_kernel _ZN7rocprim17ROCPRIM_400000_NS6detail17trampoline_kernelINS0_14default_configENS1_38merge_sort_block_merge_config_selectorIlNS0_10empty_typeEEEZZNS1_27merge_sort_block_merge_implIS3_PlPS5_mZN2at6native12_GLOBAL__N_124unique_dim_cuda_templateIN3c104HalfEEESt5tupleIJNSA_6TensorESH_SH_EERKSH_lbbbEUlllE_EE10hipError_tT0_T1_T2_jT3_P12ihipStream_tbPNSt15iterator_traitsISN_E10value_typeEPNST_ISO_E10value_typeEPSP_NS1_7vsmem_tEENKUlT_SN_SO_SP_E_clIS8_S8_S9_S9_EESM_S12_SN_SO_SP_EUlS12_E0_NS1_11comp_targetILNS1_3genE5ELNS1_11target_archE942ELNS1_3gpuE9ELNS1_3repE0EEENS1_38merge_mergepath_config_static_selectorELNS0_4arch9wavefront6targetE1EEEvSO_
		.amdhsa_group_segment_fixed_size 0
		.amdhsa_private_segment_fixed_size 0
		.amdhsa_kernarg_size 88
		.amdhsa_user_sgpr_count 6
		.amdhsa_user_sgpr_private_segment_buffer 1
		.amdhsa_user_sgpr_dispatch_ptr 0
		.amdhsa_user_sgpr_queue_ptr 0
		.amdhsa_user_sgpr_kernarg_segment_ptr 1
		.amdhsa_user_sgpr_dispatch_id 0
		.amdhsa_user_sgpr_flat_scratch_init 0
		.amdhsa_user_sgpr_kernarg_preload_length 0
		.amdhsa_user_sgpr_kernarg_preload_offset 0
		.amdhsa_user_sgpr_private_segment_size 0
		.amdhsa_uses_dynamic_stack 0
		.amdhsa_system_sgpr_private_segment_wavefront_offset 0
		.amdhsa_system_sgpr_workgroup_id_x 1
		.amdhsa_system_sgpr_workgroup_id_y 0
		.amdhsa_system_sgpr_workgroup_id_z 0
		.amdhsa_system_sgpr_workgroup_info 0
		.amdhsa_system_vgpr_workitem_id 0
		.amdhsa_next_free_vgpr 1
		.amdhsa_next_free_sgpr 0
		.amdhsa_accum_offset 4
		.amdhsa_reserve_vcc 0
		.amdhsa_reserve_flat_scratch 0
		.amdhsa_float_round_mode_32 0
		.amdhsa_float_round_mode_16_64 0
		.amdhsa_float_denorm_mode_32 3
		.amdhsa_float_denorm_mode_16_64 3
		.amdhsa_dx10_clamp 1
		.amdhsa_ieee_mode 1
		.amdhsa_fp16_overflow 0
		.amdhsa_tg_split 0
		.amdhsa_exception_fp_ieee_invalid_op 0
		.amdhsa_exception_fp_denorm_src 0
		.amdhsa_exception_fp_ieee_div_zero 0
		.amdhsa_exception_fp_ieee_overflow 0
		.amdhsa_exception_fp_ieee_underflow 0
		.amdhsa_exception_fp_ieee_inexact 0
		.amdhsa_exception_int_div_zero 0
	.end_amdhsa_kernel
	.section	.text._ZN7rocprim17ROCPRIM_400000_NS6detail17trampoline_kernelINS0_14default_configENS1_38merge_sort_block_merge_config_selectorIlNS0_10empty_typeEEEZZNS1_27merge_sort_block_merge_implIS3_PlPS5_mZN2at6native12_GLOBAL__N_124unique_dim_cuda_templateIN3c104HalfEEESt5tupleIJNSA_6TensorESH_SH_EERKSH_lbbbEUlllE_EE10hipError_tT0_T1_T2_jT3_P12ihipStream_tbPNSt15iterator_traitsISN_E10value_typeEPNST_ISO_E10value_typeEPSP_NS1_7vsmem_tEENKUlT_SN_SO_SP_E_clIS8_S8_S9_S9_EESM_S12_SN_SO_SP_EUlS12_E0_NS1_11comp_targetILNS1_3genE5ELNS1_11target_archE942ELNS1_3gpuE9ELNS1_3repE0EEENS1_38merge_mergepath_config_static_selectorELNS0_4arch9wavefront6targetE1EEEvSO_,"axG",@progbits,_ZN7rocprim17ROCPRIM_400000_NS6detail17trampoline_kernelINS0_14default_configENS1_38merge_sort_block_merge_config_selectorIlNS0_10empty_typeEEEZZNS1_27merge_sort_block_merge_implIS3_PlPS5_mZN2at6native12_GLOBAL__N_124unique_dim_cuda_templateIN3c104HalfEEESt5tupleIJNSA_6TensorESH_SH_EERKSH_lbbbEUlllE_EE10hipError_tT0_T1_T2_jT3_P12ihipStream_tbPNSt15iterator_traitsISN_E10value_typeEPNST_ISO_E10value_typeEPSP_NS1_7vsmem_tEENKUlT_SN_SO_SP_E_clIS8_S8_S9_S9_EESM_S12_SN_SO_SP_EUlS12_E0_NS1_11comp_targetILNS1_3genE5ELNS1_11target_archE942ELNS1_3gpuE9ELNS1_3repE0EEENS1_38merge_mergepath_config_static_selectorELNS0_4arch9wavefront6targetE1EEEvSO_,comdat
.Lfunc_end1256:
	.size	_ZN7rocprim17ROCPRIM_400000_NS6detail17trampoline_kernelINS0_14default_configENS1_38merge_sort_block_merge_config_selectorIlNS0_10empty_typeEEEZZNS1_27merge_sort_block_merge_implIS3_PlPS5_mZN2at6native12_GLOBAL__N_124unique_dim_cuda_templateIN3c104HalfEEESt5tupleIJNSA_6TensorESH_SH_EERKSH_lbbbEUlllE_EE10hipError_tT0_T1_T2_jT3_P12ihipStream_tbPNSt15iterator_traitsISN_E10value_typeEPNST_ISO_E10value_typeEPSP_NS1_7vsmem_tEENKUlT_SN_SO_SP_E_clIS8_S8_S9_S9_EESM_S12_SN_SO_SP_EUlS12_E0_NS1_11comp_targetILNS1_3genE5ELNS1_11target_archE942ELNS1_3gpuE9ELNS1_3repE0EEENS1_38merge_mergepath_config_static_selectorELNS0_4arch9wavefront6targetE1EEEvSO_, .Lfunc_end1256-_ZN7rocprim17ROCPRIM_400000_NS6detail17trampoline_kernelINS0_14default_configENS1_38merge_sort_block_merge_config_selectorIlNS0_10empty_typeEEEZZNS1_27merge_sort_block_merge_implIS3_PlPS5_mZN2at6native12_GLOBAL__N_124unique_dim_cuda_templateIN3c104HalfEEESt5tupleIJNSA_6TensorESH_SH_EERKSH_lbbbEUlllE_EE10hipError_tT0_T1_T2_jT3_P12ihipStream_tbPNSt15iterator_traitsISN_E10value_typeEPNST_ISO_E10value_typeEPSP_NS1_7vsmem_tEENKUlT_SN_SO_SP_E_clIS8_S8_S9_S9_EESM_S12_SN_SO_SP_EUlS12_E0_NS1_11comp_targetILNS1_3genE5ELNS1_11target_archE942ELNS1_3gpuE9ELNS1_3repE0EEENS1_38merge_mergepath_config_static_selectorELNS0_4arch9wavefront6targetE1EEEvSO_
                                        ; -- End function
	.section	.AMDGPU.csdata,"",@progbits
; Kernel info:
; codeLenInByte = 0
; NumSgprs: 4
; NumVgprs: 0
; NumAgprs: 0
; TotalNumVgprs: 0
; ScratchSize: 0
; MemoryBound: 0
; FloatMode: 240
; IeeeMode: 1
; LDSByteSize: 0 bytes/workgroup (compile time only)
; SGPRBlocks: 0
; VGPRBlocks: 0
; NumSGPRsForWavesPerEU: 4
; NumVGPRsForWavesPerEU: 1
; AccumOffset: 4
; Occupancy: 8
; WaveLimiterHint : 0
; COMPUTE_PGM_RSRC2:SCRATCH_EN: 0
; COMPUTE_PGM_RSRC2:USER_SGPR: 6
; COMPUTE_PGM_RSRC2:TRAP_HANDLER: 0
; COMPUTE_PGM_RSRC2:TGID_X_EN: 1
; COMPUTE_PGM_RSRC2:TGID_Y_EN: 0
; COMPUTE_PGM_RSRC2:TGID_Z_EN: 0
; COMPUTE_PGM_RSRC2:TIDIG_COMP_CNT: 0
; COMPUTE_PGM_RSRC3_GFX90A:ACCUM_OFFSET: 0
; COMPUTE_PGM_RSRC3_GFX90A:TG_SPLIT: 0
	.section	.text._ZN7rocprim17ROCPRIM_400000_NS6detail17trampoline_kernelINS0_14default_configENS1_38merge_sort_block_merge_config_selectorIlNS0_10empty_typeEEEZZNS1_27merge_sort_block_merge_implIS3_PlPS5_mZN2at6native12_GLOBAL__N_124unique_dim_cuda_templateIN3c104HalfEEESt5tupleIJNSA_6TensorESH_SH_EERKSH_lbbbEUlllE_EE10hipError_tT0_T1_T2_jT3_P12ihipStream_tbPNSt15iterator_traitsISN_E10value_typeEPNST_ISO_E10value_typeEPSP_NS1_7vsmem_tEENKUlT_SN_SO_SP_E_clIS8_S8_S9_S9_EESM_S12_SN_SO_SP_EUlS12_E0_NS1_11comp_targetILNS1_3genE4ELNS1_11target_archE910ELNS1_3gpuE8ELNS1_3repE0EEENS1_38merge_mergepath_config_static_selectorELNS0_4arch9wavefront6targetE1EEEvSO_,"axG",@progbits,_ZN7rocprim17ROCPRIM_400000_NS6detail17trampoline_kernelINS0_14default_configENS1_38merge_sort_block_merge_config_selectorIlNS0_10empty_typeEEEZZNS1_27merge_sort_block_merge_implIS3_PlPS5_mZN2at6native12_GLOBAL__N_124unique_dim_cuda_templateIN3c104HalfEEESt5tupleIJNSA_6TensorESH_SH_EERKSH_lbbbEUlllE_EE10hipError_tT0_T1_T2_jT3_P12ihipStream_tbPNSt15iterator_traitsISN_E10value_typeEPNST_ISO_E10value_typeEPSP_NS1_7vsmem_tEENKUlT_SN_SO_SP_E_clIS8_S8_S9_S9_EESM_S12_SN_SO_SP_EUlS12_E0_NS1_11comp_targetILNS1_3genE4ELNS1_11target_archE910ELNS1_3gpuE8ELNS1_3repE0EEENS1_38merge_mergepath_config_static_selectorELNS0_4arch9wavefront6targetE1EEEvSO_,comdat
	.globl	_ZN7rocprim17ROCPRIM_400000_NS6detail17trampoline_kernelINS0_14default_configENS1_38merge_sort_block_merge_config_selectorIlNS0_10empty_typeEEEZZNS1_27merge_sort_block_merge_implIS3_PlPS5_mZN2at6native12_GLOBAL__N_124unique_dim_cuda_templateIN3c104HalfEEESt5tupleIJNSA_6TensorESH_SH_EERKSH_lbbbEUlllE_EE10hipError_tT0_T1_T2_jT3_P12ihipStream_tbPNSt15iterator_traitsISN_E10value_typeEPNST_ISO_E10value_typeEPSP_NS1_7vsmem_tEENKUlT_SN_SO_SP_E_clIS8_S8_S9_S9_EESM_S12_SN_SO_SP_EUlS12_E0_NS1_11comp_targetILNS1_3genE4ELNS1_11target_archE910ELNS1_3gpuE8ELNS1_3repE0EEENS1_38merge_mergepath_config_static_selectorELNS0_4arch9wavefront6targetE1EEEvSO_ ; -- Begin function _ZN7rocprim17ROCPRIM_400000_NS6detail17trampoline_kernelINS0_14default_configENS1_38merge_sort_block_merge_config_selectorIlNS0_10empty_typeEEEZZNS1_27merge_sort_block_merge_implIS3_PlPS5_mZN2at6native12_GLOBAL__N_124unique_dim_cuda_templateIN3c104HalfEEESt5tupleIJNSA_6TensorESH_SH_EERKSH_lbbbEUlllE_EE10hipError_tT0_T1_T2_jT3_P12ihipStream_tbPNSt15iterator_traitsISN_E10value_typeEPNST_ISO_E10value_typeEPSP_NS1_7vsmem_tEENKUlT_SN_SO_SP_E_clIS8_S8_S9_S9_EESM_S12_SN_SO_SP_EUlS12_E0_NS1_11comp_targetILNS1_3genE4ELNS1_11target_archE910ELNS1_3gpuE8ELNS1_3repE0EEENS1_38merge_mergepath_config_static_selectorELNS0_4arch9wavefront6targetE1EEEvSO_
	.p2align	8
	.type	_ZN7rocprim17ROCPRIM_400000_NS6detail17trampoline_kernelINS0_14default_configENS1_38merge_sort_block_merge_config_selectorIlNS0_10empty_typeEEEZZNS1_27merge_sort_block_merge_implIS3_PlPS5_mZN2at6native12_GLOBAL__N_124unique_dim_cuda_templateIN3c104HalfEEESt5tupleIJNSA_6TensorESH_SH_EERKSH_lbbbEUlllE_EE10hipError_tT0_T1_T2_jT3_P12ihipStream_tbPNSt15iterator_traitsISN_E10value_typeEPNST_ISO_E10value_typeEPSP_NS1_7vsmem_tEENKUlT_SN_SO_SP_E_clIS8_S8_S9_S9_EESM_S12_SN_SO_SP_EUlS12_E0_NS1_11comp_targetILNS1_3genE4ELNS1_11target_archE910ELNS1_3gpuE8ELNS1_3repE0EEENS1_38merge_mergepath_config_static_selectorELNS0_4arch9wavefront6targetE1EEEvSO_,@function
_ZN7rocprim17ROCPRIM_400000_NS6detail17trampoline_kernelINS0_14default_configENS1_38merge_sort_block_merge_config_selectorIlNS0_10empty_typeEEEZZNS1_27merge_sort_block_merge_implIS3_PlPS5_mZN2at6native12_GLOBAL__N_124unique_dim_cuda_templateIN3c104HalfEEESt5tupleIJNSA_6TensorESH_SH_EERKSH_lbbbEUlllE_EE10hipError_tT0_T1_T2_jT3_P12ihipStream_tbPNSt15iterator_traitsISN_E10value_typeEPNST_ISO_E10value_typeEPSP_NS1_7vsmem_tEENKUlT_SN_SO_SP_E_clIS8_S8_S9_S9_EESM_S12_SN_SO_SP_EUlS12_E0_NS1_11comp_targetILNS1_3genE4ELNS1_11target_archE910ELNS1_3gpuE8ELNS1_3repE0EEENS1_38merge_mergepath_config_static_selectorELNS0_4arch9wavefront6targetE1EEEvSO_: ; @_ZN7rocprim17ROCPRIM_400000_NS6detail17trampoline_kernelINS0_14default_configENS1_38merge_sort_block_merge_config_selectorIlNS0_10empty_typeEEEZZNS1_27merge_sort_block_merge_implIS3_PlPS5_mZN2at6native12_GLOBAL__N_124unique_dim_cuda_templateIN3c104HalfEEESt5tupleIJNSA_6TensorESH_SH_EERKSH_lbbbEUlllE_EE10hipError_tT0_T1_T2_jT3_P12ihipStream_tbPNSt15iterator_traitsISN_E10value_typeEPNST_ISO_E10value_typeEPSP_NS1_7vsmem_tEENKUlT_SN_SO_SP_E_clIS8_S8_S9_S9_EESM_S12_SN_SO_SP_EUlS12_E0_NS1_11comp_targetILNS1_3genE4ELNS1_11target_archE910ELNS1_3gpuE8ELNS1_3repE0EEENS1_38merge_mergepath_config_static_selectorELNS0_4arch9wavefront6targetE1EEEvSO_
; %bb.0:
	s_load_dwordx2 s[22:23], s[4:5], 0x58
	s_load_dword s0, s[4:5], 0x38
	s_add_u32 s18, s4, 0x58
	s_addc_u32 s19, s5, 0
	s_waitcnt lgkmcnt(0)
	s_mul_i32 s1, s23, s8
	s_add_i32 s1, s1, s7
	s_mul_i32 s1, s1, s22
	s_add_i32 s20, s1, s6
	s_cmp_ge_u32 s20, s0
	s_cbranch_scc1 .LBB1257_81
; %bb.1:
	s_load_dwordx2 s[0:1], s[4:5], 0x50
	s_load_dwordx4 s[12:15], s[4:5], 0x8
	s_load_dwordx4 s[8:11], s[4:5], 0x28
	s_mov_b32 s21, 0
	s_lshl_b64 s[2:3], s[20:21], 3
	s_waitcnt lgkmcnt(0)
	s_add_u32 s0, s0, s2
	s_addc_u32 s1, s1, s3
	v_mov_b32_e32 v1, s10
	v_alignbit_b32 v1, s11, v1, 9
	v_readfirstlane_b32 s7, v1
	s_and_b32 s7, s7, -2
	s_sub_i32 s33, 0, s7
	s_and_b32 s26, s20, s33
	s_mov_b32 s27, s21
	s_lshl_b64 s[24:25], s[26:27], 10
	s_lshl_b64 s[16:17], s[20:21], 10
	s_sub_u32 s7, s16, s24
	s_load_dwordx4 s[0:3], s[0:1], 0x0
	s_subb_u32 s23, s17, s25
	s_lshl_b64 s[26:27], s[26:27], 11
	s_add_u32 s26, s26, s10
	s_addc_u32 s27, s27, s11
	s_add_u32 s7, s26, s7
	s_addc_u32 s23, s27, s23
	s_waitcnt lgkmcnt(0)
	s_sub_u32 s28, s7, s2
	s_subb_u32 s3, s23, s3
	s_add_u32 s28, s28, 0x400
	s_addc_u32 s29, s3, 0
	v_pk_mov_b32 v[2:3], s[28:29], s[28:29] op_sel:[0,1]
	v_cmp_lt_u64_e32 vcc, s[8:9], v[2:3]
	s_and_b64 s[30:31], vcc, exec
	s_cselect_b32 s3, s8, s28
	s_or_b32 s28, s20, s33
	s_cmp_lg_u32 s28, -1
	s_cbranch_scc1 .LBB1257_3
; %bb.2:
	s_sub_u32 s24, s26, s24
	s_subb_u32 s25, s27, s25
	v_pk_mov_b32 v[2:3], s[24:25], s[24:25] op_sel:[0,1]
	v_cmp_lt_u64_e32 vcc, s[8:9], v[2:3]
	s_and_b64 s[2:3], vcc, exec
	s_cselect_b32 s2, s8, s24
	s_add_u32 s10, s24, s10
	s_addc_u32 s11, s25, s11
	v_pk_mov_b32 v[2:3], s[10:11], s[10:11] op_sel:[0,1]
	v_cmp_lt_u64_e32 vcc, s[8:9], v[2:3]
	s_and_b64 s[24:25], vcc, exec
	s_cselect_b32 s3, s8, s10
.LBB1257_3:
	s_lshr_b64 s[26:27], s[8:9], 10
	s_cmp_lg_u64 s[26:27], s[20:21]
	s_cselect_b64 s[10:11], -1, 0
	s_sub_u32 s24, s7, s0
	s_subb_u32 s25, s23, s1
	v_pk_mov_b32 v[2:3], s[24:25], s[24:25] op_sel:[0,1]
	v_cmp_lt_u64_e32 vcc, s[8:9], v[2:3]
	s_and_b64 s[28:29], vcc, exec
	s_cselect_b32 s28, s8, s24
	s_cselect_b32 s29, s9, s25
	s_sub_i32 s9, s2, s0
	s_sub_i32 s23, s3, s28
	s_lshl_b64 s[0:1], s[0:1], 3
	s_add_u32 s24, s12, s0
	s_addc_u32 s25, s13, s1
	s_lshl_b64 s[0:1], s[28:29], 3
	s_add_u32 s7, s12, s0
	s_addc_u32 s12, s13, s1
	s_cmp_lt_u32 s6, s22
	v_mov_b32_e32 v9, 0
	s_cselect_b32 s0, 12, 18
	global_load_dword v1, v9, s[18:19] offset:14
	s_add_u32 s0, s18, s0
	s_addc_u32 s1, s19, 0
	global_load_ushort v2, v9, s[0:1]
	s_cmp_eq_u64 s[26:27], s[20:21]
	s_waitcnt vmcnt(1)
	v_lshrrev_b32_e32 v3, 16, v1
	v_and_b32_e32 v1, 0xffff, v1
	v_mul_lo_u32 v1, v1, v3
	s_waitcnt vmcnt(0)
	v_mul_lo_u32 v12, v1, v2
	v_lshlrev_b32_e32 v1, 3, v0
	s_cbranch_scc1 .LBB1257_5
; %bb.4:
	v_mov_b32_e32 v2, s25
	v_add_co_u32_e32 v4, vcc, s24, v1
	v_subrev_u32_e32 v8, s9, v0
	v_addc_co_u32_e32 v5, vcc, 0, v2, vcc
	v_lshlrev_b64 v[2:3], 3, v[8:9]
	v_mov_b32_e32 v6, s12
	v_add_co_u32_e32 v2, vcc, s7, v2
	v_addc_co_u32_e32 v3, vcc, v6, v3, vcc
	v_cmp_gt_u32_e32 vcc, s9, v0
	v_add_u32_e32 v8, v12, v0
	v_cndmask_b32_e32 v3, v3, v5, vcc
	v_cndmask_b32_e32 v2, v2, v4, vcc
	v_lshlrev_b64 v[4:5], 3, v[8:9]
	v_mov_b32_e32 v6, s25
	v_add_co_u32_e32 v7, vcc, s24, v4
	v_addc_co_u32_e32 v6, vcc, v6, v5, vcc
	v_subrev_u32_e32 v4, s9, v8
	v_mov_b32_e32 v5, v9
	v_lshlrev_b64 v[4:5], 3, v[4:5]
	v_mov_b32_e32 v10, s12
	v_add_co_u32_e32 v4, vcc, s7, v4
	v_addc_co_u32_e32 v5, vcc, v10, v5, vcc
	v_cmp_gt_u32_e32 vcc, s9, v8
	v_add_u32_e32 v8, v8, v12
	v_cndmask_b32_e32 v5, v5, v6, vcc
	v_cndmask_b32_e32 v4, v4, v7, vcc
	v_lshlrev_b64 v[6:7], 3, v[8:9]
	v_mov_b32_e32 v10, s25
	v_add_co_u32_e32 v11, vcc, s24, v6
	v_addc_co_u32_e32 v10, vcc, v10, v7, vcc
	v_subrev_u32_e32 v6, s9, v8
	v_mov_b32_e32 v7, v9
	v_lshlrev_b64 v[6:7], 3, v[6:7]
	v_mov_b32_e32 v13, s12
	v_add_co_u32_e32 v6, vcc, s7, v6
	v_addc_co_u32_e32 v7, vcc, v13, v7, vcc
	v_cmp_gt_u32_e32 vcc, s9, v8
	v_add_u32_e32 v8, v8, v12
	v_cndmask_b32_e32 v7, v7, v10, vcc
	v_cndmask_b32_e32 v6, v6, v11, vcc
	v_lshlrev_b64 v[10:11], 3, v[8:9]
	v_mov_b32_e32 v13, s25
	v_add_co_u32_e32 v10, vcc, s24, v10
	v_addc_co_u32_e32 v11, vcc, v13, v11, vcc
	v_cmp_gt_u32_e32 vcc, s9, v8
	v_subrev_u32_e32 v8, s9, v8
	v_lshlrev_b64 v[8:9], 3, v[8:9]
	v_mov_b32_e32 v13, s12
	v_add_co_u32_e64 v8, s[0:1], s7, v8
	v_addc_co_u32_e64 v9, s[0:1], v13, v9, s[0:1]
	v_cndmask_b32_e32 v9, v9, v11, vcc
	v_cndmask_b32_e32 v8, v8, v10, vcc
	global_load_dwordx2 v[2:3], v[2:3], off
	s_add_i32 s33, s9, s23
	global_load_dwordx2 v[4:5], v[4:5], off
	s_nop 0
	global_load_dwordx2 v[6:7], v[6:7], off
	s_nop 0
	global_load_dwordx2 v[8:9], v[8:9], off
	s_cbranch_execz .LBB1257_6
	s_branch .LBB1257_15
.LBB1257_5:
                                        ; implicit-def: $vgpr2_vgpr3_vgpr4_vgpr5_vgpr6_vgpr7_vgpr8_vgpr9
                                        ; implicit-def: $sgpr33
.LBB1257_6:
	s_add_i32 s33, s9, s23
	v_cmp_gt_u32_e32 vcc, s33, v0
                                        ; implicit-def: $vgpr2_vgpr3_vgpr4_vgpr5_vgpr6_vgpr7_vgpr8_vgpr9
	s_and_saveexec_b64 s[0:1], vcc
	s_cbranch_execz .LBB1257_8
; %bb.7:
	s_waitcnt vmcnt(3)
	v_mov_b32_e32 v2, s25
	s_waitcnt vmcnt(2)
	v_add_co_u32_e32 v4, vcc, s24, v1
	v_mov_b32_e32 v3, 0
	v_addc_co_u32_e32 v5, vcc, 0, v2, vcc
	v_subrev_u32_e32 v2, s9, v0
	v_lshlrev_b64 v[2:3], 3, v[2:3]
	s_waitcnt vmcnt(1)
	v_mov_b32_e32 v6, s12
	v_add_co_u32_e32 v2, vcc, s7, v2
	v_addc_co_u32_e32 v3, vcc, v6, v3, vcc
	v_cmp_gt_u32_e32 vcc, s9, v0
	v_cndmask_b32_e32 v3, v3, v5, vcc
	v_cndmask_b32_e32 v2, v2, v4, vcc
	global_load_dwordx2 v[2:3], v[2:3], off
.LBB1257_8:
	s_or_b64 exec, exec, s[0:1]
	v_add_u32_e32 v10, v12, v0
	v_cmp_gt_u32_e32 vcc, s33, v10
	s_and_saveexec_b64 s[0:1], vcc
	s_cbranch_execz .LBB1257_10
; %bb.9:
	v_mov_b32_e32 v11, 0
	s_waitcnt vmcnt(2)
	v_lshlrev_b64 v[4:5], 3, v[10:11]
	v_mov_b32_e32 v13, s25
	v_add_co_u32_e32 v14, vcc, s24, v4
	v_addc_co_u32_e32 v13, vcc, v13, v5, vcc
	v_subrev_u32_e32 v4, s9, v10
	v_mov_b32_e32 v5, v11
	v_lshlrev_b64 v[4:5], 3, v[4:5]
	v_mov_b32_e32 v11, s12
	v_add_co_u32_e32 v4, vcc, s7, v4
	v_addc_co_u32_e32 v5, vcc, v11, v5, vcc
	v_cmp_gt_u32_e32 vcc, s9, v10
	v_cndmask_b32_e32 v5, v5, v13, vcc
	v_cndmask_b32_e32 v4, v4, v14, vcc
	global_load_dwordx2 v[4:5], v[4:5], off
.LBB1257_10:
	s_or_b64 exec, exec, s[0:1]
	v_add_u32_e32 v10, v10, v12
	v_cmp_gt_u32_e32 vcc, s33, v10
	s_and_saveexec_b64 s[0:1], vcc
	s_cbranch_execz .LBB1257_12
; %bb.11:
	v_mov_b32_e32 v11, 0
	s_waitcnt vmcnt(1)
	v_lshlrev_b64 v[6:7], 3, v[10:11]
	v_mov_b32_e32 v13, s25
	v_add_co_u32_e32 v14, vcc, s24, v6
	v_addc_co_u32_e32 v13, vcc, v13, v7, vcc
	v_subrev_u32_e32 v6, s9, v10
	v_mov_b32_e32 v7, v11
	v_lshlrev_b64 v[6:7], 3, v[6:7]
	v_mov_b32_e32 v11, s12
	v_add_co_u32_e32 v6, vcc, s7, v6
	v_addc_co_u32_e32 v7, vcc, v11, v7, vcc
	v_cmp_gt_u32_e32 vcc, s9, v10
	v_cndmask_b32_e32 v7, v7, v13, vcc
	v_cndmask_b32_e32 v6, v6, v14, vcc
	global_load_dwordx2 v[6:7], v[6:7], off
.LBB1257_12:
	s_or_b64 exec, exec, s[0:1]
	v_add_u32_e32 v10, v10, v12
	v_cmp_gt_u32_e32 vcc, s33, v10
	s_and_saveexec_b64 s[2:3], vcc
	s_cbranch_execz .LBB1257_14
; %bb.13:
	v_mov_b32_e32 v11, 0
	s_waitcnt vmcnt(0)
	v_lshlrev_b64 v[8:9], 3, v[10:11]
	v_mov_b32_e32 v12, s25
	v_add_co_u32_e32 v13, vcc, s24, v8
	v_addc_co_u32_e32 v12, vcc, v12, v9, vcc
	v_cmp_gt_u32_e32 vcc, s9, v10
	v_subrev_u32_e32 v10, s9, v10
	v_lshlrev_b64 v[8:9], 3, v[10:11]
	v_mov_b32_e32 v10, s12
	v_add_co_u32_e64 v8, s[0:1], s7, v8
	v_addc_co_u32_e64 v9, s[0:1], v10, v9, s[0:1]
	v_cndmask_b32_e32 v9, v9, v12, vcc
	v_cndmask_b32_e32 v8, v8, v13, vcc
	global_load_dwordx2 v[8:9], v[8:9], off
.LBB1257_14:
	s_or_b64 exec, exec, s[2:3]
.LBB1257_15:
	s_load_dwordx4 s[4:7], s[4:5], 0x40
	v_lshlrev_b32_e32 v14, 2, v0
	v_min_u32_e32 v16, s33, v14
	v_sub_u32_e64 v15, v16, s23 clamp
	v_min_u32_e32 v17, s9, v16
	v_cmp_lt_u32_e32 vcc, v15, v17
	s_waitcnt vmcnt(0)
	ds_write2st64_b64 v1, v[2:3], v[4:5] offset1:4
	ds_write2st64_b64 v1, v[6:7], v[8:9] offset0:8 offset1:12
	s_waitcnt lgkmcnt(0)
	s_barrier
	s_and_saveexec_b64 s[2:3], vcc
	s_cbranch_execz .LBB1257_27
; %bb.16:
	v_lshlrev_b32_e32 v10, 3, v16
	v_cmp_gt_i64_e64 s[0:1], s[4:5], 0
	v_lshl_add_u32 v18, s9, 3, v10
	v_cndmask_b32_e64 v10, 0, 1, s[0:1]
	s_mov_b64 s[12:13], 0
	s_lshl_b64 s[18:19], s[4:5], 1
	v_cmp_ne_u32_e64 s[0:1], 1, v10
	s_branch .LBB1257_19
.LBB1257_17:                            ;   in Loop: Header=BB1257_19 Depth=1
	s_or_b64 exec, exec, s[22:23]
.LBB1257_18:                            ;   in Loop: Header=BB1257_19 Depth=1
	v_add_u32_e32 v10, 1, v19
	v_cndmask_b32_e64 v17, v17, v19, s[20:21]
	v_cndmask_b32_e64 v15, v10, v15, s[20:21]
	v_cmp_ge_u32_e32 vcc, v15, v17
	s_or_b64 s[12:13], vcc, s[12:13]
	s_andn2_b64 exec, exec, s[12:13]
	s_cbranch_execz .LBB1257_26
.LBB1257_19:                            ; =>This Loop Header: Depth=1
                                        ;     Child Loop BB1257_22 Depth 2
	v_add_u32_e32 v10, v17, v15
	v_lshrrev_b32_e32 v19, 1, v10
	s_and_b64 vcc, exec, s[0:1]
	s_mov_b64 s[20:21], 0
	s_cbranch_vccnz .LBB1257_18
; %bb.20:                               ;   in Loop: Header=BB1257_19 Depth=1
	v_not_b32_e32 v10, v19
	v_lshl_add_u32 v10, v10, 3, v18
	ds_read_b64 v[10:11], v10
	v_lshlrev_b32_e32 v20, 3, v19
	ds_read_b64 v[20:21], v20
	v_pk_mov_b32 v[12:13], s[6:7], s[6:7] op_sel:[0,1]
	s_mov_b64 s[22:23], 0
	s_waitcnt lgkmcnt(1)
	v_mul_lo_u32 v22, s18, v11
	v_mul_lo_u32 v23, s19, v10
	v_mad_u64_u32 v[10:11], s[20:21], s18, v10, v[12:13]
	v_add3_u32 v11, v23, v11, v22
	s_waitcnt lgkmcnt(0)
	v_mul_lo_u32 v21, s18, v21
	v_mul_lo_u32 v22, s19, v20
	v_mad_u64_u32 v[12:13], s[20:21], s18, v20, v[12:13]
	v_add3_u32 v13, v22, v13, v21
	s_mov_b64 s[26:27], s[4:5]
                                        ; implicit-def: $sgpr20_sgpr21
                                        ; implicit-def: $sgpr24_sgpr25
                                        ; implicit-def: $sgpr28_sgpr29
	s_branch .LBB1257_22
.LBB1257_21:                            ;   in Loop: Header=BB1257_22 Depth=2
	s_or_b64 exec, exec, s[36:37]
	s_and_b64 s[30:31], exec, s[30:31]
	s_or_b64 s[22:23], s[30:31], s[22:23]
	s_andn2_b64 s[20:21], s[20:21], exec
	s_and_b64 s[30:31], s[24:25], exec
	s_or_b64 s[20:21], s[20:21], s[30:31]
	s_andn2_b64 exec, exec, s[22:23]
	s_cbranch_execz .LBB1257_17
.LBB1257_22:                            ;   Parent Loop BB1257_19 Depth=1
                                        ; =>  This Inner Loop Header: Depth=2
	global_load_ushort v20, v[10:11], off
	global_load_ushort v21, v[12:13], off
	s_mov_b64 s[30:31], -1
	s_mov_b64 s[38:39], 0
	s_mov_b64 s[34:35], -1
	s_waitcnt vmcnt(0)
	v_cmp_nlt_f16_e32 vcc, v20, v21
	s_and_saveexec_b64 s[36:37], vcc
; %bb.23:                               ;   in Loop: Header=BB1257_22 Depth=2
	v_cmp_ngt_f16_e32 vcc, v20, v21
	s_and_b64 s[28:29], vcc, s[28:29]
	s_orn2_b64 s[34:35], s[28:29], exec
	s_and_b64 s[38:39], vcc, exec
; %bb.24:                               ;   in Loop: Header=BB1257_22 Depth=2
	s_or_b64 exec, exec, s[36:37]
	s_andn2_b64 s[24:25], s[24:25], exec
	s_and_b64 s[28:29], s[34:35], exec
	s_or_b64 s[24:25], s[24:25], s[28:29]
                                        ; implicit-def: $sgpr28_sgpr29
	s_and_saveexec_b64 s[36:37], s[38:39]
	s_cbranch_execz .LBB1257_21
; %bb.25:                               ;   in Loop: Header=BB1257_22 Depth=2
	s_add_u32 s26, s26, -1
	v_add_co_u32_e32 v10, vcc, 2, v10
	s_addc_u32 s27, s27, -1
	v_addc_co_u32_e32 v11, vcc, 0, v11, vcc
	s_cmp_eq_u64 s[26:27], 0
	v_add_co_u32_e32 v12, vcc, 2, v12
	s_cselect_b64 s[30:31], -1, 0
	v_addc_co_u32_e32 v13, vcc, 0, v13, vcc
	s_andn2_b64 s[24:25], s[24:25], exec
	s_and_b64 s[28:29], s[34:35], exec
	s_orn2_b64 s[30:31], s[30:31], exec
	s_branch .LBB1257_21
.LBB1257_26:
	s_or_b64 exec, exec, s[12:13]
.LBB1257_27:
	s_or_b64 exec, exec, s[2:3]
	v_sub_u32_e32 v10, v16, v15
	v_add_u32_e32 v16, s9, v10
	v_cmp_ge_u32_e32 vcc, s9, v15
	v_cmp_ge_u32_e64 s[0:1], s33, v16
	s_or_b64 s[0:1], vcc, s[0:1]
	s_and_saveexec_b64 s[12:13], s[0:1]
	s_cbranch_execz .LBB1257_71
; %bb.28:
	v_cmp_le_u32_e32 vcc, s9, v15
	v_cmp_gt_u32_e64 s[0:1], s9, v15
                                        ; implicit-def: $vgpr2_vgpr3
	s_and_saveexec_b64 s[2:3], s[0:1]
	s_cbranch_execz .LBB1257_30
; %bb.29:
	v_lshlrev_b32_e32 v2, 3, v15
	ds_read_b64 v[2:3], v2
.LBB1257_30:
	s_or_b64 exec, exec, s[2:3]
	v_cmp_le_u32_e64 s[0:1], s33, v16
	v_cmp_gt_u32_e64 s[2:3], s33, v16
                                        ; implicit-def: $vgpr8_vgpr9
	s_and_saveexec_b64 s[18:19], s[2:3]
	s_cbranch_execz .LBB1257_32
; %bb.31:
	v_lshlrev_b32_e32 v4, 3, v16
	ds_read_b64 v[8:9], v4
.LBB1257_32:
	s_or_b64 exec, exec, s[18:19]
	v_cmp_lt_i64_e64 s[2:3], s[4:5], 1
	s_or_b64 s[18:19], vcc, s[0:1]
	s_or_b64 s[18:19], s[18:19], s[2:3]
	s_xor_b64 s[20:21], s[18:19], -1
	s_xor_b64 s[18:19], vcc, -1
	s_or_b64 s[0:1], s[0:1], s[18:19]
	s_and_saveexec_b64 s[18:19], s[20:21]
	s_cbranch_execz .LBB1257_40
; %bb.33:
	s_waitcnt lgkmcnt(0)
	v_mul_lo_u32 v6, v9, s4
	v_mul_lo_u32 v7, v8, s5
	v_mad_u64_u32 v[4:5], s[20:21], v8, s4, 0
	v_add3_u32 v5, v5, v7, v6
	v_lshlrev_b64 v[4:5], 1, v[4:5]
	v_mov_b32_e32 v6, s7
	v_add_co_u32_e32 v4, vcc, s6, v4
	v_addc_co_u32_e32 v5, vcc, v6, v5, vcc
	v_mul_lo_u32 v10, v3, s4
	v_mul_lo_u32 v11, v2, s5
	v_mad_u64_u32 v[6:7], s[20:21], v2, s4, 0
	v_add3_u32 v7, v7, v11, v10
	v_lshlrev_b64 v[6:7], 1, v[6:7]
	v_mov_b32_e32 v10, s7
	v_add_co_u32_e32 v6, vcc, s6, v6
	v_addc_co_u32_e32 v7, vcc, v10, v7, vcc
	s_mov_b64 s[20:21], 0
	s_mov_b64 s[26:27], s[4:5]
                                        ; implicit-def: $sgpr22_sgpr23
                                        ; implicit-def: $sgpr24_sgpr25
                                        ; implicit-def: $sgpr28_sgpr29
	s_branch .LBB1257_35
.LBB1257_34:                            ;   in Loop: Header=BB1257_35 Depth=1
	s_or_b64 exec, exec, s[34:35]
	s_and_b64 s[30:31], exec, s[36:37]
	s_or_b64 s[20:21], s[30:31], s[20:21]
	s_andn2_b64 s[22:23], s[22:23], exec
	s_and_b64 s[30:31], s[24:25], exec
	s_or_b64 s[22:23], s[22:23], s[30:31]
	s_andn2_b64 exec, exec, s[20:21]
	s_cbranch_execz .LBB1257_39
.LBB1257_35:                            ; =>This Inner Loop Header: Depth=1
	global_load_ushort v10, v[4:5], off
	global_load_ushort v11, v[6:7], off
	s_mov_b64 s[38:39], 0
	s_mov_b64 s[30:31], -1
	s_waitcnt vmcnt(0)
	v_cmp_nlt_f16_e32 vcc, v10, v11
	s_and_saveexec_b64 s[34:35], vcc
; %bb.36:                               ;   in Loop: Header=BB1257_35 Depth=1
	v_cmp_ngt_f16_e32 vcc, v10, v11
	s_and_b64 s[28:29], vcc, s[28:29]
	s_orn2_b64 s[30:31], s[28:29], exec
	s_and_b64 s[38:39], vcc, exec
; %bb.37:                               ;   in Loop: Header=BB1257_35 Depth=1
	s_or_b64 exec, exec, s[34:35]
	s_andn2_b64 s[24:25], s[24:25], exec
	s_and_b64 s[28:29], s[30:31], exec
	s_mov_b64 s[36:37], -1
	s_or_b64 s[24:25], s[24:25], s[28:29]
                                        ; implicit-def: $sgpr28_sgpr29
	s_and_saveexec_b64 s[34:35], s[38:39]
	s_cbranch_execz .LBB1257_34
; %bb.38:                               ;   in Loop: Header=BB1257_35 Depth=1
	s_add_u32 s26, s26, -1
	v_add_co_u32_e32 v4, vcc, 2, v4
	s_addc_u32 s27, s27, -1
	v_addc_co_u32_e32 v5, vcc, 0, v5, vcc
	s_cmp_eq_u64 s[26:27], 0
	v_add_co_u32_e32 v6, vcc, 2, v6
	s_cselect_b64 s[36:37], -1, 0
	v_addc_co_u32_e32 v7, vcc, 0, v7, vcc
	s_and_b64 s[28:29], s[30:31], exec
	s_andn2_b64 s[24:25], s[24:25], exec
	s_orn2_b64 s[36:37], s[36:37], exec
	s_branch .LBB1257_34
.LBB1257_39:
	s_or_b64 exec, exec, s[20:21]
	s_xor_b64 s[20:21], s[22:23], -1
	s_andn2_b64 s[0:1], s[0:1], exec
	s_and_b64 s[20:21], s[20:21], exec
	s_or_b64 s[0:1], s[0:1], s[20:21]
.LBB1257_40:
	s_or_b64 exec, exec, s[18:19]
	v_mov_b32_e32 v5, s33
	v_mov_b32_e32 v6, s9
	v_cndmask_b32_e64 v4, v16, v15, s[0:1]
	v_cndmask_b32_e64 v5, v5, v6, s[0:1]
	v_add_u32_e32 v6, 1, v4
	v_add_u32_e32 v4, -1, v5
	v_min_u32_e32 v4, v6, v4
	v_lshlrev_b32_e32 v4, 3, v4
	ds_read_b64 v[4:5], v4
	v_cndmask_b32_e64 v19, v6, v16, s[0:1]
	v_cndmask_b32_e64 v20, v15, v6, s[0:1]
	v_cmp_gt_u32_e32 vcc, s33, v19
	s_mov_b64 s[20:21], -1
	s_waitcnt lgkmcnt(0)
	v_cndmask_b32_e64 v10, v5, v9, s[0:1]
	v_cndmask_b32_e64 v11, v4, v8, s[0:1]
	;; [unrolled: 1-line block ×4, first 2 shown]
	s_mov_b64 s[18:19], -1
	s_and_saveexec_b64 s[22:23], vcc
	s_cbranch_execz .LBB1257_50
; %bb.41:
	v_cmp_gt_u32_e64 s[18:19], s9, v20
	s_xor_b64 s[24:25], s[2:3], -1
	s_and_b64 s[26:27], s[18:19], s[24:25]
	s_and_saveexec_b64 s[24:25], s[26:27]
	s_cbranch_execz .LBB1257_49
; %bb.42:
	v_mul_lo_u32 v6, v10, s4
	v_mul_lo_u32 v7, v11, s5
	v_mad_u64_u32 v[4:5], s[26:27], v11, s4, 0
	v_add3_u32 v5, v5, v7, v6
	v_lshlrev_b64 v[4:5], 1, v[4:5]
	v_mov_b32_e32 v6, s7
	v_add_co_u32_e32 v4, vcc, s6, v4
	v_addc_co_u32_e32 v5, vcc, v6, v5, vcc
	v_mul_lo_u32 v15, v12, s4
	v_mul_lo_u32 v16, v13, s5
	v_mad_u64_u32 v[6:7], s[26:27], v13, s4, 0
	v_add3_u32 v7, v7, v16, v15
	v_lshlrev_b64 v[6:7], 1, v[6:7]
	v_mov_b32_e32 v15, s7
	v_add_co_u32_e32 v6, vcc, s6, v6
	v_addc_co_u32_e32 v7, vcc, v15, v7, vcc
	s_mov_b64 s[26:27], 0
	s_mov_b64 s[34:35], s[4:5]
                                        ; implicit-def: $sgpr28_sgpr29
                                        ; implicit-def: $sgpr30_sgpr31
                                        ; implicit-def: $sgpr36_sgpr37
	s_branch .LBB1257_44
.LBB1257_43:                            ;   in Loop: Header=BB1257_44 Depth=1
	s_or_b64 exec, exec, s[40:41]
	s_and_b64 s[38:39], exec, s[42:43]
	s_or_b64 s[26:27], s[38:39], s[26:27]
	s_andn2_b64 s[28:29], s[28:29], exec
	s_and_b64 s[38:39], s[30:31], exec
	s_or_b64 s[28:29], s[28:29], s[38:39]
	s_andn2_b64 exec, exec, s[26:27]
	s_cbranch_execz .LBB1257_48
.LBB1257_44:                            ; =>This Inner Loop Header: Depth=1
	global_load_ushort v15, v[4:5], off
	global_load_ushort v16, v[6:7], off
	s_mov_b64 s[44:45], 0
	s_mov_b64 s[38:39], -1
	s_waitcnt vmcnt(0)
	v_cmp_nlt_f16_e32 vcc, v15, v16
	s_and_saveexec_b64 s[40:41], vcc
; %bb.45:                               ;   in Loop: Header=BB1257_44 Depth=1
	v_cmp_ngt_f16_e32 vcc, v15, v16
	s_and_b64 s[36:37], vcc, s[36:37]
	s_orn2_b64 s[38:39], s[36:37], exec
	s_and_b64 s[44:45], vcc, exec
; %bb.46:                               ;   in Loop: Header=BB1257_44 Depth=1
	s_or_b64 exec, exec, s[40:41]
	s_andn2_b64 s[30:31], s[30:31], exec
	s_and_b64 s[36:37], s[38:39], exec
	s_mov_b64 s[42:43], -1
	s_or_b64 s[30:31], s[30:31], s[36:37]
                                        ; implicit-def: $sgpr36_sgpr37
	s_and_saveexec_b64 s[40:41], s[44:45]
	s_cbranch_execz .LBB1257_43
; %bb.47:                               ;   in Loop: Header=BB1257_44 Depth=1
	s_add_u32 s34, s34, -1
	v_add_co_u32_e32 v4, vcc, 2, v4
	s_addc_u32 s35, s35, -1
	v_addc_co_u32_e32 v5, vcc, 0, v5, vcc
	s_cmp_eq_u64 s[34:35], 0
	v_add_co_u32_e32 v6, vcc, 2, v6
	s_cselect_b64 s[42:43], -1, 0
	v_addc_co_u32_e32 v7, vcc, 0, v7, vcc
	s_and_b64 s[36:37], s[38:39], exec
	s_andn2_b64 s[30:31], s[30:31], exec
	s_orn2_b64 s[42:43], s[42:43], exec
	s_branch .LBB1257_43
.LBB1257_48:
	s_or_b64 exec, exec, s[26:27]
	s_xor_b64 s[26:27], s[28:29], -1
	s_andn2_b64 s[18:19], s[18:19], exec
	s_and_b64 s[26:27], s[26:27], exec
	s_or_b64 s[18:19], s[18:19], s[26:27]
.LBB1257_49:
	s_or_b64 exec, exec, s[24:25]
	s_orn2_b64 s[18:19], s[18:19], exec
.LBB1257_50:
	s_or_b64 exec, exec, s[22:23]
	v_mov_b32_e32 v5, s33
	v_mov_b32_e32 v6, s9
	v_cndmask_b32_e64 v4, v19, v20, s[18:19]
	v_cndmask_b32_e64 v5, v5, v6, s[18:19]
	v_add_u32_e32 v6, 1, v4
	v_add_u32_e32 v4, -1, v5
	v_min_u32_e32 v4, v6, v4
	v_lshlrev_b32_e32 v4, 3, v4
	ds_read_b64 v[4:5], v4
	v_cndmask_b32_e64 v24, v6, v19, s[18:19]
	v_cndmask_b32_e64 v19, v20, v6, s[18:19]
	v_cmp_gt_u32_e32 vcc, s33, v24
	s_waitcnt lgkmcnt(0)
	v_cndmask_b32_e64 v15, v5, v10, s[18:19]
	v_cndmask_b32_e64 v16, v4, v11, s[18:19]
	;; [unrolled: 1-line block ×4, first 2 shown]
	s_and_saveexec_b64 s[22:23], vcc
	s_cbranch_execz .LBB1257_60
; %bb.51:
	v_cmp_gt_u32_e64 s[20:21], s9, v19
	s_xor_b64 s[24:25], s[2:3], -1
	s_and_b64 s[26:27], s[20:21], s[24:25]
	s_and_saveexec_b64 s[24:25], s[26:27]
	s_cbranch_execz .LBB1257_59
; %bb.52:
	v_mul_lo_u32 v6, v15, s4
	v_mul_lo_u32 v7, v16, s5
	v_mad_u64_u32 v[4:5], s[26:27], v16, s4, 0
	v_add3_u32 v5, v5, v7, v6
	v_lshlrev_b64 v[4:5], 1, v[4:5]
	v_mov_b32_e32 v6, s7
	v_add_co_u32_e32 v4, vcc, s6, v4
	v_addc_co_u32_e32 v5, vcc, v6, v5, vcc
	v_mul_lo_u32 v20, v17, s4
	v_mul_lo_u32 v21, v18, s5
	v_mad_u64_u32 v[6:7], s[26:27], v18, s4, 0
	v_add3_u32 v7, v7, v21, v20
	v_lshlrev_b64 v[6:7], 1, v[6:7]
	v_mov_b32_e32 v20, s7
	v_add_co_u32_e32 v6, vcc, s6, v6
	v_addc_co_u32_e32 v7, vcc, v20, v7, vcc
	s_mov_b64 s[26:27], 0
	s_mov_b64 s[34:35], s[4:5]
                                        ; implicit-def: $sgpr28_sgpr29
                                        ; implicit-def: $sgpr30_sgpr31
                                        ; implicit-def: $sgpr36_sgpr37
	s_branch .LBB1257_54
.LBB1257_53:                            ;   in Loop: Header=BB1257_54 Depth=1
	s_or_b64 exec, exec, s[40:41]
	s_and_b64 s[38:39], exec, s[42:43]
	s_or_b64 s[26:27], s[38:39], s[26:27]
	s_andn2_b64 s[28:29], s[28:29], exec
	s_and_b64 s[38:39], s[30:31], exec
	s_or_b64 s[28:29], s[28:29], s[38:39]
	s_andn2_b64 exec, exec, s[26:27]
	s_cbranch_execz .LBB1257_58
.LBB1257_54:                            ; =>This Inner Loop Header: Depth=1
	global_load_ushort v20, v[4:5], off
	global_load_ushort v21, v[6:7], off
	s_mov_b64 s[44:45], 0
	s_mov_b64 s[38:39], -1
	s_waitcnt vmcnt(0)
	v_cmp_nlt_f16_e32 vcc, v20, v21
	s_and_saveexec_b64 s[40:41], vcc
; %bb.55:                               ;   in Loop: Header=BB1257_54 Depth=1
	v_cmp_ngt_f16_e32 vcc, v20, v21
	s_and_b64 s[36:37], vcc, s[36:37]
	s_orn2_b64 s[38:39], s[36:37], exec
	s_and_b64 s[44:45], vcc, exec
; %bb.56:                               ;   in Loop: Header=BB1257_54 Depth=1
	s_or_b64 exec, exec, s[40:41]
	s_andn2_b64 s[30:31], s[30:31], exec
	s_and_b64 s[36:37], s[38:39], exec
	s_mov_b64 s[42:43], -1
	s_or_b64 s[30:31], s[30:31], s[36:37]
                                        ; implicit-def: $sgpr36_sgpr37
	s_and_saveexec_b64 s[40:41], s[44:45]
	s_cbranch_execz .LBB1257_53
; %bb.57:                               ;   in Loop: Header=BB1257_54 Depth=1
	s_add_u32 s34, s34, -1
	v_add_co_u32_e32 v4, vcc, 2, v4
	s_addc_u32 s35, s35, -1
	v_addc_co_u32_e32 v5, vcc, 0, v5, vcc
	s_cmp_eq_u64 s[34:35], 0
	v_add_co_u32_e32 v6, vcc, 2, v6
	s_cselect_b64 s[42:43], -1, 0
	v_addc_co_u32_e32 v7, vcc, 0, v7, vcc
	s_and_b64 s[36:37], s[38:39], exec
	s_andn2_b64 s[30:31], s[30:31], exec
	s_orn2_b64 s[42:43], s[42:43], exec
	s_branch .LBB1257_53
.LBB1257_58:
	s_or_b64 exec, exec, s[26:27]
	s_xor_b64 s[26:27], s[28:29], -1
	s_andn2_b64 s[20:21], s[20:21], exec
	s_and_b64 s[26:27], s[26:27], exec
	s_or_b64 s[20:21], s[20:21], s[26:27]
.LBB1257_59:
	s_or_b64 exec, exec, s[24:25]
	s_orn2_b64 s[20:21], s[20:21], exec
.LBB1257_60:
	s_or_b64 exec, exec, s[22:23]
	v_mov_b32_e32 v5, s33
	v_mov_b32_e32 v6, s9
	v_cndmask_b32_e64 v4, v24, v19, s[20:21]
	v_cndmask_b32_e64 v5, v5, v6, s[20:21]
	v_add_u32_e32 v4, 1, v4
	v_add_u32_e32 v5, -1, v5
	v_min_u32_e32 v5, v4, v5
	v_lshlrev_b32_e32 v5, 3, v5
	ds_read_b64 v[6:7], v5
	v_cndmask_b32_e64 v5, v4, v24, s[20:21]
	v_cmp_gt_u32_e32 vcc, s33, v5
	s_mov_b64 s[24:25], -1
	s_waitcnt lgkmcnt(0)
	v_cndmask_b32_e64 v20, v7, v15, s[20:21]
	v_cndmask_b32_e64 v21, v6, v16, s[20:21]
	;; [unrolled: 1-line block ×4, first 2 shown]
	s_and_saveexec_b64 s[22:23], vcc
	s_cbranch_execz .LBB1257_70
; %bb.61:
	v_cndmask_b32_e64 v4, v19, v4, s[20:21]
	v_cmp_gt_u32_e64 s[24:25], s9, v4
	s_xor_b64 s[2:3], s[2:3], -1
	s_and_b64 s[26:27], s[24:25], s[2:3]
	s_and_saveexec_b64 s[2:3], s[26:27]
	s_cbranch_execz .LBB1257_69
; %bb.62:
	v_mul_lo_u32 v6, v20, s4
	v_mul_lo_u32 v7, v21, s5
	v_mad_u64_u32 v[4:5], s[26:27], v21, s4, 0
	v_add3_u32 v5, v5, v7, v6
	v_lshlrev_b64 v[4:5], 1, v[4:5]
	v_mov_b32_e32 v6, s7
	v_add_co_u32_e32 v4, vcc, s6, v4
	v_addc_co_u32_e32 v5, vcc, v6, v5, vcc
	v_mul_lo_u32 v19, v22, s4
	v_mul_lo_u32 v24, v23, s5
	v_mad_u64_u32 v[6:7], s[26:27], v23, s4, 0
	v_add3_u32 v7, v7, v24, v19
	v_lshlrev_b64 v[6:7], 1, v[6:7]
	v_mov_b32_e32 v19, s7
	v_add_co_u32_e32 v6, vcc, s6, v6
	v_addc_co_u32_e32 v7, vcc, v19, v7, vcc
	s_mov_b64 s[6:7], 0
                                        ; implicit-def: $sgpr26_sgpr27
                                        ; implicit-def: $sgpr28_sgpr29
                                        ; implicit-def: $sgpr30_sgpr31
	s_branch .LBB1257_64
.LBB1257_63:                            ;   in Loop: Header=BB1257_64 Depth=1
	s_or_b64 exec, exec, s[36:37]
	s_and_b64 s[34:35], exec, s[38:39]
	s_or_b64 s[6:7], s[34:35], s[6:7]
	s_andn2_b64 s[26:27], s[26:27], exec
	s_and_b64 s[34:35], s[28:29], exec
	s_or_b64 s[26:27], s[26:27], s[34:35]
	s_andn2_b64 exec, exec, s[6:7]
	s_cbranch_execz .LBB1257_68
.LBB1257_64:                            ; =>This Inner Loop Header: Depth=1
	global_load_ushort v19, v[4:5], off
	global_load_ushort v24, v[6:7], off
	s_mov_b64 s[40:41], 0
	s_mov_b64 s[34:35], -1
	s_waitcnt vmcnt(0)
	v_cmp_nlt_f16_e32 vcc, v19, v24
	s_and_saveexec_b64 s[36:37], vcc
; %bb.65:                               ;   in Loop: Header=BB1257_64 Depth=1
	v_cmp_ngt_f16_e32 vcc, v19, v24
	s_and_b64 s[30:31], vcc, s[30:31]
	s_orn2_b64 s[34:35], s[30:31], exec
	s_and_b64 s[40:41], vcc, exec
; %bb.66:                               ;   in Loop: Header=BB1257_64 Depth=1
	s_or_b64 exec, exec, s[36:37]
	s_andn2_b64 s[28:29], s[28:29], exec
	s_and_b64 s[30:31], s[34:35], exec
	s_mov_b64 s[38:39], -1
	s_or_b64 s[28:29], s[28:29], s[30:31]
                                        ; implicit-def: $sgpr30_sgpr31
	s_and_saveexec_b64 s[36:37], s[40:41]
	s_cbranch_execz .LBB1257_63
; %bb.67:                               ;   in Loop: Header=BB1257_64 Depth=1
	s_add_u32 s4, s4, -1
	v_add_co_u32_e32 v4, vcc, 2, v4
	s_addc_u32 s5, s5, -1
	v_addc_co_u32_e32 v5, vcc, 0, v5, vcc
	s_cmp_eq_u64 s[4:5], 0
	v_add_co_u32_e32 v6, vcc, 2, v6
	s_cselect_b64 s[38:39], -1, 0
	v_addc_co_u32_e32 v7, vcc, 0, v7, vcc
	s_and_b64 s[30:31], s[34:35], exec
	s_andn2_b64 s[28:29], s[28:29], exec
	s_orn2_b64 s[38:39], s[38:39], exec
	s_branch .LBB1257_63
.LBB1257_68:
	s_or_b64 exec, exec, s[6:7]
	s_xor_b64 s[4:5], s[26:27], -1
	s_andn2_b64 s[6:7], s[24:25], exec
	s_and_b64 s[4:5], s[4:5], exec
	s_or_b64 s[24:25], s[6:7], s[4:5]
.LBB1257_69:
	s_or_b64 exec, exec, s[2:3]
	s_orn2_b64 s[24:25], s[24:25], exec
.LBB1257_70:
	s_or_b64 exec, exec, s[22:23]
	v_cndmask_b32_e64 v7, v15, v17, s[20:21]
	v_cndmask_b32_e64 v6, v16, v18, s[20:21]
	;; [unrolled: 1-line block ×8, first 2 shown]
.LBB1257_71:
	s_or_b64 exec, exec, s[12:13]
	v_and_b32_e32 v10, 0xf8, v0
	v_lshl_add_u32 v10, v14, 3, v10
	s_barrier
	s_barrier
	ds_write2_b64 v10, v[2:3], v[4:5] offset1:1
	ds_write2_b64 v10, v[6:7], v[8:9] offset0:2 offset1:3
	v_lshrrev_b32_e32 v2, 2, v0
	v_and_b32_e32 v2, 56, v2
	v_or_b32_e32 v12, 0x100, v0
	v_add_u32_e32 v13, v1, v2
	v_lshrrev_b32_e32 v2, 2, v12
	v_and_b32_e32 v2, 0x78, v2
	v_or_b32_e32 v11, 0x200, v0
	v_add_u32_e32 v6, v1, v2
	v_lshrrev_b32_e32 v2, 2, v11
	s_lshl_b64 s[0:1], s[16:17], 3
	v_and_b32_e32 v2, 0xb8, v2
	v_or_b32_e32 v10, 0x300, v0
	s_add_u32 s0, s14, s0
	v_add_u32_e32 v7, v1, v2
	v_lshrrev_b32_e32 v2, 2, v10
	s_addc_u32 s1, s15, s1
	v_and_b32_e32 v2, 0xf8, v2
	v_add_u32_e32 v14, v1, v2
	v_mov_b32_e32 v3, s1
	v_add_co_u32_e32 v2, vcc, s0, v1
	v_addc_co_u32_e32 v3, vcc, 0, v3, vcc
	s_and_b64 vcc, exec, s[10:11]
	s_waitcnt lgkmcnt(0)
	s_cbranch_vccz .LBB1257_73
; %bb.72:
	s_barrier
	ds_read_b64 v[8:9], v13
	ds_read_b64 v[16:17], v6 offset:2048
	ds_read_b64 v[18:19], v7 offset:4096
	;; [unrolled: 1-line block ×3, first 2 shown]
	s_waitcnt lgkmcnt(3)
	global_store_dwordx2 v[2:3], v[8:9], off
	s_waitcnt lgkmcnt(2)
	global_store_dwordx2 v[2:3], v[16:17], off offset:2048
	v_add_co_u32_e32 v8, vcc, 0x1000, v2
	v_addc_co_u32_e32 v9, vcc, 0, v3, vcc
	s_waitcnt lgkmcnt(1)
	global_store_dwordx2 v[8:9], v[18:19], off
	s_mov_b64 s[0:1], -1
	s_cbranch_execz .LBB1257_74
	s_branch .LBB1257_79
.LBB1257_73:
	s_mov_b64 s[0:1], 0
                                        ; implicit-def: $vgpr4_vgpr5
.LBB1257_74:
	s_barrier
	s_waitcnt lgkmcnt(0)
	ds_read_b64 v[8:9], v6 offset:2048
	ds_read_b64 v[6:7], v7 offset:4096
	;; [unrolled: 1-line block ×3, first 2 shown]
	s_sub_i32 s2, s8, s16
	v_cmp_gt_u32_e32 vcc, s2, v0
	s_and_saveexec_b64 s[0:1], vcc
	s_cbranch_execnz .LBB1257_82
; %bb.75:
	s_or_b64 exec, exec, s[0:1]
	v_cmp_gt_u32_e32 vcc, s2, v12
	s_and_saveexec_b64 s[0:1], vcc
	s_cbranch_execnz .LBB1257_83
.LBB1257_76:
	s_or_b64 exec, exec, s[0:1]
	v_cmp_gt_u32_e32 vcc, s2, v11
	s_and_saveexec_b64 s[0:1], vcc
	s_cbranch_execz .LBB1257_78
.LBB1257_77:
	v_add_co_u32_e32 v0, vcc, 0x1000, v2
	v_addc_co_u32_e32 v1, vcc, 0, v3, vcc
	s_waitcnt lgkmcnt(1)
	global_store_dwordx2 v[0:1], v[6:7], off
.LBB1257_78:
	s_or_b64 exec, exec, s[0:1]
	v_cmp_gt_u32_e64 s[0:1], s2, v10
.LBB1257_79:
	s_and_saveexec_b64 s[2:3], s[0:1]
	s_cbranch_execz .LBB1257_81
; %bb.80:
	v_add_co_u32_e32 v0, vcc, 0x1000, v2
	v_addc_co_u32_e32 v1, vcc, 0, v3, vcc
	s_waitcnt lgkmcnt(0)
	global_store_dwordx2 v[0:1], v[4:5], off offset:2048
.LBB1257_81:
	s_endpgm
.LBB1257_82:
	ds_read_b64 v[0:1], v13
	s_waitcnt lgkmcnt(0)
	global_store_dwordx2 v[2:3], v[0:1], off
	s_or_b64 exec, exec, s[0:1]
	v_cmp_gt_u32_e32 vcc, s2, v12
	s_and_saveexec_b64 s[0:1], vcc
	s_cbranch_execz .LBB1257_76
.LBB1257_83:
	s_waitcnt lgkmcnt(2)
	global_store_dwordx2 v[2:3], v[8:9], off offset:2048
	s_or_b64 exec, exec, s[0:1]
	v_cmp_gt_u32_e32 vcc, s2, v11
	s_and_saveexec_b64 s[0:1], vcc
	s_cbranch_execnz .LBB1257_77
	s_branch .LBB1257_78
	.section	.rodata,"a",@progbits
	.p2align	6, 0x0
	.amdhsa_kernel _ZN7rocprim17ROCPRIM_400000_NS6detail17trampoline_kernelINS0_14default_configENS1_38merge_sort_block_merge_config_selectorIlNS0_10empty_typeEEEZZNS1_27merge_sort_block_merge_implIS3_PlPS5_mZN2at6native12_GLOBAL__N_124unique_dim_cuda_templateIN3c104HalfEEESt5tupleIJNSA_6TensorESH_SH_EERKSH_lbbbEUlllE_EE10hipError_tT0_T1_T2_jT3_P12ihipStream_tbPNSt15iterator_traitsISN_E10value_typeEPNST_ISO_E10value_typeEPSP_NS1_7vsmem_tEENKUlT_SN_SO_SP_E_clIS8_S8_S9_S9_EESM_S12_SN_SO_SP_EUlS12_E0_NS1_11comp_targetILNS1_3genE4ELNS1_11target_archE910ELNS1_3gpuE8ELNS1_3repE0EEENS1_38merge_mergepath_config_static_selectorELNS0_4arch9wavefront6targetE1EEEvSO_
		.amdhsa_group_segment_fixed_size 8448
		.amdhsa_private_segment_fixed_size 0
		.amdhsa_kernarg_size 344
		.amdhsa_user_sgpr_count 6
		.amdhsa_user_sgpr_private_segment_buffer 1
		.amdhsa_user_sgpr_dispatch_ptr 0
		.amdhsa_user_sgpr_queue_ptr 0
		.amdhsa_user_sgpr_kernarg_segment_ptr 1
		.amdhsa_user_sgpr_dispatch_id 0
		.amdhsa_user_sgpr_flat_scratch_init 0
		.amdhsa_user_sgpr_kernarg_preload_length 0
		.amdhsa_user_sgpr_kernarg_preload_offset 0
		.amdhsa_user_sgpr_private_segment_size 0
		.amdhsa_uses_dynamic_stack 0
		.amdhsa_system_sgpr_private_segment_wavefront_offset 0
		.amdhsa_system_sgpr_workgroup_id_x 1
		.amdhsa_system_sgpr_workgroup_id_y 1
		.amdhsa_system_sgpr_workgroup_id_z 1
		.amdhsa_system_sgpr_workgroup_info 0
		.amdhsa_system_vgpr_workitem_id 0
		.amdhsa_next_free_vgpr 25
		.amdhsa_next_free_sgpr 46
		.amdhsa_accum_offset 28
		.amdhsa_reserve_vcc 1
		.amdhsa_reserve_flat_scratch 0
		.amdhsa_float_round_mode_32 0
		.amdhsa_float_round_mode_16_64 0
		.amdhsa_float_denorm_mode_32 3
		.amdhsa_float_denorm_mode_16_64 3
		.amdhsa_dx10_clamp 1
		.amdhsa_ieee_mode 1
		.amdhsa_fp16_overflow 0
		.amdhsa_tg_split 0
		.amdhsa_exception_fp_ieee_invalid_op 0
		.amdhsa_exception_fp_denorm_src 0
		.amdhsa_exception_fp_ieee_div_zero 0
		.amdhsa_exception_fp_ieee_overflow 0
		.amdhsa_exception_fp_ieee_underflow 0
		.amdhsa_exception_fp_ieee_inexact 0
		.amdhsa_exception_int_div_zero 0
	.end_amdhsa_kernel
	.section	.text._ZN7rocprim17ROCPRIM_400000_NS6detail17trampoline_kernelINS0_14default_configENS1_38merge_sort_block_merge_config_selectorIlNS0_10empty_typeEEEZZNS1_27merge_sort_block_merge_implIS3_PlPS5_mZN2at6native12_GLOBAL__N_124unique_dim_cuda_templateIN3c104HalfEEESt5tupleIJNSA_6TensorESH_SH_EERKSH_lbbbEUlllE_EE10hipError_tT0_T1_T2_jT3_P12ihipStream_tbPNSt15iterator_traitsISN_E10value_typeEPNST_ISO_E10value_typeEPSP_NS1_7vsmem_tEENKUlT_SN_SO_SP_E_clIS8_S8_S9_S9_EESM_S12_SN_SO_SP_EUlS12_E0_NS1_11comp_targetILNS1_3genE4ELNS1_11target_archE910ELNS1_3gpuE8ELNS1_3repE0EEENS1_38merge_mergepath_config_static_selectorELNS0_4arch9wavefront6targetE1EEEvSO_,"axG",@progbits,_ZN7rocprim17ROCPRIM_400000_NS6detail17trampoline_kernelINS0_14default_configENS1_38merge_sort_block_merge_config_selectorIlNS0_10empty_typeEEEZZNS1_27merge_sort_block_merge_implIS3_PlPS5_mZN2at6native12_GLOBAL__N_124unique_dim_cuda_templateIN3c104HalfEEESt5tupleIJNSA_6TensorESH_SH_EERKSH_lbbbEUlllE_EE10hipError_tT0_T1_T2_jT3_P12ihipStream_tbPNSt15iterator_traitsISN_E10value_typeEPNST_ISO_E10value_typeEPSP_NS1_7vsmem_tEENKUlT_SN_SO_SP_E_clIS8_S8_S9_S9_EESM_S12_SN_SO_SP_EUlS12_E0_NS1_11comp_targetILNS1_3genE4ELNS1_11target_archE910ELNS1_3gpuE8ELNS1_3repE0EEENS1_38merge_mergepath_config_static_selectorELNS0_4arch9wavefront6targetE1EEEvSO_,comdat
.Lfunc_end1257:
	.size	_ZN7rocprim17ROCPRIM_400000_NS6detail17trampoline_kernelINS0_14default_configENS1_38merge_sort_block_merge_config_selectorIlNS0_10empty_typeEEEZZNS1_27merge_sort_block_merge_implIS3_PlPS5_mZN2at6native12_GLOBAL__N_124unique_dim_cuda_templateIN3c104HalfEEESt5tupleIJNSA_6TensorESH_SH_EERKSH_lbbbEUlllE_EE10hipError_tT0_T1_T2_jT3_P12ihipStream_tbPNSt15iterator_traitsISN_E10value_typeEPNST_ISO_E10value_typeEPSP_NS1_7vsmem_tEENKUlT_SN_SO_SP_E_clIS8_S8_S9_S9_EESM_S12_SN_SO_SP_EUlS12_E0_NS1_11comp_targetILNS1_3genE4ELNS1_11target_archE910ELNS1_3gpuE8ELNS1_3repE0EEENS1_38merge_mergepath_config_static_selectorELNS0_4arch9wavefront6targetE1EEEvSO_, .Lfunc_end1257-_ZN7rocprim17ROCPRIM_400000_NS6detail17trampoline_kernelINS0_14default_configENS1_38merge_sort_block_merge_config_selectorIlNS0_10empty_typeEEEZZNS1_27merge_sort_block_merge_implIS3_PlPS5_mZN2at6native12_GLOBAL__N_124unique_dim_cuda_templateIN3c104HalfEEESt5tupleIJNSA_6TensorESH_SH_EERKSH_lbbbEUlllE_EE10hipError_tT0_T1_T2_jT3_P12ihipStream_tbPNSt15iterator_traitsISN_E10value_typeEPNST_ISO_E10value_typeEPSP_NS1_7vsmem_tEENKUlT_SN_SO_SP_E_clIS8_S8_S9_S9_EESM_S12_SN_SO_SP_EUlS12_E0_NS1_11comp_targetILNS1_3genE4ELNS1_11target_archE910ELNS1_3gpuE8ELNS1_3repE0EEENS1_38merge_mergepath_config_static_selectorELNS0_4arch9wavefront6targetE1EEEvSO_
                                        ; -- End function
	.section	.AMDGPU.csdata,"",@progbits
; Kernel info:
; codeLenInByte = 3932
; NumSgprs: 50
; NumVgprs: 25
; NumAgprs: 0
; TotalNumVgprs: 25
; ScratchSize: 0
; MemoryBound: 0
; FloatMode: 240
; IeeeMode: 1
; LDSByteSize: 8448 bytes/workgroup (compile time only)
; SGPRBlocks: 6
; VGPRBlocks: 3
; NumSGPRsForWavesPerEU: 50
; NumVGPRsForWavesPerEU: 25
; AccumOffset: 28
; Occupancy: 7
; WaveLimiterHint : 1
; COMPUTE_PGM_RSRC2:SCRATCH_EN: 0
; COMPUTE_PGM_RSRC2:USER_SGPR: 6
; COMPUTE_PGM_RSRC2:TRAP_HANDLER: 0
; COMPUTE_PGM_RSRC2:TGID_X_EN: 1
; COMPUTE_PGM_RSRC2:TGID_Y_EN: 1
; COMPUTE_PGM_RSRC2:TGID_Z_EN: 1
; COMPUTE_PGM_RSRC2:TIDIG_COMP_CNT: 0
; COMPUTE_PGM_RSRC3_GFX90A:ACCUM_OFFSET: 6
; COMPUTE_PGM_RSRC3_GFX90A:TG_SPLIT: 0
	.section	.text._ZN7rocprim17ROCPRIM_400000_NS6detail17trampoline_kernelINS0_14default_configENS1_38merge_sort_block_merge_config_selectorIlNS0_10empty_typeEEEZZNS1_27merge_sort_block_merge_implIS3_PlPS5_mZN2at6native12_GLOBAL__N_124unique_dim_cuda_templateIN3c104HalfEEESt5tupleIJNSA_6TensorESH_SH_EERKSH_lbbbEUlllE_EE10hipError_tT0_T1_T2_jT3_P12ihipStream_tbPNSt15iterator_traitsISN_E10value_typeEPNST_ISO_E10value_typeEPSP_NS1_7vsmem_tEENKUlT_SN_SO_SP_E_clIS8_S8_S9_S9_EESM_S12_SN_SO_SP_EUlS12_E0_NS1_11comp_targetILNS1_3genE3ELNS1_11target_archE908ELNS1_3gpuE7ELNS1_3repE0EEENS1_38merge_mergepath_config_static_selectorELNS0_4arch9wavefront6targetE1EEEvSO_,"axG",@progbits,_ZN7rocprim17ROCPRIM_400000_NS6detail17trampoline_kernelINS0_14default_configENS1_38merge_sort_block_merge_config_selectorIlNS0_10empty_typeEEEZZNS1_27merge_sort_block_merge_implIS3_PlPS5_mZN2at6native12_GLOBAL__N_124unique_dim_cuda_templateIN3c104HalfEEESt5tupleIJNSA_6TensorESH_SH_EERKSH_lbbbEUlllE_EE10hipError_tT0_T1_T2_jT3_P12ihipStream_tbPNSt15iterator_traitsISN_E10value_typeEPNST_ISO_E10value_typeEPSP_NS1_7vsmem_tEENKUlT_SN_SO_SP_E_clIS8_S8_S9_S9_EESM_S12_SN_SO_SP_EUlS12_E0_NS1_11comp_targetILNS1_3genE3ELNS1_11target_archE908ELNS1_3gpuE7ELNS1_3repE0EEENS1_38merge_mergepath_config_static_selectorELNS0_4arch9wavefront6targetE1EEEvSO_,comdat
	.globl	_ZN7rocprim17ROCPRIM_400000_NS6detail17trampoline_kernelINS0_14default_configENS1_38merge_sort_block_merge_config_selectorIlNS0_10empty_typeEEEZZNS1_27merge_sort_block_merge_implIS3_PlPS5_mZN2at6native12_GLOBAL__N_124unique_dim_cuda_templateIN3c104HalfEEESt5tupleIJNSA_6TensorESH_SH_EERKSH_lbbbEUlllE_EE10hipError_tT0_T1_T2_jT3_P12ihipStream_tbPNSt15iterator_traitsISN_E10value_typeEPNST_ISO_E10value_typeEPSP_NS1_7vsmem_tEENKUlT_SN_SO_SP_E_clIS8_S8_S9_S9_EESM_S12_SN_SO_SP_EUlS12_E0_NS1_11comp_targetILNS1_3genE3ELNS1_11target_archE908ELNS1_3gpuE7ELNS1_3repE0EEENS1_38merge_mergepath_config_static_selectorELNS0_4arch9wavefront6targetE1EEEvSO_ ; -- Begin function _ZN7rocprim17ROCPRIM_400000_NS6detail17trampoline_kernelINS0_14default_configENS1_38merge_sort_block_merge_config_selectorIlNS0_10empty_typeEEEZZNS1_27merge_sort_block_merge_implIS3_PlPS5_mZN2at6native12_GLOBAL__N_124unique_dim_cuda_templateIN3c104HalfEEESt5tupleIJNSA_6TensorESH_SH_EERKSH_lbbbEUlllE_EE10hipError_tT0_T1_T2_jT3_P12ihipStream_tbPNSt15iterator_traitsISN_E10value_typeEPNST_ISO_E10value_typeEPSP_NS1_7vsmem_tEENKUlT_SN_SO_SP_E_clIS8_S8_S9_S9_EESM_S12_SN_SO_SP_EUlS12_E0_NS1_11comp_targetILNS1_3genE3ELNS1_11target_archE908ELNS1_3gpuE7ELNS1_3repE0EEENS1_38merge_mergepath_config_static_selectorELNS0_4arch9wavefront6targetE1EEEvSO_
	.p2align	8
	.type	_ZN7rocprim17ROCPRIM_400000_NS6detail17trampoline_kernelINS0_14default_configENS1_38merge_sort_block_merge_config_selectorIlNS0_10empty_typeEEEZZNS1_27merge_sort_block_merge_implIS3_PlPS5_mZN2at6native12_GLOBAL__N_124unique_dim_cuda_templateIN3c104HalfEEESt5tupleIJNSA_6TensorESH_SH_EERKSH_lbbbEUlllE_EE10hipError_tT0_T1_T2_jT3_P12ihipStream_tbPNSt15iterator_traitsISN_E10value_typeEPNST_ISO_E10value_typeEPSP_NS1_7vsmem_tEENKUlT_SN_SO_SP_E_clIS8_S8_S9_S9_EESM_S12_SN_SO_SP_EUlS12_E0_NS1_11comp_targetILNS1_3genE3ELNS1_11target_archE908ELNS1_3gpuE7ELNS1_3repE0EEENS1_38merge_mergepath_config_static_selectorELNS0_4arch9wavefront6targetE1EEEvSO_,@function
_ZN7rocprim17ROCPRIM_400000_NS6detail17trampoline_kernelINS0_14default_configENS1_38merge_sort_block_merge_config_selectorIlNS0_10empty_typeEEEZZNS1_27merge_sort_block_merge_implIS3_PlPS5_mZN2at6native12_GLOBAL__N_124unique_dim_cuda_templateIN3c104HalfEEESt5tupleIJNSA_6TensorESH_SH_EERKSH_lbbbEUlllE_EE10hipError_tT0_T1_T2_jT3_P12ihipStream_tbPNSt15iterator_traitsISN_E10value_typeEPNST_ISO_E10value_typeEPSP_NS1_7vsmem_tEENKUlT_SN_SO_SP_E_clIS8_S8_S9_S9_EESM_S12_SN_SO_SP_EUlS12_E0_NS1_11comp_targetILNS1_3genE3ELNS1_11target_archE908ELNS1_3gpuE7ELNS1_3repE0EEENS1_38merge_mergepath_config_static_selectorELNS0_4arch9wavefront6targetE1EEEvSO_: ; @_ZN7rocprim17ROCPRIM_400000_NS6detail17trampoline_kernelINS0_14default_configENS1_38merge_sort_block_merge_config_selectorIlNS0_10empty_typeEEEZZNS1_27merge_sort_block_merge_implIS3_PlPS5_mZN2at6native12_GLOBAL__N_124unique_dim_cuda_templateIN3c104HalfEEESt5tupleIJNSA_6TensorESH_SH_EERKSH_lbbbEUlllE_EE10hipError_tT0_T1_T2_jT3_P12ihipStream_tbPNSt15iterator_traitsISN_E10value_typeEPNST_ISO_E10value_typeEPSP_NS1_7vsmem_tEENKUlT_SN_SO_SP_E_clIS8_S8_S9_S9_EESM_S12_SN_SO_SP_EUlS12_E0_NS1_11comp_targetILNS1_3genE3ELNS1_11target_archE908ELNS1_3gpuE7ELNS1_3repE0EEENS1_38merge_mergepath_config_static_selectorELNS0_4arch9wavefront6targetE1EEEvSO_
; %bb.0:
	.section	.rodata,"a",@progbits
	.p2align	6, 0x0
	.amdhsa_kernel _ZN7rocprim17ROCPRIM_400000_NS6detail17trampoline_kernelINS0_14default_configENS1_38merge_sort_block_merge_config_selectorIlNS0_10empty_typeEEEZZNS1_27merge_sort_block_merge_implIS3_PlPS5_mZN2at6native12_GLOBAL__N_124unique_dim_cuda_templateIN3c104HalfEEESt5tupleIJNSA_6TensorESH_SH_EERKSH_lbbbEUlllE_EE10hipError_tT0_T1_T2_jT3_P12ihipStream_tbPNSt15iterator_traitsISN_E10value_typeEPNST_ISO_E10value_typeEPSP_NS1_7vsmem_tEENKUlT_SN_SO_SP_E_clIS8_S8_S9_S9_EESM_S12_SN_SO_SP_EUlS12_E0_NS1_11comp_targetILNS1_3genE3ELNS1_11target_archE908ELNS1_3gpuE7ELNS1_3repE0EEENS1_38merge_mergepath_config_static_selectorELNS0_4arch9wavefront6targetE1EEEvSO_
		.amdhsa_group_segment_fixed_size 0
		.amdhsa_private_segment_fixed_size 0
		.amdhsa_kernarg_size 88
		.amdhsa_user_sgpr_count 6
		.amdhsa_user_sgpr_private_segment_buffer 1
		.amdhsa_user_sgpr_dispatch_ptr 0
		.amdhsa_user_sgpr_queue_ptr 0
		.amdhsa_user_sgpr_kernarg_segment_ptr 1
		.amdhsa_user_sgpr_dispatch_id 0
		.amdhsa_user_sgpr_flat_scratch_init 0
		.amdhsa_user_sgpr_kernarg_preload_length 0
		.amdhsa_user_sgpr_kernarg_preload_offset 0
		.amdhsa_user_sgpr_private_segment_size 0
		.amdhsa_uses_dynamic_stack 0
		.amdhsa_system_sgpr_private_segment_wavefront_offset 0
		.amdhsa_system_sgpr_workgroup_id_x 1
		.amdhsa_system_sgpr_workgroup_id_y 0
		.amdhsa_system_sgpr_workgroup_id_z 0
		.amdhsa_system_sgpr_workgroup_info 0
		.amdhsa_system_vgpr_workitem_id 0
		.amdhsa_next_free_vgpr 1
		.amdhsa_next_free_sgpr 0
		.amdhsa_accum_offset 4
		.amdhsa_reserve_vcc 0
		.amdhsa_reserve_flat_scratch 0
		.amdhsa_float_round_mode_32 0
		.amdhsa_float_round_mode_16_64 0
		.amdhsa_float_denorm_mode_32 3
		.amdhsa_float_denorm_mode_16_64 3
		.amdhsa_dx10_clamp 1
		.amdhsa_ieee_mode 1
		.amdhsa_fp16_overflow 0
		.amdhsa_tg_split 0
		.amdhsa_exception_fp_ieee_invalid_op 0
		.amdhsa_exception_fp_denorm_src 0
		.amdhsa_exception_fp_ieee_div_zero 0
		.amdhsa_exception_fp_ieee_overflow 0
		.amdhsa_exception_fp_ieee_underflow 0
		.amdhsa_exception_fp_ieee_inexact 0
		.amdhsa_exception_int_div_zero 0
	.end_amdhsa_kernel
	.section	.text._ZN7rocprim17ROCPRIM_400000_NS6detail17trampoline_kernelINS0_14default_configENS1_38merge_sort_block_merge_config_selectorIlNS0_10empty_typeEEEZZNS1_27merge_sort_block_merge_implIS3_PlPS5_mZN2at6native12_GLOBAL__N_124unique_dim_cuda_templateIN3c104HalfEEESt5tupleIJNSA_6TensorESH_SH_EERKSH_lbbbEUlllE_EE10hipError_tT0_T1_T2_jT3_P12ihipStream_tbPNSt15iterator_traitsISN_E10value_typeEPNST_ISO_E10value_typeEPSP_NS1_7vsmem_tEENKUlT_SN_SO_SP_E_clIS8_S8_S9_S9_EESM_S12_SN_SO_SP_EUlS12_E0_NS1_11comp_targetILNS1_3genE3ELNS1_11target_archE908ELNS1_3gpuE7ELNS1_3repE0EEENS1_38merge_mergepath_config_static_selectorELNS0_4arch9wavefront6targetE1EEEvSO_,"axG",@progbits,_ZN7rocprim17ROCPRIM_400000_NS6detail17trampoline_kernelINS0_14default_configENS1_38merge_sort_block_merge_config_selectorIlNS0_10empty_typeEEEZZNS1_27merge_sort_block_merge_implIS3_PlPS5_mZN2at6native12_GLOBAL__N_124unique_dim_cuda_templateIN3c104HalfEEESt5tupleIJNSA_6TensorESH_SH_EERKSH_lbbbEUlllE_EE10hipError_tT0_T1_T2_jT3_P12ihipStream_tbPNSt15iterator_traitsISN_E10value_typeEPNST_ISO_E10value_typeEPSP_NS1_7vsmem_tEENKUlT_SN_SO_SP_E_clIS8_S8_S9_S9_EESM_S12_SN_SO_SP_EUlS12_E0_NS1_11comp_targetILNS1_3genE3ELNS1_11target_archE908ELNS1_3gpuE7ELNS1_3repE0EEENS1_38merge_mergepath_config_static_selectorELNS0_4arch9wavefront6targetE1EEEvSO_,comdat
.Lfunc_end1258:
	.size	_ZN7rocprim17ROCPRIM_400000_NS6detail17trampoline_kernelINS0_14default_configENS1_38merge_sort_block_merge_config_selectorIlNS0_10empty_typeEEEZZNS1_27merge_sort_block_merge_implIS3_PlPS5_mZN2at6native12_GLOBAL__N_124unique_dim_cuda_templateIN3c104HalfEEESt5tupleIJNSA_6TensorESH_SH_EERKSH_lbbbEUlllE_EE10hipError_tT0_T1_T2_jT3_P12ihipStream_tbPNSt15iterator_traitsISN_E10value_typeEPNST_ISO_E10value_typeEPSP_NS1_7vsmem_tEENKUlT_SN_SO_SP_E_clIS8_S8_S9_S9_EESM_S12_SN_SO_SP_EUlS12_E0_NS1_11comp_targetILNS1_3genE3ELNS1_11target_archE908ELNS1_3gpuE7ELNS1_3repE0EEENS1_38merge_mergepath_config_static_selectorELNS0_4arch9wavefront6targetE1EEEvSO_, .Lfunc_end1258-_ZN7rocprim17ROCPRIM_400000_NS6detail17trampoline_kernelINS0_14default_configENS1_38merge_sort_block_merge_config_selectorIlNS0_10empty_typeEEEZZNS1_27merge_sort_block_merge_implIS3_PlPS5_mZN2at6native12_GLOBAL__N_124unique_dim_cuda_templateIN3c104HalfEEESt5tupleIJNSA_6TensorESH_SH_EERKSH_lbbbEUlllE_EE10hipError_tT0_T1_T2_jT3_P12ihipStream_tbPNSt15iterator_traitsISN_E10value_typeEPNST_ISO_E10value_typeEPSP_NS1_7vsmem_tEENKUlT_SN_SO_SP_E_clIS8_S8_S9_S9_EESM_S12_SN_SO_SP_EUlS12_E0_NS1_11comp_targetILNS1_3genE3ELNS1_11target_archE908ELNS1_3gpuE7ELNS1_3repE0EEENS1_38merge_mergepath_config_static_selectorELNS0_4arch9wavefront6targetE1EEEvSO_
                                        ; -- End function
	.section	.AMDGPU.csdata,"",@progbits
; Kernel info:
; codeLenInByte = 0
; NumSgprs: 4
; NumVgprs: 0
; NumAgprs: 0
; TotalNumVgprs: 0
; ScratchSize: 0
; MemoryBound: 0
; FloatMode: 240
; IeeeMode: 1
; LDSByteSize: 0 bytes/workgroup (compile time only)
; SGPRBlocks: 0
; VGPRBlocks: 0
; NumSGPRsForWavesPerEU: 4
; NumVGPRsForWavesPerEU: 1
; AccumOffset: 4
; Occupancy: 8
; WaveLimiterHint : 0
; COMPUTE_PGM_RSRC2:SCRATCH_EN: 0
; COMPUTE_PGM_RSRC2:USER_SGPR: 6
; COMPUTE_PGM_RSRC2:TRAP_HANDLER: 0
; COMPUTE_PGM_RSRC2:TGID_X_EN: 1
; COMPUTE_PGM_RSRC2:TGID_Y_EN: 0
; COMPUTE_PGM_RSRC2:TGID_Z_EN: 0
; COMPUTE_PGM_RSRC2:TIDIG_COMP_CNT: 0
; COMPUTE_PGM_RSRC3_GFX90A:ACCUM_OFFSET: 0
; COMPUTE_PGM_RSRC3_GFX90A:TG_SPLIT: 0
	.section	.text._ZN7rocprim17ROCPRIM_400000_NS6detail17trampoline_kernelINS0_14default_configENS1_38merge_sort_block_merge_config_selectorIlNS0_10empty_typeEEEZZNS1_27merge_sort_block_merge_implIS3_PlPS5_mZN2at6native12_GLOBAL__N_124unique_dim_cuda_templateIN3c104HalfEEESt5tupleIJNSA_6TensorESH_SH_EERKSH_lbbbEUlllE_EE10hipError_tT0_T1_T2_jT3_P12ihipStream_tbPNSt15iterator_traitsISN_E10value_typeEPNST_ISO_E10value_typeEPSP_NS1_7vsmem_tEENKUlT_SN_SO_SP_E_clIS8_S8_S9_S9_EESM_S12_SN_SO_SP_EUlS12_E0_NS1_11comp_targetILNS1_3genE2ELNS1_11target_archE906ELNS1_3gpuE6ELNS1_3repE0EEENS1_38merge_mergepath_config_static_selectorELNS0_4arch9wavefront6targetE1EEEvSO_,"axG",@progbits,_ZN7rocprim17ROCPRIM_400000_NS6detail17trampoline_kernelINS0_14default_configENS1_38merge_sort_block_merge_config_selectorIlNS0_10empty_typeEEEZZNS1_27merge_sort_block_merge_implIS3_PlPS5_mZN2at6native12_GLOBAL__N_124unique_dim_cuda_templateIN3c104HalfEEESt5tupleIJNSA_6TensorESH_SH_EERKSH_lbbbEUlllE_EE10hipError_tT0_T1_T2_jT3_P12ihipStream_tbPNSt15iterator_traitsISN_E10value_typeEPNST_ISO_E10value_typeEPSP_NS1_7vsmem_tEENKUlT_SN_SO_SP_E_clIS8_S8_S9_S9_EESM_S12_SN_SO_SP_EUlS12_E0_NS1_11comp_targetILNS1_3genE2ELNS1_11target_archE906ELNS1_3gpuE6ELNS1_3repE0EEENS1_38merge_mergepath_config_static_selectorELNS0_4arch9wavefront6targetE1EEEvSO_,comdat
	.globl	_ZN7rocprim17ROCPRIM_400000_NS6detail17trampoline_kernelINS0_14default_configENS1_38merge_sort_block_merge_config_selectorIlNS0_10empty_typeEEEZZNS1_27merge_sort_block_merge_implIS3_PlPS5_mZN2at6native12_GLOBAL__N_124unique_dim_cuda_templateIN3c104HalfEEESt5tupleIJNSA_6TensorESH_SH_EERKSH_lbbbEUlllE_EE10hipError_tT0_T1_T2_jT3_P12ihipStream_tbPNSt15iterator_traitsISN_E10value_typeEPNST_ISO_E10value_typeEPSP_NS1_7vsmem_tEENKUlT_SN_SO_SP_E_clIS8_S8_S9_S9_EESM_S12_SN_SO_SP_EUlS12_E0_NS1_11comp_targetILNS1_3genE2ELNS1_11target_archE906ELNS1_3gpuE6ELNS1_3repE0EEENS1_38merge_mergepath_config_static_selectorELNS0_4arch9wavefront6targetE1EEEvSO_ ; -- Begin function _ZN7rocprim17ROCPRIM_400000_NS6detail17trampoline_kernelINS0_14default_configENS1_38merge_sort_block_merge_config_selectorIlNS0_10empty_typeEEEZZNS1_27merge_sort_block_merge_implIS3_PlPS5_mZN2at6native12_GLOBAL__N_124unique_dim_cuda_templateIN3c104HalfEEESt5tupleIJNSA_6TensorESH_SH_EERKSH_lbbbEUlllE_EE10hipError_tT0_T1_T2_jT3_P12ihipStream_tbPNSt15iterator_traitsISN_E10value_typeEPNST_ISO_E10value_typeEPSP_NS1_7vsmem_tEENKUlT_SN_SO_SP_E_clIS8_S8_S9_S9_EESM_S12_SN_SO_SP_EUlS12_E0_NS1_11comp_targetILNS1_3genE2ELNS1_11target_archE906ELNS1_3gpuE6ELNS1_3repE0EEENS1_38merge_mergepath_config_static_selectorELNS0_4arch9wavefront6targetE1EEEvSO_
	.p2align	8
	.type	_ZN7rocprim17ROCPRIM_400000_NS6detail17trampoline_kernelINS0_14default_configENS1_38merge_sort_block_merge_config_selectorIlNS0_10empty_typeEEEZZNS1_27merge_sort_block_merge_implIS3_PlPS5_mZN2at6native12_GLOBAL__N_124unique_dim_cuda_templateIN3c104HalfEEESt5tupleIJNSA_6TensorESH_SH_EERKSH_lbbbEUlllE_EE10hipError_tT0_T1_T2_jT3_P12ihipStream_tbPNSt15iterator_traitsISN_E10value_typeEPNST_ISO_E10value_typeEPSP_NS1_7vsmem_tEENKUlT_SN_SO_SP_E_clIS8_S8_S9_S9_EESM_S12_SN_SO_SP_EUlS12_E0_NS1_11comp_targetILNS1_3genE2ELNS1_11target_archE906ELNS1_3gpuE6ELNS1_3repE0EEENS1_38merge_mergepath_config_static_selectorELNS0_4arch9wavefront6targetE1EEEvSO_,@function
_ZN7rocprim17ROCPRIM_400000_NS6detail17trampoline_kernelINS0_14default_configENS1_38merge_sort_block_merge_config_selectorIlNS0_10empty_typeEEEZZNS1_27merge_sort_block_merge_implIS3_PlPS5_mZN2at6native12_GLOBAL__N_124unique_dim_cuda_templateIN3c104HalfEEESt5tupleIJNSA_6TensorESH_SH_EERKSH_lbbbEUlllE_EE10hipError_tT0_T1_T2_jT3_P12ihipStream_tbPNSt15iterator_traitsISN_E10value_typeEPNST_ISO_E10value_typeEPSP_NS1_7vsmem_tEENKUlT_SN_SO_SP_E_clIS8_S8_S9_S9_EESM_S12_SN_SO_SP_EUlS12_E0_NS1_11comp_targetILNS1_3genE2ELNS1_11target_archE906ELNS1_3gpuE6ELNS1_3repE0EEENS1_38merge_mergepath_config_static_selectorELNS0_4arch9wavefront6targetE1EEEvSO_: ; @_ZN7rocprim17ROCPRIM_400000_NS6detail17trampoline_kernelINS0_14default_configENS1_38merge_sort_block_merge_config_selectorIlNS0_10empty_typeEEEZZNS1_27merge_sort_block_merge_implIS3_PlPS5_mZN2at6native12_GLOBAL__N_124unique_dim_cuda_templateIN3c104HalfEEESt5tupleIJNSA_6TensorESH_SH_EERKSH_lbbbEUlllE_EE10hipError_tT0_T1_T2_jT3_P12ihipStream_tbPNSt15iterator_traitsISN_E10value_typeEPNST_ISO_E10value_typeEPSP_NS1_7vsmem_tEENKUlT_SN_SO_SP_E_clIS8_S8_S9_S9_EESM_S12_SN_SO_SP_EUlS12_E0_NS1_11comp_targetILNS1_3genE2ELNS1_11target_archE906ELNS1_3gpuE6ELNS1_3repE0EEENS1_38merge_mergepath_config_static_selectorELNS0_4arch9wavefront6targetE1EEEvSO_
; %bb.0:
	.section	.rodata,"a",@progbits
	.p2align	6, 0x0
	.amdhsa_kernel _ZN7rocprim17ROCPRIM_400000_NS6detail17trampoline_kernelINS0_14default_configENS1_38merge_sort_block_merge_config_selectorIlNS0_10empty_typeEEEZZNS1_27merge_sort_block_merge_implIS3_PlPS5_mZN2at6native12_GLOBAL__N_124unique_dim_cuda_templateIN3c104HalfEEESt5tupleIJNSA_6TensorESH_SH_EERKSH_lbbbEUlllE_EE10hipError_tT0_T1_T2_jT3_P12ihipStream_tbPNSt15iterator_traitsISN_E10value_typeEPNST_ISO_E10value_typeEPSP_NS1_7vsmem_tEENKUlT_SN_SO_SP_E_clIS8_S8_S9_S9_EESM_S12_SN_SO_SP_EUlS12_E0_NS1_11comp_targetILNS1_3genE2ELNS1_11target_archE906ELNS1_3gpuE6ELNS1_3repE0EEENS1_38merge_mergepath_config_static_selectorELNS0_4arch9wavefront6targetE1EEEvSO_
		.amdhsa_group_segment_fixed_size 0
		.amdhsa_private_segment_fixed_size 0
		.amdhsa_kernarg_size 88
		.amdhsa_user_sgpr_count 6
		.amdhsa_user_sgpr_private_segment_buffer 1
		.amdhsa_user_sgpr_dispatch_ptr 0
		.amdhsa_user_sgpr_queue_ptr 0
		.amdhsa_user_sgpr_kernarg_segment_ptr 1
		.amdhsa_user_sgpr_dispatch_id 0
		.amdhsa_user_sgpr_flat_scratch_init 0
		.amdhsa_user_sgpr_kernarg_preload_length 0
		.amdhsa_user_sgpr_kernarg_preload_offset 0
		.amdhsa_user_sgpr_private_segment_size 0
		.amdhsa_uses_dynamic_stack 0
		.amdhsa_system_sgpr_private_segment_wavefront_offset 0
		.amdhsa_system_sgpr_workgroup_id_x 1
		.amdhsa_system_sgpr_workgroup_id_y 0
		.amdhsa_system_sgpr_workgroup_id_z 0
		.amdhsa_system_sgpr_workgroup_info 0
		.amdhsa_system_vgpr_workitem_id 0
		.amdhsa_next_free_vgpr 1
		.amdhsa_next_free_sgpr 0
		.amdhsa_accum_offset 4
		.amdhsa_reserve_vcc 0
		.amdhsa_reserve_flat_scratch 0
		.amdhsa_float_round_mode_32 0
		.amdhsa_float_round_mode_16_64 0
		.amdhsa_float_denorm_mode_32 3
		.amdhsa_float_denorm_mode_16_64 3
		.amdhsa_dx10_clamp 1
		.amdhsa_ieee_mode 1
		.amdhsa_fp16_overflow 0
		.amdhsa_tg_split 0
		.amdhsa_exception_fp_ieee_invalid_op 0
		.amdhsa_exception_fp_denorm_src 0
		.amdhsa_exception_fp_ieee_div_zero 0
		.amdhsa_exception_fp_ieee_overflow 0
		.amdhsa_exception_fp_ieee_underflow 0
		.amdhsa_exception_fp_ieee_inexact 0
		.amdhsa_exception_int_div_zero 0
	.end_amdhsa_kernel
	.section	.text._ZN7rocprim17ROCPRIM_400000_NS6detail17trampoline_kernelINS0_14default_configENS1_38merge_sort_block_merge_config_selectorIlNS0_10empty_typeEEEZZNS1_27merge_sort_block_merge_implIS3_PlPS5_mZN2at6native12_GLOBAL__N_124unique_dim_cuda_templateIN3c104HalfEEESt5tupleIJNSA_6TensorESH_SH_EERKSH_lbbbEUlllE_EE10hipError_tT0_T1_T2_jT3_P12ihipStream_tbPNSt15iterator_traitsISN_E10value_typeEPNST_ISO_E10value_typeEPSP_NS1_7vsmem_tEENKUlT_SN_SO_SP_E_clIS8_S8_S9_S9_EESM_S12_SN_SO_SP_EUlS12_E0_NS1_11comp_targetILNS1_3genE2ELNS1_11target_archE906ELNS1_3gpuE6ELNS1_3repE0EEENS1_38merge_mergepath_config_static_selectorELNS0_4arch9wavefront6targetE1EEEvSO_,"axG",@progbits,_ZN7rocprim17ROCPRIM_400000_NS6detail17trampoline_kernelINS0_14default_configENS1_38merge_sort_block_merge_config_selectorIlNS0_10empty_typeEEEZZNS1_27merge_sort_block_merge_implIS3_PlPS5_mZN2at6native12_GLOBAL__N_124unique_dim_cuda_templateIN3c104HalfEEESt5tupleIJNSA_6TensorESH_SH_EERKSH_lbbbEUlllE_EE10hipError_tT0_T1_T2_jT3_P12ihipStream_tbPNSt15iterator_traitsISN_E10value_typeEPNST_ISO_E10value_typeEPSP_NS1_7vsmem_tEENKUlT_SN_SO_SP_E_clIS8_S8_S9_S9_EESM_S12_SN_SO_SP_EUlS12_E0_NS1_11comp_targetILNS1_3genE2ELNS1_11target_archE906ELNS1_3gpuE6ELNS1_3repE0EEENS1_38merge_mergepath_config_static_selectorELNS0_4arch9wavefront6targetE1EEEvSO_,comdat
.Lfunc_end1259:
	.size	_ZN7rocprim17ROCPRIM_400000_NS6detail17trampoline_kernelINS0_14default_configENS1_38merge_sort_block_merge_config_selectorIlNS0_10empty_typeEEEZZNS1_27merge_sort_block_merge_implIS3_PlPS5_mZN2at6native12_GLOBAL__N_124unique_dim_cuda_templateIN3c104HalfEEESt5tupleIJNSA_6TensorESH_SH_EERKSH_lbbbEUlllE_EE10hipError_tT0_T1_T2_jT3_P12ihipStream_tbPNSt15iterator_traitsISN_E10value_typeEPNST_ISO_E10value_typeEPSP_NS1_7vsmem_tEENKUlT_SN_SO_SP_E_clIS8_S8_S9_S9_EESM_S12_SN_SO_SP_EUlS12_E0_NS1_11comp_targetILNS1_3genE2ELNS1_11target_archE906ELNS1_3gpuE6ELNS1_3repE0EEENS1_38merge_mergepath_config_static_selectorELNS0_4arch9wavefront6targetE1EEEvSO_, .Lfunc_end1259-_ZN7rocprim17ROCPRIM_400000_NS6detail17trampoline_kernelINS0_14default_configENS1_38merge_sort_block_merge_config_selectorIlNS0_10empty_typeEEEZZNS1_27merge_sort_block_merge_implIS3_PlPS5_mZN2at6native12_GLOBAL__N_124unique_dim_cuda_templateIN3c104HalfEEESt5tupleIJNSA_6TensorESH_SH_EERKSH_lbbbEUlllE_EE10hipError_tT0_T1_T2_jT3_P12ihipStream_tbPNSt15iterator_traitsISN_E10value_typeEPNST_ISO_E10value_typeEPSP_NS1_7vsmem_tEENKUlT_SN_SO_SP_E_clIS8_S8_S9_S9_EESM_S12_SN_SO_SP_EUlS12_E0_NS1_11comp_targetILNS1_3genE2ELNS1_11target_archE906ELNS1_3gpuE6ELNS1_3repE0EEENS1_38merge_mergepath_config_static_selectorELNS0_4arch9wavefront6targetE1EEEvSO_
                                        ; -- End function
	.section	.AMDGPU.csdata,"",@progbits
; Kernel info:
; codeLenInByte = 0
; NumSgprs: 4
; NumVgprs: 0
; NumAgprs: 0
; TotalNumVgprs: 0
; ScratchSize: 0
; MemoryBound: 0
; FloatMode: 240
; IeeeMode: 1
; LDSByteSize: 0 bytes/workgroup (compile time only)
; SGPRBlocks: 0
; VGPRBlocks: 0
; NumSGPRsForWavesPerEU: 4
; NumVGPRsForWavesPerEU: 1
; AccumOffset: 4
; Occupancy: 8
; WaveLimiterHint : 0
; COMPUTE_PGM_RSRC2:SCRATCH_EN: 0
; COMPUTE_PGM_RSRC2:USER_SGPR: 6
; COMPUTE_PGM_RSRC2:TRAP_HANDLER: 0
; COMPUTE_PGM_RSRC2:TGID_X_EN: 1
; COMPUTE_PGM_RSRC2:TGID_Y_EN: 0
; COMPUTE_PGM_RSRC2:TGID_Z_EN: 0
; COMPUTE_PGM_RSRC2:TIDIG_COMP_CNT: 0
; COMPUTE_PGM_RSRC3_GFX90A:ACCUM_OFFSET: 0
; COMPUTE_PGM_RSRC3_GFX90A:TG_SPLIT: 0
	.section	.text._ZN7rocprim17ROCPRIM_400000_NS6detail17trampoline_kernelINS0_14default_configENS1_38merge_sort_block_merge_config_selectorIlNS0_10empty_typeEEEZZNS1_27merge_sort_block_merge_implIS3_PlPS5_mZN2at6native12_GLOBAL__N_124unique_dim_cuda_templateIN3c104HalfEEESt5tupleIJNSA_6TensorESH_SH_EERKSH_lbbbEUlllE_EE10hipError_tT0_T1_T2_jT3_P12ihipStream_tbPNSt15iterator_traitsISN_E10value_typeEPNST_ISO_E10value_typeEPSP_NS1_7vsmem_tEENKUlT_SN_SO_SP_E_clIS8_S8_S9_S9_EESM_S12_SN_SO_SP_EUlS12_E0_NS1_11comp_targetILNS1_3genE9ELNS1_11target_archE1100ELNS1_3gpuE3ELNS1_3repE0EEENS1_38merge_mergepath_config_static_selectorELNS0_4arch9wavefront6targetE1EEEvSO_,"axG",@progbits,_ZN7rocprim17ROCPRIM_400000_NS6detail17trampoline_kernelINS0_14default_configENS1_38merge_sort_block_merge_config_selectorIlNS0_10empty_typeEEEZZNS1_27merge_sort_block_merge_implIS3_PlPS5_mZN2at6native12_GLOBAL__N_124unique_dim_cuda_templateIN3c104HalfEEESt5tupleIJNSA_6TensorESH_SH_EERKSH_lbbbEUlllE_EE10hipError_tT0_T1_T2_jT3_P12ihipStream_tbPNSt15iterator_traitsISN_E10value_typeEPNST_ISO_E10value_typeEPSP_NS1_7vsmem_tEENKUlT_SN_SO_SP_E_clIS8_S8_S9_S9_EESM_S12_SN_SO_SP_EUlS12_E0_NS1_11comp_targetILNS1_3genE9ELNS1_11target_archE1100ELNS1_3gpuE3ELNS1_3repE0EEENS1_38merge_mergepath_config_static_selectorELNS0_4arch9wavefront6targetE1EEEvSO_,comdat
	.globl	_ZN7rocprim17ROCPRIM_400000_NS6detail17trampoline_kernelINS0_14default_configENS1_38merge_sort_block_merge_config_selectorIlNS0_10empty_typeEEEZZNS1_27merge_sort_block_merge_implIS3_PlPS5_mZN2at6native12_GLOBAL__N_124unique_dim_cuda_templateIN3c104HalfEEESt5tupleIJNSA_6TensorESH_SH_EERKSH_lbbbEUlllE_EE10hipError_tT0_T1_T2_jT3_P12ihipStream_tbPNSt15iterator_traitsISN_E10value_typeEPNST_ISO_E10value_typeEPSP_NS1_7vsmem_tEENKUlT_SN_SO_SP_E_clIS8_S8_S9_S9_EESM_S12_SN_SO_SP_EUlS12_E0_NS1_11comp_targetILNS1_3genE9ELNS1_11target_archE1100ELNS1_3gpuE3ELNS1_3repE0EEENS1_38merge_mergepath_config_static_selectorELNS0_4arch9wavefront6targetE1EEEvSO_ ; -- Begin function _ZN7rocprim17ROCPRIM_400000_NS6detail17trampoline_kernelINS0_14default_configENS1_38merge_sort_block_merge_config_selectorIlNS0_10empty_typeEEEZZNS1_27merge_sort_block_merge_implIS3_PlPS5_mZN2at6native12_GLOBAL__N_124unique_dim_cuda_templateIN3c104HalfEEESt5tupleIJNSA_6TensorESH_SH_EERKSH_lbbbEUlllE_EE10hipError_tT0_T1_T2_jT3_P12ihipStream_tbPNSt15iterator_traitsISN_E10value_typeEPNST_ISO_E10value_typeEPSP_NS1_7vsmem_tEENKUlT_SN_SO_SP_E_clIS8_S8_S9_S9_EESM_S12_SN_SO_SP_EUlS12_E0_NS1_11comp_targetILNS1_3genE9ELNS1_11target_archE1100ELNS1_3gpuE3ELNS1_3repE0EEENS1_38merge_mergepath_config_static_selectorELNS0_4arch9wavefront6targetE1EEEvSO_
	.p2align	8
	.type	_ZN7rocprim17ROCPRIM_400000_NS6detail17trampoline_kernelINS0_14default_configENS1_38merge_sort_block_merge_config_selectorIlNS0_10empty_typeEEEZZNS1_27merge_sort_block_merge_implIS3_PlPS5_mZN2at6native12_GLOBAL__N_124unique_dim_cuda_templateIN3c104HalfEEESt5tupleIJNSA_6TensorESH_SH_EERKSH_lbbbEUlllE_EE10hipError_tT0_T1_T2_jT3_P12ihipStream_tbPNSt15iterator_traitsISN_E10value_typeEPNST_ISO_E10value_typeEPSP_NS1_7vsmem_tEENKUlT_SN_SO_SP_E_clIS8_S8_S9_S9_EESM_S12_SN_SO_SP_EUlS12_E0_NS1_11comp_targetILNS1_3genE9ELNS1_11target_archE1100ELNS1_3gpuE3ELNS1_3repE0EEENS1_38merge_mergepath_config_static_selectorELNS0_4arch9wavefront6targetE1EEEvSO_,@function
_ZN7rocprim17ROCPRIM_400000_NS6detail17trampoline_kernelINS0_14default_configENS1_38merge_sort_block_merge_config_selectorIlNS0_10empty_typeEEEZZNS1_27merge_sort_block_merge_implIS3_PlPS5_mZN2at6native12_GLOBAL__N_124unique_dim_cuda_templateIN3c104HalfEEESt5tupleIJNSA_6TensorESH_SH_EERKSH_lbbbEUlllE_EE10hipError_tT0_T1_T2_jT3_P12ihipStream_tbPNSt15iterator_traitsISN_E10value_typeEPNST_ISO_E10value_typeEPSP_NS1_7vsmem_tEENKUlT_SN_SO_SP_E_clIS8_S8_S9_S9_EESM_S12_SN_SO_SP_EUlS12_E0_NS1_11comp_targetILNS1_3genE9ELNS1_11target_archE1100ELNS1_3gpuE3ELNS1_3repE0EEENS1_38merge_mergepath_config_static_selectorELNS0_4arch9wavefront6targetE1EEEvSO_: ; @_ZN7rocprim17ROCPRIM_400000_NS6detail17trampoline_kernelINS0_14default_configENS1_38merge_sort_block_merge_config_selectorIlNS0_10empty_typeEEEZZNS1_27merge_sort_block_merge_implIS3_PlPS5_mZN2at6native12_GLOBAL__N_124unique_dim_cuda_templateIN3c104HalfEEESt5tupleIJNSA_6TensorESH_SH_EERKSH_lbbbEUlllE_EE10hipError_tT0_T1_T2_jT3_P12ihipStream_tbPNSt15iterator_traitsISN_E10value_typeEPNST_ISO_E10value_typeEPSP_NS1_7vsmem_tEENKUlT_SN_SO_SP_E_clIS8_S8_S9_S9_EESM_S12_SN_SO_SP_EUlS12_E0_NS1_11comp_targetILNS1_3genE9ELNS1_11target_archE1100ELNS1_3gpuE3ELNS1_3repE0EEENS1_38merge_mergepath_config_static_selectorELNS0_4arch9wavefront6targetE1EEEvSO_
; %bb.0:
	.section	.rodata,"a",@progbits
	.p2align	6, 0x0
	.amdhsa_kernel _ZN7rocprim17ROCPRIM_400000_NS6detail17trampoline_kernelINS0_14default_configENS1_38merge_sort_block_merge_config_selectorIlNS0_10empty_typeEEEZZNS1_27merge_sort_block_merge_implIS3_PlPS5_mZN2at6native12_GLOBAL__N_124unique_dim_cuda_templateIN3c104HalfEEESt5tupleIJNSA_6TensorESH_SH_EERKSH_lbbbEUlllE_EE10hipError_tT0_T1_T2_jT3_P12ihipStream_tbPNSt15iterator_traitsISN_E10value_typeEPNST_ISO_E10value_typeEPSP_NS1_7vsmem_tEENKUlT_SN_SO_SP_E_clIS8_S8_S9_S9_EESM_S12_SN_SO_SP_EUlS12_E0_NS1_11comp_targetILNS1_3genE9ELNS1_11target_archE1100ELNS1_3gpuE3ELNS1_3repE0EEENS1_38merge_mergepath_config_static_selectorELNS0_4arch9wavefront6targetE1EEEvSO_
		.amdhsa_group_segment_fixed_size 0
		.amdhsa_private_segment_fixed_size 0
		.amdhsa_kernarg_size 88
		.amdhsa_user_sgpr_count 6
		.amdhsa_user_sgpr_private_segment_buffer 1
		.amdhsa_user_sgpr_dispatch_ptr 0
		.amdhsa_user_sgpr_queue_ptr 0
		.amdhsa_user_sgpr_kernarg_segment_ptr 1
		.amdhsa_user_sgpr_dispatch_id 0
		.amdhsa_user_sgpr_flat_scratch_init 0
		.amdhsa_user_sgpr_kernarg_preload_length 0
		.amdhsa_user_sgpr_kernarg_preload_offset 0
		.amdhsa_user_sgpr_private_segment_size 0
		.amdhsa_uses_dynamic_stack 0
		.amdhsa_system_sgpr_private_segment_wavefront_offset 0
		.amdhsa_system_sgpr_workgroup_id_x 1
		.amdhsa_system_sgpr_workgroup_id_y 0
		.amdhsa_system_sgpr_workgroup_id_z 0
		.amdhsa_system_sgpr_workgroup_info 0
		.amdhsa_system_vgpr_workitem_id 0
		.amdhsa_next_free_vgpr 1
		.amdhsa_next_free_sgpr 0
		.amdhsa_accum_offset 4
		.amdhsa_reserve_vcc 0
		.amdhsa_reserve_flat_scratch 0
		.amdhsa_float_round_mode_32 0
		.amdhsa_float_round_mode_16_64 0
		.amdhsa_float_denorm_mode_32 3
		.amdhsa_float_denorm_mode_16_64 3
		.amdhsa_dx10_clamp 1
		.amdhsa_ieee_mode 1
		.amdhsa_fp16_overflow 0
		.amdhsa_tg_split 0
		.amdhsa_exception_fp_ieee_invalid_op 0
		.amdhsa_exception_fp_denorm_src 0
		.amdhsa_exception_fp_ieee_div_zero 0
		.amdhsa_exception_fp_ieee_overflow 0
		.amdhsa_exception_fp_ieee_underflow 0
		.amdhsa_exception_fp_ieee_inexact 0
		.amdhsa_exception_int_div_zero 0
	.end_amdhsa_kernel
	.section	.text._ZN7rocprim17ROCPRIM_400000_NS6detail17trampoline_kernelINS0_14default_configENS1_38merge_sort_block_merge_config_selectorIlNS0_10empty_typeEEEZZNS1_27merge_sort_block_merge_implIS3_PlPS5_mZN2at6native12_GLOBAL__N_124unique_dim_cuda_templateIN3c104HalfEEESt5tupleIJNSA_6TensorESH_SH_EERKSH_lbbbEUlllE_EE10hipError_tT0_T1_T2_jT3_P12ihipStream_tbPNSt15iterator_traitsISN_E10value_typeEPNST_ISO_E10value_typeEPSP_NS1_7vsmem_tEENKUlT_SN_SO_SP_E_clIS8_S8_S9_S9_EESM_S12_SN_SO_SP_EUlS12_E0_NS1_11comp_targetILNS1_3genE9ELNS1_11target_archE1100ELNS1_3gpuE3ELNS1_3repE0EEENS1_38merge_mergepath_config_static_selectorELNS0_4arch9wavefront6targetE1EEEvSO_,"axG",@progbits,_ZN7rocprim17ROCPRIM_400000_NS6detail17trampoline_kernelINS0_14default_configENS1_38merge_sort_block_merge_config_selectorIlNS0_10empty_typeEEEZZNS1_27merge_sort_block_merge_implIS3_PlPS5_mZN2at6native12_GLOBAL__N_124unique_dim_cuda_templateIN3c104HalfEEESt5tupleIJNSA_6TensorESH_SH_EERKSH_lbbbEUlllE_EE10hipError_tT0_T1_T2_jT3_P12ihipStream_tbPNSt15iterator_traitsISN_E10value_typeEPNST_ISO_E10value_typeEPSP_NS1_7vsmem_tEENKUlT_SN_SO_SP_E_clIS8_S8_S9_S9_EESM_S12_SN_SO_SP_EUlS12_E0_NS1_11comp_targetILNS1_3genE9ELNS1_11target_archE1100ELNS1_3gpuE3ELNS1_3repE0EEENS1_38merge_mergepath_config_static_selectorELNS0_4arch9wavefront6targetE1EEEvSO_,comdat
.Lfunc_end1260:
	.size	_ZN7rocprim17ROCPRIM_400000_NS6detail17trampoline_kernelINS0_14default_configENS1_38merge_sort_block_merge_config_selectorIlNS0_10empty_typeEEEZZNS1_27merge_sort_block_merge_implIS3_PlPS5_mZN2at6native12_GLOBAL__N_124unique_dim_cuda_templateIN3c104HalfEEESt5tupleIJNSA_6TensorESH_SH_EERKSH_lbbbEUlllE_EE10hipError_tT0_T1_T2_jT3_P12ihipStream_tbPNSt15iterator_traitsISN_E10value_typeEPNST_ISO_E10value_typeEPSP_NS1_7vsmem_tEENKUlT_SN_SO_SP_E_clIS8_S8_S9_S9_EESM_S12_SN_SO_SP_EUlS12_E0_NS1_11comp_targetILNS1_3genE9ELNS1_11target_archE1100ELNS1_3gpuE3ELNS1_3repE0EEENS1_38merge_mergepath_config_static_selectorELNS0_4arch9wavefront6targetE1EEEvSO_, .Lfunc_end1260-_ZN7rocprim17ROCPRIM_400000_NS6detail17trampoline_kernelINS0_14default_configENS1_38merge_sort_block_merge_config_selectorIlNS0_10empty_typeEEEZZNS1_27merge_sort_block_merge_implIS3_PlPS5_mZN2at6native12_GLOBAL__N_124unique_dim_cuda_templateIN3c104HalfEEESt5tupleIJNSA_6TensorESH_SH_EERKSH_lbbbEUlllE_EE10hipError_tT0_T1_T2_jT3_P12ihipStream_tbPNSt15iterator_traitsISN_E10value_typeEPNST_ISO_E10value_typeEPSP_NS1_7vsmem_tEENKUlT_SN_SO_SP_E_clIS8_S8_S9_S9_EESM_S12_SN_SO_SP_EUlS12_E0_NS1_11comp_targetILNS1_3genE9ELNS1_11target_archE1100ELNS1_3gpuE3ELNS1_3repE0EEENS1_38merge_mergepath_config_static_selectorELNS0_4arch9wavefront6targetE1EEEvSO_
                                        ; -- End function
	.section	.AMDGPU.csdata,"",@progbits
; Kernel info:
; codeLenInByte = 0
; NumSgprs: 4
; NumVgprs: 0
; NumAgprs: 0
; TotalNumVgprs: 0
; ScratchSize: 0
; MemoryBound: 0
; FloatMode: 240
; IeeeMode: 1
; LDSByteSize: 0 bytes/workgroup (compile time only)
; SGPRBlocks: 0
; VGPRBlocks: 0
; NumSGPRsForWavesPerEU: 4
; NumVGPRsForWavesPerEU: 1
; AccumOffset: 4
; Occupancy: 8
; WaveLimiterHint : 0
; COMPUTE_PGM_RSRC2:SCRATCH_EN: 0
; COMPUTE_PGM_RSRC2:USER_SGPR: 6
; COMPUTE_PGM_RSRC2:TRAP_HANDLER: 0
; COMPUTE_PGM_RSRC2:TGID_X_EN: 1
; COMPUTE_PGM_RSRC2:TGID_Y_EN: 0
; COMPUTE_PGM_RSRC2:TGID_Z_EN: 0
; COMPUTE_PGM_RSRC2:TIDIG_COMP_CNT: 0
; COMPUTE_PGM_RSRC3_GFX90A:ACCUM_OFFSET: 0
; COMPUTE_PGM_RSRC3_GFX90A:TG_SPLIT: 0
	.section	.text._ZN7rocprim17ROCPRIM_400000_NS6detail17trampoline_kernelINS0_14default_configENS1_38merge_sort_block_merge_config_selectorIlNS0_10empty_typeEEEZZNS1_27merge_sort_block_merge_implIS3_PlPS5_mZN2at6native12_GLOBAL__N_124unique_dim_cuda_templateIN3c104HalfEEESt5tupleIJNSA_6TensorESH_SH_EERKSH_lbbbEUlllE_EE10hipError_tT0_T1_T2_jT3_P12ihipStream_tbPNSt15iterator_traitsISN_E10value_typeEPNST_ISO_E10value_typeEPSP_NS1_7vsmem_tEENKUlT_SN_SO_SP_E_clIS8_S8_S9_S9_EESM_S12_SN_SO_SP_EUlS12_E0_NS1_11comp_targetILNS1_3genE8ELNS1_11target_archE1030ELNS1_3gpuE2ELNS1_3repE0EEENS1_38merge_mergepath_config_static_selectorELNS0_4arch9wavefront6targetE1EEEvSO_,"axG",@progbits,_ZN7rocprim17ROCPRIM_400000_NS6detail17trampoline_kernelINS0_14default_configENS1_38merge_sort_block_merge_config_selectorIlNS0_10empty_typeEEEZZNS1_27merge_sort_block_merge_implIS3_PlPS5_mZN2at6native12_GLOBAL__N_124unique_dim_cuda_templateIN3c104HalfEEESt5tupleIJNSA_6TensorESH_SH_EERKSH_lbbbEUlllE_EE10hipError_tT0_T1_T2_jT3_P12ihipStream_tbPNSt15iterator_traitsISN_E10value_typeEPNST_ISO_E10value_typeEPSP_NS1_7vsmem_tEENKUlT_SN_SO_SP_E_clIS8_S8_S9_S9_EESM_S12_SN_SO_SP_EUlS12_E0_NS1_11comp_targetILNS1_3genE8ELNS1_11target_archE1030ELNS1_3gpuE2ELNS1_3repE0EEENS1_38merge_mergepath_config_static_selectorELNS0_4arch9wavefront6targetE1EEEvSO_,comdat
	.globl	_ZN7rocprim17ROCPRIM_400000_NS6detail17trampoline_kernelINS0_14default_configENS1_38merge_sort_block_merge_config_selectorIlNS0_10empty_typeEEEZZNS1_27merge_sort_block_merge_implIS3_PlPS5_mZN2at6native12_GLOBAL__N_124unique_dim_cuda_templateIN3c104HalfEEESt5tupleIJNSA_6TensorESH_SH_EERKSH_lbbbEUlllE_EE10hipError_tT0_T1_T2_jT3_P12ihipStream_tbPNSt15iterator_traitsISN_E10value_typeEPNST_ISO_E10value_typeEPSP_NS1_7vsmem_tEENKUlT_SN_SO_SP_E_clIS8_S8_S9_S9_EESM_S12_SN_SO_SP_EUlS12_E0_NS1_11comp_targetILNS1_3genE8ELNS1_11target_archE1030ELNS1_3gpuE2ELNS1_3repE0EEENS1_38merge_mergepath_config_static_selectorELNS0_4arch9wavefront6targetE1EEEvSO_ ; -- Begin function _ZN7rocprim17ROCPRIM_400000_NS6detail17trampoline_kernelINS0_14default_configENS1_38merge_sort_block_merge_config_selectorIlNS0_10empty_typeEEEZZNS1_27merge_sort_block_merge_implIS3_PlPS5_mZN2at6native12_GLOBAL__N_124unique_dim_cuda_templateIN3c104HalfEEESt5tupleIJNSA_6TensorESH_SH_EERKSH_lbbbEUlllE_EE10hipError_tT0_T1_T2_jT3_P12ihipStream_tbPNSt15iterator_traitsISN_E10value_typeEPNST_ISO_E10value_typeEPSP_NS1_7vsmem_tEENKUlT_SN_SO_SP_E_clIS8_S8_S9_S9_EESM_S12_SN_SO_SP_EUlS12_E0_NS1_11comp_targetILNS1_3genE8ELNS1_11target_archE1030ELNS1_3gpuE2ELNS1_3repE0EEENS1_38merge_mergepath_config_static_selectorELNS0_4arch9wavefront6targetE1EEEvSO_
	.p2align	8
	.type	_ZN7rocprim17ROCPRIM_400000_NS6detail17trampoline_kernelINS0_14default_configENS1_38merge_sort_block_merge_config_selectorIlNS0_10empty_typeEEEZZNS1_27merge_sort_block_merge_implIS3_PlPS5_mZN2at6native12_GLOBAL__N_124unique_dim_cuda_templateIN3c104HalfEEESt5tupleIJNSA_6TensorESH_SH_EERKSH_lbbbEUlllE_EE10hipError_tT0_T1_T2_jT3_P12ihipStream_tbPNSt15iterator_traitsISN_E10value_typeEPNST_ISO_E10value_typeEPSP_NS1_7vsmem_tEENKUlT_SN_SO_SP_E_clIS8_S8_S9_S9_EESM_S12_SN_SO_SP_EUlS12_E0_NS1_11comp_targetILNS1_3genE8ELNS1_11target_archE1030ELNS1_3gpuE2ELNS1_3repE0EEENS1_38merge_mergepath_config_static_selectorELNS0_4arch9wavefront6targetE1EEEvSO_,@function
_ZN7rocprim17ROCPRIM_400000_NS6detail17trampoline_kernelINS0_14default_configENS1_38merge_sort_block_merge_config_selectorIlNS0_10empty_typeEEEZZNS1_27merge_sort_block_merge_implIS3_PlPS5_mZN2at6native12_GLOBAL__N_124unique_dim_cuda_templateIN3c104HalfEEESt5tupleIJNSA_6TensorESH_SH_EERKSH_lbbbEUlllE_EE10hipError_tT0_T1_T2_jT3_P12ihipStream_tbPNSt15iterator_traitsISN_E10value_typeEPNST_ISO_E10value_typeEPSP_NS1_7vsmem_tEENKUlT_SN_SO_SP_E_clIS8_S8_S9_S9_EESM_S12_SN_SO_SP_EUlS12_E0_NS1_11comp_targetILNS1_3genE8ELNS1_11target_archE1030ELNS1_3gpuE2ELNS1_3repE0EEENS1_38merge_mergepath_config_static_selectorELNS0_4arch9wavefront6targetE1EEEvSO_: ; @_ZN7rocprim17ROCPRIM_400000_NS6detail17trampoline_kernelINS0_14default_configENS1_38merge_sort_block_merge_config_selectorIlNS0_10empty_typeEEEZZNS1_27merge_sort_block_merge_implIS3_PlPS5_mZN2at6native12_GLOBAL__N_124unique_dim_cuda_templateIN3c104HalfEEESt5tupleIJNSA_6TensorESH_SH_EERKSH_lbbbEUlllE_EE10hipError_tT0_T1_T2_jT3_P12ihipStream_tbPNSt15iterator_traitsISN_E10value_typeEPNST_ISO_E10value_typeEPSP_NS1_7vsmem_tEENKUlT_SN_SO_SP_E_clIS8_S8_S9_S9_EESM_S12_SN_SO_SP_EUlS12_E0_NS1_11comp_targetILNS1_3genE8ELNS1_11target_archE1030ELNS1_3gpuE2ELNS1_3repE0EEENS1_38merge_mergepath_config_static_selectorELNS0_4arch9wavefront6targetE1EEEvSO_
; %bb.0:
	.section	.rodata,"a",@progbits
	.p2align	6, 0x0
	.amdhsa_kernel _ZN7rocprim17ROCPRIM_400000_NS6detail17trampoline_kernelINS0_14default_configENS1_38merge_sort_block_merge_config_selectorIlNS0_10empty_typeEEEZZNS1_27merge_sort_block_merge_implIS3_PlPS5_mZN2at6native12_GLOBAL__N_124unique_dim_cuda_templateIN3c104HalfEEESt5tupleIJNSA_6TensorESH_SH_EERKSH_lbbbEUlllE_EE10hipError_tT0_T1_T2_jT3_P12ihipStream_tbPNSt15iterator_traitsISN_E10value_typeEPNST_ISO_E10value_typeEPSP_NS1_7vsmem_tEENKUlT_SN_SO_SP_E_clIS8_S8_S9_S9_EESM_S12_SN_SO_SP_EUlS12_E0_NS1_11comp_targetILNS1_3genE8ELNS1_11target_archE1030ELNS1_3gpuE2ELNS1_3repE0EEENS1_38merge_mergepath_config_static_selectorELNS0_4arch9wavefront6targetE1EEEvSO_
		.amdhsa_group_segment_fixed_size 0
		.amdhsa_private_segment_fixed_size 0
		.amdhsa_kernarg_size 88
		.amdhsa_user_sgpr_count 6
		.amdhsa_user_sgpr_private_segment_buffer 1
		.amdhsa_user_sgpr_dispatch_ptr 0
		.amdhsa_user_sgpr_queue_ptr 0
		.amdhsa_user_sgpr_kernarg_segment_ptr 1
		.amdhsa_user_sgpr_dispatch_id 0
		.amdhsa_user_sgpr_flat_scratch_init 0
		.amdhsa_user_sgpr_kernarg_preload_length 0
		.amdhsa_user_sgpr_kernarg_preload_offset 0
		.amdhsa_user_sgpr_private_segment_size 0
		.amdhsa_uses_dynamic_stack 0
		.amdhsa_system_sgpr_private_segment_wavefront_offset 0
		.amdhsa_system_sgpr_workgroup_id_x 1
		.amdhsa_system_sgpr_workgroup_id_y 0
		.amdhsa_system_sgpr_workgroup_id_z 0
		.amdhsa_system_sgpr_workgroup_info 0
		.amdhsa_system_vgpr_workitem_id 0
		.amdhsa_next_free_vgpr 1
		.amdhsa_next_free_sgpr 0
		.amdhsa_accum_offset 4
		.amdhsa_reserve_vcc 0
		.amdhsa_reserve_flat_scratch 0
		.amdhsa_float_round_mode_32 0
		.amdhsa_float_round_mode_16_64 0
		.amdhsa_float_denorm_mode_32 3
		.amdhsa_float_denorm_mode_16_64 3
		.amdhsa_dx10_clamp 1
		.amdhsa_ieee_mode 1
		.amdhsa_fp16_overflow 0
		.amdhsa_tg_split 0
		.amdhsa_exception_fp_ieee_invalid_op 0
		.amdhsa_exception_fp_denorm_src 0
		.amdhsa_exception_fp_ieee_div_zero 0
		.amdhsa_exception_fp_ieee_overflow 0
		.amdhsa_exception_fp_ieee_underflow 0
		.amdhsa_exception_fp_ieee_inexact 0
		.amdhsa_exception_int_div_zero 0
	.end_amdhsa_kernel
	.section	.text._ZN7rocprim17ROCPRIM_400000_NS6detail17trampoline_kernelINS0_14default_configENS1_38merge_sort_block_merge_config_selectorIlNS0_10empty_typeEEEZZNS1_27merge_sort_block_merge_implIS3_PlPS5_mZN2at6native12_GLOBAL__N_124unique_dim_cuda_templateIN3c104HalfEEESt5tupleIJNSA_6TensorESH_SH_EERKSH_lbbbEUlllE_EE10hipError_tT0_T1_T2_jT3_P12ihipStream_tbPNSt15iterator_traitsISN_E10value_typeEPNST_ISO_E10value_typeEPSP_NS1_7vsmem_tEENKUlT_SN_SO_SP_E_clIS8_S8_S9_S9_EESM_S12_SN_SO_SP_EUlS12_E0_NS1_11comp_targetILNS1_3genE8ELNS1_11target_archE1030ELNS1_3gpuE2ELNS1_3repE0EEENS1_38merge_mergepath_config_static_selectorELNS0_4arch9wavefront6targetE1EEEvSO_,"axG",@progbits,_ZN7rocprim17ROCPRIM_400000_NS6detail17trampoline_kernelINS0_14default_configENS1_38merge_sort_block_merge_config_selectorIlNS0_10empty_typeEEEZZNS1_27merge_sort_block_merge_implIS3_PlPS5_mZN2at6native12_GLOBAL__N_124unique_dim_cuda_templateIN3c104HalfEEESt5tupleIJNSA_6TensorESH_SH_EERKSH_lbbbEUlllE_EE10hipError_tT0_T1_T2_jT3_P12ihipStream_tbPNSt15iterator_traitsISN_E10value_typeEPNST_ISO_E10value_typeEPSP_NS1_7vsmem_tEENKUlT_SN_SO_SP_E_clIS8_S8_S9_S9_EESM_S12_SN_SO_SP_EUlS12_E0_NS1_11comp_targetILNS1_3genE8ELNS1_11target_archE1030ELNS1_3gpuE2ELNS1_3repE0EEENS1_38merge_mergepath_config_static_selectorELNS0_4arch9wavefront6targetE1EEEvSO_,comdat
.Lfunc_end1261:
	.size	_ZN7rocprim17ROCPRIM_400000_NS6detail17trampoline_kernelINS0_14default_configENS1_38merge_sort_block_merge_config_selectorIlNS0_10empty_typeEEEZZNS1_27merge_sort_block_merge_implIS3_PlPS5_mZN2at6native12_GLOBAL__N_124unique_dim_cuda_templateIN3c104HalfEEESt5tupleIJNSA_6TensorESH_SH_EERKSH_lbbbEUlllE_EE10hipError_tT0_T1_T2_jT3_P12ihipStream_tbPNSt15iterator_traitsISN_E10value_typeEPNST_ISO_E10value_typeEPSP_NS1_7vsmem_tEENKUlT_SN_SO_SP_E_clIS8_S8_S9_S9_EESM_S12_SN_SO_SP_EUlS12_E0_NS1_11comp_targetILNS1_3genE8ELNS1_11target_archE1030ELNS1_3gpuE2ELNS1_3repE0EEENS1_38merge_mergepath_config_static_selectorELNS0_4arch9wavefront6targetE1EEEvSO_, .Lfunc_end1261-_ZN7rocprim17ROCPRIM_400000_NS6detail17trampoline_kernelINS0_14default_configENS1_38merge_sort_block_merge_config_selectorIlNS0_10empty_typeEEEZZNS1_27merge_sort_block_merge_implIS3_PlPS5_mZN2at6native12_GLOBAL__N_124unique_dim_cuda_templateIN3c104HalfEEESt5tupleIJNSA_6TensorESH_SH_EERKSH_lbbbEUlllE_EE10hipError_tT0_T1_T2_jT3_P12ihipStream_tbPNSt15iterator_traitsISN_E10value_typeEPNST_ISO_E10value_typeEPSP_NS1_7vsmem_tEENKUlT_SN_SO_SP_E_clIS8_S8_S9_S9_EESM_S12_SN_SO_SP_EUlS12_E0_NS1_11comp_targetILNS1_3genE8ELNS1_11target_archE1030ELNS1_3gpuE2ELNS1_3repE0EEENS1_38merge_mergepath_config_static_selectorELNS0_4arch9wavefront6targetE1EEEvSO_
                                        ; -- End function
	.section	.AMDGPU.csdata,"",@progbits
; Kernel info:
; codeLenInByte = 0
; NumSgprs: 4
; NumVgprs: 0
; NumAgprs: 0
; TotalNumVgprs: 0
; ScratchSize: 0
; MemoryBound: 0
; FloatMode: 240
; IeeeMode: 1
; LDSByteSize: 0 bytes/workgroup (compile time only)
; SGPRBlocks: 0
; VGPRBlocks: 0
; NumSGPRsForWavesPerEU: 4
; NumVGPRsForWavesPerEU: 1
; AccumOffset: 4
; Occupancy: 8
; WaveLimiterHint : 0
; COMPUTE_PGM_RSRC2:SCRATCH_EN: 0
; COMPUTE_PGM_RSRC2:USER_SGPR: 6
; COMPUTE_PGM_RSRC2:TRAP_HANDLER: 0
; COMPUTE_PGM_RSRC2:TGID_X_EN: 1
; COMPUTE_PGM_RSRC2:TGID_Y_EN: 0
; COMPUTE_PGM_RSRC2:TGID_Z_EN: 0
; COMPUTE_PGM_RSRC2:TIDIG_COMP_CNT: 0
; COMPUTE_PGM_RSRC3_GFX90A:ACCUM_OFFSET: 0
; COMPUTE_PGM_RSRC3_GFX90A:TG_SPLIT: 0
	.section	.text._ZN7rocprim17ROCPRIM_400000_NS6detail17trampoline_kernelINS0_14default_configENS1_38merge_sort_block_merge_config_selectorIlNS0_10empty_typeEEEZZNS1_27merge_sort_block_merge_implIS3_PlPS5_mZN2at6native12_GLOBAL__N_124unique_dim_cuda_templateIN3c104HalfEEESt5tupleIJNSA_6TensorESH_SH_EERKSH_lbbbEUlllE_EE10hipError_tT0_T1_T2_jT3_P12ihipStream_tbPNSt15iterator_traitsISN_E10value_typeEPNST_ISO_E10value_typeEPSP_NS1_7vsmem_tEENKUlT_SN_SO_SP_E_clIS8_S8_S9_S9_EESM_S12_SN_SO_SP_EUlS12_E1_NS1_11comp_targetILNS1_3genE0ELNS1_11target_archE4294967295ELNS1_3gpuE0ELNS1_3repE0EEENS1_36merge_oddeven_config_static_selectorELNS0_4arch9wavefront6targetE1EEEvSO_,"axG",@progbits,_ZN7rocprim17ROCPRIM_400000_NS6detail17trampoline_kernelINS0_14default_configENS1_38merge_sort_block_merge_config_selectorIlNS0_10empty_typeEEEZZNS1_27merge_sort_block_merge_implIS3_PlPS5_mZN2at6native12_GLOBAL__N_124unique_dim_cuda_templateIN3c104HalfEEESt5tupleIJNSA_6TensorESH_SH_EERKSH_lbbbEUlllE_EE10hipError_tT0_T1_T2_jT3_P12ihipStream_tbPNSt15iterator_traitsISN_E10value_typeEPNST_ISO_E10value_typeEPSP_NS1_7vsmem_tEENKUlT_SN_SO_SP_E_clIS8_S8_S9_S9_EESM_S12_SN_SO_SP_EUlS12_E1_NS1_11comp_targetILNS1_3genE0ELNS1_11target_archE4294967295ELNS1_3gpuE0ELNS1_3repE0EEENS1_36merge_oddeven_config_static_selectorELNS0_4arch9wavefront6targetE1EEEvSO_,comdat
	.globl	_ZN7rocprim17ROCPRIM_400000_NS6detail17trampoline_kernelINS0_14default_configENS1_38merge_sort_block_merge_config_selectorIlNS0_10empty_typeEEEZZNS1_27merge_sort_block_merge_implIS3_PlPS5_mZN2at6native12_GLOBAL__N_124unique_dim_cuda_templateIN3c104HalfEEESt5tupleIJNSA_6TensorESH_SH_EERKSH_lbbbEUlllE_EE10hipError_tT0_T1_T2_jT3_P12ihipStream_tbPNSt15iterator_traitsISN_E10value_typeEPNST_ISO_E10value_typeEPSP_NS1_7vsmem_tEENKUlT_SN_SO_SP_E_clIS8_S8_S9_S9_EESM_S12_SN_SO_SP_EUlS12_E1_NS1_11comp_targetILNS1_3genE0ELNS1_11target_archE4294967295ELNS1_3gpuE0ELNS1_3repE0EEENS1_36merge_oddeven_config_static_selectorELNS0_4arch9wavefront6targetE1EEEvSO_ ; -- Begin function _ZN7rocprim17ROCPRIM_400000_NS6detail17trampoline_kernelINS0_14default_configENS1_38merge_sort_block_merge_config_selectorIlNS0_10empty_typeEEEZZNS1_27merge_sort_block_merge_implIS3_PlPS5_mZN2at6native12_GLOBAL__N_124unique_dim_cuda_templateIN3c104HalfEEESt5tupleIJNSA_6TensorESH_SH_EERKSH_lbbbEUlllE_EE10hipError_tT0_T1_T2_jT3_P12ihipStream_tbPNSt15iterator_traitsISN_E10value_typeEPNST_ISO_E10value_typeEPSP_NS1_7vsmem_tEENKUlT_SN_SO_SP_E_clIS8_S8_S9_S9_EESM_S12_SN_SO_SP_EUlS12_E1_NS1_11comp_targetILNS1_3genE0ELNS1_11target_archE4294967295ELNS1_3gpuE0ELNS1_3repE0EEENS1_36merge_oddeven_config_static_selectorELNS0_4arch9wavefront6targetE1EEEvSO_
	.p2align	8
	.type	_ZN7rocprim17ROCPRIM_400000_NS6detail17trampoline_kernelINS0_14default_configENS1_38merge_sort_block_merge_config_selectorIlNS0_10empty_typeEEEZZNS1_27merge_sort_block_merge_implIS3_PlPS5_mZN2at6native12_GLOBAL__N_124unique_dim_cuda_templateIN3c104HalfEEESt5tupleIJNSA_6TensorESH_SH_EERKSH_lbbbEUlllE_EE10hipError_tT0_T1_T2_jT3_P12ihipStream_tbPNSt15iterator_traitsISN_E10value_typeEPNST_ISO_E10value_typeEPSP_NS1_7vsmem_tEENKUlT_SN_SO_SP_E_clIS8_S8_S9_S9_EESM_S12_SN_SO_SP_EUlS12_E1_NS1_11comp_targetILNS1_3genE0ELNS1_11target_archE4294967295ELNS1_3gpuE0ELNS1_3repE0EEENS1_36merge_oddeven_config_static_selectorELNS0_4arch9wavefront6targetE1EEEvSO_,@function
_ZN7rocprim17ROCPRIM_400000_NS6detail17trampoline_kernelINS0_14default_configENS1_38merge_sort_block_merge_config_selectorIlNS0_10empty_typeEEEZZNS1_27merge_sort_block_merge_implIS3_PlPS5_mZN2at6native12_GLOBAL__N_124unique_dim_cuda_templateIN3c104HalfEEESt5tupleIJNSA_6TensorESH_SH_EERKSH_lbbbEUlllE_EE10hipError_tT0_T1_T2_jT3_P12ihipStream_tbPNSt15iterator_traitsISN_E10value_typeEPNST_ISO_E10value_typeEPSP_NS1_7vsmem_tEENKUlT_SN_SO_SP_E_clIS8_S8_S9_S9_EESM_S12_SN_SO_SP_EUlS12_E1_NS1_11comp_targetILNS1_3genE0ELNS1_11target_archE4294967295ELNS1_3gpuE0ELNS1_3repE0EEENS1_36merge_oddeven_config_static_selectorELNS0_4arch9wavefront6targetE1EEEvSO_: ; @_ZN7rocprim17ROCPRIM_400000_NS6detail17trampoline_kernelINS0_14default_configENS1_38merge_sort_block_merge_config_selectorIlNS0_10empty_typeEEEZZNS1_27merge_sort_block_merge_implIS3_PlPS5_mZN2at6native12_GLOBAL__N_124unique_dim_cuda_templateIN3c104HalfEEESt5tupleIJNSA_6TensorESH_SH_EERKSH_lbbbEUlllE_EE10hipError_tT0_T1_T2_jT3_P12ihipStream_tbPNSt15iterator_traitsISN_E10value_typeEPNST_ISO_E10value_typeEPSP_NS1_7vsmem_tEENKUlT_SN_SO_SP_E_clIS8_S8_S9_S9_EESM_S12_SN_SO_SP_EUlS12_E1_NS1_11comp_targetILNS1_3genE0ELNS1_11target_archE4294967295ELNS1_3gpuE0ELNS1_3repE0EEENS1_36merge_oddeven_config_static_selectorELNS0_4arch9wavefront6targetE1EEEvSO_
; %bb.0:
	.section	.rodata,"a",@progbits
	.p2align	6, 0x0
	.amdhsa_kernel _ZN7rocprim17ROCPRIM_400000_NS6detail17trampoline_kernelINS0_14default_configENS1_38merge_sort_block_merge_config_selectorIlNS0_10empty_typeEEEZZNS1_27merge_sort_block_merge_implIS3_PlPS5_mZN2at6native12_GLOBAL__N_124unique_dim_cuda_templateIN3c104HalfEEESt5tupleIJNSA_6TensorESH_SH_EERKSH_lbbbEUlllE_EE10hipError_tT0_T1_T2_jT3_P12ihipStream_tbPNSt15iterator_traitsISN_E10value_typeEPNST_ISO_E10value_typeEPSP_NS1_7vsmem_tEENKUlT_SN_SO_SP_E_clIS8_S8_S9_S9_EESM_S12_SN_SO_SP_EUlS12_E1_NS1_11comp_targetILNS1_3genE0ELNS1_11target_archE4294967295ELNS1_3gpuE0ELNS1_3repE0EEENS1_36merge_oddeven_config_static_selectorELNS0_4arch9wavefront6targetE1EEEvSO_
		.amdhsa_group_segment_fixed_size 0
		.amdhsa_private_segment_fixed_size 0
		.amdhsa_kernarg_size 64
		.amdhsa_user_sgpr_count 6
		.amdhsa_user_sgpr_private_segment_buffer 1
		.amdhsa_user_sgpr_dispatch_ptr 0
		.amdhsa_user_sgpr_queue_ptr 0
		.amdhsa_user_sgpr_kernarg_segment_ptr 1
		.amdhsa_user_sgpr_dispatch_id 0
		.amdhsa_user_sgpr_flat_scratch_init 0
		.amdhsa_user_sgpr_kernarg_preload_length 0
		.amdhsa_user_sgpr_kernarg_preload_offset 0
		.amdhsa_user_sgpr_private_segment_size 0
		.amdhsa_uses_dynamic_stack 0
		.amdhsa_system_sgpr_private_segment_wavefront_offset 0
		.amdhsa_system_sgpr_workgroup_id_x 1
		.amdhsa_system_sgpr_workgroup_id_y 0
		.amdhsa_system_sgpr_workgroup_id_z 0
		.amdhsa_system_sgpr_workgroup_info 0
		.amdhsa_system_vgpr_workitem_id 0
		.amdhsa_next_free_vgpr 1
		.amdhsa_next_free_sgpr 0
		.amdhsa_accum_offset 4
		.amdhsa_reserve_vcc 0
		.amdhsa_reserve_flat_scratch 0
		.amdhsa_float_round_mode_32 0
		.amdhsa_float_round_mode_16_64 0
		.amdhsa_float_denorm_mode_32 3
		.amdhsa_float_denorm_mode_16_64 3
		.amdhsa_dx10_clamp 1
		.amdhsa_ieee_mode 1
		.amdhsa_fp16_overflow 0
		.amdhsa_tg_split 0
		.amdhsa_exception_fp_ieee_invalid_op 0
		.amdhsa_exception_fp_denorm_src 0
		.amdhsa_exception_fp_ieee_div_zero 0
		.amdhsa_exception_fp_ieee_overflow 0
		.amdhsa_exception_fp_ieee_underflow 0
		.amdhsa_exception_fp_ieee_inexact 0
		.amdhsa_exception_int_div_zero 0
	.end_amdhsa_kernel
	.section	.text._ZN7rocprim17ROCPRIM_400000_NS6detail17trampoline_kernelINS0_14default_configENS1_38merge_sort_block_merge_config_selectorIlNS0_10empty_typeEEEZZNS1_27merge_sort_block_merge_implIS3_PlPS5_mZN2at6native12_GLOBAL__N_124unique_dim_cuda_templateIN3c104HalfEEESt5tupleIJNSA_6TensorESH_SH_EERKSH_lbbbEUlllE_EE10hipError_tT0_T1_T2_jT3_P12ihipStream_tbPNSt15iterator_traitsISN_E10value_typeEPNST_ISO_E10value_typeEPSP_NS1_7vsmem_tEENKUlT_SN_SO_SP_E_clIS8_S8_S9_S9_EESM_S12_SN_SO_SP_EUlS12_E1_NS1_11comp_targetILNS1_3genE0ELNS1_11target_archE4294967295ELNS1_3gpuE0ELNS1_3repE0EEENS1_36merge_oddeven_config_static_selectorELNS0_4arch9wavefront6targetE1EEEvSO_,"axG",@progbits,_ZN7rocprim17ROCPRIM_400000_NS6detail17trampoline_kernelINS0_14default_configENS1_38merge_sort_block_merge_config_selectorIlNS0_10empty_typeEEEZZNS1_27merge_sort_block_merge_implIS3_PlPS5_mZN2at6native12_GLOBAL__N_124unique_dim_cuda_templateIN3c104HalfEEESt5tupleIJNSA_6TensorESH_SH_EERKSH_lbbbEUlllE_EE10hipError_tT0_T1_T2_jT3_P12ihipStream_tbPNSt15iterator_traitsISN_E10value_typeEPNST_ISO_E10value_typeEPSP_NS1_7vsmem_tEENKUlT_SN_SO_SP_E_clIS8_S8_S9_S9_EESM_S12_SN_SO_SP_EUlS12_E1_NS1_11comp_targetILNS1_3genE0ELNS1_11target_archE4294967295ELNS1_3gpuE0ELNS1_3repE0EEENS1_36merge_oddeven_config_static_selectorELNS0_4arch9wavefront6targetE1EEEvSO_,comdat
.Lfunc_end1262:
	.size	_ZN7rocprim17ROCPRIM_400000_NS6detail17trampoline_kernelINS0_14default_configENS1_38merge_sort_block_merge_config_selectorIlNS0_10empty_typeEEEZZNS1_27merge_sort_block_merge_implIS3_PlPS5_mZN2at6native12_GLOBAL__N_124unique_dim_cuda_templateIN3c104HalfEEESt5tupleIJNSA_6TensorESH_SH_EERKSH_lbbbEUlllE_EE10hipError_tT0_T1_T2_jT3_P12ihipStream_tbPNSt15iterator_traitsISN_E10value_typeEPNST_ISO_E10value_typeEPSP_NS1_7vsmem_tEENKUlT_SN_SO_SP_E_clIS8_S8_S9_S9_EESM_S12_SN_SO_SP_EUlS12_E1_NS1_11comp_targetILNS1_3genE0ELNS1_11target_archE4294967295ELNS1_3gpuE0ELNS1_3repE0EEENS1_36merge_oddeven_config_static_selectorELNS0_4arch9wavefront6targetE1EEEvSO_, .Lfunc_end1262-_ZN7rocprim17ROCPRIM_400000_NS6detail17trampoline_kernelINS0_14default_configENS1_38merge_sort_block_merge_config_selectorIlNS0_10empty_typeEEEZZNS1_27merge_sort_block_merge_implIS3_PlPS5_mZN2at6native12_GLOBAL__N_124unique_dim_cuda_templateIN3c104HalfEEESt5tupleIJNSA_6TensorESH_SH_EERKSH_lbbbEUlllE_EE10hipError_tT0_T1_T2_jT3_P12ihipStream_tbPNSt15iterator_traitsISN_E10value_typeEPNST_ISO_E10value_typeEPSP_NS1_7vsmem_tEENKUlT_SN_SO_SP_E_clIS8_S8_S9_S9_EESM_S12_SN_SO_SP_EUlS12_E1_NS1_11comp_targetILNS1_3genE0ELNS1_11target_archE4294967295ELNS1_3gpuE0ELNS1_3repE0EEENS1_36merge_oddeven_config_static_selectorELNS0_4arch9wavefront6targetE1EEEvSO_
                                        ; -- End function
	.section	.AMDGPU.csdata,"",@progbits
; Kernel info:
; codeLenInByte = 0
; NumSgprs: 4
; NumVgprs: 0
; NumAgprs: 0
; TotalNumVgprs: 0
; ScratchSize: 0
; MemoryBound: 0
; FloatMode: 240
; IeeeMode: 1
; LDSByteSize: 0 bytes/workgroup (compile time only)
; SGPRBlocks: 0
; VGPRBlocks: 0
; NumSGPRsForWavesPerEU: 4
; NumVGPRsForWavesPerEU: 1
; AccumOffset: 4
; Occupancy: 8
; WaveLimiterHint : 0
; COMPUTE_PGM_RSRC2:SCRATCH_EN: 0
; COMPUTE_PGM_RSRC2:USER_SGPR: 6
; COMPUTE_PGM_RSRC2:TRAP_HANDLER: 0
; COMPUTE_PGM_RSRC2:TGID_X_EN: 1
; COMPUTE_PGM_RSRC2:TGID_Y_EN: 0
; COMPUTE_PGM_RSRC2:TGID_Z_EN: 0
; COMPUTE_PGM_RSRC2:TIDIG_COMP_CNT: 0
; COMPUTE_PGM_RSRC3_GFX90A:ACCUM_OFFSET: 0
; COMPUTE_PGM_RSRC3_GFX90A:TG_SPLIT: 0
	.section	.text._ZN7rocprim17ROCPRIM_400000_NS6detail17trampoline_kernelINS0_14default_configENS1_38merge_sort_block_merge_config_selectorIlNS0_10empty_typeEEEZZNS1_27merge_sort_block_merge_implIS3_PlPS5_mZN2at6native12_GLOBAL__N_124unique_dim_cuda_templateIN3c104HalfEEESt5tupleIJNSA_6TensorESH_SH_EERKSH_lbbbEUlllE_EE10hipError_tT0_T1_T2_jT3_P12ihipStream_tbPNSt15iterator_traitsISN_E10value_typeEPNST_ISO_E10value_typeEPSP_NS1_7vsmem_tEENKUlT_SN_SO_SP_E_clIS8_S8_S9_S9_EESM_S12_SN_SO_SP_EUlS12_E1_NS1_11comp_targetILNS1_3genE10ELNS1_11target_archE1201ELNS1_3gpuE5ELNS1_3repE0EEENS1_36merge_oddeven_config_static_selectorELNS0_4arch9wavefront6targetE1EEEvSO_,"axG",@progbits,_ZN7rocprim17ROCPRIM_400000_NS6detail17trampoline_kernelINS0_14default_configENS1_38merge_sort_block_merge_config_selectorIlNS0_10empty_typeEEEZZNS1_27merge_sort_block_merge_implIS3_PlPS5_mZN2at6native12_GLOBAL__N_124unique_dim_cuda_templateIN3c104HalfEEESt5tupleIJNSA_6TensorESH_SH_EERKSH_lbbbEUlllE_EE10hipError_tT0_T1_T2_jT3_P12ihipStream_tbPNSt15iterator_traitsISN_E10value_typeEPNST_ISO_E10value_typeEPSP_NS1_7vsmem_tEENKUlT_SN_SO_SP_E_clIS8_S8_S9_S9_EESM_S12_SN_SO_SP_EUlS12_E1_NS1_11comp_targetILNS1_3genE10ELNS1_11target_archE1201ELNS1_3gpuE5ELNS1_3repE0EEENS1_36merge_oddeven_config_static_selectorELNS0_4arch9wavefront6targetE1EEEvSO_,comdat
	.globl	_ZN7rocprim17ROCPRIM_400000_NS6detail17trampoline_kernelINS0_14default_configENS1_38merge_sort_block_merge_config_selectorIlNS0_10empty_typeEEEZZNS1_27merge_sort_block_merge_implIS3_PlPS5_mZN2at6native12_GLOBAL__N_124unique_dim_cuda_templateIN3c104HalfEEESt5tupleIJNSA_6TensorESH_SH_EERKSH_lbbbEUlllE_EE10hipError_tT0_T1_T2_jT3_P12ihipStream_tbPNSt15iterator_traitsISN_E10value_typeEPNST_ISO_E10value_typeEPSP_NS1_7vsmem_tEENKUlT_SN_SO_SP_E_clIS8_S8_S9_S9_EESM_S12_SN_SO_SP_EUlS12_E1_NS1_11comp_targetILNS1_3genE10ELNS1_11target_archE1201ELNS1_3gpuE5ELNS1_3repE0EEENS1_36merge_oddeven_config_static_selectorELNS0_4arch9wavefront6targetE1EEEvSO_ ; -- Begin function _ZN7rocprim17ROCPRIM_400000_NS6detail17trampoline_kernelINS0_14default_configENS1_38merge_sort_block_merge_config_selectorIlNS0_10empty_typeEEEZZNS1_27merge_sort_block_merge_implIS3_PlPS5_mZN2at6native12_GLOBAL__N_124unique_dim_cuda_templateIN3c104HalfEEESt5tupleIJNSA_6TensorESH_SH_EERKSH_lbbbEUlllE_EE10hipError_tT0_T1_T2_jT3_P12ihipStream_tbPNSt15iterator_traitsISN_E10value_typeEPNST_ISO_E10value_typeEPSP_NS1_7vsmem_tEENKUlT_SN_SO_SP_E_clIS8_S8_S9_S9_EESM_S12_SN_SO_SP_EUlS12_E1_NS1_11comp_targetILNS1_3genE10ELNS1_11target_archE1201ELNS1_3gpuE5ELNS1_3repE0EEENS1_36merge_oddeven_config_static_selectorELNS0_4arch9wavefront6targetE1EEEvSO_
	.p2align	8
	.type	_ZN7rocprim17ROCPRIM_400000_NS6detail17trampoline_kernelINS0_14default_configENS1_38merge_sort_block_merge_config_selectorIlNS0_10empty_typeEEEZZNS1_27merge_sort_block_merge_implIS3_PlPS5_mZN2at6native12_GLOBAL__N_124unique_dim_cuda_templateIN3c104HalfEEESt5tupleIJNSA_6TensorESH_SH_EERKSH_lbbbEUlllE_EE10hipError_tT0_T1_T2_jT3_P12ihipStream_tbPNSt15iterator_traitsISN_E10value_typeEPNST_ISO_E10value_typeEPSP_NS1_7vsmem_tEENKUlT_SN_SO_SP_E_clIS8_S8_S9_S9_EESM_S12_SN_SO_SP_EUlS12_E1_NS1_11comp_targetILNS1_3genE10ELNS1_11target_archE1201ELNS1_3gpuE5ELNS1_3repE0EEENS1_36merge_oddeven_config_static_selectorELNS0_4arch9wavefront6targetE1EEEvSO_,@function
_ZN7rocprim17ROCPRIM_400000_NS6detail17trampoline_kernelINS0_14default_configENS1_38merge_sort_block_merge_config_selectorIlNS0_10empty_typeEEEZZNS1_27merge_sort_block_merge_implIS3_PlPS5_mZN2at6native12_GLOBAL__N_124unique_dim_cuda_templateIN3c104HalfEEESt5tupleIJNSA_6TensorESH_SH_EERKSH_lbbbEUlllE_EE10hipError_tT0_T1_T2_jT3_P12ihipStream_tbPNSt15iterator_traitsISN_E10value_typeEPNST_ISO_E10value_typeEPSP_NS1_7vsmem_tEENKUlT_SN_SO_SP_E_clIS8_S8_S9_S9_EESM_S12_SN_SO_SP_EUlS12_E1_NS1_11comp_targetILNS1_3genE10ELNS1_11target_archE1201ELNS1_3gpuE5ELNS1_3repE0EEENS1_36merge_oddeven_config_static_selectorELNS0_4arch9wavefront6targetE1EEEvSO_: ; @_ZN7rocprim17ROCPRIM_400000_NS6detail17trampoline_kernelINS0_14default_configENS1_38merge_sort_block_merge_config_selectorIlNS0_10empty_typeEEEZZNS1_27merge_sort_block_merge_implIS3_PlPS5_mZN2at6native12_GLOBAL__N_124unique_dim_cuda_templateIN3c104HalfEEESt5tupleIJNSA_6TensorESH_SH_EERKSH_lbbbEUlllE_EE10hipError_tT0_T1_T2_jT3_P12ihipStream_tbPNSt15iterator_traitsISN_E10value_typeEPNST_ISO_E10value_typeEPSP_NS1_7vsmem_tEENKUlT_SN_SO_SP_E_clIS8_S8_S9_S9_EESM_S12_SN_SO_SP_EUlS12_E1_NS1_11comp_targetILNS1_3genE10ELNS1_11target_archE1201ELNS1_3gpuE5ELNS1_3repE0EEENS1_36merge_oddeven_config_static_selectorELNS0_4arch9wavefront6targetE1EEEvSO_
; %bb.0:
	.section	.rodata,"a",@progbits
	.p2align	6, 0x0
	.amdhsa_kernel _ZN7rocprim17ROCPRIM_400000_NS6detail17trampoline_kernelINS0_14default_configENS1_38merge_sort_block_merge_config_selectorIlNS0_10empty_typeEEEZZNS1_27merge_sort_block_merge_implIS3_PlPS5_mZN2at6native12_GLOBAL__N_124unique_dim_cuda_templateIN3c104HalfEEESt5tupleIJNSA_6TensorESH_SH_EERKSH_lbbbEUlllE_EE10hipError_tT0_T1_T2_jT3_P12ihipStream_tbPNSt15iterator_traitsISN_E10value_typeEPNST_ISO_E10value_typeEPSP_NS1_7vsmem_tEENKUlT_SN_SO_SP_E_clIS8_S8_S9_S9_EESM_S12_SN_SO_SP_EUlS12_E1_NS1_11comp_targetILNS1_3genE10ELNS1_11target_archE1201ELNS1_3gpuE5ELNS1_3repE0EEENS1_36merge_oddeven_config_static_selectorELNS0_4arch9wavefront6targetE1EEEvSO_
		.amdhsa_group_segment_fixed_size 0
		.amdhsa_private_segment_fixed_size 0
		.amdhsa_kernarg_size 64
		.amdhsa_user_sgpr_count 6
		.amdhsa_user_sgpr_private_segment_buffer 1
		.amdhsa_user_sgpr_dispatch_ptr 0
		.amdhsa_user_sgpr_queue_ptr 0
		.amdhsa_user_sgpr_kernarg_segment_ptr 1
		.amdhsa_user_sgpr_dispatch_id 0
		.amdhsa_user_sgpr_flat_scratch_init 0
		.amdhsa_user_sgpr_kernarg_preload_length 0
		.amdhsa_user_sgpr_kernarg_preload_offset 0
		.amdhsa_user_sgpr_private_segment_size 0
		.amdhsa_uses_dynamic_stack 0
		.amdhsa_system_sgpr_private_segment_wavefront_offset 0
		.amdhsa_system_sgpr_workgroup_id_x 1
		.amdhsa_system_sgpr_workgroup_id_y 0
		.amdhsa_system_sgpr_workgroup_id_z 0
		.amdhsa_system_sgpr_workgroup_info 0
		.amdhsa_system_vgpr_workitem_id 0
		.amdhsa_next_free_vgpr 1
		.amdhsa_next_free_sgpr 0
		.amdhsa_accum_offset 4
		.amdhsa_reserve_vcc 0
		.amdhsa_reserve_flat_scratch 0
		.amdhsa_float_round_mode_32 0
		.amdhsa_float_round_mode_16_64 0
		.amdhsa_float_denorm_mode_32 3
		.amdhsa_float_denorm_mode_16_64 3
		.amdhsa_dx10_clamp 1
		.amdhsa_ieee_mode 1
		.amdhsa_fp16_overflow 0
		.amdhsa_tg_split 0
		.amdhsa_exception_fp_ieee_invalid_op 0
		.amdhsa_exception_fp_denorm_src 0
		.amdhsa_exception_fp_ieee_div_zero 0
		.amdhsa_exception_fp_ieee_overflow 0
		.amdhsa_exception_fp_ieee_underflow 0
		.amdhsa_exception_fp_ieee_inexact 0
		.amdhsa_exception_int_div_zero 0
	.end_amdhsa_kernel
	.section	.text._ZN7rocprim17ROCPRIM_400000_NS6detail17trampoline_kernelINS0_14default_configENS1_38merge_sort_block_merge_config_selectorIlNS0_10empty_typeEEEZZNS1_27merge_sort_block_merge_implIS3_PlPS5_mZN2at6native12_GLOBAL__N_124unique_dim_cuda_templateIN3c104HalfEEESt5tupleIJNSA_6TensorESH_SH_EERKSH_lbbbEUlllE_EE10hipError_tT0_T1_T2_jT3_P12ihipStream_tbPNSt15iterator_traitsISN_E10value_typeEPNST_ISO_E10value_typeEPSP_NS1_7vsmem_tEENKUlT_SN_SO_SP_E_clIS8_S8_S9_S9_EESM_S12_SN_SO_SP_EUlS12_E1_NS1_11comp_targetILNS1_3genE10ELNS1_11target_archE1201ELNS1_3gpuE5ELNS1_3repE0EEENS1_36merge_oddeven_config_static_selectorELNS0_4arch9wavefront6targetE1EEEvSO_,"axG",@progbits,_ZN7rocprim17ROCPRIM_400000_NS6detail17trampoline_kernelINS0_14default_configENS1_38merge_sort_block_merge_config_selectorIlNS0_10empty_typeEEEZZNS1_27merge_sort_block_merge_implIS3_PlPS5_mZN2at6native12_GLOBAL__N_124unique_dim_cuda_templateIN3c104HalfEEESt5tupleIJNSA_6TensorESH_SH_EERKSH_lbbbEUlllE_EE10hipError_tT0_T1_T2_jT3_P12ihipStream_tbPNSt15iterator_traitsISN_E10value_typeEPNST_ISO_E10value_typeEPSP_NS1_7vsmem_tEENKUlT_SN_SO_SP_E_clIS8_S8_S9_S9_EESM_S12_SN_SO_SP_EUlS12_E1_NS1_11comp_targetILNS1_3genE10ELNS1_11target_archE1201ELNS1_3gpuE5ELNS1_3repE0EEENS1_36merge_oddeven_config_static_selectorELNS0_4arch9wavefront6targetE1EEEvSO_,comdat
.Lfunc_end1263:
	.size	_ZN7rocprim17ROCPRIM_400000_NS6detail17trampoline_kernelINS0_14default_configENS1_38merge_sort_block_merge_config_selectorIlNS0_10empty_typeEEEZZNS1_27merge_sort_block_merge_implIS3_PlPS5_mZN2at6native12_GLOBAL__N_124unique_dim_cuda_templateIN3c104HalfEEESt5tupleIJNSA_6TensorESH_SH_EERKSH_lbbbEUlllE_EE10hipError_tT0_T1_T2_jT3_P12ihipStream_tbPNSt15iterator_traitsISN_E10value_typeEPNST_ISO_E10value_typeEPSP_NS1_7vsmem_tEENKUlT_SN_SO_SP_E_clIS8_S8_S9_S9_EESM_S12_SN_SO_SP_EUlS12_E1_NS1_11comp_targetILNS1_3genE10ELNS1_11target_archE1201ELNS1_3gpuE5ELNS1_3repE0EEENS1_36merge_oddeven_config_static_selectorELNS0_4arch9wavefront6targetE1EEEvSO_, .Lfunc_end1263-_ZN7rocprim17ROCPRIM_400000_NS6detail17trampoline_kernelINS0_14default_configENS1_38merge_sort_block_merge_config_selectorIlNS0_10empty_typeEEEZZNS1_27merge_sort_block_merge_implIS3_PlPS5_mZN2at6native12_GLOBAL__N_124unique_dim_cuda_templateIN3c104HalfEEESt5tupleIJNSA_6TensorESH_SH_EERKSH_lbbbEUlllE_EE10hipError_tT0_T1_T2_jT3_P12ihipStream_tbPNSt15iterator_traitsISN_E10value_typeEPNST_ISO_E10value_typeEPSP_NS1_7vsmem_tEENKUlT_SN_SO_SP_E_clIS8_S8_S9_S9_EESM_S12_SN_SO_SP_EUlS12_E1_NS1_11comp_targetILNS1_3genE10ELNS1_11target_archE1201ELNS1_3gpuE5ELNS1_3repE0EEENS1_36merge_oddeven_config_static_selectorELNS0_4arch9wavefront6targetE1EEEvSO_
                                        ; -- End function
	.section	.AMDGPU.csdata,"",@progbits
; Kernel info:
; codeLenInByte = 0
; NumSgprs: 4
; NumVgprs: 0
; NumAgprs: 0
; TotalNumVgprs: 0
; ScratchSize: 0
; MemoryBound: 0
; FloatMode: 240
; IeeeMode: 1
; LDSByteSize: 0 bytes/workgroup (compile time only)
; SGPRBlocks: 0
; VGPRBlocks: 0
; NumSGPRsForWavesPerEU: 4
; NumVGPRsForWavesPerEU: 1
; AccumOffset: 4
; Occupancy: 8
; WaveLimiterHint : 0
; COMPUTE_PGM_RSRC2:SCRATCH_EN: 0
; COMPUTE_PGM_RSRC2:USER_SGPR: 6
; COMPUTE_PGM_RSRC2:TRAP_HANDLER: 0
; COMPUTE_PGM_RSRC2:TGID_X_EN: 1
; COMPUTE_PGM_RSRC2:TGID_Y_EN: 0
; COMPUTE_PGM_RSRC2:TGID_Z_EN: 0
; COMPUTE_PGM_RSRC2:TIDIG_COMP_CNT: 0
; COMPUTE_PGM_RSRC3_GFX90A:ACCUM_OFFSET: 0
; COMPUTE_PGM_RSRC3_GFX90A:TG_SPLIT: 0
	.section	.text._ZN7rocprim17ROCPRIM_400000_NS6detail17trampoline_kernelINS0_14default_configENS1_38merge_sort_block_merge_config_selectorIlNS0_10empty_typeEEEZZNS1_27merge_sort_block_merge_implIS3_PlPS5_mZN2at6native12_GLOBAL__N_124unique_dim_cuda_templateIN3c104HalfEEESt5tupleIJNSA_6TensorESH_SH_EERKSH_lbbbEUlllE_EE10hipError_tT0_T1_T2_jT3_P12ihipStream_tbPNSt15iterator_traitsISN_E10value_typeEPNST_ISO_E10value_typeEPSP_NS1_7vsmem_tEENKUlT_SN_SO_SP_E_clIS8_S8_S9_S9_EESM_S12_SN_SO_SP_EUlS12_E1_NS1_11comp_targetILNS1_3genE5ELNS1_11target_archE942ELNS1_3gpuE9ELNS1_3repE0EEENS1_36merge_oddeven_config_static_selectorELNS0_4arch9wavefront6targetE1EEEvSO_,"axG",@progbits,_ZN7rocprim17ROCPRIM_400000_NS6detail17trampoline_kernelINS0_14default_configENS1_38merge_sort_block_merge_config_selectorIlNS0_10empty_typeEEEZZNS1_27merge_sort_block_merge_implIS3_PlPS5_mZN2at6native12_GLOBAL__N_124unique_dim_cuda_templateIN3c104HalfEEESt5tupleIJNSA_6TensorESH_SH_EERKSH_lbbbEUlllE_EE10hipError_tT0_T1_T2_jT3_P12ihipStream_tbPNSt15iterator_traitsISN_E10value_typeEPNST_ISO_E10value_typeEPSP_NS1_7vsmem_tEENKUlT_SN_SO_SP_E_clIS8_S8_S9_S9_EESM_S12_SN_SO_SP_EUlS12_E1_NS1_11comp_targetILNS1_3genE5ELNS1_11target_archE942ELNS1_3gpuE9ELNS1_3repE0EEENS1_36merge_oddeven_config_static_selectorELNS0_4arch9wavefront6targetE1EEEvSO_,comdat
	.globl	_ZN7rocprim17ROCPRIM_400000_NS6detail17trampoline_kernelINS0_14default_configENS1_38merge_sort_block_merge_config_selectorIlNS0_10empty_typeEEEZZNS1_27merge_sort_block_merge_implIS3_PlPS5_mZN2at6native12_GLOBAL__N_124unique_dim_cuda_templateIN3c104HalfEEESt5tupleIJNSA_6TensorESH_SH_EERKSH_lbbbEUlllE_EE10hipError_tT0_T1_T2_jT3_P12ihipStream_tbPNSt15iterator_traitsISN_E10value_typeEPNST_ISO_E10value_typeEPSP_NS1_7vsmem_tEENKUlT_SN_SO_SP_E_clIS8_S8_S9_S9_EESM_S12_SN_SO_SP_EUlS12_E1_NS1_11comp_targetILNS1_3genE5ELNS1_11target_archE942ELNS1_3gpuE9ELNS1_3repE0EEENS1_36merge_oddeven_config_static_selectorELNS0_4arch9wavefront6targetE1EEEvSO_ ; -- Begin function _ZN7rocprim17ROCPRIM_400000_NS6detail17trampoline_kernelINS0_14default_configENS1_38merge_sort_block_merge_config_selectorIlNS0_10empty_typeEEEZZNS1_27merge_sort_block_merge_implIS3_PlPS5_mZN2at6native12_GLOBAL__N_124unique_dim_cuda_templateIN3c104HalfEEESt5tupleIJNSA_6TensorESH_SH_EERKSH_lbbbEUlllE_EE10hipError_tT0_T1_T2_jT3_P12ihipStream_tbPNSt15iterator_traitsISN_E10value_typeEPNST_ISO_E10value_typeEPSP_NS1_7vsmem_tEENKUlT_SN_SO_SP_E_clIS8_S8_S9_S9_EESM_S12_SN_SO_SP_EUlS12_E1_NS1_11comp_targetILNS1_3genE5ELNS1_11target_archE942ELNS1_3gpuE9ELNS1_3repE0EEENS1_36merge_oddeven_config_static_selectorELNS0_4arch9wavefront6targetE1EEEvSO_
	.p2align	8
	.type	_ZN7rocprim17ROCPRIM_400000_NS6detail17trampoline_kernelINS0_14default_configENS1_38merge_sort_block_merge_config_selectorIlNS0_10empty_typeEEEZZNS1_27merge_sort_block_merge_implIS3_PlPS5_mZN2at6native12_GLOBAL__N_124unique_dim_cuda_templateIN3c104HalfEEESt5tupleIJNSA_6TensorESH_SH_EERKSH_lbbbEUlllE_EE10hipError_tT0_T1_T2_jT3_P12ihipStream_tbPNSt15iterator_traitsISN_E10value_typeEPNST_ISO_E10value_typeEPSP_NS1_7vsmem_tEENKUlT_SN_SO_SP_E_clIS8_S8_S9_S9_EESM_S12_SN_SO_SP_EUlS12_E1_NS1_11comp_targetILNS1_3genE5ELNS1_11target_archE942ELNS1_3gpuE9ELNS1_3repE0EEENS1_36merge_oddeven_config_static_selectorELNS0_4arch9wavefront6targetE1EEEvSO_,@function
_ZN7rocprim17ROCPRIM_400000_NS6detail17trampoline_kernelINS0_14default_configENS1_38merge_sort_block_merge_config_selectorIlNS0_10empty_typeEEEZZNS1_27merge_sort_block_merge_implIS3_PlPS5_mZN2at6native12_GLOBAL__N_124unique_dim_cuda_templateIN3c104HalfEEESt5tupleIJNSA_6TensorESH_SH_EERKSH_lbbbEUlllE_EE10hipError_tT0_T1_T2_jT3_P12ihipStream_tbPNSt15iterator_traitsISN_E10value_typeEPNST_ISO_E10value_typeEPSP_NS1_7vsmem_tEENKUlT_SN_SO_SP_E_clIS8_S8_S9_S9_EESM_S12_SN_SO_SP_EUlS12_E1_NS1_11comp_targetILNS1_3genE5ELNS1_11target_archE942ELNS1_3gpuE9ELNS1_3repE0EEENS1_36merge_oddeven_config_static_selectorELNS0_4arch9wavefront6targetE1EEEvSO_: ; @_ZN7rocprim17ROCPRIM_400000_NS6detail17trampoline_kernelINS0_14default_configENS1_38merge_sort_block_merge_config_selectorIlNS0_10empty_typeEEEZZNS1_27merge_sort_block_merge_implIS3_PlPS5_mZN2at6native12_GLOBAL__N_124unique_dim_cuda_templateIN3c104HalfEEESt5tupleIJNSA_6TensorESH_SH_EERKSH_lbbbEUlllE_EE10hipError_tT0_T1_T2_jT3_P12ihipStream_tbPNSt15iterator_traitsISN_E10value_typeEPNST_ISO_E10value_typeEPSP_NS1_7vsmem_tEENKUlT_SN_SO_SP_E_clIS8_S8_S9_S9_EESM_S12_SN_SO_SP_EUlS12_E1_NS1_11comp_targetILNS1_3genE5ELNS1_11target_archE942ELNS1_3gpuE9ELNS1_3repE0EEENS1_36merge_oddeven_config_static_selectorELNS0_4arch9wavefront6targetE1EEEvSO_
; %bb.0:
	.section	.rodata,"a",@progbits
	.p2align	6, 0x0
	.amdhsa_kernel _ZN7rocprim17ROCPRIM_400000_NS6detail17trampoline_kernelINS0_14default_configENS1_38merge_sort_block_merge_config_selectorIlNS0_10empty_typeEEEZZNS1_27merge_sort_block_merge_implIS3_PlPS5_mZN2at6native12_GLOBAL__N_124unique_dim_cuda_templateIN3c104HalfEEESt5tupleIJNSA_6TensorESH_SH_EERKSH_lbbbEUlllE_EE10hipError_tT0_T1_T2_jT3_P12ihipStream_tbPNSt15iterator_traitsISN_E10value_typeEPNST_ISO_E10value_typeEPSP_NS1_7vsmem_tEENKUlT_SN_SO_SP_E_clIS8_S8_S9_S9_EESM_S12_SN_SO_SP_EUlS12_E1_NS1_11comp_targetILNS1_3genE5ELNS1_11target_archE942ELNS1_3gpuE9ELNS1_3repE0EEENS1_36merge_oddeven_config_static_selectorELNS0_4arch9wavefront6targetE1EEEvSO_
		.amdhsa_group_segment_fixed_size 0
		.amdhsa_private_segment_fixed_size 0
		.amdhsa_kernarg_size 64
		.amdhsa_user_sgpr_count 6
		.amdhsa_user_sgpr_private_segment_buffer 1
		.amdhsa_user_sgpr_dispatch_ptr 0
		.amdhsa_user_sgpr_queue_ptr 0
		.amdhsa_user_sgpr_kernarg_segment_ptr 1
		.amdhsa_user_sgpr_dispatch_id 0
		.amdhsa_user_sgpr_flat_scratch_init 0
		.amdhsa_user_sgpr_kernarg_preload_length 0
		.amdhsa_user_sgpr_kernarg_preload_offset 0
		.amdhsa_user_sgpr_private_segment_size 0
		.amdhsa_uses_dynamic_stack 0
		.amdhsa_system_sgpr_private_segment_wavefront_offset 0
		.amdhsa_system_sgpr_workgroup_id_x 1
		.amdhsa_system_sgpr_workgroup_id_y 0
		.amdhsa_system_sgpr_workgroup_id_z 0
		.amdhsa_system_sgpr_workgroup_info 0
		.amdhsa_system_vgpr_workitem_id 0
		.amdhsa_next_free_vgpr 1
		.amdhsa_next_free_sgpr 0
		.amdhsa_accum_offset 4
		.amdhsa_reserve_vcc 0
		.amdhsa_reserve_flat_scratch 0
		.amdhsa_float_round_mode_32 0
		.amdhsa_float_round_mode_16_64 0
		.amdhsa_float_denorm_mode_32 3
		.amdhsa_float_denorm_mode_16_64 3
		.amdhsa_dx10_clamp 1
		.amdhsa_ieee_mode 1
		.amdhsa_fp16_overflow 0
		.amdhsa_tg_split 0
		.amdhsa_exception_fp_ieee_invalid_op 0
		.amdhsa_exception_fp_denorm_src 0
		.amdhsa_exception_fp_ieee_div_zero 0
		.amdhsa_exception_fp_ieee_overflow 0
		.amdhsa_exception_fp_ieee_underflow 0
		.amdhsa_exception_fp_ieee_inexact 0
		.amdhsa_exception_int_div_zero 0
	.end_amdhsa_kernel
	.section	.text._ZN7rocprim17ROCPRIM_400000_NS6detail17trampoline_kernelINS0_14default_configENS1_38merge_sort_block_merge_config_selectorIlNS0_10empty_typeEEEZZNS1_27merge_sort_block_merge_implIS3_PlPS5_mZN2at6native12_GLOBAL__N_124unique_dim_cuda_templateIN3c104HalfEEESt5tupleIJNSA_6TensorESH_SH_EERKSH_lbbbEUlllE_EE10hipError_tT0_T1_T2_jT3_P12ihipStream_tbPNSt15iterator_traitsISN_E10value_typeEPNST_ISO_E10value_typeEPSP_NS1_7vsmem_tEENKUlT_SN_SO_SP_E_clIS8_S8_S9_S9_EESM_S12_SN_SO_SP_EUlS12_E1_NS1_11comp_targetILNS1_3genE5ELNS1_11target_archE942ELNS1_3gpuE9ELNS1_3repE0EEENS1_36merge_oddeven_config_static_selectorELNS0_4arch9wavefront6targetE1EEEvSO_,"axG",@progbits,_ZN7rocprim17ROCPRIM_400000_NS6detail17trampoline_kernelINS0_14default_configENS1_38merge_sort_block_merge_config_selectorIlNS0_10empty_typeEEEZZNS1_27merge_sort_block_merge_implIS3_PlPS5_mZN2at6native12_GLOBAL__N_124unique_dim_cuda_templateIN3c104HalfEEESt5tupleIJNSA_6TensorESH_SH_EERKSH_lbbbEUlllE_EE10hipError_tT0_T1_T2_jT3_P12ihipStream_tbPNSt15iterator_traitsISN_E10value_typeEPNST_ISO_E10value_typeEPSP_NS1_7vsmem_tEENKUlT_SN_SO_SP_E_clIS8_S8_S9_S9_EESM_S12_SN_SO_SP_EUlS12_E1_NS1_11comp_targetILNS1_3genE5ELNS1_11target_archE942ELNS1_3gpuE9ELNS1_3repE0EEENS1_36merge_oddeven_config_static_selectorELNS0_4arch9wavefront6targetE1EEEvSO_,comdat
.Lfunc_end1264:
	.size	_ZN7rocprim17ROCPRIM_400000_NS6detail17trampoline_kernelINS0_14default_configENS1_38merge_sort_block_merge_config_selectorIlNS0_10empty_typeEEEZZNS1_27merge_sort_block_merge_implIS3_PlPS5_mZN2at6native12_GLOBAL__N_124unique_dim_cuda_templateIN3c104HalfEEESt5tupleIJNSA_6TensorESH_SH_EERKSH_lbbbEUlllE_EE10hipError_tT0_T1_T2_jT3_P12ihipStream_tbPNSt15iterator_traitsISN_E10value_typeEPNST_ISO_E10value_typeEPSP_NS1_7vsmem_tEENKUlT_SN_SO_SP_E_clIS8_S8_S9_S9_EESM_S12_SN_SO_SP_EUlS12_E1_NS1_11comp_targetILNS1_3genE5ELNS1_11target_archE942ELNS1_3gpuE9ELNS1_3repE0EEENS1_36merge_oddeven_config_static_selectorELNS0_4arch9wavefront6targetE1EEEvSO_, .Lfunc_end1264-_ZN7rocprim17ROCPRIM_400000_NS6detail17trampoline_kernelINS0_14default_configENS1_38merge_sort_block_merge_config_selectorIlNS0_10empty_typeEEEZZNS1_27merge_sort_block_merge_implIS3_PlPS5_mZN2at6native12_GLOBAL__N_124unique_dim_cuda_templateIN3c104HalfEEESt5tupleIJNSA_6TensorESH_SH_EERKSH_lbbbEUlllE_EE10hipError_tT0_T1_T2_jT3_P12ihipStream_tbPNSt15iterator_traitsISN_E10value_typeEPNST_ISO_E10value_typeEPSP_NS1_7vsmem_tEENKUlT_SN_SO_SP_E_clIS8_S8_S9_S9_EESM_S12_SN_SO_SP_EUlS12_E1_NS1_11comp_targetILNS1_3genE5ELNS1_11target_archE942ELNS1_3gpuE9ELNS1_3repE0EEENS1_36merge_oddeven_config_static_selectorELNS0_4arch9wavefront6targetE1EEEvSO_
                                        ; -- End function
	.section	.AMDGPU.csdata,"",@progbits
; Kernel info:
; codeLenInByte = 0
; NumSgprs: 4
; NumVgprs: 0
; NumAgprs: 0
; TotalNumVgprs: 0
; ScratchSize: 0
; MemoryBound: 0
; FloatMode: 240
; IeeeMode: 1
; LDSByteSize: 0 bytes/workgroup (compile time only)
; SGPRBlocks: 0
; VGPRBlocks: 0
; NumSGPRsForWavesPerEU: 4
; NumVGPRsForWavesPerEU: 1
; AccumOffset: 4
; Occupancy: 8
; WaveLimiterHint : 0
; COMPUTE_PGM_RSRC2:SCRATCH_EN: 0
; COMPUTE_PGM_RSRC2:USER_SGPR: 6
; COMPUTE_PGM_RSRC2:TRAP_HANDLER: 0
; COMPUTE_PGM_RSRC2:TGID_X_EN: 1
; COMPUTE_PGM_RSRC2:TGID_Y_EN: 0
; COMPUTE_PGM_RSRC2:TGID_Z_EN: 0
; COMPUTE_PGM_RSRC2:TIDIG_COMP_CNT: 0
; COMPUTE_PGM_RSRC3_GFX90A:ACCUM_OFFSET: 0
; COMPUTE_PGM_RSRC3_GFX90A:TG_SPLIT: 0
	.section	.text._ZN7rocprim17ROCPRIM_400000_NS6detail17trampoline_kernelINS0_14default_configENS1_38merge_sort_block_merge_config_selectorIlNS0_10empty_typeEEEZZNS1_27merge_sort_block_merge_implIS3_PlPS5_mZN2at6native12_GLOBAL__N_124unique_dim_cuda_templateIN3c104HalfEEESt5tupleIJNSA_6TensorESH_SH_EERKSH_lbbbEUlllE_EE10hipError_tT0_T1_T2_jT3_P12ihipStream_tbPNSt15iterator_traitsISN_E10value_typeEPNST_ISO_E10value_typeEPSP_NS1_7vsmem_tEENKUlT_SN_SO_SP_E_clIS8_S8_S9_S9_EESM_S12_SN_SO_SP_EUlS12_E1_NS1_11comp_targetILNS1_3genE4ELNS1_11target_archE910ELNS1_3gpuE8ELNS1_3repE0EEENS1_36merge_oddeven_config_static_selectorELNS0_4arch9wavefront6targetE1EEEvSO_,"axG",@progbits,_ZN7rocprim17ROCPRIM_400000_NS6detail17trampoline_kernelINS0_14default_configENS1_38merge_sort_block_merge_config_selectorIlNS0_10empty_typeEEEZZNS1_27merge_sort_block_merge_implIS3_PlPS5_mZN2at6native12_GLOBAL__N_124unique_dim_cuda_templateIN3c104HalfEEESt5tupleIJNSA_6TensorESH_SH_EERKSH_lbbbEUlllE_EE10hipError_tT0_T1_T2_jT3_P12ihipStream_tbPNSt15iterator_traitsISN_E10value_typeEPNST_ISO_E10value_typeEPSP_NS1_7vsmem_tEENKUlT_SN_SO_SP_E_clIS8_S8_S9_S9_EESM_S12_SN_SO_SP_EUlS12_E1_NS1_11comp_targetILNS1_3genE4ELNS1_11target_archE910ELNS1_3gpuE8ELNS1_3repE0EEENS1_36merge_oddeven_config_static_selectorELNS0_4arch9wavefront6targetE1EEEvSO_,comdat
	.globl	_ZN7rocprim17ROCPRIM_400000_NS6detail17trampoline_kernelINS0_14default_configENS1_38merge_sort_block_merge_config_selectorIlNS0_10empty_typeEEEZZNS1_27merge_sort_block_merge_implIS3_PlPS5_mZN2at6native12_GLOBAL__N_124unique_dim_cuda_templateIN3c104HalfEEESt5tupleIJNSA_6TensorESH_SH_EERKSH_lbbbEUlllE_EE10hipError_tT0_T1_T2_jT3_P12ihipStream_tbPNSt15iterator_traitsISN_E10value_typeEPNST_ISO_E10value_typeEPSP_NS1_7vsmem_tEENKUlT_SN_SO_SP_E_clIS8_S8_S9_S9_EESM_S12_SN_SO_SP_EUlS12_E1_NS1_11comp_targetILNS1_3genE4ELNS1_11target_archE910ELNS1_3gpuE8ELNS1_3repE0EEENS1_36merge_oddeven_config_static_selectorELNS0_4arch9wavefront6targetE1EEEvSO_ ; -- Begin function _ZN7rocprim17ROCPRIM_400000_NS6detail17trampoline_kernelINS0_14default_configENS1_38merge_sort_block_merge_config_selectorIlNS0_10empty_typeEEEZZNS1_27merge_sort_block_merge_implIS3_PlPS5_mZN2at6native12_GLOBAL__N_124unique_dim_cuda_templateIN3c104HalfEEESt5tupleIJNSA_6TensorESH_SH_EERKSH_lbbbEUlllE_EE10hipError_tT0_T1_T2_jT3_P12ihipStream_tbPNSt15iterator_traitsISN_E10value_typeEPNST_ISO_E10value_typeEPSP_NS1_7vsmem_tEENKUlT_SN_SO_SP_E_clIS8_S8_S9_S9_EESM_S12_SN_SO_SP_EUlS12_E1_NS1_11comp_targetILNS1_3genE4ELNS1_11target_archE910ELNS1_3gpuE8ELNS1_3repE0EEENS1_36merge_oddeven_config_static_selectorELNS0_4arch9wavefront6targetE1EEEvSO_
	.p2align	8
	.type	_ZN7rocprim17ROCPRIM_400000_NS6detail17trampoline_kernelINS0_14default_configENS1_38merge_sort_block_merge_config_selectorIlNS0_10empty_typeEEEZZNS1_27merge_sort_block_merge_implIS3_PlPS5_mZN2at6native12_GLOBAL__N_124unique_dim_cuda_templateIN3c104HalfEEESt5tupleIJNSA_6TensorESH_SH_EERKSH_lbbbEUlllE_EE10hipError_tT0_T1_T2_jT3_P12ihipStream_tbPNSt15iterator_traitsISN_E10value_typeEPNST_ISO_E10value_typeEPSP_NS1_7vsmem_tEENKUlT_SN_SO_SP_E_clIS8_S8_S9_S9_EESM_S12_SN_SO_SP_EUlS12_E1_NS1_11comp_targetILNS1_3genE4ELNS1_11target_archE910ELNS1_3gpuE8ELNS1_3repE0EEENS1_36merge_oddeven_config_static_selectorELNS0_4arch9wavefront6targetE1EEEvSO_,@function
_ZN7rocprim17ROCPRIM_400000_NS6detail17trampoline_kernelINS0_14default_configENS1_38merge_sort_block_merge_config_selectorIlNS0_10empty_typeEEEZZNS1_27merge_sort_block_merge_implIS3_PlPS5_mZN2at6native12_GLOBAL__N_124unique_dim_cuda_templateIN3c104HalfEEESt5tupleIJNSA_6TensorESH_SH_EERKSH_lbbbEUlllE_EE10hipError_tT0_T1_T2_jT3_P12ihipStream_tbPNSt15iterator_traitsISN_E10value_typeEPNST_ISO_E10value_typeEPSP_NS1_7vsmem_tEENKUlT_SN_SO_SP_E_clIS8_S8_S9_S9_EESM_S12_SN_SO_SP_EUlS12_E1_NS1_11comp_targetILNS1_3genE4ELNS1_11target_archE910ELNS1_3gpuE8ELNS1_3repE0EEENS1_36merge_oddeven_config_static_selectorELNS0_4arch9wavefront6targetE1EEEvSO_: ; @_ZN7rocprim17ROCPRIM_400000_NS6detail17trampoline_kernelINS0_14default_configENS1_38merge_sort_block_merge_config_selectorIlNS0_10empty_typeEEEZZNS1_27merge_sort_block_merge_implIS3_PlPS5_mZN2at6native12_GLOBAL__N_124unique_dim_cuda_templateIN3c104HalfEEESt5tupleIJNSA_6TensorESH_SH_EERKSH_lbbbEUlllE_EE10hipError_tT0_T1_T2_jT3_P12ihipStream_tbPNSt15iterator_traitsISN_E10value_typeEPNST_ISO_E10value_typeEPSP_NS1_7vsmem_tEENKUlT_SN_SO_SP_E_clIS8_S8_S9_S9_EESM_S12_SN_SO_SP_EUlS12_E1_NS1_11comp_targetILNS1_3genE4ELNS1_11target_archE910ELNS1_3gpuE8ELNS1_3repE0EEENS1_36merge_oddeven_config_static_selectorELNS0_4arch9wavefront6targetE1EEEvSO_
; %bb.0:
	s_load_dword s18, s[4:5], 0x20
	s_waitcnt lgkmcnt(0)
	s_lshr_b32 s0, s18, 8
	s_cmp_lg_u32 s6, s0
	s_cselect_b64 s[14:15], -1, 0
	s_cmp_eq_u32 s6, s0
	s_cselect_b64 s[2:3], -1, 0
	s_lshl_b32 s16, s6, 8
	s_sub_i32 s0, s18, s16
	v_cmp_gt_u32_e64 s[0:1], s0, v0
	s_or_b64 s[8:9], s[14:15], s[0:1]
	s_and_saveexec_b64 s[10:11], s[8:9]
	s_cbranch_execz .LBB1265_62
; %bb.1:
	s_load_dwordx4 s[8:11], s[4:5], 0x0
	s_load_dword s19, s[4:5], 0x28
	s_mov_b32 s17, 0
	s_lshl_b64 s[12:13], s[16:17], 3
	v_lshlrev_b32_e32 v1, 3, v0
	s_waitcnt lgkmcnt(0)
	s_add_u32 s12, s8, s12
	s_addc_u32 s13, s9, s13
	global_load_dwordx2 v[2:3], v1, s[12:13]
	s_lshr_b32 s7, s19, 8
	s_sub_i32 s12, 0, s7
	s_and_b32 s6, s6, s12
	s_and_b32 s7, s6, s7
	s_cmp_lg_u32 s7, 0
	s_cselect_b64 s[12:13], -1, 0
	s_lshl_b32 s17, s6, 8
	s_sub_i32 s6, 0, s19
	s_cmp_eq_u32 s7, 0
	s_cselect_b32 s33, s19, s6
	s_add_i32 s33, s33, s17
	s_cmp_lt_u32 s33, s18
	s_cbranch_scc1 .LBB1265_3
; %bb.2:
	v_add_u32_e32 v4, s16, v0
	v_cmp_gt_u32_e32 vcc, s18, v4
	s_or_b64 s[14:15], vcc, s[14:15]
	s_and_b64 s[14:15], s[14:15], exec
	s_cbranch_execz .LBB1265_4
	s_branch .LBB1265_60
.LBB1265_3:
	s_mov_b64 s[14:15], 0
                                        ; implicit-def: $vgpr4
.LBB1265_4:
	s_load_dwordx4 s[4:7], s[4:5], 0x30
	s_min_u32 s42, s33, s18
	s_add_i32 s19, s42, s19
	s_min_u32 s43, s19, s18
	s_min_u32 s18, s17, s42
	v_add_u32_e32 v0, s16, v0
	s_add_i32 s17, s17, s42
	v_subrev_u32_e32 v0, s17, v0
	v_add_u32_e32 v12, s18, v0
	s_and_b64 vcc, exec, s[2:3]
	s_cbranch_vccz .LBB1265_30
; %bb.5:
                                        ; implicit-def: $vgpr4
	s_and_saveexec_b64 s[16:17], s[0:1]
	s_cbranch_execz .LBB1265_33
; %bb.6:
	s_cmp_ge_u32 s33, s43
	v_mov_b32_e32 v13, s42
	s_cbranch_scc1 .LBB1265_32
; %bb.7:
	s_waitcnt vmcnt(0) lgkmcnt(0)
	v_mul_lo_u32 v4, v3, s4
	v_mul_lo_u32 v5, v2, s5
	v_mad_u64_u32 v[0:1], s[0:1], v2, s4, 0
	v_add3_u32 v1, v1, v5, v4
	v_lshlrev_b64 v[0:1], 1, v[0:1]
	v_mov_b32_e32 v4, s7
	v_add_co_u32_e32 v0, vcc, s6, v0
	v_addc_co_u32_e32 v1, vcc, v4, v1, vcc
	v_cndmask_b32_e64 v4, 0, 1, s[12:13]
	v_cmp_gt_i64_e64 s[2:3], s[4:5], 0
	v_cmp_ne_u32_e64 s[0:1], 1, v4
	v_cndmask_b32_e64 v4, 0, 1, s[2:3]
	s_mov_b64 s[18:19], 0
	s_lshl_b64 s[20:21], s[4:5], 1
	v_mov_b32_e32 v14, s43
	v_mov_b32_e32 v13, s42
	;; [unrolled: 1-line block ×4, first 2 shown]
	v_cmp_ne_u32_e64 s[2:3], 1, v4
	s_branch .LBB1265_10
.LBB1265_8:                             ;   in Loop: Header=BB1265_10 Depth=1
	s_or_b64 exec, exec, s[24:25]
.LBB1265_9:                             ;   in Loop: Header=BB1265_10 Depth=1
	s_waitcnt vmcnt(0)
	v_add_u32_e32 v6, 1, v4
	v_cndmask_b32_e64 v14, v4, v14, s[22:23]
	v_cndmask_b32_e64 v13, v13, v6, s[22:23]
	v_cmp_ge_u32_e32 vcc, v13, v14
	s_or_b64 s[18:19], vcc, s[18:19]
	s_andn2_b64 exec, exec, s[18:19]
	s_cbranch_execz .LBB1265_31
.LBB1265_10:                            ; =>This Loop Header: Depth=1
                                        ;     Child Loop BB1265_14 Depth 2
                                        ;     Child Loop BB1265_25 Depth 2
	v_add_u32_e32 v4, v13, v14
	v_lshrrev_b32_e32 v4, 1, v4
	v_lshlrev_b64 v[6:7], 3, v[4:5]
	v_add_co_u32_e32 v6, vcc, s8, v6
	v_addc_co_u32_e32 v7, vcc, v15, v7, vcc
	global_load_dwordx2 v[6:7], v[6:7], off
	s_and_b64 vcc, exec, s[0:1]
	s_mov_b64 s[24:25], -1
                                        ; implicit-def: $sgpr22_sgpr23
	s_cbranch_vccnz .LBB1265_21
; %bb.11:                               ;   in Loop: Header=BB1265_10 Depth=1
	s_and_b64 vcc, exec, s[2:3]
	s_cbranch_vccnz .LBB1265_19
; %bb.12:                               ;   in Loop: Header=BB1265_10 Depth=1
	v_pk_mov_b32 v[8:9], s[6:7], s[6:7] op_sel:[0,1]
	s_waitcnt vmcnt(0)
	v_mad_u64_u32 v[8:9], s[22:23], s20, v6, v[8:9]
	v_mul_lo_u32 v10, s20, v7
	v_mul_lo_u32 v11, s21, v6
	v_add3_u32 v9, v11, v9, v10
	s_mov_b64 s[24:25], 0
	s_mov_b64 s[28:29], s[4:5]
	v_pk_mov_b32 v[10:11], v[0:1], v[0:1] op_sel:[0,1]
                                        ; implicit-def: $sgpr22_sgpr23
                                        ; implicit-def: $sgpr26_sgpr27
                                        ; implicit-def: $sgpr30_sgpr31
	s_branch .LBB1265_14
.LBB1265_13:                            ;   in Loop: Header=BB1265_14 Depth=2
	s_or_b64 exec, exec, s[38:39]
	s_and_b64 s[34:35], exec, s[34:35]
	s_or_b64 s[24:25], s[34:35], s[24:25]
	s_andn2_b64 s[22:23], s[22:23], exec
	s_and_b64 s[34:35], s[26:27], exec
	s_or_b64 s[22:23], s[22:23], s[34:35]
	s_andn2_b64 exec, exec, s[24:25]
	s_cbranch_execz .LBB1265_18
.LBB1265_14:                            ;   Parent Loop BB1265_10 Depth=1
                                        ; =>  This Inner Loop Header: Depth=2
	global_load_ushort v16, v[10:11], off
	global_load_ushort v17, v[8:9], off
	s_mov_b64 s[34:35], -1
	s_mov_b64 s[40:41], 0
	s_mov_b64 s[36:37], -1
	s_waitcnt vmcnt(0)
	v_cmp_nlt_f16_e32 vcc, v16, v17
	s_and_saveexec_b64 s[38:39], vcc
; %bb.15:                               ;   in Loop: Header=BB1265_14 Depth=2
	v_cmp_ngt_f16_e32 vcc, v16, v17
	s_and_b64 s[30:31], vcc, s[30:31]
	s_orn2_b64 s[36:37], s[30:31], exec
	s_and_b64 s[40:41], vcc, exec
; %bb.16:                               ;   in Loop: Header=BB1265_14 Depth=2
	s_or_b64 exec, exec, s[38:39]
	s_andn2_b64 s[26:27], s[26:27], exec
	s_and_b64 s[30:31], s[36:37], exec
	s_or_b64 s[26:27], s[26:27], s[30:31]
                                        ; implicit-def: $sgpr30_sgpr31
	s_and_saveexec_b64 s[38:39], s[40:41]
	s_cbranch_execz .LBB1265_13
; %bb.17:                               ;   in Loop: Header=BB1265_14 Depth=2
	s_add_u32 s28, s28, -1
	v_add_co_u32_e32 v10, vcc, 2, v10
	s_addc_u32 s29, s29, -1
	v_addc_co_u32_e32 v11, vcc, 0, v11, vcc
	s_cmp_eq_u64 s[28:29], 0
	v_add_co_u32_e32 v8, vcc, 2, v8
	s_cselect_b64 s[34:35], -1, 0
	v_addc_co_u32_e32 v9, vcc, 0, v9, vcc
	s_andn2_b64 s[26:27], s[26:27], exec
	s_and_b64 s[30:31], s[36:37], exec
	s_orn2_b64 s[34:35], s[34:35], exec
	s_branch .LBB1265_13
.LBB1265_18:                            ;   in Loop: Header=BB1265_10 Depth=1
	s_or_b64 exec, exec, s[24:25]
	s_branch .LBB1265_20
.LBB1265_19:                            ;   in Loop: Header=BB1265_10 Depth=1
	s_mov_b64 s[22:23], 0
.LBB1265_20:                            ;   in Loop: Header=BB1265_10 Depth=1
	s_xor_b64 s[22:23], s[22:23], -1
	s_mov_b64 s[24:25], 0
.LBB1265_21:                            ;   in Loop: Header=BB1265_10 Depth=1
	s_and_b64 vcc, exec, s[24:25]
	s_cbranch_vccz .LBB1265_9
; %bb.22:                               ;   in Loop: Header=BB1265_10 Depth=1
	s_and_b64 vcc, exec, s[2:3]
	s_cbranch_vccnz .LBB1265_29
; %bb.23:                               ;   in Loop: Header=BB1265_10 Depth=1
	v_pk_mov_b32 v[8:9], s[6:7], s[6:7] op_sel:[0,1]
	s_waitcnt vmcnt(0)
	v_mad_u64_u32 v[8:9], s[22:23], s20, v6, v[8:9]
	v_mul_lo_u32 v7, s20, v7
	v_mul_lo_u32 v6, s21, v6
	v_add3_u32 v9, v6, v9, v7
	s_mov_b64 s[24:25], 0
	s_mov_b64 s[28:29], s[4:5]
	v_pk_mov_b32 v[6:7], v[0:1], v[0:1] op_sel:[0,1]
                                        ; implicit-def: $sgpr22_sgpr23
                                        ; implicit-def: $sgpr26_sgpr27
                                        ; implicit-def: $sgpr30_sgpr31
	s_branch .LBB1265_25
.LBB1265_24:                            ;   in Loop: Header=BB1265_25 Depth=2
	s_or_b64 exec, exec, s[38:39]
	s_and_b64 s[34:35], exec, s[34:35]
	s_or_b64 s[24:25], s[34:35], s[24:25]
	s_andn2_b64 s[22:23], s[22:23], exec
	s_and_b64 s[34:35], s[26:27], exec
	s_or_b64 s[22:23], s[22:23], s[34:35]
	s_andn2_b64 exec, exec, s[24:25]
	s_cbranch_execz .LBB1265_8
.LBB1265_25:                            ;   Parent Loop BB1265_10 Depth=1
                                        ; =>  This Inner Loop Header: Depth=2
	global_load_ushort v10, v[8:9], off
	global_load_ushort v11, v[6:7], off
	s_mov_b64 s[34:35], -1
	s_mov_b64 s[40:41], 0
	s_mov_b64 s[36:37], -1
	s_waitcnt vmcnt(0)
	v_cmp_nlt_f16_e32 vcc, v10, v11
	s_and_saveexec_b64 s[38:39], vcc
; %bb.26:                               ;   in Loop: Header=BB1265_25 Depth=2
	v_cmp_ngt_f16_e32 vcc, v10, v11
	s_and_b64 s[30:31], vcc, s[30:31]
	s_orn2_b64 s[36:37], s[30:31], exec
	s_and_b64 s[40:41], vcc, exec
; %bb.27:                               ;   in Loop: Header=BB1265_25 Depth=2
	s_or_b64 exec, exec, s[38:39]
	s_andn2_b64 s[26:27], s[26:27], exec
	s_and_b64 s[30:31], s[36:37], exec
	s_or_b64 s[26:27], s[26:27], s[30:31]
                                        ; implicit-def: $sgpr30_sgpr31
	s_and_saveexec_b64 s[38:39], s[40:41]
	s_cbranch_execz .LBB1265_24
; %bb.28:                               ;   in Loop: Header=BB1265_25 Depth=2
	s_add_u32 s28, s28, -1
	v_add_co_u32_e32 v8, vcc, 2, v8
	s_addc_u32 s29, s29, -1
	v_addc_co_u32_e32 v9, vcc, 0, v9, vcc
	s_cmp_eq_u64 s[28:29], 0
	v_add_co_u32_e32 v6, vcc, 2, v6
	s_cselect_b64 s[34:35], -1, 0
	v_addc_co_u32_e32 v7, vcc, 0, v7, vcc
	s_andn2_b64 s[26:27], s[26:27], exec
	s_and_b64 s[30:31], s[36:37], exec
	s_orn2_b64 s[34:35], s[34:35], exec
	s_branch .LBB1265_24
.LBB1265_29:                            ;   in Loop: Header=BB1265_10 Depth=1
	s_mov_b64 s[22:23], 0
	s_branch .LBB1265_9
.LBB1265_30:
                                        ; implicit-def: $vgpr4
	s_cbranch_execnz .LBB1265_34
	s_branch .LBB1265_60
.LBB1265_31:
	s_or_b64 exec, exec, s[18:19]
.LBB1265_32:
	v_add_u32_e32 v4, v13, v12
	s_or_b64 s[14:15], s[14:15], exec
.LBB1265_33:
	s_or_b64 exec, exec, s[16:17]
	s_branch .LBB1265_60
.LBB1265_34:
	s_cmp_ge_u32 s33, s43
	v_mov_b32_e32 v13, s42
	s_cbranch_scc1 .LBB1265_59
; %bb.35:
	s_waitcnt vmcnt(0) lgkmcnt(0)
	v_mul_lo_u32 v4, v3, s4
	v_mul_lo_u32 v5, v2, s5
	v_mad_u64_u32 v[0:1], s[0:1], v2, s4, 0
	v_add3_u32 v1, v1, v5, v4
	v_lshlrev_b64 v[0:1], 1, v[0:1]
	v_mov_b32_e32 v4, s7
	v_add_co_u32_e32 v0, vcc, s6, v0
	v_addc_co_u32_e32 v1, vcc, v4, v1, vcc
	v_cndmask_b32_e64 v4, 0, 1, s[12:13]
	v_cmp_gt_i64_e64 s[2:3], s[4:5], 0
	v_cmp_ne_u32_e64 s[0:1], 1, v4
	v_cndmask_b32_e64 v4, 0, 1, s[2:3]
	s_mov_b64 s[14:15], 0
	s_lshl_b64 s[16:17], s[4:5], 1
	v_mov_b32_e32 v14, s43
	v_mov_b32_e32 v13, s42
	v_mov_b32_e32 v5, 0
	v_mov_b32_e32 v15, s9
	v_cmp_ne_u32_e64 s[2:3], 1, v4
	s_branch .LBB1265_38
.LBB1265_36:                            ;   in Loop: Header=BB1265_38 Depth=1
	s_or_b64 exec, exec, s[18:19]
.LBB1265_37:                            ;   in Loop: Header=BB1265_38 Depth=1
	s_waitcnt vmcnt(0)
	v_add_u32_e32 v6, 1, v4
	v_cndmask_b32_e64 v14, v4, v14, s[12:13]
	v_cndmask_b32_e64 v13, v13, v6, s[12:13]
	v_cmp_ge_u32_e32 vcc, v13, v14
	s_or_b64 s[14:15], vcc, s[14:15]
	s_andn2_b64 exec, exec, s[14:15]
	s_cbranch_execz .LBB1265_58
.LBB1265_38:                            ; =>This Loop Header: Depth=1
                                        ;     Child Loop BB1265_42 Depth 2
                                        ;     Child Loop BB1265_53 Depth 2
	v_add_u32_e32 v4, v13, v14
	v_lshrrev_b32_e32 v4, 1, v4
	v_lshlrev_b64 v[6:7], 3, v[4:5]
	v_add_co_u32_e32 v6, vcc, s8, v6
	v_addc_co_u32_e32 v7, vcc, v15, v7, vcc
	global_load_dwordx2 v[6:7], v[6:7], off
	s_and_b64 vcc, exec, s[0:1]
	s_mov_b64 s[18:19], -1
                                        ; implicit-def: $sgpr12_sgpr13
	s_cbranch_vccnz .LBB1265_49
; %bb.39:                               ;   in Loop: Header=BB1265_38 Depth=1
	s_and_b64 vcc, exec, s[2:3]
	s_cbranch_vccnz .LBB1265_47
; %bb.40:                               ;   in Loop: Header=BB1265_38 Depth=1
	v_pk_mov_b32 v[8:9], s[6:7], s[6:7] op_sel:[0,1]
	s_waitcnt vmcnt(0)
	v_mad_u64_u32 v[8:9], s[12:13], s16, v6, v[8:9]
	v_mul_lo_u32 v10, s16, v7
	v_mul_lo_u32 v11, s17, v6
	v_add3_u32 v9, v11, v9, v10
	s_mov_b64 s[18:19], 0
	s_mov_b64 s[22:23], s[4:5]
	v_pk_mov_b32 v[10:11], v[0:1], v[0:1] op_sel:[0,1]
                                        ; implicit-def: $sgpr12_sgpr13
                                        ; implicit-def: $sgpr20_sgpr21
                                        ; implicit-def: $sgpr24_sgpr25
	s_branch .LBB1265_42
.LBB1265_41:                            ;   in Loop: Header=BB1265_42 Depth=2
	s_or_b64 exec, exec, s[30:31]
	s_and_b64 s[26:27], exec, s[26:27]
	s_or_b64 s[18:19], s[26:27], s[18:19]
	s_andn2_b64 s[12:13], s[12:13], exec
	s_and_b64 s[26:27], s[20:21], exec
	s_or_b64 s[12:13], s[12:13], s[26:27]
	s_andn2_b64 exec, exec, s[18:19]
	s_cbranch_execz .LBB1265_46
.LBB1265_42:                            ;   Parent Loop BB1265_38 Depth=1
                                        ; =>  This Inner Loop Header: Depth=2
	global_load_ushort v16, v[10:11], off
	global_load_ushort v17, v[8:9], off
	s_mov_b64 s[26:27], -1
	s_mov_b64 s[34:35], 0
	s_mov_b64 s[28:29], -1
	s_waitcnt vmcnt(0)
	v_cmp_nlt_f16_e32 vcc, v16, v17
	s_and_saveexec_b64 s[30:31], vcc
; %bb.43:                               ;   in Loop: Header=BB1265_42 Depth=2
	v_cmp_ngt_f16_e32 vcc, v16, v17
	s_and_b64 s[24:25], vcc, s[24:25]
	s_orn2_b64 s[28:29], s[24:25], exec
	s_and_b64 s[34:35], vcc, exec
; %bb.44:                               ;   in Loop: Header=BB1265_42 Depth=2
	s_or_b64 exec, exec, s[30:31]
	s_andn2_b64 s[20:21], s[20:21], exec
	s_and_b64 s[24:25], s[28:29], exec
	s_or_b64 s[20:21], s[20:21], s[24:25]
                                        ; implicit-def: $sgpr24_sgpr25
	s_and_saveexec_b64 s[30:31], s[34:35]
	s_cbranch_execz .LBB1265_41
; %bb.45:                               ;   in Loop: Header=BB1265_42 Depth=2
	s_add_u32 s22, s22, -1
	v_add_co_u32_e32 v10, vcc, 2, v10
	s_addc_u32 s23, s23, -1
	v_addc_co_u32_e32 v11, vcc, 0, v11, vcc
	s_cmp_eq_u64 s[22:23], 0
	v_add_co_u32_e32 v8, vcc, 2, v8
	s_cselect_b64 s[26:27], -1, 0
	v_addc_co_u32_e32 v9, vcc, 0, v9, vcc
	s_andn2_b64 s[20:21], s[20:21], exec
	s_and_b64 s[24:25], s[28:29], exec
	s_orn2_b64 s[26:27], s[26:27], exec
	s_branch .LBB1265_41
.LBB1265_46:                            ;   in Loop: Header=BB1265_38 Depth=1
	s_or_b64 exec, exec, s[18:19]
	s_branch .LBB1265_48
.LBB1265_47:                            ;   in Loop: Header=BB1265_38 Depth=1
	s_mov_b64 s[12:13], 0
.LBB1265_48:                            ;   in Loop: Header=BB1265_38 Depth=1
	s_xor_b64 s[12:13], s[12:13], -1
	s_mov_b64 s[18:19], 0
.LBB1265_49:                            ;   in Loop: Header=BB1265_38 Depth=1
	s_and_b64 vcc, exec, s[18:19]
	s_cbranch_vccz .LBB1265_37
; %bb.50:                               ;   in Loop: Header=BB1265_38 Depth=1
	s_and_b64 vcc, exec, s[2:3]
	s_cbranch_vccnz .LBB1265_57
; %bb.51:                               ;   in Loop: Header=BB1265_38 Depth=1
	v_pk_mov_b32 v[8:9], s[6:7], s[6:7] op_sel:[0,1]
	s_waitcnt vmcnt(0)
	v_mad_u64_u32 v[8:9], s[12:13], s16, v6, v[8:9]
	v_mul_lo_u32 v7, s16, v7
	v_mul_lo_u32 v6, s17, v6
	v_add3_u32 v9, v6, v9, v7
	s_mov_b64 s[18:19], 0
	s_mov_b64 s[22:23], s[4:5]
	v_pk_mov_b32 v[6:7], v[0:1], v[0:1] op_sel:[0,1]
                                        ; implicit-def: $sgpr12_sgpr13
                                        ; implicit-def: $sgpr20_sgpr21
                                        ; implicit-def: $sgpr24_sgpr25
	s_branch .LBB1265_53
.LBB1265_52:                            ;   in Loop: Header=BB1265_53 Depth=2
	s_or_b64 exec, exec, s[30:31]
	s_and_b64 s[26:27], exec, s[26:27]
	s_or_b64 s[18:19], s[26:27], s[18:19]
	s_andn2_b64 s[12:13], s[12:13], exec
	s_and_b64 s[26:27], s[20:21], exec
	s_or_b64 s[12:13], s[12:13], s[26:27]
	s_andn2_b64 exec, exec, s[18:19]
	s_cbranch_execz .LBB1265_36
.LBB1265_53:                            ;   Parent Loop BB1265_38 Depth=1
                                        ; =>  This Inner Loop Header: Depth=2
	global_load_ushort v10, v[8:9], off
	global_load_ushort v11, v[6:7], off
	s_mov_b64 s[26:27], -1
	s_mov_b64 s[34:35], 0
	s_mov_b64 s[28:29], -1
	s_waitcnt vmcnt(0)
	v_cmp_nlt_f16_e32 vcc, v10, v11
	s_and_saveexec_b64 s[30:31], vcc
; %bb.54:                               ;   in Loop: Header=BB1265_53 Depth=2
	v_cmp_ngt_f16_e32 vcc, v10, v11
	s_and_b64 s[24:25], vcc, s[24:25]
	s_orn2_b64 s[28:29], s[24:25], exec
	s_and_b64 s[34:35], vcc, exec
; %bb.55:                               ;   in Loop: Header=BB1265_53 Depth=2
	s_or_b64 exec, exec, s[30:31]
	s_andn2_b64 s[20:21], s[20:21], exec
	s_and_b64 s[24:25], s[28:29], exec
	s_or_b64 s[20:21], s[20:21], s[24:25]
                                        ; implicit-def: $sgpr24_sgpr25
	s_and_saveexec_b64 s[30:31], s[34:35]
	s_cbranch_execz .LBB1265_52
; %bb.56:                               ;   in Loop: Header=BB1265_53 Depth=2
	s_add_u32 s22, s22, -1
	v_add_co_u32_e32 v8, vcc, 2, v8
	s_addc_u32 s23, s23, -1
	v_addc_co_u32_e32 v9, vcc, 0, v9, vcc
	s_cmp_eq_u64 s[22:23], 0
	v_add_co_u32_e32 v6, vcc, 2, v6
	s_cselect_b64 s[26:27], -1, 0
	v_addc_co_u32_e32 v7, vcc, 0, v7, vcc
	s_andn2_b64 s[20:21], s[20:21], exec
	s_and_b64 s[24:25], s[28:29], exec
	s_orn2_b64 s[26:27], s[26:27], exec
	s_branch .LBB1265_52
.LBB1265_57:                            ;   in Loop: Header=BB1265_38 Depth=1
	s_mov_b64 s[12:13], 0
	s_branch .LBB1265_37
.LBB1265_58:
	s_or_b64 exec, exec, s[14:15]
.LBB1265_59:
	v_add_u32_e32 v4, v13, v12
	s_mov_b64 s[14:15], -1
.LBB1265_60:
	s_and_b64 exec, exec, s[14:15]
	s_cbranch_execz .LBB1265_62
; %bb.61:
	v_mov_b32_e32 v5, 0
	v_lshlrev_b64 v[0:1], 3, v[4:5]
	v_mov_b32_e32 v4, s11
	v_add_co_u32_e32 v0, vcc, s10, v0
	v_addc_co_u32_e32 v1, vcc, v4, v1, vcc
	s_waitcnt vmcnt(0)
	global_store_dwordx2 v[0:1], v[2:3], off
.LBB1265_62:
	s_endpgm
	.section	.rodata,"a",@progbits
	.p2align	6, 0x0
	.amdhsa_kernel _ZN7rocprim17ROCPRIM_400000_NS6detail17trampoline_kernelINS0_14default_configENS1_38merge_sort_block_merge_config_selectorIlNS0_10empty_typeEEEZZNS1_27merge_sort_block_merge_implIS3_PlPS5_mZN2at6native12_GLOBAL__N_124unique_dim_cuda_templateIN3c104HalfEEESt5tupleIJNSA_6TensorESH_SH_EERKSH_lbbbEUlllE_EE10hipError_tT0_T1_T2_jT3_P12ihipStream_tbPNSt15iterator_traitsISN_E10value_typeEPNST_ISO_E10value_typeEPSP_NS1_7vsmem_tEENKUlT_SN_SO_SP_E_clIS8_S8_S9_S9_EESM_S12_SN_SO_SP_EUlS12_E1_NS1_11comp_targetILNS1_3genE4ELNS1_11target_archE910ELNS1_3gpuE8ELNS1_3repE0EEENS1_36merge_oddeven_config_static_selectorELNS0_4arch9wavefront6targetE1EEEvSO_
		.amdhsa_group_segment_fixed_size 0
		.amdhsa_private_segment_fixed_size 0
		.amdhsa_kernarg_size 64
		.amdhsa_user_sgpr_count 6
		.amdhsa_user_sgpr_private_segment_buffer 1
		.amdhsa_user_sgpr_dispatch_ptr 0
		.amdhsa_user_sgpr_queue_ptr 0
		.amdhsa_user_sgpr_kernarg_segment_ptr 1
		.amdhsa_user_sgpr_dispatch_id 0
		.amdhsa_user_sgpr_flat_scratch_init 0
		.amdhsa_user_sgpr_kernarg_preload_length 0
		.amdhsa_user_sgpr_kernarg_preload_offset 0
		.amdhsa_user_sgpr_private_segment_size 0
		.amdhsa_uses_dynamic_stack 0
		.amdhsa_system_sgpr_private_segment_wavefront_offset 0
		.amdhsa_system_sgpr_workgroup_id_x 1
		.amdhsa_system_sgpr_workgroup_id_y 0
		.amdhsa_system_sgpr_workgroup_id_z 0
		.amdhsa_system_sgpr_workgroup_info 0
		.amdhsa_system_vgpr_workitem_id 0
		.amdhsa_next_free_vgpr 18
		.amdhsa_next_free_sgpr 44
		.amdhsa_accum_offset 20
		.amdhsa_reserve_vcc 1
		.amdhsa_reserve_flat_scratch 0
		.amdhsa_float_round_mode_32 0
		.amdhsa_float_round_mode_16_64 0
		.amdhsa_float_denorm_mode_32 3
		.amdhsa_float_denorm_mode_16_64 3
		.amdhsa_dx10_clamp 1
		.amdhsa_ieee_mode 1
		.amdhsa_fp16_overflow 0
		.amdhsa_tg_split 0
		.amdhsa_exception_fp_ieee_invalid_op 0
		.amdhsa_exception_fp_denorm_src 0
		.amdhsa_exception_fp_ieee_div_zero 0
		.amdhsa_exception_fp_ieee_overflow 0
		.amdhsa_exception_fp_ieee_underflow 0
		.amdhsa_exception_fp_ieee_inexact 0
		.amdhsa_exception_int_div_zero 0
	.end_amdhsa_kernel
	.section	.text._ZN7rocprim17ROCPRIM_400000_NS6detail17trampoline_kernelINS0_14default_configENS1_38merge_sort_block_merge_config_selectorIlNS0_10empty_typeEEEZZNS1_27merge_sort_block_merge_implIS3_PlPS5_mZN2at6native12_GLOBAL__N_124unique_dim_cuda_templateIN3c104HalfEEESt5tupleIJNSA_6TensorESH_SH_EERKSH_lbbbEUlllE_EE10hipError_tT0_T1_T2_jT3_P12ihipStream_tbPNSt15iterator_traitsISN_E10value_typeEPNST_ISO_E10value_typeEPSP_NS1_7vsmem_tEENKUlT_SN_SO_SP_E_clIS8_S8_S9_S9_EESM_S12_SN_SO_SP_EUlS12_E1_NS1_11comp_targetILNS1_3genE4ELNS1_11target_archE910ELNS1_3gpuE8ELNS1_3repE0EEENS1_36merge_oddeven_config_static_selectorELNS0_4arch9wavefront6targetE1EEEvSO_,"axG",@progbits,_ZN7rocprim17ROCPRIM_400000_NS6detail17trampoline_kernelINS0_14default_configENS1_38merge_sort_block_merge_config_selectorIlNS0_10empty_typeEEEZZNS1_27merge_sort_block_merge_implIS3_PlPS5_mZN2at6native12_GLOBAL__N_124unique_dim_cuda_templateIN3c104HalfEEESt5tupleIJNSA_6TensorESH_SH_EERKSH_lbbbEUlllE_EE10hipError_tT0_T1_T2_jT3_P12ihipStream_tbPNSt15iterator_traitsISN_E10value_typeEPNST_ISO_E10value_typeEPSP_NS1_7vsmem_tEENKUlT_SN_SO_SP_E_clIS8_S8_S9_S9_EESM_S12_SN_SO_SP_EUlS12_E1_NS1_11comp_targetILNS1_3genE4ELNS1_11target_archE910ELNS1_3gpuE8ELNS1_3repE0EEENS1_36merge_oddeven_config_static_selectorELNS0_4arch9wavefront6targetE1EEEvSO_,comdat
.Lfunc_end1265:
	.size	_ZN7rocprim17ROCPRIM_400000_NS6detail17trampoline_kernelINS0_14default_configENS1_38merge_sort_block_merge_config_selectorIlNS0_10empty_typeEEEZZNS1_27merge_sort_block_merge_implIS3_PlPS5_mZN2at6native12_GLOBAL__N_124unique_dim_cuda_templateIN3c104HalfEEESt5tupleIJNSA_6TensorESH_SH_EERKSH_lbbbEUlllE_EE10hipError_tT0_T1_T2_jT3_P12ihipStream_tbPNSt15iterator_traitsISN_E10value_typeEPNST_ISO_E10value_typeEPSP_NS1_7vsmem_tEENKUlT_SN_SO_SP_E_clIS8_S8_S9_S9_EESM_S12_SN_SO_SP_EUlS12_E1_NS1_11comp_targetILNS1_3genE4ELNS1_11target_archE910ELNS1_3gpuE8ELNS1_3repE0EEENS1_36merge_oddeven_config_static_selectorELNS0_4arch9wavefront6targetE1EEEvSO_, .Lfunc_end1265-_ZN7rocprim17ROCPRIM_400000_NS6detail17trampoline_kernelINS0_14default_configENS1_38merge_sort_block_merge_config_selectorIlNS0_10empty_typeEEEZZNS1_27merge_sort_block_merge_implIS3_PlPS5_mZN2at6native12_GLOBAL__N_124unique_dim_cuda_templateIN3c104HalfEEESt5tupleIJNSA_6TensorESH_SH_EERKSH_lbbbEUlllE_EE10hipError_tT0_T1_T2_jT3_P12ihipStream_tbPNSt15iterator_traitsISN_E10value_typeEPNST_ISO_E10value_typeEPSP_NS1_7vsmem_tEENKUlT_SN_SO_SP_E_clIS8_S8_S9_S9_EESM_S12_SN_SO_SP_EUlS12_E1_NS1_11comp_targetILNS1_3genE4ELNS1_11target_archE910ELNS1_3gpuE8ELNS1_3repE0EEENS1_36merge_oddeven_config_static_selectorELNS0_4arch9wavefront6targetE1EEEvSO_
                                        ; -- End function
	.section	.AMDGPU.csdata,"",@progbits
; Kernel info:
; codeLenInByte = 1780
; NumSgprs: 48
; NumVgprs: 18
; NumAgprs: 0
; TotalNumVgprs: 18
; ScratchSize: 0
; MemoryBound: 0
; FloatMode: 240
; IeeeMode: 1
; LDSByteSize: 0 bytes/workgroup (compile time only)
; SGPRBlocks: 5
; VGPRBlocks: 2
; NumSGPRsForWavesPerEU: 48
; NumVGPRsForWavesPerEU: 18
; AccumOffset: 20
; Occupancy: 8
; WaveLimiterHint : 0
; COMPUTE_PGM_RSRC2:SCRATCH_EN: 0
; COMPUTE_PGM_RSRC2:USER_SGPR: 6
; COMPUTE_PGM_RSRC2:TRAP_HANDLER: 0
; COMPUTE_PGM_RSRC2:TGID_X_EN: 1
; COMPUTE_PGM_RSRC2:TGID_Y_EN: 0
; COMPUTE_PGM_RSRC2:TGID_Z_EN: 0
; COMPUTE_PGM_RSRC2:TIDIG_COMP_CNT: 0
; COMPUTE_PGM_RSRC3_GFX90A:ACCUM_OFFSET: 4
; COMPUTE_PGM_RSRC3_GFX90A:TG_SPLIT: 0
	.section	.text._ZN7rocprim17ROCPRIM_400000_NS6detail17trampoline_kernelINS0_14default_configENS1_38merge_sort_block_merge_config_selectorIlNS0_10empty_typeEEEZZNS1_27merge_sort_block_merge_implIS3_PlPS5_mZN2at6native12_GLOBAL__N_124unique_dim_cuda_templateIN3c104HalfEEESt5tupleIJNSA_6TensorESH_SH_EERKSH_lbbbEUlllE_EE10hipError_tT0_T1_T2_jT3_P12ihipStream_tbPNSt15iterator_traitsISN_E10value_typeEPNST_ISO_E10value_typeEPSP_NS1_7vsmem_tEENKUlT_SN_SO_SP_E_clIS8_S8_S9_S9_EESM_S12_SN_SO_SP_EUlS12_E1_NS1_11comp_targetILNS1_3genE3ELNS1_11target_archE908ELNS1_3gpuE7ELNS1_3repE0EEENS1_36merge_oddeven_config_static_selectorELNS0_4arch9wavefront6targetE1EEEvSO_,"axG",@progbits,_ZN7rocprim17ROCPRIM_400000_NS6detail17trampoline_kernelINS0_14default_configENS1_38merge_sort_block_merge_config_selectorIlNS0_10empty_typeEEEZZNS1_27merge_sort_block_merge_implIS3_PlPS5_mZN2at6native12_GLOBAL__N_124unique_dim_cuda_templateIN3c104HalfEEESt5tupleIJNSA_6TensorESH_SH_EERKSH_lbbbEUlllE_EE10hipError_tT0_T1_T2_jT3_P12ihipStream_tbPNSt15iterator_traitsISN_E10value_typeEPNST_ISO_E10value_typeEPSP_NS1_7vsmem_tEENKUlT_SN_SO_SP_E_clIS8_S8_S9_S9_EESM_S12_SN_SO_SP_EUlS12_E1_NS1_11comp_targetILNS1_3genE3ELNS1_11target_archE908ELNS1_3gpuE7ELNS1_3repE0EEENS1_36merge_oddeven_config_static_selectorELNS0_4arch9wavefront6targetE1EEEvSO_,comdat
	.globl	_ZN7rocprim17ROCPRIM_400000_NS6detail17trampoline_kernelINS0_14default_configENS1_38merge_sort_block_merge_config_selectorIlNS0_10empty_typeEEEZZNS1_27merge_sort_block_merge_implIS3_PlPS5_mZN2at6native12_GLOBAL__N_124unique_dim_cuda_templateIN3c104HalfEEESt5tupleIJNSA_6TensorESH_SH_EERKSH_lbbbEUlllE_EE10hipError_tT0_T1_T2_jT3_P12ihipStream_tbPNSt15iterator_traitsISN_E10value_typeEPNST_ISO_E10value_typeEPSP_NS1_7vsmem_tEENKUlT_SN_SO_SP_E_clIS8_S8_S9_S9_EESM_S12_SN_SO_SP_EUlS12_E1_NS1_11comp_targetILNS1_3genE3ELNS1_11target_archE908ELNS1_3gpuE7ELNS1_3repE0EEENS1_36merge_oddeven_config_static_selectorELNS0_4arch9wavefront6targetE1EEEvSO_ ; -- Begin function _ZN7rocprim17ROCPRIM_400000_NS6detail17trampoline_kernelINS0_14default_configENS1_38merge_sort_block_merge_config_selectorIlNS0_10empty_typeEEEZZNS1_27merge_sort_block_merge_implIS3_PlPS5_mZN2at6native12_GLOBAL__N_124unique_dim_cuda_templateIN3c104HalfEEESt5tupleIJNSA_6TensorESH_SH_EERKSH_lbbbEUlllE_EE10hipError_tT0_T1_T2_jT3_P12ihipStream_tbPNSt15iterator_traitsISN_E10value_typeEPNST_ISO_E10value_typeEPSP_NS1_7vsmem_tEENKUlT_SN_SO_SP_E_clIS8_S8_S9_S9_EESM_S12_SN_SO_SP_EUlS12_E1_NS1_11comp_targetILNS1_3genE3ELNS1_11target_archE908ELNS1_3gpuE7ELNS1_3repE0EEENS1_36merge_oddeven_config_static_selectorELNS0_4arch9wavefront6targetE1EEEvSO_
	.p2align	8
	.type	_ZN7rocprim17ROCPRIM_400000_NS6detail17trampoline_kernelINS0_14default_configENS1_38merge_sort_block_merge_config_selectorIlNS0_10empty_typeEEEZZNS1_27merge_sort_block_merge_implIS3_PlPS5_mZN2at6native12_GLOBAL__N_124unique_dim_cuda_templateIN3c104HalfEEESt5tupleIJNSA_6TensorESH_SH_EERKSH_lbbbEUlllE_EE10hipError_tT0_T1_T2_jT3_P12ihipStream_tbPNSt15iterator_traitsISN_E10value_typeEPNST_ISO_E10value_typeEPSP_NS1_7vsmem_tEENKUlT_SN_SO_SP_E_clIS8_S8_S9_S9_EESM_S12_SN_SO_SP_EUlS12_E1_NS1_11comp_targetILNS1_3genE3ELNS1_11target_archE908ELNS1_3gpuE7ELNS1_3repE0EEENS1_36merge_oddeven_config_static_selectorELNS0_4arch9wavefront6targetE1EEEvSO_,@function
_ZN7rocprim17ROCPRIM_400000_NS6detail17trampoline_kernelINS0_14default_configENS1_38merge_sort_block_merge_config_selectorIlNS0_10empty_typeEEEZZNS1_27merge_sort_block_merge_implIS3_PlPS5_mZN2at6native12_GLOBAL__N_124unique_dim_cuda_templateIN3c104HalfEEESt5tupleIJNSA_6TensorESH_SH_EERKSH_lbbbEUlllE_EE10hipError_tT0_T1_T2_jT3_P12ihipStream_tbPNSt15iterator_traitsISN_E10value_typeEPNST_ISO_E10value_typeEPSP_NS1_7vsmem_tEENKUlT_SN_SO_SP_E_clIS8_S8_S9_S9_EESM_S12_SN_SO_SP_EUlS12_E1_NS1_11comp_targetILNS1_3genE3ELNS1_11target_archE908ELNS1_3gpuE7ELNS1_3repE0EEENS1_36merge_oddeven_config_static_selectorELNS0_4arch9wavefront6targetE1EEEvSO_: ; @_ZN7rocprim17ROCPRIM_400000_NS6detail17trampoline_kernelINS0_14default_configENS1_38merge_sort_block_merge_config_selectorIlNS0_10empty_typeEEEZZNS1_27merge_sort_block_merge_implIS3_PlPS5_mZN2at6native12_GLOBAL__N_124unique_dim_cuda_templateIN3c104HalfEEESt5tupleIJNSA_6TensorESH_SH_EERKSH_lbbbEUlllE_EE10hipError_tT0_T1_T2_jT3_P12ihipStream_tbPNSt15iterator_traitsISN_E10value_typeEPNST_ISO_E10value_typeEPSP_NS1_7vsmem_tEENKUlT_SN_SO_SP_E_clIS8_S8_S9_S9_EESM_S12_SN_SO_SP_EUlS12_E1_NS1_11comp_targetILNS1_3genE3ELNS1_11target_archE908ELNS1_3gpuE7ELNS1_3repE0EEENS1_36merge_oddeven_config_static_selectorELNS0_4arch9wavefront6targetE1EEEvSO_
; %bb.0:
	.section	.rodata,"a",@progbits
	.p2align	6, 0x0
	.amdhsa_kernel _ZN7rocprim17ROCPRIM_400000_NS6detail17trampoline_kernelINS0_14default_configENS1_38merge_sort_block_merge_config_selectorIlNS0_10empty_typeEEEZZNS1_27merge_sort_block_merge_implIS3_PlPS5_mZN2at6native12_GLOBAL__N_124unique_dim_cuda_templateIN3c104HalfEEESt5tupleIJNSA_6TensorESH_SH_EERKSH_lbbbEUlllE_EE10hipError_tT0_T1_T2_jT3_P12ihipStream_tbPNSt15iterator_traitsISN_E10value_typeEPNST_ISO_E10value_typeEPSP_NS1_7vsmem_tEENKUlT_SN_SO_SP_E_clIS8_S8_S9_S9_EESM_S12_SN_SO_SP_EUlS12_E1_NS1_11comp_targetILNS1_3genE3ELNS1_11target_archE908ELNS1_3gpuE7ELNS1_3repE0EEENS1_36merge_oddeven_config_static_selectorELNS0_4arch9wavefront6targetE1EEEvSO_
		.amdhsa_group_segment_fixed_size 0
		.amdhsa_private_segment_fixed_size 0
		.amdhsa_kernarg_size 64
		.amdhsa_user_sgpr_count 6
		.amdhsa_user_sgpr_private_segment_buffer 1
		.amdhsa_user_sgpr_dispatch_ptr 0
		.amdhsa_user_sgpr_queue_ptr 0
		.amdhsa_user_sgpr_kernarg_segment_ptr 1
		.amdhsa_user_sgpr_dispatch_id 0
		.amdhsa_user_sgpr_flat_scratch_init 0
		.amdhsa_user_sgpr_kernarg_preload_length 0
		.amdhsa_user_sgpr_kernarg_preload_offset 0
		.amdhsa_user_sgpr_private_segment_size 0
		.amdhsa_uses_dynamic_stack 0
		.amdhsa_system_sgpr_private_segment_wavefront_offset 0
		.amdhsa_system_sgpr_workgroup_id_x 1
		.amdhsa_system_sgpr_workgroup_id_y 0
		.amdhsa_system_sgpr_workgroup_id_z 0
		.amdhsa_system_sgpr_workgroup_info 0
		.amdhsa_system_vgpr_workitem_id 0
		.amdhsa_next_free_vgpr 1
		.amdhsa_next_free_sgpr 0
		.amdhsa_accum_offset 4
		.amdhsa_reserve_vcc 0
		.amdhsa_reserve_flat_scratch 0
		.amdhsa_float_round_mode_32 0
		.amdhsa_float_round_mode_16_64 0
		.amdhsa_float_denorm_mode_32 3
		.amdhsa_float_denorm_mode_16_64 3
		.amdhsa_dx10_clamp 1
		.amdhsa_ieee_mode 1
		.amdhsa_fp16_overflow 0
		.amdhsa_tg_split 0
		.amdhsa_exception_fp_ieee_invalid_op 0
		.amdhsa_exception_fp_denorm_src 0
		.amdhsa_exception_fp_ieee_div_zero 0
		.amdhsa_exception_fp_ieee_overflow 0
		.amdhsa_exception_fp_ieee_underflow 0
		.amdhsa_exception_fp_ieee_inexact 0
		.amdhsa_exception_int_div_zero 0
	.end_amdhsa_kernel
	.section	.text._ZN7rocprim17ROCPRIM_400000_NS6detail17trampoline_kernelINS0_14default_configENS1_38merge_sort_block_merge_config_selectorIlNS0_10empty_typeEEEZZNS1_27merge_sort_block_merge_implIS3_PlPS5_mZN2at6native12_GLOBAL__N_124unique_dim_cuda_templateIN3c104HalfEEESt5tupleIJNSA_6TensorESH_SH_EERKSH_lbbbEUlllE_EE10hipError_tT0_T1_T2_jT3_P12ihipStream_tbPNSt15iterator_traitsISN_E10value_typeEPNST_ISO_E10value_typeEPSP_NS1_7vsmem_tEENKUlT_SN_SO_SP_E_clIS8_S8_S9_S9_EESM_S12_SN_SO_SP_EUlS12_E1_NS1_11comp_targetILNS1_3genE3ELNS1_11target_archE908ELNS1_3gpuE7ELNS1_3repE0EEENS1_36merge_oddeven_config_static_selectorELNS0_4arch9wavefront6targetE1EEEvSO_,"axG",@progbits,_ZN7rocprim17ROCPRIM_400000_NS6detail17trampoline_kernelINS0_14default_configENS1_38merge_sort_block_merge_config_selectorIlNS0_10empty_typeEEEZZNS1_27merge_sort_block_merge_implIS3_PlPS5_mZN2at6native12_GLOBAL__N_124unique_dim_cuda_templateIN3c104HalfEEESt5tupleIJNSA_6TensorESH_SH_EERKSH_lbbbEUlllE_EE10hipError_tT0_T1_T2_jT3_P12ihipStream_tbPNSt15iterator_traitsISN_E10value_typeEPNST_ISO_E10value_typeEPSP_NS1_7vsmem_tEENKUlT_SN_SO_SP_E_clIS8_S8_S9_S9_EESM_S12_SN_SO_SP_EUlS12_E1_NS1_11comp_targetILNS1_3genE3ELNS1_11target_archE908ELNS1_3gpuE7ELNS1_3repE0EEENS1_36merge_oddeven_config_static_selectorELNS0_4arch9wavefront6targetE1EEEvSO_,comdat
.Lfunc_end1266:
	.size	_ZN7rocprim17ROCPRIM_400000_NS6detail17trampoline_kernelINS0_14default_configENS1_38merge_sort_block_merge_config_selectorIlNS0_10empty_typeEEEZZNS1_27merge_sort_block_merge_implIS3_PlPS5_mZN2at6native12_GLOBAL__N_124unique_dim_cuda_templateIN3c104HalfEEESt5tupleIJNSA_6TensorESH_SH_EERKSH_lbbbEUlllE_EE10hipError_tT0_T1_T2_jT3_P12ihipStream_tbPNSt15iterator_traitsISN_E10value_typeEPNST_ISO_E10value_typeEPSP_NS1_7vsmem_tEENKUlT_SN_SO_SP_E_clIS8_S8_S9_S9_EESM_S12_SN_SO_SP_EUlS12_E1_NS1_11comp_targetILNS1_3genE3ELNS1_11target_archE908ELNS1_3gpuE7ELNS1_3repE0EEENS1_36merge_oddeven_config_static_selectorELNS0_4arch9wavefront6targetE1EEEvSO_, .Lfunc_end1266-_ZN7rocprim17ROCPRIM_400000_NS6detail17trampoline_kernelINS0_14default_configENS1_38merge_sort_block_merge_config_selectorIlNS0_10empty_typeEEEZZNS1_27merge_sort_block_merge_implIS3_PlPS5_mZN2at6native12_GLOBAL__N_124unique_dim_cuda_templateIN3c104HalfEEESt5tupleIJNSA_6TensorESH_SH_EERKSH_lbbbEUlllE_EE10hipError_tT0_T1_T2_jT3_P12ihipStream_tbPNSt15iterator_traitsISN_E10value_typeEPNST_ISO_E10value_typeEPSP_NS1_7vsmem_tEENKUlT_SN_SO_SP_E_clIS8_S8_S9_S9_EESM_S12_SN_SO_SP_EUlS12_E1_NS1_11comp_targetILNS1_3genE3ELNS1_11target_archE908ELNS1_3gpuE7ELNS1_3repE0EEENS1_36merge_oddeven_config_static_selectorELNS0_4arch9wavefront6targetE1EEEvSO_
                                        ; -- End function
	.section	.AMDGPU.csdata,"",@progbits
; Kernel info:
; codeLenInByte = 0
; NumSgprs: 4
; NumVgprs: 0
; NumAgprs: 0
; TotalNumVgprs: 0
; ScratchSize: 0
; MemoryBound: 0
; FloatMode: 240
; IeeeMode: 1
; LDSByteSize: 0 bytes/workgroup (compile time only)
; SGPRBlocks: 0
; VGPRBlocks: 0
; NumSGPRsForWavesPerEU: 4
; NumVGPRsForWavesPerEU: 1
; AccumOffset: 4
; Occupancy: 8
; WaveLimiterHint : 0
; COMPUTE_PGM_RSRC2:SCRATCH_EN: 0
; COMPUTE_PGM_RSRC2:USER_SGPR: 6
; COMPUTE_PGM_RSRC2:TRAP_HANDLER: 0
; COMPUTE_PGM_RSRC2:TGID_X_EN: 1
; COMPUTE_PGM_RSRC2:TGID_Y_EN: 0
; COMPUTE_PGM_RSRC2:TGID_Z_EN: 0
; COMPUTE_PGM_RSRC2:TIDIG_COMP_CNT: 0
; COMPUTE_PGM_RSRC3_GFX90A:ACCUM_OFFSET: 0
; COMPUTE_PGM_RSRC3_GFX90A:TG_SPLIT: 0
	.section	.text._ZN7rocprim17ROCPRIM_400000_NS6detail17trampoline_kernelINS0_14default_configENS1_38merge_sort_block_merge_config_selectorIlNS0_10empty_typeEEEZZNS1_27merge_sort_block_merge_implIS3_PlPS5_mZN2at6native12_GLOBAL__N_124unique_dim_cuda_templateIN3c104HalfEEESt5tupleIJNSA_6TensorESH_SH_EERKSH_lbbbEUlllE_EE10hipError_tT0_T1_T2_jT3_P12ihipStream_tbPNSt15iterator_traitsISN_E10value_typeEPNST_ISO_E10value_typeEPSP_NS1_7vsmem_tEENKUlT_SN_SO_SP_E_clIS8_S8_S9_S9_EESM_S12_SN_SO_SP_EUlS12_E1_NS1_11comp_targetILNS1_3genE2ELNS1_11target_archE906ELNS1_3gpuE6ELNS1_3repE0EEENS1_36merge_oddeven_config_static_selectorELNS0_4arch9wavefront6targetE1EEEvSO_,"axG",@progbits,_ZN7rocprim17ROCPRIM_400000_NS6detail17trampoline_kernelINS0_14default_configENS1_38merge_sort_block_merge_config_selectorIlNS0_10empty_typeEEEZZNS1_27merge_sort_block_merge_implIS3_PlPS5_mZN2at6native12_GLOBAL__N_124unique_dim_cuda_templateIN3c104HalfEEESt5tupleIJNSA_6TensorESH_SH_EERKSH_lbbbEUlllE_EE10hipError_tT0_T1_T2_jT3_P12ihipStream_tbPNSt15iterator_traitsISN_E10value_typeEPNST_ISO_E10value_typeEPSP_NS1_7vsmem_tEENKUlT_SN_SO_SP_E_clIS8_S8_S9_S9_EESM_S12_SN_SO_SP_EUlS12_E1_NS1_11comp_targetILNS1_3genE2ELNS1_11target_archE906ELNS1_3gpuE6ELNS1_3repE0EEENS1_36merge_oddeven_config_static_selectorELNS0_4arch9wavefront6targetE1EEEvSO_,comdat
	.globl	_ZN7rocprim17ROCPRIM_400000_NS6detail17trampoline_kernelINS0_14default_configENS1_38merge_sort_block_merge_config_selectorIlNS0_10empty_typeEEEZZNS1_27merge_sort_block_merge_implIS3_PlPS5_mZN2at6native12_GLOBAL__N_124unique_dim_cuda_templateIN3c104HalfEEESt5tupleIJNSA_6TensorESH_SH_EERKSH_lbbbEUlllE_EE10hipError_tT0_T1_T2_jT3_P12ihipStream_tbPNSt15iterator_traitsISN_E10value_typeEPNST_ISO_E10value_typeEPSP_NS1_7vsmem_tEENKUlT_SN_SO_SP_E_clIS8_S8_S9_S9_EESM_S12_SN_SO_SP_EUlS12_E1_NS1_11comp_targetILNS1_3genE2ELNS1_11target_archE906ELNS1_3gpuE6ELNS1_3repE0EEENS1_36merge_oddeven_config_static_selectorELNS0_4arch9wavefront6targetE1EEEvSO_ ; -- Begin function _ZN7rocprim17ROCPRIM_400000_NS6detail17trampoline_kernelINS0_14default_configENS1_38merge_sort_block_merge_config_selectorIlNS0_10empty_typeEEEZZNS1_27merge_sort_block_merge_implIS3_PlPS5_mZN2at6native12_GLOBAL__N_124unique_dim_cuda_templateIN3c104HalfEEESt5tupleIJNSA_6TensorESH_SH_EERKSH_lbbbEUlllE_EE10hipError_tT0_T1_T2_jT3_P12ihipStream_tbPNSt15iterator_traitsISN_E10value_typeEPNST_ISO_E10value_typeEPSP_NS1_7vsmem_tEENKUlT_SN_SO_SP_E_clIS8_S8_S9_S9_EESM_S12_SN_SO_SP_EUlS12_E1_NS1_11comp_targetILNS1_3genE2ELNS1_11target_archE906ELNS1_3gpuE6ELNS1_3repE0EEENS1_36merge_oddeven_config_static_selectorELNS0_4arch9wavefront6targetE1EEEvSO_
	.p2align	8
	.type	_ZN7rocprim17ROCPRIM_400000_NS6detail17trampoline_kernelINS0_14default_configENS1_38merge_sort_block_merge_config_selectorIlNS0_10empty_typeEEEZZNS1_27merge_sort_block_merge_implIS3_PlPS5_mZN2at6native12_GLOBAL__N_124unique_dim_cuda_templateIN3c104HalfEEESt5tupleIJNSA_6TensorESH_SH_EERKSH_lbbbEUlllE_EE10hipError_tT0_T1_T2_jT3_P12ihipStream_tbPNSt15iterator_traitsISN_E10value_typeEPNST_ISO_E10value_typeEPSP_NS1_7vsmem_tEENKUlT_SN_SO_SP_E_clIS8_S8_S9_S9_EESM_S12_SN_SO_SP_EUlS12_E1_NS1_11comp_targetILNS1_3genE2ELNS1_11target_archE906ELNS1_3gpuE6ELNS1_3repE0EEENS1_36merge_oddeven_config_static_selectorELNS0_4arch9wavefront6targetE1EEEvSO_,@function
_ZN7rocprim17ROCPRIM_400000_NS6detail17trampoline_kernelINS0_14default_configENS1_38merge_sort_block_merge_config_selectorIlNS0_10empty_typeEEEZZNS1_27merge_sort_block_merge_implIS3_PlPS5_mZN2at6native12_GLOBAL__N_124unique_dim_cuda_templateIN3c104HalfEEESt5tupleIJNSA_6TensorESH_SH_EERKSH_lbbbEUlllE_EE10hipError_tT0_T1_T2_jT3_P12ihipStream_tbPNSt15iterator_traitsISN_E10value_typeEPNST_ISO_E10value_typeEPSP_NS1_7vsmem_tEENKUlT_SN_SO_SP_E_clIS8_S8_S9_S9_EESM_S12_SN_SO_SP_EUlS12_E1_NS1_11comp_targetILNS1_3genE2ELNS1_11target_archE906ELNS1_3gpuE6ELNS1_3repE0EEENS1_36merge_oddeven_config_static_selectorELNS0_4arch9wavefront6targetE1EEEvSO_: ; @_ZN7rocprim17ROCPRIM_400000_NS6detail17trampoline_kernelINS0_14default_configENS1_38merge_sort_block_merge_config_selectorIlNS0_10empty_typeEEEZZNS1_27merge_sort_block_merge_implIS3_PlPS5_mZN2at6native12_GLOBAL__N_124unique_dim_cuda_templateIN3c104HalfEEESt5tupleIJNSA_6TensorESH_SH_EERKSH_lbbbEUlllE_EE10hipError_tT0_T1_T2_jT3_P12ihipStream_tbPNSt15iterator_traitsISN_E10value_typeEPNST_ISO_E10value_typeEPSP_NS1_7vsmem_tEENKUlT_SN_SO_SP_E_clIS8_S8_S9_S9_EESM_S12_SN_SO_SP_EUlS12_E1_NS1_11comp_targetILNS1_3genE2ELNS1_11target_archE906ELNS1_3gpuE6ELNS1_3repE0EEENS1_36merge_oddeven_config_static_selectorELNS0_4arch9wavefront6targetE1EEEvSO_
; %bb.0:
	.section	.rodata,"a",@progbits
	.p2align	6, 0x0
	.amdhsa_kernel _ZN7rocprim17ROCPRIM_400000_NS6detail17trampoline_kernelINS0_14default_configENS1_38merge_sort_block_merge_config_selectorIlNS0_10empty_typeEEEZZNS1_27merge_sort_block_merge_implIS3_PlPS5_mZN2at6native12_GLOBAL__N_124unique_dim_cuda_templateIN3c104HalfEEESt5tupleIJNSA_6TensorESH_SH_EERKSH_lbbbEUlllE_EE10hipError_tT0_T1_T2_jT3_P12ihipStream_tbPNSt15iterator_traitsISN_E10value_typeEPNST_ISO_E10value_typeEPSP_NS1_7vsmem_tEENKUlT_SN_SO_SP_E_clIS8_S8_S9_S9_EESM_S12_SN_SO_SP_EUlS12_E1_NS1_11comp_targetILNS1_3genE2ELNS1_11target_archE906ELNS1_3gpuE6ELNS1_3repE0EEENS1_36merge_oddeven_config_static_selectorELNS0_4arch9wavefront6targetE1EEEvSO_
		.amdhsa_group_segment_fixed_size 0
		.amdhsa_private_segment_fixed_size 0
		.amdhsa_kernarg_size 64
		.amdhsa_user_sgpr_count 6
		.amdhsa_user_sgpr_private_segment_buffer 1
		.amdhsa_user_sgpr_dispatch_ptr 0
		.amdhsa_user_sgpr_queue_ptr 0
		.amdhsa_user_sgpr_kernarg_segment_ptr 1
		.amdhsa_user_sgpr_dispatch_id 0
		.amdhsa_user_sgpr_flat_scratch_init 0
		.amdhsa_user_sgpr_kernarg_preload_length 0
		.amdhsa_user_sgpr_kernarg_preload_offset 0
		.amdhsa_user_sgpr_private_segment_size 0
		.amdhsa_uses_dynamic_stack 0
		.amdhsa_system_sgpr_private_segment_wavefront_offset 0
		.amdhsa_system_sgpr_workgroup_id_x 1
		.amdhsa_system_sgpr_workgroup_id_y 0
		.amdhsa_system_sgpr_workgroup_id_z 0
		.amdhsa_system_sgpr_workgroup_info 0
		.amdhsa_system_vgpr_workitem_id 0
		.amdhsa_next_free_vgpr 1
		.amdhsa_next_free_sgpr 0
		.amdhsa_accum_offset 4
		.amdhsa_reserve_vcc 0
		.amdhsa_reserve_flat_scratch 0
		.amdhsa_float_round_mode_32 0
		.amdhsa_float_round_mode_16_64 0
		.amdhsa_float_denorm_mode_32 3
		.amdhsa_float_denorm_mode_16_64 3
		.amdhsa_dx10_clamp 1
		.amdhsa_ieee_mode 1
		.amdhsa_fp16_overflow 0
		.amdhsa_tg_split 0
		.amdhsa_exception_fp_ieee_invalid_op 0
		.amdhsa_exception_fp_denorm_src 0
		.amdhsa_exception_fp_ieee_div_zero 0
		.amdhsa_exception_fp_ieee_overflow 0
		.amdhsa_exception_fp_ieee_underflow 0
		.amdhsa_exception_fp_ieee_inexact 0
		.amdhsa_exception_int_div_zero 0
	.end_amdhsa_kernel
	.section	.text._ZN7rocprim17ROCPRIM_400000_NS6detail17trampoline_kernelINS0_14default_configENS1_38merge_sort_block_merge_config_selectorIlNS0_10empty_typeEEEZZNS1_27merge_sort_block_merge_implIS3_PlPS5_mZN2at6native12_GLOBAL__N_124unique_dim_cuda_templateIN3c104HalfEEESt5tupleIJNSA_6TensorESH_SH_EERKSH_lbbbEUlllE_EE10hipError_tT0_T1_T2_jT3_P12ihipStream_tbPNSt15iterator_traitsISN_E10value_typeEPNST_ISO_E10value_typeEPSP_NS1_7vsmem_tEENKUlT_SN_SO_SP_E_clIS8_S8_S9_S9_EESM_S12_SN_SO_SP_EUlS12_E1_NS1_11comp_targetILNS1_3genE2ELNS1_11target_archE906ELNS1_3gpuE6ELNS1_3repE0EEENS1_36merge_oddeven_config_static_selectorELNS0_4arch9wavefront6targetE1EEEvSO_,"axG",@progbits,_ZN7rocprim17ROCPRIM_400000_NS6detail17trampoline_kernelINS0_14default_configENS1_38merge_sort_block_merge_config_selectorIlNS0_10empty_typeEEEZZNS1_27merge_sort_block_merge_implIS3_PlPS5_mZN2at6native12_GLOBAL__N_124unique_dim_cuda_templateIN3c104HalfEEESt5tupleIJNSA_6TensorESH_SH_EERKSH_lbbbEUlllE_EE10hipError_tT0_T1_T2_jT3_P12ihipStream_tbPNSt15iterator_traitsISN_E10value_typeEPNST_ISO_E10value_typeEPSP_NS1_7vsmem_tEENKUlT_SN_SO_SP_E_clIS8_S8_S9_S9_EESM_S12_SN_SO_SP_EUlS12_E1_NS1_11comp_targetILNS1_3genE2ELNS1_11target_archE906ELNS1_3gpuE6ELNS1_3repE0EEENS1_36merge_oddeven_config_static_selectorELNS0_4arch9wavefront6targetE1EEEvSO_,comdat
.Lfunc_end1267:
	.size	_ZN7rocprim17ROCPRIM_400000_NS6detail17trampoline_kernelINS0_14default_configENS1_38merge_sort_block_merge_config_selectorIlNS0_10empty_typeEEEZZNS1_27merge_sort_block_merge_implIS3_PlPS5_mZN2at6native12_GLOBAL__N_124unique_dim_cuda_templateIN3c104HalfEEESt5tupleIJNSA_6TensorESH_SH_EERKSH_lbbbEUlllE_EE10hipError_tT0_T1_T2_jT3_P12ihipStream_tbPNSt15iterator_traitsISN_E10value_typeEPNST_ISO_E10value_typeEPSP_NS1_7vsmem_tEENKUlT_SN_SO_SP_E_clIS8_S8_S9_S9_EESM_S12_SN_SO_SP_EUlS12_E1_NS1_11comp_targetILNS1_3genE2ELNS1_11target_archE906ELNS1_3gpuE6ELNS1_3repE0EEENS1_36merge_oddeven_config_static_selectorELNS0_4arch9wavefront6targetE1EEEvSO_, .Lfunc_end1267-_ZN7rocprim17ROCPRIM_400000_NS6detail17trampoline_kernelINS0_14default_configENS1_38merge_sort_block_merge_config_selectorIlNS0_10empty_typeEEEZZNS1_27merge_sort_block_merge_implIS3_PlPS5_mZN2at6native12_GLOBAL__N_124unique_dim_cuda_templateIN3c104HalfEEESt5tupleIJNSA_6TensorESH_SH_EERKSH_lbbbEUlllE_EE10hipError_tT0_T1_T2_jT3_P12ihipStream_tbPNSt15iterator_traitsISN_E10value_typeEPNST_ISO_E10value_typeEPSP_NS1_7vsmem_tEENKUlT_SN_SO_SP_E_clIS8_S8_S9_S9_EESM_S12_SN_SO_SP_EUlS12_E1_NS1_11comp_targetILNS1_3genE2ELNS1_11target_archE906ELNS1_3gpuE6ELNS1_3repE0EEENS1_36merge_oddeven_config_static_selectorELNS0_4arch9wavefront6targetE1EEEvSO_
                                        ; -- End function
	.section	.AMDGPU.csdata,"",@progbits
; Kernel info:
; codeLenInByte = 0
; NumSgprs: 4
; NumVgprs: 0
; NumAgprs: 0
; TotalNumVgprs: 0
; ScratchSize: 0
; MemoryBound: 0
; FloatMode: 240
; IeeeMode: 1
; LDSByteSize: 0 bytes/workgroup (compile time only)
; SGPRBlocks: 0
; VGPRBlocks: 0
; NumSGPRsForWavesPerEU: 4
; NumVGPRsForWavesPerEU: 1
; AccumOffset: 4
; Occupancy: 8
; WaveLimiterHint : 0
; COMPUTE_PGM_RSRC2:SCRATCH_EN: 0
; COMPUTE_PGM_RSRC2:USER_SGPR: 6
; COMPUTE_PGM_RSRC2:TRAP_HANDLER: 0
; COMPUTE_PGM_RSRC2:TGID_X_EN: 1
; COMPUTE_PGM_RSRC2:TGID_Y_EN: 0
; COMPUTE_PGM_RSRC2:TGID_Z_EN: 0
; COMPUTE_PGM_RSRC2:TIDIG_COMP_CNT: 0
; COMPUTE_PGM_RSRC3_GFX90A:ACCUM_OFFSET: 0
; COMPUTE_PGM_RSRC3_GFX90A:TG_SPLIT: 0
	.section	.text._ZN7rocprim17ROCPRIM_400000_NS6detail17trampoline_kernelINS0_14default_configENS1_38merge_sort_block_merge_config_selectorIlNS0_10empty_typeEEEZZNS1_27merge_sort_block_merge_implIS3_PlPS5_mZN2at6native12_GLOBAL__N_124unique_dim_cuda_templateIN3c104HalfEEESt5tupleIJNSA_6TensorESH_SH_EERKSH_lbbbEUlllE_EE10hipError_tT0_T1_T2_jT3_P12ihipStream_tbPNSt15iterator_traitsISN_E10value_typeEPNST_ISO_E10value_typeEPSP_NS1_7vsmem_tEENKUlT_SN_SO_SP_E_clIS8_S8_S9_S9_EESM_S12_SN_SO_SP_EUlS12_E1_NS1_11comp_targetILNS1_3genE9ELNS1_11target_archE1100ELNS1_3gpuE3ELNS1_3repE0EEENS1_36merge_oddeven_config_static_selectorELNS0_4arch9wavefront6targetE1EEEvSO_,"axG",@progbits,_ZN7rocprim17ROCPRIM_400000_NS6detail17trampoline_kernelINS0_14default_configENS1_38merge_sort_block_merge_config_selectorIlNS0_10empty_typeEEEZZNS1_27merge_sort_block_merge_implIS3_PlPS5_mZN2at6native12_GLOBAL__N_124unique_dim_cuda_templateIN3c104HalfEEESt5tupleIJNSA_6TensorESH_SH_EERKSH_lbbbEUlllE_EE10hipError_tT0_T1_T2_jT3_P12ihipStream_tbPNSt15iterator_traitsISN_E10value_typeEPNST_ISO_E10value_typeEPSP_NS1_7vsmem_tEENKUlT_SN_SO_SP_E_clIS8_S8_S9_S9_EESM_S12_SN_SO_SP_EUlS12_E1_NS1_11comp_targetILNS1_3genE9ELNS1_11target_archE1100ELNS1_3gpuE3ELNS1_3repE0EEENS1_36merge_oddeven_config_static_selectorELNS0_4arch9wavefront6targetE1EEEvSO_,comdat
	.globl	_ZN7rocprim17ROCPRIM_400000_NS6detail17trampoline_kernelINS0_14default_configENS1_38merge_sort_block_merge_config_selectorIlNS0_10empty_typeEEEZZNS1_27merge_sort_block_merge_implIS3_PlPS5_mZN2at6native12_GLOBAL__N_124unique_dim_cuda_templateIN3c104HalfEEESt5tupleIJNSA_6TensorESH_SH_EERKSH_lbbbEUlllE_EE10hipError_tT0_T1_T2_jT3_P12ihipStream_tbPNSt15iterator_traitsISN_E10value_typeEPNST_ISO_E10value_typeEPSP_NS1_7vsmem_tEENKUlT_SN_SO_SP_E_clIS8_S8_S9_S9_EESM_S12_SN_SO_SP_EUlS12_E1_NS1_11comp_targetILNS1_3genE9ELNS1_11target_archE1100ELNS1_3gpuE3ELNS1_3repE0EEENS1_36merge_oddeven_config_static_selectorELNS0_4arch9wavefront6targetE1EEEvSO_ ; -- Begin function _ZN7rocprim17ROCPRIM_400000_NS6detail17trampoline_kernelINS0_14default_configENS1_38merge_sort_block_merge_config_selectorIlNS0_10empty_typeEEEZZNS1_27merge_sort_block_merge_implIS3_PlPS5_mZN2at6native12_GLOBAL__N_124unique_dim_cuda_templateIN3c104HalfEEESt5tupleIJNSA_6TensorESH_SH_EERKSH_lbbbEUlllE_EE10hipError_tT0_T1_T2_jT3_P12ihipStream_tbPNSt15iterator_traitsISN_E10value_typeEPNST_ISO_E10value_typeEPSP_NS1_7vsmem_tEENKUlT_SN_SO_SP_E_clIS8_S8_S9_S9_EESM_S12_SN_SO_SP_EUlS12_E1_NS1_11comp_targetILNS1_3genE9ELNS1_11target_archE1100ELNS1_3gpuE3ELNS1_3repE0EEENS1_36merge_oddeven_config_static_selectorELNS0_4arch9wavefront6targetE1EEEvSO_
	.p2align	8
	.type	_ZN7rocprim17ROCPRIM_400000_NS6detail17trampoline_kernelINS0_14default_configENS1_38merge_sort_block_merge_config_selectorIlNS0_10empty_typeEEEZZNS1_27merge_sort_block_merge_implIS3_PlPS5_mZN2at6native12_GLOBAL__N_124unique_dim_cuda_templateIN3c104HalfEEESt5tupleIJNSA_6TensorESH_SH_EERKSH_lbbbEUlllE_EE10hipError_tT0_T1_T2_jT3_P12ihipStream_tbPNSt15iterator_traitsISN_E10value_typeEPNST_ISO_E10value_typeEPSP_NS1_7vsmem_tEENKUlT_SN_SO_SP_E_clIS8_S8_S9_S9_EESM_S12_SN_SO_SP_EUlS12_E1_NS1_11comp_targetILNS1_3genE9ELNS1_11target_archE1100ELNS1_3gpuE3ELNS1_3repE0EEENS1_36merge_oddeven_config_static_selectorELNS0_4arch9wavefront6targetE1EEEvSO_,@function
_ZN7rocprim17ROCPRIM_400000_NS6detail17trampoline_kernelINS0_14default_configENS1_38merge_sort_block_merge_config_selectorIlNS0_10empty_typeEEEZZNS1_27merge_sort_block_merge_implIS3_PlPS5_mZN2at6native12_GLOBAL__N_124unique_dim_cuda_templateIN3c104HalfEEESt5tupleIJNSA_6TensorESH_SH_EERKSH_lbbbEUlllE_EE10hipError_tT0_T1_T2_jT3_P12ihipStream_tbPNSt15iterator_traitsISN_E10value_typeEPNST_ISO_E10value_typeEPSP_NS1_7vsmem_tEENKUlT_SN_SO_SP_E_clIS8_S8_S9_S9_EESM_S12_SN_SO_SP_EUlS12_E1_NS1_11comp_targetILNS1_3genE9ELNS1_11target_archE1100ELNS1_3gpuE3ELNS1_3repE0EEENS1_36merge_oddeven_config_static_selectorELNS0_4arch9wavefront6targetE1EEEvSO_: ; @_ZN7rocprim17ROCPRIM_400000_NS6detail17trampoline_kernelINS0_14default_configENS1_38merge_sort_block_merge_config_selectorIlNS0_10empty_typeEEEZZNS1_27merge_sort_block_merge_implIS3_PlPS5_mZN2at6native12_GLOBAL__N_124unique_dim_cuda_templateIN3c104HalfEEESt5tupleIJNSA_6TensorESH_SH_EERKSH_lbbbEUlllE_EE10hipError_tT0_T1_T2_jT3_P12ihipStream_tbPNSt15iterator_traitsISN_E10value_typeEPNST_ISO_E10value_typeEPSP_NS1_7vsmem_tEENKUlT_SN_SO_SP_E_clIS8_S8_S9_S9_EESM_S12_SN_SO_SP_EUlS12_E1_NS1_11comp_targetILNS1_3genE9ELNS1_11target_archE1100ELNS1_3gpuE3ELNS1_3repE0EEENS1_36merge_oddeven_config_static_selectorELNS0_4arch9wavefront6targetE1EEEvSO_
; %bb.0:
	.section	.rodata,"a",@progbits
	.p2align	6, 0x0
	.amdhsa_kernel _ZN7rocprim17ROCPRIM_400000_NS6detail17trampoline_kernelINS0_14default_configENS1_38merge_sort_block_merge_config_selectorIlNS0_10empty_typeEEEZZNS1_27merge_sort_block_merge_implIS3_PlPS5_mZN2at6native12_GLOBAL__N_124unique_dim_cuda_templateIN3c104HalfEEESt5tupleIJNSA_6TensorESH_SH_EERKSH_lbbbEUlllE_EE10hipError_tT0_T1_T2_jT3_P12ihipStream_tbPNSt15iterator_traitsISN_E10value_typeEPNST_ISO_E10value_typeEPSP_NS1_7vsmem_tEENKUlT_SN_SO_SP_E_clIS8_S8_S9_S9_EESM_S12_SN_SO_SP_EUlS12_E1_NS1_11comp_targetILNS1_3genE9ELNS1_11target_archE1100ELNS1_3gpuE3ELNS1_3repE0EEENS1_36merge_oddeven_config_static_selectorELNS0_4arch9wavefront6targetE1EEEvSO_
		.amdhsa_group_segment_fixed_size 0
		.amdhsa_private_segment_fixed_size 0
		.amdhsa_kernarg_size 64
		.amdhsa_user_sgpr_count 6
		.amdhsa_user_sgpr_private_segment_buffer 1
		.amdhsa_user_sgpr_dispatch_ptr 0
		.amdhsa_user_sgpr_queue_ptr 0
		.amdhsa_user_sgpr_kernarg_segment_ptr 1
		.amdhsa_user_sgpr_dispatch_id 0
		.amdhsa_user_sgpr_flat_scratch_init 0
		.amdhsa_user_sgpr_kernarg_preload_length 0
		.amdhsa_user_sgpr_kernarg_preload_offset 0
		.amdhsa_user_sgpr_private_segment_size 0
		.amdhsa_uses_dynamic_stack 0
		.amdhsa_system_sgpr_private_segment_wavefront_offset 0
		.amdhsa_system_sgpr_workgroup_id_x 1
		.amdhsa_system_sgpr_workgroup_id_y 0
		.amdhsa_system_sgpr_workgroup_id_z 0
		.amdhsa_system_sgpr_workgroup_info 0
		.amdhsa_system_vgpr_workitem_id 0
		.amdhsa_next_free_vgpr 1
		.amdhsa_next_free_sgpr 0
		.amdhsa_accum_offset 4
		.amdhsa_reserve_vcc 0
		.amdhsa_reserve_flat_scratch 0
		.amdhsa_float_round_mode_32 0
		.amdhsa_float_round_mode_16_64 0
		.amdhsa_float_denorm_mode_32 3
		.amdhsa_float_denorm_mode_16_64 3
		.amdhsa_dx10_clamp 1
		.amdhsa_ieee_mode 1
		.amdhsa_fp16_overflow 0
		.amdhsa_tg_split 0
		.amdhsa_exception_fp_ieee_invalid_op 0
		.amdhsa_exception_fp_denorm_src 0
		.amdhsa_exception_fp_ieee_div_zero 0
		.amdhsa_exception_fp_ieee_overflow 0
		.amdhsa_exception_fp_ieee_underflow 0
		.amdhsa_exception_fp_ieee_inexact 0
		.amdhsa_exception_int_div_zero 0
	.end_amdhsa_kernel
	.section	.text._ZN7rocprim17ROCPRIM_400000_NS6detail17trampoline_kernelINS0_14default_configENS1_38merge_sort_block_merge_config_selectorIlNS0_10empty_typeEEEZZNS1_27merge_sort_block_merge_implIS3_PlPS5_mZN2at6native12_GLOBAL__N_124unique_dim_cuda_templateIN3c104HalfEEESt5tupleIJNSA_6TensorESH_SH_EERKSH_lbbbEUlllE_EE10hipError_tT0_T1_T2_jT3_P12ihipStream_tbPNSt15iterator_traitsISN_E10value_typeEPNST_ISO_E10value_typeEPSP_NS1_7vsmem_tEENKUlT_SN_SO_SP_E_clIS8_S8_S9_S9_EESM_S12_SN_SO_SP_EUlS12_E1_NS1_11comp_targetILNS1_3genE9ELNS1_11target_archE1100ELNS1_3gpuE3ELNS1_3repE0EEENS1_36merge_oddeven_config_static_selectorELNS0_4arch9wavefront6targetE1EEEvSO_,"axG",@progbits,_ZN7rocprim17ROCPRIM_400000_NS6detail17trampoline_kernelINS0_14default_configENS1_38merge_sort_block_merge_config_selectorIlNS0_10empty_typeEEEZZNS1_27merge_sort_block_merge_implIS3_PlPS5_mZN2at6native12_GLOBAL__N_124unique_dim_cuda_templateIN3c104HalfEEESt5tupleIJNSA_6TensorESH_SH_EERKSH_lbbbEUlllE_EE10hipError_tT0_T1_T2_jT3_P12ihipStream_tbPNSt15iterator_traitsISN_E10value_typeEPNST_ISO_E10value_typeEPSP_NS1_7vsmem_tEENKUlT_SN_SO_SP_E_clIS8_S8_S9_S9_EESM_S12_SN_SO_SP_EUlS12_E1_NS1_11comp_targetILNS1_3genE9ELNS1_11target_archE1100ELNS1_3gpuE3ELNS1_3repE0EEENS1_36merge_oddeven_config_static_selectorELNS0_4arch9wavefront6targetE1EEEvSO_,comdat
.Lfunc_end1268:
	.size	_ZN7rocprim17ROCPRIM_400000_NS6detail17trampoline_kernelINS0_14default_configENS1_38merge_sort_block_merge_config_selectorIlNS0_10empty_typeEEEZZNS1_27merge_sort_block_merge_implIS3_PlPS5_mZN2at6native12_GLOBAL__N_124unique_dim_cuda_templateIN3c104HalfEEESt5tupleIJNSA_6TensorESH_SH_EERKSH_lbbbEUlllE_EE10hipError_tT0_T1_T2_jT3_P12ihipStream_tbPNSt15iterator_traitsISN_E10value_typeEPNST_ISO_E10value_typeEPSP_NS1_7vsmem_tEENKUlT_SN_SO_SP_E_clIS8_S8_S9_S9_EESM_S12_SN_SO_SP_EUlS12_E1_NS1_11comp_targetILNS1_3genE9ELNS1_11target_archE1100ELNS1_3gpuE3ELNS1_3repE0EEENS1_36merge_oddeven_config_static_selectorELNS0_4arch9wavefront6targetE1EEEvSO_, .Lfunc_end1268-_ZN7rocprim17ROCPRIM_400000_NS6detail17trampoline_kernelINS0_14default_configENS1_38merge_sort_block_merge_config_selectorIlNS0_10empty_typeEEEZZNS1_27merge_sort_block_merge_implIS3_PlPS5_mZN2at6native12_GLOBAL__N_124unique_dim_cuda_templateIN3c104HalfEEESt5tupleIJNSA_6TensorESH_SH_EERKSH_lbbbEUlllE_EE10hipError_tT0_T1_T2_jT3_P12ihipStream_tbPNSt15iterator_traitsISN_E10value_typeEPNST_ISO_E10value_typeEPSP_NS1_7vsmem_tEENKUlT_SN_SO_SP_E_clIS8_S8_S9_S9_EESM_S12_SN_SO_SP_EUlS12_E1_NS1_11comp_targetILNS1_3genE9ELNS1_11target_archE1100ELNS1_3gpuE3ELNS1_3repE0EEENS1_36merge_oddeven_config_static_selectorELNS0_4arch9wavefront6targetE1EEEvSO_
                                        ; -- End function
	.section	.AMDGPU.csdata,"",@progbits
; Kernel info:
; codeLenInByte = 0
; NumSgprs: 4
; NumVgprs: 0
; NumAgprs: 0
; TotalNumVgprs: 0
; ScratchSize: 0
; MemoryBound: 0
; FloatMode: 240
; IeeeMode: 1
; LDSByteSize: 0 bytes/workgroup (compile time only)
; SGPRBlocks: 0
; VGPRBlocks: 0
; NumSGPRsForWavesPerEU: 4
; NumVGPRsForWavesPerEU: 1
; AccumOffset: 4
; Occupancy: 8
; WaveLimiterHint : 0
; COMPUTE_PGM_RSRC2:SCRATCH_EN: 0
; COMPUTE_PGM_RSRC2:USER_SGPR: 6
; COMPUTE_PGM_RSRC2:TRAP_HANDLER: 0
; COMPUTE_PGM_RSRC2:TGID_X_EN: 1
; COMPUTE_PGM_RSRC2:TGID_Y_EN: 0
; COMPUTE_PGM_RSRC2:TGID_Z_EN: 0
; COMPUTE_PGM_RSRC2:TIDIG_COMP_CNT: 0
; COMPUTE_PGM_RSRC3_GFX90A:ACCUM_OFFSET: 0
; COMPUTE_PGM_RSRC3_GFX90A:TG_SPLIT: 0
	.section	.text._ZN7rocprim17ROCPRIM_400000_NS6detail17trampoline_kernelINS0_14default_configENS1_38merge_sort_block_merge_config_selectorIlNS0_10empty_typeEEEZZNS1_27merge_sort_block_merge_implIS3_PlPS5_mZN2at6native12_GLOBAL__N_124unique_dim_cuda_templateIN3c104HalfEEESt5tupleIJNSA_6TensorESH_SH_EERKSH_lbbbEUlllE_EE10hipError_tT0_T1_T2_jT3_P12ihipStream_tbPNSt15iterator_traitsISN_E10value_typeEPNST_ISO_E10value_typeEPSP_NS1_7vsmem_tEENKUlT_SN_SO_SP_E_clIS8_S8_S9_S9_EESM_S12_SN_SO_SP_EUlS12_E1_NS1_11comp_targetILNS1_3genE8ELNS1_11target_archE1030ELNS1_3gpuE2ELNS1_3repE0EEENS1_36merge_oddeven_config_static_selectorELNS0_4arch9wavefront6targetE1EEEvSO_,"axG",@progbits,_ZN7rocprim17ROCPRIM_400000_NS6detail17trampoline_kernelINS0_14default_configENS1_38merge_sort_block_merge_config_selectorIlNS0_10empty_typeEEEZZNS1_27merge_sort_block_merge_implIS3_PlPS5_mZN2at6native12_GLOBAL__N_124unique_dim_cuda_templateIN3c104HalfEEESt5tupleIJNSA_6TensorESH_SH_EERKSH_lbbbEUlllE_EE10hipError_tT0_T1_T2_jT3_P12ihipStream_tbPNSt15iterator_traitsISN_E10value_typeEPNST_ISO_E10value_typeEPSP_NS1_7vsmem_tEENKUlT_SN_SO_SP_E_clIS8_S8_S9_S9_EESM_S12_SN_SO_SP_EUlS12_E1_NS1_11comp_targetILNS1_3genE8ELNS1_11target_archE1030ELNS1_3gpuE2ELNS1_3repE0EEENS1_36merge_oddeven_config_static_selectorELNS0_4arch9wavefront6targetE1EEEvSO_,comdat
	.globl	_ZN7rocprim17ROCPRIM_400000_NS6detail17trampoline_kernelINS0_14default_configENS1_38merge_sort_block_merge_config_selectorIlNS0_10empty_typeEEEZZNS1_27merge_sort_block_merge_implIS3_PlPS5_mZN2at6native12_GLOBAL__N_124unique_dim_cuda_templateIN3c104HalfEEESt5tupleIJNSA_6TensorESH_SH_EERKSH_lbbbEUlllE_EE10hipError_tT0_T1_T2_jT3_P12ihipStream_tbPNSt15iterator_traitsISN_E10value_typeEPNST_ISO_E10value_typeEPSP_NS1_7vsmem_tEENKUlT_SN_SO_SP_E_clIS8_S8_S9_S9_EESM_S12_SN_SO_SP_EUlS12_E1_NS1_11comp_targetILNS1_3genE8ELNS1_11target_archE1030ELNS1_3gpuE2ELNS1_3repE0EEENS1_36merge_oddeven_config_static_selectorELNS0_4arch9wavefront6targetE1EEEvSO_ ; -- Begin function _ZN7rocprim17ROCPRIM_400000_NS6detail17trampoline_kernelINS0_14default_configENS1_38merge_sort_block_merge_config_selectorIlNS0_10empty_typeEEEZZNS1_27merge_sort_block_merge_implIS3_PlPS5_mZN2at6native12_GLOBAL__N_124unique_dim_cuda_templateIN3c104HalfEEESt5tupleIJNSA_6TensorESH_SH_EERKSH_lbbbEUlllE_EE10hipError_tT0_T1_T2_jT3_P12ihipStream_tbPNSt15iterator_traitsISN_E10value_typeEPNST_ISO_E10value_typeEPSP_NS1_7vsmem_tEENKUlT_SN_SO_SP_E_clIS8_S8_S9_S9_EESM_S12_SN_SO_SP_EUlS12_E1_NS1_11comp_targetILNS1_3genE8ELNS1_11target_archE1030ELNS1_3gpuE2ELNS1_3repE0EEENS1_36merge_oddeven_config_static_selectorELNS0_4arch9wavefront6targetE1EEEvSO_
	.p2align	8
	.type	_ZN7rocprim17ROCPRIM_400000_NS6detail17trampoline_kernelINS0_14default_configENS1_38merge_sort_block_merge_config_selectorIlNS0_10empty_typeEEEZZNS1_27merge_sort_block_merge_implIS3_PlPS5_mZN2at6native12_GLOBAL__N_124unique_dim_cuda_templateIN3c104HalfEEESt5tupleIJNSA_6TensorESH_SH_EERKSH_lbbbEUlllE_EE10hipError_tT0_T1_T2_jT3_P12ihipStream_tbPNSt15iterator_traitsISN_E10value_typeEPNST_ISO_E10value_typeEPSP_NS1_7vsmem_tEENKUlT_SN_SO_SP_E_clIS8_S8_S9_S9_EESM_S12_SN_SO_SP_EUlS12_E1_NS1_11comp_targetILNS1_3genE8ELNS1_11target_archE1030ELNS1_3gpuE2ELNS1_3repE0EEENS1_36merge_oddeven_config_static_selectorELNS0_4arch9wavefront6targetE1EEEvSO_,@function
_ZN7rocprim17ROCPRIM_400000_NS6detail17trampoline_kernelINS0_14default_configENS1_38merge_sort_block_merge_config_selectorIlNS0_10empty_typeEEEZZNS1_27merge_sort_block_merge_implIS3_PlPS5_mZN2at6native12_GLOBAL__N_124unique_dim_cuda_templateIN3c104HalfEEESt5tupleIJNSA_6TensorESH_SH_EERKSH_lbbbEUlllE_EE10hipError_tT0_T1_T2_jT3_P12ihipStream_tbPNSt15iterator_traitsISN_E10value_typeEPNST_ISO_E10value_typeEPSP_NS1_7vsmem_tEENKUlT_SN_SO_SP_E_clIS8_S8_S9_S9_EESM_S12_SN_SO_SP_EUlS12_E1_NS1_11comp_targetILNS1_3genE8ELNS1_11target_archE1030ELNS1_3gpuE2ELNS1_3repE0EEENS1_36merge_oddeven_config_static_selectorELNS0_4arch9wavefront6targetE1EEEvSO_: ; @_ZN7rocprim17ROCPRIM_400000_NS6detail17trampoline_kernelINS0_14default_configENS1_38merge_sort_block_merge_config_selectorIlNS0_10empty_typeEEEZZNS1_27merge_sort_block_merge_implIS3_PlPS5_mZN2at6native12_GLOBAL__N_124unique_dim_cuda_templateIN3c104HalfEEESt5tupleIJNSA_6TensorESH_SH_EERKSH_lbbbEUlllE_EE10hipError_tT0_T1_T2_jT3_P12ihipStream_tbPNSt15iterator_traitsISN_E10value_typeEPNST_ISO_E10value_typeEPSP_NS1_7vsmem_tEENKUlT_SN_SO_SP_E_clIS8_S8_S9_S9_EESM_S12_SN_SO_SP_EUlS12_E1_NS1_11comp_targetILNS1_3genE8ELNS1_11target_archE1030ELNS1_3gpuE2ELNS1_3repE0EEENS1_36merge_oddeven_config_static_selectorELNS0_4arch9wavefront6targetE1EEEvSO_
; %bb.0:
	.section	.rodata,"a",@progbits
	.p2align	6, 0x0
	.amdhsa_kernel _ZN7rocprim17ROCPRIM_400000_NS6detail17trampoline_kernelINS0_14default_configENS1_38merge_sort_block_merge_config_selectorIlNS0_10empty_typeEEEZZNS1_27merge_sort_block_merge_implIS3_PlPS5_mZN2at6native12_GLOBAL__N_124unique_dim_cuda_templateIN3c104HalfEEESt5tupleIJNSA_6TensorESH_SH_EERKSH_lbbbEUlllE_EE10hipError_tT0_T1_T2_jT3_P12ihipStream_tbPNSt15iterator_traitsISN_E10value_typeEPNST_ISO_E10value_typeEPSP_NS1_7vsmem_tEENKUlT_SN_SO_SP_E_clIS8_S8_S9_S9_EESM_S12_SN_SO_SP_EUlS12_E1_NS1_11comp_targetILNS1_3genE8ELNS1_11target_archE1030ELNS1_3gpuE2ELNS1_3repE0EEENS1_36merge_oddeven_config_static_selectorELNS0_4arch9wavefront6targetE1EEEvSO_
		.amdhsa_group_segment_fixed_size 0
		.amdhsa_private_segment_fixed_size 0
		.amdhsa_kernarg_size 64
		.amdhsa_user_sgpr_count 6
		.amdhsa_user_sgpr_private_segment_buffer 1
		.amdhsa_user_sgpr_dispatch_ptr 0
		.amdhsa_user_sgpr_queue_ptr 0
		.amdhsa_user_sgpr_kernarg_segment_ptr 1
		.amdhsa_user_sgpr_dispatch_id 0
		.amdhsa_user_sgpr_flat_scratch_init 0
		.amdhsa_user_sgpr_kernarg_preload_length 0
		.amdhsa_user_sgpr_kernarg_preload_offset 0
		.amdhsa_user_sgpr_private_segment_size 0
		.amdhsa_uses_dynamic_stack 0
		.amdhsa_system_sgpr_private_segment_wavefront_offset 0
		.amdhsa_system_sgpr_workgroup_id_x 1
		.amdhsa_system_sgpr_workgroup_id_y 0
		.amdhsa_system_sgpr_workgroup_id_z 0
		.amdhsa_system_sgpr_workgroup_info 0
		.amdhsa_system_vgpr_workitem_id 0
		.amdhsa_next_free_vgpr 1
		.amdhsa_next_free_sgpr 0
		.amdhsa_accum_offset 4
		.amdhsa_reserve_vcc 0
		.amdhsa_reserve_flat_scratch 0
		.amdhsa_float_round_mode_32 0
		.amdhsa_float_round_mode_16_64 0
		.amdhsa_float_denorm_mode_32 3
		.amdhsa_float_denorm_mode_16_64 3
		.amdhsa_dx10_clamp 1
		.amdhsa_ieee_mode 1
		.amdhsa_fp16_overflow 0
		.amdhsa_tg_split 0
		.amdhsa_exception_fp_ieee_invalid_op 0
		.amdhsa_exception_fp_denorm_src 0
		.amdhsa_exception_fp_ieee_div_zero 0
		.amdhsa_exception_fp_ieee_overflow 0
		.amdhsa_exception_fp_ieee_underflow 0
		.amdhsa_exception_fp_ieee_inexact 0
		.amdhsa_exception_int_div_zero 0
	.end_amdhsa_kernel
	.section	.text._ZN7rocprim17ROCPRIM_400000_NS6detail17trampoline_kernelINS0_14default_configENS1_38merge_sort_block_merge_config_selectorIlNS0_10empty_typeEEEZZNS1_27merge_sort_block_merge_implIS3_PlPS5_mZN2at6native12_GLOBAL__N_124unique_dim_cuda_templateIN3c104HalfEEESt5tupleIJNSA_6TensorESH_SH_EERKSH_lbbbEUlllE_EE10hipError_tT0_T1_T2_jT3_P12ihipStream_tbPNSt15iterator_traitsISN_E10value_typeEPNST_ISO_E10value_typeEPSP_NS1_7vsmem_tEENKUlT_SN_SO_SP_E_clIS8_S8_S9_S9_EESM_S12_SN_SO_SP_EUlS12_E1_NS1_11comp_targetILNS1_3genE8ELNS1_11target_archE1030ELNS1_3gpuE2ELNS1_3repE0EEENS1_36merge_oddeven_config_static_selectorELNS0_4arch9wavefront6targetE1EEEvSO_,"axG",@progbits,_ZN7rocprim17ROCPRIM_400000_NS6detail17trampoline_kernelINS0_14default_configENS1_38merge_sort_block_merge_config_selectorIlNS0_10empty_typeEEEZZNS1_27merge_sort_block_merge_implIS3_PlPS5_mZN2at6native12_GLOBAL__N_124unique_dim_cuda_templateIN3c104HalfEEESt5tupleIJNSA_6TensorESH_SH_EERKSH_lbbbEUlllE_EE10hipError_tT0_T1_T2_jT3_P12ihipStream_tbPNSt15iterator_traitsISN_E10value_typeEPNST_ISO_E10value_typeEPSP_NS1_7vsmem_tEENKUlT_SN_SO_SP_E_clIS8_S8_S9_S9_EESM_S12_SN_SO_SP_EUlS12_E1_NS1_11comp_targetILNS1_3genE8ELNS1_11target_archE1030ELNS1_3gpuE2ELNS1_3repE0EEENS1_36merge_oddeven_config_static_selectorELNS0_4arch9wavefront6targetE1EEEvSO_,comdat
.Lfunc_end1269:
	.size	_ZN7rocprim17ROCPRIM_400000_NS6detail17trampoline_kernelINS0_14default_configENS1_38merge_sort_block_merge_config_selectorIlNS0_10empty_typeEEEZZNS1_27merge_sort_block_merge_implIS3_PlPS5_mZN2at6native12_GLOBAL__N_124unique_dim_cuda_templateIN3c104HalfEEESt5tupleIJNSA_6TensorESH_SH_EERKSH_lbbbEUlllE_EE10hipError_tT0_T1_T2_jT3_P12ihipStream_tbPNSt15iterator_traitsISN_E10value_typeEPNST_ISO_E10value_typeEPSP_NS1_7vsmem_tEENKUlT_SN_SO_SP_E_clIS8_S8_S9_S9_EESM_S12_SN_SO_SP_EUlS12_E1_NS1_11comp_targetILNS1_3genE8ELNS1_11target_archE1030ELNS1_3gpuE2ELNS1_3repE0EEENS1_36merge_oddeven_config_static_selectorELNS0_4arch9wavefront6targetE1EEEvSO_, .Lfunc_end1269-_ZN7rocprim17ROCPRIM_400000_NS6detail17trampoline_kernelINS0_14default_configENS1_38merge_sort_block_merge_config_selectorIlNS0_10empty_typeEEEZZNS1_27merge_sort_block_merge_implIS3_PlPS5_mZN2at6native12_GLOBAL__N_124unique_dim_cuda_templateIN3c104HalfEEESt5tupleIJNSA_6TensorESH_SH_EERKSH_lbbbEUlllE_EE10hipError_tT0_T1_T2_jT3_P12ihipStream_tbPNSt15iterator_traitsISN_E10value_typeEPNST_ISO_E10value_typeEPSP_NS1_7vsmem_tEENKUlT_SN_SO_SP_E_clIS8_S8_S9_S9_EESM_S12_SN_SO_SP_EUlS12_E1_NS1_11comp_targetILNS1_3genE8ELNS1_11target_archE1030ELNS1_3gpuE2ELNS1_3repE0EEENS1_36merge_oddeven_config_static_selectorELNS0_4arch9wavefront6targetE1EEEvSO_
                                        ; -- End function
	.section	.AMDGPU.csdata,"",@progbits
; Kernel info:
; codeLenInByte = 0
; NumSgprs: 4
; NumVgprs: 0
; NumAgprs: 0
; TotalNumVgprs: 0
; ScratchSize: 0
; MemoryBound: 0
; FloatMode: 240
; IeeeMode: 1
; LDSByteSize: 0 bytes/workgroup (compile time only)
; SGPRBlocks: 0
; VGPRBlocks: 0
; NumSGPRsForWavesPerEU: 4
; NumVGPRsForWavesPerEU: 1
; AccumOffset: 4
; Occupancy: 8
; WaveLimiterHint : 0
; COMPUTE_PGM_RSRC2:SCRATCH_EN: 0
; COMPUTE_PGM_RSRC2:USER_SGPR: 6
; COMPUTE_PGM_RSRC2:TRAP_HANDLER: 0
; COMPUTE_PGM_RSRC2:TGID_X_EN: 1
; COMPUTE_PGM_RSRC2:TGID_Y_EN: 0
; COMPUTE_PGM_RSRC2:TGID_Z_EN: 0
; COMPUTE_PGM_RSRC2:TIDIG_COMP_CNT: 0
; COMPUTE_PGM_RSRC3_GFX90A:ACCUM_OFFSET: 0
; COMPUTE_PGM_RSRC3_GFX90A:TG_SPLIT: 0
	.section	.text._ZN7rocprim17ROCPRIM_400000_NS6detail17trampoline_kernelINS0_14default_configENS1_35adjacent_difference_config_selectorILb0ElEEZNS1_24adjacent_difference_implIS3_Lb0ELb0EPlS7_ZN2at6native12_GLOBAL__N_124unique_dim_cuda_templateIN3c104HalfEEESt5tupleIJNS8_6TensorESF_SF_EERKSF_lbbbEUlllE1_EE10hipError_tPvRmT2_T3_mT4_P12ihipStream_tbEUlT_E_NS1_11comp_targetILNS1_3genE0ELNS1_11target_archE4294967295ELNS1_3gpuE0ELNS1_3repE0EEENS1_30default_config_static_selectorELNS0_4arch9wavefront6targetE1EEEvT1_,"axG",@progbits,_ZN7rocprim17ROCPRIM_400000_NS6detail17trampoline_kernelINS0_14default_configENS1_35adjacent_difference_config_selectorILb0ElEEZNS1_24adjacent_difference_implIS3_Lb0ELb0EPlS7_ZN2at6native12_GLOBAL__N_124unique_dim_cuda_templateIN3c104HalfEEESt5tupleIJNS8_6TensorESF_SF_EERKSF_lbbbEUlllE1_EE10hipError_tPvRmT2_T3_mT4_P12ihipStream_tbEUlT_E_NS1_11comp_targetILNS1_3genE0ELNS1_11target_archE4294967295ELNS1_3gpuE0ELNS1_3repE0EEENS1_30default_config_static_selectorELNS0_4arch9wavefront6targetE1EEEvT1_,comdat
	.globl	_ZN7rocprim17ROCPRIM_400000_NS6detail17trampoline_kernelINS0_14default_configENS1_35adjacent_difference_config_selectorILb0ElEEZNS1_24adjacent_difference_implIS3_Lb0ELb0EPlS7_ZN2at6native12_GLOBAL__N_124unique_dim_cuda_templateIN3c104HalfEEESt5tupleIJNS8_6TensorESF_SF_EERKSF_lbbbEUlllE1_EE10hipError_tPvRmT2_T3_mT4_P12ihipStream_tbEUlT_E_NS1_11comp_targetILNS1_3genE0ELNS1_11target_archE4294967295ELNS1_3gpuE0ELNS1_3repE0EEENS1_30default_config_static_selectorELNS0_4arch9wavefront6targetE1EEEvT1_ ; -- Begin function _ZN7rocprim17ROCPRIM_400000_NS6detail17trampoline_kernelINS0_14default_configENS1_35adjacent_difference_config_selectorILb0ElEEZNS1_24adjacent_difference_implIS3_Lb0ELb0EPlS7_ZN2at6native12_GLOBAL__N_124unique_dim_cuda_templateIN3c104HalfEEESt5tupleIJNS8_6TensorESF_SF_EERKSF_lbbbEUlllE1_EE10hipError_tPvRmT2_T3_mT4_P12ihipStream_tbEUlT_E_NS1_11comp_targetILNS1_3genE0ELNS1_11target_archE4294967295ELNS1_3gpuE0ELNS1_3repE0EEENS1_30default_config_static_selectorELNS0_4arch9wavefront6targetE1EEEvT1_
	.p2align	8
	.type	_ZN7rocprim17ROCPRIM_400000_NS6detail17trampoline_kernelINS0_14default_configENS1_35adjacent_difference_config_selectorILb0ElEEZNS1_24adjacent_difference_implIS3_Lb0ELb0EPlS7_ZN2at6native12_GLOBAL__N_124unique_dim_cuda_templateIN3c104HalfEEESt5tupleIJNS8_6TensorESF_SF_EERKSF_lbbbEUlllE1_EE10hipError_tPvRmT2_T3_mT4_P12ihipStream_tbEUlT_E_NS1_11comp_targetILNS1_3genE0ELNS1_11target_archE4294967295ELNS1_3gpuE0ELNS1_3repE0EEENS1_30default_config_static_selectorELNS0_4arch9wavefront6targetE1EEEvT1_,@function
_ZN7rocprim17ROCPRIM_400000_NS6detail17trampoline_kernelINS0_14default_configENS1_35adjacent_difference_config_selectorILb0ElEEZNS1_24adjacent_difference_implIS3_Lb0ELb0EPlS7_ZN2at6native12_GLOBAL__N_124unique_dim_cuda_templateIN3c104HalfEEESt5tupleIJNS8_6TensorESF_SF_EERKSF_lbbbEUlllE1_EE10hipError_tPvRmT2_T3_mT4_P12ihipStream_tbEUlT_E_NS1_11comp_targetILNS1_3genE0ELNS1_11target_archE4294967295ELNS1_3gpuE0ELNS1_3repE0EEENS1_30default_config_static_selectorELNS0_4arch9wavefront6targetE1EEEvT1_: ; @_ZN7rocprim17ROCPRIM_400000_NS6detail17trampoline_kernelINS0_14default_configENS1_35adjacent_difference_config_selectorILb0ElEEZNS1_24adjacent_difference_implIS3_Lb0ELb0EPlS7_ZN2at6native12_GLOBAL__N_124unique_dim_cuda_templateIN3c104HalfEEESt5tupleIJNS8_6TensorESF_SF_EERKSF_lbbbEUlllE1_EE10hipError_tPvRmT2_T3_mT4_P12ihipStream_tbEUlT_E_NS1_11comp_targetILNS1_3genE0ELNS1_11target_archE4294967295ELNS1_3gpuE0ELNS1_3repE0EEENS1_30default_config_static_selectorELNS0_4arch9wavefront6targetE1EEEvT1_
; %bb.0:
	.section	.rodata,"a",@progbits
	.p2align	6, 0x0
	.amdhsa_kernel _ZN7rocprim17ROCPRIM_400000_NS6detail17trampoline_kernelINS0_14default_configENS1_35adjacent_difference_config_selectorILb0ElEEZNS1_24adjacent_difference_implIS3_Lb0ELb0EPlS7_ZN2at6native12_GLOBAL__N_124unique_dim_cuda_templateIN3c104HalfEEESt5tupleIJNS8_6TensorESF_SF_EERKSF_lbbbEUlllE1_EE10hipError_tPvRmT2_T3_mT4_P12ihipStream_tbEUlT_E_NS1_11comp_targetILNS1_3genE0ELNS1_11target_archE4294967295ELNS1_3gpuE0ELNS1_3repE0EEENS1_30default_config_static_selectorELNS0_4arch9wavefront6targetE1EEEvT1_
		.amdhsa_group_segment_fixed_size 0
		.amdhsa_private_segment_fixed_size 0
		.amdhsa_kernarg_size 64
		.amdhsa_user_sgpr_count 6
		.amdhsa_user_sgpr_private_segment_buffer 1
		.amdhsa_user_sgpr_dispatch_ptr 0
		.amdhsa_user_sgpr_queue_ptr 0
		.amdhsa_user_sgpr_kernarg_segment_ptr 1
		.amdhsa_user_sgpr_dispatch_id 0
		.amdhsa_user_sgpr_flat_scratch_init 0
		.amdhsa_user_sgpr_kernarg_preload_length 0
		.amdhsa_user_sgpr_kernarg_preload_offset 0
		.amdhsa_user_sgpr_private_segment_size 0
		.amdhsa_uses_dynamic_stack 0
		.amdhsa_system_sgpr_private_segment_wavefront_offset 0
		.amdhsa_system_sgpr_workgroup_id_x 1
		.amdhsa_system_sgpr_workgroup_id_y 0
		.amdhsa_system_sgpr_workgroup_id_z 0
		.amdhsa_system_sgpr_workgroup_info 0
		.amdhsa_system_vgpr_workitem_id 0
		.amdhsa_next_free_vgpr 1
		.amdhsa_next_free_sgpr 0
		.amdhsa_accum_offset 4
		.amdhsa_reserve_vcc 0
		.amdhsa_reserve_flat_scratch 0
		.amdhsa_float_round_mode_32 0
		.amdhsa_float_round_mode_16_64 0
		.amdhsa_float_denorm_mode_32 3
		.amdhsa_float_denorm_mode_16_64 3
		.amdhsa_dx10_clamp 1
		.amdhsa_ieee_mode 1
		.amdhsa_fp16_overflow 0
		.amdhsa_tg_split 0
		.amdhsa_exception_fp_ieee_invalid_op 0
		.amdhsa_exception_fp_denorm_src 0
		.amdhsa_exception_fp_ieee_div_zero 0
		.amdhsa_exception_fp_ieee_overflow 0
		.amdhsa_exception_fp_ieee_underflow 0
		.amdhsa_exception_fp_ieee_inexact 0
		.amdhsa_exception_int_div_zero 0
	.end_amdhsa_kernel
	.section	.text._ZN7rocprim17ROCPRIM_400000_NS6detail17trampoline_kernelINS0_14default_configENS1_35adjacent_difference_config_selectorILb0ElEEZNS1_24adjacent_difference_implIS3_Lb0ELb0EPlS7_ZN2at6native12_GLOBAL__N_124unique_dim_cuda_templateIN3c104HalfEEESt5tupleIJNS8_6TensorESF_SF_EERKSF_lbbbEUlllE1_EE10hipError_tPvRmT2_T3_mT4_P12ihipStream_tbEUlT_E_NS1_11comp_targetILNS1_3genE0ELNS1_11target_archE4294967295ELNS1_3gpuE0ELNS1_3repE0EEENS1_30default_config_static_selectorELNS0_4arch9wavefront6targetE1EEEvT1_,"axG",@progbits,_ZN7rocprim17ROCPRIM_400000_NS6detail17trampoline_kernelINS0_14default_configENS1_35adjacent_difference_config_selectorILb0ElEEZNS1_24adjacent_difference_implIS3_Lb0ELb0EPlS7_ZN2at6native12_GLOBAL__N_124unique_dim_cuda_templateIN3c104HalfEEESt5tupleIJNS8_6TensorESF_SF_EERKSF_lbbbEUlllE1_EE10hipError_tPvRmT2_T3_mT4_P12ihipStream_tbEUlT_E_NS1_11comp_targetILNS1_3genE0ELNS1_11target_archE4294967295ELNS1_3gpuE0ELNS1_3repE0EEENS1_30default_config_static_selectorELNS0_4arch9wavefront6targetE1EEEvT1_,comdat
.Lfunc_end1270:
	.size	_ZN7rocprim17ROCPRIM_400000_NS6detail17trampoline_kernelINS0_14default_configENS1_35adjacent_difference_config_selectorILb0ElEEZNS1_24adjacent_difference_implIS3_Lb0ELb0EPlS7_ZN2at6native12_GLOBAL__N_124unique_dim_cuda_templateIN3c104HalfEEESt5tupleIJNS8_6TensorESF_SF_EERKSF_lbbbEUlllE1_EE10hipError_tPvRmT2_T3_mT4_P12ihipStream_tbEUlT_E_NS1_11comp_targetILNS1_3genE0ELNS1_11target_archE4294967295ELNS1_3gpuE0ELNS1_3repE0EEENS1_30default_config_static_selectorELNS0_4arch9wavefront6targetE1EEEvT1_, .Lfunc_end1270-_ZN7rocprim17ROCPRIM_400000_NS6detail17trampoline_kernelINS0_14default_configENS1_35adjacent_difference_config_selectorILb0ElEEZNS1_24adjacent_difference_implIS3_Lb0ELb0EPlS7_ZN2at6native12_GLOBAL__N_124unique_dim_cuda_templateIN3c104HalfEEESt5tupleIJNS8_6TensorESF_SF_EERKSF_lbbbEUlllE1_EE10hipError_tPvRmT2_T3_mT4_P12ihipStream_tbEUlT_E_NS1_11comp_targetILNS1_3genE0ELNS1_11target_archE4294967295ELNS1_3gpuE0ELNS1_3repE0EEENS1_30default_config_static_selectorELNS0_4arch9wavefront6targetE1EEEvT1_
                                        ; -- End function
	.section	.AMDGPU.csdata,"",@progbits
; Kernel info:
; codeLenInByte = 0
; NumSgprs: 4
; NumVgprs: 0
; NumAgprs: 0
; TotalNumVgprs: 0
; ScratchSize: 0
; MemoryBound: 0
; FloatMode: 240
; IeeeMode: 1
; LDSByteSize: 0 bytes/workgroup (compile time only)
; SGPRBlocks: 0
; VGPRBlocks: 0
; NumSGPRsForWavesPerEU: 4
; NumVGPRsForWavesPerEU: 1
; AccumOffset: 4
; Occupancy: 8
; WaveLimiterHint : 0
; COMPUTE_PGM_RSRC2:SCRATCH_EN: 0
; COMPUTE_PGM_RSRC2:USER_SGPR: 6
; COMPUTE_PGM_RSRC2:TRAP_HANDLER: 0
; COMPUTE_PGM_RSRC2:TGID_X_EN: 1
; COMPUTE_PGM_RSRC2:TGID_Y_EN: 0
; COMPUTE_PGM_RSRC2:TGID_Z_EN: 0
; COMPUTE_PGM_RSRC2:TIDIG_COMP_CNT: 0
; COMPUTE_PGM_RSRC3_GFX90A:ACCUM_OFFSET: 0
; COMPUTE_PGM_RSRC3_GFX90A:TG_SPLIT: 0
	.section	.text._ZN7rocprim17ROCPRIM_400000_NS6detail17trampoline_kernelINS0_14default_configENS1_35adjacent_difference_config_selectorILb0ElEEZNS1_24adjacent_difference_implIS3_Lb0ELb0EPlS7_ZN2at6native12_GLOBAL__N_124unique_dim_cuda_templateIN3c104HalfEEESt5tupleIJNS8_6TensorESF_SF_EERKSF_lbbbEUlllE1_EE10hipError_tPvRmT2_T3_mT4_P12ihipStream_tbEUlT_E_NS1_11comp_targetILNS1_3genE10ELNS1_11target_archE1201ELNS1_3gpuE5ELNS1_3repE0EEENS1_30default_config_static_selectorELNS0_4arch9wavefront6targetE1EEEvT1_,"axG",@progbits,_ZN7rocprim17ROCPRIM_400000_NS6detail17trampoline_kernelINS0_14default_configENS1_35adjacent_difference_config_selectorILb0ElEEZNS1_24adjacent_difference_implIS3_Lb0ELb0EPlS7_ZN2at6native12_GLOBAL__N_124unique_dim_cuda_templateIN3c104HalfEEESt5tupleIJNS8_6TensorESF_SF_EERKSF_lbbbEUlllE1_EE10hipError_tPvRmT2_T3_mT4_P12ihipStream_tbEUlT_E_NS1_11comp_targetILNS1_3genE10ELNS1_11target_archE1201ELNS1_3gpuE5ELNS1_3repE0EEENS1_30default_config_static_selectorELNS0_4arch9wavefront6targetE1EEEvT1_,comdat
	.globl	_ZN7rocprim17ROCPRIM_400000_NS6detail17trampoline_kernelINS0_14default_configENS1_35adjacent_difference_config_selectorILb0ElEEZNS1_24adjacent_difference_implIS3_Lb0ELb0EPlS7_ZN2at6native12_GLOBAL__N_124unique_dim_cuda_templateIN3c104HalfEEESt5tupleIJNS8_6TensorESF_SF_EERKSF_lbbbEUlllE1_EE10hipError_tPvRmT2_T3_mT4_P12ihipStream_tbEUlT_E_NS1_11comp_targetILNS1_3genE10ELNS1_11target_archE1201ELNS1_3gpuE5ELNS1_3repE0EEENS1_30default_config_static_selectorELNS0_4arch9wavefront6targetE1EEEvT1_ ; -- Begin function _ZN7rocprim17ROCPRIM_400000_NS6detail17trampoline_kernelINS0_14default_configENS1_35adjacent_difference_config_selectorILb0ElEEZNS1_24adjacent_difference_implIS3_Lb0ELb0EPlS7_ZN2at6native12_GLOBAL__N_124unique_dim_cuda_templateIN3c104HalfEEESt5tupleIJNS8_6TensorESF_SF_EERKSF_lbbbEUlllE1_EE10hipError_tPvRmT2_T3_mT4_P12ihipStream_tbEUlT_E_NS1_11comp_targetILNS1_3genE10ELNS1_11target_archE1201ELNS1_3gpuE5ELNS1_3repE0EEENS1_30default_config_static_selectorELNS0_4arch9wavefront6targetE1EEEvT1_
	.p2align	8
	.type	_ZN7rocprim17ROCPRIM_400000_NS6detail17trampoline_kernelINS0_14default_configENS1_35adjacent_difference_config_selectorILb0ElEEZNS1_24adjacent_difference_implIS3_Lb0ELb0EPlS7_ZN2at6native12_GLOBAL__N_124unique_dim_cuda_templateIN3c104HalfEEESt5tupleIJNS8_6TensorESF_SF_EERKSF_lbbbEUlllE1_EE10hipError_tPvRmT2_T3_mT4_P12ihipStream_tbEUlT_E_NS1_11comp_targetILNS1_3genE10ELNS1_11target_archE1201ELNS1_3gpuE5ELNS1_3repE0EEENS1_30default_config_static_selectorELNS0_4arch9wavefront6targetE1EEEvT1_,@function
_ZN7rocprim17ROCPRIM_400000_NS6detail17trampoline_kernelINS0_14default_configENS1_35adjacent_difference_config_selectorILb0ElEEZNS1_24adjacent_difference_implIS3_Lb0ELb0EPlS7_ZN2at6native12_GLOBAL__N_124unique_dim_cuda_templateIN3c104HalfEEESt5tupleIJNS8_6TensorESF_SF_EERKSF_lbbbEUlllE1_EE10hipError_tPvRmT2_T3_mT4_P12ihipStream_tbEUlT_E_NS1_11comp_targetILNS1_3genE10ELNS1_11target_archE1201ELNS1_3gpuE5ELNS1_3repE0EEENS1_30default_config_static_selectorELNS0_4arch9wavefront6targetE1EEEvT1_: ; @_ZN7rocprim17ROCPRIM_400000_NS6detail17trampoline_kernelINS0_14default_configENS1_35adjacent_difference_config_selectorILb0ElEEZNS1_24adjacent_difference_implIS3_Lb0ELb0EPlS7_ZN2at6native12_GLOBAL__N_124unique_dim_cuda_templateIN3c104HalfEEESt5tupleIJNS8_6TensorESF_SF_EERKSF_lbbbEUlllE1_EE10hipError_tPvRmT2_T3_mT4_P12ihipStream_tbEUlT_E_NS1_11comp_targetILNS1_3genE10ELNS1_11target_archE1201ELNS1_3gpuE5ELNS1_3repE0EEENS1_30default_config_static_selectorELNS0_4arch9wavefront6targetE1EEEvT1_
; %bb.0:
	.section	.rodata,"a",@progbits
	.p2align	6, 0x0
	.amdhsa_kernel _ZN7rocprim17ROCPRIM_400000_NS6detail17trampoline_kernelINS0_14default_configENS1_35adjacent_difference_config_selectorILb0ElEEZNS1_24adjacent_difference_implIS3_Lb0ELb0EPlS7_ZN2at6native12_GLOBAL__N_124unique_dim_cuda_templateIN3c104HalfEEESt5tupleIJNS8_6TensorESF_SF_EERKSF_lbbbEUlllE1_EE10hipError_tPvRmT2_T3_mT4_P12ihipStream_tbEUlT_E_NS1_11comp_targetILNS1_3genE10ELNS1_11target_archE1201ELNS1_3gpuE5ELNS1_3repE0EEENS1_30default_config_static_selectorELNS0_4arch9wavefront6targetE1EEEvT1_
		.amdhsa_group_segment_fixed_size 0
		.amdhsa_private_segment_fixed_size 0
		.amdhsa_kernarg_size 64
		.amdhsa_user_sgpr_count 6
		.amdhsa_user_sgpr_private_segment_buffer 1
		.amdhsa_user_sgpr_dispatch_ptr 0
		.amdhsa_user_sgpr_queue_ptr 0
		.amdhsa_user_sgpr_kernarg_segment_ptr 1
		.amdhsa_user_sgpr_dispatch_id 0
		.amdhsa_user_sgpr_flat_scratch_init 0
		.amdhsa_user_sgpr_kernarg_preload_length 0
		.amdhsa_user_sgpr_kernarg_preload_offset 0
		.amdhsa_user_sgpr_private_segment_size 0
		.amdhsa_uses_dynamic_stack 0
		.amdhsa_system_sgpr_private_segment_wavefront_offset 0
		.amdhsa_system_sgpr_workgroup_id_x 1
		.amdhsa_system_sgpr_workgroup_id_y 0
		.amdhsa_system_sgpr_workgroup_id_z 0
		.amdhsa_system_sgpr_workgroup_info 0
		.amdhsa_system_vgpr_workitem_id 0
		.amdhsa_next_free_vgpr 1
		.amdhsa_next_free_sgpr 0
		.amdhsa_accum_offset 4
		.amdhsa_reserve_vcc 0
		.amdhsa_reserve_flat_scratch 0
		.amdhsa_float_round_mode_32 0
		.amdhsa_float_round_mode_16_64 0
		.amdhsa_float_denorm_mode_32 3
		.amdhsa_float_denorm_mode_16_64 3
		.amdhsa_dx10_clamp 1
		.amdhsa_ieee_mode 1
		.amdhsa_fp16_overflow 0
		.amdhsa_tg_split 0
		.amdhsa_exception_fp_ieee_invalid_op 0
		.amdhsa_exception_fp_denorm_src 0
		.amdhsa_exception_fp_ieee_div_zero 0
		.amdhsa_exception_fp_ieee_overflow 0
		.amdhsa_exception_fp_ieee_underflow 0
		.amdhsa_exception_fp_ieee_inexact 0
		.amdhsa_exception_int_div_zero 0
	.end_amdhsa_kernel
	.section	.text._ZN7rocprim17ROCPRIM_400000_NS6detail17trampoline_kernelINS0_14default_configENS1_35adjacent_difference_config_selectorILb0ElEEZNS1_24adjacent_difference_implIS3_Lb0ELb0EPlS7_ZN2at6native12_GLOBAL__N_124unique_dim_cuda_templateIN3c104HalfEEESt5tupleIJNS8_6TensorESF_SF_EERKSF_lbbbEUlllE1_EE10hipError_tPvRmT2_T3_mT4_P12ihipStream_tbEUlT_E_NS1_11comp_targetILNS1_3genE10ELNS1_11target_archE1201ELNS1_3gpuE5ELNS1_3repE0EEENS1_30default_config_static_selectorELNS0_4arch9wavefront6targetE1EEEvT1_,"axG",@progbits,_ZN7rocprim17ROCPRIM_400000_NS6detail17trampoline_kernelINS0_14default_configENS1_35adjacent_difference_config_selectorILb0ElEEZNS1_24adjacent_difference_implIS3_Lb0ELb0EPlS7_ZN2at6native12_GLOBAL__N_124unique_dim_cuda_templateIN3c104HalfEEESt5tupleIJNS8_6TensorESF_SF_EERKSF_lbbbEUlllE1_EE10hipError_tPvRmT2_T3_mT4_P12ihipStream_tbEUlT_E_NS1_11comp_targetILNS1_3genE10ELNS1_11target_archE1201ELNS1_3gpuE5ELNS1_3repE0EEENS1_30default_config_static_selectorELNS0_4arch9wavefront6targetE1EEEvT1_,comdat
.Lfunc_end1271:
	.size	_ZN7rocprim17ROCPRIM_400000_NS6detail17trampoline_kernelINS0_14default_configENS1_35adjacent_difference_config_selectorILb0ElEEZNS1_24adjacent_difference_implIS3_Lb0ELb0EPlS7_ZN2at6native12_GLOBAL__N_124unique_dim_cuda_templateIN3c104HalfEEESt5tupleIJNS8_6TensorESF_SF_EERKSF_lbbbEUlllE1_EE10hipError_tPvRmT2_T3_mT4_P12ihipStream_tbEUlT_E_NS1_11comp_targetILNS1_3genE10ELNS1_11target_archE1201ELNS1_3gpuE5ELNS1_3repE0EEENS1_30default_config_static_selectorELNS0_4arch9wavefront6targetE1EEEvT1_, .Lfunc_end1271-_ZN7rocprim17ROCPRIM_400000_NS6detail17trampoline_kernelINS0_14default_configENS1_35adjacent_difference_config_selectorILb0ElEEZNS1_24adjacent_difference_implIS3_Lb0ELb0EPlS7_ZN2at6native12_GLOBAL__N_124unique_dim_cuda_templateIN3c104HalfEEESt5tupleIJNS8_6TensorESF_SF_EERKSF_lbbbEUlllE1_EE10hipError_tPvRmT2_T3_mT4_P12ihipStream_tbEUlT_E_NS1_11comp_targetILNS1_3genE10ELNS1_11target_archE1201ELNS1_3gpuE5ELNS1_3repE0EEENS1_30default_config_static_selectorELNS0_4arch9wavefront6targetE1EEEvT1_
                                        ; -- End function
	.section	.AMDGPU.csdata,"",@progbits
; Kernel info:
; codeLenInByte = 0
; NumSgprs: 4
; NumVgprs: 0
; NumAgprs: 0
; TotalNumVgprs: 0
; ScratchSize: 0
; MemoryBound: 0
; FloatMode: 240
; IeeeMode: 1
; LDSByteSize: 0 bytes/workgroup (compile time only)
; SGPRBlocks: 0
; VGPRBlocks: 0
; NumSGPRsForWavesPerEU: 4
; NumVGPRsForWavesPerEU: 1
; AccumOffset: 4
; Occupancy: 8
; WaveLimiterHint : 0
; COMPUTE_PGM_RSRC2:SCRATCH_EN: 0
; COMPUTE_PGM_RSRC2:USER_SGPR: 6
; COMPUTE_PGM_RSRC2:TRAP_HANDLER: 0
; COMPUTE_PGM_RSRC2:TGID_X_EN: 1
; COMPUTE_PGM_RSRC2:TGID_Y_EN: 0
; COMPUTE_PGM_RSRC2:TGID_Z_EN: 0
; COMPUTE_PGM_RSRC2:TIDIG_COMP_CNT: 0
; COMPUTE_PGM_RSRC3_GFX90A:ACCUM_OFFSET: 0
; COMPUTE_PGM_RSRC3_GFX90A:TG_SPLIT: 0
	.section	.text._ZN7rocprim17ROCPRIM_400000_NS6detail17trampoline_kernelINS0_14default_configENS1_35adjacent_difference_config_selectorILb0ElEEZNS1_24adjacent_difference_implIS3_Lb0ELb0EPlS7_ZN2at6native12_GLOBAL__N_124unique_dim_cuda_templateIN3c104HalfEEESt5tupleIJNS8_6TensorESF_SF_EERKSF_lbbbEUlllE1_EE10hipError_tPvRmT2_T3_mT4_P12ihipStream_tbEUlT_E_NS1_11comp_targetILNS1_3genE5ELNS1_11target_archE942ELNS1_3gpuE9ELNS1_3repE0EEENS1_30default_config_static_selectorELNS0_4arch9wavefront6targetE1EEEvT1_,"axG",@progbits,_ZN7rocprim17ROCPRIM_400000_NS6detail17trampoline_kernelINS0_14default_configENS1_35adjacent_difference_config_selectorILb0ElEEZNS1_24adjacent_difference_implIS3_Lb0ELb0EPlS7_ZN2at6native12_GLOBAL__N_124unique_dim_cuda_templateIN3c104HalfEEESt5tupleIJNS8_6TensorESF_SF_EERKSF_lbbbEUlllE1_EE10hipError_tPvRmT2_T3_mT4_P12ihipStream_tbEUlT_E_NS1_11comp_targetILNS1_3genE5ELNS1_11target_archE942ELNS1_3gpuE9ELNS1_3repE0EEENS1_30default_config_static_selectorELNS0_4arch9wavefront6targetE1EEEvT1_,comdat
	.globl	_ZN7rocprim17ROCPRIM_400000_NS6detail17trampoline_kernelINS0_14default_configENS1_35adjacent_difference_config_selectorILb0ElEEZNS1_24adjacent_difference_implIS3_Lb0ELb0EPlS7_ZN2at6native12_GLOBAL__N_124unique_dim_cuda_templateIN3c104HalfEEESt5tupleIJNS8_6TensorESF_SF_EERKSF_lbbbEUlllE1_EE10hipError_tPvRmT2_T3_mT4_P12ihipStream_tbEUlT_E_NS1_11comp_targetILNS1_3genE5ELNS1_11target_archE942ELNS1_3gpuE9ELNS1_3repE0EEENS1_30default_config_static_selectorELNS0_4arch9wavefront6targetE1EEEvT1_ ; -- Begin function _ZN7rocprim17ROCPRIM_400000_NS6detail17trampoline_kernelINS0_14default_configENS1_35adjacent_difference_config_selectorILb0ElEEZNS1_24adjacent_difference_implIS3_Lb0ELb0EPlS7_ZN2at6native12_GLOBAL__N_124unique_dim_cuda_templateIN3c104HalfEEESt5tupleIJNS8_6TensorESF_SF_EERKSF_lbbbEUlllE1_EE10hipError_tPvRmT2_T3_mT4_P12ihipStream_tbEUlT_E_NS1_11comp_targetILNS1_3genE5ELNS1_11target_archE942ELNS1_3gpuE9ELNS1_3repE0EEENS1_30default_config_static_selectorELNS0_4arch9wavefront6targetE1EEEvT1_
	.p2align	8
	.type	_ZN7rocprim17ROCPRIM_400000_NS6detail17trampoline_kernelINS0_14default_configENS1_35adjacent_difference_config_selectorILb0ElEEZNS1_24adjacent_difference_implIS3_Lb0ELb0EPlS7_ZN2at6native12_GLOBAL__N_124unique_dim_cuda_templateIN3c104HalfEEESt5tupleIJNS8_6TensorESF_SF_EERKSF_lbbbEUlllE1_EE10hipError_tPvRmT2_T3_mT4_P12ihipStream_tbEUlT_E_NS1_11comp_targetILNS1_3genE5ELNS1_11target_archE942ELNS1_3gpuE9ELNS1_3repE0EEENS1_30default_config_static_selectorELNS0_4arch9wavefront6targetE1EEEvT1_,@function
_ZN7rocprim17ROCPRIM_400000_NS6detail17trampoline_kernelINS0_14default_configENS1_35adjacent_difference_config_selectorILb0ElEEZNS1_24adjacent_difference_implIS3_Lb0ELb0EPlS7_ZN2at6native12_GLOBAL__N_124unique_dim_cuda_templateIN3c104HalfEEESt5tupleIJNS8_6TensorESF_SF_EERKSF_lbbbEUlllE1_EE10hipError_tPvRmT2_T3_mT4_P12ihipStream_tbEUlT_E_NS1_11comp_targetILNS1_3genE5ELNS1_11target_archE942ELNS1_3gpuE9ELNS1_3repE0EEENS1_30default_config_static_selectorELNS0_4arch9wavefront6targetE1EEEvT1_: ; @_ZN7rocprim17ROCPRIM_400000_NS6detail17trampoline_kernelINS0_14default_configENS1_35adjacent_difference_config_selectorILb0ElEEZNS1_24adjacent_difference_implIS3_Lb0ELb0EPlS7_ZN2at6native12_GLOBAL__N_124unique_dim_cuda_templateIN3c104HalfEEESt5tupleIJNS8_6TensorESF_SF_EERKSF_lbbbEUlllE1_EE10hipError_tPvRmT2_T3_mT4_P12ihipStream_tbEUlT_E_NS1_11comp_targetILNS1_3genE5ELNS1_11target_archE942ELNS1_3gpuE9ELNS1_3repE0EEENS1_30default_config_static_selectorELNS0_4arch9wavefront6targetE1EEEvT1_
; %bb.0:
	.section	.rodata,"a",@progbits
	.p2align	6, 0x0
	.amdhsa_kernel _ZN7rocprim17ROCPRIM_400000_NS6detail17trampoline_kernelINS0_14default_configENS1_35adjacent_difference_config_selectorILb0ElEEZNS1_24adjacent_difference_implIS3_Lb0ELb0EPlS7_ZN2at6native12_GLOBAL__N_124unique_dim_cuda_templateIN3c104HalfEEESt5tupleIJNS8_6TensorESF_SF_EERKSF_lbbbEUlllE1_EE10hipError_tPvRmT2_T3_mT4_P12ihipStream_tbEUlT_E_NS1_11comp_targetILNS1_3genE5ELNS1_11target_archE942ELNS1_3gpuE9ELNS1_3repE0EEENS1_30default_config_static_selectorELNS0_4arch9wavefront6targetE1EEEvT1_
		.amdhsa_group_segment_fixed_size 0
		.amdhsa_private_segment_fixed_size 0
		.amdhsa_kernarg_size 64
		.amdhsa_user_sgpr_count 6
		.amdhsa_user_sgpr_private_segment_buffer 1
		.amdhsa_user_sgpr_dispatch_ptr 0
		.amdhsa_user_sgpr_queue_ptr 0
		.amdhsa_user_sgpr_kernarg_segment_ptr 1
		.amdhsa_user_sgpr_dispatch_id 0
		.amdhsa_user_sgpr_flat_scratch_init 0
		.amdhsa_user_sgpr_kernarg_preload_length 0
		.amdhsa_user_sgpr_kernarg_preload_offset 0
		.amdhsa_user_sgpr_private_segment_size 0
		.amdhsa_uses_dynamic_stack 0
		.amdhsa_system_sgpr_private_segment_wavefront_offset 0
		.amdhsa_system_sgpr_workgroup_id_x 1
		.amdhsa_system_sgpr_workgroup_id_y 0
		.amdhsa_system_sgpr_workgroup_id_z 0
		.amdhsa_system_sgpr_workgroup_info 0
		.amdhsa_system_vgpr_workitem_id 0
		.amdhsa_next_free_vgpr 1
		.amdhsa_next_free_sgpr 0
		.amdhsa_accum_offset 4
		.amdhsa_reserve_vcc 0
		.amdhsa_reserve_flat_scratch 0
		.amdhsa_float_round_mode_32 0
		.amdhsa_float_round_mode_16_64 0
		.amdhsa_float_denorm_mode_32 3
		.amdhsa_float_denorm_mode_16_64 3
		.amdhsa_dx10_clamp 1
		.amdhsa_ieee_mode 1
		.amdhsa_fp16_overflow 0
		.amdhsa_tg_split 0
		.amdhsa_exception_fp_ieee_invalid_op 0
		.amdhsa_exception_fp_denorm_src 0
		.amdhsa_exception_fp_ieee_div_zero 0
		.amdhsa_exception_fp_ieee_overflow 0
		.amdhsa_exception_fp_ieee_underflow 0
		.amdhsa_exception_fp_ieee_inexact 0
		.amdhsa_exception_int_div_zero 0
	.end_amdhsa_kernel
	.section	.text._ZN7rocprim17ROCPRIM_400000_NS6detail17trampoline_kernelINS0_14default_configENS1_35adjacent_difference_config_selectorILb0ElEEZNS1_24adjacent_difference_implIS3_Lb0ELb0EPlS7_ZN2at6native12_GLOBAL__N_124unique_dim_cuda_templateIN3c104HalfEEESt5tupleIJNS8_6TensorESF_SF_EERKSF_lbbbEUlllE1_EE10hipError_tPvRmT2_T3_mT4_P12ihipStream_tbEUlT_E_NS1_11comp_targetILNS1_3genE5ELNS1_11target_archE942ELNS1_3gpuE9ELNS1_3repE0EEENS1_30default_config_static_selectorELNS0_4arch9wavefront6targetE1EEEvT1_,"axG",@progbits,_ZN7rocprim17ROCPRIM_400000_NS6detail17trampoline_kernelINS0_14default_configENS1_35adjacent_difference_config_selectorILb0ElEEZNS1_24adjacent_difference_implIS3_Lb0ELb0EPlS7_ZN2at6native12_GLOBAL__N_124unique_dim_cuda_templateIN3c104HalfEEESt5tupleIJNS8_6TensorESF_SF_EERKSF_lbbbEUlllE1_EE10hipError_tPvRmT2_T3_mT4_P12ihipStream_tbEUlT_E_NS1_11comp_targetILNS1_3genE5ELNS1_11target_archE942ELNS1_3gpuE9ELNS1_3repE0EEENS1_30default_config_static_selectorELNS0_4arch9wavefront6targetE1EEEvT1_,comdat
.Lfunc_end1272:
	.size	_ZN7rocprim17ROCPRIM_400000_NS6detail17trampoline_kernelINS0_14default_configENS1_35adjacent_difference_config_selectorILb0ElEEZNS1_24adjacent_difference_implIS3_Lb0ELb0EPlS7_ZN2at6native12_GLOBAL__N_124unique_dim_cuda_templateIN3c104HalfEEESt5tupleIJNS8_6TensorESF_SF_EERKSF_lbbbEUlllE1_EE10hipError_tPvRmT2_T3_mT4_P12ihipStream_tbEUlT_E_NS1_11comp_targetILNS1_3genE5ELNS1_11target_archE942ELNS1_3gpuE9ELNS1_3repE0EEENS1_30default_config_static_selectorELNS0_4arch9wavefront6targetE1EEEvT1_, .Lfunc_end1272-_ZN7rocprim17ROCPRIM_400000_NS6detail17trampoline_kernelINS0_14default_configENS1_35adjacent_difference_config_selectorILb0ElEEZNS1_24adjacent_difference_implIS3_Lb0ELb0EPlS7_ZN2at6native12_GLOBAL__N_124unique_dim_cuda_templateIN3c104HalfEEESt5tupleIJNS8_6TensorESF_SF_EERKSF_lbbbEUlllE1_EE10hipError_tPvRmT2_T3_mT4_P12ihipStream_tbEUlT_E_NS1_11comp_targetILNS1_3genE5ELNS1_11target_archE942ELNS1_3gpuE9ELNS1_3repE0EEENS1_30default_config_static_selectorELNS0_4arch9wavefront6targetE1EEEvT1_
                                        ; -- End function
	.section	.AMDGPU.csdata,"",@progbits
; Kernel info:
; codeLenInByte = 0
; NumSgprs: 4
; NumVgprs: 0
; NumAgprs: 0
; TotalNumVgprs: 0
; ScratchSize: 0
; MemoryBound: 0
; FloatMode: 240
; IeeeMode: 1
; LDSByteSize: 0 bytes/workgroup (compile time only)
; SGPRBlocks: 0
; VGPRBlocks: 0
; NumSGPRsForWavesPerEU: 4
; NumVGPRsForWavesPerEU: 1
; AccumOffset: 4
; Occupancy: 8
; WaveLimiterHint : 0
; COMPUTE_PGM_RSRC2:SCRATCH_EN: 0
; COMPUTE_PGM_RSRC2:USER_SGPR: 6
; COMPUTE_PGM_RSRC2:TRAP_HANDLER: 0
; COMPUTE_PGM_RSRC2:TGID_X_EN: 1
; COMPUTE_PGM_RSRC2:TGID_Y_EN: 0
; COMPUTE_PGM_RSRC2:TGID_Z_EN: 0
; COMPUTE_PGM_RSRC2:TIDIG_COMP_CNT: 0
; COMPUTE_PGM_RSRC3_GFX90A:ACCUM_OFFSET: 0
; COMPUTE_PGM_RSRC3_GFX90A:TG_SPLIT: 0
	.section	.text._ZN7rocprim17ROCPRIM_400000_NS6detail17trampoline_kernelINS0_14default_configENS1_35adjacent_difference_config_selectorILb0ElEEZNS1_24adjacent_difference_implIS3_Lb0ELb0EPlS7_ZN2at6native12_GLOBAL__N_124unique_dim_cuda_templateIN3c104HalfEEESt5tupleIJNS8_6TensorESF_SF_EERKSF_lbbbEUlllE1_EE10hipError_tPvRmT2_T3_mT4_P12ihipStream_tbEUlT_E_NS1_11comp_targetILNS1_3genE4ELNS1_11target_archE910ELNS1_3gpuE8ELNS1_3repE0EEENS1_30default_config_static_selectorELNS0_4arch9wavefront6targetE1EEEvT1_,"axG",@progbits,_ZN7rocprim17ROCPRIM_400000_NS6detail17trampoline_kernelINS0_14default_configENS1_35adjacent_difference_config_selectorILb0ElEEZNS1_24adjacent_difference_implIS3_Lb0ELb0EPlS7_ZN2at6native12_GLOBAL__N_124unique_dim_cuda_templateIN3c104HalfEEESt5tupleIJNS8_6TensorESF_SF_EERKSF_lbbbEUlllE1_EE10hipError_tPvRmT2_T3_mT4_P12ihipStream_tbEUlT_E_NS1_11comp_targetILNS1_3genE4ELNS1_11target_archE910ELNS1_3gpuE8ELNS1_3repE0EEENS1_30default_config_static_selectorELNS0_4arch9wavefront6targetE1EEEvT1_,comdat
	.globl	_ZN7rocprim17ROCPRIM_400000_NS6detail17trampoline_kernelINS0_14default_configENS1_35adjacent_difference_config_selectorILb0ElEEZNS1_24adjacent_difference_implIS3_Lb0ELb0EPlS7_ZN2at6native12_GLOBAL__N_124unique_dim_cuda_templateIN3c104HalfEEESt5tupleIJNS8_6TensorESF_SF_EERKSF_lbbbEUlllE1_EE10hipError_tPvRmT2_T3_mT4_P12ihipStream_tbEUlT_E_NS1_11comp_targetILNS1_3genE4ELNS1_11target_archE910ELNS1_3gpuE8ELNS1_3repE0EEENS1_30default_config_static_selectorELNS0_4arch9wavefront6targetE1EEEvT1_ ; -- Begin function _ZN7rocprim17ROCPRIM_400000_NS6detail17trampoline_kernelINS0_14default_configENS1_35adjacent_difference_config_selectorILb0ElEEZNS1_24adjacent_difference_implIS3_Lb0ELb0EPlS7_ZN2at6native12_GLOBAL__N_124unique_dim_cuda_templateIN3c104HalfEEESt5tupleIJNS8_6TensorESF_SF_EERKSF_lbbbEUlllE1_EE10hipError_tPvRmT2_T3_mT4_P12ihipStream_tbEUlT_E_NS1_11comp_targetILNS1_3genE4ELNS1_11target_archE910ELNS1_3gpuE8ELNS1_3repE0EEENS1_30default_config_static_selectorELNS0_4arch9wavefront6targetE1EEEvT1_
	.p2align	8
	.type	_ZN7rocprim17ROCPRIM_400000_NS6detail17trampoline_kernelINS0_14default_configENS1_35adjacent_difference_config_selectorILb0ElEEZNS1_24adjacent_difference_implIS3_Lb0ELb0EPlS7_ZN2at6native12_GLOBAL__N_124unique_dim_cuda_templateIN3c104HalfEEESt5tupleIJNS8_6TensorESF_SF_EERKSF_lbbbEUlllE1_EE10hipError_tPvRmT2_T3_mT4_P12ihipStream_tbEUlT_E_NS1_11comp_targetILNS1_3genE4ELNS1_11target_archE910ELNS1_3gpuE8ELNS1_3repE0EEENS1_30default_config_static_selectorELNS0_4arch9wavefront6targetE1EEEvT1_,@function
_ZN7rocprim17ROCPRIM_400000_NS6detail17trampoline_kernelINS0_14default_configENS1_35adjacent_difference_config_selectorILb0ElEEZNS1_24adjacent_difference_implIS3_Lb0ELb0EPlS7_ZN2at6native12_GLOBAL__N_124unique_dim_cuda_templateIN3c104HalfEEESt5tupleIJNS8_6TensorESF_SF_EERKSF_lbbbEUlllE1_EE10hipError_tPvRmT2_T3_mT4_P12ihipStream_tbEUlT_E_NS1_11comp_targetILNS1_3genE4ELNS1_11target_archE910ELNS1_3gpuE8ELNS1_3repE0EEENS1_30default_config_static_selectorELNS0_4arch9wavefront6targetE1EEEvT1_: ; @_ZN7rocprim17ROCPRIM_400000_NS6detail17trampoline_kernelINS0_14default_configENS1_35adjacent_difference_config_selectorILb0ElEEZNS1_24adjacent_difference_implIS3_Lb0ELb0EPlS7_ZN2at6native12_GLOBAL__N_124unique_dim_cuda_templateIN3c104HalfEEESt5tupleIJNS8_6TensorESF_SF_EERKSF_lbbbEUlllE1_EE10hipError_tPvRmT2_T3_mT4_P12ihipStream_tbEUlT_E_NS1_11comp_targetILNS1_3genE4ELNS1_11target_archE910ELNS1_3gpuE8ELNS1_3repE0EEENS1_30default_config_static_selectorELNS0_4arch9wavefront6targetE1EEEvT1_
; %bb.0:
	s_load_dwordx8 s[8:15], s[4:5], 0x0
	s_load_dwordx4 s[16:19], s[4:5], 0x20
	s_load_dwordx2 s[0:1], s[4:5], 0x38
	s_waitcnt lgkmcnt(0)
	s_lshl_b64 s[10:11], s[10:11], 3
	s_add_u32 s24, s8, s10
	s_addc_u32 s25, s9, s11
	s_mov_b32 s9, 0
	s_lshl_b32 s8, s6, 9
	s_lshr_b64 s[2:3], s[14:15], 9
	s_and_b32 s4, s14, 0x1ff
	s_mov_b32 s5, s9
	s_cmp_lg_u64 s[4:5], 0
	s_cselect_b64 s[4:5], -1, 0
	v_cndmask_b32_e64 v1, 0, 1, s[4:5]
	v_readfirstlane_b32 s4, v1
	s_add_u32 s22, s2, s4
	s_addc_u32 s23, s3, 0
	s_add_u32 s26, s0, s6
	s_addc_u32 s27, s1, 0
	s_add_u32 s6, s22, -1
	s_addc_u32 s7, s23, -1
	v_pk_mov_b32 v[2:3], s[6:7], s[6:7] op_sel:[0,1]
	v_cmp_ge_u64_e64 s[0:1], s[26:27], v[2:3]
	s_mov_b64 s[2:3], -1
	s_and_b64 vcc, exec, s[0:1]
	s_cbranch_vccz .LBB1273_6
; %bb.1:
	s_lshl_b32 s2, s6, 9
	s_sub_i32 s15, s14, s2
	s_lshl_b64 s[2:3], s[8:9], 3
	s_add_u32 s2, s24, s2
	s_addc_u32 s3, s25, s3
	v_cmp_gt_u32_e32 vcc, s15, v0
                                        ; implicit-def: $vgpr2_vgpr3_vgpr4_vgpr5
	s_and_saveexec_b64 s[4:5], vcc
	s_cbranch_execz .LBB1273_3
; %bb.2:
	v_lshlrev_b32_e32 v1, 3, v0
	global_load_dwordx2 v[2:3], v1, s[2:3]
.LBB1273_3:
	s_or_b64 exec, exec, s[4:5]
	v_or_b32_e32 v1, 0x100, v0
	v_cmp_gt_u32_e32 vcc, s15, v1
	s_and_saveexec_b64 s[4:5], vcc
	s_cbranch_execz .LBB1273_5
; %bb.4:
	v_lshlrev_b32_e32 v4, 3, v0
	global_load_dwordx2 v[4:5], v4, s[2:3] offset:2048
.LBB1273_5:
	s_or_b64 exec, exec, s[4:5]
	v_lshrrev_b32_e32 v6, 2, v0
	v_lshrrev_b32_e32 v1, 2, v1
	v_and_b32_e32 v6, 56, v6
	v_lshlrev_b32_e32 v7, 3, v0
	v_and_b32_e32 v1, 0x78, v1
	v_add_u32_e32 v6, v6, v7
	v_add_u32_e32 v1, v1, v7
	s_mov_b64 s[2:3], 0
	s_waitcnt vmcnt(0)
	ds_write_b64 v6, v[2:3]
	ds_write_b64 v1, v[4:5] offset:2048
	s_waitcnt lgkmcnt(0)
	s_barrier
.LBB1273_6:
	s_and_b64 vcc, exec, s[2:3]
	v_lshlrev_b32_e32 v1, 3, v0
	s_cbranch_vccz .LBB1273_8
; %bb.7:
	s_lshl_b64 s[2:3], s[8:9], 3
	s_add_u32 s2, s24, s2
	s_addc_u32 s3, s25, s3
	global_load_dwordx2 v[2:3], v1, s[2:3]
	global_load_dwordx2 v[4:5], v1, s[2:3] offset:2048
	v_lshrrev_b32_e32 v6, 2, v0
	v_or_b32_e32 v7, 0x100, v0
	v_and_b32_e32 v6, 56, v6
	v_lshrrev_b32_e32 v7, 2, v7
	v_add_u32_e32 v6, v6, v1
	v_and_b32_e32 v7, 0x78, v7
	v_add_u32_e32 v7, v7, v1
	s_waitcnt vmcnt(1)
	ds_write_b64 v6, v[2:3]
	s_waitcnt vmcnt(0)
	ds_write_b64 v7, v[4:5] offset:2048
	s_waitcnt lgkmcnt(0)
	s_barrier
.LBB1273_8:
	v_lshlrev_b32_e32 v2, 1, v0
	v_lshrrev_b32_e32 v3, 4, v0
	v_add_lshl_u32 v2, v3, v2, 3
	ds_read2_b64 v[2:5], v2 offset1:1
	s_cmp_eq_u64 s[26:27], 0
	s_mov_b64 s[20:21], 0
	s_waitcnt lgkmcnt(0)
	s_barrier
	s_cbranch_scc1 .LBB1273_17
; %bb.9:
	s_lshl_b64 s[2:3], s[8:9], 3
	s_add_u32 s2, s24, s2
	s_addc_u32 s3, s25, s3
	s_add_u32 s2, s2, -8
	s_addc_u32 s3, s3, -1
	s_load_dwordx2 s[24:25], s[2:3], 0x0
	s_cmp_lg_u64 s[26:27], s[6:7]
	s_cbranch_scc0 .LBB1273_18
; %bb.10:
	v_cmp_lt_i64_e64 s[2:3], s[16:17], 1
	v_pk_mov_b32 v[8:9], 0, 0
	v_cmp_gt_i64_e64 s[20:21], s[16:17], 0
	s_and_b64 vcc, exec, s[2:3]
	ds_write_b64 v1, v[4:5]
	s_cbranch_vccnz .LBB1273_21
; %bb.11:
	v_mul_lo_u32 v8, v5, s16
	v_mul_lo_u32 v9, v4, s17
	v_mad_u64_u32 v[6:7], s[2:3], v4, s16, 0
	v_add3_u32 v7, v7, v9, v8
	v_mul_lo_u32 v10, v3, s16
	v_mul_lo_u32 v11, v2, s17
	v_mad_u64_u32 v[8:9], s[2:3], v2, s16, 0
	v_add3_u32 v9, v9, v11, v10
	v_lshlrev_b64 v[10:11], 1, v[6:7]
	v_mov_b32_e32 v6, s19
	v_add_co_u32_e32 v12, vcc, s18, v10
	v_addc_co_u32_e64 v13, s[2:3], v6, v11, vcc
	v_lshlrev_b64 v[6:7], 1, v[8:9]
	v_mov_b32_e32 v8, s19
	v_add_co_u32_e64 v14, s[2:3], s18, v6
	v_addc_co_u32_e64 v15, s[4:5], v8, v7, s[2:3]
	global_load_ushort v6, v[12:13], off
	global_load_ushort v8, v[14:15], off
	s_waitcnt vmcnt(0)
	v_cmp_eq_f16_e64 s[4:5], v6, v8
	v_mov_b32_e32 v8, 1
	v_mov_b32_e32 v9, 0
	s_and_saveexec_b64 s[28:29], s[4:5]
	s_cbranch_execz .LBB1273_20
; %bb.12:
	v_mov_b32_e32 v6, s19
	v_addc_co_u32_e64 v7, s[2:3], v7, v6, s[2:3]
	v_add_co_u32_e64 v6, s[2:3], 2, v14
	v_mov_b32_e32 v8, s19
	v_addc_co_u32_e64 v7, s[2:3], 0, v7, s[2:3]
	v_addc_co_u32_e32 v9, vcc, v11, v8, vcc
	v_add_co_u32_e32 v8, vcc, 2, v12
	s_add_u32 s2, s16, -1
	v_addc_co_u32_e32 v9, vcc, 0, v9, vcc
	s_addc_u32 s3, s17, -1
	s_mov_b64 s[4:5], 0
	s_mov_b64 s[34:35], 0
                                        ; implicit-def: $sgpr30_sgpr31
	s_branch .LBB1273_15
.LBB1273_13:                            ;   in Loop: Header=BB1273_15 Depth=1
	global_load_ushort v10, v[8:9], off
	global_load_ushort v11, v[6:7], off
	v_add_co_u32_e32 v6, vcc, 2, v6
	v_addc_co_u32_e32 v7, vcc, 0, v7, vcc
	v_add_co_u32_e32 v8, vcc, 2, v8
	v_addc_co_u32_e32 v9, vcc, 0, v9, vcc
	s_add_u32 s34, s34, 1
	s_addc_u32 s35, s35, 0
	s_andn2_b64 s[30:31], s[30:31], exec
	s_waitcnt vmcnt(0)
	v_cmp_neq_f16_e32 vcc, v10, v11
	s_and_b64 s[36:37], vcc, exec
	s_or_b64 s[30:31], s[30:31], s[36:37]
.LBB1273_14:                            ;   in Loop: Header=BB1273_15 Depth=1
	s_and_b64 s[36:37], exec, s[30:31]
	s_or_b64 s[4:5], s[36:37], s[4:5]
	v_pk_mov_b32 v[10:11], s[34:35], s[34:35] op_sel:[0,1]
	s_andn2_b64 exec, exec, s[4:5]
	s_cbranch_execz .LBB1273_19
.LBB1273_15:                            ; =>This Inner Loop Header: Depth=1
	s_or_b64 s[30:31], s[30:31], exec
	s_cmp_eq_u64 s[2:3], s[34:35]
	s_cbranch_scc0 .LBB1273_13
; %bb.16:                               ;   in Loop: Header=BB1273_15 Depth=1
                                        ; implicit-def: $vgpr6_vgpr7
                                        ; implicit-def: $vgpr8_vgpr9
	s_mov_b64 s[34:35], s[16:17]
	s_branch .LBB1273_14
.LBB1273_17:
                                        ; implicit-def: $sgpr28_sgpr29
                                        ; implicit-def: $vgpr8_vgpr9
	s_cbranch_execnz .LBB1273_60
	s_branch .LBB1273_108
.LBB1273_18:
                                        ; implicit-def: $sgpr28_sgpr29
                                        ; implicit-def: $vgpr8_vgpr9
	s_cbranch_execnz .LBB1273_33
	s_branch .LBB1273_59
.LBB1273_19:
	s_or_b64 exec, exec, s[4:5]
	v_cmp_gt_i64_e32 vcc, s[16:17], v[10:11]
	s_mov_b32 s2, 0
	v_cndmask_b32_e64 v8, 0, 1, vcc
	v_mov_b32_e32 v9, s2
.LBB1273_20:
	s_or_b64 exec, exec, s[28:29]
.LBB1273_21:
	v_cmp_ne_u32_e32 vcc, 0, v0
	s_waitcnt lgkmcnt(0)
	v_pk_mov_b32 v[6:7], s[24:25], s[24:25] op_sel:[0,1]
	s_barrier
	s_and_saveexec_b64 s[2:3], vcc
	s_cbranch_execz .LBB1273_23
; %bb.22:
	v_add_u32_e32 v6, -8, v1
	ds_read_b64 v[6:7], v6
.LBB1273_23:
	s_or_b64 exec, exec, s[2:3]
	s_mov_b64 s[30:31], 0
	s_andn2_b64 vcc, exec, s[20:21]
	s_mov_b64 s[28:29], 0
	s_cbranch_vccnz .LBB1273_32
; %bb.24:
	v_mul_lo_u32 v12, v3, s16
	v_mul_lo_u32 v13, v2, s17
	v_mad_u64_u32 v[10:11], s[2:3], v2, s16, 0
	v_add3_u32 v11, v11, v13, v12
	s_waitcnt lgkmcnt(0)
	v_mul_lo_u32 v12, v7, s16
	v_mul_lo_u32 v13, v6, s17
	v_mad_u64_u32 v[6:7], s[2:3], v6, s16, 0
	v_lshlrev_b64 v[10:11], 1, v[10:11]
	v_add3_u32 v7, v7, v13, v12
	v_mov_b32_e32 v13, s19
	v_add_co_u32_e32 v12, vcc, s18, v10
	v_addc_co_u32_e64 v13, s[2:3], v13, v11, vcc
	v_lshlrev_b64 v[6:7], 1, v[6:7]
	v_mov_b32_e32 v10, s19
	v_add_co_u32_e64 v14, s[2:3], s18, v6
	v_addc_co_u32_e64 v15, s[4:5], v10, v7, s[2:3]
	global_load_ushort v6, v[12:13], off
	global_load_ushort v10, v[14:15], off
	s_mov_b64 s[28:29], -1
	s_waitcnt vmcnt(0)
	v_cmp_eq_f16_e64 s[4:5], v6, v10
	s_and_saveexec_b64 s[20:21], s[4:5]
	s_cbranch_execz .LBB1273_31
; %bb.25:
	v_mov_b32_e32 v6, s19
	v_addc_co_u32_e64 v7, s[2:3], v7, v6, s[2:3]
	v_add_co_u32_e64 v6, s[2:3], 2, v14
	v_mov_b32_e32 v10, s19
	v_addc_co_u32_e64 v7, s[2:3], 0, v7, s[2:3]
	v_addc_co_u32_e32 v11, vcc, v11, v10, vcc
	v_add_co_u32_e32 v10, vcc, 2, v12
	s_add_u32 s2, s16, -1
	v_addc_co_u32_e32 v11, vcc, 0, v11, vcc
	s_addc_u32 s3, s17, -1
	s_mov_b64 s[4:5], 0
	s_mov_b64 s[34:35], 0
                                        ; implicit-def: $sgpr28_sgpr29
	s_branch .LBB1273_28
.LBB1273_26:                            ;   in Loop: Header=BB1273_28 Depth=1
	global_load_ushort v12, v[10:11], off
	global_load_ushort v13, v[6:7], off
	v_add_co_u32_e32 v6, vcc, 2, v6
	v_addc_co_u32_e32 v7, vcc, 0, v7, vcc
	v_add_co_u32_e32 v10, vcc, 2, v10
	v_addc_co_u32_e32 v11, vcc, 0, v11, vcc
	s_add_u32 s34, s34, 1
	s_addc_u32 s35, s35, 0
	s_andn2_b64 s[28:29], s[28:29], exec
	s_waitcnt vmcnt(0)
	v_cmp_neq_f16_e32 vcc, v12, v13
	s_and_b64 s[36:37], vcc, exec
	s_or_b64 s[28:29], s[28:29], s[36:37]
.LBB1273_27:                            ;   in Loop: Header=BB1273_28 Depth=1
	s_and_b64 s[36:37], exec, s[28:29]
	s_or_b64 s[4:5], s[36:37], s[4:5]
	v_pk_mov_b32 v[12:13], s[34:35], s[34:35] op_sel:[0,1]
	s_andn2_b64 exec, exec, s[4:5]
	s_cbranch_execz .LBB1273_30
.LBB1273_28:                            ; =>This Inner Loop Header: Depth=1
	s_or_b64 s[28:29], s[28:29], exec
	s_cmp_eq_u64 s[2:3], s[34:35]
	s_cbranch_scc0 .LBB1273_26
; %bb.29:                               ;   in Loop: Header=BB1273_28 Depth=1
                                        ; implicit-def: $vgpr6_vgpr7
                                        ; implicit-def: $vgpr10_vgpr11
	s_mov_b64 s[34:35], s[16:17]
	s_branch .LBB1273_27
.LBB1273_30:
	s_or_b64 exec, exec, s[4:5]
	v_cmp_gt_i64_e32 vcc, s[16:17], v[12:13]
	s_orn2_b64 s[28:29], vcc, exec
.LBB1273_31:
	s_or_b64 exec, exec, s[20:21]
.LBB1273_32:
	s_mov_b64 s[20:21], -1
	s_and_b64 vcc, exec, s[30:31]
	s_cbranch_vccz .LBB1273_59
.LBB1273_33:
	s_lshl_b32 s2, s26, 9
	v_lshlrev_b32_e32 v16, 1, v0
	s_sub_i32 s7, s14, s2
	s_waitcnt lgkmcnt(0)
	v_or_b32_e32 v6, 1, v16
	v_cmp_gt_u32_e32 vcc, s7, v6
	v_pk_mov_b32 v[8:9], v[4:5], v[4:5] op_sel:[0,1]
	ds_write_b64 v1, v[4:5]
	v_pk_mov_b32 v[6:7], v[2:3], v[2:3] op_sel:[0,1]
	s_and_saveexec_b64 s[26:27], vcc
	s_cbranch_execz .LBB1273_44
; %bb.34:
	v_cmp_lt_i64_e64 s[2:3], s[16:17], 1
	s_and_b64 vcc, exec, s[2:3]
	s_cbranch_vccnz .LBB1273_41
; %bb.35:
	v_mul_lo_u32 v8, v5, s16
	v_mul_lo_u32 v9, v4, s17
	v_mad_u64_u32 v[6:7], s[2:3], v4, s16, 0
	v_add3_u32 v7, v7, v9, v8
	v_mul_lo_u32 v10, v3, s16
	v_mul_lo_u32 v11, v2, s17
	v_mad_u64_u32 v[8:9], s[2:3], v2, s16, 0
	v_add3_u32 v9, v9, v11, v10
	v_lshlrev_b64 v[10:11], 1, v[6:7]
	v_mov_b32_e32 v6, s19
	v_add_co_u32_e32 v12, vcc, s18, v10
	v_addc_co_u32_e64 v13, s[2:3], v6, v11, vcc
	v_lshlrev_b64 v[6:7], 1, v[8:9]
	v_mov_b32_e32 v8, s19
	v_add_co_u32_e64 v14, s[2:3], s18, v6
	v_addc_co_u32_e64 v15, s[4:5], v8, v7, s[2:3]
	global_load_ushort v6, v[12:13], off
	global_load_ushort v8, v[14:15], off
	s_waitcnt vmcnt(0)
	v_cmp_eq_f16_e64 s[4:5], v6, v8
	v_mov_b32_e32 v8, 1
	v_mov_b32_e32 v9, 0
	s_and_saveexec_b64 s[28:29], s[4:5]
	s_cbranch_execz .LBB1273_43
; %bb.36:
	v_mov_b32_e32 v6, s19
	v_addc_co_u32_e64 v7, s[2:3], v7, v6, s[2:3]
	v_add_co_u32_e64 v6, s[2:3], 2, v14
	v_mov_b32_e32 v8, s19
	v_addc_co_u32_e64 v7, s[2:3], 0, v7, s[2:3]
	v_addc_co_u32_e32 v9, vcc, v11, v8, vcc
	v_add_co_u32_e32 v8, vcc, 2, v12
	s_add_u32 s2, s16, -1
	v_addc_co_u32_e32 v9, vcc, 0, v9, vcc
	s_addc_u32 s3, s17, -1
	s_mov_b64 s[4:5], 0
	s_mov_b64 s[34:35], 0
                                        ; implicit-def: $sgpr30_sgpr31
	s_branch .LBB1273_39
.LBB1273_37:                            ;   in Loop: Header=BB1273_39 Depth=1
	global_load_ushort v10, v[8:9], off
	global_load_ushort v11, v[6:7], off
	v_add_co_u32_e32 v6, vcc, 2, v6
	v_addc_co_u32_e32 v7, vcc, 0, v7, vcc
	v_add_co_u32_e32 v8, vcc, 2, v8
	v_addc_co_u32_e32 v9, vcc, 0, v9, vcc
	s_add_u32 s34, s34, 1
	s_addc_u32 s35, s35, 0
	s_andn2_b64 s[30:31], s[30:31], exec
	s_waitcnt vmcnt(0)
	v_cmp_neq_f16_e32 vcc, v10, v11
	s_and_b64 s[36:37], vcc, exec
	s_or_b64 s[30:31], s[30:31], s[36:37]
.LBB1273_38:                            ;   in Loop: Header=BB1273_39 Depth=1
	s_and_b64 s[36:37], exec, s[30:31]
	s_or_b64 s[4:5], s[36:37], s[4:5]
	v_pk_mov_b32 v[10:11], s[34:35], s[34:35] op_sel:[0,1]
	s_andn2_b64 exec, exec, s[4:5]
	s_cbranch_execz .LBB1273_42
.LBB1273_39:                            ; =>This Inner Loop Header: Depth=1
	s_or_b64 s[30:31], s[30:31], exec
	s_cmp_eq_u64 s[2:3], s[34:35]
	s_cbranch_scc0 .LBB1273_37
; %bb.40:                               ;   in Loop: Header=BB1273_39 Depth=1
                                        ; implicit-def: $vgpr6_vgpr7
                                        ; implicit-def: $vgpr8_vgpr9
	s_mov_b64 s[34:35], s[16:17]
	s_branch .LBB1273_38
.LBB1273_41:
	v_pk_mov_b32 v[8:9], 0, 0
	s_branch .LBB1273_44
.LBB1273_42:
	s_or_b64 exec, exec, s[4:5]
	v_cmp_gt_i64_e32 vcc, s[16:17], v[10:11]
	s_mov_b32 s2, 0
	v_cndmask_b32_e64 v8, 0, 1, vcc
	v_mov_b32_e32 v9, s2
.LBB1273_43:
	s_or_b64 exec, exec, s[28:29]
.LBB1273_44:
	s_or_b64 exec, exec, s[26:27]
	v_cmp_ne_u32_e32 vcc, 0, v0
	v_pk_mov_b32 v[6:7], s[24:25], s[24:25] op_sel:[0,1]
	s_waitcnt lgkmcnt(0)
	s_barrier
	s_and_saveexec_b64 s[2:3], vcc
	s_cbranch_execz .LBB1273_46
; %bb.45:
	v_add_u32_e32 v6, -8, v1
	ds_read_b64 v[6:7], v6
.LBB1273_46:
	s_or_b64 exec, exec, s[2:3]
	v_cmp_gt_u32_e32 vcc, s7, v16
                                        ; implicit-def: $sgpr28_sgpr29
	s_and_saveexec_b64 s[24:25], vcc
	s_cbranch_execz .LBB1273_58
; %bb.47:
	v_cmp_lt_i64_e64 s[2:3], s[16:17], 1
	s_and_b64 vcc, exec, s[2:3]
	s_cbranch_vccnz .LBB1273_54
; %bb.48:
	v_mul_lo_u32 v12, v3, s16
	v_mul_lo_u32 v13, v2, s17
	v_mad_u64_u32 v[10:11], s[2:3], v2, s16, 0
	v_add3_u32 v11, v11, v13, v12
	s_waitcnt lgkmcnt(0)
	v_mul_lo_u32 v12, v7, s16
	v_mul_lo_u32 v13, v6, s17
	v_mad_u64_u32 v[6:7], s[2:3], v6, s16, 0
	v_lshlrev_b64 v[10:11], 1, v[10:11]
	v_add3_u32 v7, v7, v13, v12
	v_mov_b32_e32 v13, s19
	v_add_co_u32_e32 v12, vcc, s18, v10
	v_addc_co_u32_e64 v13, s[2:3], v13, v11, vcc
	v_lshlrev_b64 v[6:7], 1, v[6:7]
	v_mov_b32_e32 v10, s19
	v_add_co_u32_e64 v14, s[2:3], s18, v6
	v_addc_co_u32_e64 v15, s[4:5], v10, v7, s[2:3]
	global_load_ushort v6, v[12:13], off
	global_load_ushort v10, v[14:15], off
	s_mov_b64 s[28:29], -1
	s_waitcnt vmcnt(0)
	v_cmp_eq_f16_e64 s[4:5], v6, v10
	s_and_saveexec_b64 s[26:27], s[4:5]
	s_cbranch_execz .LBB1273_56
; %bb.49:
	v_mov_b32_e32 v6, s19
	v_addc_co_u32_e64 v7, s[2:3], v7, v6, s[2:3]
	v_add_co_u32_e64 v6, s[2:3], 2, v14
	v_mov_b32_e32 v10, s19
	v_addc_co_u32_e64 v7, s[2:3], 0, v7, s[2:3]
	v_addc_co_u32_e32 v11, vcc, v11, v10, vcc
	v_add_co_u32_e32 v10, vcc, 2, v12
	s_add_u32 s2, s16, -1
	v_addc_co_u32_e32 v11, vcc, 0, v11, vcc
	s_addc_u32 s3, s17, -1
	s_mov_b64 s[4:5], 0
	s_mov_b64 s[30:31], 0
                                        ; implicit-def: $sgpr28_sgpr29
	s_branch .LBB1273_52
.LBB1273_50:                            ;   in Loop: Header=BB1273_52 Depth=1
	global_load_ushort v12, v[10:11], off
	global_load_ushort v13, v[6:7], off
	v_add_co_u32_e32 v6, vcc, 2, v6
	v_addc_co_u32_e32 v7, vcc, 0, v7, vcc
	v_add_co_u32_e32 v10, vcc, 2, v10
	v_addc_co_u32_e32 v11, vcc, 0, v11, vcc
	s_add_u32 s30, s30, 1
	s_addc_u32 s31, s31, 0
	s_andn2_b64 s[28:29], s[28:29], exec
	s_waitcnt vmcnt(0)
	v_cmp_neq_f16_e32 vcc, v12, v13
	s_and_b64 s[34:35], vcc, exec
	s_or_b64 s[28:29], s[28:29], s[34:35]
.LBB1273_51:                            ;   in Loop: Header=BB1273_52 Depth=1
	s_and_b64 s[34:35], exec, s[28:29]
	s_or_b64 s[4:5], s[34:35], s[4:5]
	v_pk_mov_b32 v[12:13], s[30:31], s[30:31] op_sel:[0,1]
	s_andn2_b64 exec, exec, s[4:5]
	s_cbranch_execz .LBB1273_55
.LBB1273_52:                            ; =>This Inner Loop Header: Depth=1
	s_or_b64 s[28:29], s[28:29], exec
	s_cmp_eq_u64 s[2:3], s[30:31]
	s_cbranch_scc0 .LBB1273_50
; %bb.53:                               ;   in Loop: Header=BB1273_52 Depth=1
                                        ; implicit-def: $vgpr6_vgpr7
                                        ; implicit-def: $vgpr10_vgpr11
	s_mov_b64 s[30:31], s[16:17]
	s_branch .LBB1273_51
.LBB1273_54:
	s_mov_b64 s[28:29], 0
	s_branch .LBB1273_57
.LBB1273_55:
	s_or_b64 exec, exec, s[4:5]
	v_cmp_gt_i64_e32 vcc, s[16:17], v[12:13]
	s_orn2_b64 s[28:29], vcc, exec
.LBB1273_56:
	s_or_b64 exec, exec, s[26:27]
.LBB1273_57:
	s_and_b64 s[28:29], s[28:29], exec
	s_or_b64 s[20:21], s[20:21], exec
.LBB1273_58:
	s_or_b64 exec, exec, s[24:25]
.LBB1273_59:
	s_branch .LBB1273_108
.LBB1273_60:
	s_cmp_lg_u64 s[22:23], 1
	s_cbranch_scc0 .LBB1273_68
; %bb.61:
	v_cmp_lt_i64_e64 s[2:3], s[16:17], 1
	v_pk_mov_b32 v[8:9], 0, 0
	s_waitcnt lgkmcnt(0)
	v_cmp_gt_i64_e64 s[24:25], s[16:17], 0
	s_and_b64 vcc, exec, s[2:3]
	ds_write_b64 v1, v[4:5]
	s_cbranch_vccnz .LBB1273_71
; %bb.62:
	v_mul_lo_u32 v8, v5, s16
	v_mul_lo_u32 v9, v4, s17
	v_mad_u64_u32 v[6:7], s[2:3], v4, s16, 0
	v_add3_u32 v7, v7, v9, v8
	v_mul_lo_u32 v10, v3, s16
	v_mul_lo_u32 v11, v2, s17
	v_mad_u64_u32 v[8:9], s[2:3], v2, s16, 0
	v_add3_u32 v9, v9, v11, v10
	v_lshlrev_b64 v[10:11], 1, v[6:7]
	v_mov_b32_e32 v6, s19
	v_add_co_u32_e32 v12, vcc, s18, v10
	v_addc_co_u32_e64 v13, s[2:3], v6, v11, vcc
	v_lshlrev_b64 v[6:7], 1, v[8:9]
	v_mov_b32_e32 v8, s19
	v_add_co_u32_e64 v14, s[2:3], s18, v6
	v_addc_co_u32_e64 v15, s[4:5], v8, v7, s[2:3]
	global_load_ushort v6, v[12:13], off
	global_load_ushort v8, v[14:15], off
	s_waitcnt vmcnt(0)
	v_cmp_eq_f16_e64 s[4:5], v6, v8
	v_mov_b32_e32 v8, 1
	v_mov_b32_e32 v9, 0
	s_and_saveexec_b64 s[22:23], s[4:5]
	s_cbranch_execz .LBB1273_70
; %bb.63:
	v_mov_b32_e32 v6, s19
	v_addc_co_u32_e64 v7, s[2:3], v7, v6, s[2:3]
	v_add_co_u32_e64 v6, s[2:3], 2, v14
	v_mov_b32_e32 v8, s19
	v_addc_co_u32_e64 v7, s[2:3], 0, v7, s[2:3]
	v_addc_co_u32_e32 v9, vcc, v11, v8, vcc
	v_add_co_u32_e32 v8, vcc, 2, v12
	s_add_u32 s2, s16, -1
	v_addc_co_u32_e32 v9, vcc, 0, v9, vcc
	s_addc_u32 s3, s17, -1
	s_mov_b64 s[4:5], 0
	s_mov_b64 s[28:29], 0
                                        ; implicit-def: $sgpr26_sgpr27
	s_branch .LBB1273_66
.LBB1273_64:                            ;   in Loop: Header=BB1273_66 Depth=1
	global_load_ushort v10, v[8:9], off
	global_load_ushort v11, v[6:7], off
	v_add_co_u32_e32 v6, vcc, 2, v6
	v_addc_co_u32_e32 v7, vcc, 0, v7, vcc
	v_add_co_u32_e32 v8, vcc, 2, v8
	v_addc_co_u32_e32 v9, vcc, 0, v9, vcc
	s_add_u32 s28, s28, 1
	s_addc_u32 s29, s29, 0
	s_andn2_b64 s[26:27], s[26:27], exec
	s_waitcnt vmcnt(0)
	v_cmp_neq_f16_e32 vcc, v10, v11
	s_and_b64 s[30:31], vcc, exec
	s_or_b64 s[26:27], s[26:27], s[30:31]
.LBB1273_65:                            ;   in Loop: Header=BB1273_66 Depth=1
	s_and_b64 s[30:31], exec, s[26:27]
	s_or_b64 s[4:5], s[30:31], s[4:5]
	v_pk_mov_b32 v[10:11], s[28:29], s[28:29] op_sel:[0,1]
	s_andn2_b64 exec, exec, s[4:5]
	s_cbranch_execz .LBB1273_69
.LBB1273_66:                            ; =>This Inner Loop Header: Depth=1
	s_or_b64 s[26:27], s[26:27], exec
	s_cmp_eq_u64 s[2:3], s[28:29]
	s_cbranch_scc0 .LBB1273_64
; %bb.67:                               ;   in Loop: Header=BB1273_66 Depth=1
                                        ; implicit-def: $vgpr6_vgpr7
                                        ; implicit-def: $vgpr8_vgpr9
	s_mov_b64 s[28:29], s[16:17]
	s_branch .LBB1273_65
.LBB1273_68:
                                        ; implicit-def: $sgpr28_sgpr29
                                        ; implicit-def: $vgpr8_vgpr9
	s_cbranch_execnz .LBB1273_84
	s_branch .LBB1273_108
.LBB1273_69:
	s_or_b64 exec, exec, s[4:5]
	v_cmp_gt_i64_e32 vcc, s[16:17], v[10:11]
	s_mov_b32 s2, 0
	v_cndmask_b32_e64 v8, 0, 1, vcc
	v_mov_b32_e32 v9, s2
.LBB1273_70:
	s_or_b64 exec, exec, s[22:23]
.LBB1273_71:
	v_cmp_ne_u32_e32 vcc, 0, v0
	s_waitcnt lgkmcnt(0)
	s_barrier
	s_waitcnt lgkmcnt(0)
                                        ; implicit-def: $sgpr28_sgpr29
	s_and_saveexec_b64 s[22:23], vcc
	s_cbranch_execz .LBB1273_83
; %bb.72:
	s_andn2_b64 vcc, exec, s[24:25]
	s_cbranch_vccnz .LBB1273_79
; %bb.73:
	v_add_u32_e32 v6, -8, v1
	ds_read_b64 v[6:7], v6
	v_mul_lo_u32 v12, v3, s16
	v_mul_lo_u32 v13, v2, s17
	v_mad_u64_u32 v[10:11], s[2:3], v2, s16, 0
	v_add3_u32 v11, v11, v13, v12
	s_waitcnt lgkmcnt(0)
	v_mul_lo_u32 v12, v7, s16
	v_mul_lo_u32 v13, v6, s17
	v_mad_u64_u32 v[6:7], s[2:3], v6, s16, 0
	v_lshlrev_b64 v[10:11], 1, v[10:11]
	v_add3_u32 v7, v7, v13, v12
	v_mov_b32_e32 v13, s19
	v_add_co_u32_e32 v12, vcc, s18, v10
	v_addc_co_u32_e64 v13, s[2:3], v13, v11, vcc
	v_lshlrev_b64 v[6:7], 1, v[6:7]
	v_mov_b32_e32 v10, s19
	v_add_co_u32_e64 v14, s[2:3], s18, v6
	v_addc_co_u32_e64 v15, s[4:5], v10, v7, s[2:3]
	global_load_ushort v6, v[12:13], off
	global_load_ushort v10, v[14:15], off
	s_mov_b64 s[26:27], -1
	s_waitcnt vmcnt(0)
	v_cmp_eq_f16_e64 s[4:5], v6, v10
	s_and_saveexec_b64 s[24:25], s[4:5]
	s_cbranch_execz .LBB1273_81
; %bb.74:
	v_mov_b32_e32 v6, s19
	v_addc_co_u32_e64 v7, s[2:3], v7, v6, s[2:3]
	v_add_co_u32_e64 v6, s[2:3], 2, v14
	v_mov_b32_e32 v10, s19
	v_addc_co_u32_e64 v7, s[2:3], 0, v7, s[2:3]
	v_addc_co_u32_e32 v11, vcc, v11, v10, vcc
	v_add_co_u32_e32 v10, vcc, 2, v12
	s_add_u32 s2, s16, -1
	v_addc_co_u32_e32 v11, vcc, 0, v11, vcc
	s_addc_u32 s3, s17, -1
	s_mov_b64 s[4:5], 0
	s_mov_b64 s[28:29], 0
                                        ; implicit-def: $sgpr26_sgpr27
	s_branch .LBB1273_77
.LBB1273_75:                            ;   in Loop: Header=BB1273_77 Depth=1
	global_load_ushort v12, v[10:11], off
	global_load_ushort v13, v[6:7], off
	v_add_co_u32_e32 v6, vcc, 2, v6
	v_addc_co_u32_e32 v7, vcc, 0, v7, vcc
	v_add_co_u32_e32 v10, vcc, 2, v10
	v_addc_co_u32_e32 v11, vcc, 0, v11, vcc
	s_add_u32 s28, s28, 1
	s_addc_u32 s29, s29, 0
	s_andn2_b64 s[26:27], s[26:27], exec
	s_waitcnt vmcnt(0)
	v_cmp_neq_f16_e32 vcc, v12, v13
	s_and_b64 s[30:31], vcc, exec
	s_or_b64 s[26:27], s[26:27], s[30:31]
.LBB1273_76:                            ;   in Loop: Header=BB1273_77 Depth=1
	s_and_b64 s[30:31], exec, s[26:27]
	s_or_b64 s[4:5], s[30:31], s[4:5]
	v_pk_mov_b32 v[12:13], s[28:29], s[28:29] op_sel:[0,1]
	s_andn2_b64 exec, exec, s[4:5]
	s_cbranch_execz .LBB1273_80
.LBB1273_77:                            ; =>This Inner Loop Header: Depth=1
	s_or_b64 s[26:27], s[26:27], exec
	s_cmp_eq_u64 s[2:3], s[28:29]
	s_cbranch_scc0 .LBB1273_75
; %bb.78:                               ;   in Loop: Header=BB1273_77 Depth=1
                                        ; implicit-def: $vgpr6_vgpr7
                                        ; implicit-def: $vgpr10_vgpr11
	s_mov_b64 s[28:29], s[16:17]
	s_branch .LBB1273_76
.LBB1273_79:
	s_mov_b64 s[26:27], 0
	s_branch .LBB1273_82
.LBB1273_80:
	s_or_b64 exec, exec, s[4:5]
	v_cmp_gt_i64_e32 vcc, s[16:17], v[12:13]
	s_orn2_b64 s[26:27], vcc, exec
.LBB1273_81:
	s_or_b64 exec, exec, s[24:25]
.LBB1273_82:
	s_and_b64 s[28:29], s[26:27], exec
	s_or_b64 s[20:21], s[20:21], exec
.LBB1273_83:
	s_or_b64 exec, exec, s[22:23]
	s_branch .LBB1273_108
.LBB1273_84:
	v_lshlrev_b32_e32 v14, 1, v0
	s_waitcnt lgkmcnt(0)
	v_or_b32_e32 v6, 1, v14
	v_cmp_gt_u32_e32 vcc, s14, v6
	v_cmp_lt_i64_e64 s[22:23], s[16:17], 1
	v_pk_mov_b32 v[8:9], v[4:5], v[4:5] op_sel:[0,1]
	ds_write_b64 v1, v[4:5]
	v_pk_mov_b32 v[6:7], v[2:3], v[2:3] op_sel:[0,1]
	s_and_saveexec_b64 s[24:25], vcc
	s_cbranch_execz .LBB1273_95
; %bb.85:
	s_and_b64 vcc, exec, s[22:23]
	s_cbranch_vccnz .LBB1273_92
; %bb.86:
	v_mul_lo_u32 v6, v5, s16
	v_mul_lo_u32 v7, v4, s17
	v_mad_u64_u32 v[4:5], s[2:3], v4, s16, 0
	v_add3_u32 v5, v5, v7, v6
	v_mul_lo_u32 v6, v3, s16
	v_mul_lo_u32 v7, v2, s17
	v_mad_u64_u32 v[8:9], s[2:3], v2, s16, 0
	v_add3_u32 v9, v9, v7, v6
	v_lshlrev_b64 v[6:7], 1, v[4:5]
	v_mov_b32_e32 v4, s19
	v_add_co_u32_e32 v10, vcc, s18, v6
	v_addc_co_u32_e64 v11, s[2:3], v4, v7, vcc
	v_lshlrev_b64 v[4:5], 1, v[8:9]
	v_mov_b32_e32 v6, s19
	v_add_co_u32_e64 v12, s[2:3], s18, v4
	v_addc_co_u32_e64 v13, s[4:5], v6, v5, s[2:3]
	global_load_ushort v4, v[10:11], off
	global_load_ushort v6, v[12:13], off
	v_mov_b32_e32 v8, 1
	v_mov_b32_e32 v9, 0
	s_waitcnt vmcnt(0)
	v_cmp_eq_f16_e64 s[4:5], v4, v6
	s_and_saveexec_b64 s[26:27], s[4:5]
	s_cbranch_execz .LBB1273_94
; %bb.87:
	v_mov_b32_e32 v4, s19
	v_addc_co_u32_e64 v5, s[2:3], v5, v4, s[2:3]
	v_add_co_u32_e64 v4, s[2:3], 2, v12
	v_mov_b32_e32 v6, s19
	v_addc_co_u32_e64 v5, s[2:3], 0, v5, s[2:3]
	v_addc_co_u32_e32 v7, vcc, v7, v6, vcc
	v_add_co_u32_e32 v6, vcc, 2, v10
	s_add_u32 s2, s16, -1
	v_addc_co_u32_e32 v7, vcc, 0, v7, vcc
	s_addc_u32 s3, s17, -1
	s_mov_b64 s[4:5], 0
	s_mov_b64 s[30:31], 0
                                        ; implicit-def: $sgpr28_sgpr29
	s_branch .LBB1273_90
.LBB1273_88:                            ;   in Loop: Header=BB1273_90 Depth=1
	global_load_ushort v8, v[6:7], off
	global_load_ushort v9, v[4:5], off
	v_add_co_u32_e32 v4, vcc, 2, v4
	v_addc_co_u32_e32 v5, vcc, 0, v5, vcc
	v_add_co_u32_e32 v6, vcc, 2, v6
	v_addc_co_u32_e32 v7, vcc, 0, v7, vcc
	s_add_u32 s30, s30, 1
	s_addc_u32 s31, s31, 0
	s_andn2_b64 s[28:29], s[28:29], exec
	s_waitcnt vmcnt(0)
	v_cmp_neq_f16_e32 vcc, v8, v9
	s_and_b64 s[34:35], vcc, exec
	s_or_b64 s[28:29], s[28:29], s[34:35]
.LBB1273_89:                            ;   in Loop: Header=BB1273_90 Depth=1
	s_and_b64 s[34:35], exec, s[28:29]
	s_or_b64 s[4:5], s[34:35], s[4:5]
	v_pk_mov_b32 v[8:9], s[30:31], s[30:31] op_sel:[0,1]
	s_andn2_b64 exec, exec, s[4:5]
	s_cbranch_execz .LBB1273_93
.LBB1273_90:                            ; =>This Inner Loop Header: Depth=1
	s_or_b64 s[28:29], s[28:29], exec
	s_cmp_eq_u64 s[2:3], s[30:31]
	s_cbranch_scc0 .LBB1273_88
; %bb.91:                               ;   in Loop: Header=BB1273_90 Depth=1
                                        ; implicit-def: $vgpr4_vgpr5
                                        ; implicit-def: $vgpr6_vgpr7
	s_mov_b64 s[30:31], s[16:17]
	s_branch .LBB1273_89
.LBB1273_92:
	v_pk_mov_b32 v[8:9], 0, 0
	s_branch .LBB1273_95
.LBB1273_93:
	s_or_b64 exec, exec, s[4:5]
	v_cmp_gt_i64_e32 vcc, s[16:17], v[8:9]
	s_mov_b32 s2, 0
	v_cndmask_b32_e64 v8, 0, 1, vcc
	v_mov_b32_e32 v9, s2
.LBB1273_94:
	s_or_b64 exec, exec, s[26:27]
.LBB1273_95:
	s_or_b64 exec, exec, s[24:25]
	v_cmp_ne_u32_e32 vcc, 0, v0
	v_cmp_gt_u32_e64 s[2:3], s14, v14
	s_and_b64 s[2:3], vcc, s[2:3]
	s_waitcnt lgkmcnt(0)
	s_barrier
	s_waitcnt lgkmcnt(0)
                                        ; implicit-def: $sgpr28_sgpr29
	s_and_saveexec_b64 s[24:25], s[2:3]
	s_cbranch_execz .LBB1273_107
; %bb.96:
	s_and_b64 vcc, exec, s[22:23]
	s_cbranch_vccnz .LBB1273_103
; %bb.97:
	v_mul_lo_u32 v6, v3, s16
	v_add_u32_e32 v3, -8, v1
	ds_read_b64 v[4:5], v3
	v_mul_lo_u32 v7, v2, s17
	v_mad_u64_u32 v[2:3], s[2:3], v2, s16, 0
	v_add3_u32 v3, v3, v7, v6
	s_waitcnt lgkmcnt(0)
	v_mul_lo_u32 v5, v5, s16
	v_mul_lo_u32 v6, v4, s17
	v_mad_u64_u32 v[10:11], s[2:3], v4, s16, 0
	v_add3_u32 v11, v11, v6, v5
	v_lshlrev_b64 v[4:5], 1, v[2:3]
	v_mov_b32_e32 v2, s19
	v_add_co_u32_e32 v6, vcc, s18, v4
	v_addc_co_u32_e64 v7, s[2:3], v2, v5, vcc
	v_lshlrev_b64 v[2:3], 1, v[10:11]
	v_mov_b32_e32 v4, s19
	v_add_co_u32_e64 v10, s[2:3], s18, v2
	v_addc_co_u32_e64 v11, s[4:5], v4, v3, s[2:3]
	global_load_ushort v2, v[6:7], off
	global_load_ushort v4, v[10:11], off
	s_mov_b64 s[26:27], -1
	s_waitcnt vmcnt(0)
	v_cmp_eq_f16_e64 s[4:5], v2, v4
	s_and_saveexec_b64 s[22:23], s[4:5]
	s_cbranch_execz .LBB1273_105
; %bb.98:
	v_mov_b32_e32 v2, s19
	v_addc_co_u32_e64 v3, s[2:3], v3, v2, s[2:3]
	v_add_co_u32_e64 v2, s[2:3], 2, v10
	v_mov_b32_e32 v4, s19
	v_addc_co_u32_e64 v3, s[2:3], 0, v3, s[2:3]
	v_addc_co_u32_e32 v5, vcc, v5, v4, vcc
	v_add_co_u32_e32 v4, vcc, 2, v6
	s_add_u32 s2, s16, -1
	v_addc_co_u32_e32 v5, vcc, 0, v5, vcc
	s_addc_u32 s3, s17, -1
	s_mov_b64 s[4:5], 0
	s_mov_b64 s[26:27], 0
                                        ; implicit-def: $sgpr18_sgpr19
	s_branch .LBB1273_101
.LBB1273_99:                            ;   in Loop: Header=BB1273_101 Depth=1
	global_load_ushort v6, v[4:5], off
	global_load_ushort v7, v[2:3], off
	v_add_co_u32_e32 v2, vcc, 2, v2
	v_addc_co_u32_e32 v3, vcc, 0, v3, vcc
	v_add_co_u32_e32 v4, vcc, 2, v4
	v_addc_co_u32_e32 v5, vcc, 0, v5, vcc
	s_add_u32 s26, s26, 1
	s_addc_u32 s27, s27, 0
	s_andn2_b64 s[18:19], s[18:19], exec
	s_waitcnt vmcnt(0)
	v_cmp_neq_f16_e32 vcc, v6, v7
	s_and_b64 s[28:29], vcc, exec
	s_or_b64 s[18:19], s[18:19], s[28:29]
.LBB1273_100:                           ;   in Loop: Header=BB1273_101 Depth=1
	s_and_b64 s[28:29], exec, s[18:19]
	s_or_b64 s[4:5], s[28:29], s[4:5]
	v_pk_mov_b32 v[6:7], s[26:27], s[26:27] op_sel:[0,1]
	s_andn2_b64 exec, exec, s[4:5]
	s_cbranch_execz .LBB1273_104
.LBB1273_101:                           ; =>This Inner Loop Header: Depth=1
	s_or_b64 s[18:19], s[18:19], exec
	s_cmp_eq_u64 s[2:3], s[26:27]
	s_cbranch_scc0 .LBB1273_99
; %bb.102:                              ;   in Loop: Header=BB1273_101 Depth=1
                                        ; implicit-def: $vgpr2_vgpr3
                                        ; implicit-def: $vgpr4_vgpr5
	s_mov_b64 s[26:27], s[16:17]
	s_branch .LBB1273_100
.LBB1273_103:
	s_mov_b64 s[26:27], 0
	s_branch .LBB1273_106
.LBB1273_104:
	s_or_b64 exec, exec, s[4:5]
	v_cmp_gt_i64_e32 vcc, s[16:17], v[6:7]
	s_orn2_b64 s[26:27], vcc, exec
.LBB1273_105:
	s_or_b64 exec, exec, s[22:23]
.LBB1273_106:
	s_and_b64 s[28:29], s[26:27], exec
	s_or_b64 s[20:21], s[20:21], exec
                                        ; implicit-def: $vgpr2_vgpr3
.LBB1273_107:
	s_or_b64 exec, exec, s[24:25]
.LBB1273_108:
	s_and_saveexec_b64 s[2:3], s[20:21]
; %bb.109:
	s_mov_b32 s4, 0
	v_cndmask_b32_e64 v2, 0, 1, s[28:29]
	v_mov_b32_e32 v3, s4
; %bb.110:
	s_or_b64 exec, exec, s[2:3]
	s_add_u32 s4, s12, s10
	s_addc_u32 s5, s13, s11
	s_and_b64 vcc, exec, s[0:1]
	v_lshrrev_b32_e32 v10, 1, v0
	s_waitcnt lgkmcnt(0)
	s_barrier
	s_cbranch_vccz .LBB1273_114
; %bb.111:
	v_and_b32_e32 v4, 0x78, v10
	v_lshl_add_u32 v6, v0, 4, v4
	v_mov_b32_e32 v4, v8
	v_mov_b32_e32 v5, v9
	v_or_b32_e32 v11, 0x100, v0
	s_lshl_b32 s0, s6, 9
	s_mov_b32 s9, 0
	ds_write2_b64 v6, v[2:3], v[4:5] offset1:1
	v_lshrrev_b32_e32 v4, 5, v11
	s_sub_i32 s2, s14, s0
	s_lshl_b64 s[0:1], s[8:9], 3
	v_add_lshl_u32 v4, v4, v0, 3
	s_add_u32 s0, s4, s0
	s_waitcnt lgkmcnt(0)
	s_barrier
	ds_read_b64 v[4:5], v4 offset:2048
	s_addc_u32 s1, s5, s1
	v_mov_b32_e32 v7, s1
	v_add_co_u32_e32 v6, vcc, s0, v1
	v_addc_co_u32_e32 v7, vcc, 0, v7, vcc
	v_cmp_gt_u32_e32 vcc, s2, v0
	s_and_saveexec_b64 s[0:1], vcc
	s_cbranch_execz .LBB1273_113
; %bb.112:
	v_lshrrev_b32_e32 v12, 5, v0
	v_add_lshl_u32 v12, v12, v0, 3
	ds_read_b64 v[12:13], v12
	s_waitcnt lgkmcnt(0)
	global_store_dwordx2 v[6:7], v[12:13], off
.LBB1273_113:
	s_or_b64 exec, exec, s[0:1]
	v_cmp_gt_u32_e64 s[0:1], s2, v11
	s_branch .LBB1273_116
.LBB1273_114:
	s_mov_b64 s[0:1], 0
                                        ; implicit-def: $vgpr4_vgpr5
                                        ; implicit-def: $vgpr6_vgpr7
	s_cbranch_execz .LBB1273_116
; %bb.115:
	s_waitcnt lgkmcnt(0)
	v_and_b32_e32 v4, 0x78, v10
	v_lshl_add_u32 v6, v0, 4, v4
	v_mov_b32_e32 v4, v8
	v_mov_b32_e32 v5, v9
	s_mov_b32 s9, 0
	ds_write2_b64 v6, v[2:3], v[4:5] offset1:1
	v_lshrrev_b32_e32 v2, 5, v0
	v_or_b32_e32 v3, 0x100, v0
	s_lshl_b64 s[2:3], s[8:9], 3
	v_add_lshl_u32 v2, v2, v0, 3
	v_lshrrev_b32_e32 v3, 5, v3
	s_add_u32 s2, s4, s2
	s_waitcnt lgkmcnt(0)
	s_barrier
	v_add_lshl_u32 v0, v3, v0, 3
	ds_read_b64 v[2:3], v2
	ds_read_b64 v[4:5], v0 offset:2048
	s_addc_u32 s3, s5, s3
	v_mov_b32_e32 v0, s3
	v_add_co_u32_e32 v6, vcc, s2, v1
	v_addc_co_u32_e32 v7, vcc, 0, v0, vcc
	s_or_b64 s[0:1], s[0:1], exec
	s_waitcnt lgkmcnt(1)
	global_store_dwordx2 v1, v[2:3], s[2:3]
.LBB1273_116:
	s_and_saveexec_b64 s[2:3], s[0:1]
	s_cbranch_execnz .LBB1273_118
; %bb.117:
	s_endpgm
.LBB1273_118:
	s_waitcnt lgkmcnt(0)
	global_store_dwordx2 v[6:7], v[4:5], off offset:2048
	s_endpgm
	.section	.rodata,"a",@progbits
	.p2align	6, 0x0
	.amdhsa_kernel _ZN7rocprim17ROCPRIM_400000_NS6detail17trampoline_kernelINS0_14default_configENS1_35adjacent_difference_config_selectorILb0ElEEZNS1_24adjacent_difference_implIS3_Lb0ELb0EPlS7_ZN2at6native12_GLOBAL__N_124unique_dim_cuda_templateIN3c104HalfEEESt5tupleIJNS8_6TensorESF_SF_EERKSF_lbbbEUlllE1_EE10hipError_tPvRmT2_T3_mT4_P12ihipStream_tbEUlT_E_NS1_11comp_targetILNS1_3genE4ELNS1_11target_archE910ELNS1_3gpuE8ELNS1_3repE0EEENS1_30default_config_static_selectorELNS0_4arch9wavefront6targetE1EEEvT1_
		.amdhsa_group_segment_fixed_size 4224
		.amdhsa_private_segment_fixed_size 0
		.amdhsa_kernarg_size 64
		.amdhsa_user_sgpr_count 6
		.amdhsa_user_sgpr_private_segment_buffer 1
		.amdhsa_user_sgpr_dispatch_ptr 0
		.amdhsa_user_sgpr_queue_ptr 0
		.amdhsa_user_sgpr_kernarg_segment_ptr 1
		.amdhsa_user_sgpr_dispatch_id 0
		.amdhsa_user_sgpr_flat_scratch_init 0
		.amdhsa_user_sgpr_kernarg_preload_length 0
		.amdhsa_user_sgpr_kernarg_preload_offset 0
		.amdhsa_user_sgpr_private_segment_size 0
		.amdhsa_uses_dynamic_stack 0
		.amdhsa_system_sgpr_private_segment_wavefront_offset 0
		.amdhsa_system_sgpr_workgroup_id_x 1
		.amdhsa_system_sgpr_workgroup_id_y 0
		.amdhsa_system_sgpr_workgroup_id_z 0
		.amdhsa_system_sgpr_workgroup_info 0
		.amdhsa_system_vgpr_workitem_id 0
		.amdhsa_next_free_vgpr 17
		.amdhsa_next_free_sgpr 38
		.amdhsa_accum_offset 20
		.amdhsa_reserve_vcc 1
		.amdhsa_reserve_flat_scratch 0
		.amdhsa_float_round_mode_32 0
		.amdhsa_float_round_mode_16_64 0
		.amdhsa_float_denorm_mode_32 3
		.amdhsa_float_denorm_mode_16_64 3
		.amdhsa_dx10_clamp 1
		.amdhsa_ieee_mode 1
		.amdhsa_fp16_overflow 0
		.amdhsa_tg_split 0
		.amdhsa_exception_fp_ieee_invalid_op 0
		.amdhsa_exception_fp_denorm_src 0
		.amdhsa_exception_fp_ieee_div_zero 0
		.amdhsa_exception_fp_ieee_overflow 0
		.amdhsa_exception_fp_ieee_underflow 0
		.amdhsa_exception_fp_ieee_inexact 0
		.amdhsa_exception_int_div_zero 0
	.end_amdhsa_kernel
	.section	.text._ZN7rocprim17ROCPRIM_400000_NS6detail17trampoline_kernelINS0_14default_configENS1_35adjacent_difference_config_selectorILb0ElEEZNS1_24adjacent_difference_implIS3_Lb0ELb0EPlS7_ZN2at6native12_GLOBAL__N_124unique_dim_cuda_templateIN3c104HalfEEESt5tupleIJNS8_6TensorESF_SF_EERKSF_lbbbEUlllE1_EE10hipError_tPvRmT2_T3_mT4_P12ihipStream_tbEUlT_E_NS1_11comp_targetILNS1_3genE4ELNS1_11target_archE910ELNS1_3gpuE8ELNS1_3repE0EEENS1_30default_config_static_selectorELNS0_4arch9wavefront6targetE1EEEvT1_,"axG",@progbits,_ZN7rocprim17ROCPRIM_400000_NS6detail17trampoline_kernelINS0_14default_configENS1_35adjacent_difference_config_selectorILb0ElEEZNS1_24adjacent_difference_implIS3_Lb0ELb0EPlS7_ZN2at6native12_GLOBAL__N_124unique_dim_cuda_templateIN3c104HalfEEESt5tupleIJNS8_6TensorESF_SF_EERKSF_lbbbEUlllE1_EE10hipError_tPvRmT2_T3_mT4_P12ihipStream_tbEUlT_E_NS1_11comp_targetILNS1_3genE4ELNS1_11target_archE910ELNS1_3gpuE8ELNS1_3repE0EEENS1_30default_config_static_selectorELNS0_4arch9wavefront6targetE1EEEvT1_,comdat
.Lfunc_end1273:
	.size	_ZN7rocprim17ROCPRIM_400000_NS6detail17trampoline_kernelINS0_14default_configENS1_35adjacent_difference_config_selectorILb0ElEEZNS1_24adjacent_difference_implIS3_Lb0ELb0EPlS7_ZN2at6native12_GLOBAL__N_124unique_dim_cuda_templateIN3c104HalfEEESt5tupleIJNS8_6TensorESF_SF_EERKSF_lbbbEUlllE1_EE10hipError_tPvRmT2_T3_mT4_P12ihipStream_tbEUlT_E_NS1_11comp_targetILNS1_3genE4ELNS1_11target_archE910ELNS1_3gpuE8ELNS1_3repE0EEENS1_30default_config_static_selectorELNS0_4arch9wavefront6targetE1EEEvT1_, .Lfunc_end1273-_ZN7rocprim17ROCPRIM_400000_NS6detail17trampoline_kernelINS0_14default_configENS1_35adjacent_difference_config_selectorILb0ElEEZNS1_24adjacent_difference_implIS3_Lb0ELb0EPlS7_ZN2at6native12_GLOBAL__N_124unique_dim_cuda_templateIN3c104HalfEEESt5tupleIJNS8_6TensorESF_SF_EERKSF_lbbbEUlllE1_EE10hipError_tPvRmT2_T3_mT4_P12ihipStream_tbEUlT_E_NS1_11comp_targetILNS1_3genE4ELNS1_11target_archE910ELNS1_3gpuE8ELNS1_3repE0EEENS1_30default_config_static_selectorELNS0_4arch9wavefront6targetE1EEEvT1_
                                        ; -- End function
	.section	.AMDGPU.csdata,"",@progbits
; Kernel info:
; codeLenInByte = 4256
; NumSgprs: 42
; NumVgprs: 17
; NumAgprs: 0
; TotalNumVgprs: 17
; ScratchSize: 0
; MemoryBound: 0
; FloatMode: 240
; IeeeMode: 1
; LDSByteSize: 4224 bytes/workgroup (compile time only)
; SGPRBlocks: 5
; VGPRBlocks: 2
; NumSGPRsForWavesPerEU: 42
; NumVGPRsForWavesPerEU: 17
; AccumOffset: 20
; Occupancy: 8
; WaveLimiterHint : 1
; COMPUTE_PGM_RSRC2:SCRATCH_EN: 0
; COMPUTE_PGM_RSRC2:USER_SGPR: 6
; COMPUTE_PGM_RSRC2:TRAP_HANDLER: 0
; COMPUTE_PGM_RSRC2:TGID_X_EN: 1
; COMPUTE_PGM_RSRC2:TGID_Y_EN: 0
; COMPUTE_PGM_RSRC2:TGID_Z_EN: 0
; COMPUTE_PGM_RSRC2:TIDIG_COMP_CNT: 0
; COMPUTE_PGM_RSRC3_GFX90A:ACCUM_OFFSET: 4
; COMPUTE_PGM_RSRC3_GFX90A:TG_SPLIT: 0
	.section	.text._ZN7rocprim17ROCPRIM_400000_NS6detail17trampoline_kernelINS0_14default_configENS1_35adjacent_difference_config_selectorILb0ElEEZNS1_24adjacent_difference_implIS3_Lb0ELb0EPlS7_ZN2at6native12_GLOBAL__N_124unique_dim_cuda_templateIN3c104HalfEEESt5tupleIJNS8_6TensorESF_SF_EERKSF_lbbbEUlllE1_EE10hipError_tPvRmT2_T3_mT4_P12ihipStream_tbEUlT_E_NS1_11comp_targetILNS1_3genE3ELNS1_11target_archE908ELNS1_3gpuE7ELNS1_3repE0EEENS1_30default_config_static_selectorELNS0_4arch9wavefront6targetE1EEEvT1_,"axG",@progbits,_ZN7rocprim17ROCPRIM_400000_NS6detail17trampoline_kernelINS0_14default_configENS1_35adjacent_difference_config_selectorILb0ElEEZNS1_24adjacent_difference_implIS3_Lb0ELb0EPlS7_ZN2at6native12_GLOBAL__N_124unique_dim_cuda_templateIN3c104HalfEEESt5tupleIJNS8_6TensorESF_SF_EERKSF_lbbbEUlllE1_EE10hipError_tPvRmT2_T3_mT4_P12ihipStream_tbEUlT_E_NS1_11comp_targetILNS1_3genE3ELNS1_11target_archE908ELNS1_3gpuE7ELNS1_3repE0EEENS1_30default_config_static_selectorELNS0_4arch9wavefront6targetE1EEEvT1_,comdat
	.globl	_ZN7rocprim17ROCPRIM_400000_NS6detail17trampoline_kernelINS0_14default_configENS1_35adjacent_difference_config_selectorILb0ElEEZNS1_24adjacent_difference_implIS3_Lb0ELb0EPlS7_ZN2at6native12_GLOBAL__N_124unique_dim_cuda_templateIN3c104HalfEEESt5tupleIJNS8_6TensorESF_SF_EERKSF_lbbbEUlllE1_EE10hipError_tPvRmT2_T3_mT4_P12ihipStream_tbEUlT_E_NS1_11comp_targetILNS1_3genE3ELNS1_11target_archE908ELNS1_3gpuE7ELNS1_3repE0EEENS1_30default_config_static_selectorELNS0_4arch9wavefront6targetE1EEEvT1_ ; -- Begin function _ZN7rocprim17ROCPRIM_400000_NS6detail17trampoline_kernelINS0_14default_configENS1_35adjacent_difference_config_selectorILb0ElEEZNS1_24adjacent_difference_implIS3_Lb0ELb0EPlS7_ZN2at6native12_GLOBAL__N_124unique_dim_cuda_templateIN3c104HalfEEESt5tupleIJNS8_6TensorESF_SF_EERKSF_lbbbEUlllE1_EE10hipError_tPvRmT2_T3_mT4_P12ihipStream_tbEUlT_E_NS1_11comp_targetILNS1_3genE3ELNS1_11target_archE908ELNS1_3gpuE7ELNS1_3repE0EEENS1_30default_config_static_selectorELNS0_4arch9wavefront6targetE1EEEvT1_
	.p2align	8
	.type	_ZN7rocprim17ROCPRIM_400000_NS6detail17trampoline_kernelINS0_14default_configENS1_35adjacent_difference_config_selectorILb0ElEEZNS1_24adjacent_difference_implIS3_Lb0ELb0EPlS7_ZN2at6native12_GLOBAL__N_124unique_dim_cuda_templateIN3c104HalfEEESt5tupleIJNS8_6TensorESF_SF_EERKSF_lbbbEUlllE1_EE10hipError_tPvRmT2_T3_mT4_P12ihipStream_tbEUlT_E_NS1_11comp_targetILNS1_3genE3ELNS1_11target_archE908ELNS1_3gpuE7ELNS1_3repE0EEENS1_30default_config_static_selectorELNS0_4arch9wavefront6targetE1EEEvT1_,@function
_ZN7rocprim17ROCPRIM_400000_NS6detail17trampoline_kernelINS0_14default_configENS1_35adjacent_difference_config_selectorILb0ElEEZNS1_24adjacent_difference_implIS3_Lb0ELb0EPlS7_ZN2at6native12_GLOBAL__N_124unique_dim_cuda_templateIN3c104HalfEEESt5tupleIJNS8_6TensorESF_SF_EERKSF_lbbbEUlllE1_EE10hipError_tPvRmT2_T3_mT4_P12ihipStream_tbEUlT_E_NS1_11comp_targetILNS1_3genE3ELNS1_11target_archE908ELNS1_3gpuE7ELNS1_3repE0EEENS1_30default_config_static_selectorELNS0_4arch9wavefront6targetE1EEEvT1_: ; @_ZN7rocprim17ROCPRIM_400000_NS6detail17trampoline_kernelINS0_14default_configENS1_35adjacent_difference_config_selectorILb0ElEEZNS1_24adjacent_difference_implIS3_Lb0ELb0EPlS7_ZN2at6native12_GLOBAL__N_124unique_dim_cuda_templateIN3c104HalfEEESt5tupleIJNS8_6TensorESF_SF_EERKSF_lbbbEUlllE1_EE10hipError_tPvRmT2_T3_mT4_P12ihipStream_tbEUlT_E_NS1_11comp_targetILNS1_3genE3ELNS1_11target_archE908ELNS1_3gpuE7ELNS1_3repE0EEENS1_30default_config_static_selectorELNS0_4arch9wavefront6targetE1EEEvT1_
; %bb.0:
	.section	.rodata,"a",@progbits
	.p2align	6, 0x0
	.amdhsa_kernel _ZN7rocprim17ROCPRIM_400000_NS6detail17trampoline_kernelINS0_14default_configENS1_35adjacent_difference_config_selectorILb0ElEEZNS1_24adjacent_difference_implIS3_Lb0ELb0EPlS7_ZN2at6native12_GLOBAL__N_124unique_dim_cuda_templateIN3c104HalfEEESt5tupleIJNS8_6TensorESF_SF_EERKSF_lbbbEUlllE1_EE10hipError_tPvRmT2_T3_mT4_P12ihipStream_tbEUlT_E_NS1_11comp_targetILNS1_3genE3ELNS1_11target_archE908ELNS1_3gpuE7ELNS1_3repE0EEENS1_30default_config_static_selectorELNS0_4arch9wavefront6targetE1EEEvT1_
		.amdhsa_group_segment_fixed_size 0
		.amdhsa_private_segment_fixed_size 0
		.amdhsa_kernarg_size 64
		.amdhsa_user_sgpr_count 6
		.amdhsa_user_sgpr_private_segment_buffer 1
		.amdhsa_user_sgpr_dispatch_ptr 0
		.amdhsa_user_sgpr_queue_ptr 0
		.amdhsa_user_sgpr_kernarg_segment_ptr 1
		.amdhsa_user_sgpr_dispatch_id 0
		.amdhsa_user_sgpr_flat_scratch_init 0
		.amdhsa_user_sgpr_kernarg_preload_length 0
		.amdhsa_user_sgpr_kernarg_preload_offset 0
		.amdhsa_user_sgpr_private_segment_size 0
		.amdhsa_uses_dynamic_stack 0
		.amdhsa_system_sgpr_private_segment_wavefront_offset 0
		.amdhsa_system_sgpr_workgroup_id_x 1
		.amdhsa_system_sgpr_workgroup_id_y 0
		.amdhsa_system_sgpr_workgroup_id_z 0
		.amdhsa_system_sgpr_workgroup_info 0
		.amdhsa_system_vgpr_workitem_id 0
		.amdhsa_next_free_vgpr 1
		.amdhsa_next_free_sgpr 0
		.amdhsa_accum_offset 4
		.amdhsa_reserve_vcc 0
		.amdhsa_reserve_flat_scratch 0
		.amdhsa_float_round_mode_32 0
		.amdhsa_float_round_mode_16_64 0
		.amdhsa_float_denorm_mode_32 3
		.amdhsa_float_denorm_mode_16_64 3
		.amdhsa_dx10_clamp 1
		.amdhsa_ieee_mode 1
		.amdhsa_fp16_overflow 0
		.amdhsa_tg_split 0
		.amdhsa_exception_fp_ieee_invalid_op 0
		.amdhsa_exception_fp_denorm_src 0
		.amdhsa_exception_fp_ieee_div_zero 0
		.amdhsa_exception_fp_ieee_overflow 0
		.amdhsa_exception_fp_ieee_underflow 0
		.amdhsa_exception_fp_ieee_inexact 0
		.amdhsa_exception_int_div_zero 0
	.end_amdhsa_kernel
	.section	.text._ZN7rocprim17ROCPRIM_400000_NS6detail17trampoline_kernelINS0_14default_configENS1_35adjacent_difference_config_selectorILb0ElEEZNS1_24adjacent_difference_implIS3_Lb0ELb0EPlS7_ZN2at6native12_GLOBAL__N_124unique_dim_cuda_templateIN3c104HalfEEESt5tupleIJNS8_6TensorESF_SF_EERKSF_lbbbEUlllE1_EE10hipError_tPvRmT2_T3_mT4_P12ihipStream_tbEUlT_E_NS1_11comp_targetILNS1_3genE3ELNS1_11target_archE908ELNS1_3gpuE7ELNS1_3repE0EEENS1_30default_config_static_selectorELNS0_4arch9wavefront6targetE1EEEvT1_,"axG",@progbits,_ZN7rocprim17ROCPRIM_400000_NS6detail17trampoline_kernelINS0_14default_configENS1_35adjacent_difference_config_selectorILb0ElEEZNS1_24adjacent_difference_implIS3_Lb0ELb0EPlS7_ZN2at6native12_GLOBAL__N_124unique_dim_cuda_templateIN3c104HalfEEESt5tupleIJNS8_6TensorESF_SF_EERKSF_lbbbEUlllE1_EE10hipError_tPvRmT2_T3_mT4_P12ihipStream_tbEUlT_E_NS1_11comp_targetILNS1_3genE3ELNS1_11target_archE908ELNS1_3gpuE7ELNS1_3repE0EEENS1_30default_config_static_selectorELNS0_4arch9wavefront6targetE1EEEvT1_,comdat
.Lfunc_end1274:
	.size	_ZN7rocprim17ROCPRIM_400000_NS6detail17trampoline_kernelINS0_14default_configENS1_35adjacent_difference_config_selectorILb0ElEEZNS1_24adjacent_difference_implIS3_Lb0ELb0EPlS7_ZN2at6native12_GLOBAL__N_124unique_dim_cuda_templateIN3c104HalfEEESt5tupleIJNS8_6TensorESF_SF_EERKSF_lbbbEUlllE1_EE10hipError_tPvRmT2_T3_mT4_P12ihipStream_tbEUlT_E_NS1_11comp_targetILNS1_3genE3ELNS1_11target_archE908ELNS1_3gpuE7ELNS1_3repE0EEENS1_30default_config_static_selectorELNS0_4arch9wavefront6targetE1EEEvT1_, .Lfunc_end1274-_ZN7rocprim17ROCPRIM_400000_NS6detail17trampoline_kernelINS0_14default_configENS1_35adjacent_difference_config_selectorILb0ElEEZNS1_24adjacent_difference_implIS3_Lb0ELb0EPlS7_ZN2at6native12_GLOBAL__N_124unique_dim_cuda_templateIN3c104HalfEEESt5tupleIJNS8_6TensorESF_SF_EERKSF_lbbbEUlllE1_EE10hipError_tPvRmT2_T3_mT4_P12ihipStream_tbEUlT_E_NS1_11comp_targetILNS1_3genE3ELNS1_11target_archE908ELNS1_3gpuE7ELNS1_3repE0EEENS1_30default_config_static_selectorELNS0_4arch9wavefront6targetE1EEEvT1_
                                        ; -- End function
	.section	.AMDGPU.csdata,"",@progbits
; Kernel info:
; codeLenInByte = 0
; NumSgprs: 4
; NumVgprs: 0
; NumAgprs: 0
; TotalNumVgprs: 0
; ScratchSize: 0
; MemoryBound: 0
; FloatMode: 240
; IeeeMode: 1
; LDSByteSize: 0 bytes/workgroup (compile time only)
; SGPRBlocks: 0
; VGPRBlocks: 0
; NumSGPRsForWavesPerEU: 4
; NumVGPRsForWavesPerEU: 1
; AccumOffset: 4
; Occupancy: 8
; WaveLimiterHint : 0
; COMPUTE_PGM_RSRC2:SCRATCH_EN: 0
; COMPUTE_PGM_RSRC2:USER_SGPR: 6
; COMPUTE_PGM_RSRC2:TRAP_HANDLER: 0
; COMPUTE_PGM_RSRC2:TGID_X_EN: 1
; COMPUTE_PGM_RSRC2:TGID_Y_EN: 0
; COMPUTE_PGM_RSRC2:TGID_Z_EN: 0
; COMPUTE_PGM_RSRC2:TIDIG_COMP_CNT: 0
; COMPUTE_PGM_RSRC3_GFX90A:ACCUM_OFFSET: 0
; COMPUTE_PGM_RSRC3_GFX90A:TG_SPLIT: 0
	.section	.text._ZN7rocprim17ROCPRIM_400000_NS6detail17trampoline_kernelINS0_14default_configENS1_35adjacent_difference_config_selectorILb0ElEEZNS1_24adjacent_difference_implIS3_Lb0ELb0EPlS7_ZN2at6native12_GLOBAL__N_124unique_dim_cuda_templateIN3c104HalfEEESt5tupleIJNS8_6TensorESF_SF_EERKSF_lbbbEUlllE1_EE10hipError_tPvRmT2_T3_mT4_P12ihipStream_tbEUlT_E_NS1_11comp_targetILNS1_3genE2ELNS1_11target_archE906ELNS1_3gpuE6ELNS1_3repE0EEENS1_30default_config_static_selectorELNS0_4arch9wavefront6targetE1EEEvT1_,"axG",@progbits,_ZN7rocprim17ROCPRIM_400000_NS6detail17trampoline_kernelINS0_14default_configENS1_35adjacent_difference_config_selectorILb0ElEEZNS1_24adjacent_difference_implIS3_Lb0ELb0EPlS7_ZN2at6native12_GLOBAL__N_124unique_dim_cuda_templateIN3c104HalfEEESt5tupleIJNS8_6TensorESF_SF_EERKSF_lbbbEUlllE1_EE10hipError_tPvRmT2_T3_mT4_P12ihipStream_tbEUlT_E_NS1_11comp_targetILNS1_3genE2ELNS1_11target_archE906ELNS1_3gpuE6ELNS1_3repE0EEENS1_30default_config_static_selectorELNS0_4arch9wavefront6targetE1EEEvT1_,comdat
	.globl	_ZN7rocprim17ROCPRIM_400000_NS6detail17trampoline_kernelINS0_14default_configENS1_35adjacent_difference_config_selectorILb0ElEEZNS1_24adjacent_difference_implIS3_Lb0ELb0EPlS7_ZN2at6native12_GLOBAL__N_124unique_dim_cuda_templateIN3c104HalfEEESt5tupleIJNS8_6TensorESF_SF_EERKSF_lbbbEUlllE1_EE10hipError_tPvRmT2_T3_mT4_P12ihipStream_tbEUlT_E_NS1_11comp_targetILNS1_3genE2ELNS1_11target_archE906ELNS1_3gpuE6ELNS1_3repE0EEENS1_30default_config_static_selectorELNS0_4arch9wavefront6targetE1EEEvT1_ ; -- Begin function _ZN7rocprim17ROCPRIM_400000_NS6detail17trampoline_kernelINS0_14default_configENS1_35adjacent_difference_config_selectorILb0ElEEZNS1_24adjacent_difference_implIS3_Lb0ELb0EPlS7_ZN2at6native12_GLOBAL__N_124unique_dim_cuda_templateIN3c104HalfEEESt5tupleIJNS8_6TensorESF_SF_EERKSF_lbbbEUlllE1_EE10hipError_tPvRmT2_T3_mT4_P12ihipStream_tbEUlT_E_NS1_11comp_targetILNS1_3genE2ELNS1_11target_archE906ELNS1_3gpuE6ELNS1_3repE0EEENS1_30default_config_static_selectorELNS0_4arch9wavefront6targetE1EEEvT1_
	.p2align	8
	.type	_ZN7rocprim17ROCPRIM_400000_NS6detail17trampoline_kernelINS0_14default_configENS1_35adjacent_difference_config_selectorILb0ElEEZNS1_24adjacent_difference_implIS3_Lb0ELb0EPlS7_ZN2at6native12_GLOBAL__N_124unique_dim_cuda_templateIN3c104HalfEEESt5tupleIJNS8_6TensorESF_SF_EERKSF_lbbbEUlllE1_EE10hipError_tPvRmT2_T3_mT4_P12ihipStream_tbEUlT_E_NS1_11comp_targetILNS1_3genE2ELNS1_11target_archE906ELNS1_3gpuE6ELNS1_3repE0EEENS1_30default_config_static_selectorELNS0_4arch9wavefront6targetE1EEEvT1_,@function
_ZN7rocprim17ROCPRIM_400000_NS6detail17trampoline_kernelINS0_14default_configENS1_35adjacent_difference_config_selectorILb0ElEEZNS1_24adjacent_difference_implIS3_Lb0ELb0EPlS7_ZN2at6native12_GLOBAL__N_124unique_dim_cuda_templateIN3c104HalfEEESt5tupleIJNS8_6TensorESF_SF_EERKSF_lbbbEUlllE1_EE10hipError_tPvRmT2_T3_mT4_P12ihipStream_tbEUlT_E_NS1_11comp_targetILNS1_3genE2ELNS1_11target_archE906ELNS1_3gpuE6ELNS1_3repE0EEENS1_30default_config_static_selectorELNS0_4arch9wavefront6targetE1EEEvT1_: ; @_ZN7rocprim17ROCPRIM_400000_NS6detail17trampoline_kernelINS0_14default_configENS1_35adjacent_difference_config_selectorILb0ElEEZNS1_24adjacent_difference_implIS3_Lb0ELb0EPlS7_ZN2at6native12_GLOBAL__N_124unique_dim_cuda_templateIN3c104HalfEEESt5tupleIJNS8_6TensorESF_SF_EERKSF_lbbbEUlllE1_EE10hipError_tPvRmT2_T3_mT4_P12ihipStream_tbEUlT_E_NS1_11comp_targetILNS1_3genE2ELNS1_11target_archE906ELNS1_3gpuE6ELNS1_3repE0EEENS1_30default_config_static_selectorELNS0_4arch9wavefront6targetE1EEEvT1_
; %bb.0:
	.section	.rodata,"a",@progbits
	.p2align	6, 0x0
	.amdhsa_kernel _ZN7rocprim17ROCPRIM_400000_NS6detail17trampoline_kernelINS0_14default_configENS1_35adjacent_difference_config_selectorILb0ElEEZNS1_24adjacent_difference_implIS3_Lb0ELb0EPlS7_ZN2at6native12_GLOBAL__N_124unique_dim_cuda_templateIN3c104HalfEEESt5tupleIJNS8_6TensorESF_SF_EERKSF_lbbbEUlllE1_EE10hipError_tPvRmT2_T3_mT4_P12ihipStream_tbEUlT_E_NS1_11comp_targetILNS1_3genE2ELNS1_11target_archE906ELNS1_3gpuE6ELNS1_3repE0EEENS1_30default_config_static_selectorELNS0_4arch9wavefront6targetE1EEEvT1_
		.amdhsa_group_segment_fixed_size 0
		.amdhsa_private_segment_fixed_size 0
		.amdhsa_kernarg_size 64
		.amdhsa_user_sgpr_count 6
		.amdhsa_user_sgpr_private_segment_buffer 1
		.amdhsa_user_sgpr_dispatch_ptr 0
		.amdhsa_user_sgpr_queue_ptr 0
		.amdhsa_user_sgpr_kernarg_segment_ptr 1
		.amdhsa_user_sgpr_dispatch_id 0
		.amdhsa_user_sgpr_flat_scratch_init 0
		.amdhsa_user_sgpr_kernarg_preload_length 0
		.amdhsa_user_sgpr_kernarg_preload_offset 0
		.amdhsa_user_sgpr_private_segment_size 0
		.amdhsa_uses_dynamic_stack 0
		.amdhsa_system_sgpr_private_segment_wavefront_offset 0
		.amdhsa_system_sgpr_workgroup_id_x 1
		.amdhsa_system_sgpr_workgroup_id_y 0
		.amdhsa_system_sgpr_workgroup_id_z 0
		.amdhsa_system_sgpr_workgroup_info 0
		.amdhsa_system_vgpr_workitem_id 0
		.amdhsa_next_free_vgpr 1
		.amdhsa_next_free_sgpr 0
		.amdhsa_accum_offset 4
		.amdhsa_reserve_vcc 0
		.amdhsa_reserve_flat_scratch 0
		.amdhsa_float_round_mode_32 0
		.amdhsa_float_round_mode_16_64 0
		.amdhsa_float_denorm_mode_32 3
		.amdhsa_float_denorm_mode_16_64 3
		.amdhsa_dx10_clamp 1
		.amdhsa_ieee_mode 1
		.amdhsa_fp16_overflow 0
		.amdhsa_tg_split 0
		.amdhsa_exception_fp_ieee_invalid_op 0
		.amdhsa_exception_fp_denorm_src 0
		.amdhsa_exception_fp_ieee_div_zero 0
		.amdhsa_exception_fp_ieee_overflow 0
		.amdhsa_exception_fp_ieee_underflow 0
		.amdhsa_exception_fp_ieee_inexact 0
		.amdhsa_exception_int_div_zero 0
	.end_amdhsa_kernel
	.section	.text._ZN7rocprim17ROCPRIM_400000_NS6detail17trampoline_kernelINS0_14default_configENS1_35adjacent_difference_config_selectorILb0ElEEZNS1_24adjacent_difference_implIS3_Lb0ELb0EPlS7_ZN2at6native12_GLOBAL__N_124unique_dim_cuda_templateIN3c104HalfEEESt5tupleIJNS8_6TensorESF_SF_EERKSF_lbbbEUlllE1_EE10hipError_tPvRmT2_T3_mT4_P12ihipStream_tbEUlT_E_NS1_11comp_targetILNS1_3genE2ELNS1_11target_archE906ELNS1_3gpuE6ELNS1_3repE0EEENS1_30default_config_static_selectorELNS0_4arch9wavefront6targetE1EEEvT1_,"axG",@progbits,_ZN7rocprim17ROCPRIM_400000_NS6detail17trampoline_kernelINS0_14default_configENS1_35adjacent_difference_config_selectorILb0ElEEZNS1_24adjacent_difference_implIS3_Lb0ELb0EPlS7_ZN2at6native12_GLOBAL__N_124unique_dim_cuda_templateIN3c104HalfEEESt5tupleIJNS8_6TensorESF_SF_EERKSF_lbbbEUlllE1_EE10hipError_tPvRmT2_T3_mT4_P12ihipStream_tbEUlT_E_NS1_11comp_targetILNS1_3genE2ELNS1_11target_archE906ELNS1_3gpuE6ELNS1_3repE0EEENS1_30default_config_static_selectorELNS0_4arch9wavefront6targetE1EEEvT1_,comdat
.Lfunc_end1275:
	.size	_ZN7rocprim17ROCPRIM_400000_NS6detail17trampoline_kernelINS0_14default_configENS1_35adjacent_difference_config_selectorILb0ElEEZNS1_24adjacent_difference_implIS3_Lb0ELb0EPlS7_ZN2at6native12_GLOBAL__N_124unique_dim_cuda_templateIN3c104HalfEEESt5tupleIJNS8_6TensorESF_SF_EERKSF_lbbbEUlllE1_EE10hipError_tPvRmT2_T3_mT4_P12ihipStream_tbEUlT_E_NS1_11comp_targetILNS1_3genE2ELNS1_11target_archE906ELNS1_3gpuE6ELNS1_3repE0EEENS1_30default_config_static_selectorELNS0_4arch9wavefront6targetE1EEEvT1_, .Lfunc_end1275-_ZN7rocprim17ROCPRIM_400000_NS6detail17trampoline_kernelINS0_14default_configENS1_35adjacent_difference_config_selectorILb0ElEEZNS1_24adjacent_difference_implIS3_Lb0ELb0EPlS7_ZN2at6native12_GLOBAL__N_124unique_dim_cuda_templateIN3c104HalfEEESt5tupleIJNS8_6TensorESF_SF_EERKSF_lbbbEUlllE1_EE10hipError_tPvRmT2_T3_mT4_P12ihipStream_tbEUlT_E_NS1_11comp_targetILNS1_3genE2ELNS1_11target_archE906ELNS1_3gpuE6ELNS1_3repE0EEENS1_30default_config_static_selectorELNS0_4arch9wavefront6targetE1EEEvT1_
                                        ; -- End function
	.section	.AMDGPU.csdata,"",@progbits
; Kernel info:
; codeLenInByte = 0
; NumSgprs: 4
; NumVgprs: 0
; NumAgprs: 0
; TotalNumVgprs: 0
; ScratchSize: 0
; MemoryBound: 0
; FloatMode: 240
; IeeeMode: 1
; LDSByteSize: 0 bytes/workgroup (compile time only)
; SGPRBlocks: 0
; VGPRBlocks: 0
; NumSGPRsForWavesPerEU: 4
; NumVGPRsForWavesPerEU: 1
; AccumOffset: 4
; Occupancy: 8
; WaveLimiterHint : 0
; COMPUTE_PGM_RSRC2:SCRATCH_EN: 0
; COMPUTE_PGM_RSRC2:USER_SGPR: 6
; COMPUTE_PGM_RSRC2:TRAP_HANDLER: 0
; COMPUTE_PGM_RSRC2:TGID_X_EN: 1
; COMPUTE_PGM_RSRC2:TGID_Y_EN: 0
; COMPUTE_PGM_RSRC2:TGID_Z_EN: 0
; COMPUTE_PGM_RSRC2:TIDIG_COMP_CNT: 0
; COMPUTE_PGM_RSRC3_GFX90A:ACCUM_OFFSET: 0
; COMPUTE_PGM_RSRC3_GFX90A:TG_SPLIT: 0
	.section	.text._ZN7rocprim17ROCPRIM_400000_NS6detail17trampoline_kernelINS0_14default_configENS1_35adjacent_difference_config_selectorILb0ElEEZNS1_24adjacent_difference_implIS3_Lb0ELb0EPlS7_ZN2at6native12_GLOBAL__N_124unique_dim_cuda_templateIN3c104HalfEEESt5tupleIJNS8_6TensorESF_SF_EERKSF_lbbbEUlllE1_EE10hipError_tPvRmT2_T3_mT4_P12ihipStream_tbEUlT_E_NS1_11comp_targetILNS1_3genE9ELNS1_11target_archE1100ELNS1_3gpuE3ELNS1_3repE0EEENS1_30default_config_static_selectorELNS0_4arch9wavefront6targetE1EEEvT1_,"axG",@progbits,_ZN7rocprim17ROCPRIM_400000_NS6detail17trampoline_kernelINS0_14default_configENS1_35adjacent_difference_config_selectorILb0ElEEZNS1_24adjacent_difference_implIS3_Lb0ELb0EPlS7_ZN2at6native12_GLOBAL__N_124unique_dim_cuda_templateIN3c104HalfEEESt5tupleIJNS8_6TensorESF_SF_EERKSF_lbbbEUlllE1_EE10hipError_tPvRmT2_T3_mT4_P12ihipStream_tbEUlT_E_NS1_11comp_targetILNS1_3genE9ELNS1_11target_archE1100ELNS1_3gpuE3ELNS1_3repE0EEENS1_30default_config_static_selectorELNS0_4arch9wavefront6targetE1EEEvT1_,comdat
	.globl	_ZN7rocprim17ROCPRIM_400000_NS6detail17trampoline_kernelINS0_14default_configENS1_35adjacent_difference_config_selectorILb0ElEEZNS1_24adjacent_difference_implIS3_Lb0ELb0EPlS7_ZN2at6native12_GLOBAL__N_124unique_dim_cuda_templateIN3c104HalfEEESt5tupleIJNS8_6TensorESF_SF_EERKSF_lbbbEUlllE1_EE10hipError_tPvRmT2_T3_mT4_P12ihipStream_tbEUlT_E_NS1_11comp_targetILNS1_3genE9ELNS1_11target_archE1100ELNS1_3gpuE3ELNS1_3repE0EEENS1_30default_config_static_selectorELNS0_4arch9wavefront6targetE1EEEvT1_ ; -- Begin function _ZN7rocprim17ROCPRIM_400000_NS6detail17trampoline_kernelINS0_14default_configENS1_35adjacent_difference_config_selectorILb0ElEEZNS1_24adjacent_difference_implIS3_Lb0ELb0EPlS7_ZN2at6native12_GLOBAL__N_124unique_dim_cuda_templateIN3c104HalfEEESt5tupleIJNS8_6TensorESF_SF_EERKSF_lbbbEUlllE1_EE10hipError_tPvRmT2_T3_mT4_P12ihipStream_tbEUlT_E_NS1_11comp_targetILNS1_3genE9ELNS1_11target_archE1100ELNS1_3gpuE3ELNS1_3repE0EEENS1_30default_config_static_selectorELNS0_4arch9wavefront6targetE1EEEvT1_
	.p2align	8
	.type	_ZN7rocprim17ROCPRIM_400000_NS6detail17trampoline_kernelINS0_14default_configENS1_35adjacent_difference_config_selectorILb0ElEEZNS1_24adjacent_difference_implIS3_Lb0ELb0EPlS7_ZN2at6native12_GLOBAL__N_124unique_dim_cuda_templateIN3c104HalfEEESt5tupleIJNS8_6TensorESF_SF_EERKSF_lbbbEUlllE1_EE10hipError_tPvRmT2_T3_mT4_P12ihipStream_tbEUlT_E_NS1_11comp_targetILNS1_3genE9ELNS1_11target_archE1100ELNS1_3gpuE3ELNS1_3repE0EEENS1_30default_config_static_selectorELNS0_4arch9wavefront6targetE1EEEvT1_,@function
_ZN7rocprim17ROCPRIM_400000_NS6detail17trampoline_kernelINS0_14default_configENS1_35adjacent_difference_config_selectorILb0ElEEZNS1_24adjacent_difference_implIS3_Lb0ELb0EPlS7_ZN2at6native12_GLOBAL__N_124unique_dim_cuda_templateIN3c104HalfEEESt5tupleIJNS8_6TensorESF_SF_EERKSF_lbbbEUlllE1_EE10hipError_tPvRmT2_T3_mT4_P12ihipStream_tbEUlT_E_NS1_11comp_targetILNS1_3genE9ELNS1_11target_archE1100ELNS1_3gpuE3ELNS1_3repE0EEENS1_30default_config_static_selectorELNS0_4arch9wavefront6targetE1EEEvT1_: ; @_ZN7rocprim17ROCPRIM_400000_NS6detail17trampoline_kernelINS0_14default_configENS1_35adjacent_difference_config_selectorILb0ElEEZNS1_24adjacent_difference_implIS3_Lb0ELb0EPlS7_ZN2at6native12_GLOBAL__N_124unique_dim_cuda_templateIN3c104HalfEEESt5tupleIJNS8_6TensorESF_SF_EERKSF_lbbbEUlllE1_EE10hipError_tPvRmT2_T3_mT4_P12ihipStream_tbEUlT_E_NS1_11comp_targetILNS1_3genE9ELNS1_11target_archE1100ELNS1_3gpuE3ELNS1_3repE0EEENS1_30default_config_static_selectorELNS0_4arch9wavefront6targetE1EEEvT1_
; %bb.0:
	.section	.rodata,"a",@progbits
	.p2align	6, 0x0
	.amdhsa_kernel _ZN7rocprim17ROCPRIM_400000_NS6detail17trampoline_kernelINS0_14default_configENS1_35adjacent_difference_config_selectorILb0ElEEZNS1_24adjacent_difference_implIS3_Lb0ELb0EPlS7_ZN2at6native12_GLOBAL__N_124unique_dim_cuda_templateIN3c104HalfEEESt5tupleIJNS8_6TensorESF_SF_EERKSF_lbbbEUlllE1_EE10hipError_tPvRmT2_T3_mT4_P12ihipStream_tbEUlT_E_NS1_11comp_targetILNS1_3genE9ELNS1_11target_archE1100ELNS1_3gpuE3ELNS1_3repE0EEENS1_30default_config_static_selectorELNS0_4arch9wavefront6targetE1EEEvT1_
		.amdhsa_group_segment_fixed_size 0
		.amdhsa_private_segment_fixed_size 0
		.amdhsa_kernarg_size 64
		.amdhsa_user_sgpr_count 6
		.amdhsa_user_sgpr_private_segment_buffer 1
		.amdhsa_user_sgpr_dispatch_ptr 0
		.amdhsa_user_sgpr_queue_ptr 0
		.amdhsa_user_sgpr_kernarg_segment_ptr 1
		.amdhsa_user_sgpr_dispatch_id 0
		.amdhsa_user_sgpr_flat_scratch_init 0
		.amdhsa_user_sgpr_kernarg_preload_length 0
		.amdhsa_user_sgpr_kernarg_preload_offset 0
		.amdhsa_user_sgpr_private_segment_size 0
		.amdhsa_uses_dynamic_stack 0
		.amdhsa_system_sgpr_private_segment_wavefront_offset 0
		.amdhsa_system_sgpr_workgroup_id_x 1
		.amdhsa_system_sgpr_workgroup_id_y 0
		.amdhsa_system_sgpr_workgroup_id_z 0
		.amdhsa_system_sgpr_workgroup_info 0
		.amdhsa_system_vgpr_workitem_id 0
		.amdhsa_next_free_vgpr 1
		.amdhsa_next_free_sgpr 0
		.amdhsa_accum_offset 4
		.amdhsa_reserve_vcc 0
		.amdhsa_reserve_flat_scratch 0
		.amdhsa_float_round_mode_32 0
		.amdhsa_float_round_mode_16_64 0
		.amdhsa_float_denorm_mode_32 3
		.amdhsa_float_denorm_mode_16_64 3
		.amdhsa_dx10_clamp 1
		.amdhsa_ieee_mode 1
		.amdhsa_fp16_overflow 0
		.amdhsa_tg_split 0
		.amdhsa_exception_fp_ieee_invalid_op 0
		.amdhsa_exception_fp_denorm_src 0
		.amdhsa_exception_fp_ieee_div_zero 0
		.amdhsa_exception_fp_ieee_overflow 0
		.amdhsa_exception_fp_ieee_underflow 0
		.amdhsa_exception_fp_ieee_inexact 0
		.amdhsa_exception_int_div_zero 0
	.end_amdhsa_kernel
	.section	.text._ZN7rocprim17ROCPRIM_400000_NS6detail17trampoline_kernelINS0_14default_configENS1_35adjacent_difference_config_selectorILb0ElEEZNS1_24adjacent_difference_implIS3_Lb0ELb0EPlS7_ZN2at6native12_GLOBAL__N_124unique_dim_cuda_templateIN3c104HalfEEESt5tupleIJNS8_6TensorESF_SF_EERKSF_lbbbEUlllE1_EE10hipError_tPvRmT2_T3_mT4_P12ihipStream_tbEUlT_E_NS1_11comp_targetILNS1_3genE9ELNS1_11target_archE1100ELNS1_3gpuE3ELNS1_3repE0EEENS1_30default_config_static_selectorELNS0_4arch9wavefront6targetE1EEEvT1_,"axG",@progbits,_ZN7rocprim17ROCPRIM_400000_NS6detail17trampoline_kernelINS0_14default_configENS1_35adjacent_difference_config_selectorILb0ElEEZNS1_24adjacent_difference_implIS3_Lb0ELb0EPlS7_ZN2at6native12_GLOBAL__N_124unique_dim_cuda_templateIN3c104HalfEEESt5tupleIJNS8_6TensorESF_SF_EERKSF_lbbbEUlllE1_EE10hipError_tPvRmT2_T3_mT4_P12ihipStream_tbEUlT_E_NS1_11comp_targetILNS1_3genE9ELNS1_11target_archE1100ELNS1_3gpuE3ELNS1_3repE0EEENS1_30default_config_static_selectorELNS0_4arch9wavefront6targetE1EEEvT1_,comdat
.Lfunc_end1276:
	.size	_ZN7rocprim17ROCPRIM_400000_NS6detail17trampoline_kernelINS0_14default_configENS1_35adjacent_difference_config_selectorILb0ElEEZNS1_24adjacent_difference_implIS3_Lb0ELb0EPlS7_ZN2at6native12_GLOBAL__N_124unique_dim_cuda_templateIN3c104HalfEEESt5tupleIJNS8_6TensorESF_SF_EERKSF_lbbbEUlllE1_EE10hipError_tPvRmT2_T3_mT4_P12ihipStream_tbEUlT_E_NS1_11comp_targetILNS1_3genE9ELNS1_11target_archE1100ELNS1_3gpuE3ELNS1_3repE0EEENS1_30default_config_static_selectorELNS0_4arch9wavefront6targetE1EEEvT1_, .Lfunc_end1276-_ZN7rocprim17ROCPRIM_400000_NS6detail17trampoline_kernelINS0_14default_configENS1_35adjacent_difference_config_selectorILb0ElEEZNS1_24adjacent_difference_implIS3_Lb0ELb0EPlS7_ZN2at6native12_GLOBAL__N_124unique_dim_cuda_templateIN3c104HalfEEESt5tupleIJNS8_6TensorESF_SF_EERKSF_lbbbEUlllE1_EE10hipError_tPvRmT2_T3_mT4_P12ihipStream_tbEUlT_E_NS1_11comp_targetILNS1_3genE9ELNS1_11target_archE1100ELNS1_3gpuE3ELNS1_3repE0EEENS1_30default_config_static_selectorELNS0_4arch9wavefront6targetE1EEEvT1_
                                        ; -- End function
	.section	.AMDGPU.csdata,"",@progbits
; Kernel info:
; codeLenInByte = 0
; NumSgprs: 4
; NumVgprs: 0
; NumAgprs: 0
; TotalNumVgprs: 0
; ScratchSize: 0
; MemoryBound: 0
; FloatMode: 240
; IeeeMode: 1
; LDSByteSize: 0 bytes/workgroup (compile time only)
; SGPRBlocks: 0
; VGPRBlocks: 0
; NumSGPRsForWavesPerEU: 4
; NumVGPRsForWavesPerEU: 1
; AccumOffset: 4
; Occupancy: 8
; WaveLimiterHint : 0
; COMPUTE_PGM_RSRC2:SCRATCH_EN: 0
; COMPUTE_PGM_RSRC2:USER_SGPR: 6
; COMPUTE_PGM_RSRC2:TRAP_HANDLER: 0
; COMPUTE_PGM_RSRC2:TGID_X_EN: 1
; COMPUTE_PGM_RSRC2:TGID_Y_EN: 0
; COMPUTE_PGM_RSRC2:TGID_Z_EN: 0
; COMPUTE_PGM_RSRC2:TIDIG_COMP_CNT: 0
; COMPUTE_PGM_RSRC3_GFX90A:ACCUM_OFFSET: 0
; COMPUTE_PGM_RSRC3_GFX90A:TG_SPLIT: 0
	.section	.text._ZN7rocprim17ROCPRIM_400000_NS6detail17trampoline_kernelINS0_14default_configENS1_35adjacent_difference_config_selectorILb0ElEEZNS1_24adjacent_difference_implIS3_Lb0ELb0EPlS7_ZN2at6native12_GLOBAL__N_124unique_dim_cuda_templateIN3c104HalfEEESt5tupleIJNS8_6TensorESF_SF_EERKSF_lbbbEUlllE1_EE10hipError_tPvRmT2_T3_mT4_P12ihipStream_tbEUlT_E_NS1_11comp_targetILNS1_3genE8ELNS1_11target_archE1030ELNS1_3gpuE2ELNS1_3repE0EEENS1_30default_config_static_selectorELNS0_4arch9wavefront6targetE1EEEvT1_,"axG",@progbits,_ZN7rocprim17ROCPRIM_400000_NS6detail17trampoline_kernelINS0_14default_configENS1_35adjacent_difference_config_selectorILb0ElEEZNS1_24adjacent_difference_implIS3_Lb0ELb0EPlS7_ZN2at6native12_GLOBAL__N_124unique_dim_cuda_templateIN3c104HalfEEESt5tupleIJNS8_6TensorESF_SF_EERKSF_lbbbEUlllE1_EE10hipError_tPvRmT2_T3_mT4_P12ihipStream_tbEUlT_E_NS1_11comp_targetILNS1_3genE8ELNS1_11target_archE1030ELNS1_3gpuE2ELNS1_3repE0EEENS1_30default_config_static_selectorELNS0_4arch9wavefront6targetE1EEEvT1_,comdat
	.globl	_ZN7rocprim17ROCPRIM_400000_NS6detail17trampoline_kernelINS0_14default_configENS1_35adjacent_difference_config_selectorILb0ElEEZNS1_24adjacent_difference_implIS3_Lb0ELb0EPlS7_ZN2at6native12_GLOBAL__N_124unique_dim_cuda_templateIN3c104HalfEEESt5tupleIJNS8_6TensorESF_SF_EERKSF_lbbbEUlllE1_EE10hipError_tPvRmT2_T3_mT4_P12ihipStream_tbEUlT_E_NS1_11comp_targetILNS1_3genE8ELNS1_11target_archE1030ELNS1_3gpuE2ELNS1_3repE0EEENS1_30default_config_static_selectorELNS0_4arch9wavefront6targetE1EEEvT1_ ; -- Begin function _ZN7rocprim17ROCPRIM_400000_NS6detail17trampoline_kernelINS0_14default_configENS1_35adjacent_difference_config_selectorILb0ElEEZNS1_24adjacent_difference_implIS3_Lb0ELb0EPlS7_ZN2at6native12_GLOBAL__N_124unique_dim_cuda_templateIN3c104HalfEEESt5tupleIJNS8_6TensorESF_SF_EERKSF_lbbbEUlllE1_EE10hipError_tPvRmT2_T3_mT4_P12ihipStream_tbEUlT_E_NS1_11comp_targetILNS1_3genE8ELNS1_11target_archE1030ELNS1_3gpuE2ELNS1_3repE0EEENS1_30default_config_static_selectorELNS0_4arch9wavefront6targetE1EEEvT1_
	.p2align	8
	.type	_ZN7rocprim17ROCPRIM_400000_NS6detail17trampoline_kernelINS0_14default_configENS1_35adjacent_difference_config_selectorILb0ElEEZNS1_24adjacent_difference_implIS3_Lb0ELb0EPlS7_ZN2at6native12_GLOBAL__N_124unique_dim_cuda_templateIN3c104HalfEEESt5tupleIJNS8_6TensorESF_SF_EERKSF_lbbbEUlllE1_EE10hipError_tPvRmT2_T3_mT4_P12ihipStream_tbEUlT_E_NS1_11comp_targetILNS1_3genE8ELNS1_11target_archE1030ELNS1_3gpuE2ELNS1_3repE0EEENS1_30default_config_static_selectorELNS0_4arch9wavefront6targetE1EEEvT1_,@function
_ZN7rocprim17ROCPRIM_400000_NS6detail17trampoline_kernelINS0_14default_configENS1_35adjacent_difference_config_selectorILb0ElEEZNS1_24adjacent_difference_implIS3_Lb0ELb0EPlS7_ZN2at6native12_GLOBAL__N_124unique_dim_cuda_templateIN3c104HalfEEESt5tupleIJNS8_6TensorESF_SF_EERKSF_lbbbEUlllE1_EE10hipError_tPvRmT2_T3_mT4_P12ihipStream_tbEUlT_E_NS1_11comp_targetILNS1_3genE8ELNS1_11target_archE1030ELNS1_3gpuE2ELNS1_3repE0EEENS1_30default_config_static_selectorELNS0_4arch9wavefront6targetE1EEEvT1_: ; @_ZN7rocprim17ROCPRIM_400000_NS6detail17trampoline_kernelINS0_14default_configENS1_35adjacent_difference_config_selectorILb0ElEEZNS1_24adjacent_difference_implIS3_Lb0ELb0EPlS7_ZN2at6native12_GLOBAL__N_124unique_dim_cuda_templateIN3c104HalfEEESt5tupleIJNS8_6TensorESF_SF_EERKSF_lbbbEUlllE1_EE10hipError_tPvRmT2_T3_mT4_P12ihipStream_tbEUlT_E_NS1_11comp_targetILNS1_3genE8ELNS1_11target_archE1030ELNS1_3gpuE2ELNS1_3repE0EEENS1_30default_config_static_selectorELNS0_4arch9wavefront6targetE1EEEvT1_
; %bb.0:
	.section	.rodata,"a",@progbits
	.p2align	6, 0x0
	.amdhsa_kernel _ZN7rocprim17ROCPRIM_400000_NS6detail17trampoline_kernelINS0_14default_configENS1_35adjacent_difference_config_selectorILb0ElEEZNS1_24adjacent_difference_implIS3_Lb0ELb0EPlS7_ZN2at6native12_GLOBAL__N_124unique_dim_cuda_templateIN3c104HalfEEESt5tupleIJNS8_6TensorESF_SF_EERKSF_lbbbEUlllE1_EE10hipError_tPvRmT2_T3_mT4_P12ihipStream_tbEUlT_E_NS1_11comp_targetILNS1_3genE8ELNS1_11target_archE1030ELNS1_3gpuE2ELNS1_3repE0EEENS1_30default_config_static_selectorELNS0_4arch9wavefront6targetE1EEEvT1_
		.amdhsa_group_segment_fixed_size 0
		.amdhsa_private_segment_fixed_size 0
		.amdhsa_kernarg_size 64
		.amdhsa_user_sgpr_count 6
		.amdhsa_user_sgpr_private_segment_buffer 1
		.amdhsa_user_sgpr_dispatch_ptr 0
		.amdhsa_user_sgpr_queue_ptr 0
		.amdhsa_user_sgpr_kernarg_segment_ptr 1
		.amdhsa_user_sgpr_dispatch_id 0
		.amdhsa_user_sgpr_flat_scratch_init 0
		.amdhsa_user_sgpr_kernarg_preload_length 0
		.amdhsa_user_sgpr_kernarg_preload_offset 0
		.amdhsa_user_sgpr_private_segment_size 0
		.amdhsa_uses_dynamic_stack 0
		.amdhsa_system_sgpr_private_segment_wavefront_offset 0
		.amdhsa_system_sgpr_workgroup_id_x 1
		.amdhsa_system_sgpr_workgroup_id_y 0
		.amdhsa_system_sgpr_workgroup_id_z 0
		.amdhsa_system_sgpr_workgroup_info 0
		.amdhsa_system_vgpr_workitem_id 0
		.amdhsa_next_free_vgpr 1
		.amdhsa_next_free_sgpr 0
		.amdhsa_accum_offset 4
		.amdhsa_reserve_vcc 0
		.amdhsa_reserve_flat_scratch 0
		.amdhsa_float_round_mode_32 0
		.amdhsa_float_round_mode_16_64 0
		.amdhsa_float_denorm_mode_32 3
		.amdhsa_float_denorm_mode_16_64 3
		.amdhsa_dx10_clamp 1
		.amdhsa_ieee_mode 1
		.amdhsa_fp16_overflow 0
		.amdhsa_tg_split 0
		.amdhsa_exception_fp_ieee_invalid_op 0
		.amdhsa_exception_fp_denorm_src 0
		.amdhsa_exception_fp_ieee_div_zero 0
		.amdhsa_exception_fp_ieee_overflow 0
		.amdhsa_exception_fp_ieee_underflow 0
		.amdhsa_exception_fp_ieee_inexact 0
		.amdhsa_exception_int_div_zero 0
	.end_amdhsa_kernel
	.section	.text._ZN7rocprim17ROCPRIM_400000_NS6detail17trampoline_kernelINS0_14default_configENS1_35adjacent_difference_config_selectorILb0ElEEZNS1_24adjacent_difference_implIS3_Lb0ELb0EPlS7_ZN2at6native12_GLOBAL__N_124unique_dim_cuda_templateIN3c104HalfEEESt5tupleIJNS8_6TensorESF_SF_EERKSF_lbbbEUlllE1_EE10hipError_tPvRmT2_T3_mT4_P12ihipStream_tbEUlT_E_NS1_11comp_targetILNS1_3genE8ELNS1_11target_archE1030ELNS1_3gpuE2ELNS1_3repE0EEENS1_30default_config_static_selectorELNS0_4arch9wavefront6targetE1EEEvT1_,"axG",@progbits,_ZN7rocprim17ROCPRIM_400000_NS6detail17trampoline_kernelINS0_14default_configENS1_35adjacent_difference_config_selectorILb0ElEEZNS1_24adjacent_difference_implIS3_Lb0ELb0EPlS7_ZN2at6native12_GLOBAL__N_124unique_dim_cuda_templateIN3c104HalfEEESt5tupleIJNS8_6TensorESF_SF_EERKSF_lbbbEUlllE1_EE10hipError_tPvRmT2_T3_mT4_P12ihipStream_tbEUlT_E_NS1_11comp_targetILNS1_3genE8ELNS1_11target_archE1030ELNS1_3gpuE2ELNS1_3repE0EEENS1_30default_config_static_selectorELNS0_4arch9wavefront6targetE1EEEvT1_,comdat
.Lfunc_end1277:
	.size	_ZN7rocprim17ROCPRIM_400000_NS6detail17trampoline_kernelINS0_14default_configENS1_35adjacent_difference_config_selectorILb0ElEEZNS1_24adjacent_difference_implIS3_Lb0ELb0EPlS7_ZN2at6native12_GLOBAL__N_124unique_dim_cuda_templateIN3c104HalfEEESt5tupleIJNS8_6TensorESF_SF_EERKSF_lbbbEUlllE1_EE10hipError_tPvRmT2_T3_mT4_P12ihipStream_tbEUlT_E_NS1_11comp_targetILNS1_3genE8ELNS1_11target_archE1030ELNS1_3gpuE2ELNS1_3repE0EEENS1_30default_config_static_selectorELNS0_4arch9wavefront6targetE1EEEvT1_, .Lfunc_end1277-_ZN7rocprim17ROCPRIM_400000_NS6detail17trampoline_kernelINS0_14default_configENS1_35adjacent_difference_config_selectorILb0ElEEZNS1_24adjacent_difference_implIS3_Lb0ELb0EPlS7_ZN2at6native12_GLOBAL__N_124unique_dim_cuda_templateIN3c104HalfEEESt5tupleIJNS8_6TensorESF_SF_EERKSF_lbbbEUlllE1_EE10hipError_tPvRmT2_T3_mT4_P12ihipStream_tbEUlT_E_NS1_11comp_targetILNS1_3genE8ELNS1_11target_archE1030ELNS1_3gpuE2ELNS1_3repE0EEENS1_30default_config_static_selectorELNS0_4arch9wavefront6targetE1EEEvT1_
                                        ; -- End function
	.section	.AMDGPU.csdata,"",@progbits
; Kernel info:
; codeLenInByte = 0
; NumSgprs: 4
; NumVgprs: 0
; NumAgprs: 0
; TotalNumVgprs: 0
; ScratchSize: 0
; MemoryBound: 0
; FloatMode: 240
; IeeeMode: 1
; LDSByteSize: 0 bytes/workgroup (compile time only)
; SGPRBlocks: 0
; VGPRBlocks: 0
; NumSGPRsForWavesPerEU: 4
; NumVGPRsForWavesPerEU: 1
; AccumOffset: 4
; Occupancy: 8
; WaveLimiterHint : 0
; COMPUTE_PGM_RSRC2:SCRATCH_EN: 0
; COMPUTE_PGM_RSRC2:USER_SGPR: 6
; COMPUTE_PGM_RSRC2:TRAP_HANDLER: 0
; COMPUTE_PGM_RSRC2:TGID_X_EN: 1
; COMPUTE_PGM_RSRC2:TGID_Y_EN: 0
; COMPUTE_PGM_RSRC2:TGID_Z_EN: 0
; COMPUTE_PGM_RSRC2:TIDIG_COMP_CNT: 0
; COMPUTE_PGM_RSRC3_GFX90A:ACCUM_OFFSET: 0
; COMPUTE_PGM_RSRC3_GFX90A:TG_SPLIT: 0
	.section	.text._ZN7rocprim17ROCPRIM_400000_NS6detail17trampoline_kernelINS0_14default_configENS1_25transform_config_selectorIlLb0EEEZNS1_14transform_implILb0ES3_S5_NS0_18transform_iteratorINS0_17counting_iteratorImlEEZNS1_24adjacent_difference_implIS3_Lb1ELb0EPlSB_ZN2at6native12_GLOBAL__N_124unique_dim_cuda_templateIN3c104HalfEEESt5tupleIJNSC_6TensorESJ_SJ_EERKSJ_lbbbEUlllE1_EE10hipError_tPvRmT2_T3_mT4_P12ihipStream_tbEUlmE_lEESB_NS0_8identityIvEEEESO_SR_SS_mST_SV_bEUlT_E_NS1_11comp_targetILNS1_3genE0ELNS1_11target_archE4294967295ELNS1_3gpuE0ELNS1_3repE0EEENS1_30default_config_static_selectorELNS0_4arch9wavefront6targetE1EEEvT1_,"axG",@progbits,_ZN7rocprim17ROCPRIM_400000_NS6detail17trampoline_kernelINS0_14default_configENS1_25transform_config_selectorIlLb0EEEZNS1_14transform_implILb0ES3_S5_NS0_18transform_iteratorINS0_17counting_iteratorImlEEZNS1_24adjacent_difference_implIS3_Lb1ELb0EPlSB_ZN2at6native12_GLOBAL__N_124unique_dim_cuda_templateIN3c104HalfEEESt5tupleIJNSC_6TensorESJ_SJ_EERKSJ_lbbbEUlllE1_EE10hipError_tPvRmT2_T3_mT4_P12ihipStream_tbEUlmE_lEESB_NS0_8identityIvEEEESO_SR_SS_mST_SV_bEUlT_E_NS1_11comp_targetILNS1_3genE0ELNS1_11target_archE4294967295ELNS1_3gpuE0ELNS1_3repE0EEENS1_30default_config_static_selectorELNS0_4arch9wavefront6targetE1EEEvT1_,comdat
	.globl	_ZN7rocprim17ROCPRIM_400000_NS6detail17trampoline_kernelINS0_14default_configENS1_25transform_config_selectorIlLb0EEEZNS1_14transform_implILb0ES3_S5_NS0_18transform_iteratorINS0_17counting_iteratorImlEEZNS1_24adjacent_difference_implIS3_Lb1ELb0EPlSB_ZN2at6native12_GLOBAL__N_124unique_dim_cuda_templateIN3c104HalfEEESt5tupleIJNSC_6TensorESJ_SJ_EERKSJ_lbbbEUlllE1_EE10hipError_tPvRmT2_T3_mT4_P12ihipStream_tbEUlmE_lEESB_NS0_8identityIvEEEESO_SR_SS_mST_SV_bEUlT_E_NS1_11comp_targetILNS1_3genE0ELNS1_11target_archE4294967295ELNS1_3gpuE0ELNS1_3repE0EEENS1_30default_config_static_selectorELNS0_4arch9wavefront6targetE1EEEvT1_ ; -- Begin function _ZN7rocprim17ROCPRIM_400000_NS6detail17trampoline_kernelINS0_14default_configENS1_25transform_config_selectorIlLb0EEEZNS1_14transform_implILb0ES3_S5_NS0_18transform_iteratorINS0_17counting_iteratorImlEEZNS1_24adjacent_difference_implIS3_Lb1ELb0EPlSB_ZN2at6native12_GLOBAL__N_124unique_dim_cuda_templateIN3c104HalfEEESt5tupleIJNSC_6TensorESJ_SJ_EERKSJ_lbbbEUlllE1_EE10hipError_tPvRmT2_T3_mT4_P12ihipStream_tbEUlmE_lEESB_NS0_8identityIvEEEESO_SR_SS_mST_SV_bEUlT_E_NS1_11comp_targetILNS1_3genE0ELNS1_11target_archE4294967295ELNS1_3gpuE0ELNS1_3repE0EEENS1_30default_config_static_selectorELNS0_4arch9wavefront6targetE1EEEvT1_
	.p2align	8
	.type	_ZN7rocprim17ROCPRIM_400000_NS6detail17trampoline_kernelINS0_14default_configENS1_25transform_config_selectorIlLb0EEEZNS1_14transform_implILb0ES3_S5_NS0_18transform_iteratorINS0_17counting_iteratorImlEEZNS1_24adjacent_difference_implIS3_Lb1ELb0EPlSB_ZN2at6native12_GLOBAL__N_124unique_dim_cuda_templateIN3c104HalfEEESt5tupleIJNSC_6TensorESJ_SJ_EERKSJ_lbbbEUlllE1_EE10hipError_tPvRmT2_T3_mT4_P12ihipStream_tbEUlmE_lEESB_NS0_8identityIvEEEESO_SR_SS_mST_SV_bEUlT_E_NS1_11comp_targetILNS1_3genE0ELNS1_11target_archE4294967295ELNS1_3gpuE0ELNS1_3repE0EEENS1_30default_config_static_selectorELNS0_4arch9wavefront6targetE1EEEvT1_,@function
_ZN7rocprim17ROCPRIM_400000_NS6detail17trampoline_kernelINS0_14default_configENS1_25transform_config_selectorIlLb0EEEZNS1_14transform_implILb0ES3_S5_NS0_18transform_iteratorINS0_17counting_iteratorImlEEZNS1_24adjacent_difference_implIS3_Lb1ELb0EPlSB_ZN2at6native12_GLOBAL__N_124unique_dim_cuda_templateIN3c104HalfEEESt5tupleIJNSC_6TensorESJ_SJ_EERKSJ_lbbbEUlllE1_EE10hipError_tPvRmT2_T3_mT4_P12ihipStream_tbEUlmE_lEESB_NS0_8identityIvEEEESO_SR_SS_mST_SV_bEUlT_E_NS1_11comp_targetILNS1_3genE0ELNS1_11target_archE4294967295ELNS1_3gpuE0ELNS1_3repE0EEENS1_30default_config_static_selectorELNS0_4arch9wavefront6targetE1EEEvT1_: ; @_ZN7rocprim17ROCPRIM_400000_NS6detail17trampoline_kernelINS0_14default_configENS1_25transform_config_selectorIlLb0EEEZNS1_14transform_implILb0ES3_S5_NS0_18transform_iteratorINS0_17counting_iteratorImlEEZNS1_24adjacent_difference_implIS3_Lb1ELb0EPlSB_ZN2at6native12_GLOBAL__N_124unique_dim_cuda_templateIN3c104HalfEEESt5tupleIJNSC_6TensorESJ_SJ_EERKSJ_lbbbEUlllE1_EE10hipError_tPvRmT2_T3_mT4_P12ihipStream_tbEUlmE_lEESB_NS0_8identityIvEEEESO_SR_SS_mST_SV_bEUlT_E_NS1_11comp_targetILNS1_3genE0ELNS1_11target_archE4294967295ELNS1_3gpuE0ELNS1_3repE0EEENS1_30default_config_static_selectorELNS0_4arch9wavefront6targetE1EEEvT1_
; %bb.0:
	.section	.rodata,"a",@progbits
	.p2align	6, 0x0
	.amdhsa_kernel _ZN7rocprim17ROCPRIM_400000_NS6detail17trampoline_kernelINS0_14default_configENS1_25transform_config_selectorIlLb0EEEZNS1_14transform_implILb0ES3_S5_NS0_18transform_iteratorINS0_17counting_iteratorImlEEZNS1_24adjacent_difference_implIS3_Lb1ELb0EPlSB_ZN2at6native12_GLOBAL__N_124unique_dim_cuda_templateIN3c104HalfEEESt5tupleIJNSC_6TensorESJ_SJ_EERKSJ_lbbbEUlllE1_EE10hipError_tPvRmT2_T3_mT4_P12ihipStream_tbEUlmE_lEESB_NS0_8identityIvEEEESO_SR_SS_mST_SV_bEUlT_E_NS1_11comp_targetILNS1_3genE0ELNS1_11target_archE4294967295ELNS1_3gpuE0ELNS1_3repE0EEENS1_30default_config_static_selectorELNS0_4arch9wavefront6targetE1EEEvT1_
		.amdhsa_group_segment_fixed_size 0
		.amdhsa_private_segment_fixed_size 0
		.amdhsa_kernarg_size 56
		.amdhsa_user_sgpr_count 6
		.amdhsa_user_sgpr_private_segment_buffer 1
		.amdhsa_user_sgpr_dispatch_ptr 0
		.amdhsa_user_sgpr_queue_ptr 0
		.amdhsa_user_sgpr_kernarg_segment_ptr 1
		.amdhsa_user_sgpr_dispatch_id 0
		.amdhsa_user_sgpr_flat_scratch_init 0
		.amdhsa_user_sgpr_kernarg_preload_length 0
		.amdhsa_user_sgpr_kernarg_preload_offset 0
		.amdhsa_user_sgpr_private_segment_size 0
		.amdhsa_uses_dynamic_stack 0
		.amdhsa_system_sgpr_private_segment_wavefront_offset 0
		.amdhsa_system_sgpr_workgroup_id_x 1
		.amdhsa_system_sgpr_workgroup_id_y 0
		.amdhsa_system_sgpr_workgroup_id_z 0
		.amdhsa_system_sgpr_workgroup_info 0
		.amdhsa_system_vgpr_workitem_id 0
		.amdhsa_next_free_vgpr 1
		.amdhsa_next_free_sgpr 0
		.amdhsa_accum_offset 4
		.amdhsa_reserve_vcc 0
		.amdhsa_reserve_flat_scratch 0
		.amdhsa_float_round_mode_32 0
		.amdhsa_float_round_mode_16_64 0
		.amdhsa_float_denorm_mode_32 3
		.amdhsa_float_denorm_mode_16_64 3
		.amdhsa_dx10_clamp 1
		.amdhsa_ieee_mode 1
		.amdhsa_fp16_overflow 0
		.amdhsa_tg_split 0
		.amdhsa_exception_fp_ieee_invalid_op 0
		.amdhsa_exception_fp_denorm_src 0
		.amdhsa_exception_fp_ieee_div_zero 0
		.amdhsa_exception_fp_ieee_overflow 0
		.amdhsa_exception_fp_ieee_underflow 0
		.amdhsa_exception_fp_ieee_inexact 0
		.amdhsa_exception_int_div_zero 0
	.end_amdhsa_kernel
	.section	.text._ZN7rocprim17ROCPRIM_400000_NS6detail17trampoline_kernelINS0_14default_configENS1_25transform_config_selectorIlLb0EEEZNS1_14transform_implILb0ES3_S5_NS0_18transform_iteratorINS0_17counting_iteratorImlEEZNS1_24adjacent_difference_implIS3_Lb1ELb0EPlSB_ZN2at6native12_GLOBAL__N_124unique_dim_cuda_templateIN3c104HalfEEESt5tupleIJNSC_6TensorESJ_SJ_EERKSJ_lbbbEUlllE1_EE10hipError_tPvRmT2_T3_mT4_P12ihipStream_tbEUlmE_lEESB_NS0_8identityIvEEEESO_SR_SS_mST_SV_bEUlT_E_NS1_11comp_targetILNS1_3genE0ELNS1_11target_archE4294967295ELNS1_3gpuE0ELNS1_3repE0EEENS1_30default_config_static_selectorELNS0_4arch9wavefront6targetE1EEEvT1_,"axG",@progbits,_ZN7rocprim17ROCPRIM_400000_NS6detail17trampoline_kernelINS0_14default_configENS1_25transform_config_selectorIlLb0EEEZNS1_14transform_implILb0ES3_S5_NS0_18transform_iteratorINS0_17counting_iteratorImlEEZNS1_24adjacent_difference_implIS3_Lb1ELb0EPlSB_ZN2at6native12_GLOBAL__N_124unique_dim_cuda_templateIN3c104HalfEEESt5tupleIJNSC_6TensorESJ_SJ_EERKSJ_lbbbEUlllE1_EE10hipError_tPvRmT2_T3_mT4_P12ihipStream_tbEUlmE_lEESB_NS0_8identityIvEEEESO_SR_SS_mST_SV_bEUlT_E_NS1_11comp_targetILNS1_3genE0ELNS1_11target_archE4294967295ELNS1_3gpuE0ELNS1_3repE0EEENS1_30default_config_static_selectorELNS0_4arch9wavefront6targetE1EEEvT1_,comdat
.Lfunc_end1278:
	.size	_ZN7rocprim17ROCPRIM_400000_NS6detail17trampoline_kernelINS0_14default_configENS1_25transform_config_selectorIlLb0EEEZNS1_14transform_implILb0ES3_S5_NS0_18transform_iteratorINS0_17counting_iteratorImlEEZNS1_24adjacent_difference_implIS3_Lb1ELb0EPlSB_ZN2at6native12_GLOBAL__N_124unique_dim_cuda_templateIN3c104HalfEEESt5tupleIJNSC_6TensorESJ_SJ_EERKSJ_lbbbEUlllE1_EE10hipError_tPvRmT2_T3_mT4_P12ihipStream_tbEUlmE_lEESB_NS0_8identityIvEEEESO_SR_SS_mST_SV_bEUlT_E_NS1_11comp_targetILNS1_3genE0ELNS1_11target_archE4294967295ELNS1_3gpuE0ELNS1_3repE0EEENS1_30default_config_static_selectorELNS0_4arch9wavefront6targetE1EEEvT1_, .Lfunc_end1278-_ZN7rocprim17ROCPRIM_400000_NS6detail17trampoline_kernelINS0_14default_configENS1_25transform_config_selectorIlLb0EEEZNS1_14transform_implILb0ES3_S5_NS0_18transform_iteratorINS0_17counting_iteratorImlEEZNS1_24adjacent_difference_implIS3_Lb1ELb0EPlSB_ZN2at6native12_GLOBAL__N_124unique_dim_cuda_templateIN3c104HalfEEESt5tupleIJNSC_6TensorESJ_SJ_EERKSJ_lbbbEUlllE1_EE10hipError_tPvRmT2_T3_mT4_P12ihipStream_tbEUlmE_lEESB_NS0_8identityIvEEEESO_SR_SS_mST_SV_bEUlT_E_NS1_11comp_targetILNS1_3genE0ELNS1_11target_archE4294967295ELNS1_3gpuE0ELNS1_3repE0EEENS1_30default_config_static_selectorELNS0_4arch9wavefront6targetE1EEEvT1_
                                        ; -- End function
	.section	.AMDGPU.csdata,"",@progbits
; Kernel info:
; codeLenInByte = 0
; NumSgprs: 4
; NumVgprs: 0
; NumAgprs: 0
; TotalNumVgprs: 0
; ScratchSize: 0
; MemoryBound: 0
; FloatMode: 240
; IeeeMode: 1
; LDSByteSize: 0 bytes/workgroup (compile time only)
; SGPRBlocks: 0
; VGPRBlocks: 0
; NumSGPRsForWavesPerEU: 4
; NumVGPRsForWavesPerEU: 1
; AccumOffset: 4
; Occupancy: 8
; WaveLimiterHint : 0
; COMPUTE_PGM_RSRC2:SCRATCH_EN: 0
; COMPUTE_PGM_RSRC2:USER_SGPR: 6
; COMPUTE_PGM_RSRC2:TRAP_HANDLER: 0
; COMPUTE_PGM_RSRC2:TGID_X_EN: 1
; COMPUTE_PGM_RSRC2:TGID_Y_EN: 0
; COMPUTE_PGM_RSRC2:TGID_Z_EN: 0
; COMPUTE_PGM_RSRC2:TIDIG_COMP_CNT: 0
; COMPUTE_PGM_RSRC3_GFX90A:ACCUM_OFFSET: 0
; COMPUTE_PGM_RSRC3_GFX90A:TG_SPLIT: 0
	.section	.text._ZN7rocprim17ROCPRIM_400000_NS6detail17trampoline_kernelINS0_14default_configENS1_25transform_config_selectorIlLb0EEEZNS1_14transform_implILb0ES3_S5_NS0_18transform_iteratorINS0_17counting_iteratorImlEEZNS1_24adjacent_difference_implIS3_Lb1ELb0EPlSB_ZN2at6native12_GLOBAL__N_124unique_dim_cuda_templateIN3c104HalfEEESt5tupleIJNSC_6TensorESJ_SJ_EERKSJ_lbbbEUlllE1_EE10hipError_tPvRmT2_T3_mT4_P12ihipStream_tbEUlmE_lEESB_NS0_8identityIvEEEESO_SR_SS_mST_SV_bEUlT_E_NS1_11comp_targetILNS1_3genE5ELNS1_11target_archE942ELNS1_3gpuE9ELNS1_3repE0EEENS1_30default_config_static_selectorELNS0_4arch9wavefront6targetE1EEEvT1_,"axG",@progbits,_ZN7rocprim17ROCPRIM_400000_NS6detail17trampoline_kernelINS0_14default_configENS1_25transform_config_selectorIlLb0EEEZNS1_14transform_implILb0ES3_S5_NS0_18transform_iteratorINS0_17counting_iteratorImlEEZNS1_24adjacent_difference_implIS3_Lb1ELb0EPlSB_ZN2at6native12_GLOBAL__N_124unique_dim_cuda_templateIN3c104HalfEEESt5tupleIJNSC_6TensorESJ_SJ_EERKSJ_lbbbEUlllE1_EE10hipError_tPvRmT2_T3_mT4_P12ihipStream_tbEUlmE_lEESB_NS0_8identityIvEEEESO_SR_SS_mST_SV_bEUlT_E_NS1_11comp_targetILNS1_3genE5ELNS1_11target_archE942ELNS1_3gpuE9ELNS1_3repE0EEENS1_30default_config_static_selectorELNS0_4arch9wavefront6targetE1EEEvT1_,comdat
	.globl	_ZN7rocprim17ROCPRIM_400000_NS6detail17trampoline_kernelINS0_14default_configENS1_25transform_config_selectorIlLb0EEEZNS1_14transform_implILb0ES3_S5_NS0_18transform_iteratorINS0_17counting_iteratorImlEEZNS1_24adjacent_difference_implIS3_Lb1ELb0EPlSB_ZN2at6native12_GLOBAL__N_124unique_dim_cuda_templateIN3c104HalfEEESt5tupleIJNSC_6TensorESJ_SJ_EERKSJ_lbbbEUlllE1_EE10hipError_tPvRmT2_T3_mT4_P12ihipStream_tbEUlmE_lEESB_NS0_8identityIvEEEESO_SR_SS_mST_SV_bEUlT_E_NS1_11comp_targetILNS1_3genE5ELNS1_11target_archE942ELNS1_3gpuE9ELNS1_3repE0EEENS1_30default_config_static_selectorELNS0_4arch9wavefront6targetE1EEEvT1_ ; -- Begin function _ZN7rocprim17ROCPRIM_400000_NS6detail17trampoline_kernelINS0_14default_configENS1_25transform_config_selectorIlLb0EEEZNS1_14transform_implILb0ES3_S5_NS0_18transform_iteratorINS0_17counting_iteratorImlEEZNS1_24adjacent_difference_implIS3_Lb1ELb0EPlSB_ZN2at6native12_GLOBAL__N_124unique_dim_cuda_templateIN3c104HalfEEESt5tupleIJNSC_6TensorESJ_SJ_EERKSJ_lbbbEUlllE1_EE10hipError_tPvRmT2_T3_mT4_P12ihipStream_tbEUlmE_lEESB_NS0_8identityIvEEEESO_SR_SS_mST_SV_bEUlT_E_NS1_11comp_targetILNS1_3genE5ELNS1_11target_archE942ELNS1_3gpuE9ELNS1_3repE0EEENS1_30default_config_static_selectorELNS0_4arch9wavefront6targetE1EEEvT1_
	.p2align	8
	.type	_ZN7rocprim17ROCPRIM_400000_NS6detail17trampoline_kernelINS0_14default_configENS1_25transform_config_selectorIlLb0EEEZNS1_14transform_implILb0ES3_S5_NS0_18transform_iteratorINS0_17counting_iteratorImlEEZNS1_24adjacent_difference_implIS3_Lb1ELb0EPlSB_ZN2at6native12_GLOBAL__N_124unique_dim_cuda_templateIN3c104HalfEEESt5tupleIJNSC_6TensorESJ_SJ_EERKSJ_lbbbEUlllE1_EE10hipError_tPvRmT2_T3_mT4_P12ihipStream_tbEUlmE_lEESB_NS0_8identityIvEEEESO_SR_SS_mST_SV_bEUlT_E_NS1_11comp_targetILNS1_3genE5ELNS1_11target_archE942ELNS1_3gpuE9ELNS1_3repE0EEENS1_30default_config_static_selectorELNS0_4arch9wavefront6targetE1EEEvT1_,@function
_ZN7rocprim17ROCPRIM_400000_NS6detail17trampoline_kernelINS0_14default_configENS1_25transform_config_selectorIlLb0EEEZNS1_14transform_implILb0ES3_S5_NS0_18transform_iteratorINS0_17counting_iteratorImlEEZNS1_24adjacent_difference_implIS3_Lb1ELb0EPlSB_ZN2at6native12_GLOBAL__N_124unique_dim_cuda_templateIN3c104HalfEEESt5tupleIJNSC_6TensorESJ_SJ_EERKSJ_lbbbEUlllE1_EE10hipError_tPvRmT2_T3_mT4_P12ihipStream_tbEUlmE_lEESB_NS0_8identityIvEEEESO_SR_SS_mST_SV_bEUlT_E_NS1_11comp_targetILNS1_3genE5ELNS1_11target_archE942ELNS1_3gpuE9ELNS1_3repE0EEENS1_30default_config_static_selectorELNS0_4arch9wavefront6targetE1EEEvT1_: ; @_ZN7rocprim17ROCPRIM_400000_NS6detail17trampoline_kernelINS0_14default_configENS1_25transform_config_selectorIlLb0EEEZNS1_14transform_implILb0ES3_S5_NS0_18transform_iteratorINS0_17counting_iteratorImlEEZNS1_24adjacent_difference_implIS3_Lb1ELb0EPlSB_ZN2at6native12_GLOBAL__N_124unique_dim_cuda_templateIN3c104HalfEEESt5tupleIJNSC_6TensorESJ_SJ_EERKSJ_lbbbEUlllE1_EE10hipError_tPvRmT2_T3_mT4_P12ihipStream_tbEUlmE_lEESB_NS0_8identityIvEEEESO_SR_SS_mST_SV_bEUlT_E_NS1_11comp_targetILNS1_3genE5ELNS1_11target_archE942ELNS1_3gpuE9ELNS1_3repE0EEENS1_30default_config_static_selectorELNS0_4arch9wavefront6targetE1EEEvT1_
; %bb.0:
	.section	.rodata,"a",@progbits
	.p2align	6, 0x0
	.amdhsa_kernel _ZN7rocprim17ROCPRIM_400000_NS6detail17trampoline_kernelINS0_14default_configENS1_25transform_config_selectorIlLb0EEEZNS1_14transform_implILb0ES3_S5_NS0_18transform_iteratorINS0_17counting_iteratorImlEEZNS1_24adjacent_difference_implIS3_Lb1ELb0EPlSB_ZN2at6native12_GLOBAL__N_124unique_dim_cuda_templateIN3c104HalfEEESt5tupleIJNSC_6TensorESJ_SJ_EERKSJ_lbbbEUlllE1_EE10hipError_tPvRmT2_T3_mT4_P12ihipStream_tbEUlmE_lEESB_NS0_8identityIvEEEESO_SR_SS_mST_SV_bEUlT_E_NS1_11comp_targetILNS1_3genE5ELNS1_11target_archE942ELNS1_3gpuE9ELNS1_3repE0EEENS1_30default_config_static_selectorELNS0_4arch9wavefront6targetE1EEEvT1_
		.amdhsa_group_segment_fixed_size 0
		.amdhsa_private_segment_fixed_size 0
		.amdhsa_kernarg_size 56
		.amdhsa_user_sgpr_count 6
		.amdhsa_user_sgpr_private_segment_buffer 1
		.amdhsa_user_sgpr_dispatch_ptr 0
		.amdhsa_user_sgpr_queue_ptr 0
		.amdhsa_user_sgpr_kernarg_segment_ptr 1
		.amdhsa_user_sgpr_dispatch_id 0
		.amdhsa_user_sgpr_flat_scratch_init 0
		.amdhsa_user_sgpr_kernarg_preload_length 0
		.amdhsa_user_sgpr_kernarg_preload_offset 0
		.amdhsa_user_sgpr_private_segment_size 0
		.amdhsa_uses_dynamic_stack 0
		.amdhsa_system_sgpr_private_segment_wavefront_offset 0
		.amdhsa_system_sgpr_workgroup_id_x 1
		.amdhsa_system_sgpr_workgroup_id_y 0
		.amdhsa_system_sgpr_workgroup_id_z 0
		.amdhsa_system_sgpr_workgroup_info 0
		.amdhsa_system_vgpr_workitem_id 0
		.amdhsa_next_free_vgpr 1
		.amdhsa_next_free_sgpr 0
		.amdhsa_accum_offset 4
		.amdhsa_reserve_vcc 0
		.amdhsa_reserve_flat_scratch 0
		.amdhsa_float_round_mode_32 0
		.amdhsa_float_round_mode_16_64 0
		.amdhsa_float_denorm_mode_32 3
		.amdhsa_float_denorm_mode_16_64 3
		.amdhsa_dx10_clamp 1
		.amdhsa_ieee_mode 1
		.amdhsa_fp16_overflow 0
		.amdhsa_tg_split 0
		.amdhsa_exception_fp_ieee_invalid_op 0
		.amdhsa_exception_fp_denorm_src 0
		.amdhsa_exception_fp_ieee_div_zero 0
		.amdhsa_exception_fp_ieee_overflow 0
		.amdhsa_exception_fp_ieee_underflow 0
		.amdhsa_exception_fp_ieee_inexact 0
		.amdhsa_exception_int_div_zero 0
	.end_amdhsa_kernel
	.section	.text._ZN7rocprim17ROCPRIM_400000_NS6detail17trampoline_kernelINS0_14default_configENS1_25transform_config_selectorIlLb0EEEZNS1_14transform_implILb0ES3_S5_NS0_18transform_iteratorINS0_17counting_iteratorImlEEZNS1_24adjacent_difference_implIS3_Lb1ELb0EPlSB_ZN2at6native12_GLOBAL__N_124unique_dim_cuda_templateIN3c104HalfEEESt5tupleIJNSC_6TensorESJ_SJ_EERKSJ_lbbbEUlllE1_EE10hipError_tPvRmT2_T3_mT4_P12ihipStream_tbEUlmE_lEESB_NS0_8identityIvEEEESO_SR_SS_mST_SV_bEUlT_E_NS1_11comp_targetILNS1_3genE5ELNS1_11target_archE942ELNS1_3gpuE9ELNS1_3repE0EEENS1_30default_config_static_selectorELNS0_4arch9wavefront6targetE1EEEvT1_,"axG",@progbits,_ZN7rocprim17ROCPRIM_400000_NS6detail17trampoline_kernelINS0_14default_configENS1_25transform_config_selectorIlLb0EEEZNS1_14transform_implILb0ES3_S5_NS0_18transform_iteratorINS0_17counting_iteratorImlEEZNS1_24adjacent_difference_implIS3_Lb1ELb0EPlSB_ZN2at6native12_GLOBAL__N_124unique_dim_cuda_templateIN3c104HalfEEESt5tupleIJNSC_6TensorESJ_SJ_EERKSJ_lbbbEUlllE1_EE10hipError_tPvRmT2_T3_mT4_P12ihipStream_tbEUlmE_lEESB_NS0_8identityIvEEEESO_SR_SS_mST_SV_bEUlT_E_NS1_11comp_targetILNS1_3genE5ELNS1_11target_archE942ELNS1_3gpuE9ELNS1_3repE0EEENS1_30default_config_static_selectorELNS0_4arch9wavefront6targetE1EEEvT1_,comdat
.Lfunc_end1279:
	.size	_ZN7rocprim17ROCPRIM_400000_NS6detail17trampoline_kernelINS0_14default_configENS1_25transform_config_selectorIlLb0EEEZNS1_14transform_implILb0ES3_S5_NS0_18transform_iteratorINS0_17counting_iteratorImlEEZNS1_24adjacent_difference_implIS3_Lb1ELb0EPlSB_ZN2at6native12_GLOBAL__N_124unique_dim_cuda_templateIN3c104HalfEEESt5tupleIJNSC_6TensorESJ_SJ_EERKSJ_lbbbEUlllE1_EE10hipError_tPvRmT2_T3_mT4_P12ihipStream_tbEUlmE_lEESB_NS0_8identityIvEEEESO_SR_SS_mST_SV_bEUlT_E_NS1_11comp_targetILNS1_3genE5ELNS1_11target_archE942ELNS1_3gpuE9ELNS1_3repE0EEENS1_30default_config_static_selectorELNS0_4arch9wavefront6targetE1EEEvT1_, .Lfunc_end1279-_ZN7rocprim17ROCPRIM_400000_NS6detail17trampoline_kernelINS0_14default_configENS1_25transform_config_selectorIlLb0EEEZNS1_14transform_implILb0ES3_S5_NS0_18transform_iteratorINS0_17counting_iteratorImlEEZNS1_24adjacent_difference_implIS3_Lb1ELb0EPlSB_ZN2at6native12_GLOBAL__N_124unique_dim_cuda_templateIN3c104HalfEEESt5tupleIJNSC_6TensorESJ_SJ_EERKSJ_lbbbEUlllE1_EE10hipError_tPvRmT2_T3_mT4_P12ihipStream_tbEUlmE_lEESB_NS0_8identityIvEEEESO_SR_SS_mST_SV_bEUlT_E_NS1_11comp_targetILNS1_3genE5ELNS1_11target_archE942ELNS1_3gpuE9ELNS1_3repE0EEENS1_30default_config_static_selectorELNS0_4arch9wavefront6targetE1EEEvT1_
                                        ; -- End function
	.section	.AMDGPU.csdata,"",@progbits
; Kernel info:
; codeLenInByte = 0
; NumSgprs: 4
; NumVgprs: 0
; NumAgprs: 0
; TotalNumVgprs: 0
; ScratchSize: 0
; MemoryBound: 0
; FloatMode: 240
; IeeeMode: 1
; LDSByteSize: 0 bytes/workgroup (compile time only)
; SGPRBlocks: 0
; VGPRBlocks: 0
; NumSGPRsForWavesPerEU: 4
; NumVGPRsForWavesPerEU: 1
; AccumOffset: 4
; Occupancy: 8
; WaveLimiterHint : 0
; COMPUTE_PGM_RSRC2:SCRATCH_EN: 0
; COMPUTE_PGM_RSRC2:USER_SGPR: 6
; COMPUTE_PGM_RSRC2:TRAP_HANDLER: 0
; COMPUTE_PGM_RSRC2:TGID_X_EN: 1
; COMPUTE_PGM_RSRC2:TGID_Y_EN: 0
; COMPUTE_PGM_RSRC2:TGID_Z_EN: 0
; COMPUTE_PGM_RSRC2:TIDIG_COMP_CNT: 0
; COMPUTE_PGM_RSRC3_GFX90A:ACCUM_OFFSET: 0
; COMPUTE_PGM_RSRC3_GFX90A:TG_SPLIT: 0
	.section	.text._ZN7rocprim17ROCPRIM_400000_NS6detail17trampoline_kernelINS0_14default_configENS1_25transform_config_selectorIlLb0EEEZNS1_14transform_implILb0ES3_S5_NS0_18transform_iteratorINS0_17counting_iteratorImlEEZNS1_24adjacent_difference_implIS3_Lb1ELb0EPlSB_ZN2at6native12_GLOBAL__N_124unique_dim_cuda_templateIN3c104HalfEEESt5tupleIJNSC_6TensorESJ_SJ_EERKSJ_lbbbEUlllE1_EE10hipError_tPvRmT2_T3_mT4_P12ihipStream_tbEUlmE_lEESB_NS0_8identityIvEEEESO_SR_SS_mST_SV_bEUlT_E_NS1_11comp_targetILNS1_3genE4ELNS1_11target_archE910ELNS1_3gpuE8ELNS1_3repE0EEENS1_30default_config_static_selectorELNS0_4arch9wavefront6targetE1EEEvT1_,"axG",@progbits,_ZN7rocprim17ROCPRIM_400000_NS6detail17trampoline_kernelINS0_14default_configENS1_25transform_config_selectorIlLb0EEEZNS1_14transform_implILb0ES3_S5_NS0_18transform_iteratorINS0_17counting_iteratorImlEEZNS1_24adjacent_difference_implIS3_Lb1ELb0EPlSB_ZN2at6native12_GLOBAL__N_124unique_dim_cuda_templateIN3c104HalfEEESt5tupleIJNSC_6TensorESJ_SJ_EERKSJ_lbbbEUlllE1_EE10hipError_tPvRmT2_T3_mT4_P12ihipStream_tbEUlmE_lEESB_NS0_8identityIvEEEESO_SR_SS_mST_SV_bEUlT_E_NS1_11comp_targetILNS1_3genE4ELNS1_11target_archE910ELNS1_3gpuE8ELNS1_3repE0EEENS1_30default_config_static_selectorELNS0_4arch9wavefront6targetE1EEEvT1_,comdat
	.globl	_ZN7rocprim17ROCPRIM_400000_NS6detail17trampoline_kernelINS0_14default_configENS1_25transform_config_selectorIlLb0EEEZNS1_14transform_implILb0ES3_S5_NS0_18transform_iteratorINS0_17counting_iteratorImlEEZNS1_24adjacent_difference_implIS3_Lb1ELb0EPlSB_ZN2at6native12_GLOBAL__N_124unique_dim_cuda_templateIN3c104HalfEEESt5tupleIJNSC_6TensorESJ_SJ_EERKSJ_lbbbEUlllE1_EE10hipError_tPvRmT2_T3_mT4_P12ihipStream_tbEUlmE_lEESB_NS0_8identityIvEEEESO_SR_SS_mST_SV_bEUlT_E_NS1_11comp_targetILNS1_3genE4ELNS1_11target_archE910ELNS1_3gpuE8ELNS1_3repE0EEENS1_30default_config_static_selectorELNS0_4arch9wavefront6targetE1EEEvT1_ ; -- Begin function _ZN7rocprim17ROCPRIM_400000_NS6detail17trampoline_kernelINS0_14default_configENS1_25transform_config_selectorIlLb0EEEZNS1_14transform_implILb0ES3_S5_NS0_18transform_iteratorINS0_17counting_iteratorImlEEZNS1_24adjacent_difference_implIS3_Lb1ELb0EPlSB_ZN2at6native12_GLOBAL__N_124unique_dim_cuda_templateIN3c104HalfEEESt5tupleIJNSC_6TensorESJ_SJ_EERKSJ_lbbbEUlllE1_EE10hipError_tPvRmT2_T3_mT4_P12ihipStream_tbEUlmE_lEESB_NS0_8identityIvEEEESO_SR_SS_mST_SV_bEUlT_E_NS1_11comp_targetILNS1_3genE4ELNS1_11target_archE910ELNS1_3gpuE8ELNS1_3repE0EEENS1_30default_config_static_selectorELNS0_4arch9wavefront6targetE1EEEvT1_
	.p2align	8
	.type	_ZN7rocprim17ROCPRIM_400000_NS6detail17trampoline_kernelINS0_14default_configENS1_25transform_config_selectorIlLb0EEEZNS1_14transform_implILb0ES3_S5_NS0_18transform_iteratorINS0_17counting_iteratorImlEEZNS1_24adjacent_difference_implIS3_Lb1ELb0EPlSB_ZN2at6native12_GLOBAL__N_124unique_dim_cuda_templateIN3c104HalfEEESt5tupleIJNSC_6TensorESJ_SJ_EERKSJ_lbbbEUlllE1_EE10hipError_tPvRmT2_T3_mT4_P12ihipStream_tbEUlmE_lEESB_NS0_8identityIvEEEESO_SR_SS_mST_SV_bEUlT_E_NS1_11comp_targetILNS1_3genE4ELNS1_11target_archE910ELNS1_3gpuE8ELNS1_3repE0EEENS1_30default_config_static_selectorELNS0_4arch9wavefront6targetE1EEEvT1_,@function
_ZN7rocprim17ROCPRIM_400000_NS6detail17trampoline_kernelINS0_14default_configENS1_25transform_config_selectorIlLb0EEEZNS1_14transform_implILb0ES3_S5_NS0_18transform_iteratorINS0_17counting_iteratorImlEEZNS1_24adjacent_difference_implIS3_Lb1ELb0EPlSB_ZN2at6native12_GLOBAL__N_124unique_dim_cuda_templateIN3c104HalfEEESt5tupleIJNSC_6TensorESJ_SJ_EERKSJ_lbbbEUlllE1_EE10hipError_tPvRmT2_T3_mT4_P12ihipStream_tbEUlmE_lEESB_NS0_8identityIvEEEESO_SR_SS_mST_SV_bEUlT_E_NS1_11comp_targetILNS1_3genE4ELNS1_11target_archE910ELNS1_3gpuE8ELNS1_3repE0EEENS1_30default_config_static_selectorELNS0_4arch9wavefront6targetE1EEEvT1_: ; @_ZN7rocprim17ROCPRIM_400000_NS6detail17trampoline_kernelINS0_14default_configENS1_25transform_config_selectorIlLb0EEEZNS1_14transform_implILb0ES3_S5_NS0_18transform_iteratorINS0_17counting_iteratorImlEEZNS1_24adjacent_difference_implIS3_Lb1ELb0EPlSB_ZN2at6native12_GLOBAL__N_124unique_dim_cuda_templateIN3c104HalfEEESt5tupleIJNSC_6TensorESJ_SJ_EERKSJ_lbbbEUlllE1_EE10hipError_tPvRmT2_T3_mT4_P12ihipStream_tbEUlmE_lEESB_NS0_8identityIvEEEESO_SR_SS_mST_SV_bEUlT_E_NS1_11comp_targetILNS1_3genE4ELNS1_11target_archE910ELNS1_3gpuE8ELNS1_3repE0EEENS1_30default_config_static_selectorELNS0_4arch9wavefront6targetE1EEEvT1_
; %bb.0:
	s_load_dwordx4 s[0:3], s[4:5], 0x18
	s_load_dwordx2 s[14:15], s[4:5], 0x28
	s_load_dwordx4 s[8:11], s[4:5], 0x0
	s_load_dword s12, s[4:5], 0x10
	s_waitcnt lgkmcnt(0)
	s_load_dword s3, s[4:5], 0x38
                                        ; kill: killed $sgpr4_sgpr5
	s_lshl_b64 s[4:5], s[0:1], 3
	s_add_u32 s14, s14, s4
	s_addc_u32 s15, s15, s5
	s_lshl_b32 s4, s6, 9
	s_waitcnt lgkmcnt(0)
	s_add_i32 s3, s3, -1
	s_add_u32 s7, s8, s4
	s_addc_u32 s8, s9, 0
	s_add_u32 s16, s7, s0
	s_addc_u32 s17, s8, s1
	s_mov_b32 s5, 0
	s_cmp_lg_u32 s6, s3
	v_lshlrev_b32_e32 v1, 3, v0
	s_cbranch_scc0 .LBB1280_2
; %bb.1:
	v_mov_b32_e32 v2, s17
	v_add_co_u32_e32 v3, vcc, s16, v0
	v_addc_co_u32_e32 v5, vcc, 0, v2, vcc
	v_mad_u64_u32 v[2:3], s[0:1], v3, s12, 0
	v_mov_b32_e32 v4, v3
	v_mad_u64_u32 v[4:5], s[0:1], v5, s12, v[4:5]
	v_mov_b32_e32 v3, v4
	v_lshlrev_b64 v[2:3], 3, v[2:3]
	s_mov_b32 s13, s5
	v_mov_b32_e32 v4, s11
	v_add_co_u32_e32 v2, vcc, s10, v2
	v_addc_co_u32_e32 v3, vcc, v4, v3, vcc
	s_lshl_b64 s[0:1], s[12:13], 11
	global_load_dwordx2 v[8:9], v[2:3], off
	v_mov_b32_e32 v4, s1
	v_add_co_u32_e32 v2, vcc, s0, v2
	v_addc_co_u32_e32 v3, vcc, v3, v4, vcc
	global_load_dwordx2 v[4:5], v[2:3], off
	s_lshl_b64 s[6:7], s[4:5], 3
	s_add_u32 s6, s14, s6
	s_addc_u32 s7, s15, s7
	v_mov_b32_e32 v2, s7
	v_add_co_u32_e32 v6, vcc, s6, v1
	v_addc_co_u32_e32 v7, vcc, 0, v2, vcc
	s_waitcnt vmcnt(1)
	global_store_dwordx2 v1, v[8:9], s[6:7]
	s_mov_b64 s[6:7], -1
	s_cbranch_execz .LBB1280_3
	s_branch .LBB1280_12
.LBB1280_2:
	s_mov_b64 s[6:7], 0
                                        ; implicit-def: $vgpr4_vgpr5
                                        ; implicit-def: $vgpr6_vgpr7
.LBB1280_3:
	s_sub_i32 s8, s2, s4
	v_cmp_gt_u32_e32 vcc, s8, v0
                                        ; implicit-def: $vgpr2_vgpr3_vgpr4_vgpr5
	s_and_saveexec_b64 s[2:3], vcc
	s_cbranch_execz .LBB1280_5
; %bb.4:
	v_mov_b32_e32 v2, s17
	v_add_co_u32_e64 v3, s[0:1], s16, v0
	s_waitcnt vmcnt(1)
	v_addc_co_u32_e64 v5, s[0:1], 0, v2, s[0:1]
	v_mad_u64_u32 v[2:3], s[0:1], v3, s12, 0
	v_mov_b32_e32 v4, v3
	v_mad_u64_u32 v[4:5], s[0:1], v5, s12, v[4:5]
	v_mov_b32_e32 v3, v4
	v_lshlrev_b64 v[2:3], 3, v[2:3]
	v_mov_b32_e32 v4, s11
	v_add_co_u32_e64 v2, s[0:1], s10, v2
	v_addc_co_u32_e64 v3, s[0:1], v4, v3, s[0:1]
	global_load_dwordx2 v[2:3], v[2:3], off
.LBB1280_5:
	s_or_b64 exec, exec, s[2:3]
	v_or_b32_e32 v0, 0x100, v0
	v_cmp_gt_u32_e64 s[0:1], s8, v0
	s_and_saveexec_b64 s[8:9], s[0:1]
	s_cbranch_execz .LBB1280_7
; %bb.6:
	s_waitcnt vmcnt(1)
	v_mov_b32_e32 v4, s17
	v_add_co_u32_e64 v0, s[2:3], s16, v0
	v_addc_co_u32_e64 v6, s[2:3], 0, v4, s[2:3]
	v_mad_u64_u32 v[4:5], s[2:3], v0, s12, 0
	v_mov_b32_e32 v0, v5
	v_mad_u64_u32 v[6:7], s[2:3], v6, s12, v[0:1]
	v_mov_b32_e32 v5, v6
	v_lshlrev_b64 v[4:5], 3, v[4:5]
	v_mov_b32_e32 v0, s11
	v_add_co_u32_e64 v4, s[2:3], s10, v4
	v_addc_co_u32_e64 v5, s[2:3], v0, v5, s[2:3]
	global_load_dwordx2 v[4:5], v[4:5], off
.LBB1280_7:
	s_or_b64 exec, exec, s[8:9]
	s_lshl_b64 s[2:3], s[4:5], 3
	s_add_u32 s2, s14, s2
	s_addc_u32 s3, s15, s3
	v_mov_b32_e32 v0, s3
	v_add_co_u32_e64 v6, s[2:3], s2, v1
	v_addc_co_u32_e64 v7, s[2:3], 0, v0, s[2:3]
	s_and_saveexec_b64 s[2:3], vcc
	s_cbranch_execz .LBB1280_9
; %bb.8:
	s_waitcnt vmcnt(0)
	global_store_dwordx2 v[6:7], v[2:3], off
.LBB1280_9:
	s_or_b64 exec, exec, s[2:3]
	s_and_saveexec_b64 s[2:3], s[0:1]
; %bb.10:
	s_or_b64 s[6:7], s[6:7], exec
; %bb.11:
	s_or_b64 exec, exec, s[2:3]
.LBB1280_12:
	s_and_saveexec_b64 s[0:1], s[6:7]
	s_cbranch_execnz .LBB1280_14
; %bb.13:
	s_endpgm
.LBB1280_14:
	s_waitcnt vmcnt(0)
	global_store_dwordx2 v[6:7], v[4:5], off offset:2048
	s_endpgm
	.section	.rodata,"a",@progbits
	.p2align	6, 0x0
	.amdhsa_kernel _ZN7rocprim17ROCPRIM_400000_NS6detail17trampoline_kernelINS0_14default_configENS1_25transform_config_selectorIlLb0EEEZNS1_14transform_implILb0ES3_S5_NS0_18transform_iteratorINS0_17counting_iteratorImlEEZNS1_24adjacent_difference_implIS3_Lb1ELb0EPlSB_ZN2at6native12_GLOBAL__N_124unique_dim_cuda_templateIN3c104HalfEEESt5tupleIJNSC_6TensorESJ_SJ_EERKSJ_lbbbEUlllE1_EE10hipError_tPvRmT2_T3_mT4_P12ihipStream_tbEUlmE_lEESB_NS0_8identityIvEEEESO_SR_SS_mST_SV_bEUlT_E_NS1_11comp_targetILNS1_3genE4ELNS1_11target_archE910ELNS1_3gpuE8ELNS1_3repE0EEENS1_30default_config_static_selectorELNS0_4arch9wavefront6targetE1EEEvT1_
		.amdhsa_group_segment_fixed_size 0
		.amdhsa_private_segment_fixed_size 0
		.amdhsa_kernarg_size 312
		.amdhsa_user_sgpr_count 6
		.amdhsa_user_sgpr_private_segment_buffer 1
		.amdhsa_user_sgpr_dispatch_ptr 0
		.amdhsa_user_sgpr_queue_ptr 0
		.amdhsa_user_sgpr_kernarg_segment_ptr 1
		.amdhsa_user_sgpr_dispatch_id 0
		.amdhsa_user_sgpr_flat_scratch_init 0
		.amdhsa_user_sgpr_kernarg_preload_length 0
		.amdhsa_user_sgpr_kernarg_preload_offset 0
		.amdhsa_user_sgpr_private_segment_size 0
		.amdhsa_uses_dynamic_stack 0
		.amdhsa_system_sgpr_private_segment_wavefront_offset 0
		.amdhsa_system_sgpr_workgroup_id_x 1
		.amdhsa_system_sgpr_workgroup_id_y 0
		.amdhsa_system_sgpr_workgroup_id_z 0
		.amdhsa_system_sgpr_workgroup_info 0
		.amdhsa_system_vgpr_workitem_id 0
		.amdhsa_next_free_vgpr 10
		.amdhsa_next_free_sgpr 18
		.amdhsa_accum_offset 12
		.amdhsa_reserve_vcc 1
		.amdhsa_reserve_flat_scratch 0
		.amdhsa_float_round_mode_32 0
		.amdhsa_float_round_mode_16_64 0
		.amdhsa_float_denorm_mode_32 3
		.amdhsa_float_denorm_mode_16_64 3
		.amdhsa_dx10_clamp 1
		.amdhsa_ieee_mode 1
		.amdhsa_fp16_overflow 0
		.amdhsa_tg_split 0
		.amdhsa_exception_fp_ieee_invalid_op 0
		.amdhsa_exception_fp_denorm_src 0
		.amdhsa_exception_fp_ieee_div_zero 0
		.amdhsa_exception_fp_ieee_overflow 0
		.amdhsa_exception_fp_ieee_underflow 0
		.amdhsa_exception_fp_ieee_inexact 0
		.amdhsa_exception_int_div_zero 0
	.end_amdhsa_kernel
	.section	.text._ZN7rocprim17ROCPRIM_400000_NS6detail17trampoline_kernelINS0_14default_configENS1_25transform_config_selectorIlLb0EEEZNS1_14transform_implILb0ES3_S5_NS0_18transform_iteratorINS0_17counting_iteratorImlEEZNS1_24adjacent_difference_implIS3_Lb1ELb0EPlSB_ZN2at6native12_GLOBAL__N_124unique_dim_cuda_templateIN3c104HalfEEESt5tupleIJNSC_6TensorESJ_SJ_EERKSJ_lbbbEUlllE1_EE10hipError_tPvRmT2_T3_mT4_P12ihipStream_tbEUlmE_lEESB_NS0_8identityIvEEEESO_SR_SS_mST_SV_bEUlT_E_NS1_11comp_targetILNS1_3genE4ELNS1_11target_archE910ELNS1_3gpuE8ELNS1_3repE0EEENS1_30default_config_static_selectorELNS0_4arch9wavefront6targetE1EEEvT1_,"axG",@progbits,_ZN7rocprim17ROCPRIM_400000_NS6detail17trampoline_kernelINS0_14default_configENS1_25transform_config_selectorIlLb0EEEZNS1_14transform_implILb0ES3_S5_NS0_18transform_iteratorINS0_17counting_iteratorImlEEZNS1_24adjacent_difference_implIS3_Lb1ELb0EPlSB_ZN2at6native12_GLOBAL__N_124unique_dim_cuda_templateIN3c104HalfEEESt5tupleIJNSC_6TensorESJ_SJ_EERKSJ_lbbbEUlllE1_EE10hipError_tPvRmT2_T3_mT4_P12ihipStream_tbEUlmE_lEESB_NS0_8identityIvEEEESO_SR_SS_mST_SV_bEUlT_E_NS1_11comp_targetILNS1_3genE4ELNS1_11target_archE910ELNS1_3gpuE8ELNS1_3repE0EEENS1_30default_config_static_selectorELNS0_4arch9wavefront6targetE1EEEvT1_,comdat
.Lfunc_end1280:
	.size	_ZN7rocprim17ROCPRIM_400000_NS6detail17trampoline_kernelINS0_14default_configENS1_25transform_config_selectorIlLb0EEEZNS1_14transform_implILb0ES3_S5_NS0_18transform_iteratorINS0_17counting_iteratorImlEEZNS1_24adjacent_difference_implIS3_Lb1ELb0EPlSB_ZN2at6native12_GLOBAL__N_124unique_dim_cuda_templateIN3c104HalfEEESt5tupleIJNSC_6TensorESJ_SJ_EERKSJ_lbbbEUlllE1_EE10hipError_tPvRmT2_T3_mT4_P12ihipStream_tbEUlmE_lEESB_NS0_8identityIvEEEESO_SR_SS_mST_SV_bEUlT_E_NS1_11comp_targetILNS1_3genE4ELNS1_11target_archE910ELNS1_3gpuE8ELNS1_3repE0EEENS1_30default_config_static_selectorELNS0_4arch9wavefront6targetE1EEEvT1_, .Lfunc_end1280-_ZN7rocprim17ROCPRIM_400000_NS6detail17trampoline_kernelINS0_14default_configENS1_25transform_config_selectorIlLb0EEEZNS1_14transform_implILb0ES3_S5_NS0_18transform_iteratorINS0_17counting_iteratorImlEEZNS1_24adjacent_difference_implIS3_Lb1ELb0EPlSB_ZN2at6native12_GLOBAL__N_124unique_dim_cuda_templateIN3c104HalfEEESt5tupleIJNSC_6TensorESJ_SJ_EERKSJ_lbbbEUlllE1_EE10hipError_tPvRmT2_T3_mT4_P12ihipStream_tbEUlmE_lEESB_NS0_8identityIvEEEESO_SR_SS_mST_SV_bEUlT_E_NS1_11comp_targetILNS1_3genE4ELNS1_11target_archE910ELNS1_3gpuE8ELNS1_3repE0EEENS1_30default_config_static_selectorELNS0_4arch9wavefront6targetE1EEEvT1_
                                        ; -- End function
	.section	.AMDGPU.csdata,"",@progbits
; Kernel info:
; codeLenInByte = 556
; NumSgprs: 22
; NumVgprs: 10
; NumAgprs: 0
; TotalNumVgprs: 10
; ScratchSize: 0
; MemoryBound: 0
; FloatMode: 240
; IeeeMode: 1
; LDSByteSize: 0 bytes/workgroup (compile time only)
; SGPRBlocks: 2
; VGPRBlocks: 1
; NumSGPRsForWavesPerEU: 22
; NumVGPRsForWavesPerEU: 10
; AccumOffset: 12
; Occupancy: 8
; WaveLimiterHint : 0
; COMPUTE_PGM_RSRC2:SCRATCH_EN: 0
; COMPUTE_PGM_RSRC2:USER_SGPR: 6
; COMPUTE_PGM_RSRC2:TRAP_HANDLER: 0
; COMPUTE_PGM_RSRC2:TGID_X_EN: 1
; COMPUTE_PGM_RSRC2:TGID_Y_EN: 0
; COMPUTE_PGM_RSRC2:TGID_Z_EN: 0
; COMPUTE_PGM_RSRC2:TIDIG_COMP_CNT: 0
; COMPUTE_PGM_RSRC3_GFX90A:ACCUM_OFFSET: 2
; COMPUTE_PGM_RSRC3_GFX90A:TG_SPLIT: 0
	.section	.text._ZN7rocprim17ROCPRIM_400000_NS6detail17trampoline_kernelINS0_14default_configENS1_25transform_config_selectorIlLb0EEEZNS1_14transform_implILb0ES3_S5_NS0_18transform_iteratorINS0_17counting_iteratorImlEEZNS1_24adjacent_difference_implIS3_Lb1ELb0EPlSB_ZN2at6native12_GLOBAL__N_124unique_dim_cuda_templateIN3c104HalfEEESt5tupleIJNSC_6TensorESJ_SJ_EERKSJ_lbbbEUlllE1_EE10hipError_tPvRmT2_T3_mT4_P12ihipStream_tbEUlmE_lEESB_NS0_8identityIvEEEESO_SR_SS_mST_SV_bEUlT_E_NS1_11comp_targetILNS1_3genE3ELNS1_11target_archE908ELNS1_3gpuE7ELNS1_3repE0EEENS1_30default_config_static_selectorELNS0_4arch9wavefront6targetE1EEEvT1_,"axG",@progbits,_ZN7rocprim17ROCPRIM_400000_NS6detail17trampoline_kernelINS0_14default_configENS1_25transform_config_selectorIlLb0EEEZNS1_14transform_implILb0ES3_S5_NS0_18transform_iteratorINS0_17counting_iteratorImlEEZNS1_24adjacent_difference_implIS3_Lb1ELb0EPlSB_ZN2at6native12_GLOBAL__N_124unique_dim_cuda_templateIN3c104HalfEEESt5tupleIJNSC_6TensorESJ_SJ_EERKSJ_lbbbEUlllE1_EE10hipError_tPvRmT2_T3_mT4_P12ihipStream_tbEUlmE_lEESB_NS0_8identityIvEEEESO_SR_SS_mST_SV_bEUlT_E_NS1_11comp_targetILNS1_3genE3ELNS1_11target_archE908ELNS1_3gpuE7ELNS1_3repE0EEENS1_30default_config_static_selectorELNS0_4arch9wavefront6targetE1EEEvT1_,comdat
	.globl	_ZN7rocprim17ROCPRIM_400000_NS6detail17trampoline_kernelINS0_14default_configENS1_25transform_config_selectorIlLb0EEEZNS1_14transform_implILb0ES3_S5_NS0_18transform_iteratorINS0_17counting_iteratorImlEEZNS1_24adjacent_difference_implIS3_Lb1ELb0EPlSB_ZN2at6native12_GLOBAL__N_124unique_dim_cuda_templateIN3c104HalfEEESt5tupleIJNSC_6TensorESJ_SJ_EERKSJ_lbbbEUlllE1_EE10hipError_tPvRmT2_T3_mT4_P12ihipStream_tbEUlmE_lEESB_NS0_8identityIvEEEESO_SR_SS_mST_SV_bEUlT_E_NS1_11comp_targetILNS1_3genE3ELNS1_11target_archE908ELNS1_3gpuE7ELNS1_3repE0EEENS1_30default_config_static_selectorELNS0_4arch9wavefront6targetE1EEEvT1_ ; -- Begin function _ZN7rocprim17ROCPRIM_400000_NS6detail17trampoline_kernelINS0_14default_configENS1_25transform_config_selectorIlLb0EEEZNS1_14transform_implILb0ES3_S5_NS0_18transform_iteratorINS0_17counting_iteratorImlEEZNS1_24adjacent_difference_implIS3_Lb1ELb0EPlSB_ZN2at6native12_GLOBAL__N_124unique_dim_cuda_templateIN3c104HalfEEESt5tupleIJNSC_6TensorESJ_SJ_EERKSJ_lbbbEUlllE1_EE10hipError_tPvRmT2_T3_mT4_P12ihipStream_tbEUlmE_lEESB_NS0_8identityIvEEEESO_SR_SS_mST_SV_bEUlT_E_NS1_11comp_targetILNS1_3genE3ELNS1_11target_archE908ELNS1_3gpuE7ELNS1_3repE0EEENS1_30default_config_static_selectorELNS0_4arch9wavefront6targetE1EEEvT1_
	.p2align	8
	.type	_ZN7rocprim17ROCPRIM_400000_NS6detail17trampoline_kernelINS0_14default_configENS1_25transform_config_selectorIlLb0EEEZNS1_14transform_implILb0ES3_S5_NS0_18transform_iteratorINS0_17counting_iteratorImlEEZNS1_24adjacent_difference_implIS3_Lb1ELb0EPlSB_ZN2at6native12_GLOBAL__N_124unique_dim_cuda_templateIN3c104HalfEEESt5tupleIJNSC_6TensorESJ_SJ_EERKSJ_lbbbEUlllE1_EE10hipError_tPvRmT2_T3_mT4_P12ihipStream_tbEUlmE_lEESB_NS0_8identityIvEEEESO_SR_SS_mST_SV_bEUlT_E_NS1_11comp_targetILNS1_3genE3ELNS1_11target_archE908ELNS1_3gpuE7ELNS1_3repE0EEENS1_30default_config_static_selectorELNS0_4arch9wavefront6targetE1EEEvT1_,@function
_ZN7rocprim17ROCPRIM_400000_NS6detail17trampoline_kernelINS0_14default_configENS1_25transform_config_selectorIlLb0EEEZNS1_14transform_implILb0ES3_S5_NS0_18transform_iteratorINS0_17counting_iteratorImlEEZNS1_24adjacent_difference_implIS3_Lb1ELb0EPlSB_ZN2at6native12_GLOBAL__N_124unique_dim_cuda_templateIN3c104HalfEEESt5tupleIJNSC_6TensorESJ_SJ_EERKSJ_lbbbEUlllE1_EE10hipError_tPvRmT2_T3_mT4_P12ihipStream_tbEUlmE_lEESB_NS0_8identityIvEEEESO_SR_SS_mST_SV_bEUlT_E_NS1_11comp_targetILNS1_3genE3ELNS1_11target_archE908ELNS1_3gpuE7ELNS1_3repE0EEENS1_30default_config_static_selectorELNS0_4arch9wavefront6targetE1EEEvT1_: ; @_ZN7rocprim17ROCPRIM_400000_NS6detail17trampoline_kernelINS0_14default_configENS1_25transform_config_selectorIlLb0EEEZNS1_14transform_implILb0ES3_S5_NS0_18transform_iteratorINS0_17counting_iteratorImlEEZNS1_24adjacent_difference_implIS3_Lb1ELb0EPlSB_ZN2at6native12_GLOBAL__N_124unique_dim_cuda_templateIN3c104HalfEEESt5tupleIJNSC_6TensorESJ_SJ_EERKSJ_lbbbEUlllE1_EE10hipError_tPvRmT2_T3_mT4_P12ihipStream_tbEUlmE_lEESB_NS0_8identityIvEEEESO_SR_SS_mST_SV_bEUlT_E_NS1_11comp_targetILNS1_3genE3ELNS1_11target_archE908ELNS1_3gpuE7ELNS1_3repE0EEENS1_30default_config_static_selectorELNS0_4arch9wavefront6targetE1EEEvT1_
; %bb.0:
	.section	.rodata,"a",@progbits
	.p2align	6, 0x0
	.amdhsa_kernel _ZN7rocprim17ROCPRIM_400000_NS6detail17trampoline_kernelINS0_14default_configENS1_25transform_config_selectorIlLb0EEEZNS1_14transform_implILb0ES3_S5_NS0_18transform_iteratorINS0_17counting_iteratorImlEEZNS1_24adjacent_difference_implIS3_Lb1ELb0EPlSB_ZN2at6native12_GLOBAL__N_124unique_dim_cuda_templateIN3c104HalfEEESt5tupleIJNSC_6TensorESJ_SJ_EERKSJ_lbbbEUlllE1_EE10hipError_tPvRmT2_T3_mT4_P12ihipStream_tbEUlmE_lEESB_NS0_8identityIvEEEESO_SR_SS_mST_SV_bEUlT_E_NS1_11comp_targetILNS1_3genE3ELNS1_11target_archE908ELNS1_3gpuE7ELNS1_3repE0EEENS1_30default_config_static_selectorELNS0_4arch9wavefront6targetE1EEEvT1_
		.amdhsa_group_segment_fixed_size 0
		.amdhsa_private_segment_fixed_size 0
		.amdhsa_kernarg_size 56
		.amdhsa_user_sgpr_count 6
		.amdhsa_user_sgpr_private_segment_buffer 1
		.amdhsa_user_sgpr_dispatch_ptr 0
		.amdhsa_user_sgpr_queue_ptr 0
		.amdhsa_user_sgpr_kernarg_segment_ptr 1
		.amdhsa_user_sgpr_dispatch_id 0
		.amdhsa_user_sgpr_flat_scratch_init 0
		.amdhsa_user_sgpr_kernarg_preload_length 0
		.amdhsa_user_sgpr_kernarg_preload_offset 0
		.amdhsa_user_sgpr_private_segment_size 0
		.amdhsa_uses_dynamic_stack 0
		.amdhsa_system_sgpr_private_segment_wavefront_offset 0
		.amdhsa_system_sgpr_workgroup_id_x 1
		.amdhsa_system_sgpr_workgroup_id_y 0
		.amdhsa_system_sgpr_workgroup_id_z 0
		.amdhsa_system_sgpr_workgroup_info 0
		.amdhsa_system_vgpr_workitem_id 0
		.amdhsa_next_free_vgpr 1
		.amdhsa_next_free_sgpr 0
		.amdhsa_accum_offset 4
		.amdhsa_reserve_vcc 0
		.amdhsa_reserve_flat_scratch 0
		.amdhsa_float_round_mode_32 0
		.amdhsa_float_round_mode_16_64 0
		.amdhsa_float_denorm_mode_32 3
		.amdhsa_float_denorm_mode_16_64 3
		.amdhsa_dx10_clamp 1
		.amdhsa_ieee_mode 1
		.amdhsa_fp16_overflow 0
		.amdhsa_tg_split 0
		.amdhsa_exception_fp_ieee_invalid_op 0
		.amdhsa_exception_fp_denorm_src 0
		.amdhsa_exception_fp_ieee_div_zero 0
		.amdhsa_exception_fp_ieee_overflow 0
		.amdhsa_exception_fp_ieee_underflow 0
		.amdhsa_exception_fp_ieee_inexact 0
		.amdhsa_exception_int_div_zero 0
	.end_amdhsa_kernel
	.section	.text._ZN7rocprim17ROCPRIM_400000_NS6detail17trampoline_kernelINS0_14default_configENS1_25transform_config_selectorIlLb0EEEZNS1_14transform_implILb0ES3_S5_NS0_18transform_iteratorINS0_17counting_iteratorImlEEZNS1_24adjacent_difference_implIS3_Lb1ELb0EPlSB_ZN2at6native12_GLOBAL__N_124unique_dim_cuda_templateIN3c104HalfEEESt5tupleIJNSC_6TensorESJ_SJ_EERKSJ_lbbbEUlllE1_EE10hipError_tPvRmT2_T3_mT4_P12ihipStream_tbEUlmE_lEESB_NS0_8identityIvEEEESO_SR_SS_mST_SV_bEUlT_E_NS1_11comp_targetILNS1_3genE3ELNS1_11target_archE908ELNS1_3gpuE7ELNS1_3repE0EEENS1_30default_config_static_selectorELNS0_4arch9wavefront6targetE1EEEvT1_,"axG",@progbits,_ZN7rocprim17ROCPRIM_400000_NS6detail17trampoline_kernelINS0_14default_configENS1_25transform_config_selectorIlLb0EEEZNS1_14transform_implILb0ES3_S5_NS0_18transform_iteratorINS0_17counting_iteratorImlEEZNS1_24adjacent_difference_implIS3_Lb1ELb0EPlSB_ZN2at6native12_GLOBAL__N_124unique_dim_cuda_templateIN3c104HalfEEESt5tupleIJNSC_6TensorESJ_SJ_EERKSJ_lbbbEUlllE1_EE10hipError_tPvRmT2_T3_mT4_P12ihipStream_tbEUlmE_lEESB_NS0_8identityIvEEEESO_SR_SS_mST_SV_bEUlT_E_NS1_11comp_targetILNS1_3genE3ELNS1_11target_archE908ELNS1_3gpuE7ELNS1_3repE0EEENS1_30default_config_static_selectorELNS0_4arch9wavefront6targetE1EEEvT1_,comdat
.Lfunc_end1281:
	.size	_ZN7rocprim17ROCPRIM_400000_NS6detail17trampoline_kernelINS0_14default_configENS1_25transform_config_selectorIlLb0EEEZNS1_14transform_implILb0ES3_S5_NS0_18transform_iteratorINS0_17counting_iteratorImlEEZNS1_24adjacent_difference_implIS3_Lb1ELb0EPlSB_ZN2at6native12_GLOBAL__N_124unique_dim_cuda_templateIN3c104HalfEEESt5tupleIJNSC_6TensorESJ_SJ_EERKSJ_lbbbEUlllE1_EE10hipError_tPvRmT2_T3_mT4_P12ihipStream_tbEUlmE_lEESB_NS0_8identityIvEEEESO_SR_SS_mST_SV_bEUlT_E_NS1_11comp_targetILNS1_3genE3ELNS1_11target_archE908ELNS1_3gpuE7ELNS1_3repE0EEENS1_30default_config_static_selectorELNS0_4arch9wavefront6targetE1EEEvT1_, .Lfunc_end1281-_ZN7rocprim17ROCPRIM_400000_NS6detail17trampoline_kernelINS0_14default_configENS1_25transform_config_selectorIlLb0EEEZNS1_14transform_implILb0ES3_S5_NS0_18transform_iteratorINS0_17counting_iteratorImlEEZNS1_24adjacent_difference_implIS3_Lb1ELb0EPlSB_ZN2at6native12_GLOBAL__N_124unique_dim_cuda_templateIN3c104HalfEEESt5tupleIJNSC_6TensorESJ_SJ_EERKSJ_lbbbEUlllE1_EE10hipError_tPvRmT2_T3_mT4_P12ihipStream_tbEUlmE_lEESB_NS0_8identityIvEEEESO_SR_SS_mST_SV_bEUlT_E_NS1_11comp_targetILNS1_3genE3ELNS1_11target_archE908ELNS1_3gpuE7ELNS1_3repE0EEENS1_30default_config_static_selectorELNS0_4arch9wavefront6targetE1EEEvT1_
                                        ; -- End function
	.section	.AMDGPU.csdata,"",@progbits
; Kernel info:
; codeLenInByte = 0
; NumSgprs: 4
; NumVgprs: 0
; NumAgprs: 0
; TotalNumVgprs: 0
; ScratchSize: 0
; MemoryBound: 0
; FloatMode: 240
; IeeeMode: 1
; LDSByteSize: 0 bytes/workgroup (compile time only)
; SGPRBlocks: 0
; VGPRBlocks: 0
; NumSGPRsForWavesPerEU: 4
; NumVGPRsForWavesPerEU: 1
; AccumOffset: 4
; Occupancy: 8
; WaveLimiterHint : 0
; COMPUTE_PGM_RSRC2:SCRATCH_EN: 0
; COMPUTE_PGM_RSRC2:USER_SGPR: 6
; COMPUTE_PGM_RSRC2:TRAP_HANDLER: 0
; COMPUTE_PGM_RSRC2:TGID_X_EN: 1
; COMPUTE_PGM_RSRC2:TGID_Y_EN: 0
; COMPUTE_PGM_RSRC2:TGID_Z_EN: 0
; COMPUTE_PGM_RSRC2:TIDIG_COMP_CNT: 0
; COMPUTE_PGM_RSRC3_GFX90A:ACCUM_OFFSET: 0
; COMPUTE_PGM_RSRC3_GFX90A:TG_SPLIT: 0
	.section	.text._ZN7rocprim17ROCPRIM_400000_NS6detail17trampoline_kernelINS0_14default_configENS1_25transform_config_selectorIlLb0EEEZNS1_14transform_implILb0ES3_S5_NS0_18transform_iteratorINS0_17counting_iteratorImlEEZNS1_24adjacent_difference_implIS3_Lb1ELb0EPlSB_ZN2at6native12_GLOBAL__N_124unique_dim_cuda_templateIN3c104HalfEEESt5tupleIJNSC_6TensorESJ_SJ_EERKSJ_lbbbEUlllE1_EE10hipError_tPvRmT2_T3_mT4_P12ihipStream_tbEUlmE_lEESB_NS0_8identityIvEEEESO_SR_SS_mST_SV_bEUlT_E_NS1_11comp_targetILNS1_3genE2ELNS1_11target_archE906ELNS1_3gpuE6ELNS1_3repE0EEENS1_30default_config_static_selectorELNS0_4arch9wavefront6targetE1EEEvT1_,"axG",@progbits,_ZN7rocprim17ROCPRIM_400000_NS6detail17trampoline_kernelINS0_14default_configENS1_25transform_config_selectorIlLb0EEEZNS1_14transform_implILb0ES3_S5_NS0_18transform_iteratorINS0_17counting_iteratorImlEEZNS1_24adjacent_difference_implIS3_Lb1ELb0EPlSB_ZN2at6native12_GLOBAL__N_124unique_dim_cuda_templateIN3c104HalfEEESt5tupleIJNSC_6TensorESJ_SJ_EERKSJ_lbbbEUlllE1_EE10hipError_tPvRmT2_T3_mT4_P12ihipStream_tbEUlmE_lEESB_NS0_8identityIvEEEESO_SR_SS_mST_SV_bEUlT_E_NS1_11comp_targetILNS1_3genE2ELNS1_11target_archE906ELNS1_3gpuE6ELNS1_3repE0EEENS1_30default_config_static_selectorELNS0_4arch9wavefront6targetE1EEEvT1_,comdat
	.globl	_ZN7rocprim17ROCPRIM_400000_NS6detail17trampoline_kernelINS0_14default_configENS1_25transform_config_selectorIlLb0EEEZNS1_14transform_implILb0ES3_S5_NS0_18transform_iteratorINS0_17counting_iteratorImlEEZNS1_24adjacent_difference_implIS3_Lb1ELb0EPlSB_ZN2at6native12_GLOBAL__N_124unique_dim_cuda_templateIN3c104HalfEEESt5tupleIJNSC_6TensorESJ_SJ_EERKSJ_lbbbEUlllE1_EE10hipError_tPvRmT2_T3_mT4_P12ihipStream_tbEUlmE_lEESB_NS0_8identityIvEEEESO_SR_SS_mST_SV_bEUlT_E_NS1_11comp_targetILNS1_3genE2ELNS1_11target_archE906ELNS1_3gpuE6ELNS1_3repE0EEENS1_30default_config_static_selectorELNS0_4arch9wavefront6targetE1EEEvT1_ ; -- Begin function _ZN7rocprim17ROCPRIM_400000_NS6detail17trampoline_kernelINS0_14default_configENS1_25transform_config_selectorIlLb0EEEZNS1_14transform_implILb0ES3_S5_NS0_18transform_iteratorINS0_17counting_iteratorImlEEZNS1_24adjacent_difference_implIS3_Lb1ELb0EPlSB_ZN2at6native12_GLOBAL__N_124unique_dim_cuda_templateIN3c104HalfEEESt5tupleIJNSC_6TensorESJ_SJ_EERKSJ_lbbbEUlllE1_EE10hipError_tPvRmT2_T3_mT4_P12ihipStream_tbEUlmE_lEESB_NS0_8identityIvEEEESO_SR_SS_mST_SV_bEUlT_E_NS1_11comp_targetILNS1_3genE2ELNS1_11target_archE906ELNS1_3gpuE6ELNS1_3repE0EEENS1_30default_config_static_selectorELNS0_4arch9wavefront6targetE1EEEvT1_
	.p2align	8
	.type	_ZN7rocprim17ROCPRIM_400000_NS6detail17trampoline_kernelINS0_14default_configENS1_25transform_config_selectorIlLb0EEEZNS1_14transform_implILb0ES3_S5_NS0_18transform_iteratorINS0_17counting_iteratorImlEEZNS1_24adjacent_difference_implIS3_Lb1ELb0EPlSB_ZN2at6native12_GLOBAL__N_124unique_dim_cuda_templateIN3c104HalfEEESt5tupleIJNSC_6TensorESJ_SJ_EERKSJ_lbbbEUlllE1_EE10hipError_tPvRmT2_T3_mT4_P12ihipStream_tbEUlmE_lEESB_NS0_8identityIvEEEESO_SR_SS_mST_SV_bEUlT_E_NS1_11comp_targetILNS1_3genE2ELNS1_11target_archE906ELNS1_3gpuE6ELNS1_3repE0EEENS1_30default_config_static_selectorELNS0_4arch9wavefront6targetE1EEEvT1_,@function
_ZN7rocprim17ROCPRIM_400000_NS6detail17trampoline_kernelINS0_14default_configENS1_25transform_config_selectorIlLb0EEEZNS1_14transform_implILb0ES3_S5_NS0_18transform_iteratorINS0_17counting_iteratorImlEEZNS1_24adjacent_difference_implIS3_Lb1ELb0EPlSB_ZN2at6native12_GLOBAL__N_124unique_dim_cuda_templateIN3c104HalfEEESt5tupleIJNSC_6TensorESJ_SJ_EERKSJ_lbbbEUlllE1_EE10hipError_tPvRmT2_T3_mT4_P12ihipStream_tbEUlmE_lEESB_NS0_8identityIvEEEESO_SR_SS_mST_SV_bEUlT_E_NS1_11comp_targetILNS1_3genE2ELNS1_11target_archE906ELNS1_3gpuE6ELNS1_3repE0EEENS1_30default_config_static_selectorELNS0_4arch9wavefront6targetE1EEEvT1_: ; @_ZN7rocprim17ROCPRIM_400000_NS6detail17trampoline_kernelINS0_14default_configENS1_25transform_config_selectorIlLb0EEEZNS1_14transform_implILb0ES3_S5_NS0_18transform_iteratorINS0_17counting_iteratorImlEEZNS1_24adjacent_difference_implIS3_Lb1ELb0EPlSB_ZN2at6native12_GLOBAL__N_124unique_dim_cuda_templateIN3c104HalfEEESt5tupleIJNSC_6TensorESJ_SJ_EERKSJ_lbbbEUlllE1_EE10hipError_tPvRmT2_T3_mT4_P12ihipStream_tbEUlmE_lEESB_NS0_8identityIvEEEESO_SR_SS_mST_SV_bEUlT_E_NS1_11comp_targetILNS1_3genE2ELNS1_11target_archE906ELNS1_3gpuE6ELNS1_3repE0EEENS1_30default_config_static_selectorELNS0_4arch9wavefront6targetE1EEEvT1_
; %bb.0:
	.section	.rodata,"a",@progbits
	.p2align	6, 0x0
	.amdhsa_kernel _ZN7rocprim17ROCPRIM_400000_NS6detail17trampoline_kernelINS0_14default_configENS1_25transform_config_selectorIlLb0EEEZNS1_14transform_implILb0ES3_S5_NS0_18transform_iteratorINS0_17counting_iteratorImlEEZNS1_24adjacent_difference_implIS3_Lb1ELb0EPlSB_ZN2at6native12_GLOBAL__N_124unique_dim_cuda_templateIN3c104HalfEEESt5tupleIJNSC_6TensorESJ_SJ_EERKSJ_lbbbEUlllE1_EE10hipError_tPvRmT2_T3_mT4_P12ihipStream_tbEUlmE_lEESB_NS0_8identityIvEEEESO_SR_SS_mST_SV_bEUlT_E_NS1_11comp_targetILNS1_3genE2ELNS1_11target_archE906ELNS1_3gpuE6ELNS1_3repE0EEENS1_30default_config_static_selectorELNS0_4arch9wavefront6targetE1EEEvT1_
		.amdhsa_group_segment_fixed_size 0
		.amdhsa_private_segment_fixed_size 0
		.amdhsa_kernarg_size 56
		.amdhsa_user_sgpr_count 6
		.amdhsa_user_sgpr_private_segment_buffer 1
		.amdhsa_user_sgpr_dispatch_ptr 0
		.amdhsa_user_sgpr_queue_ptr 0
		.amdhsa_user_sgpr_kernarg_segment_ptr 1
		.amdhsa_user_sgpr_dispatch_id 0
		.amdhsa_user_sgpr_flat_scratch_init 0
		.amdhsa_user_sgpr_kernarg_preload_length 0
		.amdhsa_user_sgpr_kernarg_preload_offset 0
		.amdhsa_user_sgpr_private_segment_size 0
		.amdhsa_uses_dynamic_stack 0
		.amdhsa_system_sgpr_private_segment_wavefront_offset 0
		.amdhsa_system_sgpr_workgroup_id_x 1
		.amdhsa_system_sgpr_workgroup_id_y 0
		.amdhsa_system_sgpr_workgroup_id_z 0
		.amdhsa_system_sgpr_workgroup_info 0
		.amdhsa_system_vgpr_workitem_id 0
		.amdhsa_next_free_vgpr 1
		.amdhsa_next_free_sgpr 0
		.amdhsa_accum_offset 4
		.amdhsa_reserve_vcc 0
		.amdhsa_reserve_flat_scratch 0
		.amdhsa_float_round_mode_32 0
		.amdhsa_float_round_mode_16_64 0
		.amdhsa_float_denorm_mode_32 3
		.amdhsa_float_denorm_mode_16_64 3
		.amdhsa_dx10_clamp 1
		.amdhsa_ieee_mode 1
		.amdhsa_fp16_overflow 0
		.amdhsa_tg_split 0
		.amdhsa_exception_fp_ieee_invalid_op 0
		.amdhsa_exception_fp_denorm_src 0
		.amdhsa_exception_fp_ieee_div_zero 0
		.amdhsa_exception_fp_ieee_overflow 0
		.amdhsa_exception_fp_ieee_underflow 0
		.amdhsa_exception_fp_ieee_inexact 0
		.amdhsa_exception_int_div_zero 0
	.end_amdhsa_kernel
	.section	.text._ZN7rocprim17ROCPRIM_400000_NS6detail17trampoline_kernelINS0_14default_configENS1_25transform_config_selectorIlLb0EEEZNS1_14transform_implILb0ES3_S5_NS0_18transform_iteratorINS0_17counting_iteratorImlEEZNS1_24adjacent_difference_implIS3_Lb1ELb0EPlSB_ZN2at6native12_GLOBAL__N_124unique_dim_cuda_templateIN3c104HalfEEESt5tupleIJNSC_6TensorESJ_SJ_EERKSJ_lbbbEUlllE1_EE10hipError_tPvRmT2_T3_mT4_P12ihipStream_tbEUlmE_lEESB_NS0_8identityIvEEEESO_SR_SS_mST_SV_bEUlT_E_NS1_11comp_targetILNS1_3genE2ELNS1_11target_archE906ELNS1_3gpuE6ELNS1_3repE0EEENS1_30default_config_static_selectorELNS0_4arch9wavefront6targetE1EEEvT1_,"axG",@progbits,_ZN7rocprim17ROCPRIM_400000_NS6detail17trampoline_kernelINS0_14default_configENS1_25transform_config_selectorIlLb0EEEZNS1_14transform_implILb0ES3_S5_NS0_18transform_iteratorINS0_17counting_iteratorImlEEZNS1_24adjacent_difference_implIS3_Lb1ELb0EPlSB_ZN2at6native12_GLOBAL__N_124unique_dim_cuda_templateIN3c104HalfEEESt5tupleIJNSC_6TensorESJ_SJ_EERKSJ_lbbbEUlllE1_EE10hipError_tPvRmT2_T3_mT4_P12ihipStream_tbEUlmE_lEESB_NS0_8identityIvEEEESO_SR_SS_mST_SV_bEUlT_E_NS1_11comp_targetILNS1_3genE2ELNS1_11target_archE906ELNS1_3gpuE6ELNS1_3repE0EEENS1_30default_config_static_selectorELNS0_4arch9wavefront6targetE1EEEvT1_,comdat
.Lfunc_end1282:
	.size	_ZN7rocprim17ROCPRIM_400000_NS6detail17trampoline_kernelINS0_14default_configENS1_25transform_config_selectorIlLb0EEEZNS1_14transform_implILb0ES3_S5_NS0_18transform_iteratorINS0_17counting_iteratorImlEEZNS1_24adjacent_difference_implIS3_Lb1ELb0EPlSB_ZN2at6native12_GLOBAL__N_124unique_dim_cuda_templateIN3c104HalfEEESt5tupleIJNSC_6TensorESJ_SJ_EERKSJ_lbbbEUlllE1_EE10hipError_tPvRmT2_T3_mT4_P12ihipStream_tbEUlmE_lEESB_NS0_8identityIvEEEESO_SR_SS_mST_SV_bEUlT_E_NS1_11comp_targetILNS1_3genE2ELNS1_11target_archE906ELNS1_3gpuE6ELNS1_3repE0EEENS1_30default_config_static_selectorELNS0_4arch9wavefront6targetE1EEEvT1_, .Lfunc_end1282-_ZN7rocprim17ROCPRIM_400000_NS6detail17trampoline_kernelINS0_14default_configENS1_25transform_config_selectorIlLb0EEEZNS1_14transform_implILb0ES3_S5_NS0_18transform_iteratorINS0_17counting_iteratorImlEEZNS1_24adjacent_difference_implIS3_Lb1ELb0EPlSB_ZN2at6native12_GLOBAL__N_124unique_dim_cuda_templateIN3c104HalfEEESt5tupleIJNSC_6TensorESJ_SJ_EERKSJ_lbbbEUlllE1_EE10hipError_tPvRmT2_T3_mT4_P12ihipStream_tbEUlmE_lEESB_NS0_8identityIvEEEESO_SR_SS_mST_SV_bEUlT_E_NS1_11comp_targetILNS1_3genE2ELNS1_11target_archE906ELNS1_3gpuE6ELNS1_3repE0EEENS1_30default_config_static_selectorELNS0_4arch9wavefront6targetE1EEEvT1_
                                        ; -- End function
	.section	.AMDGPU.csdata,"",@progbits
; Kernel info:
; codeLenInByte = 0
; NumSgprs: 4
; NumVgprs: 0
; NumAgprs: 0
; TotalNumVgprs: 0
; ScratchSize: 0
; MemoryBound: 0
; FloatMode: 240
; IeeeMode: 1
; LDSByteSize: 0 bytes/workgroup (compile time only)
; SGPRBlocks: 0
; VGPRBlocks: 0
; NumSGPRsForWavesPerEU: 4
; NumVGPRsForWavesPerEU: 1
; AccumOffset: 4
; Occupancy: 8
; WaveLimiterHint : 0
; COMPUTE_PGM_RSRC2:SCRATCH_EN: 0
; COMPUTE_PGM_RSRC2:USER_SGPR: 6
; COMPUTE_PGM_RSRC2:TRAP_HANDLER: 0
; COMPUTE_PGM_RSRC2:TGID_X_EN: 1
; COMPUTE_PGM_RSRC2:TGID_Y_EN: 0
; COMPUTE_PGM_RSRC2:TGID_Z_EN: 0
; COMPUTE_PGM_RSRC2:TIDIG_COMP_CNT: 0
; COMPUTE_PGM_RSRC3_GFX90A:ACCUM_OFFSET: 0
; COMPUTE_PGM_RSRC3_GFX90A:TG_SPLIT: 0
	.section	.text._ZN7rocprim17ROCPRIM_400000_NS6detail17trampoline_kernelINS0_14default_configENS1_25transform_config_selectorIlLb0EEEZNS1_14transform_implILb0ES3_S5_NS0_18transform_iteratorINS0_17counting_iteratorImlEEZNS1_24adjacent_difference_implIS3_Lb1ELb0EPlSB_ZN2at6native12_GLOBAL__N_124unique_dim_cuda_templateIN3c104HalfEEESt5tupleIJNSC_6TensorESJ_SJ_EERKSJ_lbbbEUlllE1_EE10hipError_tPvRmT2_T3_mT4_P12ihipStream_tbEUlmE_lEESB_NS0_8identityIvEEEESO_SR_SS_mST_SV_bEUlT_E_NS1_11comp_targetILNS1_3genE10ELNS1_11target_archE1201ELNS1_3gpuE5ELNS1_3repE0EEENS1_30default_config_static_selectorELNS0_4arch9wavefront6targetE1EEEvT1_,"axG",@progbits,_ZN7rocprim17ROCPRIM_400000_NS6detail17trampoline_kernelINS0_14default_configENS1_25transform_config_selectorIlLb0EEEZNS1_14transform_implILb0ES3_S5_NS0_18transform_iteratorINS0_17counting_iteratorImlEEZNS1_24adjacent_difference_implIS3_Lb1ELb0EPlSB_ZN2at6native12_GLOBAL__N_124unique_dim_cuda_templateIN3c104HalfEEESt5tupleIJNSC_6TensorESJ_SJ_EERKSJ_lbbbEUlllE1_EE10hipError_tPvRmT2_T3_mT4_P12ihipStream_tbEUlmE_lEESB_NS0_8identityIvEEEESO_SR_SS_mST_SV_bEUlT_E_NS1_11comp_targetILNS1_3genE10ELNS1_11target_archE1201ELNS1_3gpuE5ELNS1_3repE0EEENS1_30default_config_static_selectorELNS0_4arch9wavefront6targetE1EEEvT1_,comdat
	.globl	_ZN7rocprim17ROCPRIM_400000_NS6detail17trampoline_kernelINS0_14default_configENS1_25transform_config_selectorIlLb0EEEZNS1_14transform_implILb0ES3_S5_NS0_18transform_iteratorINS0_17counting_iteratorImlEEZNS1_24adjacent_difference_implIS3_Lb1ELb0EPlSB_ZN2at6native12_GLOBAL__N_124unique_dim_cuda_templateIN3c104HalfEEESt5tupleIJNSC_6TensorESJ_SJ_EERKSJ_lbbbEUlllE1_EE10hipError_tPvRmT2_T3_mT4_P12ihipStream_tbEUlmE_lEESB_NS0_8identityIvEEEESO_SR_SS_mST_SV_bEUlT_E_NS1_11comp_targetILNS1_3genE10ELNS1_11target_archE1201ELNS1_3gpuE5ELNS1_3repE0EEENS1_30default_config_static_selectorELNS0_4arch9wavefront6targetE1EEEvT1_ ; -- Begin function _ZN7rocprim17ROCPRIM_400000_NS6detail17trampoline_kernelINS0_14default_configENS1_25transform_config_selectorIlLb0EEEZNS1_14transform_implILb0ES3_S5_NS0_18transform_iteratorINS0_17counting_iteratorImlEEZNS1_24adjacent_difference_implIS3_Lb1ELb0EPlSB_ZN2at6native12_GLOBAL__N_124unique_dim_cuda_templateIN3c104HalfEEESt5tupleIJNSC_6TensorESJ_SJ_EERKSJ_lbbbEUlllE1_EE10hipError_tPvRmT2_T3_mT4_P12ihipStream_tbEUlmE_lEESB_NS0_8identityIvEEEESO_SR_SS_mST_SV_bEUlT_E_NS1_11comp_targetILNS1_3genE10ELNS1_11target_archE1201ELNS1_3gpuE5ELNS1_3repE0EEENS1_30default_config_static_selectorELNS0_4arch9wavefront6targetE1EEEvT1_
	.p2align	8
	.type	_ZN7rocprim17ROCPRIM_400000_NS6detail17trampoline_kernelINS0_14default_configENS1_25transform_config_selectorIlLb0EEEZNS1_14transform_implILb0ES3_S5_NS0_18transform_iteratorINS0_17counting_iteratorImlEEZNS1_24adjacent_difference_implIS3_Lb1ELb0EPlSB_ZN2at6native12_GLOBAL__N_124unique_dim_cuda_templateIN3c104HalfEEESt5tupleIJNSC_6TensorESJ_SJ_EERKSJ_lbbbEUlllE1_EE10hipError_tPvRmT2_T3_mT4_P12ihipStream_tbEUlmE_lEESB_NS0_8identityIvEEEESO_SR_SS_mST_SV_bEUlT_E_NS1_11comp_targetILNS1_3genE10ELNS1_11target_archE1201ELNS1_3gpuE5ELNS1_3repE0EEENS1_30default_config_static_selectorELNS0_4arch9wavefront6targetE1EEEvT1_,@function
_ZN7rocprim17ROCPRIM_400000_NS6detail17trampoline_kernelINS0_14default_configENS1_25transform_config_selectorIlLb0EEEZNS1_14transform_implILb0ES3_S5_NS0_18transform_iteratorINS0_17counting_iteratorImlEEZNS1_24adjacent_difference_implIS3_Lb1ELb0EPlSB_ZN2at6native12_GLOBAL__N_124unique_dim_cuda_templateIN3c104HalfEEESt5tupleIJNSC_6TensorESJ_SJ_EERKSJ_lbbbEUlllE1_EE10hipError_tPvRmT2_T3_mT4_P12ihipStream_tbEUlmE_lEESB_NS0_8identityIvEEEESO_SR_SS_mST_SV_bEUlT_E_NS1_11comp_targetILNS1_3genE10ELNS1_11target_archE1201ELNS1_3gpuE5ELNS1_3repE0EEENS1_30default_config_static_selectorELNS0_4arch9wavefront6targetE1EEEvT1_: ; @_ZN7rocprim17ROCPRIM_400000_NS6detail17trampoline_kernelINS0_14default_configENS1_25transform_config_selectorIlLb0EEEZNS1_14transform_implILb0ES3_S5_NS0_18transform_iteratorINS0_17counting_iteratorImlEEZNS1_24adjacent_difference_implIS3_Lb1ELb0EPlSB_ZN2at6native12_GLOBAL__N_124unique_dim_cuda_templateIN3c104HalfEEESt5tupleIJNSC_6TensorESJ_SJ_EERKSJ_lbbbEUlllE1_EE10hipError_tPvRmT2_T3_mT4_P12ihipStream_tbEUlmE_lEESB_NS0_8identityIvEEEESO_SR_SS_mST_SV_bEUlT_E_NS1_11comp_targetILNS1_3genE10ELNS1_11target_archE1201ELNS1_3gpuE5ELNS1_3repE0EEENS1_30default_config_static_selectorELNS0_4arch9wavefront6targetE1EEEvT1_
; %bb.0:
	.section	.rodata,"a",@progbits
	.p2align	6, 0x0
	.amdhsa_kernel _ZN7rocprim17ROCPRIM_400000_NS6detail17trampoline_kernelINS0_14default_configENS1_25transform_config_selectorIlLb0EEEZNS1_14transform_implILb0ES3_S5_NS0_18transform_iteratorINS0_17counting_iteratorImlEEZNS1_24adjacent_difference_implIS3_Lb1ELb0EPlSB_ZN2at6native12_GLOBAL__N_124unique_dim_cuda_templateIN3c104HalfEEESt5tupleIJNSC_6TensorESJ_SJ_EERKSJ_lbbbEUlllE1_EE10hipError_tPvRmT2_T3_mT4_P12ihipStream_tbEUlmE_lEESB_NS0_8identityIvEEEESO_SR_SS_mST_SV_bEUlT_E_NS1_11comp_targetILNS1_3genE10ELNS1_11target_archE1201ELNS1_3gpuE5ELNS1_3repE0EEENS1_30default_config_static_selectorELNS0_4arch9wavefront6targetE1EEEvT1_
		.amdhsa_group_segment_fixed_size 0
		.amdhsa_private_segment_fixed_size 0
		.amdhsa_kernarg_size 56
		.amdhsa_user_sgpr_count 6
		.amdhsa_user_sgpr_private_segment_buffer 1
		.amdhsa_user_sgpr_dispatch_ptr 0
		.amdhsa_user_sgpr_queue_ptr 0
		.amdhsa_user_sgpr_kernarg_segment_ptr 1
		.amdhsa_user_sgpr_dispatch_id 0
		.amdhsa_user_sgpr_flat_scratch_init 0
		.amdhsa_user_sgpr_kernarg_preload_length 0
		.amdhsa_user_sgpr_kernarg_preload_offset 0
		.amdhsa_user_sgpr_private_segment_size 0
		.amdhsa_uses_dynamic_stack 0
		.amdhsa_system_sgpr_private_segment_wavefront_offset 0
		.amdhsa_system_sgpr_workgroup_id_x 1
		.amdhsa_system_sgpr_workgroup_id_y 0
		.amdhsa_system_sgpr_workgroup_id_z 0
		.amdhsa_system_sgpr_workgroup_info 0
		.amdhsa_system_vgpr_workitem_id 0
		.amdhsa_next_free_vgpr 1
		.amdhsa_next_free_sgpr 0
		.amdhsa_accum_offset 4
		.amdhsa_reserve_vcc 0
		.amdhsa_reserve_flat_scratch 0
		.amdhsa_float_round_mode_32 0
		.amdhsa_float_round_mode_16_64 0
		.amdhsa_float_denorm_mode_32 3
		.amdhsa_float_denorm_mode_16_64 3
		.amdhsa_dx10_clamp 1
		.amdhsa_ieee_mode 1
		.amdhsa_fp16_overflow 0
		.amdhsa_tg_split 0
		.amdhsa_exception_fp_ieee_invalid_op 0
		.amdhsa_exception_fp_denorm_src 0
		.amdhsa_exception_fp_ieee_div_zero 0
		.amdhsa_exception_fp_ieee_overflow 0
		.amdhsa_exception_fp_ieee_underflow 0
		.amdhsa_exception_fp_ieee_inexact 0
		.amdhsa_exception_int_div_zero 0
	.end_amdhsa_kernel
	.section	.text._ZN7rocprim17ROCPRIM_400000_NS6detail17trampoline_kernelINS0_14default_configENS1_25transform_config_selectorIlLb0EEEZNS1_14transform_implILb0ES3_S5_NS0_18transform_iteratorINS0_17counting_iteratorImlEEZNS1_24adjacent_difference_implIS3_Lb1ELb0EPlSB_ZN2at6native12_GLOBAL__N_124unique_dim_cuda_templateIN3c104HalfEEESt5tupleIJNSC_6TensorESJ_SJ_EERKSJ_lbbbEUlllE1_EE10hipError_tPvRmT2_T3_mT4_P12ihipStream_tbEUlmE_lEESB_NS0_8identityIvEEEESO_SR_SS_mST_SV_bEUlT_E_NS1_11comp_targetILNS1_3genE10ELNS1_11target_archE1201ELNS1_3gpuE5ELNS1_3repE0EEENS1_30default_config_static_selectorELNS0_4arch9wavefront6targetE1EEEvT1_,"axG",@progbits,_ZN7rocprim17ROCPRIM_400000_NS6detail17trampoline_kernelINS0_14default_configENS1_25transform_config_selectorIlLb0EEEZNS1_14transform_implILb0ES3_S5_NS0_18transform_iteratorINS0_17counting_iteratorImlEEZNS1_24adjacent_difference_implIS3_Lb1ELb0EPlSB_ZN2at6native12_GLOBAL__N_124unique_dim_cuda_templateIN3c104HalfEEESt5tupleIJNSC_6TensorESJ_SJ_EERKSJ_lbbbEUlllE1_EE10hipError_tPvRmT2_T3_mT4_P12ihipStream_tbEUlmE_lEESB_NS0_8identityIvEEEESO_SR_SS_mST_SV_bEUlT_E_NS1_11comp_targetILNS1_3genE10ELNS1_11target_archE1201ELNS1_3gpuE5ELNS1_3repE0EEENS1_30default_config_static_selectorELNS0_4arch9wavefront6targetE1EEEvT1_,comdat
.Lfunc_end1283:
	.size	_ZN7rocprim17ROCPRIM_400000_NS6detail17trampoline_kernelINS0_14default_configENS1_25transform_config_selectorIlLb0EEEZNS1_14transform_implILb0ES3_S5_NS0_18transform_iteratorINS0_17counting_iteratorImlEEZNS1_24adjacent_difference_implIS3_Lb1ELb0EPlSB_ZN2at6native12_GLOBAL__N_124unique_dim_cuda_templateIN3c104HalfEEESt5tupleIJNSC_6TensorESJ_SJ_EERKSJ_lbbbEUlllE1_EE10hipError_tPvRmT2_T3_mT4_P12ihipStream_tbEUlmE_lEESB_NS0_8identityIvEEEESO_SR_SS_mST_SV_bEUlT_E_NS1_11comp_targetILNS1_3genE10ELNS1_11target_archE1201ELNS1_3gpuE5ELNS1_3repE0EEENS1_30default_config_static_selectorELNS0_4arch9wavefront6targetE1EEEvT1_, .Lfunc_end1283-_ZN7rocprim17ROCPRIM_400000_NS6detail17trampoline_kernelINS0_14default_configENS1_25transform_config_selectorIlLb0EEEZNS1_14transform_implILb0ES3_S5_NS0_18transform_iteratorINS0_17counting_iteratorImlEEZNS1_24adjacent_difference_implIS3_Lb1ELb0EPlSB_ZN2at6native12_GLOBAL__N_124unique_dim_cuda_templateIN3c104HalfEEESt5tupleIJNSC_6TensorESJ_SJ_EERKSJ_lbbbEUlllE1_EE10hipError_tPvRmT2_T3_mT4_P12ihipStream_tbEUlmE_lEESB_NS0_8identityIvEEEESO_SR_SS_mST_SV_bEUlT_E_NS1_11comp_targetILNS1_3genE10ELNS1_11target_archE1201ELNS1_3gpuE5ELNS1_3repE0EEENS1_30default_config_static_selectorELNS0_4arch9wavefront6targetE1EEEvT1_
                                        ; -- End function
	.section	.AMDGPU.csdata,"",@progbits
; Kernel info:
; codeLenInByte = 0
; NumSgprs: 4
; NumVgprs: 0
; NumAgprs: 0
; TotalNumVgprs: 0
; ScratchSize: 0
; MemoryBound: 0
; FloatMode: 240
; IeeeMode: 1
; LDSByteSize: 0 bytes/workgroup (compile time only)
; SGPRBlocks: 0
; VGPRBlocks: 0
; NumSGPRsForWavesPerEU: 4
; NumVGPRsForWavesPerEU: 1
; AccumOffset: 4
; Occupancy: 8
; WaveLimiterHint : 0
; COMPUTE_PGM_RSRC2:SCRATCH_EN: 0
; COMPUTE_PGM_RSRC2:USER_SGPR: 6
; COMPUTE_PGM_RSRC2:TRAP_HANDLER: 0
; COMPUTE_PGM_RSRC2:TGID_X_EN: 1
; COMPUTE_PGM_RSRC2:TGID_Y_EN: 0
; COMPUTE_PGM_RSRC2:TGID_Z_EN: 0
; COMPUTE_PGM_RSRC2:TIDIG_COMP_CNT: 0
; COMPUTE_PGM_RSRC3_GFX90A:ACCUM_OFFSET: 0
; COMPUTE_PGM_RSRC3_GFX90A:TG_SPLIT: 0
	.section	.text._ZN7rocprim17ROCPRIM_400000_NS6detail17trampoline_kernelINS0_14default_configENS1_25transform_config_selectorIlLb0EEEZNS1_14transform_implILb0ES3_S5_NS0_18transform_iteratorINS0_17counting_iteratorImlEEZNS1_24adjacent_difference_implIS3_Lb1ELb0EPlSB_ZN2at6native12_GLOBAL__N_124unique_dim_cuda_templateIN3c104HalfEEESt5tupleIJNSC_6TensorESJ_SJ_EERKSJ_lbbbEUlllE1_EE10hipError_tPvRmT2_T3_mT4_P12ihipStream_tbEUlmE_lEESB_NS0_8identityIvEEEESO_SR_SS_mST_SV_bEUlT_E_NS1_11comp_targetILNS1_3genE10ELNS1_11target_archE1200ELNS1_3gpuE4ELNS1_3repE0EEENS1_30default_config_static_selectorELNS0_4arch9wavefront6targetE1EEEvT1_,"axG",@progbits,_ZN7rocprim17ROCPRIM_400000_NS6detail17trampoline_kernelINS0_14default_configENS1_25transform_config_selectorIlLb0EEEZNS1_14transform_implILb0ES3_S5_NS0_18transform_iteratorINS0_17counting_iteratorImlEEZNS1_24adjacent_difference_implIS3_Lb1ELb0EPlSB_ZN2at6native12_GLOBAL__N_124unique_dim_cuda_templateIN3c104HalfEEESt5tupleIJNSC_6TensorESJ_SJ_EERKSJ_lbbbEUlllE1_EE10hipError_tPvRmT2_T3_mT4_P12ihipStream_tbEUlmE_lEESB_NS0_8identityIvEEEESO_SR_SS_mST_SV_bEUlT_E_NS1_11comp_targetILNS1_3genE10ELNS1_11target_archE1200ELNS1_3gpuE4ELNS1_3repE0EEENS1_30default_config_static_selectorELNS0_4arch9wavefront6targetE1EEEvT1_,comdat
	.globl	_ZN7rocprim17ROCPRIM_400000_NS6detail17trampoline_kernelINS0_14default_configENS1_25transform_config_selectorIlLb0EEEZNS1_14transform_implILb0ES3_S5_NS0_18transform_iteratorINS0_17counting_iteratorImlEEZNS1_24adjacent_difference_implIS3_Lb1ELb0EPlSB_ZN2at6native12_GLOBAL__N_124unique_dim_cuda_templateIN3c104HalfEEESt5tupleIJNSC_6TensorESJ_SJ_EERKSJ_lbbbEUlllE1_EE10hipError_tPvRmT2_T3_mT4_P12ihipStream_tbEUlmE_lEESB_NS0_8identityIvEEEESO_SR_SS_mST_SV_bEUlT_E_NS1_11comp_targetILNS1_3genE10ELNS1_11target_archE1200ELNS1_3gpuE4ELNS1_3repE0EEENS1_30default_config_static_selectorELNS0_4arch9wavefront6targetE1EEEvT1_ ; -- Begin function _ZN7rocprim17ROCPRIM_400000_NS6detail17trampoline_kernelINS0_14default_configENS1_25transform_config_selectorIlLb0EEEZNS1_14transform_implILb0ES3_S5_NS0_18transform_iteratorINS0_17counting_iteratorImlEEZNS1_24adjacent_difference_implIS3_Lb1ELb0EPlSB_ZN2at6native12_GLOBAL__N_124unique_dim_cuda_templateIN3c104HalfEEESt5tupleIJNSC_6TensorESJ_SJ_EERKSJ_lbbbEUlllE1_EE10hipError_tPvRmT2_T3_mT4_P12ihipStream_tbEUlmE_lEESB_NS0_8identityIvEEEESO_SR_SS_mST_SV_bEUlT_E_NS1_11comp_targetILNS1_3genE10ELNS1_11target_archE1200ELNS1_3gpuE4ELNS1_3repE0EEENS1_30default_config_static_selectorELNS0_4arch9wavefront6targetE1EEEvT1_
	.p2align	8
	.type	_ZN7rocprim17ROCPRIM_400000_NS6detail17trampoline_kernelINS0_14default_configENS1_25transform_config_selectorIlLb0EEEZNS1_14transform_implILb0ES3_S5_NS0_18transform_iteratorINS0_17counting_iteratorImlEEZNS1_24adjacent_difference_implIS3_Lb1ELb0EPlSB_ZN2at6native12_GLOBAL__N_124unique_dim_cuda_templateIN3c104HalfEEESt5tupleIJNSC_6TensorESJ_SJ_EERKSJ_lbbbEUlllE1_EE10hipError_tPvRmT2_T3_mT4_P12ihipStream_tbEUlmE_lEESB_NS0_8identityIvEEEESO_SR_SS_mST_SV_bEUlT_E_NS1_11comp_targetILNS1_3genE10ELNS1_11target_archE1200ELNS1_3gpuE4ELNS1_3repE0EEENS1_30default_config_static_selectorELNS0_4arch9wavefront6targetE1EEEvT1_,@function
_ZN7rocprim17ROCPRIM_400000_NS6detail17trampoline_kernelINS0_14default_configENS1_25transform_config_selectorIlLb0EEEZNS1_14transform_implILb0ES3_S5_NS0_18transform_iteratorINS0_17counting_iteratorImlEEZNS1_24adjacent_difference_implIS3_Lb1ELb0EPlSB_ZN2at6native12_GLOBAL__N_124unique_dim_cuda_templateIN3c104HalfEEESt5tupleIJNSC_6TensorESJ_SJ_EERKSJ_lbbbEUlllE1_EE10hipError_tPvRmT2_T3_mT4_P12ihipStream_tbEUlmE_lEESB_NS0_8identityIvEEEESO_SR_SS_mST_SV_bEUlT_E_NS1_11comp_targetILNS1_3genE10ELNS1_11target_archE1200ELNS1_3gpuE4ELNS1_3repE0EEENS1_30default_config_static_selectorELNS0_4arch9wavefront6targetE1EEEvT1_: ; @_ZN7rocprim17ROCPRIM_400000_NS6detail17trampoline_kernelINS0_14default_configENS1_25transform_config_selectorIlLb0EEEZNS1_14transform_implILb0ES3_S5_NS0_18transform_iteratorINS0_17counting_iteratorImlEEZNS1_24adjacent_difference_implIS3_Lb1ELb0EPlSB_ZN2at6native12_GLOBAL__N_124unique_dim_cuda_templateIN3c104HalfEEESt5tupleIJNSC_6TensorESJ_SJ_EERKSJ_lbbbEUlllE1_EE10hipError_tPvRmT2_T3_mT4_P12ihipStream_tbEUlmE_lEESB_NS0_8identityIvEEEESO_SR_SS_mST_SV_bEUlT_E_NS1_11comp_targetILNS1_3genE10ELNS1_11target_archE1200ELNS1_3gpuE4ELNS1_3repE0EEENS1_30default_config_static_selectorELNS0_4arch9wavefront6targetE1EEEvT1_
; %bb.0:
	.section	.rodata,"a",@progbits
	.p2align	6, 0x0
	.amdhsa_kernel _ZN7rocprim17ROCPRIM_400000_NS6detail17trampoline_kernelINS0_14default_configENS1_25transform_config_selectorIlLb0EEEZNS1_14transform_implILb0ES3_S5_NS0_18transform_iteratorINS0_17counting_iteratorImlEEZNS1_24adjacent_difference_implIS3_Lb1ELb0EPlSB_ZN2at6native12_GLOBAL__N_124unique_dim_cuda_templateIN3c104HalfEEESt5tupleIJNSC_6TensorESJ_SJ_EERKSJ_lbbbEUlllE1_EE10hipError_tPvRmT2_T3_mT4_P12ihipStream_tbEUlmE_lEESB_NS0_8identityIvEEEESO_SR_SS_mST_SV_bEUlT_E_NS1_11comp_targetILNS1_3genE10ELNS1_11target_archE1200ELNS1_3gpuE4ELNS1_3repE0EEENS1_30default_config_static_selectorELNS0_4arch9wavefront6targetE1EEEvT1_
		.amdhsa_group_segment_fixed_size 0
		.amdhsa_private_segment_fixed_size 0
		.amdhsa_kernarg_size 56
		.amdhsa_user_sgpr_count 6
		.amdhsa_user_sgpr_private_segment_buffer 1
		.amdhsa_user_sgpr_dispatch_ptr 0
		.amdhsa_user_sgpr_queue_ptr 0
		.amdhsa_user_sgpr_kernarg_segment_ptr 1
		.amdhsa_user_sgpr_dispatch_id 0
		.amdhsa_user_sgpr_flat_scratch_init 0
		.amdhsa_user_sgpr_kernarg_preload_length 0
		.amdhsa_user_sgpr_kernarg_preload_offset 0
		.amdhsa_user_sgpr_private_segment_size 0
		.amdhsa_uses_dynamic_stack 0
		.amdhsa_system_sgpr_private_segment_wavefront_offset 0
		.amdhsa_system_sgpr_workgroup_id_x 1
		.amdhsa_system_sgpr_workgroup_id_y 0
		.amdhsa_system_sgpr_workgroup_id_z 0
		.amdhsa_system_sgpr_workgroup_info 0
		.amdhsa_system_vgpr_workitem_id 0
		.amdhsa_next_free_vgpr 1
		.amdhsa_next_free_sgpr 0
		.amdhsa_accum_offset 4
		.amdhsa_reserve_vcc 0
		.amdhsa_reserve_flat_scratch 0
		.amdhsa_float_round_mode_32 0
		.amdhsa_float_round_mode_16_64 0
		.amdhsa_float_denorm_mode_32 3
		.amdhsa_float_denorm_mode_16_64 3
		.amdhsa_dx10_clamp 1
		.amdhsa_ieee_mode 1
		.amdhsa_fp16_overflow 0
		.amdhsa_tg_split 0
		.amdhsa_exception_fp_ieee_invalid_op 0
		.amdhsa_exception_fp_denorm_src 0
		.amdhsa_exception_fp_ieee_div_zero 0
		.amdhsa_exception_fp_ieee_overflow 0
		.amdhsa_exception_fp_ieee_underflow 0
		.amdhsa_exception_fp_ieee_inexact 0
		.amdhsa_exception_int_div_zero 0
	.end_amdhsa_kernel
	.section	.text._ZN7rocprim17ROCPRIM_400000_NS6detail17trampoline_kernelINS0_14default_configENS1_25transform_config_selectorIlLb0EEEZNS1_14transform_implILb0ES3_S5_NS0_18transform_iteratorINS0_17counting_iteratorImlEEZNS1_24adjacent_difference_implIS3_Lb1ELb0EPlSB_ZN2at6native12_GLOBAL__N_124unique_dim_cuda_templateIN3c104HalfEEESt5tupleIJNSC_6TensorESJ_SJ_EERKSJ_lbbbEUlllE1_EE10hipError_tPvRmT2_T3_mT4_P12ihipStream_tbEUlmE_lEESB_NS0_8identityIvEEEESO_SR_SS_mST_SV_bEUlT_E_NS1_11comp_targetILNS1_3genE10ELNS1_11target_archE1200ELNS1_3gpuE4ELNS1_3repE0EEENS1_30default_config_static_selectorELNS0_4arch9wavefront6targetE1EEEvT1_,"axG",@progbits,_ZN7rocprim17ROCPRIM_400000_NS6detail17trampoline_kernelINS0_14default_configENS1_25transform_config_selectorIlLb0EEEZNS1_14transform_implILb0ES3_S5_NS0_18transform_iteratorINS0_17counting_iteratorImlEEZNS1_24adjacent_difference_implIS3_Lb1ELb0EPlSB_ZN2at6native12_GLOBAL__N_124unique_dim_cuda_templateIN3c104HalfEEESt5tupleIJNSC_6TensorESJ_SJ_EERKSJ_lbbbEUlllE1_EE10hipError_tPvRmT2_T3_mT4_P12ihipStream_tbEUlmE_lEESB_NS0_8identityIvEEEESO_SR_SS_mST_SV_bEUlT_E_NS1_11comp_targetILNS1_3genE10ELNS1_11target_archE1200ELNS1_3gpuE4ELNS1_3repE0EEENS1_30default_config_static_selectorELNS0_4arch9wavefront6targetE1EEEvT1_,comdat
.Lfunc_end1284:
	.size	_ZN7rocprim17ROCPRIM_400000_NS6detail17trampoline_kernelINS0_14default_configENS1_25transform_config_selectorIlLb0EEEZNS1_14transform_implILb0ES3_S5_NS0_18transform_iteratorINS0_17counting_iteratorImlEEZNS1_24adjacent_difference_implIS3_Lb1ELb0EPlSB_ZN2at6native12_GLOBAL__N_124unique_dim_cuda_templateIN3c104HalfEEESt5tupleIJNSC_6TensorESJ_SJ_EERKSJ_lbbbEUlllE1_EE10hipError_tPvRmT2_T3_mT4_P12ihipStream_tbEUlmE_lEESB_NS0_8identityIvEEEESO_SR_SS_mST_SV_bEUlT_E_NS1_11comp_targetILNS1_3genE10ELNS1_11target_archE1200ELNS1_3gpuE4ELNS1_3repE0EEENS1_30default_config_static_selectorELNS0_4arch9wavefront6targetE1EEEvT1_, .Lfunc_end1284-_ZN7rocprim17ROCPRIM_400000_NS6detail17trampoline_kernelINS0_14default_configENS1_25transform_config_selectorIlLb0EEEZNS1_14transform_implILb0ES3_S5_NS0_18transform_iteratorINS0_17counting_iteratorImlEEZNS1_24adjacent_difference_implIS3_Lb1ELb0EPlSB_ZN2at6native12_GLOBAL__N_124unique_dim_cuda_templateIN3c104HalfEEESt5tupleIJNSC_6TensorESJ_SJ_EERKSJ_lbbbEUlllE1_EE10hipError_tPvRmT2_T3_mT4_P12ihipStream_tbEUlmE_lEESB_NS0_8identityIvEEEESO_SR_SS_mST_SV_bEUlT_E_NS1_11comp_targetILNS1_3genE10ELNS1_11target_archE1200ELNS1_3gpuE4ELNS1_3repE0EEENS1_30default_config_static_selectorELNS0_4arch9wavefront6targetE1EEEvT1_
                                        ; -- End function
	.section	.AMDGPU.csdata,"",@progbits
; Kernel info:
; codeLenInByte = 0
; NumSgprs: 4
; NumVgprs: 0
; NumAgprs: 0
; TotalNumVgprs: 0
; ScratchSize: 0
; MemoryBound: 0
; FloatMode: 240
; IeeeMode: 1
; LDSByteSize: 0 bytes/workgroup (compile time only)
; SGPRBlocks: 0
; VGPRBlocks: 0
; NumSGPRsForWavesPerEU: 4
; NumVGPRsForWavesPerEU: 1
; AccumOffset: 4
; Occupancy: 8
; WaveLimiterHint : 0
; COMPUTE_PGM_RSRC2:SCRATCH_EN: 0
; COMPUTE_PGM_RSRC2:USER_SGPR: 6
; COMPUTE_PGM_RSRC2:TRAP_HANDLER: 0
; COMPUTE_PGM_RSRC2:TGID_X_EN: 1
; COMPUTE_PGM_RSRC2:TGID_Y_EN: 0
; COMPUTE_PGM_RSRC2:TGID_Z_EN: 0
; COMPUTE_PGM_RSRC2:TIDIG_COMP_CNT: 0
; COMPUTE_PGM_RSRC3_GFX90A:ACCUM_OFFSET: 0
; COMPUTE_PGM_RSRC3_GFX90A:TG_SPLIT: 0
	.section	.text._ZN7rocprim17ROCPRIM_400000_NS6detail17trampoline_kernelINS0_14default_configENS1_25transform_config_selectorIlLb0EEEZNS1_14transform_implILb0ES3_S5_NS0_18transform_iteratorINS0_17counting_iteratorImlEEZNS1_24adjacent_difference_implIS3_Lb1ELb0EPlSB_ZN2at6native12_GLOBAL__N_124unique_dim_cuda_templateIN3c104HalfEEESt5tupleIJNSC_6TensorESJ_SJ_EERKSJ_lbbbEUlllE1_EE10hipError_tPvRmT2_T3_mT4_P12ihipStream_tbEUlmE_lEESB_NS0_8identityIvEEEESO_SR_SS_mST_SV_bEUlT_E_NS1_11comp_targetILNS1_3genE9ELNS1_11target_archE1100ELNS1_3gpuE3ELNS1_3repE0EEENS1_30default_config_static_selectorELNS0_4arch9wavefront6targetE1EEEvT1_,"axG",@progbits,_ZN7rocprim17ROCPRIM_400000_NS6detail17trampoline_kernelINS0_14default_configENS1_25transform_config_selectorIlLb0EEEZNS1_14transform_implILb0ES3_S5_NS0_18transform_iteratorINS0_17counting_iteratorImlEEZNS1_24adjacent_difference_implIS3_Lb1ELb0EPlSB_ZN2at6native12_GLOBAL__N_124unique_dim_cuda_templateIN3c104HalfEEESt5tupleIJNSC_6TensorESJ_SJ_EERKSJ_lbbbEUlllE1_EE10hipError_tPvRmT2_T3_mT4_P12ihipStream_tbEUlmE_lEESB_NS0_8identityIvEEEESO_SR_SS_mST_SV_bEUlT_E_NS1_11comp_targetILNS1_3genE9ELNS1_11target_archE1100ELNS1_3gpuE3ELNS1_3repE0EEENS1_30default_config_static_selectorELNS0_4arch9wavefront6targetE1EEEvT1_,comdat
	.globl	_ZN7rocprim17ROCPRIM_400000_NS6detail17trampoline_kernelINS0_14default_configENS1_25transform_config_selectorIlLb0EEEZNS1_14transform_implILb0ES3_S5_NS0_18transform_iteratorINS0_17counting_iteratorImlEEZNS1_24adjacent_difference_implIS3_Lb1ELb0EPlSB_ZN2at6native12_GLOBAL__N_124unique_dim_cuda_templateIN3c104HalfEEESt5tupleIJNSC_6TensorESJ_SJ_EERKSJ_lbbbEUlllE1_EE10hipError_tPvRmT2_T3_mT4_P12ihipStream_tbEUlmE_lEESB_NS0_8identityIvEEEESO_SR_SS_mST_SV_bEUlT_E_NS1_11comp_targetILNS1_3genE9ELNS1_11target_archE1100ELNS1_3gpuE3ELNS1_3repE0EEENS1_30default_config_static_selectorELNS0_4arch9wavefront6targetE1EEEvT1_ ; -- Begin function _ZN7rocprim17ROCPRIM_400000_NS6detail17trampoline_kernelINS0_14default_configENS1_25transform_config_selectorIlLb0EEEZNS1_14transform_implILb0ES3_S5_NS0_18transform_iteratorINS0_17counting_iteratorImlEEZNS1_24adjacent_difference_implIS3_Lb1ELb0EPlSB_ZN2at6native12_GLOBAL__N_124unique_dim_cuda_templateIN3c104HalfEEESt5tupleIJNSC_6TensorESJ_SJ_EERKSJ_lbbbEUlllE1_EE10hipError_tPvRmT2_T3_mT4_P12ihipStream_tbEUlmE_lEESB_NS0_8identityIvEEEESO_SR_SS_mST_SV_bEUlT_E_NS1_11comp_targetILNS1_3genE9ELNS1_11target_archE1100ELNS1_3gpuE3ELNS1_3repE0EEENS1_30default_config_static_selectorELNS0_4arch9wavefront6targetE1EEEvT1_
	.p2align	8
	.type	_ZN7rocprim17ROCPRIM_400000_NS6detail17trampoline_kernelINS0_14default_configENS1_25transform_config_selectorIlLb0EEEZNS1_14transform_implILb0ES3_S5_NS0_18transform_iteratorINS0_17counting_iteratorImlEEZNS1_24adjacent_difference_implIS3_Lb1ELb0EPlSB_ZN2at6native12_GLOBAL__N_124unique_dim_cuda_templateIN3c104HalfEEESt5tupleIJNSC_6TensorESJ_SJ_EERKSJ_lbbbEUlllE1_EE10hipError_tPvRmT2_T3_mT4_P12ihipStream_tbEUlmE_lEESB_NS0_8identityIvEEEESO_SR_SS_mST_SV_bEUlT_E_NS1_11comp_targetILNS1_3genE9ELNS1_11target_archE1100ELNS1_3gpuE3ELNS1_3repE0EEENS1_30default_config_static_selectorELNS0_4arch9wavefront6targetE1EEEvT1_,@function
_ZN7rocprim17ROCPRIM_400000_NS6detail17trampoline_kernelINS0_14default_configENS1_25transform_config_selectorIlLb0EEEZNS1_14transform_implILb0ES3_S5_NS0_18transform_iteratorINS0_17counting_iteratorImlEEZNS1_24adjacent_difference_implIS3_Lb1ELb0EPlSB_ZN2at6native12_GLOBAL__N_124unique_dim_cuda_templateIN3c104HalfEEESt5tupleIJNSC_6TensorESJ_SJ_EERKSJ_lbbbEUlllE1_EE10hipError_tPvRmT2_T3_mT4_P12ihipStream_tbEUlmE_lEESB_NS0_8identityIvEEEESO_SR_SS_mST_SV_bEUlT_E_NS1_11comp_targetILNS1_3genE9ELNS1_11target_archE1100ELNS1_3gpuE3ELNS1_3repE0EEENS1_30default_config_static_selectorELNS0_4arch9wavefront6targetE1EEEvT1_: ; @_ZN7rocprim17ROCPRIM_400000_NS6detail17trampoline_kernelINS0_14default_configENS1_25transform_config_selectorIlLb0EEEZNS1_14transform_implILb0ES3_S5_NS0_18transform_iteratorINS0_17counting_iteratorImlEEZNS1_24adjacent_difference_implIS3_Lb1ELb0EPlSB_ZN2at6native12_GLOBAL__N_124unique_dim_cuda_templateIN3c104HalfEEESt5tupleIJNSC_6TensorESJ_SJ_EERKSJ_lbbbEUlllE1_EE10hipError_tPvRmT2_T3_mT4_P12ihipStream_tbEUlmE_lEESB_NS0_8identityIvEEEESO_SR_SS_mST_SV_bEUlT_E_NS1_11comp_targetILNS1_3genE9ELNS1_11target_archE1100ELNS1_3gpuE3ELNS1_3repE0EEENS1_30default_config_static_selectorELNS0_4arch9wavefront6targetE1EEEvT1_
; %bb.0:
	.section	.rodata,"a",@progbits
	.p2align	6, 0x0
	.amdhsa_kernel _ZN7rocprim17ROCPRIM_400000_NS6detail17trampoline_kernelINS0_14default_configENS1_25transform_config_selectorIlLb0EEEZNS1_14transform_implILb0ES3_S5_NS0_18transform_iteratorINS0_17counting_iteratorImlEEZNS1_24adjacent_difference_implIS3_Lb1ELb0EPlSB_ZN2at6native12_GLOBAL__N_124unique_dim_cuda_templateIN3c104HalfEEESt5tupleIJNSC_6TensorESJ_SJ_EERKSJ_lbbbEUlllE1_EE10hipError_tPvRmT2_T3_mT4_P12ihipStream_tbEUlmE_lEESB_NS0_8identityIvEEEESO_SR_SS_mST_SV_bEUlT_E_NS1_11comp_targetILNS1_3genE9ELNS1_11target_archE1100ELNS1_3gpuE3ELNS1_3repE0EEENS1_30default_config_static_selectorELNS0_4arch9wavefront6targetE1EEEvT1_
		.amdhsa_group_segment_fixed_size 0
		.amdhsa_private_segment_fixed_size 0
		.amdhsa_kernarg_size 56
		.amdhsa_user_sgpr_count 6
		.amdhsa_user_sgpr_private_segment_buffer 1
		.amdhsa_user_sgpr_dispatch_ptr 0
		.amdhsa_user_sgpr_queue_ptr 0
		.amdhsa_user_sgpr_kernarg_segment_ptr 1
		.amdhsa_user_sgpr_dispatch_id 0
		.amdhsa_user_sgpr_flat_scratch_init 0
		.amdhsa_user_sgpr_kernarg_preload_length 0
		.amdhsa_user_sgpr_kernarg_preload_offset 0
		.amdhsa_user_sgpr_private_segment_size 0
		.amdhsa_uses_dynamic_stack 0
		.amdhsa_system_sgpr_private_segment_wavefront_offset 0
		.amdhsa_system_sgpr_workgroup_id_x 1
		.amdhsa_system_sgpr_workgroup_id_y 0
		.amdhsa_system_sgpr_workgroup_id_z 0
		.amdhsa_system_sgpr_workgroup_info 0
		.amdhsa_system_vgpr_workitem_id 0
		.amdhsa_next_free_vgpr 1
		.amdhsa_next_free_sgpr 0
		.amdhsa_accum_offset 4
		.amdhsa_reserve_vcc 0
		.amdhsa_reserve_flat_scratch 0
		.amdhsa_float_round_mode_32 0
		.amdhsa_float_round_mode_16_64 0
		.amdhsa_float_denorm_mode_32 3
		.amdhsa_float_denorm_mode_16_64 3
		.amdhsa_dx10_clamp 1
		.amdhsa_ieee_mode 1
		.amdhsa_fp16_overflow 0
		.amdhsa_tg_split 0
		.amdhsa_exception_fp_ieee_invalid_op 0
		.amdhsa_exception_fp_denorm_src 0
		.amdhsa_exception_fp_ieee_div_zero 0
		.amdhsa_exception_fp_ieee_overflow 0
		.amdhsa_exception_fp_ieee_underflow 0
		.amdhsa_exception_fp_ieee_inexact 0
		.amdhsa_exception_int_div_zero 0
	.end_amdhsa_kernel
	.section	.text._ZN7rocprim17ROCPRIM_400000_NS6detail17trampoline_kernelINS0_14default_configENS1_25transform_config_selectorIlLb0EEEZNS1_14transform_implILb0ES3_S5_NS0_18transform_iteratorINS0_17counting_iteratorImlEEZNS1_24adjacent_difference_implIS3_Lb1ELb0EPlSB_ZN2at6native12_GLOBAL__N_124unique_dim_cuda_templateIN3c104HalfEEESt5tupleIJNSC_6TensorESJ_SJ_EERKSJ_lbbbEUlllE1_EE10hipError_tPvRmT2_T3_mT4_P12ihipStream_tbEUlmE_lEESB_NS0_8identityIvEEEESO_SR_SS_mST_SV_bEUlT_E_NS1_11comp_targetILNS1_3genE9ELNS1_11target_archE1100ELNS1_3gpuE3ELNS1_3repE0EEENS1_30default_config_static_selectorELNS0_4arch9wavefront6targetE1EEEvT1_,"axG",@progbits,_ZN7rocprim17ROCPRIM_400000_NS6detail17trampoline_kernelINS0_14default_configENS1_25transform_config_selectorIlLb0EEEZNS1_14transform_implILb0ES3_S5_NS0_18transform_iteratorINS0_17counting_iteratorImlEEZNS1_24adjacent_difference_implIS3_Lb1ELb0EPlSB_ZN2at6native12_GLOBAL__N_124unique_dim_cuda_templateIN3c104HalfEEESt5tupleIJNSC_6TensorESJ_SJ_EERKSJ_lbbbEUlllE1_EE10hipError_tPvRmT2_T3_mT4_P12ihipStream_tbEUlmE_lEESB_NS0_8identityIvEEEESO_SR_SS_mST_SV_bEUlT_E_NS1_11comp_targetILNS1_3genE9ELNS1_11target_archE1100ELNS1_3gpuE3ELNS1_3repE0EEENS1_30default_config_static_selectorELNS0_4arch9wavefront6targetE1EEEvT1_,comdat
.Lfunc_end1285:
	.size	_ZN7rocprim17ROCPRIM_400000_NS6detail17trampoline_kernelINS0_14default_configENS1_25transform_config_selectorIlLb0EEEZNS1_14transform_implILb0ES3_S5_NS0_18transform_iteratorINS0_17counting_iteratorImlEEZNS1_24adjacent_difference_implIS3_Lb1ELb0EPlSB_ZN2at6native12_GLOBAL__N_124unique_dim_cuda_templateIN3c104HalfEEESt5tupleIJNSC_6TensorESJ_SJ_EERKSJ_lbbbEUlllE1_EE10hipError_tPvRmT2_T3_mT4_P12ihipStream_tbEUlmE_lEESB_NS0_8identityIvEEEESO_SR_SS_mST_SV_bEUlT_E_NS1_11comp_targetILNS1_3genE9ELNS1_11target_archE1100ELNS1_3gpuE3ELNS1_3repE0EEENS1_30default_config_static_selectorELNS0_4arch9wavefront6targetE1EEEvT1_, .Lfunc_end1285-_ZN7rocprim17ROCPRIM_400000_NS6detail17trampoline_kernelINS0_14default_configENS1_25transform_config_selectorIlLb0EEEZNS1_14transform_implILb0ES3_S5_NS0_18transform_iteratorINS0_17counting_iteratorImlEEZNS1_24adjacent_difference_implIS3_Lb1ELb0EPlSB_ZN2at6native12_GLOBAL__N_124unique_dim_cuda_templateIN3c104HalfEEESt5tupleIJNSC_6TensorESJ_SJ_EERKSJ_lbbbEUlllE1_EE10hipError_tPvRmT2_T3_mT4_P12ihipStream_tbEUlmE_lEESB_NS0_8identityIvEEEESO_SR_SS_mST_SV_bEUlT_E_NS1_11comp_targetILNS1_3genE9ELNS1_11target_archE1100ELNS1_3gpuE3ELNS1_3repE0EEENS1_30default_config_static_selectorELNS0_4arch9wavefront6targetE1EEEvT1_
                                        ; -- End function
	.section	.AMDGPU.csdata,"",@progbits
; Kernel info:
; codeLenInByte = 0
; NumSgprs: 4
; NumVgprs: 0
; NumAgprs: 0
; TotalNumVgprs: 0
; ScratchSize: 0
; MemoryBound: 0
; FloatMode: 240
; IeeeMode: 1
; LDSByteSize: 0 bytes/workgroup (compile time only)
; SGPRBlocks: 0
; VGPRBlocks: 0
; NumSGPRsForWavesPerEU: 4
; NumVGPRsForWavesPerEU: 1
; AccumOffset: 4
; Occupancy: 8
; WaveLimiterHint : 0
; COMPUTE_PGM_RSRC2:SCRATCH_EN: 0
; COMPUTE_PGM_RSRC2:USER_SGPR: 6
; COMPUTE_PGM_RSRC2:TRAP_HANDLER: 0
; COMPUTE_PGM_RSRC2:TGID_X_EN: 1
; COMPUTE_PGM_RSRC2:TGID_Y_EN: 0
; COMPUTE_PGM_RSRC2:TGID_Z_EN: 0
; COMPUTE_PGM_RSRC2:TIDIG_COMP_CNT: 0
; COMPUTE_PGM_RSRC3_GFX90A:ACCUM_OFFSET: 0
; COMPUTE_PGM_RSRC3_GFX90A:TG_SPLIT: 0
	.section	.text._ZN7rocprim17ROCPRIM_400000_NS6detail17trampoline_kernelINS0_14default_configENS1_25transform_config_selectorIlLb0EEEZNS1_14transform_implILb0ES3_S5_NS0_18transform_iteratorINS0_17counting_iteratorImlEEZNS1_24adjacent_difference_implIS3_Lb1ELb0EPlSB_ZN2at6native12_GLOBAL__N_124unique_dim_cuda_templateIN3c104HalfEEESt5tupleIJNSC_6TensorESJ_SJ_EERKSJ_lbbbEUlllE1_EE10hipError_tPvRmT2_T3_mT4_P12ihipStream_tbEUlmE_lEESB_NS0_8identityIvEEEESO_SR_SS_mST_SV_bEUlT_E_NS1_11comp_targetILNS1_3genE8ELNS1_11target_archE1030ELNS1_3gpuE2ELNS1_3repE0EEENS1_30default_config_static_selectorELNS0_4arch9wavefront6targetE1EEEvT1_,"axG",@progbits,_ZN7rocprim17ROCPRIM_400000_NS6detail17trampoline_kernelINS0_14default_configENS1_25transform_config_selectorIlLb0EEEZNS1_14transform_implILb0ES3_S5_NS0_18transform_iteratorINS0_17counting_iteratorImlEEZNS1_24adjacent_difference_implIS3_Lb1ELb0EPlSB_ZN2at6native12_GLOBAL__N_124unique_dim_cuda_templateIN3c104HalfEEESt5tupleIJNSC_6TensorESJ_SJ_EERKSJ_lbbbEUlllE1_EE10hipError_tPvRmT2_T3_mT4_P12ihipStream_tbEUlmE_lEESB_NS0_8identityIvEEEESO_SR_SS_mST_SV_bEUlT_E_NS1_11comp_targetILNS1_3genE8ELNS1_11target_archE1030ELNS1_3gpuE2ELNS1_3repE0EEENS1_30default_config_static_selectorELNS0_4arch9wavefront6targetE1EEEvT1_,comdat
	.globl	_ZN7rocprim17ROCPRIM_400000_NS6detail17trampoline_kernelINS0_14default_configENS1_25transform_config_selectorIlLb0EEEZNS1_14transform_implILb0ES3_S5_NS0_18transform_iteratorINS0_17counting_iteratorImlEEZNS1_24adjacent_difference_implIS3_Lb1ELb0EPlSB_ZN2at6native12_GLOBAL__N_124unique_dim_cuda_templateIN3c104HalfEEESt5tupleIJNSC_6TensorESJ_SJ_EERKSJ_lbbbEUlllE1_EE10hipError_tPvRmT2_T3_mT4_P12ihipStream_tbEUlmE_lEESB_NS0_8identityIvEEEESO_SR_SS_mST_SV_bEUlT_E_NS1_11comp_targetILNS1_3genE8ELNS1_11target_archE1030ELNS1_3gpuE2ELNS1_3repE0EEENS1_30default_config_static_selectorELNS0_4arch9wavefront6targetE1EEEvT1_ ; -- Begin function _ZN7rocprim17ROCPRIM_400000_NS6detail17trampoline_kernelINS0_14default_configENS1_25transform_config_selectorIlLb0EEEZNS1_14transform_implILb0ES3_S5_NS0_18transform_iteratorINS0_17counting_iteratorImlEEZNS1_24adjacent_difference_implIS3_Lb1ELb0EPlSB_ZN2at6native12_GLOBAL__N_124unique_dim_cuda_templateIN3c104HalfEEESt5tupleIJNSC_6TensorESJ_SJ_EERKSJ_lbbbEUlllE1_EE10hipError_tPvRmT2_T3_mT4_P12ihipStream_tbEUlmE_lEESB_NS0_8identityIvEEEESO_SR_SS_mST_SV_bEUlT_E_NS1_11comp_targetILNS1_3genE8ELNS1_11target_archE1030ELNS1_3gpuE2ELNS1_3repE0EEENS1_30default_config_static_selectorELNS0_4arch9wavefront6targetE1EEEvT1_
	.p2align	8
	.type	_ZN7rocprim17ROCPRIM_400000_NS6detail17trampoline_kernelINS0_14default_configENS1_25transform_config_selectorIlLb0EEEZNS1_14transform_implILb0ES3_S5_NS0_18transform_iteratorINS0_17counting_iteratorImlEEZNS1_24adjacent_difference_implIS3_Lb1ELb0EPlSB_ZN2at6native12_GLOBAL__N_124unique_dim_cuda_templateIN3c104HalfEEESt5tupleIJNSC_6TensorESJ_SJ_EERKSJ_lbbbEUlllE1_EE10hipError_tPvRmT2_T3_mT4_P12ihipStream_tbEUlmE_lEESB_NS0_8identityIvEEEESO_SR_SS_mST_SV_bEUlT_E_NS1_11comp_targetILNS1_3genE8ELNS1_11target_archE1030ELNS1_3gpuE2ELNS1_3repE0EEENS1_30default_config_static_selectorELNS0_4arch9wavefront6targetE1EEEvT1_,@function
_ZN7rocprim17ROCPRIM_400000_NS6detail17trampoline_kernelINS0_14default_configENS1_25transform_config_selectorIlLb0EEEZNS1_14transform_implILb0ES3_S5_NS0_18transform_iteratorINS0_17counting_iteratorImlEEZNS1_24adjacent_difference_implIS3_Lb1ELb0EPlSB_ZN2at6native12_GLOBAL__N_124unique_dim_cuda_templateIN3c104HalfEEESt5tupleIJNSC_6TensorESJ_SJ_EERKSJ_lbbbEUlllE1_EE10hipError_tPvRmT2_T3_mT4_P12ihipStream_tbEUlmE_lEESB_NS0_8identityIvEEEESO_SR_SS_mST_SV_bEUlT_E_NS1_11comp_targetILNS1_3genE8ELNS1_11target_archE1030ELNS1_3gpuE2ELNS1_3repE0EEENS1_30default_config_static_selectorELNS0_4arch9wavefront6targetE1EEEvT1_: ; @_ZN7rocprim17ROCPRIM_400000_NS6detail17trampoline_kernelINS0_14default_configENS1_25transform_config_selectorIlLb0EEEZNS1_14transform_implILb0ES3_S5_NS0_18transform_iteratorINS0_17counting_iteratorImlEEZNS1_24adjacent_difference_implIS3_Lb1ELb0EPlSB_ZN2at6native12_GLOBAL__N_124unique_dim_cuda_templateIN3c104HalfEEESt5tupleIJNSC_6TensorESJ_SJ_EERKSJ_lbbbEUlllE1_EE10hipError_tPvRmT2_T3_mT4_P12ihipStream_tbEUlmE_lEESB_NS0_8identityIvEEEESO_SR_SS_mST_SV_bEUlT_E_NS1_11comp_targetILNS1_3genE8ELNS1_11target_archE1030ELNS1_3gpuE2ELNS1_3repE0EEENS1_30default_config_static_selectorELNS0_4arch9wavefront6targetE1EEEvT1_
; %bb.0:
	.section	.rodata,"a",@progbits
	.p2align	6, 0x0
	.amdhsa_kernel _ZN7rocprim17ROCPRIM_400000_NS6detail17trampoline_kernelINS0_14default_configENS1_25transform_config_selectorIlLb0EEEZNS1_14transform_implILb0ES3_S5_NS0_18transform_iteratorINS0_17counting_iteratorImlEEZNS1_24adjacent_difference_implIS3_Lb1ELb0EPlSB_ZN2at6native12_GLOBAL__N_124unique_dim_cuda_templateIN3c104HalfEEESt5tupleIJNSC_6TensorESJ_SJ_EERKSJ_lbbbEUlllE1_EE10hipError_tPvRmT2_T3_mT4_P12ihipStream_tbEUlmE_lEESB_NS0_8identityIvEEEESO_SR_SS_mST_SV_bEUlT_E_NS1_11comp_targetILNS1_3genE8ELNS1_11target_archE1030ELNS1_3gpuE2ELNS1_3repE0EEENS1_30default_config_static_selectorELNS0_4arch9wavefront6targetE1EEEvT1_
		.amdhsa_group_segment_fixed_size 0
		.amdhsa_private_segment_fixed_size 0
		.amdhsa_kernarg_size 56
		.amdhsa_user_sgpr_count 6
		.amdhsa_user_sgpr_private_segment_buffer 1
		.amdhsa_user_sgpr_dispatch_ptr 0
		.amdhsa_user_sgpr_queue_ptr 0
		.amdhsa_user_sgpr_kernarg_segment_ptr 1
		.amdhsa_user_sgpr_dispatch_id 0
		.amdhsa_user_sgpr_flat_scratch_init 0
		.amdhsa_user_sgpr_kernarg_preload_length 0
		.amdhsa_user_sgpr_kernarg_preload_offset 0
		.amdhsa_user_sgpr_private_segment_size 0
		.amdhsa_uses_dynamic_stack 0
		.amdhsa_system_sgpr_private_segment_wavefront_offset 0
		.amdhsa_system_sgpr_workgroup_id_x 1
		.amdhsa_system_sgpr_workgroup_id_y 0
		.amdhsa_system_sgpr_workgroup_id_z 0
		.amdhsa_system_sgpr_workgroup_info 0
		.amdhsa_system_vgpr_workitem_id 0
		.amdhsa_next_free_vgpr 1
		.amdhsa_next_free_sgpr 0
		.amdhsa_accum_offset 4
		.amdhsa_reserve_vcc 0
		.amdhsa_reserve_flat_scratch 0
		.amdhsa_float_round_mode_32 0
		.amdhsa_float_round_mode_16_64 0
		.amdhsa_float_denorm_mode_32 3
		.amdhsa_float_denorm_mode_16_64 3
		.amdhsa_dx10_clamp 1
		.amdhsa_ieee_mode 1
		.amdhsa_fp16_overflow 0
		.amdhsa_tg_split 0
		.amdhsa_exception_fp_ieee_invalid_op 0
		.amdhsa_exception_fp_denorm_src 0
		.amdhsa_exception_fp_ieee_div_zero 0
		.amdhsa_exception_fp_ieee_overflow 0
		.amdhsa_exception_fp_ieee_underflow 0
		.amdhsa_exception_fp_ieee_inexact 0
		.amdhsa_exception_int_div_zero 0
	.end_amdhsa_kernel
	.section	.text._ZN7rocprim17ROCPRIM_400000_NS6detail17trampoline_kernelINS0_14default_configENS1_25transform_config_selectorIlLb0EEEZNS1_14transform_implILb0ES3_S5_NS0_18transform_iteratorINS0_17counting_iteratorImlEEZNS1_24adjacent_difference_implIS3_Lb1ELb0EPlSB_ZN2at6native12_GLOBAL__N_124unique_dim_cuda_templateIN3c104HalfEEESt5tupleIJNSC_6TensorESJ_SJ_EERKSJ_lbbbEUlllE1_EE10hipError_tPvRmT2_T3_mT4_P12ihipStream_tbEUlmE_lEESB_NS0_8identityIvEEEESO_SR_SS_mST_SV_bEUlT_E_NS1_11comp_targetILNS1_3genE8ELNS1_11target_archE1030ELNS1_3gpuE2ELNS1_3repE0EEENS1_30default_config_static_selectorELNS0_4arch9wavefront6targetE1EEEvT1_,"axG",@progbits,_ZN7rocprim17ROCPRIM_400000_NS6detail17trampoline_kernelINS0_14default_configENS1_25transform_config_selectorIlLb0EEEZNS1_14transform_implILb0ES3_S5_NS0_18transform_iteratorINS0_17counting_iteratorImlEEZNS1_24adjacent_difference_implIS3_Lb1ELb0EPlSB_ZN2at6native12_GLOBAL__N_124unique_dim_cuda_templateIN3c104HalfEEESt5tupleIJNSC_6TensorESJ_SJ_EERKSJ_lbbbEUlllE1_EE10hipError_tPvRmT2_T3_mT4_P12ihipStream_tbEUlmE_lEESB_NS0_8identityIvEEEESO_SR_SS_mST_SV_bEUlT_E_NS1_11comp_targetILNS1_3genE8ELNS1_11target_archE1030ELNS1_3gpuE2ELNS1_3repE0EEENS1_30default_config_static_selectorELNS0_4arch9wavefront6targetE1EEEvT1_,comdat
.Lfunc_end1286:
	.size	_ZN7rocprim17ROCPRIM_400000_NS6detail17trampoline_kernelINS0_14default_configENS1_25transform_config_selectorIlLb0EEEZNS1_14transform_implILb0ES3_S5_NS0_18transform_iteratorINS0_17counting_iteratorImlEEZNS1_24adjacent_difference_implIS3_Lb1ELb0EPlSB_ZN2at6native12_GLOBAL__N_124unique_dim_cuda_templateIN3c104HalfEEESt5tupleIJNSC_6TensorESJ_SJ_EERKSJ_lbbbEUlllE1_EE10hipError_tPvRmT2_T3_mT4_P12ihipStream_tbEUlmE_lEESB_NS0_8identityIvEEEESO_SR_SS_mST_SV_bEUlT_E_NS1_11comp_targetILNS1_3genE8ELNS1_11target_archE1030ELNS1_3gpuE2ELNS1_3repE0EEENS1_30default_config_static_selectorELNS0_4arch9wavefront6targetE1EEEvT1_, .Lfunc_end1286-_ZN7rocprim17ROCPRIM_400000_NS6detail17trampoline_kernelINS0_14default_configENS1_25transform_config_selectorIlLb0EEEZNS1_14transform_implILb0ES3_S5_NS0_18transform_iteratorINS0_17counting_iteratorImlEEZNS1_24adjacent_difference_implIS3_Lb1ELb0EPlSB_ZN2at6native12_GLOBAL__N_124unique_dim_cuda_templateIN3c104HalfEEESt5tupleIJNSC_6TensorESJ_SJ_EERKSJ_lbbbEUlllE1_EE10hipError_tPvRmT2_T3_mT4_P12ihipStream_tbEUlmE_lEESB_NS0_8identityIvEEEESO_SR_SS_mST_SV_bEUlT_E_NS1_11comp_targetILNS1_3genE8ELNS1_11target_archE1030ELNS1_3gpuE2ELNS1_3repE0EEENS1_30default_config_static_selectorELNS0_4arch9wavefront6targetE1EEEvT1_
                                        ; -- End function
	.section	.AMDGPU.csdata,"",@progbits
; Kernel info:
; codeLenInByte = 0
; NumSgprs: 4
; NumVgprs: 0
; NumAgprs: 0
; TotalNumVgprs: 0
; ScratchSize: 0
; MemoryBound: 0
; FloatMode: 240
; IeeeMode: 1
; LDSByteSize: 0 bytes/workgroup (compile time only)
; SGPRBlocks: 0
; VGPRBlocks: 0
; NumSGPRsForWavesPerEU: 4
; NumVGPRsForWavesPerEU: 1
; AccumOffset: 4
; Occupancy: 8
; WaveLimiterHint : 0
; COMPUTE_PGM_RSRC2:SCRATCH_EN: 0
; COMPUTE_PGM_RSRC2:USER_SGPR: 6
; COMPUTE_PGM_RSRC2:TRAP_HANDLER: 0
; COMPUTE_PGM_RSRC2:TGID_X_EN: 1
; COMPUTE_PGM_RSRC2:TGID_Y_EN: 0
; COMPUTE_PGM_RSRC2:TGID_Z_EN: 0
; COMPUTE_PGM_RSRC2:TIDIG_COMP_CNT: 0
; COMPUTE_PGM_RSRC3_GFX90A:ACCUM_OFFSET: 0
; COMPUTE_PGM_RSRC3_GFX90A:TG_SPLIT: 0
	.section	.text._ZN7rocprim17ROCPRIM_400000_NS6detail17trampoline_kernelINS0_14default_configENS1_35adjacent_difference_config_selectorILb1ElEEZNS1_24adjacent_difference_implIS3_Lb1ELb0EPlS7_ZN2at6native12_GLOBAL__N_124unique_dim_cuda_templateIN3c104HalfEEESt5tupleIJNS8_6TensorESF_SF_EERKSF_lbbbEUlllE1_EE10hipError_tPvRmT2_T3_mT4_P12ihipStream_tbEUlT_E_NS1_11comp_targetILNS1_3genE0ELNS1_11target_archE4294967295ELNS1_3gpuE0ELNS1_3repE0EEENS1_30default_config_static_selectorELNS0_4arch9wavefront6targetE1EEEvT1_,"axG",@progbits,_ZN7rocprim17ROCPRIM_400000_NS6detail17trampoline_kernelINS0_14default_configENS1_35adjacent_difference_config_selectorILb1ElEEZNS1_24adjacent_difference_implIS3_Lb1ELb0EPlS7_ZN2at6native12_GLOBAL__N_124unique_dim_cuda_templateIN3c104HalfEEESt5tupleIJNS8_6TensorESF_SF_EERKSF_lbbbEUlllE1_EE10hipError_tPvRmT2_T3_mT4_P12ihipStream_tbEUlT_E_NS1_11comp_targetILNS1_3genE0ELNS1_11target_archE4294967295ELNS1_3gpuE0ELNS1_3repE0EEENS1_30default_config_static_selectorELNS0_4arch9wavefront6targetE1EEEvT1_,comdat
	.globl	_ZN7rocprim17ROCPRIM_400000_NS6detail17trampoline_kernelINS0_14default_configENS1_35adjacent_difference_config_selectorILb1ElEEZNS1_24adjacent_difference_implIS3_Lb1ELb0EPlS7_ZN2at6native12_GLOBAL__N_124unique_dim_cuda_templateIN3c104HalfEEESt5tupleIJNS8_6TensorESF_SF_EERKSF_lbbbEUlllE1_EE10hipError_tPvRmT2_T3_mT4_P12ihipStream_tbEUlT_E_NS1_11comp_targetILNS1_3genE0ELNS1_11target_archE4294967295ELNS1_3gpuE0ELNS1_3repE0EEENS1_30default_config_static_selectorELNS0_4arch9wavefront6targetE1EEEvT1_ ; -- Begin function _ZN7rocprim17ROCPRIM_400000_NS6detail17trampoline_kernelINS0_14default_configENS1_35adjacent_difference_config_selectorILb1ElEEZNS1_24adjacent_difference_implIS3_Lb1ELb0EPlS7_ZN2at6native12_GLOBAL__N_124unique_dim_cuda_templateIN3c104HalfEEESt5tupleIJNS8_6TensorESF_SF_EERKSF_lbbbEUlllE1_EE10hipError_tPvRmT2_T3_mT4_P12ihipStream_tbEUlT_E_NS1_11comp_targetILNS1_3genE0ELNS1_11target_archE4294967295ELNS1_3gpuE0ELNS1_3repE0EEENS1_30default_config_static_selectorELNS0_4arch9wavefront6targetE1EEEvT1_
	.p2align	8
	.type	_ZN7rocprim17ROCPRIM_400000_NS6detail17trampoline_kernelINS0_14default_configENS1_35adjacent_difference_config_selectorILb1ElEEZNS1_24adjacent_difference_implIS3_Lb1ELb0EPlS7_ZN2at6native12_GLOBAL__N_124unique_dim_cuda_templateIN3c104HalfEEESt5tupleIJNS8_6TensorESF_SF_EERKSF_lbbbEUlllE1_EE10hipError_tPvRmT2_T3_mT4_P12ihipStream_tbEUlT_E_NS1_11comp_targetILNS1_3genE0ELNS1_11target_archE4294967295ELNS1_3gpuE0ELNS1_3repE0EEENS1_30default_config_static_selectorELNS0_4arch9wavefront6targetE1EEEvT1_,@function
_ZN7rocprim17ROCPRIM_400000_NS6detail17trampoline_kernelINS0_14default_configENS1_35adjacent_difference_config_selectorILb1ElEEZNS1_24adjacent_difference_implIS3_Lb1ELb0EPlS7_ZN2at6native12_GLOBAL__N_124unique_dim_cuda_templateIN3c104HalfEEESt5tupleIJNS8_6TensorESF_SF_EERKSF_lbbbEUlllE1_EE10hipError_tPvRmT2_T3_mT4_P12ihipStream_tbEUlT_E_NS1_11comp_targetILNS1_3genE0ELNS1_11target_archE4294967295ELNS1_3gpuE0ELNS1_3repE0EEENS1_30default_config_static_selectorELNS0_4arch9wavefront6targetE1EEEvT1_: ; @_ZN7rocprim17ROCPRIM_400000_NS6detail17trampoline_kernelINS0_14default_configENS1_35adjacent_difference_config_selectorILb1ElEEZNS1_24adjacent_difference_implIS3_Lb1ELb0EPlS7_ZN2at6native12_GLOBAL__N_124unique_dim_cuda_templateIN3c104HalfEEESt5tupleIJNS8_6TensorESF_SF_EERKSF_lbbbEUlllE1_EE10hipError_tPvRmT2_T3_mT4_P12ihipStream_tbEUlT_E_NS1_11comp_targetILNS1_3genE0ELNS1_11target_archE4294967295ELNS1_3gpuE0ELNS1_3repE0EEENS1_30default_config_static_selectorELNS0_4arch9wavefront6targetE1EEEvT1_
; %bb.0:
	.section	.rodata,"a",@progbits
	.p2align	6, 0x0
	.amdhsa_kernel _ZN7rocprim17ROCPRIM_400000_NS6detail17trampoline_kernelINS0_14default_configENS1_35adjacent_difference_config_selectorILb1ElEEZNS1_24adjacent_difference_implIS3_Lb1ELb0EPlS7_ZN2at6native12_GLOBAL__N_124unique_dim_cuda_templateIN3c104HalfEEESt5tupleIJNS8_6TensorESF_SF_EERKSF_lbbbEUlllE1_EE10hipError_tPvRmT2_T3_mT4_P12ihipStream_tbEUlT_E_NS1_11comp_targetILNS1_3genE0ELNS1_11target_archE4294967295ELNS1_3gpuE0ELNS1_3repE0EEENS1_30default_config_static_selectorELNS0_4arch9wavefront6targetE1EEEvT1_
		.amdhsa_group_segment_fixed_size 0
		.amdhsa_private_segment_fixed_size 0
		.amdhsa_kernarg_size 64
		.amdhsa_user_sgpr_count 6
		.amdhsa_user_sgpr_private_segment_buffer 1
		.amdhsa_user_sgpr_dispatch_ptr 0
		.amdhsa_user_sgpr_queue_ptr 0
		.amdhsa_user_sgpr_kernarg_segment_ptr 1
		.amdhsa_user_sgpr_dispatch_id 0
		.amdhsa_user_sgpr_flat_scratch_init 0
		.amdhsa_user_sgpr_kernarg_preload_length 0
		.amdhsa_user_sgpr_kernarg_preload_offset 0
		.amdhsa_user_sgpr_private_segment_size 0
		.amdhsa_uses_dynamic_stack 0
		.amdhsa_system_sgpr_private_segment_wavefront_offset 0
		.amdhsa_system_sgpr_workgroup_id_x 1
		.amdhsa_system_sgpr_workgroup_id_y 0
		.amdhsa_system_sgpr_workgroup_id_z 0
		.amdhsa_system_sgpr_workgroup_info 0
		.amdhsa_system_vgpr_workitem_id 0
		.amdhsa_next_free_vgpr 1
		.amdhsa_next_free_sgpr 0
		.amdhsa_accum_offset 4
		.amdhsa_reserve_vcc 0
		.amdhsa_reserve_flat_scratch 0
		.amdhsa_float_round_mode_32 0
		.amdhsa_float_round_mode_16_64 0
		.amdhsa_float_denorm_mode_32 3
		.amdhsa_float_denorm_mode_16_64 3
		.amdhsa_dx10_clamp 1
		.amdhsa_ieee_mode 1
		.amdhsa_fp16_overflow 0
		.amdhsa_tg_split 0
		.amdhsa_exception_fp_ieee_invalid_op 0
		.amdhsa_exception_fp_denorm_src 0
		.amdhsa_exception_fp_ieee_div_zero 0
		.amdhsa_exception_fp_ieee_overflow 0
		.amdhsa_exception_fp_ieee_underflow 0
		.amdhsa_exception_fp_ieee_inexact 0
		.amdhsa_exception_int_div_zero 0
	.end_amdhsa_kernel
	.section	.text._ZN7rocprim17ROCPRIM_400000_NS6detail17trampoline_kernelINS0_14default_configENS1_35adjacent_difference_config_selectorILb1ElEEZNS1_24adjacent_difference_implIS3_Lb1ELb0EPlS7_ZN2at6native12_GLOBAL__N_124unique_dim_cuda_templateIN3c104HalfEEESt5tupleIJNS8_6TensorESF_SF_EERKSF_lbbbEUlllE1_EE10hipError_tPvRmT2_T3_mT4_P12ihipStream_tbEUlT_E_NS1_11comp_targetILNS1_3genE0ELNS1_11target_archE4294967295ELNS1_3gpuE0ELNS1_3repE0EEENS1_30default_config_static_selectorELNS0_4arch9wavefront6targetE1EEEvT1_,"axG",@progbits,_ZN7rocprim17ROCPRIM_400000_NS6detail17trampoline_kernelINS0_14default_configENS1_35adjacent_difference_config_selectorILb1ElEEZNS1_24adjacent_difference_implIS3_Lb1ELb0EPlS7_ZN2at6native12_GLOBAL__N_124unique_dim_cuda_templateIN3c104HalfEEESt5tupleIJNS8_6TensorESF_SF_EERKSF_lbbbEUlllE1_EE10hipError_tPvRmT2_T3_mT4_P12ihipStream_tbEUlT_E_NS1_11comp_targetILNS1_3genE0ELNS1_11target_archE4294967295ELNS1_3gpuE0ELNS1_3repE0EEENS1_30default_config_static_selectorELNS0_4arch9wavefront6targetE1EEEvT1_,comdat
.Lfunc_end1287:
	.size	_ZN7rocprim17ROCPRIM_400000_NS6detail17trampoline_kernelINS0_14default_configENS1_35adjacent_difference_config_selectorILb1ElEEZNS1_24adjacent_difference_implIS3_Lb1ELb0EPlS7_ZN2at6native12_GLOBAL__N_124unique_dim_cuda_templateIN3c104HalfEEESt5tupleIJNS8_6TensorESF_SF_EERKSF_lbbbEUlllE1_EE10hipError_tPvRmT2_T3_mT4_P12ihipStream_tbEUlT_E_NS1_11comp_targetILNS1_3genE0ELNS1_11target_archE4294967295ELNS1_3gpuE0ELNS1_3repE0EEENS1_30default_config_static_selectorELNS0_4arch9wavefront6targetE1EEEvT1_, .Lfunc_end1287-_ZN7rocprim17ROCPRIM_400000_NS6detail17trampoline_kernelINS0_14default_configENS1_35adjacent_difference_config_selectorILb1ElEEZNS1_24adjacent_difference_implIS3_Lb1ELb0EPlS7_ZN2at6native12_GLOBAL__N_124unique_dim_cuda_templateIN3c104HalfEEESt5tupleIJNS8_6TensorESF_SF_EERKSF_lbbbEUlllE1_EE10hipError_tPvRmT2_T3_mT4_P12ihipStream_tbEUlT_E_NS1_11comp_targetILNS1_3genE0ELNS1_11target_archE4294967295ELNS1_3gpuE0ELNS1_3repE0EEENS1_30default_config_static_selectorELNS0_4arch9wavefront6targetE1EEEvT1_
                                        ; -- End function
	.section	.AMDGPU.csdata,"",@progbits
; Kernel info:
; codeLenInByte = 0
; NumSgprs: 4
; NumVgprs: 0
; NumAgprs: 0
; TotalNumVgprs: 0
; ScratchSize: 0
; MemoryBound: 0
; FloatMode: 240
; IeeeMode: 1
; LDSByteSize: 0 bytes/workgroup (compile time only)
; SGPRBlocks: 0
; VGPRBlocks: 0
; NumSGPRsForWavesPerEU: 4
; NumVGPRsForWavesPerEU: 1
; AccumOffset: 4
; Occupancy: 8
; WaveLimiterHint : 0
; COMPUTE_PGM_RSRC2:SCRATCH_EN: 0
; COMPUTE_PGM_RSRC2:USER_SGPR: 6
; COMPUTE_PGM_RSRC2:TRAP_HANDLER: 0
; COMPUTE_PGM_RSRC2:TGID_X_EN: 1
; COMPUTE_PGM_RSRC2:TGID_Y_EN: 0
; COMPUTE_PGM_RSRC2:TGID_Z_EN: 0
; COMPUTE_PGM_RSRC2:TIDIG_COMP_CNT: 0
; COMPUTE_PGM_RSRC3_GFX90A:ACCUM_OFFSET: 0
; COMPUTE_PGM_RSRC3_GFX90A:TG_SPLIT: 0
	.section	.text._ZN7rocprim17ROCPRIM_400000_NS6detail17trampoline_kernelINS0_14default_configENS1_35adjacent_difference_config_selectorILb1ElEEZNS1_24adjacent_difference_implIS3_Lb1ELb0EPlS7_ZN2at6native12_GLOBAL__N_124unique_dim_cuda_templateIN3c104HalfEEESt5tupleIJNS8_6TensorESF_SF_EERKSF_lbbbEUlllE1_EE10hipError_tPvRmT2_T3_mT4_P12ihipStream_tbEUlT_E_NS1_11comp_targetILNS1_3genE10ELNS1_11target_archE1201ELNS1_3gpuE5ELNS1_3repE0EEENS1_30default_config_static_selectorELNS0_4arch9wavefront6targetE1EEEvT1_,"axG",@progbits,_ZN7rocprim17ROCPRIM_400000_NS6detail17trampoline_kernelINS0_14default_configENS1_35adjacent_difference_config_selectorILb1ElEEZNS1_24adjacent_difference_implIS3_Lb1ELb0EPlS7_ZN2at6native12_GLOBAL__N_124unique_dim_cuda_templateIN3c104HalfEEESt5tupleIJNS8_6TensorESF_SF_EERKSF_lbbbEUlllE1_EE10hipError_tPvRmT2_T3_mT4_P12ihipStream_tbEUlT_E_NS1_11comp_targetILNS1_3genE10ELNS1_11target_archE1201ELNS1_3gpuE5ELNS1_3repE0EEENS1_30default_config_static_selectorELNS0_4arch9wavefront6targetE1EEEvT1_,comdat
	.globl	_ZN7rocprim17ROCPRIM_400000_NS6detail17trampoline_kernelINS0_14default_configENS1_35adjacent_difference_config_selectorILb1ElEEZNS1_24adjacent_difference_implIS3_Lb1ELb0EPlS7_ZN2at6native12_GLOBAL__N_124unique_dim_cuda_templateIN3c104HalfEEESt5tupleIJNS8_6TensorESF_SF_EERKSF_lbbbEUlllE1_EE10hipError_tPvRmT2_T3_mT4_P12ihipStream_tbEUlT_E_NS1_11comp_targetILNS1_3genE10ELNS1_11target_archE1201ELNS1_3gpuE5ELNS1_3repE0EEENS1_30default_config_static_selectorELNS0_4arch9wavefront6targetE1EEEvT1_ ; -- Begin function _ZN7rocprim17ROCPRIM_400000_NS6detail17trampoline_kernelINS0_14default_configENS1_35adjacent_difference_config_selectorILb1ElEEZNS1_24adjacent_difference_implIS3_Lb1ELb0EPlS7_ZN2at6native12_GLOBAL__N_124unique_dim_cuda_templateIN3c104HalfEEESt5tupleIJNS8_6TensorESF_SF_EERKSF_lbbbEUlllE1_EE10hipError_tPvRmT2_T3_mT4_P12ihipStream_tbEUlT_E_NS1_11comp_targetILNS1_3genE10ELNS1_11target_archE1201ELNS1_3gpuE5ELNS1_3repE0EEENS1_30default_config_static_selectorELNS0_4arch9wavefront6targetE1EEEvT1_
	.p2align	8
	.type	_ZN7rocprim17ROCPRIM_400000_NS6detail17trampoline_kernelINS0_14default_configENS1_35adjacent_difference_config_selectorILb1ElEEZNS1_24adjacent_difference_implIS3_Lb1ELb0EPlS7_ZN2at6native12_GLOBAL__N_124unique_dim_cuda_templateIN3c104HalfEEESt5tupleIJNS8_6TensorESF_SF_EERKSF_lbbbEUlllE1_EE10hipError_tPvRmT2_T3_mT4_P12ihipStream_tbEUlT_E_NS1_11comp_targetILNS1_3genE10ELNS1_11target_archE1201ELNS1_3gpuE5ELNS1_3repE0EEENS1_30default_config_static_selectorELNS0_4arch9wavefront6targetE1EEEvT1_,@function
_ZN7rocprim17ROCPRIM_400000_NS6detail17trampoline_kernelINS0_14default_configENS1_35adjacent_difference_config_selectorILb1ElEEZNS1_24adjacent_difference_implIS3_Lb1ELb0EPlS7_ZN2at6native12_GLOBAL__N_124unique_dim_cuda_templateIN3c104HalfEEESt5tupleIJNS8_6TensorESF_SF_EERKSF_lbbbEUlllE1_EE10hipError_tPvRmT2_T3_mT4_P12ihipStream_tbEUlT_E_NS1_11comp_targetILNS1_3genE10ELNS1_11target_archE1201ELNS1_3gpuE5ELNS1_3repE0EEENS1_30default_config_static_selectorELNS0_4arch9wavefront6targetE1EEEvT1_: ; @_ZN7rocprim17ROCPRIM_400000_NS6detail17trampoline_kernelINS0_14default_configENS1_35adjacent_difference_config_selectorILb1ElEEZNS1_24adjacent_difference_implIS3_Lb1ELb0EPlS7_ZN2at6native12_GLOBAL__N_124unique_dim_cuda_templateIN3c104HalfEEESt5tupleIJNS8_6TensorESF_SF_EERKSF_lbbbEUlllE1_EE10hipError_tPvRmT2_T3_mT4_P12ihipStream_tbEUlT_E_NS1_11comp_targetILNS1_3genE10ELNS1_11target_archE1201ELNS1_3gpuE5ELNS1_3repE0EEENS1_30default_config_static_selectorELNS0_4arch9wavefront6targetE1EEEvT1_
; %bb.0:
	.section	.rodata,"a",@progbits
	.p2align	6, 0x0
	.amdhsa_kernel _ZN7rocprim17ROCPRIM_400000_NS6detail17trampoline_kernelINS0_14default_configENS1_35adjacent_difference_config_selectorILb1ElEEZNS1_24adjacent_difference_implIS3_Lb1ELb0EPlS7_ZN2at6native12_GLOBAL__N_124unique_dim_cuda_templateIN3c104HalfEEESt5tupleIJNS8_6TensorESF_SF_EERKSF_lbbbEUlllE1_EE10hipError_tPvRmT2_T3_mT4_P12ihipStream_tbEUlT_E_NS1_11comp_targetILNS1_3genE10ELNS1_11target_archE1201ELNS1_3gpuE5ELNS1_3repE0EEENS1_30default_config_static_selectorELNS0_4arch9wavefront6targetE1EEEvT1_
		.amdhsa_group_segment_fixed_size 0
		.amdhsa_private_segment_fixed_size 0
		.amdhsa_kernarg_size 64
		.amdhsa_user_sgpr_count 6
		.amdhsa_user_sgpr_private_segment_buffer 1
		.amdhsa_user_sgpr_dispatch_ptr 0
		.amdhsa_user_sgpr_queue_ptr 0
		.amdhsa_user_sgpr_kernarg_segment_ptr 1
		.amdhsa_user_sgpr_dispatch_id 0
		.amdhsa_user_sgpr_flat_scratch_init 0
		.amdhsa_user_sgpr_kernarg_preload_length 0
		.amdhsa_user_sgpr_kernarg_preload_offset 0
		.amdhsa_user_sgpr_private_segment_size 0
		.amdhsa_uses_dynamic_stack 0
		.amdhsa_system_sgpr_private_segment_wavefront_offset 0
		.amdhsa_system_sgpr_workgroup_id_x 1
		.amdhsa_system_sgpr_workgroup_id_y 0
		.amdhsa_system_sgpr_workgroup_id_z 0
		.amdhsa_system_sgpr_workgroup_info 0
		.amdhsa_system_vgpr_workitem_id 0
		.amdhsa_next_free_vgpr 1
		.amdhsa_next_free_sgpr 0
		.amdhsa_accum_offset 4
		.amdhsa_reserve_vcc 0
		.amdhsa_reserve_flat_scratch 0
		.amdhsa_float_round_mode_32 0
		.amdhsa_float_round_mode_16_64 0
		.amdhsa_float_denorm_mode_32 3
		.amdhsa_float_denorm_mode_16_64 3
		.amdhsa_dx10_clamp 1
		.amdhsa_ieee_mode 1
		.amdhsa_fp16_overflow 0
		.amdhsa_tg_split 0
		.amdhsa_exception_fp_ieee_invalid_op 0
		.amdhsa_exception_fp_denorm_src 0
		.amdhsa_exception_fp_ieee_div_zero 0
		.amdhsa_exception_fp_ieee_overflow 0
		.amdhsa_exception_fp_ieee_underflow 0
		.amdhsa_exception_fp_ieee_inexact 0
		.amdhsa_exception_int_div_zero 0
	.end_amdhsa_kernel
	.section	.text._ZN7rocprim17ROCPRIM_400000_NS6detail17trampoline_kernelINS0_14default_configENS1_35adjacent_difference_config_selectorILb1ElEEZNS1_24adjacent_difference_implIS3_Lb1ELb0EPlS7_ZN2at6native12_GLOBAL__N_124unique_dim_cuda_templateIN3c104HalfEEESt5tupleIJNS8_6TensorESF_SF_EERKSF_lbbbEUlllE1_EE10hipError_tPvRmT2_T3_mT4_P12ihipStream_tbEUlT_E_NS1_11comp_targetILNS1_3genE10ELNS1_11target_archE1201ELNS1_3gpuE5ELNS1_3repE0EEENS1_30default_config_static_selectorELNS0_4arch9wavefront6targetE1EEEvT1_,"axG",@progbits,_ZN7rocprim17ROCPRIM_400000_NS6detail17trampoline_kernelINS0_14default_configENS1_35adjacent_difference_config_selectorILb1ElEEZNS1_24adjacent_difference_implIS3_Lb1ELb0EPlS7_ZN2at6native12_GLOBAL__N_124unique_dim_cuda_templateIN3c104HalfEEESt5tupleIJNS8_6TensorESF_SF_EERKSF_lbbbEUlllE1_EE10hipError_tPvRmT2_T3_mT4_P12ihipStream_tbEUlT_E_NS1_11comp_targetILNS1_3genE10ELNS1_11target_archE1201ELNS1_3gpuE5ELNS1_3repE0EEENS1_30default_config_static_selectorELNS0_4arch9wavefront6targetE1EEEvT1_,comdat
.Lfunc_end1288:
	.size	_ZN7rocprim17ROCPRIM_400000_NS6detail17trampoline_kernelINS0_14default_configENS1_35adjacent_difference_config_selectorILb1ElEEZNS1_24adjacent_difference_implIS3_Lb1ELb0EPlS7_ZN2at6native12_GLOBAL__N_124unique_dim_cuda_templateIN3c104HalfEEESt5tupleIJNS8_6TensorESF_SF_EERKSF_lbbbEUlllE1_EE10hipError_tPvRmT2_T3_mT4_P12ihipStream_tbEUlT_E_NS1_11comp_targetILNS1_3genE10ELNS1_11target_archE1201ELNS1_3gpuE5ELNS1_3repE0EEENS1_30default_config_static_selectorELNS0_4arch9wavefront6targetE1EEEvT1_, .Lfunc_end1288-_ZN7rocprim17ROCPRIM_400000_NS6detail17trampoline_kernelINS0_14default_configENS1_35adjacent_difference_config_selectorILb1ElEEZNS1_24adjacent_difference_implIS3_Lb1ELb0EPlS7_ZN2at6native12_GLOBAL__N_124unique_dim_cuda_templateIN3c104HalfEEESt5tupleIJNS8_6TensorESF_SF_EERKSF_lbbbEUlllE1_EE10hipError_tPvRmT2_T3_mT4_P12ihipStream_tbEUlT_E_NS1_11comp_targetILNS1_3genE10ELNS1_11target_archE1201ELNS1_3gpuE5ELNS1_3repE0EEENS1_30default_config_static_selectorELNS0_4arch9wavefront6targetE1EEEvT1_
                                        ; -- End function
	.section	.AMDGPU.csdata,"",@progbits
; Kernel info:
; codeLenInByte = 0
; NumSgprs: 4
; NumVgprs: 0
; NumAgprs: 0
; TotalNumVgprs: 0
; ScratchSize: 0
; MemoryBound: 0
; FloatMode: 240
; IeeeMode: 1
; LDSByteSize: 0 bytes/workgroup (compile time only)
; SGPRBlocks: 0
; VGPRBlocks: 0
; NumSGPRsForWavesPerEU: 4
; NumVGPRsForWavesPerEU: 1
; AccumOffset: 4
; Occupancy: 8
; WaveLimiterHint : 0
; COMPUTE_PGM_RSRC2:SCRATCH_EN: 0
; COMPUTE_PGM_RSRC2:USER_SGPR: 6
; COMPUTE_PGM_RSRC2:TRAP_HANDLER: 0
; COMPUTE_PGM_RSRC2:TGID_X_EN: 1
; COMPUTE_PGM_RSRC2:TGID_Y_EN: 0
; COMPUTE_PGM_RSRC2:TGID_Z_EN: 0
; COMPUTE_PGM_RSRC2:TIDIG_COMP_CNT: 0
; COMPUTE_PGM_RSRC3_GFX90A:ACCUM_OFFSET: 0
; COMPUTE_PGM_RSRC3_GFX90A:TG_SPLIT: 0
	.section	.text._ZN7rocprim17ROCPRIM_400000_NS6detail17trampoline_kernelINS0_14default_configENS1_35adjacent_difference_config_selectorILb1ElEEZNS1_24adjacent_difference_implIS3_Lb1ELb0EPlS7_ZN2at6native12_GLOBAL__N_124unique_dim_cuda_templateIN3c104HalfEEESt5tupleIJNS8_6TensorESF_SF_EERKSF_lbbbEUlllE1_EE10hipError_tPvRmT2_T3_mT4_P12ihipStream_tbEUlT_E_NS1_11comp_targetILNS1_3genE5ELNS1_11target_archE942ELNS1_3gpuE9ELNS1_3repE0EEENS1_30default_config_static_selectorELNS0_4arch9wavefront6targetE1EEEvT1_,"axG",@progbits,_ZN7rocprim17ROCPRIM_400000_NS6detail17trampoline_kernelINS0_14default_configENS1_35adjacent_difference_config_selectorILb1ElEEZNS1_24adjacent_difference_implIS3_Lb1ELb0EPlS7_ZN2at6native12_GLOBAL__N_124unique_dim_cuda_templateIN3c104HalfEEESt5tupleIJNS8_6TensorESF_SF_EERKSF_lbbbEUlllE1_EE10hipError_tPvRmT2_T3_mT4_P12ihipStream_tbEUlT_E_NS1_11comp_targetILNS1_3genE5ELNS1_11target_archE942ELNS1_3gpuE9ELNS1_3repE0EEENS1_30default_config_static_selectorELNS0_4arch9wavefront6targetE1EEEvT1_,comdat
	.globl	_ZN7rocprim17ROCPRIM_400000_NS6detail17trampoline_kernelINS0_14default_configENS1_35adjacent_difference_config_selectorILb1ElEEZNS1_24adjacent_difference_implIS3_Lb1ELb0EPlS7_ZN2at6native12_GLOBAL__N_124unique_dim_cuda_templateIN3c104HalfEEESt5tupleIJNS8_6TensorESF_SF_EERKSF_lbbbEUlllE1_EE10hipError_tPvRmT2_T3_mT4_P12ihipStream_tbEUlT_E_NS1_11comp_targetILNS1_3genE5ELNS1_11target_archE942ELNS1_3gpuE9ELNS1_3repE0EEENS1_30default_config_static_selectorELNS0_4arch9wavefront6targetE1EEEvT1_ ; -- Begin function _ZN7rocprim17ROCPRIM_400000_NS6detail17trampoline_kernelINS0_14default_configENS1_35adjacent_difference_config_selectorILb1ElEEZNS1_24adjacent_difference_implIS3_Lb1ELb0EPlS7_ZN2at6native12_GLOBAL__N_124unique_dim_cuda_templateIN3c104HalfEEESt5tupleIJNS8_6TensorESF_SF_EERKSF_lbbbEUlllE1_EE10hipError_tPvRmT2_T3_mT4_P12ihipStream_tbEUlT_E_NS1_11comp_targetILNS1_3genE5ELNS1_11target_archE942ELNS1_3gpuE9ELNS1_3repE0EEENS1_30default_config_static_selectorELNS0_4arch9wavefront6targetE1EEEvT1_
	.p2align	8
	.type	_ZN7rocprim17ROCPRIM_400000_NS6detail17trampoline_kernelINS0_14default_configENS1_35adjacent_difference_config_selectorILb1ElEEZNS1_24adjacent_difference_implIS3_Lb1ELb0EPlS7_ZN2at6native12_GLOBAL__N_124unique_dim_cuda_templateIN3c104HalfEEESt5tupleIJNS8_6TensorESF_SF_EERKSF_lbbbEUlllE1_EE10hipError_tPvRmT2_T3_mT4_P12ihipStream_tbEUlT_E_NS1_11comp_targetILNS1_3genE5ELNS1_11target_archE942ELNS1_3gpuE9ELNS1_3repE0EEENS1_30default_config_static_selectorELNS0_4arch9wavefront6targetE1EEEvT1_,@function
_ZN7rocprim17ROCPRIM_400000_NS6detail17trampoline_kernelINS0_14default_configENS1_35adjacent_difference_config_selectorILb1ElEEZNS1_24adjacent_difference_implIS3_Lb1ELb0EPlS7_ZN2at6native12_GLOBAL__N_124unique_dim_cuda_templateIN3c104HalfEEESt5tupleIJNS8_6TensorESF_SF_EERKSF_lbbbEUlllE1_EE10hipError_tPvRmT2_T3_mT4_P12ihipStream_tbEUlT_E_NS1_11comp_targetILNS1_3genE5ELNS1_11target_archE942ELNS1_3gpuE9ELNS1_3repE0EEENS1_30default_config_static_selectorELNS0_4arch9wavefront6targetE1EEEvT1_: ; @_ZN7rocprim17ROCPRIM_400000_NS6detail17trampoline_kernelINS0_14default_configENS1_35adjacent_difference_config_selectorILb1ElEEZNS1_24adjacent_difference_implIS3_Lb1ELb0EPlS7_ZN2at6native12_GLOBAL__N_124unique_dim_cuda_templateIN3c104HalfEEESt5tupleIJNS8_6TensorESF_SF_EERKSF_lbbbEUlllE1_EE10hipError_tPvRmT2_T3_mT4_P12ihipStream_tbEUlT_E_NS1_11comp_targetILNS1_3genE5ELNS1_11target_archE942ELNS1_3gpuE9ELNS1_3repE0EEENS1_30default_config_static_selectorELNS0_4arch9wavefront6targetE1EEEvT1_
; %bb.0:
	.section	.rodata,"a",@progbits
	.p2align	6, 0x0
	.amdhsa_kernel _ZN7rocprim17ROCPRIM_400000_NS6detail17trampoline_kernelINS0_14default_configENS1_35adjacent_difference_config_selectorILb1ElEEZNS1_24adjacent_difference_implIS3_Lb1ELb0EPlS7_ZN2at6native12_GLOBAL__N_124unique_dim_cuda_templateIN3c104HalfEEESt5tupleIJNS8_6TensorESF_SF_EERKSF_lbbbEUlllE1_EE10hipError_tPvRmT2_T3_mT4_P12ihipStream_tbEUlT_E_NS1_11comp_targetILNS1_3genE5ELNS1_11target_archE942ELNS1_3gpuE9ELNS1_3repE0EEENS1_30default_config_static_selectorELNS0_4arch9wavefront6targetE1EEEvT1_
		.amdhsa_group_segment_fixed_size 0
		.amdhsa_private_segment_fixed_size 0
		.amdhsa_kernarg_size 64
		.amdhsa_user_sgpr_count 6
		.amdhsa_user_sgpr_private_segment_buffer 1
		.amdhsa_user_sgpr_dispatch_ptr 0
		.amdhsa_user_sgpr_queue_ptr 0
		.amdhsa_user_sgpr_kernarg_segment_ptr 1
		.amdhsa_user_sgpr_dispatch_id 0
		.amdhsa_user_sgpr_flat_scratch_init 0
		.amdhsa_user_sgpr_kernarg_preload_length 0
		.amdhsa_user_sgpr_kernarg_preload_offset 0
		.amdhsa_user_sgpr_private_segment_size 0
		.amdhsa_uses_dynamic_stack 0
		.amdhsa_system_sgpr_private_segment_wavefront_offset 0
		.amdhsa_system_sgpr_workgroup_id_x 1
		.amdhsa_system_sgpr_workgroup_id_y 0
		.amdhsa_system_sgpr_workgroup_id_z 0
		.amdhsa_system_sgpr_workgroup_info 0
		.amdhsa_system_vgpr_workitem_id 0
		.amdhsa_next_free_vgpr 1
		.amdhsa_next_free_sgpr 0
		.amdhsa_accum_offset 4
		.amdhsa_reserve_vcc 0
		.amdhsa_reserve_flat_scratch 0
		.amdhsa_float_round_mode_32 0
		.amdhsa_float_round_mode_16_64 0
		.amdhsa_float_denorm_mode_32 3
		.amdhsa_float_denorm_mode_16_64 3
		.amdhsa_dx10_clamp 1
		.amdhsa_ieee_mode 1
		.amdhsa_fp16_overflow 0
		.amdhsa_tg_split 0
		.amdhsa_exception_fp_ieee_invalid_op 0
		.amdhsa_exception_fp_denorm_src 0
		.amdhsa_exception_fp_ieee_div_zero 0
		.amdhsa_exception_fp_ieee_overflow 0
		.amdhsa_exception_fp_ieee_underflow 0
		.amdhsa_exception_fp_ieee_inexact 0
		.amdhsa_exception_int_div_zero 0
	.end_amdhsa_kernel
	.section	.text._ZN7rocprim17ROCPRIM_400000_NS6detail17trampoline_kernelINS0_14default_configENS1_35adjacent_difference_config_selectorILb1ElEEZNS1_24adjacent_difference_implIS3_Lb1ELb0EPlS7_ZN2at6native12_GLOBAL__N_124unique_dim_cuda_templateIN3c104HalfEEESt5tupleIJNS8_6TensorESF_SF_EERKSF_lbbbEUlllE1_EE10hipError_tPvRmT2_T3_mT4_P12ihipStream_tbEUlT_E_NS1_11comp_targetILNS1_3genE5ELNS1_11target_archE942ELNS1_3gpuE9ELNS1_3repE0EEENS1_30default_config_static_selectorELNS0_4arch9wavefront6targetE1EEEvT1_,"axG",@progbits,_ZN7rocprim17ROCPRIM_400000_NS6detail17trampoline_kernelINS0_14default_configENS1_35adjacent_difference_config_selectorILb1ElEEZNS1_24adjacent_difference_implIS3_Lb1ELb0EPlS7_ZN2at6native12_GLOBAL__N_124unique_dim_cuda_templateIN3c104HalfEEESt5tupleIJNS8_6TensorESF_SF_EERKSF_lbbbEUlllE1_EE10hipError_tPvRmT2_T3_mT4_P12ihipStream_tbEUlT_E_NS1_11comp_targetILNS1_3genE5ELNS1_11target_archE942ELNS1_3gpuE9ELNS1_3repE0EEENS1_30default_config_static_selectorELNS0_4arch9wavefront6targetE1EEEvT1_,comdat
.Lfunc_end1289:
	.size	_ZN7rocprim17ROCPRIM_400000_NS6detail17trampoline_kernelINS0_14default_configENS1_35adjacent_difference_config_selectorILb1ElEEZNS1_24adjacent_difference_implIS3_Lb1ELb0EPlS7_ZN2at6native12_GLOBAL__N_124unique_dim_cuda_templateIN3c104HalfEEESt5tupleIJNS8_6TensorESF_SF_EERKSF_lbbbEUlllE1_EE10hipError_tPvRmT2_T3_mT4_P12ihipStream_tbEUlT_E_NS1_11comp_targetILNS1_3genE5ELNS1_11target_archE942ELNS1_3gpuE9ELNS1_3repE0EEENS1_30default_config_static_selectorELNS0_4arch9wavefront6targetE1EEEvT1_, .Lfunc_end1289-_ZN7rocprim17ROCPRIM_400000_NS6detail17trampoline_kernelINS0_14default_configENS1_35adjacent_difference_config_selectorILb1ElEEZNS1_24adjacent_difference_implIS3_Lb1ELb0EPlS7_ZN2at6native12_GLOBAL__N_124unique_dim_cuda_templateIN3c104HalfEEESt5tupleIJNS8_6TensorESF_SF_EERKSF_lbbbEUlllE1_EE10hipError_tPvRmT2_T3_mT4_P12ihipStream_tbEUlT_E_NS1_11comp_targetILNS1_3genE5ELNS1_11target_archE942ELNS1_3gpuE9ELNS1_3repE0EEENS1_30default_config_static_selectorELNS0_4arch9wavefront6targetE1EEEvT1_
                                        ; -- End function
	.section	.AMDGPU.csdata,"",@progbits
; Kernel info:
; codeLenInByte = 0
; NumSgprs: 4
; NumVgprs: 0
; NumAgprs: 0
; TotalNumVgprs: 0
; ScratchSize: 0
; MemoryBound: 0
; FloatMode: 240
; IeeeMode: 1
; LDSByteSize: 0 bytes/workgroup (compile time only)
; SGPRBlocks: 0
; VGPRBlocks: 0
; NumSGPRsForWavesPerEU: 4
; NumVGPRsForWavesPerEU: 1
; AccumOffset: 4
; Occupancy: 8
; WaveLimiterHint : 0
; COMPUTE_PGM_RSRC2:SCRATCH_EN: 0
; COMPUTE_PGM_RSRC2:USER_SGPR: 6
; COMPUTE_PGM_RSRC2:TRAP_HANDLER: 0
; COMPUTE_PGM_RSRC2:TGID_X_EN: 1
; COMPUTE_PGM_RSRC2:TGID_Y_EN: 0
; COMPUTE_PGM_RSRC2:TGID_Z_EN: 0
; COMPUTE_PGM_RSRC2:TIDIG_COMP_CNT: 0
; COMPUTE_PGM_RSRC3_GFX90A:ACCUM_OFFSET: 0
; COMPUTE_PGM_RSRC3_GFX90A:TG_SPLIT: 0
	.section	.text._ZN7rocprim17ROCPRIM_400000_NS6detail17trampoline_kernelINS0_14default_configENS1_35adjacent_difference_config_selectorILb1ElEEZNS1_24adjacent_difference_implIS3_Lb1ELb0EPlS7_ZN2at6native12_GLOBAL__N_124unique_dim_cuda_templateIN3c104HalfEEESt5tupleIJNS8_6TensorESF_SF_EERKSF_lbbbEUlllE1_EE10hipError_tPvRmT2_T3_mT4_P12ihipStream_tbEUlT_E_NS1_11comp_targetILNS1_3genE4ELNS1_11target_archE910ELNS1_3gpuE8ELNS1_3repE0EEENS1_30default_config_static_selectorELNS0_4arch9wavefront6targetE1EEEvT1_,"axG",@progbits,_ZN7rocprim17ROCPRIM_400000_NS6detail17trampoline_kernelINS0_14default_configENS1_35adjacent_difference_config_selectorILb1ElEEZNS1_24adjacent_difference_implIS3_Lb1ELb0EPlS7_ZN2at6native12_GLOBAL__N_124unique_dim_cuda_templateIN3c104HalfEEESt5tupleIJNS8_6TensorESF_SF_EERKSF_lbbbEUlllE1_EE10hipError_tPvRmT2_T3_mT4_P12ihipStream_tbEUlT_E_NS1_11comp_targetILNS1_3genE4ELNS1_11target_archE910ELNS1_3gpuE8ELNS1_3repE0EEENS1_30default_config_static_selectorELNS0_4arch9wavefront6targetE1EEEvT1_,comdat
	.globl	_ZN7rocprim17ROCPRIM_400000_NS6detail17trampoline_kernelINS0_14default_configENS1_35adjacent_difference_config_selectorILb1ElEEZNS1_24adjacent_difference_implIS3_Lb1ELb0EPlS7_ZN2at6native12_GLOBAL__N_124unique_dim_cuda_templateIN3c104HalfEEESt5tupleIJNS8_6TensorESF_SF_EERKSF_lbbbEUlllE1_EE10hipError_tPvRmT2_T3_mT4_P12ihipStream_tbEUlT_E_NS1_11comp_targetILNS1_3genE4ELNS1_11target_archE910ELNS1_3gpuE8ELNS1_3repE0EEENS1_30default_config_static_selectorELNS0_4arch9wavefront6targetE1EEEvT1_ ; -- Begin function _ZN7rocprim17ROCPRIM_400000_NS6detail17trampoline_kernelINS0_14default_configENS1_35adjacent_difference_config_selectorILb1ElEEZNS1_24adjacent_difference_implIS3_Lb1ELb0EPlS7_ZN2at6native12_GLOBAL__N_124unique_dim_cuda_templateIN3c104HalfEEESt5tupleIJNS8_6TensorESF_SF_EERKSF_lbbbEUlllE1_EE10hipError_tPvRmT2_T3_mT4_P12ihipStream_tbEUlT_E_NS1_11comp_targetILNS1_3genE4ELNS1_11target_archE910ELNS1_3gpuE8ELNS1_3repE0EEENS1_30default_config_static_selectorELNS0_4arch9wavefront6targetE1EEEvT1_
	.p2align	8
	.type	_ZN7rocprim17ROCPRIM_400000_NS6detail17trampoline_kernelINS0_14default_configENS1_35adjacent_difference_config_selectorILb1ElEEZNS1_24adjacent_difference_implIS3_Lb1ELb0EPlS7_ZN2at6native12_GLOBAL__N_124unique_dim_cuda_templateIN3c104HalfEEESt5tupleIJNS8_6TensorESF_SF_EERKSF_lbbbEUlllE1_EE10hipError_tPvRmT2_T3_mT4_P12ihipStream_tbEUlT_E_NS1_11comp_targetILNS1_3genE4ELNS1_11target_archE910ELNS1_3gpuE8ELNS1_3repE0EEENS1_30default_config_static_selectorELNS0_4arch9wavefront6targetE1EEEvT1_,@function
_ZN7rocprim17ROCPRIM_400000_NS6detail17trampoline_kernelINS0_14default_configENS1_35adjacent_difference_config_selectorILb1ElEEZNS1_24adjacent_difference_implIS3_Lb1ELb0EPlS7_ZN2at6native12_GLOBAL__N_124unique_dim_cuda_templateIN3c104HalfEEESt5tupleIJNS8_6TensorESF_SF_EERKSF_lbbbEUlllE1_EE10hipError_tPvRmT2_T3_mT4_P12ihipStream_tbEUlT_E_NS1_11comp_targetILNS1_3genE4ELNS1_11target_archE910ELNS1_3gpuE8ELNS1_3repE0EEENS1_30default_config_static_selectorELNS0_4arch9wavefront6targetE1EEEvT1_: ; @_ZN7rocprim17ROCPRIM_400000_NS6detail17trampoline_kernelINS0_14default_configENS1_35adjacent_difference_config_selectorILb1ElEEZNS1_24adjacent_difference_implIS3_Lb1ELb0EPlS7_ZN2at6native12_GLOBAL__N_124unique_dim_cuda_templateIN3c104HalfEEESt5tupleIJNS8_6TensorESF_SF_EERKSF_lbbbEUlllE1_EE10hipError_tPvRmT2_T3_mT4_P12ihipStream_tbEUlT_E_NS1_11comp_targetILNS1_3genE4ELNS1_11target_archE910ELNS1_3gpuE8ELNS1_3repE0EEENS1_30default_config_static_selectorELNS0_4arch9wavefront6targetE1EEEvT1_
; %bb.0:
	s_load_dwordx16 s[8:23], s[4:5], 0x0
	s_mov_b32 s3, 0
	s_waitcnt lgkmcnt(0)
	s_lshl_b64 s[10:11], s[10:11], 3
	s_add_u32 s30, s8, s10
	s_addc_u32 s31, s9, s11
	s_lshl_b32 s8, s6, 10
	s_lshr_b64 s[0:1], s[14:15], 10
	s_and_b32 s2, s14, 0x3ff
	s_cmp_lg_u64 s[2:3], 0
	s_cselect_b64 s[4:5], -1, 0
	v_cndmask_b32_e64 v1, 0, 1, s[4:5]
	v_readfirstlane_b32 s2, v1
	s_add_u32 s26, s0, s2
	s_addc_u32 s27, s1, 0
	s_add_u32 s28, s22, s6
	s_addc_u32 s29, s23, 0
	s_mov_b32 s2, s6
	s_add_u32 s6, s26, -1
	s_addc_u32 s7, s27, -1
	v_pk_mov_b32 v[2:3], s[6:7], s[6:7] op_sel:[0,1]
	v_cmp_ge_u64_e64 s[0:1], s[28:29], v[2:3]
	s_mov_b64 s[4:5], -1
	s_and_b64 vcc, exec, s[0:1]
	s_cbranch_vccz .LBB1290_6
; %bb.1:
	s_lshl_b32 s4, s6, 10
	s_mov_b32 s9, s3
	s_sub_i32 s15, s14, s4
	s_lshl_b64 s[4:5], s[8:9], 3
	s_add_u32 s4, s30, s4
	s_addc_u32 s5, s31, s5
	v_cmp_gt_u32_e32 vcc, s15, v0
                                        ; implicit-def: $vgpr2_vgpr3_vgpr4_vgpr5
	s_and_saveexec_b64 s[24:25], vcc
	s_cbranch_execz .LBB1290_3
; %bb.2:
	v_lshlrev_b32_e32 v1, 3, v0
	global_load_dwordx2 v[2:3], v1, s[4:5]
.LBB1290_3:
	s_or_b64 exec, exec, s[24:25]
	v_or_b32_e32 v1, 0x200, v0
	v_cmp_gt_u32_e32 vcc, s15, v1
	s_and_saveexec_b64 s[24:25], vcc
	s_cbranch_execz .LBB1290_5
; %bb.4:
	v_lshlrev_b32_e32 v4, 3, v1
	global_load_dwordx2 v[4:5], v4, s[4:5]
.LBB1290_5:
	s_or_b64 exec, exec, s[24:25]
	v_lshrrev_b32_e32 v6, 2, v0
	v_lshrrev_b32_e32 v1, 2, v1
	v_and_b32_e32 v6, 0x78, v6
	v_lshlrev_b32_e32 v7, 3, v0
	v_and_b32_e32 v1, 0xf8, v1
	v_add_u32_e32 v6, v6, v7
	v_add_u32_e32 v1, v1, v7
	s_mov_b64 s[4:5], 0
	s_waitcnt vmcnt(0)
	ds_write_b64 v6, v[2:3]
	ds_write_b64 v1, v[4:5] offset:4096
	s_waitcnt lgkmcnt(0)
	s_barrier
.LBB1290_6:
	s_and_b64 vcc, exec, s[4:5]
	v_lshlrev_b32_e32 v1, 3, v0
	s_cbranch_vccz .LBB1290_8
; %bb.7:
	s_mov_b32 s9, 0
	s_lshl_b64 s[4:5], s[8:9], 3
	s_add_u32 s4, s30, s4
	s_addc_u32 s5, s31, s5
	v_mov_b32_e32 v2, s5
	v_add_co_u32_e32 v3, vcc, s4, v1
	v_addc_co_u32_e32 v4, vcc, 0, v2, vcc
	v_add_co_u32_e32 v2, vcc, 0x1000, v3
	v_addc_co_u32_e32 v3, vcc, 0, v4, vcc
	global_load_dwordx2 v[4:5], v1, s[4:5]
	global_load_dwordx2 v[6:7], v[2:3], off
	v_lshrrev_b32_e32 v2, 2, v0
	v_or_b32_e32 v3, 0x200, v0
	v_and_b32_e32 v2, 0x78, v2
	v_lshrrev_b32_e32 v3, 2, v3
	v_add_u32_e32 v2, v2, v1
	v_and_b32_e32 v3, 0xf8, v3
	v_add_u32_e32 v3, v3, v1
	s_waitcnt vmcnt(1)
	ds_write_b64 v2, v[4:5]
	s_waitcnt vmcnt(0)
	ds_write_b64 v3, v[6:7] offset:4096
	s_waitcnt lgkmcnt(0)
	s_barrier
.LBB1290_8:
	v_lshlrev_b32_e32 v2, 1, v0
	v_lshrrev_b32_e32 v3, 4, v0
	v_add_lshl_u32 v2, v3, v2, 3
	ds_read2_b64 v[2:5], v2 offset1:1
	s_cmp_eq_u64 s[28:29], 0
	s_mov_b64 s[24:25], 0
	s_waitcnt lgkmcnt(0)
	s_barrier
	s_cbranch_scc1 .LBB1290_17
; %bb.9:
	s_lshl_b64 s[4:5], s[22:23], 3
	s_add_u32 s4, s20, s4
	s_addc_u32 s5, s21, s5
	s_lshl_b64 s[2:3], s[2:3], 3
	s_add_u32 s2, s4, s2
	s_addc_u32 s3, s5, s3
	s_add_u32 s2, s2, -8
	s_addc_u32 s3, s3, -1
	s_load_dwordx2 s[20:21], s[2:3], 0x0
	s_cmp_lg_u64 s[28:29], s[6:7]
	s_cbranch_scc0 .LBB1290_18
; %bb.10:
	v_cmp_lt_i64_e64 s[2:3], s[16:17], 1
	v_pk_mov_b32 v[8:9], 0, 0
	v_cmp_gt_i64_e64 s[22:23], s[16:17], 0
	s_and_b64 vcc, exec, s[2:3]
	ds_write_b64 v1, v[4:5]
	s_cbranch_vccnz .LBB1290_21
; %bb.11:
	v_mul_lo_u32 v8, v5, s16
	v_mul_lo_u32 v9, v4, s17
	v_mad_u64_u32 v[6:7], s[2:3], v4, s16, 0
	v_add3_u32 v7, v7, v9, v8
	v_mul_lo_u32 v10, v3, s16
	v_mul_lo_u32 v11, v2, s17
	v_mad_u64_u32 v[8:9], s[2:3], v2, s16, 0
	v_add3_u32 v9, v9, v11, v10
	v_lshlrev_b64 v[10:11], 1, v[6:7]
	v_mov_b32_e32 v6, s19
	v_add_co_u32_e32 v12, vcc, s18, v10
	v_addc_co_u32_e64 v13, s[2:3], v6, v11, vcc
	v_lshlrev_b64 v[6:7], 1, v[8:9]
	v_mov_b32_e32 v8, s19
	v_add_co_u32_e64 v14, s[2:3], s18, v6
	v_addc_co_u32_e64 v15, s[4:5], v8, v7, s[2:3]
	global_load_ushort v6, v[12:13], off
	global_load_ushort v8, v[14:15], off
	s_waitcnt vmcnt(0)
	v_cmp_eq_f16_e64 s[4:5], v6, v8
	v_mov_b32_e32 v8, 1
	v_mov_b32_e32 v9, 0
	s_and_saveexec_b64 s[24:25], s[4:5]
	s_cbranch_execz .LBB1290_20
; %bb.12:
	v_mov_b32_e32 v6, s19
	v_addc_co_u32_e64 v7, s[2:3], v7, v6, s[2:3]
	v_add_co_u32_e64 v6, s[2:3], 2, v14
	v_mov_b32_e32 v8, s19
	v_addc_co_u32_e64 v7, s[2:3], 0, v7, s[2:3]
	v_addc_co_u32_e32 v9, vcc, v11, v8, vcc
	v_add_co_u32_e32 v8, vcc, 2, v12
	s_add_u32 s2, s16, -1
	v_addc_co_u32_e32 v9, vcc, 0, v9, vcc
	s_addc_u32 s3, s17, -1
	s_mov_b64 s[4:5], 0
	s_mov_b64 s[34:35], 0
                                        ; implicit-def: $sgpr30_sgpr31
	s_branch .LBB1290_15
.LBB1290_13:                            ;   in Loop: Header=BB1290_15 Depth=1
	global_load_ushort v10, v[8:9], off
	global_load_ushort v11, v[6:7], off
	v_add_co_u32_e32 v6, vcc, 2, v6
	v_addc_co_u32_e32 v7, vcc, 0, v7, vcc
	v_add_co_u32_e32 v8, vcc, 2, v8
	v_addc_co_u32_e32 v9, vcc, 0, v9, vcc
	s_add_u32 s34, s34, 1
	s_addc_u32 s35, s35, 0
	s_andn2_b64 s[30:31], s[30:31], exec
	s_waitcnt vmcnt(0)
	v_cmp_neq_f16_e32 vcc, v10, v11
	s_and_b64 s[36:37], vcc, exec
	s_or_b64 s[30:31], s[30:31], s[36:37]
.LBB1290_14:                            ;   in Loop: Header=BB1290_15 Depth=1
	s_and_b64 s[36:37], exec, s[30:31]
	s_or_b64 s[4:5], s[36:37], s[4:5]
	v_pk_mov_b32 v[10:11], s[34:35], s[34:35] op_sel:[0,1]
	s_andn2_b64 exec, exec, s[4:5]
	s_cbranch_execz .LBB1290_19
.LBB1290_15:                            ; =>This Inner Loop Header: Depth=1
	s_or_b64 s[30:31], s[30:31], exec
	s_cmp_eq_u64 s[2:3], s[34:35]
	s_cbranch_scc0 .LBB1290_13
; %bb.16:                               ;   in Loop: Header=BB1290_15 Depth=1
                                        ; implicit-def: $vgpr6_vgpr7
                                        ; implicit-def: $vgpr8_vgpr9
	s_mov_b64 s[34:35], s[16:17]
	s_branch .LBB1290_14
.LBB1290_17:
                                        ; implicit-def: $sgpr22_sgpr23
                                        ; implicit-def: $vgpr8_vgpr9
	s_cbranch_execnz .LBB1290_60
	s_branch .LBB1290_108
.LBB1290_18:
                                        ; implicit-def: $sgpr22_sgpr23
                                        ; implicit-def: $vgpr8_vgpr9
	s_cbranch_execnz .LBB1290_33
	s_branch .LBB1290_59
.LBB1290_19:
	s_or_b64 exec, exec, s[4:5]
	v_cmp_gt_i64_e32 vcc, s[16:17], v[10:11]
	s_mov_b32 s2, 0
	v_cndmask_b32_e64 v8, 0, 1, vcc
	v_mov_b32_e32 v9, s2
.LBB1290_20:
	s_or_b64 exec, exec, s[24:25]
.LBB1290_21:
	v_cmp_ne_u32_e32 vcc, 0, v0
	s_waitcnt lgkmcnt(0)
	v_pk_mov_b32 v[6:7], s[20:21], s[20:21] op_sel:[0,1]
	s_barrier
	s_and_saveexec_b64 s[2:3], vcc
	s_cbranch_execz .LBB1290_23
; %bb.22:
	v_add_u32_e32 v6, -8, v1
	ds_read_b64 v[6:7], v6
.LBB1290_23:
	s_or_b64 exec, exec, s[2:3]
	s_mov_b64 s[30:31], 0
	s_andn2_b64 vcc, exec, s[22:23]
	s_mov_b64 s[22:23], 0
	s_cbranch_vccnz .LBB1290_32
; %bb.24:
	v_mul_lo_u32 v12, v3, s16
	v_mul_lo_u32 v13, v2, s17
	v_mad_u64_u32 v[10:11], s[2:3], v2, s16, 0
	v_add3_u32 v11, v11, v13, v12
	s_waitcnt lgkmcnt(0)
	v_mul_lo_u32 v12, v7, s16
	v_mul_lo_u32 v13, v6, s17
	v_mad_u64_u32 v[6:7], s[2:3], v6, s16, 0
	v_lshlrev_b64 v[10:11], 1, v[10:11]
	v_add3_u32 v7, v7, v13, v12
	v_mov_b32_e32 v13, s19
	v_add_co_u32_e32 v12, vcc, s18, v10
	v_addc_co_u32_e64 v13, s[2:3], v13, v11, vcc
	v_lshlrev_b64 v[6:7], 1, v[6:7]
	v_mov_b32_e32 v10, s19
	v_add_co_u32_e64 v14, s[2:3], s18, v6
	v_addc_co_u32_e64 v15, s[4:5], v10, v7, s[2:3]
	global_load_ushort v6, v[12:13], off
	global_load_ushort v10, v[14:15], off
	s_mov_b64 s[22:23], -1
	s_waitcnt vmcnt(0)
	v_cmp_eq_f16_e64 s[4:5], v6, v10
	s_and_saveexec_b64 s[24:25], s[4:5]
	s_cbranch_execz .LBB1290_31
; %bb.25:
	v_mov_b32_e32 v6, s19
	v_addc_co_u32_e64 v7, s[2:3], v7, v6, s[2:3]
	v_add_co_u32_e64 v6, s[2:3], 2, v14
	v_mov_b32_e32 v10, s19
	v_addc_co_u32_e64 v7, s[2:3], 0, v7, s[2:3]
	v_addc_co_u32_e32 v11, vcc, v11, v10, vcc
	v_add_co_u32_e32 v10, vcc, 2, v12
	s_add_u32 s2, s16, -1
	v_addc_co_u32_e32 v11, vcc, 0, v11, vcc
	s_addc_u32 s3, s17, -1
	s_mov_b64 s[4:5], 0
	s_mov_b64 s[34:35], 0
                                        ; implicit-def: $sgpr22_sgpr23
	s_branch .LBB1290_28
.LBB1290_26:                            ;   in Loop: Header=BB1290_28 Depth=1
	global_load_ushort v12, v[10:11], off
	global_load_ushort v13, v[6:7], off
	v_add_co_u32_e32 v6, vcc, 2, v6
	v_addc_co_u32_e32 v7, vcc, 0, v7, vcc
	v_add_co_u32_e32 v10, vcc, 2, v10
	v_addc_co_u32_e32 v11, vcc, 0, v11, vcc
	s_add_u32 s34, s34, 1
	s_addc_u32 s35, s35, 0
	s_andn2_b64 s[22:23], s[22:23], exec
	s_waitcnt vmcnt(0)
	v_cmp_neq_f16_e32 vcc, v12, v13
	s_and_b64 s[36:37], vcc, exec
	s_or_b64 s[22:23], s[22:23], s[36:37]
.LBB1290_27:                            ;   in Loop: Header=BB1290_28 Depth=1
	s_and_b64 s[36:37], exec, s[22:23]
	s_or_b64 s[4:5], s[36:37], s[4:5]
	v_pk_mov_b32 v[12:13], s[34:35], s[34:35] op_sel:[0,1]
	s_andn2_b64 exec, exec, s[4:5]
	s_cbranch_execz .LBB1290_30
.LBB1290_28:                            ; =>This Inner Loop Header: Depth=1
	s_or_b64 s[22:23], s[22:23], exec
	s_cmp_eq_u64 s[2:3], s[34:35]
	s_cbranch_scc0 .LBB1290_26
; %bb.29:                               ;   in Loop: Header=BB1290_28 Depth=1
                                        ; implicit-def: $vgpr6_vgpr7
                                        ; implicit-def: $vgpr10_vgpr11
	s_mov_b64 s[34:35], s[16:17]
	s_branch .LBB1290_27
.LBB1290_30:
	s_or_b64 exec, exec, s[4:5]
	v_cmp_gt_i64_e32 vcc, s[16:17], v[12:13]
	s_orn2_b64 s[22:23], vcc, exec
.LBB1290_31:
	s_or_b64 exec, exec, s[24:25]
.LBB1290_32:
	s_mov_b64 s[24:25], -1
	s_and_b64 vcc, exec, s[30:31]
	s_cbranch_vccz .LBB1290_59
.LBB1290_33:
	s_lshl_b32 s2, s28, 10
	v_lshlrev_b32_e32 v16, 1, v0
	s_sub_i32 s7, s14, s2
	s_waitcnt lgkmcnt(0)
	v_or_b32_e32 v6, 1, v16
	v_cmp_gt_u32_e32 vcc, s7, v6
	v_pk_mov_b32 v[8:9], v[4:5], v[4:5] op_sel:[0,1]
	ds_write_b64 v1, v[4:5]
	v_pk_mov_b32 v[6:7], v[2:3], v[2:3] op_sel:[0,1]
	s_and_saveexec_b64 s[22:23], vcc
	s_cbranch_execz .LBB1290_44
; %bb.34:
	v_cmp_lt_i64_e64 s[2:3], s[16:17], 1
	s_and_b64 vcc, exec, s[2:3]
	s_cbranch_vccnz .LBB1290_41
; %bb.35:
	v_mul_lo_u32 v8, v5, s16
	v_mul_lo_u32 v9, v4, s17
	v_mad_u64_u32 v[6:7], s[2:3], v4, s16, 0
	v_add3_u32 v7, v7, v9, v8
	v_mul_lo_u32 v10, v3, s16
	v_mul_lo_u32 v11, v2, s17
	v_mad_u64_u32 v[8:9], s[2:3], v2, s16, 0
	v_add3_u32 v9, v9, v11, v10
	v_lshlrev_b64 v[10:11], 1, v[6:7]
	v_mov_b32_e32 v6, s19
	v_add_co_u32_e32 v12, vcc, s18, v10
	v_addc_co_u32_e64 v13, s[2:3], v6, v11, vcc
	v_lshlrev_b64 v[6:7], 1, v[8:9]
	v_mov_b32_e32 v8, s19
	v_add_co_u32_e64 v14, s[2:3], s18, v6
	v_addc_co_u32_e64 v15, s[4:5], v8, v7, s[2:3]
	global_load_ushort v6, v[12:13], off
	global_load_ushort v8, v[14:15], off
	s_waitcnt vmcnt(0)
	v_cmp_eq_f16_e64 s[4:5], v6, v8
	v_mov_b32_e32 v8, 1
	v_mov_b32_e32 v9, 0
	s_and_saveexec_b64 s[28:29], s[4:5]
	s_cbranch_execz .LBB1290_43
; %bb.36:
	v_mov_b32_e32 v6, s19
	v_addc_co_u32_e64 v7, s[2:3], v7, v6, s[2:3]
	v_add_co_u32_e64 v6, s[2:3], 2, v14
	v_mov_b32_e32 v8, s19
	v_addc_co_u32_e64 v7, s[2:3], 0, v7, s[2:3]
	v_addc_co_u32_e32 v9, vcc, v11, v8, vcc
	v_add_co_u32_e32 v8, vcc, 2, v12
	s_add_u32 s2, s16, -1
	v_addc_co_u32_e32 v9, vcc, 0, v9, vcc
	s_addc_u32 s3, s17, -1
	s_mov_b64 s[4:5], 0
	s_mov_b64 s[34:35], 0
                                        ; implicit-def: $sgpr30_sgpr31
	s_branch .LBB1290_39
.LBB1290_37:                            ;   in Loop: Header=BB1290_39 Depth=1
	global_load_ushort v10, v[8:9], off
	global_load_ushort v11, v[6:7], off
	v_add_co_u32_e32 v6, vcc, 2, v6
	v_addc_co_u32_e32 v7, vcc, 0, v7, vcc
	v_add_co_u32_e32 v8, vcc, 2, v8
	v_addc_co_u32_e32 v9, vcc, 0, v9, vcc
	s_add_u32 s34, s34, 1
	s_addc_u32 s35, s35, 0
	s_andn2_b64 s[30:31], s[30:31], exec
	s_waitcnt vmcnt(0)
	v_cmp_neq_f16_e32 vcc, v10, v11
	s_and_b64 s[36:37], vcc, exec
	s_or_b64 s[30:31], s[30:31], s[36:37]
.LBB1290_38:                            ;   in Loop: Header=BB1290_39 Depth=1
	s_and_b64 s[36:37], exec, s[30:31]
	s_or_b64 s[4:5], s[36:37], s[4:5]
	v_pk_mov_b32 v[10:11], s[34:35], s[34:35] op_sel:[0,1]
	s_andn2_b64 exec, exec, s[4:5]
	s_cbranch_execz .LBB1290_42
.LBB1290_39:                            ; =>This Inner Loop Header: Depth=1
	s_or_b64 s[30:31], s[30:31], exec
	s_cmp_eq_u64 s[2:3], s[34:35]
	s_cbranch_scc0 .LBB1290_37
; %bb.40:                               ;   in Loop: Header=BB1290_39 Depth=1
                                        ; implicit-def: $vgpr6_vgpr7
                                        ; implicit-def: $vgpr8_vgpr9
	s_mov_b64 s[34:35], s[16:17]
	s_branch .LBB1290_38
.LBB1290_41:
	v_pk_mov_b32 v[8:9], 0, 0
	s_branch .LBB1290_44
.LBB1290_42:
	s_or_b64 exec, exec, s[4:5]
	v_cmp_gt_i64_e32 vcc, s[16:17], v[10:11]
	s_mov_b32 s2, 0
	v_cndmask_b32_e64 v8, 0, 1, vcc
	v_mov_b32_e32 v9, s2
.LBB1290_43:
	s_or_b64 exec, exec, s[28:29]
.LBB1290_44:
	s_or_b64 exec, exec, s[22:23]
	v_cmp_ne_u32_e32 vcc, 0, v0
	v_pk_mov_b32 v[6:7], s[20:21], s[20:21] op_sel:[0,1]
	s_waitcnt lgkmcnt(0)
	s_barrier
	s_and_saveexec_b64 s[2:3], vcc
	s_cbranch_execz .LBB1290_46
; %bb.45:
	v_add_u32_e32 v6, -8, v1
	ds_read_b64 v[6:7], v6
.LBB1290_46:
	s_or_b64 exec, exec, s[2:3]
	v_cmp_gt_u32_e32 vcc, s7, v16
                                        ; implicit-def: $sgpr22_sgpr23
	s_and_saveexec_b64 s[20:21], vcc
	s_cbranch_execz .LBB1290_58
; %bb.47:
	v_cmp_lt_i64_e64 s[2:3], s[16:17], 1
	s_and_b64 vcc, exec, s[2:3]
	s_cbranch_vccnz .LBB1290_54
; %bb.48:
	v_mul_lo_u32 v12, v3, s16
	v_mul_lo_u32 v13, v2, s17
	v_mad_u64_u32 v[10:11], s[2:3], v2, s16, 0
	v_add3_u32 v11, v11, v13, v12
	s_waitcnt lgkmcnt(0)
	v_mul_lo_u32 v12, v7, s16
	v_mul_lo_u32 v13, v6, s17
	v_mad_u64_u32 v[6:7], s[2:3], v6, s16, 0
	v_lshlrev_b64 v[10:11], 1, v[10:11]
	v_add3_u32 v7, v7, v13, v12
	v_mov_b32_e32 v13, s19
	v_add_co_u32_e32 v12, vcc, s18, v10
	v_addc_co_u32_e64 v13, s[2:3], v13, v11, vcc
	v_lshlrev_b64 v[6:7], 1, v[6:7]
	v_mov_b32_e32 v10, s19
	v_add_co_u32_e64 v14, s[2:3], s18, v6
	v_addc_co_u32_e64 v15, s[4:5], v10, v7, s[2:3]
	global_load_ushort v6, v[12:13], off
	global_load_ushort v10, v[14:15], off
	s_mov_b64 s[28:29], -1
	s_waitcnt vmcnt(0)
	v_cmp_eq_f16_e64 s[4:5], v6, v10
	s_and_saveexec_b64 s[22:23], s[4:5]
	s_cbranch_execz .LBB1290_56
; %bb.49:
	v_mov_b32_e32 v6, s19
	v_addc_co_u32_e64 v7, s[2:3], v7, v6, s[2:3]
	v_add_co_u32_e64 v6, s[2:3], 2, v14
	v_mov_b32_e32 v10, s19
	v_addc_co_u32_e64 v7, s[2:3], 0, v7, s[2:3]
	v_addc_co_u32_e32 v11, vcc, v11, v10, vcc
	v_add_co_u32_e32 v10, vcc, 2, v12
	s_add_u32 s2, s16, -1
	v_addc_co_u32_e32 v11, vcc, 0, v11, vcc
	s_addc_u32 s3, s17, -1
	s_mov_b64 s[4:5], 0
	s_mov_b64 s[30:31], 0
                                        ; implicit-def: $sgpr28_sgpr29
	s_branch .LBB1290_52
.LBB1290_50:                            ;   in Loop: Header=BB1290_52 Depth=1
	global_load_ushort v12, v[10:11], off
	global_load_ushort v13, v[6:7], off
	v_add_co_u32_e32 v6, vcc, 2, v6
	v_addc_co_u32_e32 v7, vcc, 0, v7, vcc
	v_add_co_u32_e32 v10, vcc, 2, v10
	v_addc_co_u32_e32 v11, vcc, 0, v11, vcc
	s_add_u32 s30, s30, 1
	s_addc_u32 s31, s31, 0
	s_andn2_b64 s[28:29], s[28:29], exec
	s_waitcnt vmcnt(0)
	v_cmp_neq_f16_e32 vcc, v12, v13
	s_and_b64 s[34:35], vcc, exec
	s_or_b64 s[28:29], s[28:29], s[34:35]
.LBB1290_51:                            ;   in Loop: Header=BB1290_52 Depth=1
	s_and_b64 s[34:35], exec, s[28:29]
	s_or_b64 s[4:5], s[34:35], s[4:5]
	v_pk_mov_b32 v[12:13], s[30:31], s[30:31] op_sel:[0,1]
	s_andn2_b64 exec, exec, s[4:5]
	s_cbranch_execz .LBB1290_55
.LBB1290_52:                            ; =>This Inner Loop Header: Depth=1
	s_or_b64 s[28:29], s[28:29], exec
	s_cmp_eq_u64 s[2:3], s[30:31]
	s_cbranch_scc0 .LBB1290_50
; %bb.53:                               ;   in Loop: Header=BB1290_52 Depth=1
                                        ; implicit-def: $vgpr6_vgpr7
                                        ; implicit-def: $vgpr10_vgpr11
	s_mov_b64 s[30:31], s[16:17]
	s_branch .LBB1290_51
.LBB1290_54:
	s_mov_b64 s[28:29], 0
	s_branch .LBB1290_57
.LBB1290_55:
	s_or_b64 exec, exec, s[4:5]
	v_cmp_gt_i64_e32 vcc, s[16:17], v[12:13]
	s_orn2_b64 s[28:29], vcc, exec
.LBB1290_56:
	s_or_b64 exec, exec, s[22:23]
.LBB1290_57:
	s_and_b64 s[22:23], s[28:29], exec
	s_or_b64 s[24:25], s[24:25], exec
.LBB1290_58:
	s_or_b64 exec, exec, s[20:21]
.LBB1290_59:
	s_branch .LBB1290_108
.LBB1290_60:
	s_cmp_lg_u64 s[26:27], 1
	s_cbranch_scc0 .LBB1290_68
; %bb.61:
	v_cmp_lt_i64_e64 s[2:3], s[16:17], 1
	v_pk_mov_b32 v[8:9], 0, 0
	v_cmp_gt_i64_e64 s[26:27], s[16:17], 0
	s_and_b64 vcc, exec, s[2:3]
	ds_write_b64 v1, v[4:5]
	s_cbranch_vccnz .LBB1290_71
; %bb.62:
	v_mul_lo_u32 v8, v5, s16
	v_mul_lo_u32 v9, v4, s17
	s_waitcnt lgkmcnt(0)
	v_mad_u64_u32 v[6:7], s[2:3], v4, s16, 0
	v_add3_u32 v7, v7, v9, v8
	v_mul_lo_u32 v10, v3, s16
	v_mul_lo_u32 v11, v2, s17
	v_mad_u64_u32 v[8:9], s[2:3], v2, s16, 0
	v_add3_u32 v9, v9, v11, v10
	v_lshlrev_b64 v[10:11], 1, v[6:7]
	v_mov_b32_e32 v6, s19
	v_add_co_u32_e32 v12, vcc, s18, v10
	v_addc_co_u32_e64 v13, s[2:3], v6, v11, vcc
	v_lshlrev_b64 v[6:7], 1, v[8:9]
	v_mov_b32_e32 v8, s19
	v_add_co_u32_e64 v14, s[2:3], s18, v6
	v_addc_co_u32_e64 v15, s[4:5], v8, v7, s[2:3]
	global_load_ushort v6, v[12:13], off
	global_load_ushort v8, v[14:15], off
	s_waitcnt vmcnt(0)
	v_cmp_eq_f16_e64 s[4:5], v6, v8
	v_mov_b32_e32 v8, 1
	v_mov_b32_e32 v9, 0
	s_and_saveexec_b64 s[20:21], s[4:5]
	s_cbranch_execz .LBB1290_70
; %bb.63:
	v_mov_b32_e32 v6, s19
	v_addc_co_u32_e64 v7, s[2:3], v7, v6, s[2:3]
	v_add_co_u32_e64 v6, s[2:3], 2, v14
	v_mov_b32_e32 v8, s19
	v_addc_co_u32_e64 v7, s[2:3], 0, v7, s[2:3]
	v_addc_co_u32_e32 v9, vcc, v11, v8, vcc
	v_add_co_u32_e32 v8, vcc, 2, v12
	s_add_u32 s2, s16, -1
	v_addc_co_u32_e32 v9, vcc, 0, v9, vcc
	s_addc_u32 s3, s17, -1
	s_mov_b64 s[4:5], 0
	s_mov_b64 s[28:29], 0
                                        ; implicit-def: $sgpr22_sgpr23
	s_branch .LBB1290_66
.LBB1290_64:                            ;   in Loop: Header=BB1290_66 Depth=1
	global_load_ushort v10, v[8:9], off
	global_load_ushort v11, v[6:7], off
	v_add_co_u32_e32 v6, vcc, 2, v6
	v_addc_co_u32_e32 v7, vcc, 0, v7, vcc
	v_add_co_u32_e32 v8, vcc, 2, v8
	v_addc_co_u32_e32 v9, vcc, 0, v9, vcc
	s_add_u32 s28, s28, 1
	s_addc_u32 s29, s29, 0
	s_andn2_b64 s[22:23], s[22:23], exec
	s_waitcnt vmcnt(0)
	v_cmp_neq_f16_e32 vcc, v10, v11
	s_and_b64 s[30:31], vcc, exec
	s_or_b64 s[22:23], s[22:23], s[30:31]
.LBB1290_65:                            ;   in Loop: Header=BB1290_66 Depth=1
	s_and_b64 s[30:31], exec, s[22:23]
	s_or_b64 s[4:5], s[30:31], s[4:5]
	v_pk_mov_b32 v[10:11], s[28:29], s[28:29] op_sel:[0,1]
	s_andn2_b64 exec, exec, s[4:5]
	s_cbranch_execz .LBB1290_69
.LBB1290_66:                            ; =>This Inner Loop Header: Depth=1
	s_or_b64 s[22:23], s[22:23], exec
	s_cmp_eq_u64 s[2:3], s[28:29]
	s_cbranch_scc0 .LBB1290_64
; %bb.67:                               ;   in Loop: Header=BB1290_66 Depth=1
                                        ; implicit-def: $vgpr6_vgpr7
                                        ; implicit-def: $vgpr8_vgpr9
	s_mov_b64 s[28:29], s[16:17]
	s_branch .LBB1290_65
.LBB1290_68:
                                        ; implicit-def: $sgpr22_sgpr23
                                        ; implicit-def: $vgpr8_vgpr9
	s_cbranch_execnz .LBB1290_84
	s_branch .LBB1290_108
.LBB1290_69:
	s_or_b64 exec, exec, s[4:5]
	v_cmp_gt_i64_e32 vcc, s[16:17], v[10:11]
	s_mov_b32 s2, 0
	v_cndmask_b32_e64 v8, 0, 1, vcc
	v_mov_b32_e32 v9, s2
.LBB1290_70:
	s_or_b64 exec, exec, s[20:21]
.LBB1290_71:
	v_cmp_ne_u32_e32 vcc, 0, v0
	s_waitcnt lgkmcnt(0)
	s_barrier
	s_waitcnt lgkmcnt(0)
                                        ; implicit-def: $sgpr22_sgpr23
	s_and_saveexec_b64 s[20:21], vcc
	s_cbranch_execz .LBB1290_83
; %bb.72:
	s_andn2_b64 vcc, exec, s[26:27]
	s_cbranch_vccnz .LBB1290_79
; %bb.73:
	v_add_u32_e32 v6, -8, v1
	ds_read_b64 v[6:7], v6
	v_mul_lo_u32 v12, v3, s16
	v_mul_lo_u32 v13, v2, s17
	v_mad_u64_u32 v[10:11], s[2:3], v2, s16, 0
	v_add3_u32 v11, v11, v13, v12
	s_waitcnt lgkmcnt(0)
	v_mul_lo_u32 v12, v7, s16
	v_mul_lo_u32 v13, v6, s17
	v_mad_u64_u32 v[6:7], s[2:3], v6, s16, 0
	v_lshlrev_b64 v[10:11], 1, v[10:11]
	v_add3_u32 v7, v7, v13, v12
	v_mov_b32_e32 v13, s19
	v_add_co_u32_e32 v12, vcc, s18, v10
	v_addc_co_u32_e64 v13, s[2:3], v13, v11, vcc
	v_lshlrev_b64 v[6:7], 1, v[6:7]
	v_mov_b32_e32 v10, s19
	v_add_co_u32_e64 v14, s[2:3], s18, v6
	v_addc_co_u32_e64 v15, s[4:5], v10, v7, s[2:3]
	global_load_ushort v6, v[12:13], off
	global_load_ushort v10, v[14:15], off
	s_mov_b64 s[26:27], -1
	s_waitcnt vmcnt(0)
	v_cmp_eq_f16_e64 s[4:5], v6, v10
	s_and_saveexec_b64 s[22:23], s[4:5]
	s_cbranch_execz .LBB1290_81
; %bb.74:
	v_mov_b32_e32 v6, s19
	v_addc_co_u32_e64 v7, s[2:3], v7, v6, s[2:3]
	v_add_co_u32_e64 v6, s[2:3], 2, v14
	v_mov_b32_e32 v10, s19
	v_addc_co_u32_e64 v7, s[2:3], 0, v7, s[2:3]
	v_addc_co_u32_e32 v11, vcc, v11, v10, vcc
	v_add_co_u32_e32 v10, vcc, 2, v12
	s_add_u32 s2, s16, -1
	v_addc_co_u32_e32 v11, vcc, 0, v11, vcc
	s_addc_u32 s3, s17, -1
	s_mov_b64 s[4:5], 0
	s_mov_b64 s[28:29], 0
                                        ; implicit-def: $sgpr26_sgpr27
	s_branch .LBB1290_77
.LBB1290_75:                            ;   in Loop: Header=BB1290_77 Depth=1
	global_load_ushort v12, v[10:11], off
	global_load_ushort v13, v[6:7], off
	v_add_co_u32_e32 v6, vcc, 2, v6
	v_addc_co_u32_e32 v7, vcc, 0, v7, vcc
	v_add_co_u32_e32 v10, vcc, 2, v10
	v_addc_co_u32_e32 v11, vcc, 0, v11, vcc
	s_add_u32 s28, s28, 1
	s_addc_u32 s29, s29, 0
	s_andn2_b64 s[26:27], s[26:27], exec
	s_waitcnt vmcnt(0)
	v_cmp_neq_f16_e32 vcc, v12, v13
	s_and_b64 s[30:31], vcc, exec
	s_or_b64 s[26:27], s[26:27], s[30:31]
.LBB1290_76:                            ;   in Loop: Header=BB1290_77 Depth=1
	s_and_b64 s[30:31], exec, s[26:27]
	s_or_b64 s[4:5], s[30:31], s[4:5]
	v_pk_mov_b32 v[12:13], s[28:29], s[28:29] op_sel:[0,1]
	s_andn2_b64 exec, exec, s[4:5]
	s_cbranch_execz .LBB1290_80
.LBB1290_77:                            ; =>This Inner Loop Header: Depth=1
	s_or_b64 s[26:27], s[26:27], exec
	s_cmp_eq_u64 s[2:3], s[28:29]
	s_cbranch_scc0 .LBB1290_75
; %bb.78:                               ;   in Loop: Header=BB1290_77 Depth=1
                                        ; implicit-def: $vgpr6_vgpr7
                                        ; implicit-def: $vgpr10_vgpr11
	s_mov_b64 s[28:29], s[16:17]
	s_branch .LBB1290_76
.LBB1290_79:
	s_mov_b64 s[26:27], 0
	s_branch .LBB1290_82
.LBB1290_80:
	s_or_b64 exec, exec, s[4:5]
	v_cmp_gt_i64_e32 vcc, s[16:17], v[12:13]
	s_orn2_b64 s[26:27], vcc, exec
.LBB1290_81:
	s_or_b64 exec, exec, s[22:23]
.LBB1290_82:
	s_and_b64 s[22:23], s[26:27], exec
	s_or_b64 s[24:25], s[24:25], exec
.LBB1290_83:
	s_or_b64 exec, exec, s[20:21]
	s_branch .LBB1290_108
.LBB1290_84:
	v_lshlrev_b32_e32 v14, 1, v0
	s_waitcnt lgkmcnt(0)
	v_or_b32_e32 v6, 1, v14
	v_cmp_gt_u32_e32 vcc, s14, v6
	v_cmp_lt_i64_e64 s[20:21], s[16:17], 1
	v_pk_mov_b32 v[8:9], v[4:5], v[4:5] op_sel:[0,1]
	ds_write_b64 v1, v[4:5]
	v_pk_mov_b32 v[6:7], v[2:3], v[2:3] op_sel:[0,1]
	s_and_saveexec_b64 s[22:23], vcc
	s_cbranch_execz .LBB1290_95
; %bb.85:
	s_and_b64 vcc, exec, s[20:21]
	s_cbranch_vccnz .LBB1290_92
; %bb.86:
	v_mul_lo_u32 v6, v5, s16
	v_mul_lo_u32 v7, v4, s17
	v_mad_u64_u32 v[4:5], s[2:3], v4, s16, 0
	v_add3_u32 v5, v5, v7, v6
	v_mul_lo_u32 v6, v3, s16
	v_mul_lo_u32 v7, v2, s17
	v_mad_u64_u32 v[8:9], s[2:3], v2, s16, 0
	v_add3_u32 v9, v9, v7, v6
	v_lshlrev_b64 v[6:7], 1, v[4:5]
	v_mov_b32_e32 v4, s19
	v_add_co_u32_e32 v10, vcc, s18, v6
	v_addc_co_u32_e64 v11, s[2:3], v4, v7, vcc
	v_lshlrev_b64 v[4:5], 1, v[8:9]
	v_mov_b32_e32 v6, s19
	v_add_co_u32_e64 v12, s[2:3], s18, v4
	v_addc_co_u32_e64 v13, s[4:5], v6, v5, s[2:3]
	global_load_ushort v4, v[10:11], off
	global_load_ushort v6, v[12:13], off
	v_mov_b32_e32 v8, 1
	v_mov_b32_e32 v9, 0
	s_waitcnt vmcnt(0)
	v_cmp_eq_f16_e64 s[4:5], v4, v6
	s_and_saveexec_b64 s[26:27], s[4:5]
	s_cbranch_execz .LBB1290_94
; %bb.87:
	v_mov_b32_e32 v4, s19
	v_addc_co_u32_e64 v5, s[2:3], v5, v4, s[2:3]
	v_add_co_u32_e64 v4, s[2:3], 2, v12
	v_mov_b32_e32 v6, s19
	v_addc_co_u32_e64 v5, s[2:3], 0, v5, s[2:3]
	v_addc_co_u32_e32 v7, vcc, v7, v6, vcc
	v_add_co_u32_e32 v6, vcc, 2, v10
	s_add_u32 s2, s16, -1
	v_addc_co_u32_e32 v7, vcc, 0, v7, vcc
	s_addc_u32 s3, s17, -1
	s_mov_b64 s[4:5], 0
	s_mov_b64 s[30:31], 0
                                        ; implicit-def: $sgpr28_sgpr29
	s_branch .LBB1290_90
.LBB1290_88:                            ;   in Loop: Header=BB1290_90 Depth=1
	global_load_ushort v8, v[6:7], off
	global_load_ushort v9, v[4:5], off
	v_add_co_u32_e32 v4, vcc, 2, v4
	v_addc_co_u32_e32 v5, vcc, 0, v5, vcc
	v_add_co_u32_e32 v6, vcc, 2, v6
	v_addc_co_u32_e32 v7, vcc, 0, v7, vcc
	s_add_u32 s30, s30, 1
	s_addc_u32 s31, s31, 0
	s_andn2_b64 s[28:29], s[28:29], exec
	s_waitcnt vmcnt(0)
	v_cmp_neq_f16_e32 vcc, v8, v9
	s_and_b64 s[34:35], vcc, exec
	s_or_b64 s[28:29], s[28:29], s[34:35]
.LBB1290_89:                            ;   in Loop: Header=BB1290_90 Depth=1
	s_and_b64 s[34:35], exec, s[28:29]
	s_or_b64 s[4:5], s[34:35], s[4:5]
	v_pk_mov_b32 v[8:9], s[30:31], s[30:31] op_sel:[0,1]
	s_andn2_b64 exec, exec, s[4:5]
	s_cbranch_execz .LBB1290_93
.LBB1290_90:                            ; =>This Inner Loop Header: Depth=1
	s_or_b64 s[28:29], s[28:29], exec
	s_cmp_eq_u64 s[2:3], s[30:31]
	s_cbranch_scc0 .LBB1290_88
; %bb.91:                               ;   in Loop: Header=BB1290_90 Depth=1
                                        ; implicit-def: $vgpr4_vgpr5
                                        ; implicit-def: $vgpr6_vgpr7
	s_mov_b64 s[30:31], s[16:17]
	s_branch .LBB1290_89
.LBB1290_92:
	v_pk_mov_b32 v[8:9], 0, 0
	s_branch .LBB1290_95
.LBB1290_93:
	s_or_b64 exec, exec, s[4:5]
	v_cmp_gt_i64_e32 vcc, s[16:17], v[8:9]
	s_mov_b32 s2, 0
	v_cndmask_b32_e64 v8, 0, 1, vcc
	v_mov_b32_e32 v9, s2
.LBB1290_94:
	s_or_b64 exec, exec, s[26:27]
.LBB1290_95:
	s_or_b64 exec, exec, s[22:23]
	v_cmp_ne_u32_e32 vcc, 0, v0
	v_cmp_gt_u32_e64 s[2:3], s14, v14
	s_and_b64 s[2:3], vcc, s[2:3]
	s_waitcnt lgkmcnt(0)
	s_barrier
	s_waitcnt lgkmcnt(0)
                                        ; implicit-def: $sgpr22_sgpr23
	s_and_saveexec_b64 s[26:27], s[2:3]
	s_cbranch_execz .LBB1290_107
; %bb.96:
	s_and_b64 vcc, exec, s[20:21]
	s_cbranch_vccnz .LBB1290_103
; %bb.97:
	v_mul_lo_u32 v6, v3, s16
	v_add_u32_e32 v3, -8, v1
	ds_read_b64 v[4:5], v3
	v_mul_lo_u32 v7, v2, s17
	v_mad_u64_u32 v[2:3], s[2:3], v2, s16, 0
	v_add3_u32 v3, v3, v7, v6
	s_waitcnt lgkmcnt(0)
	v_mul_lo_u32 v5, v5, s16
	v_mul_lo_u32 v6, v4, s17
	v_mad_u64_u32 v[10:11], s[2:3], v4, s16, 0
	v_add3_u32 v11, v11, v6, v5
	v_lshlrev_b64 v[4:5], 1, v[2:3]
	v_mov_b32_e32 v2, s19
	v_add_co_u32_e32 v6, vcc, s18, v4
	v_addc_co_u32_e64 v7, s[2:3], v2, v5, vcc
	v_lshlrev_b64 v[2:3], 1, v[10:11]
	v_mov_b32_e32 v4, s19
	v_add_co_u32_e64 v10, s[2:3], s18, v2
	v_addc_co_u32_e64 v11, s[4:5], v4, v3, s[2:3]
	global_load_ushort v2, v[6:7], off
	global_load_ushort v4, v[10:11], off
	s_mov_b64 s[22:23], -1
	s_waitcnt vmcnt(0)
	v_cmp_eq_f16_e64 s[4:5], v2, v4
	s_and_saveexec_b64 s[20:21], s[4:5]
	s_cbranch_execz .LBB1290_105
; %bb.98:
	v_mov_b32_e32 v2, s19
	v_addc_co_u32_e64 v3, s[2:3], v3, v2, s[2:3]
	v_add_co_u32_e64 v2, s[2:3], 2, v10
	v_mov_b32_e32 v4, s19
	v_addc_co_u32_e64 v3, s[2:3], 0, v3, s[2:3]
	v_addc_co_u32_e32 v5, vcc, v5, v4, vcc
	v_add_co_u32_e32 v4, vcc, 2, v6
	s_add_u32 s2, s16, -1
	v_addc_co_u32_e32 v5, vcc, 0, v5, vcc
	s_addc_u32 s3, s17, -1
	s_mov_b64 s[4:5], 0
	s_mov_b64 s[22:23], 0
                                        ; implicit-def: $sgpr18_sgpr19
	s_branch .LBB1290_101
.LBB1290_99:                            ;   in Loop: Header=BB1290_101 Depth=1
	global_load_ushort v6, v[4:5], off
	global_load_ushort v7, v[2:3], off
	v_add_co_u32_e32 v2, vcc, 2, v2
	v_addc_co_u32_e32 v3, vcc, 0, v3, vcc
	v_add_co_u32_e32 v4, vcc, 2, v4
	v_addc_co_u32_e32 v5, vcc, 0, v5, vcc
	s_add_u32 s22, s22, 1
	s_addc_u32 s23, s23, 0
	s_andn2_b64 s[18:19], s[18:19], exec
	s_waitcnt vmcnt(0)
	v_cmp_neq_f16_e32 vcc, v6, v7
	s_and_b64 s[28:29], vcc, exec
	s_or_b64 s[18:19], s[18:19], s[28:29]
.LBB1290_100:                           ;   in Loop: Header=BB1290_101 Depth=1
	s_and_b64 s[28:29], exec, s[18:19]
	s_or_b64 s[4:5], s[28:29], s[4:5]
	v_pk_mov_b32 v[6:7], s[22:23], s[22:23] op_sel:[0,1]
	s_andn2_b64 exec, exec, s[4:5]
	s_cbranch_execz .LBB1290_104
.LBB1290_101:                           ; =>This Inner Loop Header: Depth=1
	s_or_b64 s[18:19], s[18:19], exec
	s_cmp_eq_u64 s[2:3], s[22:23]
	s_cbranch_scc0 .LBB1290_99
; %bb.102:                              ;   in Loop: Header=BB1290_101 Depth=1
                                        ; implicit-def: $vgpr2_vgpr3
                                        ; implicit-def: $vgpr4_vgpr5
	s_mov_b64 s[22:23], s[16:17]
	s_branch .LBB1290_100
.LBB1290_103:
	s_mov_b64 s[22:23], 0
	s_branch .LBB1290_106
.LBB1290_104:
	s_or_b64 exec, exec, s[4:5]
	v_cmp_gt_i64_e32 vcc, s[16:17], v[6:7]
	s_orn2_b64 s[22:23], vcc, exec
.LBB1290_105:
	s_or_b64 exec, exec, s[20:21]
.LBB1290_106:
	s_and_b64 s[22:23], s[22:23], exec
	s_or_b64 s[24:25], s[24:25], exec
                                        ; implicit-def: $vgpr2_vgpr3
.LBB1290_107:
	s_or_b64 exec, exec, s[26:27]
.LBB1290_108:
	s_and_saveexec_b64 s[2:3], s[24:25]
; %bb.109:
	s_mov_b32 s4, 0
	v_cndmask_b32_e64 v2, 0, 1, s[22:23]
	v_mov_b32_e32 v3, s4
; %bb.110:
	s_or_b64 exec, exec, s[2:3]
	s_add_u32 s4, s12, s10
	s_addc_u32 s5, s13, s11
	s_and_b64 vcc, exec, s[0:1]
	v_lshrrev_b32_e32 v10, 1, v0
	s_waitcnt lgkmcnt(0)
	s_barrier
	s_cbranch_vccz .LBB1290_114
; %bb.111:
	v_and_b32_e32 v4, 0xf8, v10
	v_lshl_add_u32 v6, v0, 4, v4
	v_mov_b32_e32 v4, v8
	v_mov_b32_e32 v5, v9
	v_or_b32_e32 v11, 0x200, v0
	s_lshl_b32 s0, s6, 10
	s_mov_b32 s9, 0
	ds_write2_b64 v6, v[2:3], v[4:5] offset1:1
	v_lshrrev_b32_e32 v4, 5, v11
	s_sub_i32 s2, s14, s0
	s_lshl_b64 s[0:1], s[8:9], 3
	v_add_lshl_u32 v4, v4, v0, 3
	s_add_u32 s0, s4, s0
	s_waitcnt lgkmcnt(0)
	s_barrier
	ds_read_b64 v[4:5], v4 offset:4096
	s_addc_u32 s1, s5, s1
	v_mov_b32_e32 v7, s1
	v_add_co_u32_e32 v6, vcc, s0, v1
	v_addc_co_u32_e32 v7, vcc, 0, v7, vcc
	v_cmp_gt_u32_e32 vcc, s2, v0
	s_and_saveexec_b64 s[0:1], vcc
	s_cbranch_execz .LBB1290_113
; %bb.112:
	v_lshrrev_b32_e32 v12, 5, v0
	v_add_lshl_u32 v12, v12, v0, 3
	ds_read_b64 v[12:13], v12
	s_waitcnt lgkmcnt(0)
	global_store_dwordx2 v[6:7], v[12:13], off
.LBB1290_113:
	s_or_b64 exec, exec, s[0:1]
	v_cmp_gt_u32_e64 s[0:1], s2, v11
	s_branch .LBB1290_116
.LBB1290_114:
	s_mov_b64 s[0:1], 0
                                        ; implicit-def: $vgpr4_vgpr5
                                        ; implicit-def: $vgpr6_vgpr7
	s_cbranch_execz .LBB1290_116
; %bb.115:
	s_waitcnt lgkmcnt(0)
	v_and_b32_e32 v4, 0xf8, v10
	v_lshl_add_u32 v6, v0, 4, v4
	v_mov_b32_e32 v4, v8
	v_mov_b32_e32 v5, v9
	s_mov_b32 s9, 0
	ds_write2_b64 v6, v[2:3], v[4:5] offset1:1
	v_lshrrev_b32_e32 v2, 5, v0
	v_or_b32_e32 v3, 0x200, v0
	s_lshl_b64 s[2:3], s[8:9], 3
	v_add_lshl_u32 v2, v2, v0, 3
	v_lshrrev_b32_e32 v3, 5, v3
	s_add_u32 s2, s4, s2
	s_waitcnt lgkmcnt(0)
	s_barrier
	v_add_lshl_u32 v0, v3, v0, 3
	ds_read_b64 v[2:3], v2
	ds_read_b64 v[4:5], v0 offset:4096
	s_addc_u32 s3, s5, s3
	v_mov_b32_e32 v0, s3
	v_add_co_u32_e32 v6, vcc, s2, v1
	v_addc_co_u32_e32 v7, vcc, 0, v0, vcc
	s_or_b64 s[0:1], s[0:1], exec
	s_waitcnt lgkmcnt(1)
	global_store_dwordx2 v1, v[2:3], s[2:3]
.LBB1290_116:
	s_and_saveexec_b64 s[2:3], s[0:1]
	s_cbranch_execnz .LBB1290_118
; %bb.117:
	s_endpgm
.LBB1290_118:
	v_add_co_u32_e32 v0, vcc, 0x1000, v6
	v_addc_co_u32_e32 v1, vcc, 0, v7, vcc
	s_waitcnt lgkmcnt(0)
	global_store_dwordx2 v[0:1], v[4:5], off
	s_endpgm
	.section	.rodata,"a",@progbits
	.p2align	6, 0x0
	.amdhsa_kernel _ZN7rocprim17ROCPRIM_400000_NS6detail17trampoline_kernelINS0_14default_configENS1_35adjacent_difference_config_selectorILb1ElEEZNS1_24adjacent_difference_implIS3_Lb1ELb0EPlS7_ZN2at6native12_GLOBAL__N_124unique_dim_cuda_templateIN3c104HalfEEESt5tupleIJNS8_6TensorESF_SF_EERKSF_lbbbEUlllE1_EE10hipError_tPvRmT2_T3_mT4_P12ihipStream_tbEUlT_E_NS1_11comp_targetILNS1_3genE4ELNS1_11target_archE910ELNS1_3gpuE8ELNS1_3repE0EEENS1_30default_config_static_selectorELNS0_4arch9wavefront6targetE1EEEvT1_
		.amdhsa_group_segment_fixed_size 8448
		.amdhsa_private_segment_fixed_size 0
		.amdhsa_kernarg_size 64
		.amdhsa_user_sgpr_count 6
		.amdhsa_user_sgpr_private_segment_buffer 1
		.amdhsa_user_sgpr_dispatch_ptr 0
		.amdhsa_user_sgpr_queue_ptr 0
		.amdhsa_user_sgpr_kernarg_segment_ptr 1
		.amdhsa_user_sgpr_dispatch_id 0
		.amdhsa_user_sgpr_flat_scratch_init 0
		.amdhsa_user_sgpr_kernarg_preload_length 0
		.amdhsa_user_sgpr_kernarg_preload_offset 0
		.amdhsa_user_sgpr_private_segment_size 0
		.amdhsa_uses_dynamic_stack 0
		.amdhsa_system_sgpr_private_segment_wavefront_offset 0
		.amdhsa_system_sgpr_workgroup_id_x 1
		.amdhsa_system_sgpr_workgroup_id_y 0
		.amdhsa_system_sgpr_workgroup_id_z 0
		.amdhsa_system_sgpr_workgroup_info 0
		.amdhsa_system_vgpr_workitem_id 0
		.amdhsa_next_free_vgpr 17
		.amdhsa_next_free_sgpr 38
		.amdhsa_accum_offset 20
		.amdhsa_reserve_vcc 1
		.amdhsa_reserve_flat_scratch 0
		.amdhsa_float_round_mode_32 0
		.amdhsa_float_round_mode_16_64 0
		.amdhsa_float_denorm_mode_32 3
		.amdhsa_float_denorm_mode_16_64 3
		.amdhsa_dx10_clamp 1
		.amdhsa_ieee_mode 1
		.amdhsa_fp16_overflow 0
		.amdhsa_tg_split 0
		.amdhsa_exception_fp_ieee_invalid_op 0
		.amdhsa_exception_fp_denorm_src 0
		.amdhsa_exception_fp_ieee_div_zero 0
		.amdhsa_exception_fp_ieee_overflow 0
		.amdhsa_exception_fp_ieee_underflow 0
		.amdhsa_exception_fp_ieee_inexact 0
		.amdhsa_exception_int_div_zero 0
	.end_amdhsa_kernel
	.section	.text._ZN7rocprim17ROCPRIM_400000_NS6detail17trampoline_kernelINS0_14default_configENS1_35adjacent_difference_config_selectorILb1ElEEZNS1_24adjacent_difference_implIS3_Lb1ELb0EPlS7_ZN2at6native12_GLOBAL__N_124unique_dim_cuda_templateIN3c104HalfEEESt5tupleIJNS8_6TensorESF_SF_EERKSF_lbbbEUlllE1_EE10hipError_tPvRmT2_T3_mT4_P12ihipStream_tbEUlT_E_NS1_11comp_targetILNS1_3genE4ELNS1_11target_archE910ELNS1_3gpuE8ELNS1_3repE0EEENS1_30default_config_static_selectorELNS0_4arch9wavefront6targetE1EEEvT1_,"axG",@progbits,_ZN7rocprim17ROCPRIM_400000_NS6detail17trampoline_kernelINS0_14default_configENS1_35adjacent_difference_config_selectorILb1ElEEZNS1_24adjacent_difference_implIS3_Lb1ELb0EPlS7_ZN2at6native12_GLOBAL__N_124unique_dim_cuda_templateIN3c104HalfEEESt5tupleIJNS8_6TensorESF_SF_EERKSF_lbbbEUlllE1_EE10hipError_tPvRmT2_T3_mT4_P12ihipStream_tbEUlT_E_NS1_11comp_targetILNS1_3genE4ELNS1_11target_archE910ELNS1_3gpuE8ELNS1_3repE0EEENS1_30default_config_static_selectorELNS0_4arch9wavefront6targetE1EEEvT1_,comdat
.Lfunc_end1290:
	.size	_ZN7rocprim17ROCPRIM_400000_NS6detail17trampoline_kernelINS0_14default_configENS1_35adjacent_difference_config_selectorILb1ElEEZNS1_24adjacent_difference_implIS3_Lb1ELb0EPlS7_ZN2at6native12_GLOBAL__N_124unique_dim_cuda_templateIN3c104HalfEEESt5tupleIJNS8_6TensorESF_SF_EERKSF_lbbbEUlllE1_EE10hipError_tPvRmT2_T3_mT4_P12ihipStream_tbEUlT_E_NS1_11comp_targetILNS1_3genE4ELNS1_11target_archE910ELNS1_3gpuE8ELNS1_3repE0EEENS1_30default_config_static_selectorELNS0_4arch9wavefront6targetE1EEEvT1_, .Lfunc_end1290-_ZN7rocprim17ROCPRIM_400000_NS6detail17trampoline_kernelINS0_14default_configENS1_35adjacent_difference_config_selectorILb1ElEEZNS1_24adjacent_difference_implIS3_Lb1ELb0EPlS7_ZN2at6native12_GLOBAL__N_124unique_dim_cuda_templateIN3c104HalfEEESt5tupleIJNS8_6TensorESF_SF_EERKSF_lbbbEUlllE1_EE10hipError_tPvRmT2_T3_mT4_P12ihipStream_tbEUlT_E_NS1_11comp_targetILNS1_3genE4ELNS1_11target_archE910ELNS1_3gpuE8ELNS1_3repE0EEENS1_30default_config_static_selectorELNS0_4arch9wavefront6targetE1EEEvT1_
                                        ; -- End function
	.section	.AMDGPU.csdata,"",@progbits
; Kernel info:
; codeLenInByte = 4304
; NumSgprs: 42
; NumVgprs: 17
; NumAgprs: 0
; TotalNumVgprs: 17
; ScratchSize: 0
; MemoryBound: 0
; FloatMode: 240
; IeeeMode: 1
; LDSByteSize: 8448 bytes/workgroup (compile time only)
; SGPRBlocks: 5
; VGPRBlocks: 2
; NumSGPRsForWavesPerEU: 42
; NumVGPRsForWavesPerEU: 17
; AccumOffset: 20
; Occupancy: 8
; WaveLimiterHint : 1
; COMPUTE_PGM_RSRC2:SCRATCH_EN: 0
; COMPUTE_PGM_RSRC2:USER_SGPR: 6
; COMPUTE_PGM_RSRC2:TRAP_HANDLER: 0
; COMPUTE_PGM_RSRC2:TGID_X_EN: 1
; COMPUTE_PGM_RSRC2:TGID_Y_EN: 0
; COMPUTE_PGM_RSRC2:TGID_Z_EN: 0
; COMPUTE_PGM_RSRC2:TIDIG_COMP_CNT: 0
; COMPUTE_PGM_RSRC3_GFX90A:ACCUM_OFFSET: 4
; COMPUTE_PGM_RSRC3_GFX90A:TG_SPLIT: 0
	.section	.text._ZN7rocprim17ROCPRIM_400000_NS6detail17trampoline_kernelINS0_14default_configENS1_35adjacent_difference_config_selectorILb1ElEEZNS1_24adjacent_difference_implIS3_Lb1ELb0EPlS7_ZN2at6native12_GLOBAL__N_124unique_dim_cuda_templateIN3c104HalfEEESt5tupleIJNS8_6TensorESF_SF_EERKSF_lbbbEUlllE1_EE10hipError_tPvRmT2_T3_mT4_P12ihipStream_tbEUlT_E_NS1_11comp_targetILNS1_3genE3ELNS1_11target_archE908ELNS1_3gpuE7ELNS1_3repE0EEENS1_30default_config_static_selectorELNS0_4arch9wavefront6targetE1EEEvT1_,"axG",@progbits,_ZN7rocprim17ROCPRIM_400000_NS6detail17trampoline_kernelINS0_14default_configENS1_35adjacent_difference_config_selectorILb1ElEEZNS1_24adjacent_difference_implIS3_Lb1ELb0EPlS7_ZN2at6native12_GLOBAL__N_124unique_dim_cuda_templateIN3c104HalfEEESt5tupleIJNS8_6TensorESF_SF_EERKSF_lbbbEUlllE1_EE10hipError_tPvRmT2_T3_mT4_P12ihipStream_tbEUlT_E_NS1_11comp_targetILNS1_3genE3ELNS1_11target_archE908ELNS1_3gpuE7ELNS1_3repE0EEENS1_30default_config_static_selectorELNS0_4arch9wavefront6targetE1EEEvT1_,comdat
	.globl	_ZN7rocprim17ROCPRIM_400000_NS6detail17trampoline_kernelINS0_14default_configENS1_35adjacent_difference_config_selectorILb1ElEEZNS1_24adjacent_difference_implIS3_Lb1ELb0EPlS7_ZN2at6native12_GLOBAL__N_124unique_dim_cuda_templateIN3c104HalfEEESt5tupleIJNS8_6TensorESF_SF_EERKSF_lbbbEUlllE1_EE10hipError_tPvRmT2_T3_mT4_P12ihipStream_tbEUlT_E_NS1_11comp_targetILNS1_3genE3ELNS1_11target_archE908ELNS1_3gpuE7ELNS1_3repE0EEENS1_30default_config_static_selectorELNS0_4arch9wavefront6targetE1EEEvT1_ ; -- Begin function _ZN7rocprim17ROCPRIM_400000_NS6detail17trampoline_kernelINS0_14default_configENS1_35adjacent_difference_config_selectorILb1ElEEZNS1_24adjacent_difference_implIS3_Lb1ELb0EPlS7_ZN2at6native12_GLOBAL__N_124unique_dim_cuda_templateIN3c104HalfEEESt5tupleIJNS8_6TensorESF_SF_EERKSF_lbbbEUlllE1_EE10hipError_tPvRmT2_T3_mT4_P12ihipStream_tbEUlT_E_NS1_11comp_targetILNS1_3genE3ELNS1_11target_archE908ELNS1_3gpuE7ELNS1_3repE0EEENS1_30default_config_static_selectorELNS0_4arch9wavefront6targetE1EEEvT1_
	.p2align	8
	.type	_ZN7rocprim17ROCPRIM_400000_NS6detail17trampoline_kernelINS0_14default_configENS1_35adjacent_difference_config_selectorILb1ElEEZNS1_24adjacent_difference_implIS3_Lb1ELb0EPlS7_ZN2at6native12_GLOBAL__N_124unique_dim_cuda_templateIN3c104HalfEEESt5tupleIJNS8_6TensorESF_SF_EERKSF_lbbbEUlllE1_EE10hipError_tPvRmT2_T3_mT4_P12ihipStream_tbEUlT_E_NS1_11comp_targetILNS1_3genE3ELNS1_11target_archE908ELNS1_3gpuE7ELNS1_3repE0EEENS1_30default_config_static_selectorELNS0_4arch9wavefront6targetE1EEEvT1_,@function
_ZN7rocprim17ROCPRIM_400000_NS6detail17trampoline_kernelINS0_14default_configENS1_35adjacent_difference_config_selectorILb1ElEEZNS1_24adjacent_difference_implIS3_Lb1ELb0EPlS7_ZN2at6native12_GLOBAL__N_124unique_dim_cuda_templateIN3c104HalfEEESt5tupleIJNS8_6TensorESF_SF_EERKSF_lbbbEUlllE1_EE10hipError_tPvRmT2_T3_mT4_P12ihipStream_tbEUlT_E_NS1_11comp_targetILNS1_3genE3ELNS1_11target_archE908ELNS1_3gpuE7ELNS1_3repE0EEENS1_30default_config_static_selectorELNS0_4arch9wavefront6targetE1EEEvT1_: ; @_ZN7rocprim17ROCPRIM_400000_NS6detail17trampoline_kernelINS0_14default_configENS1_35adjacent_difference_config_selectorILb1ElEEZNS1_24adjacent_difference_implIS3_Lb1ELb0EPlS7_ZN2at6native12_GLOBAL__N_124unique_dim_cuda_templateIN3c104HalfEEESt5tupleIJNS8_6TensorESF_SF_EERKSF_lbbbEUlllE1_EE10hipError_tPvRmT2_T3_mT4_P12ihipStream_tbEUlT_E_NS1_11comp_targetILNS1_3genE3ELNS1_11target_archE908ELNS1_3gpuE7ELNS1_3repE0EEENS1_30default_config_static_selectorELNS0_4arch9wavefront6targetE1EEEvT1_
; %bb.0:
	.section	.rodata,"a",@progbits
	.p2align	6, 0x0
	.amdhsa_kernel _ZN7rocprim17ROCPRIM_400000_NS6detail17trampoline_kernelINS0_14default_configENS1_35adjacent_difference_config_selectorILb1ElEEZNS1_24adjacent_difference_implIS3_Lb1ELb0EPlS7_ZN2at6native12_GLOBAL__N_124unique_dim_cuda_templateIN3c104HalfEEESt5tupleIJNS8_6TensorESF_SF_EERKSF_lbbbEUlllE1_EE10hipError_tPvRmT2_T3_mT4_P12ihipStream_tbEUlT_E_NS1_11comp_targetILNS1_3genE3ELNS1_11target_archE908ELNS1_3gpuE7ELNS1_3repE0EEENS1_30default_config_static_selectorELNS0_4arch9wavefront6targetE1EEEvT1_
		.amdhsa_group_segment_fixed_size 0
		.amdhsa_private_segment_fixed_size 0
		.amdhsa_kernarg_size 64
		.amdhsa_user_sgpr_count 6
		.amdhsa_user_sgpr_private_segment_buffer 1
		.amdhsa_user_sgpr_dispatch_ptr 0
		.amdhsa_user_sgpr_queue_ptr 0
		.amdhsa_user_sgpr_kernarg_segment_ptr 1
		.amdhsa_user_sgpr_dispatch_id 0
		.amdhsa_user_sgpr_flat_scratch_init 0
		.amdhsa_user_sgpr_kernarg_preload_length 0
		.amdhsa_user_sgpr_kernarg_preload_offset 0
		.amdhsa_user_sgpr_private_segment_size 0
		.amdhsa_uses_dynamic_stack 0
		.amdhsa_system_sgpr_private_segment_wavefront_offset 0
		.amdhsa_system_sgpr_workgroup_id_x 1
		.amdhsa_system_sgpr_workgroup_id_y 0
		.amdhsa_system_sgpr_workgroup_id_z 0
		.amdhsa_system_sgpr_workgroup_info 0
		.amdhsa_system_vgpr_workitem_id 0
		.amdhsa_next_free_vgpr 1
		.amdhsa_next_free_sgpr 0
		.amdhsa_accum_offset 4
		.amdhsa_reserve_vcc 0
		.amdhsa_reserve_flat_scratch 0
		.amdhsa_float_round_mode_32 0
		.amdhsa_float_round_mode_16_64 0
		.amdhsa_float_denorm_mode_32 3
		.amdhsa_float_denorm_mode_16_64 3
		.amdhsa_dx10_clamp 1
		.amdhsa_ieee_mode 1
		.amdhsa_fp16_overflow 0
		.amdhsa_tg_split 0
		.amdhsa_exception_fp_ieee_invalid_op 0
		.amdhsa_exception_fp_denorm_src 0
		.amdhsa_exception_fp_ieee_div_zero 0
		.amdhsa_exception_fp_ieee_overflow 0
		.amdhsa_exception_fp_ieee_underflow 0
		.amdhsa_exception_fp_ieee_inexact 0
		.amdhsa_exception_int_div_zero 0
	.end_amdhsa_kernel
	.section	.text._ZN7rocprim17ROCPRIM_400000_NS6detail17trampoline_kernelINS0_14default_configENS1_35adjacent_difference_config_selectorILb1ElEEZNS1_24adjacent_difference_implIS3_Lb1ELb0EPlS7_ZN2at6native12_GLOBAL__N_124unique_dim_cuda_templateIN3c104HalfEEESt5tupleIJNS8_6TensorESF_SF_EERKSF_lbbbEUlllE1_EE10hipError_tPvRmT2_T3_mT4_P12ihipStream_tbEUlT_E_NS1_11comp_targetILNS1_3genE3ELNS1_11target_archE908ELNS1_3gpuE7ELNS1_3repE0EEENS1_30default_config_static_selectorELNS0_4arch9wavefront6targetE1EEEvT1_,"axG",@progbits,_ZN7rocprim17ROCPRIM_400000_NS6detail17trampoline_kernelINS0_14default_configENS1_35adjacent_difference_config_selectorILb1ElEEZNS1_24adjacent_difference_implIS3_Lb1ELb0EPlS7_ZN2at6native12_GLOBAL__N_124unique_dim_cuda_templateIN3c104HalfEEESt5tupleIJNS8_6TensorESF_SF_EERKSF_lbbbEUlllE1_EE10hipError_tPvRmT2_T3_mT4_P12ihipStream_tbEUlT_E_NS1_11comp_targetILNS1_3genE3ELNS1_11target_archE908ELNS1_3gpuE7ELNS1_3repE0EEENS1_30default_config_static_selectorELNS0_4arch9wavefront6targetE1EEEvT1_,comdat
.Lfunc_end1291:
	.size	_ZN7rocprim17ROCPRIM_400000_NS6detail17trampoline_kernelINS0_14default_configENS1_35adjacent_difference_config_selectorILb1ElEEZNS1_24adjacent_difference_implIS3_Lb1ELb0EPlS7_ZN2at6native12_GLOBAL__N_124unique_dim_cuda_templateIN3c104HalfEEESt5tupleIJNS8_6TensorESF_SF_EERKSF_lbbbEUlllE1_EE10hipError_tPvRmT2_T3_mT4_P12ihipStream_tbEUlT_E_NS1_11comp_targetILNS1_3genE3ELNS1_11target_archE908ELNS1_3gpuE7ELNS1_3repE0EEENS1_30default_config_static_selectorELNS0_4arch9wavefront6targetE1EEEvT1_, .Lfunc_end1291-_ZN7rocprim17ROCPRIM_400000_NS6detail17trampoline_kernelINS0_14default_configENS1_35adjacent_difference_config_selectorILb1ElEEZNS1_24adjacent_difference_implIS3_Lb1ELb0EPlS7_ZN2at6native12_GLOBAL__N_124unique_dim_cuda_templateIN3c104HalfEEESt5tupleIJNS8_6TensorESF_SF_EERKSF_lbbbEUlllE1_EE10hipError_tPvRmT2_T3_mT4_P12ihipStream_tbEUlT_E_NS1_11comp_targetILNS1_3genE3ELNS1_11target_archE908ELNS1_3gpuE7ELNS1_3repE0EEENS1_30default_config_static_selectorELNS0_4arch9wavefront6targetE1EEEvT1_
                                        ; -- End function
	.section	.AMDGPU.csdata,"",@progbits
; Kernel info:
; codeLenInByte = 0
; NumSgprs: 4
; NumVgprs: 0
; NumAgprs: 0
; TotalNumVgprs: 0
; ScratchSize: 0
; MemoryBound: 0
; FloatMode: 240
; IeeeMode: 1
; LDSByteSize: 0 bytes/workgroup (compile time only)
; SGPRBlocks: 0
; VGPRBlocks: 0
; NumSGPRsForWavesPerEU: 4
; NumVGPRsForWavesPerEU: 1
; AccumOffset: 4
; Occupancy: 8
; WaveLimiterHint : 0
; COMPUTE_PGM_RSRC2:SCRATCH_EN: 0
; COMPUTE_PGM_RSRC2:USER_SGPR: 6
; COMPUTE_PGM_RSRC2:TRAP_HANDLER: 0
; COMPUTE_PGM_RSRC2:TGID_X_EN: 1
; COMPUTE_PGM_RSRC2:TGID_Y_EN: 0
; COMPUTE_PGM_RSRC2:TGID_Z_EN: 0
; COMPUTE_PGM_RSRC2:TIDIG_COMP_CNT: 0
; COMPUTE_PGM_RSRC3_GFX90A:ACCUM_OFFSET: 0
; COMPUTE_PGM_RSRC3_GFX90A:TG_SPLIT: 0
	.section	.text._ZN7rocprim17ROCPRIM_400000_NS6detail17trampoline_kernelINS0_14default_configENS1_35adjacent_difference_config_selectorILb1ElEEZNS1_24adjacent_difference_implIS3_Lb1ELb0EPlS7_ZN2at6native12_GLOBAL__N_124unique_dim_cuda_templateIN3c104HalfEEESt5tupleIJNS8_6TensorESF_SF_EERKSF_lbbbEUlllE1_EE10hipError_tPvRmT2_T3_mT4_P12ihipStream_tbEUlT_E_NS1_11comp_targetILNS1_3genE2ELNS1_11target_archE906ELNS1_3gpuE6ELNS1_3repE0EEENS1_30default_config_static_selectorELNS0_4arch9wavefront6targetE1EEEvT1_,"axG",@progbits,_ZN7rocprim17ROCPRIM_400000_NS6detail17trampoline_kernelINS0_14default_configENS1_35adjacent_difference_config_selectorILb1ElEEZNS1_24adjacent_difference_implIS3_Lb1ELb0EPlS7_ZN2at6native12_GLOBAL__N_124unique_dim_cuda_templateIN3c104HalfEEESt5tupleIJNS8_6TensorESF_SF_EERKSF_lbbbEUlllE1_EE10hipError_tPvRmT2_T3_mT4_P12ihipStream_tbEUlT_E_NS1_11comp_targetILNS1_3genE2ELNS1_11target_archE906ELNS1_3gpuE6ELNS1_3repE0EEENS1_30default_config_static_selectorELNS0_4arch9wavefront6targetE1EEEvT1_,comdat
	.globl	_ZN7rocprim17ROCPRIM_400000_NS6detail17trampoline_kernelINS0_14default_configENS1_35adjacent_difference_config_selectorILb1ElEEZNS1_24adjacent_difference_implIS3_Lb1ELb0EPlS7_ZN2at6native12_GLOBAL__N_124unique_dim_cuda_templateIN3c104HalfEEESt5tupleIJNS8_6TensorESF_SF_EERKSF_lbbbEUlllE1_EE10hipError_tPvRmT2_T3_mT4_P12ihipStream_tbEUlT_E_NS1_11comp_targetILNS1_3genE2ELNS1_11target_archE906ELNS1_3gpuE6ELNS1_3repE0EEENS1_30default_config_static_selectorELNS0_4arch9wavefront6targetE1EEEvT1_ ; -- Begin function _ZN7rocprim17ROCPRIM_400000_NS6detail17trampoline_kernelINS0_14default_configENS1_35adjacent_difference_config_selectorILb1ElEEZNS1_24adjacent_difference_implIS3_Lb1ELb0EPlS7_ZN2at6native12_GLOBAL__N_124unique_dim_cuda_templateIN3c104HalfEEESt5tupleIJNS8_6TensorESF_SF_EERKSF_lbbbEUlllE1_EE10hipError_tPvRmT2_T3_mT4_P12ihipStream_tbEUlT_E_NS1_11comp_targetILNS1_3genE2ELNS1_11target_archE906ELNS1_3gpuE6ELNS1_3repE0EEENS1_30default_config_static_selectorELNS0_4arch9wavefront6targetE1EEEvT1_
	.p2align	8
	.type	_ZN7rocprim17ROCPRIM_400000_NS6detail17trampoline_kernelINS0_14default_configENS1_35adjacent_difference_config_selectorILb1ElEEZNS1_24adjacent_difference_implIS3_Lb1ELb0EPlS7_ZN2at6native12_GLOBAL__N_124unique_dim_cuda_templateIN3c104HalfEEESt5tupleIJNS8_6TensorESF_SF_EERKSF_lbbbEUlllE1_EE10hipError_tPvRmT2_T3_mT4_P12ihipStream_tbEUlT_E_NS1_11comp_targetILNS1_3genE2ELNS1_11target_archE906ELNS1_3gpuE6ELNS1_3repE0EEENS1_30default_config_static_selectorELNS0_4arch9wavefront6targetE1EEEvT1_,@function
_ZN7rocprim17ROCPRIM_400000_NS6detail17trampoline_kernelINS0_14default_configENS1_35adjacent_difference_config_selectorILb1ElEEZNS1_24adjacent_difference_implIS3_Lb1ELb0EPlS7_ZN2at6native12_GLOBAL__N_124unique_dim_cuda_templateIN3c104HalfEEESt5tupleIJNS8_6TensorESF_SF_EERKSF_lbbbEUlllE1_EE10hipError_tPvRmT2_T3_mT4_P12ihipStream_tbEUlT_E_NS1_11comp_targetILNS1_3genE2ELNS1_11target_archE906ELNS1_3gpuE6ELNS1_3repE0EEENS1_30default_config_static_selectorELNS0_4arch9wavefront6targetE1EEEvT1_: ; @_ZN7rocprim17ROCPRIM_400000_NS6detail17trampoline_kernelINS0_14default_configENS1_35adjacent_difference_config_selectorILb1ElEEZNS1_24adjacent_difference_implIS3_Lb1ELb0EPlS7_ZN2at6native12_GLOBAL__N_124unique_dim_cuda_templateIN3c104HalfEEESt5tupleIJNS8_6TensorESF_SF_EERKSF_lbbbEUlllE1_EE10hipError_tPvRmT2_T3_mT4_P12ihipStream_tbEUlT_E_NS1_11comp_targetILNS1_3genE2ELNS1_11target_archE906ELNS1_3gpuE6ELNS1_3repE0EEENS1_30default_config_static_selectorELNS0_4arch9wavefront6targetE1EEEvT1_
; %bb.0:
	.section	.rodata,"a",@progbits
	.p2align	6, 0x0
	.amdhsa_kernel _ZN7rocprim17ROCPRIM_400000_NS6detail17trampoline_kernelINS0_14default_configENS1_35adjacent_difference_config_selectorILb1ElEEZNS1_24adjacent_difference_implIS3_Lb1ELb0EPlS7_ZN2at6native12_GLOBAL__N_124unique_dim_cuda_templateIN3c104HalfEEESt5tupleIJNS8_6TensorESF_SF_EERKSF_lbbbEUlllE1_EE10hipError_tPvRmT2_T3_mT4_P12ihipStream_tbEUlT_E_NS1_11comp_targetILNS1_3genE2ELNS1_11target_archE906ELNS1_3gpuE6ELNS1_3repE0EEENS1_30default_config_static_selectorELNS0_4arch9wavefront6targetE1EEEvT1_
		.amdhsa_group_segment_fixed_size 0
		.amdhsa_private_segment_fixed_size 0
		.amdhsa_kernarg_size 64
		.amdhsa_user_sgpr_count 6
		.amdhsa_user_sgpr_private_segment_buffer 1
		.amdhsa_user_sgpr_dispatch_ptr 0
		.amdhsa_user_sgpr_queue_ptr 0
		.amdhsa_user_sgpr_kernarg_segment_ptr 1
		.amdhsa_user_sgpr_dispatch_id 0
		.amdhsa_user_sgpr_flat_scratch_init 0
		.amdhsa_user_sgpr_kernarg_preload_length 0
		.amdhsa_user_sgpr_kernarg_preload_offset 0
		.amdhsa_user_sgpr_private_segment_size 0
		.amdhsa_uses_dynamic_stack 0
		.amdhsa_system_sgpr_private_segment_wavefront_offset 0
		.amdhsa_system_sgpr_workgroup_id_x 1
		.amdhsa_system_sgpr_workgroup_id_y 0
		.amdhsa_system_sgpr_workgroup_id_z 0
		.amdhsa_system_sgpr_workgroup_info 0
		.amdhsa_system_vgpr_workitem_id 0
		.amdhsa_next_free_vgpr 1
		.amdhsa_next_free_sgpr 0
		.amdhsa_accum_offset 4
		.amdhsa_reserve_vcc 0
		.amdhsa_reserve_flat_scratch 0
		.amdhsa_float_round_mode_32 0
		.amdhsa_float_round_mode_16_64 0
		.amdhsa_float_denorm_mode_32 3
		.amdhsa_float_denorm_mode_16_64 3
		.amdhsa_dx10_clamp 1
		.amdhsa_ieee_mode 1
		.amdhsa_fp16_overflow 0
		.amdhsa_tg_split 0
		.amdhsa_exception_fp_ieee_invalid_op 0
		.amdhsa_exception_fp_denorm_src 0
		.amdhsa_exception_fp_ieee_div_zero 0
		.amdhsa_exception_fp_ieee_overflow 0
		.amdhsa_exception_fp_ieee_underflow 0
		.amdhsa_exception_fp_ieee_inexact 0
		.amdhsa_exception_int_div_zero 0
	.end_amdhsa_kernel
	.section	.text._ZN7rocprim17ROCPRIM_400000_NS6detail17trampoline_kernelINS0_14default_configENS1_35adjacent_difference_config_selectorILb1ElEEZNS1_24adjacent_difference_implIS3_Lb1ELb0EPlS7_ZN2at6native12_GLOBAL__N_124unique_dim_cuda_templateIN3c104HalfEEESt5tupleIJNS8_6TensorESF_SF_EERKSF_lbbbEUlllE1_EE10hipError_tPvRmT2_T3_mT4_P12ihipStream_tbEUlT_E_NS1_11comp_targetILNS1_3genE2ELNS1_11target_archE906ELNS1_3gpuE6ELNS1_3repE0EEENS1_30default_config_static_selectorELNS0_4arch9wavefront6targetE1EEEvT1_,"axG",@progbits,_ZN7rocprim17ROCPRIM_400000_NS6detail17trampoline_kernelINS0_14default_configENS1_35adjacent_difference_config_selectorILb1ElEEZNS1_24adjacent_difference_implIS3_Lb1ELb0EPlS7_ZN2at6native12_GLOBAL__N_124unique_dim_cuda_templateIN3c104HalfEEESt5tupleIJNS8_6TensorESF_SF_EERKSF_lbbbEUlllE1_EE10hipError_tPvRmT2_T3_mT4_P12ihipStream_tbEUlT_E_NS1_11comp_targetILNS1_3genE2ELNS1_11target_archE906ELNS1_3gpuE6ELNS1_3repE0EEENS1_30default_config_static_selectorELNS0_4arch9wavefront6targetE1EEEvT1_,comdat
.Lfunc_end1292:
	.size	_ZN7rocprim17ROCPRIM_400000_NS6detail17trampoline_kernelINS0_14default_configENS1_35adjacent_difference_config_selectorILb1ElEEZNS1_24adjacent_difference_implIS3_Lb1ELb0EPlS7_ZN2at6native12_GLOBAL__N_124unique_dim_cuda_templateIN3c104HalfEEESt5tupleIJNS8_6TensorESF_SF_EERKSF_lbbbEUlllE1_EE10hipError_tPvRmT2_T3_mT4_P12ihipStream_tbEUlT_E_NS1_11comp_targetILNS1_3genE2ELNS1_11target_archE906ELNS1_3gpuE6ELNS1_3repE0EEENS1_30default_config_static_selectorELNS0_4arch9wavefront6targetE1EEEvT1_, .Lfunc_end1292-_ZN7rocprim17ROCPRIM_400000_NS6detail17trampoline_kernelINS0_14default_configENS1_35adjacent_difference_config_selectorILb1ElEEZNS1_24adjacent_difference_implIS3_Lb1ELb0EPlS7_ZN2at6native12_GLOBAL__N_124unique_dim_cuda_templateIN3c104HalfEEESt5tupleIJNS8_6TensorESF_SF_EERKSF_lbbbEUlllE1_EE10hipError_tPvRmT2_T3_mT4_P12ihipStream_tbEUlT_E_NS1_11comp_targetILNS1_3genE2ELNS1_11target_archE906ELNS1_3gpuE6ELNS1_3repE0EEENS1_30default_config_static_selectorELNS0_4arch9wavefront6targetE1EEEvT1_
                                        ; -- End function
	.section	.AMDGPU.csdata,"",@progbits
; Kernel info:
; codeLenInByte = 0
; NumSgprs: 4
; NumVgprs: 0
; NumAgprs: 0
; TotalNumVgprs: 0
; ScratchSize: 0
; MemoryBound: 0
; FloatMode: 240
; IeeeMode: 1
; LDSByteSize: 0 bytes/workgroup (compile time only)
; SGPRBlocks: 0
; VGPRBlocks: 0
; NumSGPRsForWavesPerEU: 4
; NumVGPRsForWavesPerEU: 1
; AccumOffset: 4
; Occupancy: 8
; WaveLimiterHint : 0
; COMPUTE_PGM_RSRC2:SCRATCH_EN: 0
; COMPUTE_PGM_RSRC2:USER_SGPR: 6
; COMPUTE_PGM_RSRC2:TRAP_HANDLER: 0
; COMPUTE_PGM_RSRC2:TGID_X_EN: 1
; COMPUTE_PGM_RSRC2:TGID_Y_EN: 0
; COMPUTE_PGM_RSRC2:TGID_Z_EN: 0
; COMPUTE_PGM_RSRC2:TIDIG_COMP_CNT: 0
; COMPUTE_PGM_RSRC3_GFX90A:ACCUM_OFFSET: 0
; COMPUTE_PGM_RSRC3_GFX90A:TG_SPLIT: 0
	.section	.text._ZN7rocprim17ROCPRIM_400000_NS6detail17trampoline_kernelINS0_14default_configENS1_35adjacent_difference_config_selectorILb1ElEEZNS1_24adjacent_difference_implIS3_Lb1ELb0EPlS7_ZN2at6native12_GLOBAL__N_124unique_dim_cuda_templateIN3c104HalfEEESt5tupleIJNS8_6TensorESF_SF_EERKSF_lbbbEUlllE1_EE10hipError_tPvRmT2_T3_mT4_P12ihipStream_tbEUlT_E_NS1_11comp_targetILNS1_3genE9ELNS1_11target_archE1100ELNS1_3gpuE3ELNS1_3repE0EEENS1_30default_config_static_selectorELNS0_4arch9wavefront6targetE1EEEvT1_,"axG",@progbits,_ZN7rocprim17ROCPRIM_400000_NS6detail17trampoline_kernelINS0_14default_configENS1_35adjacent_difference_config_selectorILb1ElEEZNS1_24adjacent_difference_implIS3_Lb1ELb0EPlS7_ZN2at6native12_GLOBAL__N_124unique_dim_cuda_templateIN3c104HalfEEESt5tupleIJNS8_6TensorESF_SF_EERKSF_lbbbEUlllE1_EE10hipError_tPvRmT2_T3_mT4_P12ihipStream_tbEUlT_E_NS1_11comp_targetILNS1_3genE9ELNS1_11target_archE1100ELNS1_3gpuE3ELNS1_3repE0EEENS1_30default_config_static_selectorELNS0_4arch9wavefront6targetE1EEEvT1_,comdat
	.globl	_ZN7rocprim17ROCPRIM_400000_NS6detail17trampoline_kernelINS0_14default_configENS1_35adjacent_difference_config_selectorILb1ElEEZNS1_24adjacent_difference_implIS3_Lb1ELb0EPlS7_ZN2at6native12_GLOBAL__N_124unique_dim_cuda_templateIN3c104HalfEEESt5tupleIJNS8_6TensorESF_SF_EERKSF_lbbbEUlllE1_EE10hipError_tPvRmT2_T3_mT4_P12ihipStream_tbEUlT_E_NS1_11comp_targetILNS1_3genE9ELNS1_11target_archE1100ELNS1_3gpuE3ELNS1_3repE0EEENS1_30default_config_static_selectorELNS0_4arch9wavefront6targetE1EEEvT1_ ; -- Begin function _ZN7rocprim17ROCPRIM_400000_NS6detail17trampoline_kernelINS0_14default_configENS1_35adjacent_difference_config_selectorILb1ElEEZNS1_24adjacent_difference_implIS3_Lb1ELb0EPlS7_ZN2at6native12_GLOBAL__N_124unique_dim_cuda_templateIN3c104HalfEEESt5tupleIJNS8_6TensorESF_SF_EERKSF_lbbbEUlllE1_EE10hipError_tPvRmT2_T3_mT4_P12ihipStream_tbEUlT_E_NS1_11comp_targetILNS1_3genE9ELNS1_11target_archE1100ELNS1_3gpuE3ELNS1_3repE0EEENS1_30default_config_static_selectorELNS0_4arch9wavefront6targetE1EEEvT1_
	.p2align	8
	.type	_ZN7rocprim17ROCPRIM_400000_NS6detail17trampoline_kernelINS0_14default_configENS1_35adjacent_difference_config_selectorILb1ElEEZNS1_24adjacent_difference_implIS3_Lb1ELb0EPlS7_ZN2at6native12_GLOBAL__N_124unique_dim_cuda_templateIN3c104HalfEEESt5tupleIJNS8_6TensorESF_SF_EERKSF_lbbbEUlllE1_EE10hipError_tPvRmT2_T3_mT4_P12ihipStream_tbEUlT_E_NS1_11comp_targetILNS1_3genE9ELNS1_11target_archE1100ELNS1_3gpuE3ELNS1_3repE0EEENS1_30default_config_static_selectorELNS0_4arch9wavefront6targetE1EEEvT1_,@function
_ZN7rocprim17ROCPRIM_400000_NS6detail17trampoline_kernelINS0_14default_configENS1_35adjacent_difference_config_selectorILb1ElEEZNS1_24adjacent_difference_implIS3_Lb1ELb0EPlS7_ZN2at6native12_GLOBAL__N_124unique_dim_cuda_templateIN3c104HalfEEESt5tupleIJNS8_6TensorESF_SF_EERKSF_lbbbEUlllE1_EE10hipError_tPvRmT2_T3_mT4_P12ihipStream_tbEUlT_E_NS1_11comp_targetILNS1_3genE9ELNS1_11target_archE1100ELNS1_3gpuE3ELNS1_3repE0EEENS1_30default_config_static_selectorELNS0_4arch9wavefront6targetE1EEEvT1_: ; @_ZN7rocprim17ROCPRIM_400000_NS6detail17trampoline_kernelINS0_14default_configENS1_35adjacent_difference_config_selectorILb1ElEEZNS1_24adjacent_difference_implIS3_Lb1ELb0EPlS7_ZN2at6native12_GLOBAL__N_124unique_dim_cuda_templateIN3c104HalfEEESt5tupleIJNS8_6TensorESF_SF_EERKSF_lbbbEUlllE1_EE10hipError_tPvRmT2_T3_mT4_P12ihipStream_tbEUlT_E_NS1_11comp_targetILNS1_3genE9ELNS1_11target_archE1100ELNS1_3gpuE3ELNS1_3repE0EEENS1_30default_config_static_selectorELNS0_4arch9wavefront6targetE1EEEvT1_
; %bb.0:
	.section	.rodata,"a",@progbits
	.p2align	6, 0x0
	.amdhsa_kernel _ZN7rocprim17ROCPRIM_400000_NS6detail17trampoline_kernelINS0_14default_configENS1_35adjacent_difference_config_selectorILb1ElEEZNS1_24adjacent_difference_implIS3_Lb1ELb0EPlS7_ZN2at6native12_GLOBAL__N_124unique_dim_cuda_templateIN3c104HalfEEESt5tupleIJNS8_6TensorESF_SF_EERKSF_lbbbEUlllE1_EE10hipError_tPvRmT2_T3_mT4_P12ihipStream_tbEUlT_E_NS1_11comp_targetILNS1_3genE9ELNS1_11target_archE1100ELNS1_3gpuE3ELNS1_3repE0EEENS1_30default_config_static_selectorELNS0_4arch9wavefront6targetE1EEEvT1_
		.amdhsa_group_segment_fixed_size 0
		.amdhsa_private_segment_fixed_size 0
		.amdhsa_kernarg_size 64
		.amdhsa_user_sgpr_count 6
		.amdhsa_user_sgpr_private_segment_buffer 1
		.amdhsa_user_sgpr_dispatch_ptr 0
		.amdhsa_user_sgpr_queue_ptr 0
		.amdhsa_user_sgpr_kernarg_segment_ptr 1
		.amdhsa_user_sgpr_dispatch_id 0
		.amdhsa_user_sgpr_flat_scratch_init 0
		.amdhsa_user_sgpr_kernarg_preload_length 0
		.amdhsa_user_sgpr_kernarg_preload_offset 0
		.amdhsa_user_sgpr_private_segment_size 0
		.amdhsa_uses_dynamic_stack 0
		.amdhsa_system_sgpr_private_segment_wavefront_offset 0
		.amdhsa_system_sgpr_workgroup_id_x 1
		.amdhsa_system_sgpr_workgroup_id_y 0
		.amdhsa_system_sgpr_workgroup_id_z 0
		.amdhsa_system_sgpr_workgroup_info 0
		.amdhsa_system_vgpr_workitem_id 0
		.amdhsa_next_free_vgpr 1
		.amdhsa_next_free_sgpr 0
		.amdhsa_accum_offset 4
		.amdhsa_reserve_vcc 0
		.amdhsa_reserve_flat_scratch 0
		.amdhsa_float_round_mode_32 0
		.amdhsa_float_round_mode_16_64 0
		.amdhsa_float_denorm_mode_32 3
		.amdhsa_float_denorm_mode_16_64 3
		.amdhsa_dx10_clamp 1
		.amdhsa_ieee_mode 1
		.amdhsa_fp16_overflow 0
		.amdhsa_tg_split 0
		.amdhsa_exception_fp_ieee_invalid_op 0
		.amdhsa_exception_fp_denorm_src 0
		.amdhsa_exception_fp_ieee_div_zero 0
		.amdhsa_exception_fp_ieee_overflow 0
		.amdhsa_exception_fp_ieee_underflow 0
		.amdhsa_exception_fp_ieee_inexact 0
		.amdhsa_exception_int_div_zero 0
	.end_amdhsa_kernel
	.section	.text._ZN7rocprim17ROCPRIM_400000_NS6detail17trampoline_kernelINS0_14default_configENS1_35adjacent_difference_config_selectorILb1ElEEZNS1_24adjacent_difference_implIS3_Lb1ELb0EPlS7_ZN2at6native12_GLOBAL__N_124unique_dim_cuda_templateIN3c104HalfEEESt5tupleIJNS8_6TensorESF_SF_EERKSF_lbbbEUlllE1_EE10hipError_tPvRmT2_T3_mT4_P12ihipStream_tbEUlT_E_NS1_11comp_targetILNS1_3genE9ELNS1_11target_archE1100ELNS1_3gpuE3ELNS1_3repE0EEENS1_30default_config_static_selectorELNS0_4arch9wavefront6targetE1EEEvT1_,"axG",@progbits,_ZN7rocprim17ROCPRIM_400000_NS6detail17trampoline_kernelINS0_14default_configENS1_35adjacent_difference_config_selectorILb1ElEEZNS1_24adjacent_difference_implIS3_Lb1ELb0EPlS7_ZN2at6native12_GLOBAL__N_124unique_dim_cuda_templateIN3c104HalfEEESt5tupleIJNS8_6TensorESF_SF_EERKSF_lbbbEUlllE1_EE10hipError_tPvRmT2_T3_mT4_P12ihipStream_tbEUlT_E_NS1_11comp_targetILNS1_3genE9ELNS1_11target_archE1100ELNS1_3gpuE3ELNS1_3repE0EEENS1_30default_config_static_selectorELNS0_4arch9wavefront6targetE1EEEvT1_,comdat
.Lfunc_end1293:
	.size	_ZN7rocprim17ROCPRIM_400000_NS6detail17trampoline_kernelINS0_14default_configENS1_35adjacent_difference_config_selectorILb1ElEEZNS1_24adjacent_difference_implIS3_Lb1ELb0EPlS7_ZN2at6native12_GLOBAL__N_124unique_dim_cuda_templateIN3c104HalfEEESt5tupleIJNS8_6TensorESF_SF_EERKSF_lbbbEUlllE1_EE10hipError_tPvRmT2_T3_mT4_P12ihipStream_tbEUlT_E_NS1_11comp_targetILNS1_3genE9ELNS1_11target_archE1100ELNS1_3gpuE3ELNS1_3repE0EEENS1_30default_config_static_selectorELNS0_4arch9wavefront6targetE1EEEvT1_, .Lfunc_end1293-_ZN7rocprim17ROCPRIM_400000_NS6detail17trampoline_kernelINS0_14default_configENS1_35adjacent_difference_config_selectorILb1ElEEZNS1_24adjacent_difference_implIS3_Lb1ELb0EPlS7_ZN2at6native12_GLOBAL__N_124unique_dim_cuda_templateIN3c104HalfEEESt5tupleIJNS8_6TensorESF_SF_EERKSF_lbbbEUlllE1_EE10hipError_tPvRmT2_T3_mT4_P12ihipStream_tbEUlT_E_NS1_11comp_targetILNS1_3genE9ELNS1_11target_archE1100ELNS1_3gpuE3ELNS1_3repE0EEENS1_30default_config_static_selectorELNS0_4arch9wavefront6targetE1EEEvT1_
                                        ; -- End function
	.section	.AMDGPU.csdata,"",@progbits
; Kernel info:
; codeLenInByte = 0
; NumSgprs: 4
; NumVgprs: 0
; NumAgprs: 0
; TotalNumVgprs: 0
; ScratchSize: 0
; MemoryBound: 0
; FloatMode: 240
; IeeeMode: 1
; LDSByteSize: 0 bytes/workgroup (compile time only)
; SGPRBlocks: 0
; VGPRBlocks: 0
; NumSGPRsForWavesPerEU: 4
; NumVGPRsForWavesPerEU: 1
; AccumOffset: 4
; Occupancy: 8
; WaveLimiterHint : 0
; COMPUTE_PGM_RSRC2:SCRATCH_EN: 0
; COMPUTE_PGM_RSRC2:USER_SGPR: 6
; COMPUTE_PGM_RSRC2:TRAP_HANDLER: 0
; COMPUTE_PGM_RSRC2:TGID_X_EN: 1
; COMPUTE_PGM_RSRC2:TGID_Y_EN: 0
; COMPUTE_PGM_RSRC2:TGID_Z_EN: 0
; COMPUTE_PGM_RSRC2:TIDIG_COMP_CNT: 0
; COMPUTE_PGM_RSRC3_GFX90A:ACCUM_OFFSET: 0
; COMPUTE_PGM_RSRC3_GFX90A:TG_SPLIT: 0
	.section	.text._ZN7rocprim17ROCPRIM_400000_NS6detail17trampoline_kernelINS0_14default_configENS1_35adjacent_difference_config_selectorILb1ElEEZNS1_24adjacent_difference_implIS3_Lb1ELb0EPlS7_ZN2at6native12_GLOBAL__N_124unique_dim_cuda_templateIN3c104HalfEEESt5tupleIJNS8_6TensorESF_SF_EERKSF_lbbbEUlllE1_EE10hipError_tPvRmT2_T3_mT4_P12ihipStream_tbEUlT_E_NS1_11comp_targetILNS1_3genE8ELNS1_11target_archE1030ELNS1_3gpuE2ELNS1_3repE0EEENS1_30default_config_static_selectorELNS0_4arch9wavefront6targetE1EEEvT1_,"axG",@progbits,_ZN7rocprim17ROCPRIM_400000_NS6detail17trampoline_kernelINS0_14default_configENS1_35adjacent_difference_config_selectorILb1ElEEZNS1_24adjacent_difference_implIS3_Lb1ELb0EPlS7_ZN2at6native12_GLOBAL__N_124unique_dim_cuda_templateIN3c104HalfEEESt5tupleIJNS8_6TensorESF_SF_EERKSF_lbbbEUlllE1_EE10hipError_tPvRmT2_T3_mT4_P12ihipStream_tbEUlT_E_NS1_11comp_targetILNS1_3genE8ELNS1_11target_archE1030ELNS1_3gpuE2ELNS1_3repE0EEENS1_30default_config_static_selectorELNS0_4arch9wavefront6targetE1EEEvT1_,comdat
	.globl	_ZN7rocprim17ROCPRIM_400000_NS6detail17trampoline_kernelINS0_14default_configENS1_35adjacent_difference_config_selectorILb1ElEEZNS1_24adjacent_difference_implIS3_Lb1ELb0EPlS7_ZN2at6native12_GLOBAL__N_124unique_dim_cuda_templateIN3c104HalfEEESt5tupleIJNS8_6TensorESF_SF_EERKSF_lbbbEUlllE1_EE10hipError_tPvRmT2_T3_mT4_P12ihipStream_tbEUlT_E_NS1_11comp_targetILNS1_3genE8ELNS1_11target_archE1030ELNS1_3gpuE2ELNS1_3repE0EEENS1_30default_config_static_selectorELNS0_4arch9wavefront6targetE1EEEvT1_ ; -- Begin function _ZN7rocprim17ROCPRIM_400000_NS6detail17trampoline_kernelINS0_14default_configENS1_35adjacent_difference_config_selectorILb1ElEEZNS1_24adjacent_difference_implIS3_Lb1ELb0EPlS7_ZN2at6native12_GLOBAL__N_124unique_dim_cuda_templateIN3c104HalfEEESt5tupleIJNS8_6TensorESF_SF_EERKSF_lbbbEUlllE1_EE10hipError_tPvRmT2_T3_mT4_P12ihipStream_tbEUlT_E_NS1_11comp_targetILNS1_3genE8ELNS1_11target_archE1030ELNS1_3gpuE2ELNS1_3repE0EEENS1_30default_config_static_selectorELNS0_4arch9wavefront6targetE1EEEvT1_
	.p2align	8
	.type	_ZN7rocprim17ROCPRIM_400000_NS6detail17trampoline_kernelINS0_14default_configENS1_35adjacent_difference_config_selectorILb1ElEEZNS1_24adjacent_difference_implIS3_Lb1ELb0EPlS7_ZN2at6native12_GLOBAL__N_124unique_dim_cuda_templateIN3c104HalfEEESt5tupleIJNS8_6TensorESF_SF_EERKSF_lbbbEUlllE1_EE10hipError_tPvRmT2_T3_mT4_P12ihipStream_tbEUlT_E_NS1_11comp_targetILNS1_3genE8ELNS1_11target_archE1030ELNS1_3gpuE2ELNS1_3repE0EEENS1_30default_config_static_selectorELNS0_4arch9wavefront6targetE1EEEvT1_,@function
_ZN7rocprim17ROCPRIM_400000_NS6detail17trampoline_kernelINS0_14default_configENS1_35adjacent_difference_config_selectorILb1ElEEZNS1_24adjacent_difference_implIS3_Lb1ELb0EPlS7_ZN2at6native12_GLOBAL__N_124unique_dim_cuda_templateIN3c104HalfEEESt5tupleIJNS8_6TensorESF_SF_EERKSF_lbbbEUlllE1_EE10hipError_tPvRmT2_T3_mT4_P12ihipStream_tbEUlT_E_NS1_11comp_targetILNS1_3genE8ELNS1_11target_archE1030ELNS1_3gpuE2ELNS1_3repE0EEENS1_30default_config_static_selectorELNS0_4arch9wavefront6targetE1EEEvT1_: ; @_ZN7rocprim17ROCPRIM_400000_NS6detail17trampoline_kernelINS0_14default_configENS1_35adjacent_difference_config_selectorILb1ElEEZNS1_24adjacent_difference_implIS3_Lb1ELb0EPlS7_ZN2at6native12_GLOBAL__N_124unique_dim_cuda_templateIN3c104HalfEEESt5tupleIJNS8_6TensorESF_SF_EERKSF_lbbbEUlllE1_EE10hipError_tPvRmT2_T3_mT4_P12ihipStream_tbEUlT_E_NS1_11comp_targetILNS1_3genE8ELNS1_11target_archE1030ELNS1_3gpuE2ELNS1_3repE0EEENS1_30default_config_static_selectorELNS0_4arch9wavefront6targetE1EEEvT1_
; %bb.0:
	.section	.rodata,"a",@progbits
	.p2align	6, 0x0
	.amdhsa_kernel _ZN7rocprim17ROCPRIM_400000_NS6detail17trampoline_kernelINS0_14default_configENS1_35adjacent_difference_config_selectorILb1ElEEZNS1_24adjacent_difference_implIS3_Lb1ELb0EPlS7_ZN2at6native12_GLOBAL__N_124unique_dim_cuda_templateIN3c104HalfEEESt5tupleIJNS8_6TensorESF_SF_EERKSF_lbbbEUlllE1_EE10hipError_tPvRmT2_T3_mT4_P12ihipStream_tbEUlT_E_NS1_11comp_targetILNS1_3genE8ELNS1_11target_archE1030ELNS1_3gpuE2ELNS1_3repE0EEENS1_30default_config_static_selectorELNS0_4arch9wavefront6targetE1EEEvT1_
		.amdhsa_group_segment_fixed_size 0
		.amdhsa_private_segment_fixed_size 0
		.amdhsa_kernarg_size 64
		.amdhsa_user_sgpr_count 6
		.amdhsa_user_sgpr_private_segment_buffer 1
		.amdhsa_user_sgpr_dispatch_ptr 0
		.amdhsa_user_sgpr_queue_ptr 0
		.amdhsa_user_sgpr_kernarg_segment_ptr 1
		.amdhsa_user_sgpr_dispatch_id 0
		.amdhsa_user_sgpr_flat_scratch_init 0
		.amdhsa_user_sgpr_kernarg_preload_length 0
		.amdhsa_user_sgpr_kernarg_preload_offset 0
		.amdhsa_user_sgpr_private_segment_size 0
		.amdhsa_uses_dynamic_stack 0
		.amdhsa_system_sgpr_private_segment_wavefront_offset 0
		.amdhsa_system_sgpr_workgroup_id_x 1
		.amdhsa_system_sgpr_workgroup_id_y 0
		.amdhsa_system_sgpr_workgroup_id_z 0
		.amdhsa_system_sgpr_workgroup_info 0
		.amdhsa_system_vgpr_workitem_id 0
		.amdhsa_next_free_vgpr 1
		.amdhsa_next_free_sgpr 0
		.amdhsa_accum_offset 4
		.amdhsa_reserve_vcc 0
		.amdhsa_reserve_flat_scratch 0
		.amdhsa_float_round_mode_32 0
		.amdhsa_float_round_mode_16_64 0
		.amdhsa_float_denorm_mode_32 3
		.amdhsa_float_denorm_mode_16_64 3
		.amdhsa_dx10_clamp 1
		.amdhsa_ieee_mode 1
		.amdhsa_fp16_overflow 0
		.amdhsa_tg_split 0
		.amdhsa_exception_fp_ieee_invalid_op 0
		.amdhsa_exception_fp_denorm_src 0
		.amdhsa_exception_fp_ieee_div_zero 0
		.amdhsa_exception_fp_ieee_overflow 0
		.amdhsa_exception_fp_ieee_underflow 0
		.amdhsa_exception_fp_ieee_inexact 0
		.amdhsa_exception_int_div_zero 0
	.end_amdhsa_kernel
	.section	.text._ZN7rocprim17ROCPRIM_400000_NS6detail17trampoline_kernelINS0_14default_configENS1_35adjacent_difference_config_selectorILb1ElEEZNS1_24adjacent_difference_implIS3_Lb1ELb0EPlS7_ZN2at6native12_GLOBAL__N_124unique_dim_cuda_templateIN3c104HalfEEESt5tupleIJNS8_6TensorESF_SF_EERKSF_lbbbEUlllE1_EE10hipError_tPvRmT2_T3_mT4_P12ihipStream_tbEUlT_E_NS1_11comp_targetILNS1_3genE8ELNS1_11target_archE1030ELNS1_3gpuE2ELNS1_3repE0EEENS1_30default_config_static_selectorELNS0_4arch9wavefront6targetE1EEEvT1_,"axG",@progbits,_ZN7rocprim17ROCPRIM_400000_NS6detail17trampoline_kernelINS0_14default_configENS1_35adjacent_difference_config_selectorILb1ElEEZNS1_24adjacent_difference_implIS3_Lb1ELb0EPlS7_ZN2at6native12_GLOBAL__N_124unique_dim_cuda_templateIN3c104HalfEEESt5tupleIJNS8_6TensorESF_SF_EERKSF_lbbbEUlllE1_EE10hipError_tPvRmT2_T3_mT4_P12ihipStream_tbEUlT_E_NS1_11comp_targetILNS1_3genE8ELNS1_11target_archE1030ELNS1_3gpuE2ELNS1_3repE0EEENS1_30default_config_static_selectorELNS0_4arch9wavefront6targetE1EEEvT1_,comdat
.Lfunc_end1294:
	.size	_ZN7rocprim17ROCPRIM_400000_NS6detail17trampoline_kernelINS0_14default_configENS1_35adjacent_difference_config_selectorILb1ElEEZNS1_24adjacent_difference_implIS3_Lb1ELb0EPlS7_ZN2at6native12_GLOBAL__N_124unique_dim_cuda_templateIN3c104HalfEEESt5tupleIJNS8_6TensorESF_SF_EERKSF_lbbbEUlllE1_EE10hipError_tPvRmT2_T3_mT4_P12ihipStream_tbEUlT_E_NS1_11comp_targetILNS1_3genE8ELNS1_11target_archE1030ELNS1_3gpuE2ELNS1_3repE0EEENS1_30default_config_static_selectorELNS0_4arch9wavefront6targetE1EEEvT1_, .Lfunc_end1294-_ZN7rocprim17ROCPRIM_400000_NS6detail17trampoline_kernelINS0_14default_configENS1_35adjacent_difference_config_selectorILb1ElEEZNS1_24adjacent_difference_implIS3_Lb1ELb0EPlS7_ZN2at6native12_GLOBAL__N_124unique_dim_cuda_templateIN3c104HalfEEESt5tupleIJNS8_6TensorESF_SF_EERKSF_lbbbEUlllE1_EE10hipError_tPvRmT2_T3_mT4_P12ihipStream_tbEUlT_E_NS1_11comp_targetILNS1_3genE8ELNS1_11target_archE1030ELNS1_3gpuE2ELNS1_3repE0EEENS1_30default_config_static_selectorELNS0_4arch9wavefront6targetE1EEEvT1_
                                        ; -- End function
	.section	.AMDGPU.csdata,"",@progbits
; Kernel info:
; codeLenInByte = 0
; NumSgprs: 4
; NumVgprs: 0
; NumAgprs: 0
; TotalNumVgprs: 0
; ScratchSize: 0
; MemoryBound: 0
; FloatMode: 240
; IeeeMode: 1
; LDSByteSize: 0 bytes/workgroup (compile time only)
; SGPRBlocks: 0
; VGPRBlocks: 0
; NumSGPRsForWavesPerEU: 4
; NumVGPRsForWavesPerEU: 1
; AccumOffset: 4
; Occupancy: 8
; WaveLimiterHint : 0
; COMPUTE_PGM_RSRC2:SCRATCH_EN: 0
; COMPUTE_PGM_RSRC2:USER_SGPR: 6
; COMPUTE_PGM_RSRC2:TRAP_HANDLER: 0
; COMPUTE_PGM_RSRC2:TGID_X_EN: 1
; COMPUTE_PGM_RSRC2:TGID_Y_EN: 0
; COMPUTE_PGM_RSRC2:TGID_Z_EN: 0
; COMPUTE_PGM_RSRC2:TIDIG_COMP_CNT: 0
; COMPUTE_PGM_RSRC3_GFX90A:ACCUM_OFFSET: 0
; COMPUTE_PGM_RSRC3_GFX90A:TG_SPLIT: 0
	.section	.text._ZN7rocprim17ROCPRIM_400000_NS6detail17trampoline_kernelINS0_14default_configENS1_25partition_config_selectorILNS1_17partition_subalgoE8ElNS0_10empty_typeEbEEZZNS1_14partition_implILS5_8ELb0ES3_jPlPS6_PKS6_NS0_5tupleIJS9_S6_EEENSD_IJSA_SA_EEENS0_18inequality_wrapperIZN2at6native12_GLOBAL__N_124unique_dim_cuda_templateIN3c104HalfEEESt5tupleIJNSH_6TensorESO_SO_EERKSO_lbbbEUlllE0_EEPmJS6_EEE10hipError_tPvRmT3_T4_T5_T6_T7_T9_mT8_P12ihipStream_tbDpT10_ENKUlT_T0_E_clISt17integral_constantIbLb0EES1E_EEDaS19_S1A_EUlS19_E_NS1_11comp_targetILNS1_3genE0ELNS1_11target_archE4294967295ELNS1_3gpuE0ELNS1_3repE0EEENS1_30default_config_static_selectorELNS0_4arch9wavefront6targetE1EEEvT1_,"axG",@progbits,_ZN7rocprim17ROCPRIM_400000_NS6detail17trampoline_kernelINS0_14default_configENS1_25partition_config_selectorILNS1_17partition_subalgoE8ElNS0_10empty_typeEbEEZZNS1_14partition_implILS5_8ELb0ES3_jPlPS6_PKS6_NS0_5tupleIJS9_S6_EEENSD_IJSA_SA_EEENS0_18inequality_wrapperIZN2at6native12_GLOBAL__N_124unique_dim_cuda_templateIN3c104HalfEEESt5tupleIJNSH_6TensorESO_SO_EERKSO_lbbbEUlllE0_EEPmJS6_EEE10hipError_tPvRmT3_T4_T5_T6_T7_T9_mT8_P12ihipStream_tbDpT10_ENKUlT_T0_E_clISt17integral_constantIbLb0EES1E_EEDaS19_S1A_EUlS19_E_NS1_11comp_targetILNS1_3genE0ELNS1_11target_archE4294967295ELNS1_3gpuE0ELNS1_3repE0EEENS1_30default_config_static_selectorELNS0_4arch9wavefront6targetE1EEEvT1_,comdat
	.globl	_ZN7rocprim17ROCPRIM_400000_NS6detail17trampoline_kernelINS0_14default_configENS1_25partition_config_selectorILNS1_17partition_subalgoE8ElNS0_10empty_typeEbEEZZNS1_14partition_implILS5_8ELb0ES3_jPlPS6_PKS6_NS0_5tupleIJS9_S6_EEENSD_IJSA_SA_EEENS0_18inequality_wrapperIZN2at6native12_GLOBAL__N_124unique_dim_cuda_templateIN3c104HalfEEESt5tupleIJNSH_6TensorESO_SO_EERKSO_lbbbEUlllE0_EEPmJS6_EEE10hipError_tPvRmT3_T4_T5_T6_T7_T9_mT8_P12ihipStream_tbDpT10_ENKUlT_T0_E_clISt17integral_constantIbLb0EES1E_EEDaS19_S1A_EUlS19_E_NS1_11comp_targetILNS1_3genE0ELNS1_11target_archE4294967295ELNS1_3gpuE0ELNS1_3repE0EEENS1_30default_config_static_selectorELNS0_4arch9wavefront6targetE1EEEvT1_ ; -- Begin function _ZN7rocprim17ROCPRIM_400000_NS6detail17trampoline_kernelINS0_14default_configENS1_25partition_config_selectorILNS1_17partition_subalgoE8ElNS0_10empty_typeEbEEZZNS1_14partition_implILS5_8ELb0ES3_jPlPS6_PKS6_NS0_5tupleIJS9_S6_EEENSD_IJSA_SA_EEENS0_18inequality_wrapperIZN2at6native12_GLOBAL__N_124unique_dim_cuda_templateIN3c104HalfEEESt5tupleIJNSH_6TensorESO_SO_EERKSO_lbbbEUlllE0_EEPmJS6_EEE10hipError_tPvRmT3_T4_T5_T6_T7_T9_mT8_P12ihipStream_tbDpT10_ENKUlT_T0_E_clISt17integral_constantIbLb0EES1E_EEDaS19_S1A_EUlS19_E_NS1_11comp_targetILNS1_3genE0ELNS1_11target_archE4294967295ELNS1_3gpuE0ELNS1_3repE0EEENS1_30default_config_static_selectorELNS0_4arch9wavefront6targetE1EEEvT1_
	.p2align	8
	.type	_ZN7rocprim17ROCPRIM_400000_NS6detail17trampoline_kernelINS0_14default_configENS1_25partition_config_selectorILNS1_17partition_subalgoE8ElNS0_10empty_typeEbEEZZNS1_14partition_implILS5_8ELb0ES3_jPlPS6_PKS6_NS0_5tupleIJS9_S6_EEENSD_IJSA_SA_EEENS0_18inequality_wrapperIZN2at6native12_GLOBAL__N_124unique_dim_cuda_templateIN3c104HalfEEESt5tupleIJNSH_6TensorESO_SO_EERKSO_lbbbEUlllE0_EEPmJS6_EEE10hipError_tPvRmT3_T4_T5_T6_T7_T9_mT8_P12ihipStream_tbDpT10_ENKUlT_T0_E_clISt17integral_constantIbLb0EES1E_EEDaS19_S1A_EUlS19_E_NS1_11comp_targetILNS1_3genE0ELNS1_11target_archE4294967295ELNS1_3gpuE0ELNS1_3repE0EEENS1_30default_config_static_selectorELNS0_4arch9wavefront6targetE1EEEvT1_,@function
_ZN7rocprim17ROCPRIM_400000_NS6detail17trampoline_kernelINS0_14default_configENS1_25partition_config_selectorILNS1_17partition_subalgoE8ElNS0_10empty_typeEbEEZZNS1_14partition_implILS5_8ELb0ES3_jPlPS6_PKS6_NS0_5tupleIJS9_S6_EEENSD_IJSA_SA_EEENS0_18inequality_wrapperIZN2at6native12_GLOBAL__N_124unique_dim_cuda_templateIN3c104HalfEEESt5tupleIJNSH_6TensorESO_SO_EERKSO_lbbbEUlllE0_EEPmJS6_EEE10hipError_tPvRmT3_T4_T5_T6_T7_T9_mT8_P12ihipStream_tbDpT10_ENKUlT_T0_E_clISt17integral_constantIbLb0EES1E_EEDaS19_S1A_EUlS19_E_NS1_11comp_targetILNS1_3genE0ELNS1_11target_archE4294967295ELNS1_3gpuE0ELNS1_3repE0EEENS1_30default_config_static_selectorELNS0_4arch9wavefront6targetE1EEEvT1_: ; @_ZN7rocprim17ROCPRIM_400000_NS6detail17trampoline_kernelINS0_14default_configENS1_25partition_config_selectorILNS1_17partition_subalgoE8ElNS0_10empty_typeEbEEZZNS1_14partition_implILS5_8ELb0ES3_jPlPS6_PKS6_NS0_5tupleIJS9_S6_EEENSD_IJSA_SA_EEENS0_18inequality_wrapperIZN2at6native12_GLOBAL__N_124unique_dim_cuda_templateIN3c104HalfEEESt5tupleIJNSH_6TensorESO_SO_EERKSO_lbbbEUlllE0_EEPmJS6_EEE10hipError_tPvRmT3_T4_T5_T6_T7_T9_mT8_P12ihipStream_tbDpT10_ENKUlT_T0_E_clISt17integral_constantIbLb0EES1E_EEDaS19_S1A_EUlS19_E_NS1_11comp_targetILNS1_3genE0ELNS1_11target_archE4294967295ELNS1_3gpuE0ELNS1_3repE0EEENS1_30default_config_static_selectorELNS0_4arch9wavefront6targetE1EEEvT1_
; %bb.0:
	.section	.rodata,"a",@progbits
	.p2align	6, 0x0
	.amdhsa_kernel _ZN7rocprim17ROCPRIM_400000_NS6detail17trampoline_kernelINS0_14default_configENS1_25partition_config_selectorILNS1_17partition_subalgoE8ElNS0_10empty_typeEbEEZZNS1_14partition_implILS5_8ELb0ES3_jPlPS6_PKS6_NS0_5tupleIJS9_S6_EEENSD_IJSA_SA_EEENS0_18inequality_wrapperIZN2at6native12_GLOBAL__N_124unique_dim_cuda_templateIN3c104HalfEEESt5tupleIJNSH_6TensorESO_SO_EERKSO_lbbbEUlllE0_EEPmJS6_EEE10hipError_tPvRmT3_T4_T5_T6_T7_T9_mT8_P12ihipStream_tbDpT10_ENKUlT_T0_E_clISt17integral_constantIbLb0EES1E_EEDaS19_S1A_EUlS19_E_NS1_11comp_targetILNS1_3genE0ELNS1_11target_archE4294967295ELNS1_3gpuE0ELNS1_3repE0EEENS1_30default_config_static_selectorELNS0_4arch9wavefront6targetE1EEEvT1_
		.amdhsa_group_segment_fixed_size 0
		.amdhsa_private_segment_fixed_size 0
		.amdhsa_kernarg_size 120
		.amdhsa_user_sgpr_count 6
		.amdhsa_user_sgpr_private_segment_buffer 1
		.amdhsa_user_sgpr_dispatch_ptr 0
		.amdhsa_user_sgpr_queue_ptr 0
		.amdhsa_user_sgpr_kernarg_segment_ptr 1
		.amdhsa_user_sgpr_dispatch_id 0
		.amdhsa_user_sgpr_flat_scratch_init 0
		.amdhsa_user_sgpr_kernarg_preload_length 0
		.amdhsa_user_sgpr_kernarg_preload_offset 0
		.amdhsa_user_sgpr_private_segment_size 0
		.amdhsa_uses_dynamic_stack 0
		.amdhsa_system_sgpr_private_segment_wavefront_offset 0
		.amdhsa_system_sgpr_workgroup_id_x 1
		.amdhsa_system_sgpr_workgroup_id_y 0
		.amdhsa_system_sgpr_workgroup_id_z 0
		.amdhsa_system_sgpr_workgroup_info 0
		.amdhsa_system_vgpr_workitem_id 0
		.amdhsa_next_free_vgpr 1
		.amdhsa_next_free_sgpr 0
		.amdhsa_accum_offset 4
		.amdhsa_reserve_vcc 0
		.amdhsa_reserve_flat_scratch 0
		.amdhsa_float_round_mode_32 0
		.amdhsa_float_round_mode_16_64 0
		.amdhsa_float_denorm_mode_32 3
		.amdhsa_float_denorm_mode_16_64 3
		.amdhsa_dx10_clamp 1
		.amdhsa_ieee_mode 1
		.amdhsa_fp16_overflow 0
		.amdhsa_tg_split 0
		.amdhsa_exception_fp_ieee_invalid_op 0
		.amdhsa_exception_fp_denorm_src 0
		.amdhsa_exception_fp_ieee_div_zero 0
		.amdhsa_exception_fp_ieee_overflow 0
		.amdhsa_exception_fp_ieee_underflow 0
		.amdhsa_exception_fp_ieee_inexact 0
		.amdhsa_exception_int_div_zero 0
	.end_amdhsa_kernel
	.section	.text._ZN7rocprim17ROCPRIM_400000_NS6detail17trampoline_kernelINS0_14default_configENS1_25partition_config_selectorILNS1_17partition_subalgoE8ElNS0_10empty_typeEbEEZZNS1_14partition_implILS5_8ELb0ES3_jPlPS6_PKS6_NS0_5tupleIJS9_S6_EEENSD_IJSA_SA_EEENS0_18inequality_wrapperIZN2at6native12_GLOBAL__N_124unique_dim_cuda_templateIN3c104HalfEEESt5tupleIJNSH_6TensorESO_SO_EERKSO_lbbbEUlllE0_EEPmJS6_EEE10hipError_tPvRmT3_T4_T5_T6_T7_T9_mT8_P12ihipStream_tbDpT10_ENKUlT_T0_E_clISt17integral_constantIbLb0EES1E_EEDaS19_S1A_EUlS19_E_NS1_11comp_targetILNS1_3genE0ELNS1_11target_archE4294967295ELNS1_3gpuE0ELNS1_3repE0EEENS1_30default_config_static_selectorELNS0_4arch9wavefront6targetE1EEEvT1_,"axG",@progbits,_ZN7rocprim17ROCPRIM_400000_NS6detail17trampoline_kernelINS0_14default_configENS1_25partition_config_selectorILNS1_17partition_subalgoE8ElNS0_10empty_typeEbEEZZNS1_14partition_implILS5_8ELb0ES3_jPlPS6_PKS6_NS0_5tupleIJS9_S6_EEENSD_IJSA_SA_EEENS0_18inequality_wrapperIZN2at6native12_GLOBAL__N_124unique_dim_cuda_templateIN3c104HalfEEESt5tupleIJNSH_6TensorESO_SO_EERKSO_lbbbEUlllE0_EEPmJS6_EEE10hipError_tPvRmT3_T4_T5_T6_T7_T9_mT8_P12ihipStream_tbDpT10_ENKUlT_T0_E_clISt17integral_constantIbLb0EES1E_EEDaS19_S1A_EUlS19_E_NS1_11comp_targetILNS1_3genE0ELNS1_11target_archE4294967295ELNS1_3gpuE0ELNS1_3repE0EEENS1_30default_config_static_selectorELNS0_4arch9wavefront6targetE1EEEvT1_,comdat
.Lfunc_end1295:
	.size	_ZN7rocprim17ROCPRIM_400000_NS6detail17trampoline_kernelINS0_14default_configENS1_25partition_config_selectorILNS1_17partition_subalgoE8ElNS0_10empty_typeEbEEZZNS1_14partition_implILS5_8ELb0ES3_jPlPS6_PKS6_NS0_5tupleIJS9_S6_EEENSD_IJSA_SA_EEENS0_18inequality_wrapperIZN2at6native12_GLOBAL__N_124unique_dim_cuda_templateIN3c104HalfEEESt5tupleIJNSH_6TensorESO_SO_EERKSO_lbbbEUlllE0_EEPmJS6_EEE10hipError_tPvRmT3_T4_T5_T6_T7_T9_mT8_P12ihipStream_tbDpT10_ENKUlT_T0_E_clISt17integral_constantIbLb0EES1E_EEDaS19_S1A_EUlS19_E_NS1_11comp_targetILNS1_3genE0ELNS1_11target_archE4294967295ELNS1_3gpuE0ELNS1_3repE0EEENS1_30default_config_static_selectorELNS0_4arch9wavefront6targetE1EEEvT1_, .Lfunc_end1295-_ZN7rocprim17ROCPRIM_400000_NS6detail17trampoline_kernelINS0_14default_configENS1_25partition_config_selectorILNS1_17partition_subalgoE8ElNS0_10empty_typeEbEEZZNS1_14partition_implILS5_8ELb0ES3_jPlPS6_PKS6_NS0_5tupleIJS9_S6_EEENSD_IJSA_SA_EEENS0_18inequality_wrapperIZN2at6native12_GLOBAL__N_124unique_dim_cuda_templateIN3c104HalfEEESt5tupleIJNSH_6TensorESO_SO_EERKSO_lbbbEUlllE0_EEPmJS6_EEE10hipError_tPvRmT3_T4_T5_T6_T7_T9_mT8_P12ihipStream_tbDpT10_ENKUlT_T0_E_clISt17integral_constantIbLb0EES1E_EEDaS19_S1A_EUlS19_E_NS1_11comp_targetILNS1_3genE0ELNS1_11target_archE4294967295ELNS1_3gpuE0ELNS1_3repE0EEENS1_30default_config_static_selectorELNS0_4arch9wavefront6targetE1EEEvT1_
                                        ; -- End function
	.section	.AMDGPU.csdata,"",@progbits
; Kernel info:
; codeLenInByte = 0
; NumSgprs: 4
; NumVgprs: 0
; NumAgprs: 0
; TotalNumVgprs: 0
; ScratchSize: 0
; MemoryBound: 0
; FloatMode: 240
; IeeeMode: 1
; LDSByteSize: 0 bytes/workgroup (compile time only)
; SGPRBlocks: 0
; VGPRBlocks: 0
; NumSGPRsForWavesPerEU: 4
; NumVGPRsForWavesPerEU: 1
; AccumOffset: 4
; Occupancy: 8
; WaveLimiterHint : 0
; COMPUTE_PGM_RSRC2:SCRATCH_EN: 0
; COMPUTE_PGM_RSRC2:USER_SGPR: 6
; COMPUTE_PGM_RSRC2:TRAP_HANDLER: 0
; COMPUTE_PGM_RSRC2:TGID_X_EN: 1
; COMPUTE_PGM_RSRC2:TGID_Y_EN: 0
; COMPUTE_PGM_RSRC2:TGID_Z_EN: 0
; COMPUTE_PGM_RSRC2:TIDIG_COMP_CNT: 0
; COMPUTE_PGM_RSRC3_GFX90A:ACCUM_OFFSET: 0
; COMPUTE_PGM_RSRC3_GFX90A:TG_SPLIT: 0
	.section	.text._ZN7rocprim17ROCPRIM_400000_NS6detail17trampoline_kernelINS0_14default_configENS1_25partition_config_selectorILNS1_17partition_subalgoE8ElNS0_10empty_typeEbEEZZNS1_14partition_implILS5_8ELb0ES3_jPlPS6_PKS6_NS0_5tupleIJS9_S6_EEENSD_IJSA_SA_EEENS0_18inequality_wrapperIZN2at6native12_GLOBAL__N_124unique_dim_cuda_templateIN3c104HalfEEESt5tupleIJNSH_6TensorESO_SO_EERKSO_lbbbEUlllE0_EEPmJS6_EEE10hipError_tPvRmT3_T4_T5_T6_T7_T9_mT8_P12ihipStream_tbDpT10_ENKUlT_T0_E_clISt17integral_constantIbLb0EES1E_EEDaS19_S1A_EUlS19_E_NS1_11comp_targetILNS1_3genE5ELNS1_11target_archE942ELNS1_3gpuE9ELNS1_3repE0EEENS1_30default_config_static_selectorELNS0_4arch9wavefront6targetE1EEEvT1_,"axG",@progbits,_ZN7rocprim17ROCPRIM_400000_NS6detail17trampoline_kernelINS0_14default_configENS1_25partition_config_selectorILNS1_17partition_subalgoE8ElNS0_10empty_typeEbEEZZNS1_14partition_implILS5_8ELb0ES3_jPlPS6_PKS6_NS0_5tupleIJS9_S6_EEENSD_IJSA_SA_EEENS0_18inequality_wrapperIZN2at6native12_GLOBAL__N_124unique_dim_cuda_templateIN3c104HalfEEESt5tupleIJNSH_6TensorESO_SO_EERKSO_lbbbEUlllE0_EEPmJS6_EEE10hipError_tPvRmT3_T4_T5_T6_T7_T9_mT8_P12ihipStream_tbDpT10_ENKUlT_T0_E_clISt17integral_constantIbLb0EES1E_EEDaS19_S1A_EUlS19_E_NS1_11comp_targetILNS1_3genE5ELNS1_11target_archE942ELNS1_3gpuE9ELNS1_3repE0EEENS1_30default_config_static_selectorELNS0_4arch9wavefront6targetE1EEEvT1_,comdat
	.globl	_ZN7rocprim17ROCPRIM_400000_NS6detail17trampoline_kernelINS0_14default_configENS1_25partition_config_selectorILNS1_17partition_subalgoE8ElNS0_10empty_typeEbEEZZNS1_14partition_implILS5_8ELb0ES3_jPlPS6_PKS6_NS0_5tupleIJS9_S6_EEENSD_IJSA_SA_EEENS0_18inequality_wrapperIZN2at6native12_GLOBAL__N_124unique_dim_cuda_templateIN3c104HalfEEESt5tupleIJNSH_6TensorESO_SO_EERKSO_lbbbEUlllE0_EEPmJS6_EEE10hipError_tPvRmT3_T4_T5_T6_T7_T9_mT8_P12ihipStream_tbDpT10_ENKUlT_T0_E_clISt17integral_constantIbLb0EES1E_EEDaS19_S1A_EUlS19_E_NS1_11comp_targetILNS1_3genE5ELNS1_11target_archE942ELNS1_3gpuE9ELNS1_3repE0EEENS1_30default_config_static_selectorELNS0_4arch9wavefront6targetE1EEEvT1_ ; -- Begin function _ZN7rocprim17ROCPRIM_400000_NS6detail17trampoline_kernelINS0_14default_configENS1_25partition_config_selectorILNS1_17partition_subalgoE8ElNS0_10empty_typeEbEEZZNS1_14partition_implILS5_8ELb0ES3_jPlPS6_PKS6_NS0_5tupleIJS9_S6_EEENSD_IJSA_SA_EEENS0_18inequality_wrapperIZN2at6native12_GLOBAL__N_124unique_dim_cuda_templateIN3c104HalfEEESt5tupleIJNSH_6TensorESO_SO_EERKSO_lbbbEUlllE0_EEPmJS6_EEE10hipError_tPvRmT3_T4_T5_T6_T7_T9_mT8_P12ihipStream_tbDpT10_ENKUlT_T0_E_clISt17integral_constantIbLb0EES1E_EEDaS19_S1A_EUlS19_E_NS1_11comp_targetILNS1_3genE5ELNS1_11target_archE942ELNS1_3gpuE9ELNS1_3repE0EEENS1_30default_config_static_selectorELNS0_4arch9wavefront6targetE1EEEvT1_
	.p2align	8
	.type	_ZN7rocprim17ROCPRIM_400000_NS6detail17trampoline_kernelINS0_14default_configENS1_25partition_config_selectorILNS1_17partition_subalgoE8ElNS0_10empty_typeEbEEZZNS1_14partition_implILS5_8ELb0ES3_jPlPS6_PKS6_NS0_5tupleIJS9_S6_EEENSD_IJSA_SA_EEENS0_18inequality_wrapperIZN2at6native12_GLOBAL__N_124unique_dim_cuda_templateIN3c104HalfEEESt5tupleIJNSH_6TensorESO_SO_EERKSO_lbbbEUlllE0_EEPmJS6_EEE10hipError_tPvRmT3_T4_T5_T6_T7_T9_mT8_P12ihipStream_tbDpT10_ENKUlT_T0_E_clISt17integral_constantIbLb0EES1E_EEDaS19_S1A_EUlS19_E_NS1_11comp_targetILNS1_3genE5ELNS1_11target_archE942ELNS1_3gpuE9ELNS1_3repE0EEENS1_30default_config_static_selectorELNS0_4arch9wavefront6targetE1EEEvT1_,@function
_ZN7rocprim17ROCPRIM_400000_NS6detail17trampoline_kernelINS0_14default_configENS1_25partition_config_selectorILNS1_17partition_subalgoE8ElNS0_10empty_typeEbEEZZNS1_14partition_implILS5_8ELb0ES3_jPlPS6_PKS6_NS0_5tupleIJS9_S6_EEENSD_IJSA_SA_EEENS0_18inequality_wrapperIZN2at6native12_GLOBAL__N_124unique_dim_cuda_templateIN3c104HalfEEESt5tupleIJNSH_6TensorESO_SO_EERKSO_lbbbEUlllE0_EEPmJS6_EEE10hipError_tPvRmT3_T4_T5_T6_T7_T9_mT8_P12ihipStream_tbDpT10_ENKUlT_T0_E_clISt17integral_constantIbLb0EES1E_EEDaS19_S1A_EUlS19_E_NS1_11comp_targetILNS1_3genE5ELNS1_11target_archE942ELNS1_3gpuE9ELNS1_3repE0EEENS1_30default_config_static_selectorELNS0_4arch9wavefront6targetE1EEEvT1_: ; @_ZN7rocprim17ROCPRIM_400000_NS6detail17trampoline_kernelINS0_14default_configENS1_25partition_config_selectorILNS1_17partition_subalgoE8ElNS0_10empty_typeEbEEZZNS1_14partition_implILS5_8ELb0ES3_jPlPS6_PKS6_NS0_5tupleIJS9_S6_EEENSD_IJSA_SA_EEENS0_18inequality_wrapperIZN2at6native12_GLOBAL__N_124unique_dim_cuda_templateIN3c104HalfEEESt5tupleIJNSH_6TensorESO_SO_EERKSO_lbbbEUlllE0_EEPmJS6_EEE10hipError_tPvRmT3_T4_T5_T6_T7_T9_mT8_P12ihipStream_tbDpT10_ENKUlT_T0_E_clISt17integral_constantIbLb0EES1E_EEDaS19_S1A_EUlS19_E_NS1_11comp_targetILNS1_3genE5ELNS1_11target_archE942ELNS1_3gpuE9ELNS1_3repE0EEENS1_30default_config_static_selectorELNS0_4arch9wavefront6targetE1EEEvT1_
; %bb.0:
	.section	.rodata,"a",@progbits
	.p2align	6, 0x0
	.amdhsa_kernel _ZN7rocprim17ROCPRIM_400000_NS6detail17trampoline_kernelINS0_14default_configENS1_25partition_config_selectorILNS1_17partition_subalgoE8ElNS0_10empty_typeEbEEZZNS1_14partition_implILS5_8ELb0ES3_jPlPS6_PKS6_NS0_5tupleIJS9_S6_EEENSD_IJSA_SA_EEENS0_18inequality_wrapperIZN2at6native12_GLOBAL__N_124unique_dim_cuda_templateIN3c104HalfEEESt5tupleIJNSH_6TensorESO_SO_EERKSO_lbbbEUlllE0_EEPmJS6_EEE10hipError_tPvRmT3_T4_T5_T6_T7_T9_mT8_P12ihipStream_tbDpT10_ENKUlT_T0_E_clISt17integral_constantIbLb0EES1E_EEDaS19_S1A_EUlS19_E_NS1_11comp_targetILNS1_3genE5ELNS1_11target_archE942ELNS1_3gpuE9ELNS1_3repE0EEENS1_30default_config_static_selectorELNS0_4arch9wavefront6targetE1EEEvT1_
		.amdhsa_group_segment_fixed_size 0
		.amdhsa_private_segment_fixed_size 0
		.amdhsa_kernarg_size 120
		.amdhsa_user_sgpr_count 6
		.amdhsa_user_sgpr_private_segment_buffer 1
		.amdhsa_user_sgpr_dispatch_ptr 0
		.amdhsa_user_sgpr_queue_ptr 0
		.amdhsa_user_sgpr_kernarg_segment_ptr 1
		.amdhsa_user_sgpr_dispatch_id 0
		.amdhsa_user_sgpr_flat_scratch_init 0
		.amdhsa_user_sgpr_kernarg_preload_length 0
		.amdhsa_user_sgpr_kernarg_preload_offset 0
		.amdhsa_user_sgpr_private_segment_size 0
		.amdhsa_uses_dynamic_stack 0
		.amdhsa_system_sgpr_private_segment_wavefront_offset 0
		.amdhsa_system_sgpr_workgroup_id_x 1
		.amdhsa_system_sgpr_workgroup_id_y 0
		.amdhsa_system_sgpr_workgroup_id_z 0
		.amdhsa_system_sgpr_workgroup_info 0
		.amdhsa_system_vgpr_workitem_id 0
		.amdhsa_next_free_vgpr 1
		.amdhsa_next_free_sgpr 0
		.amdhsa_accum_offset 4
		.amdhsa_reserve_vcc 0
		.amdhsa_reserve_flat_scratch 0
		.amdhsa_float_round_mode_32 0
		.amdhsa_float_round_mode_16_64 0
		.amdhsa_float_denorm_mode_32 3
		.amdhsa_float_denorm_mode_16_64 3
		.amdhsa_dx10_clamp 1
		.amdhsa_ieee_mode 1
		.amdhsa_fp16_overflow 0
		.amdhsa_tg_split 0
		.amdhsa_exception_fp_ieee_invalid_op 0
		.amdhsa_exception_fp_denorm_src 0
		.amdhsa_exception_fp_ieee_div_zero 0
		.amdhsa_exception_fp_ieee_overflow 0
		.amdhsa_exception_fp_ieee_underflow 0
		.amdhsa_exception_fp_ieee_inexact 0
		.amdhsa_exception_int_div_zero 0
	.end_amdhsa_kernel
	.section	.text._ZN7rocprim17ROCPRIM_400000_NS6detail17trampoline_kernelINS0_14default_configENS1_25partition_config_selectorILNS1_17partition_subalgoE8ElNS0_10empty_typeEbEEZZNS1_14partition_implILS5_8ELb0ES3_jPlPS6_PKS6_NS0_5tupleIJS9_S6_EEENSD_IJSA_SA_EEENS0_18inequality_wrapperIZN2at6native12_GLOBAL__N_124unique_dim_cuda_templateIN3c104HalfEEESt5tupleIJNSH_6TensorESO_SO_EERKSO_lbbbEUlllE0_EEPmJS6_EEE10hipError_tPvRmT3_T4_T5_T6_T7_T9_mT8_P12ihipStream_tbDpT10_ENKUlT_T0_E_clISt17integral_constantIbLb0EES1E_EEDaS19_S1A_EUlS19_E_NS1_11comp_targetILNS1_3genE5ELNS1_11target_archE942ELNS1_3gpuE9ELNS1_3repE0EEENS1_30default_config_static_selectorELNS0_4arch9wavefront6targetE1EEEvT1_,"axG",@progbits,_ZN7rocprim17ROCPRIM_400000_NS6detail17trampoline_kernelINS0_14default_configENS1_25partition_config_selectorILNS1_17partition_subalgoE8ElNS0_10empty_typeEbEEZZNS1_14partition_implILS5_8ELb0ES3_jPlPS6_PKS6_NS0_5tupleIJS9_S6_EEENSD_IJSA_SA_EEENS0_18inequality_wrapperIZN2at6native12_GLOBAL__N_124unique_dim_cuda_templateIN3c104HalfEEESt5tupleIJNSH_6TensorESO_SO_EERKSO_lbbbEUlllE0_EEPmJS6_EEE10hipError_tPvRmT3_T4_T5_T6_T7_T9_mT8_P12ihipStream_tbDpT10_ENKUlT_T0_E_clISt17integral_constantIbLb0EES1E_EEDaS19_S1A_EUlS19_E_NS1_11comp_targetILNS1_3genE5ELNS1_11target_archE942ELNS1_3gpuE9ELNS1_3repE0EEENS1_30default_config_static_selectorELNS0_4arch9wavefront6targetE1EEEvT1_,comdat
.Lfunc_end1296:
	.size	_ZN7rocprim17ROCPRIM_400000_NS6detail17trampoline_kernelINS0_14default_configENS1_25partition_config_selectorILNS1_17partition_subalgoE8ElNS0_10empty_typeEbEEZZNS1_14partition_implILS5_8ELb0ES3_jPlPS6_PKS6_NS0_5tupleIJS9_S6_EEENSD_IJSA_SA_EEENS0_18inequality_wrapperIZN2at6native12_GLOBAL__N_124unique_dim_cuda_templateIN3c104HalfEEESt5tupleIJNSH_6TensorESO_SO_EERKSO_lbbbEUlllE0_EEPmJS6_EEE10hipError_tPvRmT3_T4_T5_T6_T7_T9_mT8_P12ihipStream_tbDpT10_ENKUlT_T0_E_clISt17integral_constantIbLb0EES1E_EEDaS19_S1A_EUlS19_E_NS1_11comp_targetILNS1_3genE5ELNS1_11target_archE942ELNS1_3gpuE9ELNS1_3repE0EEENS1_30default_config_static_selectorELNS0_4arch9wavefront6targetE1EEEvT1_, .Lfunc_end1296-_ZN7rocprim17ROCPRIM_400000_NS6detail17trampoline_kernelINS0_14default_configENS1_25partition_config_selectorILNS1_17partition_subalgoE8ElNS0_10empty_typeEbEEZZNS1_14partition_implILS5_8ELb0ES3_jPlPS6_PKS6_NS0_5tupleIJS9_S6_EEENSD_IJSA_SA_EEENS0_18inequality_wrapperIZN2at6native12_GLOBAL__N_124unique_dim_cuda_templateIN3c104HalfEEESt5tupleIJNSH_6TensorESO_SO_EERKSO_lbbbEUlllE0_EEPmJS6_EEE10hipError_tPvRmT3_T4_T5_T6_T7_T9_mT8_P12ihipStream_tbDpT10_ENKUlT_T0_E_clISt17integral_constantIbLb0EES1E_EEDaS19_S1A_EUlS19_E_NS1_11comp_targetILNS1_3genE5ELNS1_11target_archE942ELNS1_3gpuE9ELNS1_3repE0EEENS1_30default_config_static_selectorELNS0_4arch9wavefront6targetE1EEEvT1_
                                        ; -- End function
	.section	.AMDGPU.csdata,"",@progbits
; Kernel info:
; codeLenInByte = 0
; NumSgprs: 4
; NumVgprs: 0
; NumAgprs: 0
; TotalNumVgprs: 0
; ScratchSize: 0
; MemoryBound: 0
; FloatMode: 240
; IeeeMode: 1
; LDSByteSize: 0 bytes/workgroup (compile time only)
; SGPRBlocks: 0
; VGPRBlocks: 0
; NumSGPRsForWavesPerEU: 4
; NumVGPRsForWavesPerEU: 1
; AccumOffset: 4
; Occupancy: 8
; WaveLimiterHint : 0
; COMPUTE_PGM_RSRC2:SCRATCH_EN: 0
; COMPUTE_PGM_RSRC2:USER_SGPR: 6
; COMPUTE_PGM_RSRC2:TRAP_HANDLER: 0
; COMPUTE_PGM_RSRC2:TGID_X_EN: 1
; COMPUTE_PGM_RSRC2:TGID_Y_EN: 0
; COMPUTE_PGM_RSRC2:TGID_Z_EN: 0
; COMPUTE_PGM_RSRC2:TIDIG_COMP_CNT: 0
; COMPUTE_PGM_RSRC3_GFX90A:ACCUM_OFFSET: 0
; COMPUTE_PGM_RSRC3_GFX90A:TG_SPLIT: 0
	.section	.text._ZN7rocprim17ROCPRIM_400000_NS6detail17trampoline_kernelINS0_14default_configENS1_25partition_config_selectorILNS1_17partition_subalgoE8ElNS0_10empty_typeEbEEZZNS1_14partition_implILS5_8ELb0ES3_jPlPS6_PKS6_NS0_5tupleIJS9_S6_EEENSD_IJSA_SA_EEENS0_18inequality_wrapperIZN2at6native12_GLOBAL__N_124unique_dim_cuda_templateIN3c104HalfEEESt5tupleIJNSH_6TensorESO_SO_EERKSO_lbbbEUlllE0_EEPmJS6_EEE10hipError_tPvRmT3_T4_T5_T6_T7_T9_mT8_P12ihipStream_tbDpT10_ENKUlT_T0_E_clISt17integral_constantIbLb0EES1E_EEDaS19_S1A_EUlS19_E_NS1_11comp_targetILNS1_3genE4ELNS1_11target_archE910ELNS1_3gpuE8ELNS1_3repE0EEENS1_30default_config_static_selectorELNS0_4arch9wavefront6targetE1EEEvT1_,"axG",@progbits,_ZN7rocprim17ROCPRIM_400000_NS6detail17trampoline_kernelINS0_14default_configENS1_25partition_config_selectorILNS1_17partition_subalgoE8ElNS0_10empty_typeEbEEZZNS1_14partition_implILS5_8ELb0ES3_jPlPS6_PKS6_NS0_5tupleIJS9_S6_EEENSD_IJSA_SA_EEENS0_18inequality_wrapperIZN2at6native12_GLOBAL__N_124unique_dim_cuda_templateIN3c104HalfEEESt5tupleIJNSH_6TensorESO_SO_EERKSO_lbbbEUlllE0_EEPmJS6_EEE10hipError_tPvRmT3_T4_T5_T6_T7_T9_mT8_P12ihipStream_tbDpT10_ENKUlT_T0_E_clISt17integral_constantIbLb0EES1E_EEDaS19_S1A_EUlS19_E_NS1_11comp_targetILNS1_3genE4ELNS1_11target_archE910ELNS1_3gpuE8ELNS1_3repE0EEENS1_30default_config_static_selectorELNS0_4arch9wavefront6targetE1EEEvT1_,comdat
	.globl	_ZN7rocprim17ROCPRIM_400000_NS6detail17trampoline_kernelINS0_14default_configENS1_25partition_config_selectorILNS1_17partition_subalgoE8ElNS0_10empty_typeEbEEZZNS1_14partition_implILS5_8ELb0ES3_jPlPS6_PKS6_NS0_5tupleIJS9_S6_EEENSD_IJSA_SA_EEENS0_18inequality_wrapperIZN2at6native12_GLOBAL__N_124unique_dim_cuda_templateIN3c104HalfEEESt5tupleIJNSH_6TensorESO_SO_EERKSO_lbbbEUlllE0_EEPmJS6_EEE10hipError_tPvRmT3_T4_T5_T6_T7_T9_mT8_P12ihipStream_tbDpT10_ENKUlT_T0_E_clISt17integral_constantIbLb0EES1E_EEDaS19_S1A_EUlS19_E_NS1_11comp_targetILNS1_3genE4ELNS1_11target_archE910ELNS1_3gpuE8ELNS1_3repE0EEENS1_30default_config_static_selectorELNS0_4arch9wavefront6targetE1EEEvT1_ ; -- Begin function _ZN7rocprim17ROCPRIM_400000_NS6detail17trampoline_kernelINS0_14default_configENS1_25partition_config_selectorILNS1_17partition_subalgoE8ElNS0_10empty_typeEbEEZZNS1_14partition_implILS5_8ELb0ES3_jPlPS6_PKS6_NS0_5tupleIJS9_S6_EEENSD_IJSA_SA_EEENS0_18inequality_wrapperIZN2at6native12_GLOBAL__N_124unique_dim_cuda_templateIN3c104HalfEEESt5tupleIJNSH_6TensorESO_SO_EERKSO_lbbbEUlllE0_EEPmJS6_EEE10hipError_tPvRmT3_T4_T5_T6_T7_T9_mT8_P12ihipStream_tbDpT10_ENKUlT_T0_E_clISt17integral_constantIbLb0EES1E_EEDaS19_S1A_EUlS19_E_NS1_11comp_targetILNS1_3genE4ELNS1_11target_archE910ELNS1_3gpuE8ELNS1_3repE0EEENS1_30default_config_static_selectorELNS0_4arch9wavefront6targetE1EEEvT1_
	.p2align	8
	.type	_ZN7rocprim17ROCPRIM_400000_NS6detail17trampoline_kernelINS0_14default_configENS1_25partition_config_selectorILNS1_17partition_subalgoE8ElNS0_10empty_typeEbEEZZNS1_14partition_implILS5_8ELb0ES3_jPlPS6_PKS6_NS0_5tupleIJS9_S6_EEENSD_IJSA_SA_EEENS0_18inequality_wrapperIZN2at6native12_GLOBAL__N_124unique_dim_cuda_templateIN3c104HalfEEESt5tupleIJNSH_6TensorESO_SO_EERKSO_lbbbEUlllE0_EEPmJS6_EEE10hipError_tPvRmT3_T4_T5_T6_T7_T9_mT8_P12ihipStream_tbDpT10_ENKUlT_T0_E_clISt17integral_constantIbLb0EES1E_EEDaS19_S1A_EUlS19_E_NS1_11comp_targetILNS1_3genE4ELNS1_11target_archE910ELNS1_3gpuE8ELNS1_3repE0EEENS1_30default_config_static_selectorELNS0_4arch9wavefront6targetE1EEEvT1_,@function
_ZN7rocprim17ROCPRIM_400000_NS6detail17trampoline_kernelINS0_14default_configENS1_25partition_config_selectorILNS1_17partition_subalgoE8ElNS0_10empty_typeEbEEZZNS1_14partition_implILS5_8ELb0ES3_jPlPS6_PKS6_NS0_5tupleIJS9_S6_EEENSD_IJSA_SA_EEENS0_18inequality_wrapperIZN2at6native12_GLOBAL__N_124unique_dim_cuda_templateIN3c104HalfEEESt5tupleIJNSH_6TensorESO_SO_EERKSO_lbbbEUlllE0_EEPmJS6_EEE10hipError_tPvRmT3_T4_T5_T6_T7_T9_mT8_P12ihipStream_tbDpT10_ENKUlT_T0_E_clISt17integral_constantIbLb0EES1E_EEDaS19_S1A_EUlS19_E_NS1_11comp_targetILNS1_3genE4ELNS1_11target_archE910ELNS1_3gpuE8ELNS1_3repE0EEENS1_30default_config_static_selectorELNS0_4arch9wavefront6targetE1EEEvT1_: ; @_ZN7rocprim17ROCPRIM_400000_NS6detail17trampoline_kernelINS0_14default_configENS1_25partition_config_selectorILNS1_17partition_subalgoE8ElNS0_10empty_typeEbEEZZNS1_14partition_implILS5_8ELb0ES3_jPlPS6_PKS6_NS0_5tupleIJS9_S6_EEENSD_IJSA_SA_EEENS0_18inequality_wrapperIZN2at6native12_GLOBAL__N_124unique_dim_cuda_templateIN3c104HalfEEESt5tupleIJNSH_6TensorESO_SO_EERKSO_lbbbEUlllE0_EEPmJS6_EEE10hipError_tPvRmT3_T4_T5_T6_T7_T9_mT8_P12ihipStream_tbDpT10_ENKUlT_T0_E_clISt17integral_constantIbLb0EES1E_EEDaS19_S1A_EUlS19_E_NS1_11comp_targetILNS1_3genE4ELNS1_11target_archE910ELNS1_3gpuE8ELNS1_3repE0EEENS1_30default_config_static_selectorELNS0_4arch9wavefront6targetE1EEEvT1_
; %bb.0:
	s_load_dwordx8 s[20:27], s[4:5], 0x40
	s_load_dwordx4 s[0:3], s[4:5], 0x8
	s_load_dwordx4 s[28:31], s[4:5], 0x60
	s_load_dword s7, s[4:5], 0x70
	s_waitcnt lgkmcnt(0)
	v_mov_b32_e32 v2, s24
	s_lshl_b64 s[8:9], s[2:3], 3
	s_add_u32 s12, s0, s8
	s_mul_i32 s8, s7, 0x500
	s_addc_u32 s13, s1, s9
	s_add_i32 s1, s8, s2
	s_add_i32 s10, s7, -1
	s_sub_i32 s7, s24, s1
	s_add_u32 s8, s2, s8
	s_addc_u32 s9, s3, 0
	v_mov_b32_e32 v3, s25
	s_cmp_eq_u32 s6, s10
	s_load_dwordx2 s[22:23], s[22:23], 0x0
	v_cmp_ge_u64_e32 vcc, s[8:9], v[2:3]
	s_cselect_b64 s[24:25], -1, 0
	s_mul_i32 s0, s6, 0x500
	s_mov_b32 s1, 0
	s_and_b64 s[10:11], s[24:25], vcc
	s_xor_b64 s[34:35], s[10:11], -1
	s_lshl_b64 s[0:1], s[0:1], 3
	s_add_u32 s0, s12, s0
	s_mov_b64 s[8:9], -1
	s_addc_u32 s1, s13, s1
	s_and_b64 vcc, exec, s[34:35]
	s_cbranch_vccz .LBB1297_2
; %bb.1:
	v_lshlrev_b32_e32 v1, 3, v0
	v_mov_b32_e32 v2, s1
	v_add_co_u32_e32 v12, vcc, s0, v1
	v_addc_co_u32_e32 v13, vcc, 0, v2, vcc
	v_add_co_u32_e32 v2, vcc, 0x1000, v12
	v_addc_co_u32_e32 v3, vcc, 0, v13, vcc
	global_load_dwordx2 v[4:5], v1, s[0:1]
	global_load_dwordx2 v[6:7], v1, s[0:1] offset:2048
	global_load_dwordx2 v[8:9], v[2:3], off
	global_load_dwordx2 v[10:11], v[2:3], off offset:2048
	v_add_co_u32_e32 v2, vcc, 0x2000, v12
	v_addc_co_u32_e32 v3, vcc, 0, v13, vcc
	global_load_dwordx2 v[2:3], v[2:3], off
	s_mov_b64 s[8:9], 0
	s_waitcnt vmcnt(3)
	ds_write2st64_b64 v1, v[4:5], v[6:7] offset1:4
	s_waitcnt vmcnt(1)
	ds_write2st64_b64 v1, v[8:9], v[10:11] offset0:8 offset1:12
	s_waitcnt vmcnt(0)
	ds_write_b64 v1, v[2:3] offset:8192
	s_waitcnt lgkmcnt(0)
	s_barrier
.LBB1297_2:
	s_andn2_b64 vcc, exec, s[8:9]
	s_addk_i32 s7, 0x500
	s_cbranch_vccnz .LBB1297_14
; %bb.3:
	v_cmp_gt_u32_e32 vcc, s7, v0
                                        ; implicit-def: $vgpr2_vgpr3_vgpr4_vgpr5_vgpr6_vgpr7_vgpr8_vgpr9_vgpr10_vgpr11_vgpr12_vgpr13_vgpr14_vgpr15_vgpr16_vgpr17
	s_and_saveexec_b64 s[8:9], vcc
	s_cbranch_execz .LBB1297_5
; %bb.4:
	v_lshlrev_b32_e32 v1, 3, v0
	global_load_dwordx2 v[2:3], v1, s[0:1]
.LBB1297_5:
	s_or_b64 exec, exec, s[8:9]
	v_or_b32_e32 v1, 0x100, v0
	v_cmp_gt_u32_e32 vcc, s7, v1
	s_and_saveexec_b64 s[8:9], vcc
	s_cbranch_execz .LBB1297_7
; %bb.6:
	v_lshlrev_b32_e32 v1, 3, v0
	global_load_dwordx2 v[4:5], v1, s[0:1] offset:2048
.LBB1297_7:
	s_or_b64 exec, exec, s[8:9]
	v_or_b32_e32 v1, 0x200, v0
	v_cmp_gt_u32_e32 vcc, s7, v1
	s_and_saveexec_b64 s[8:9], vcc
	s_cbranch_execz .LBB1297_9
; %bb.8:
	v_lshlrev_b32_e32 v1, 3, v1
	global_load_dwordx2 v[6:7], v1, s[0:1]
.LBB1297_9:
	s_or_b64 exec, exec, s[8:9]
	v_or_b32_e32 v1, 0x300, v0
	v_cmp_gt_u32_e32 vcc, s7, v1
	s_and_saveexec_b64 s[8:9], vcc
	s_cbranch_execz .LBB1297_11
; %bb.10:
	v_lshlrev_b32_e32 v1, 3, v1
	global_load_dwordx2 v[8:9], v1, s[0:1]
.LBB1297_11:
	;; [unrolled: 9-line block ×3, first 2 shown]
	s_or_b64 exec, exec, s[8:9]
	v_lshlrev_b32_e32 v1, 3, v0
	s_waitcnt vmcnt(0)
	ds_write2st64_b64 v1, v[2:3], v[4:5] offset1:4
	ds_write2st64_b64 v1, v[6:7], v[8:9] offset0:8 offset1:12
	ds_write_b64 v1, v[10:11] offset:8192
	s_waitcnt lgkmcnt(0)
	s_barrier
.LBB1297_14:
	v_mul_u32_u24_e32 v1, 5, v0
	v_lshlrev_b32_e32 v20, 3, v1
	s_waitcnt lgkmcnt(0)
	ds_read2_b64 v[6:9], v20 offset1:1
	ds_read2_b64 v[2:5], v20 offset0:2 offset1:3
	ds_read_b64 v[10:11], v20 offset:32
	s_cmp_lg_u32 s6, 0
	s_cselect_b64 s[16:17], -1, 0
	s_cmp_lg_u64 s[2:3], 0
	s_cselect_b64 s[2:3], -1, 0
	s_or_b64 s[2:3], s[16:17], s[2:3]
	v_mad_u32_u24 v24, v0, 5, 1
	v_mad_u32_u24 v22, v0, 5, 2
	;; [unrolled: 1-line block ×4, first 2 shown]
	s_mov_b64 s[12:13], 0
	s_and_b64 vcc, exec, s[2:3]
	v_cmp_gt_i64_e64 s[2:3], s[26:27], 0
	s_waitcnt lgkmcnt(0)
	s_barrier
	s_cbranch_vccz .LBB1297_23
; %bb.15:
	s_add_u32 s0, s0, -8
	s_addc_u32 s1, s1, -1
	s_load_dwordx2 s[12:13], s[0:1], 0x0
	v_cndmask_b32_e64 v12, 0, 1, s[2:3]
	v_lshlrev_b32_e32 v21, 3, v0
	s_mov_b64 s[14:15], 0
	s_and_b64 vcc, exec, s[34:35]
	v_cmp_ne_u32_e64 s[0:1], 1, v12
	ds_write_b64 v21, v[10:11]
	s_cbranch_vccz .LBB1297_24
; %bb.16:
	v_mul_lo_u32 v14, v5, s26
	v_mul_lo_u32 v15, v4, s27
	v_mad_u64_u32 v[12:13], s[2:3], v4, s26, 0
	v_add3_u32 v13, v13, v15, v14
	s_and_b64 vcc, exec, s[0:1]
	v_lshlrev_b64 v[12:13], 1, v[12:13]
	s_cbranch_vccnz .LBB1297_27
; %bb.17:
	v_mul_lo_u32 v16, v11, s26
	v_mul_lo_u32 v17, v10, s27
	v_mad_u64_u32 v[14:15], s[2:3], v10, s26, 0
	v_add3_u32 v15, v15, v17, v16
	v_mov_b32_e32 v17, s29
	v_add_co_u32_e32 v16, vcc, s28, v12
	v_addc_co_u32_e64 v17, s[2:3], v17, v13, vcc
	v_lshlrev_b64 v[14:15], 1, v[14:15]
	v_mov_b32_e32 v19, s29
	v_add_co_u32_e64 v18, s[2:3], s28, v14
	v_addc_co_u32_e64 v19, s[8:9], v19, v15, s[2:3]
	global_load_ushort v14, v[16:17], off
	global_load_ushort v26, v[18:19], off
	s_mov_b64 s[14:15], -1
	s_waitcnt vmcnt(0)
	v_cmp_eq_f16_e64 s[8:9], v14, v26
	s_and_saveexec_b64 s[18:19], s[8:9]
	s_cbranch_execz .LBB1297_26
; %bb.18:
	v_mov_b32_e32 v14, s29
	v_addc_co_u32_e64 v15, s[2:3], v15, v14, s[2:3]
	v_add_co_u32_e64 v14, s[2:3], 2, v18
	v_mov_b32_e32 v17, s29
	v_addc_co_u32_e64 v15, s[2:3], 0, v15, s[2:3]
	v_addc_co_u32_e32 v17, vcc, v13, v17, vcc
	v_add_co_u32_e32 v16, vcc, 2, v16
	s_add_u32 s2, s26, -1
	v_addc_co_u32_e32 v17, vcc, 0, v17, vcc
	s_addc_u32 s3, s27, -1
	s_mov_b64 s[8:9], 0
	s_mov_b64 s[36:37], 0
                                        ; implicit-def: $sgpr14_sgpr15
	s_branch .LBB1297_21
.LBB1297_19:                            ;   in Loop: Header=BB1297_21 Depth=1
	global_load_ushort v18, v[16:17], off
	global_load_ushort v19, v[14:15], off
	v_add_co_u32_e32 v14, vcc, 2, v14
	v_addc_co_u32_e32 v15, vcc, 0, v15, vcc
	v_add_co_u32_e32 v16, vcc, 2, v16
	v_addc_co_u32_e32 v17, vcc, 0, v17, vcc
	s_add_u32 s36, s36, 1
	s_addc_u32 s37, s37, 0
	s_andn2_b64 s[14:15], s[14:15], exec
	s_waitcnt vmcnt(0)
	v_cmp_neq_f16_e32 vcc, v18, v19
	s_and_b64 s[38:39], vcc, exec
	s_or_b64 s[14:15], s[14:15], s[38:39]
.LBB1297_20:                            ;   in Loop: Header=BB1297_21 Depth=1
	s_and_b64 s[38:39], exec, s[14:15]
	s_or_b64 s[8:9], s[38:39], s[8:9]
	v_pk_mov_b32 v[18:19], s[36:37], s[36:37] op_sel:[0,1]
	s_andn2_b64 exec, exec, s[8:9]
	s_cbranch_execz .LBB1297_25
.LBB1297_21:                            ; =>This Inner Loop Header: Depth=1
	s_or_b64 s[14:15], s[14:15], exec
	s_cmp_eq_u64 s[2:3], s[36:37]
	s_cbranch_scc0 .LBB1297_19
; %bb.22:                               ;   in Loop: Header=BB1297_21 Depth=1
                                        ; implicit-def: $vgpr14_vgpr15
                                        ; implicit-def: $vgpr16_vgpr17
	s_mov_b64 s[36:37], s[26:27]
	s_branch .LBB1297_20
.LBB1297_23:
                                        ; implicit-def: $sgpr18_sgpr19
                                        ; implicit-def: $vgpr13
                                        ; implicit-def: $vgpr16
	s_branch .LBB1297_125
.LBB1297_24:
                                        ; implicit-def: $sgpr18_sgpr19
                                        ; implicit-def: $vgpr13
                                        ; implicit-def: $vgpr16
	s_cbranch_execnz .LBB1297_66
	s_branch .LBB1297_124
.LBB1297_25:
	s_or_b64 exec, exec, s[8:9]
	v_cmp_gt_i64_e32 vcc, s[26:27], v[18:19]
	s_orn2_b64 s[14:15], vcc, exec
.LBB1297_26:
	s_or_b64 exec, exec, s[18:19]
.LBB1297_27:
	v_mul_lo_u32 v16, v3, s26
	v_mul_lo_u32 v17, v2, s27
	v_mad_u64_u32 v[14:15], s[2:3], v2, s26, 0
	v_add3_u32 v15, v15, v17, v16
	s_mov_b64 s[18:19], 0
	s_and_b64 vcc, exec, s[0:1]
	v_lshlrev_b64 v[16:17], 1, v[14:15]
	s_mov_b64 s[36:37], 0
	s_cbranch_vccnz .LBB1297_36
; %bb.28:
	v_mov_b32_e32 v15, s29
	v_add_co_u32_e32 v14, vcc, s28, v16
	v_addc_co_u32_e64 v15, s[2:3], v15, v17, vcc
	v_mov_b32_e32 v19, s29
	v_add_co_u32_e64 v18, s[2:3], s28, v12
	v_addc_co_u32_e64 v19, s[8:9], v19, v13, s[2:3]
	global_load_ushort v12, v[14:15], off
	global_load_ushort v26, v[18:19], off
	s_mov_b64 s[36:37], -1
	s_waitcnt vmcnt(0)
	v_cmp_eq_f16_e64 s[8:9], v12, v26
	s_and_saveexec_b64 s[38:39], s[8:9]
	s_cbranch_execz .LBB1297_35
; %bb.29:
	v_mov_b32_e32 v12, s29
	v_addc_co_u32_e64 v13, s[2:3], v13, v12, s[2:3]
	v_add_co_u32_e64 v12, s[2:3], 2, v18
	v_mov_b32_e32 v15, s29
	v_addc_co_u32_e64 v13, s[2:3], 0, v13, s[2:3]
	v_addc_co_u32_e32 v15, vcc, v17, v15, vcc
	v_add_co_u32_e32 v14, vcc, 2, v14
	s_add_u32 s2, s26, -1
	v_addc_co_u32_e32 v15, vcc, 0, v15, vcc
	s_addc_u32 s3, s27, -1
	s_mov_b64 s[8:9], 0
	s_mov_b64 s[40:41], 0
                                        ; implicit-def: $sgpr36_sgpr37
	s_branch .LBB1297_32
.LBB1297_30:                            ;   in Loop: Header=BB1297_32 Depth=1
	global_load_ushort v18, v[14:15], off
	global_load_ushort v19, v[12:13], off
	v_add_co_u32_e32 v12, vcc, 2, v12
	v_addc_co_u32_e32 v13, vcc, 0, v13, vcc
	v_add_co_u32_e32 v14, vcc, 2, v14
	v_addc_co_u32_e32 v15, vcc, 0, v15, vcc
	s_add_u32 s40, s40, 1
	s_addc_u32 s41, s41, 0
	s_andn2_b64 s[36:37], s[36:37], exec
	s_waitcnt vmcnt(0)
	v_cmp_neq_f16_e32 vcc, v18, v19
	s_and_b64 s[42:43], vcc, exec
	s_or_b64 s[36:37], s[36:37], s[42:43]
.LBB1297_31:                            ;   in Loop: Header=BB1297_32 Depth=1
	s_and_b64 s[42:43], exec, s[36:37]
	s_or_b64 s[8:9], s[42:43], s[8:9]
	v_pk_mov_b32 v[18:19], s[40:41], s[40:41] op_sel:[0,1]
	s_andn2_b64 exec, exec, s[8:9]
	s_cbranch_execz .LBB1297_34
.LBB1297_32:                            ; =>This Inner Loop Header: Depth=1
	s_or_b64 s[36:37], s[36:37], exec
	s_cmp_eq_u64 s[2:3], s[40:41]
	s_cbranch_scc0 .LBB1297_30
; %bb.33:                               ;   in Loop: Header=BB1297_32 Depth=1
                                        ; implicit-def: $vgpr12_vgpr13
                                        ; implicit-def: $vgpr14_vgpr15
	s_mov_b64 s[40:41], s[26:27]
	s_branch .LBB1297_31
.LBB1297_34:
	s_or_b64 exec, exec, s[8:9]
	v_cmp_gt_i64_e32 vcc, s[26:27], v[18:19]
	s_orn2_b64 s[36:37], vcc, exec
.LBB1297_35:
	s_or_b64 exec, exec, s[38:39]
.LBB1297_36:
	v_mul_lo_u32 v14, v9, s26
	v_mul_lo_u32 v15, v8, s27
	v_mad_u64_u32 v[12:13], s[2:3], v8, s26, 0
	v_add3_u32 v13, v13, v15, v14
	s_and_b64 vcc, exec, s[0:1]
	v_lshlrev_b64 v[14:15], 1, v[12:13]
	s_cbranch_vccnz .LBB1297_45
; %bb.37:
	v_mov_b32_e32 v12, s29
	v_add_co_u32_e32 v18, vcc, s28, v14
	v_addc_co_u32_e64 v19, s[2:3], v12, v15, vcc
	v_mov_b32_e32 v13, s29
	v_add_co_u32_e64 v12, s[2:3], s28, v16
	v_addc_co_u32_e64 v13, s[8:9], v13, v17, s[2:3]
	global_load_ushort v16, v[18:19], off
	global_load_ushort v26, v[12:13], off
	s_mov_b64 s[18:19], -1
	s_waitcnt vmcnt(0)
	v_cmp_eq_f16_e64 s[8:9], v16, v26
	s_and_saveexec_b64 s[38:39], s[8:9]
	s_cbranch_execz .LBB1297_44
; %bb.38:
	v_mov_b32_e32 v13, s29
	v_addc_co_u32_e64 v13, s[2:3], v17, v13, s[2:3]
	v_add_co_u32_e64 v12, s[2:3], 2, v12
	v_mov_b32_e32 v16, s29
	v_addc_co_u32_e64 v13, s[2:3], 0, v13, s[2:3]
	v_addc_co_u32_e32 v17, vcc, v15, v16, vcc
	v_add_co_u32_e32 v16, vcc, 2, v18
	s_add_u32 s2, s26, -1
	v_addc_co_u32_e32 v17, vcc, 0, v17, vcc
	s_addc_u32 s3, s27, -1
	s_mov_b64 s[8:9], 0
	s_mov_b64 s[40:41], 0
                                        ; implicit-def: $sgpr18_sgpr19
	s_branch .LBB1297_41
.LBB1297_39:                            ;   in Loop: Header=BB1297_41 Depth=1
	global_load_ushort v18, v[16:17], off
	global_load_ushort v19, v[12:13], off
	v_add_co_u32_e32 v12, vcc, 2, v12
	v_addc_co_u32_e32 v13, vcc, 0, v13, vcc
	v_add_co_u32_e32 v16, vcc, 2, v16
	v_addc_co_u32_e32 v17, vcc, 0, v17, vcc
	s_add_u32 s40, s40, 1
	s_addc_u32 s41, s41, 0
	s_andn2_b64 s[18:19], s[18:19], exec
	s_waitcnt vmcnt(0)
	v_cmp_neq_f16_e32 vcc, v18, v19
	s_and_b64 s[42:43], vcc, exec
	s_or_b64 s[18:19], s[18:19], s[42:43]
.LBB1297_40:                            ;   in Loop: Header=BB1297_41 Depth=1
	s_and_b64 s[42:43], exec, s[18:19]
	s_or_b64 s[8:9], s[42:43], s[8:9]
	v_pk_mov_b32 v[18:19], s[40:41], s[40:41] op_sel:[0,1]
	s_andn2_b64 exec, exec, s[8:9]
	s_cbranch_execz .LBB1297_43
.LBB1297_41:                            ; =>This Inner Loop Header: Depth=1
	s_or_b64 s[18:19], s[18:19], exec
	s_cmp_eq_u64 s[2:3], s[40:41]
	s_cbranch_scc0 .LBB1297_39
; %bb.42:                               ;   in Loop: Header=BB1297_41 Depth=1
                                        ; implicit-def: $vgpr12_vgpr13
                                        ; implicit-def: $vgpr16_vgpr17
	s_mov_b64 s[40:41], s[26:27]
	s_branch .LBB1297_40
.LBB1297_43:
	s_or_b64 exec, exec, s[8:9]
	v_cmp_gt_i64_e32 vcc, s[26:27], v[18:19]
	s_orn2_b64 s[18:19], vcc, exec
.LBB1297_44:
	s_or_b64 exec, exec, s[38:39]
.LBB1297_45:
	v_mul_lo_u32 v16, v7, s26
	v_mul_lo_u32 v17, v6, s27
	v_mad_u64_u32 v[12:13], s[2:3], v6, s26, 0
	v_add3_u32 v13, v13, v17, v16
	s_mov_b64 s[40:41], 0
	s_and_b64 vcc, exec, s[0:1]
	v_lshlrev_b64 v[12:13], 1, v[12:13]
	s_cbranch_vccnz .LBB1297_54
; %bb.46:
	v_mov_b32_e32 v17, s29
	v_add_co_u32_e32 v16, vcc, s28, v12
	v_addc_co_u32_e64 v17, s[2:3], v17, v13, vcc
	v_mov_b32_e32 v19, s29
	v_add_co_u32_e64 v18, s[2:3], s28, v14
	v_addc_co_u32_e64 v19, s[8:9], v19, v15, s[2:3]
	global_load_ushort v14, v[16:17], off
	global_load_ushort v26, v[18:19], off
	s_mov_b64 s[40:41], -1
	s_waitcnt vmcnt(0)
	v_cmp_eq_f16_e64 s[8:9], v14, v26
	s_and_saveexec_b64 s[38:39], s[8:9]
	s_cbranch_execz .LBB1297_53
; %bb.47:
	v_mov_b32_e32 v14, s29
	v_addc_co_u32_e64 v15, s[2:3], v15, v14, s[2:3]
	v_add_co_u32_e64 v14, s[2:3], 2, v18
	v_mov_b32_e32 v17, s29
	v_addc_co_u32_e64 v15, s[2:3], 0, v15, s[2:3]
	v_addc_co_u32_e32 v17, vcc, v13, v17, vcc
	v_add_co_u32_e32 v16, vcc, 2, v16
	s_add_u32 s2, s26, -1
	v_addc_co_u32_e32 v17, vcc, 0, v17, vcc
	s_addc_u32 s3, s27, -1
	s_mov_b64 s[8:9], 0
	s_mov_b64 s[42:43], 0
                                        ; implicit-def: $sgpr40_sgpr41
	s_branch .LBB1297_50
.LBB1297_48:                            ;   in Loop: Header=BB1297_50 Depth=1
	global_load_ushort v18, v[16:17], off
	global_load_ushort v19, v[14:15], off
	v_add_co_u32_e32 v14, vcc, 2, v14
	v_addc_co_u32_e32 v15, vcc, 0, v15, vcc
	v_add_co_u32_e32 v16, vcc, 2, v16
	v_addc_co_u32_e32 v17, vcc, 0, v17, vcc
	s_add_u32 s42, s42, 1
	s_addc_u32 s43, s43, 0
	s_andn2_b64 s[40:41], s[40:41], exec
	s_waitcnt vmcnt(0)
	v_cmp_neq_f16_e32 vcc, v18, v19
	s_and_b64 s[44:45], vcc, exec
	s_or_b64 s[40:41], s[40:41], s[44:45]
.LBB1297_49:                            ;   in Loop: Header=BB1297_50 Depth=1
	s_and_b64 s[44:45], exec, s[40:41]
	s_or_b64 s[8:9], s[44:45], s[8:9]
	v_pk_mov_b32 v[18:19], s[42:43], s[42:43] op_sel:[0,1]
	s_andn2_b64 exec, exec, s[8:9]
	s_cbranch_execz .LBB1297_52
.LBB1297_50:                            ; =>This Inner Loop Header: Depth=1
	s_or_b64 s[40:41], s[40:41], exec
	s_cmp_eq_u64 s[2:3], s[42:43]
	s_cbranch_scc0 .LBB1297_48
; %bb.51:                               ;   in Loop: Header=BB1297_50 Depth=1
                                        ; implicit-def: $vgpr14_vgpr15
                                        ; implicit-def: $vgpr16_vgpr17
	s_mov_b64 s[42:43], s[26:27]
	s_branch .LBB1297_49
.LBB1297_52:
	s_or_b64 exec, exec, s[8:9]
	v_cmp_gt_i64_e32 vcc, s[26:27], v[18:19]
	s_orn2_b64 s[40:41], vcc, exec
.LBB1297_53:
	s_or_b64 exec, exec, s[38:39]
.LBB1297_54:
	v_cmp_ne_u32_e32 vcc, 0, v0
	s_waitcnt lgkmcnt(0)
	v_pk_mov_b32 v[14:15], s[12:13], s[12:13] op_sel:[0,1]
	s_barrier
	s_and_saveexec_b64 s[2:3], vcc
	s_cbranch_execz .LBB1297_56
; %bb.55:
	v_add_u32_e32 v14, -8, v21
	ds_read_b64 v[14:15], v14
.LBB1297_56:
	s_or_b64 exec, exec, s[2:3]
	v_cndmask_b32_e64 v17, 0, 1, s[36:37]
	v_cndmask_b32_e64 v16, 0, 1, s[18:19]
	;; [unrolled: 1-line block ×3, first 2 shown]
	v_lshlrev_b16_e32 v17, 8, v17
	v_lshlrev_b16_e32 v26, 8, v18
	v_or_b32_sdwa v27, v16, v17 dst_sel:WORD_1 dst_unused:UNUSED_PAD src0_sel:DWORD src1_sel:DWORD
	s_mov_b64 s[36:37], 0
	s_and_b64 vcc, exec, s[0:1]
	s_mov_b64 s[18:19], 0
	s_cbranch_vccnz .LBB1297_65
; %bb.57:
	s_waitcnt lgkmcnt(0)
	v_mul_lo_u32 v16, v15, s26
	v_mul_lo_u32 v17, v14, s27
	v_mad_u64_u32 v[14:15], s[2:3], v14, s26, 0
	v_add3_u32 v15, v15, v17, v16
	v_lshlrev_b64 v[14:15], 1, v[14:15]
	v_mov_b32_e32 v17, s29
	v_add_co_u32_e32 v16, vcc, s28, v14
	v_addc_co_u32_e64 v17, s[2:3], v17, v15, vcc
	v_mov_b32_e32 v14, s29
	v_add_co_u32_e64 v18, s[2:3], s28, v12
	v_addc_co_u32_e64 v19, s[8:9], v14, v13, s[2:3]
	global_load_ushort v12, v[16:17], off
	global_load_ushort v14, v[18:19], off
	s_mov_b64 s[18:19], -1
	s_waitcnt vmcnt(0)
	v_cmp_eq_f16_e64 s[8:9], v12, v14
	s_and_saveexec_b64 s[38:39], s[8:9]
	s_cbranch_execz .LBB1297_64
; %bb.58:
	v_mov_b32_e32 v12, s29
	v_addc_co_u32_e64 v13, s[2:3], v13, v12, s[2:3]
	v_add_co_u32_e64 v12, s[2:3], 2, v18
	v_mov_b32_e32 v14, s29
	v_addc_co_u32_e64 v13, s[2:3], 0, v13, s[2:3]
	v_addc_co_u32_e32 v15, vcc, v15, v14, vcc
	v_add_co_u32_e32 v14, vcc, 2, v16
	s_add_u32 s2, s26, -1
	v_addc_co_u32_e32 v15, vcc, 0, v15, vcc
	s_addc_u32 s3, s27, -1
	s_mov_b64 s[8:9], 0
	s_mov_b64 s[40:41], 0
                                        ; implicit-def: $sgpr18_sgpr19
	s_branch .LBB1297_61
.LBB1297_59:                            ;   in Loop: Header=BB1297_61 Depth=1
	global_load_ushort v16, v[14:15], off
	global_load_ushort v17, v[12:13], off
	v_add_co_u32_e32 v12, vcc, 2, v12
	v_addc_co_u32_e32 v13, vcc, 0, v13, vcc
	v_add_co_u32_e32 v14, vcc, 2, v14
	v_addc_co_u32_e32 v15, vcc, 0, v15, vcc
	s_add_u32 s40, s40, 1
	s_addc_u32 s41, s41, 0
	s_andn2_b64 s[18:19], s[18:19], exec
	s_waitcnt vmcnt(0)
	v_cmp_neq_f16_e32 vcc, v16, v17
	s_and_b64 s[42:43], vcc, exec
	s_or_b64 s[18:19], s[18:19], s[42:43]
.LBB1297_60:                            ;   in Loop: Header=BB1297_61 Depth=1
	s_and_b64 s[42:43], exec, s[18:19]
	s_or_b64 s[8:9], s[42:43], s[8:9]
	v_pk_mov_b32 v[16:17], s[40:41], s[40:41] op_sel:[0,1]
	s_andn2_b64 exec, exec, s[8:9]
	s_cbranch_execz .LBB1297_63
.LBB1297_61:                            ; =>This Inner Loop Header: Depth=1
	s_or_b64 s[18:19], s[18:19], exec
	s_cmp_eq_u64 s[2:3], s[40:41]
	s_cbranch_scc0 .LBB1297_59
; %bb.62:                               ;   in Loop: Header=BB1297_61 Depth=1
                                        ; implicit-def: $vgpr12_vgpr13
                                        ; implicit-def: $vgpr14_vgpr15
	s_mov_b64 s[40:41], s[26:27]
	s_branch .LBB1297_60
.LBB1297_63:
	s_or_b64 exec, exec, s[8:9]
	v_cmp_gt_i64_e32 vcc, s[26:27], v[16:17]
	s_orn2_b64 s[18:19], vcc, exec
.LBB1297_64:
	s_or_b64 exec, exec, s[38:39]
.LBB1297_65:
	v_cndmask_b32_e64 v13, 0, 1, s[14:15]
	v_or_b32_e32 v16, v26, v27
	s_and_b64 vcc, exec, s[36:37]
	s_cbranch_vccz .LBB1297_124
.LBB1297_66:
	v_cmp_gt_u32_e32 vcc, s7, v23
	s_mov_b64 s[18:19], 0
	s_mov_b64 s[14:15], 0
	s_and_saveexec_b64 s[36:37], vcc
	s_cbranch_execz .LBB1297_77
; %bb.67:
	s_and_b64 vcc, exec, s[0:1]
	s_mov_b64 s[38:39], 0
	s_cbranch_vccnz .LBB1297_76
; %bb.68:
	s_waitcnt lgkmcnt(0)
	v_mul_lo_u32 v14, v5, s26
	v_mul_lo_u32 v15, v4, s27
	v_mad_u64_u32 v[12:13], s[2:3], v4, s26, 0
	v_add3_u32 v13, v13, v15, v14
	v_mul_lo_u32 v14, v11, s26
	v_mul_lo_u32 v15, v10, s27
	v_mad_u64_u32 v[18:19], s[2:3], v10, s26, 0
	v_add3_u32 v19, v19, v15, v14
	v_lshlrev_b64 v[14:15], 1, v[12:13]
	v_mov_b32_e32 v12, s29
	v_add_co_u32_e32 v16, vcc, s28, v14
	v_addc_co_u32_e64 v17, s[2:3], v12, v15, vcc
	v_lshlrev_b64 v[12:13], 1, v[18:19]
	v_mov_b32_e32 v14, s29
	v_add_co_u32_e64 v18, s[2:3], s28, v12
	v_addc_co_u32_e64 v19, s[8:9], v14, v13, s[2:3]
	global_load_ushort v12, v[16:17], off
	global_load_ushort v14, v[18:19], off
	s_mov_b64 s[38:39], -1
	s_waitcnt vmcnt(0)
	v_cmp_eq_f16_e64 s[8:9], v12, v14
	s_and_saveexec_b64 s[14:15], s[8:9]
	s_cbranch_execz .LBB1297_75
; %bb.69:
	v_mov_b32_e32 v12, s29
	v_addc_co_u32_e64 v13, s[2:3], v13, v12, s[2:3]
	v_add_co_u32_e64 v12, s[2:3], 2, v18
	v_mov_b32_e32 v14, s29
	v_addc_co_u32_e64 v13, s[2:3], 0, v13, s[2:3]
	v_addc_co_u32_e32 v15, vcc, v15, v14, vcc
	v_add_co_u32_e32 v14, vcc, 2, v16
	s_add_u32 s2, s26, -1
	v_addc_co_u32_e32 v15, vcc, 0, v15, vcc
	s_addc_u32 s3, s27, -1
	s_mov_b64 s[8:9], 0
	s_mov_b64 s[40:41], 0
                                        ; implicit-def: $sgpr38_sgpr39
	s_branch .LBB1297_72
.LBB1297_70:                            ;   in Loop: Header=BB1297_72 Depth=1
	global_load_ushort v16, v[14:15], off
	global_load_ushort v17, v[12:13], off
	v_add_co_u32_e32 v12, vcc, 2, v12
	v_addc_co_u32_e32 v13, vcc, 0, v13, vcc
	v_add_co_u32_e32 v14, vcc, 2, v14
	v_addc_co_u32_e32 v15, vcc, 0, v15, vcc
	s_add_u32 s40, s40, 1
	s_addc_u32 s41, s41, 0
	s_andn2_b64 s[38:39], s[38:39], exec
	s_waitcnt vmcnt(0)
	v_cmp_neq_f16_e32 vcc, v16, v17
	s_and_b64 s[42:43], vcc, exec
	s_or_b64 s[38:39], s[38:39], s[42:43]
.LBB1297_71:                            ;   in Loop: Header=BB1297_72 Depth=1
	s_and_b64 s[42:43], exec, s[38:39]
	s_or_b64 s[8:9], s[42:43], s[8:9]
	v_pk_mov_b32 v[16:17], s[40:41], s[40:41] op_sel:[0,1]
	s_andn2_b64 exec, exec, s[8:9]
	s_cbranch_execz .LBB1297_74
.LBB1297_72:                            ; =>This Inner Loop Header: Depth=1
	s_or_b64 s[38:39], s[38:39], exec
	s_cmp_eq_u64 s[2:3], s[40:41]
	s_cbranch_scc0 .LBB1297_70
; %bb.73:                               ;   in Loop: Header=BB1297_72 Depth=1
                                        ; implicit-def: $vgpr12_vgpr13
                                        ; implicit-def: $vgpr14_vgpr15
	s_mov_b64 s[40:41], s[26:27]
	s_branch .LBB1297_71
.LBB1297_74:
	s_or_b64 exec, exec, s[8:9]
	v_cmp_gt_i64_e32 vcc, s[26:27], v[16:17]
	s_orn2_b64 s[38:39], vcc, exec
.LBB1297_75:
	s_or_b64 exec, exec, s[14:15]
.LBB1297_76:
	s_and_b64 s[14:15], s[38:39], exec
.LBB1297_77:
	s_or_b64 exec, exec, s[36:37]
	v_cmp_gt_u32_e32 vcc, s7, v25
	s_and_saveexec_b64 s[36:37], vcc
	s_cbranch_execz .LBB1297_88
; %bb.78:
	s_and_b64 vcc, exec, s[0:1]
	s_mov_b64 s[38:39], 0
	s_cbranch_vccnz .LBB1297_87
; %bb.79:
	s_waitcnt lgkmcnt(0)
	v_mul_lo_u32 v14, v3, s26
	v_mul_lo_u32 v15, v2, s27
	v_mad_u64_u32 v[12:13], s[2:3], v2, s26, 0
	v_add3_u32 v13, v13, v15, v14
	v_mul_lo_u32 v14, v5, s26
	v_mul_lo_u32 v15, v4, s27
	v_mad_u64_u32 v[18:19], s[2:3], v4, s26, 0
	v_add3_u32 v19, v19, v15, v14
	v_lshlrev_b64 v[14:15], 1, v[12:13]
	v_mov_b32_e32 v12, s29
	v_add_co_u32_e32 v16, vcc, s28, v14
	v_addc_co_u32_e64 v17, s[2:3], v12, v15, vcc
	v_lshlrev_b64 v[12:13], 1, v[18:19]
	v_mov_b32_e32 v14, s29
	v_add_co_u32_e64 v18, s[2:3], s28, v12
	v_addc_co_u32_e64 v19, s[8:9], v14, v13, s[2:3]
	global_load_ushort v12, v[16:17], off
	global_load_ushort v14, v[18:19], off
	s_mov_b64 s[38:39], -1
	s_waitcnt vmcnt(0)
	v_cmp_eq_f16_e64 s[8:9], v12, v14
	s_and_saveexec_b64 s[18:19], s[8:9]
	s_cbranch_execz .LBB1297_86
; %bb.80:
	v_mov_b32_e32 v12, s29
	v_addc_co_u32_e64 v13, s[2:3], v13, v12, s[2:3]
	v_add_co_u32_e64 v12, s[2:3], 2, v18
	v_mov_b32_e32 v14, s29
	v_addc_co_u32_e64 v13, s[2:3], 0, v13, s[2:3]
	v_addc_co_u32_e32 v15, vcc, v15, v14, vcc
	v_add_co_u32_e32 v14, vcc, 2, v16
	s_add_u32 s2, s26, -1
	v_addc_co_u32_e32 v15, vcc, 0, v15, vcc
	s_addc_u32 s3, s27, -1
	s_mov_b64 s[8:9], 0
	s_mov_b64 s[40:41], 0
                                        ; implicit-def: $sgpr38_sgpr39
	s_branch .LBB1297_83
.LBB1297_81:                            ;   in Loop: Header=BB1297_83 Depth=1
	global_load_ushort v16, v[14:15], off
	global_load_ushort v17, v[12:13], off
	v_add_co_u32_e32 v12, vcc, 2, v12
	v_addc_co_u32_e32 v13, vcc, 0, v13, vcc
	v_add_co_u32_e32 v14, vcc, 2, v14
	v_addc_co_u32_e32 v15, vcc, 0, v15, vcc
	s_add_u32 s40, s40, 1
	s_addc_u32 s41, s41, 0
	s_andn2_b64 s[38:39], s[38:39], exec
	s_waitcnt vmcnt(0)
	v_cmp_neq_f16_e32 vcc, v16, v17
	s_and_b64 s[42:43], vcc, exec
	s_or_b64 s[38:39], s[38:39], s[42:43]
.LBB1297_82:                            ;   in Loop: Header=BB1297_83 Depth=1
	s_and_b64 s[42:43], exec, s[38:39]
	s_or_b64 s[8:9], s[42:43], s[8:9]
	v_pk_mov_b32 v[16:17], s[40:41], s[40:41] op_sel:[0,1]
	s_andn2_b64 exec, exec, s[8:9]
	s_cbranch_execz .LBB1297_85
.LBB1297_83:                            ; =>This Inner Loop Header: Depth=1
	s_or_b64 s[38:39], s[38:39], exec
	s_cmp_eq_u64 s[2:3], s[40:41]
	s_cbranch_scc0 .LBB1297_81
; %bb.84:                               ;   in Loop: Header=BB1297_83 Depth=1
                                        ; implicit-def: $vgpr12_vgpr13
                                        ; implicit-def: $vgpr14_vgpr15
	s_mov_b64 s[40:41], s[26:27]
	s_branch .LBB1297_82
.LBB1297_85:
	s_or_b64 exec, exec, s[8:9]
	v_cmp_gt_i64_e32 vcc, s[26:27], v[16:17]
	s_orn2_b64 s[38:39], vcc, exec
.LBB1297_86:
	s_or_b64 exec, exec, s[18:19]
.LBB1297_87:
	s_and_b64 s[18:19], s[38:39], exec
.LBB1297_88:
	s_or_b64 exec, exec, s[36:37]
	v_cmp_gt_u32_e32 vcc, s7, v22
	s_mov_b64 s[36:37], 0
	s_mov_b64 s[38:39], 0
	s_and_saveexec_b64 s[40:41], vcc
	s_cbranch_execz .LBB1297_99
; %bb.89:
	s_and_b64 vcc, exec, s[0:1]
	s_mov_b64 s[42:43], 0
	s_cbranch_vccnz .LBB1297_98
; %bb.90:
	s_waitcnt lgkmcnt(0)
	v_mul_lo_u32 v14, v9, s26
	v_mul_lo_u32 v15, v8, s27
	v_mad_u64_u32 v[12:13], s[2:3], v8, s26, 0
	v_add3_u32 v13, v13, v15, v14
	v_mul_lo_u32 v14, v3, s26
	v_mul_lo_u32 v15, v2, s27
	v_mad_u64_u32 v[18:19], s[2:3], v2, s26, 0
	v_add3_u32 v19, v19, v15, v14
	v_lshlrev_b64 v[14:15], 1, v[12:13]
	v_mov_b32_e32 v12, s29
	v_add_co_u32_e32 v16, vcc, s28, v14
	v_addc_co_u32_e64 v17, s[2:3], v12, v15, vcc
	v_lshlrev_b64 v[12:13], 1, v[18:19]
	v_mov_b32_e32 v14, s29
	v_add_co_u32_e64 v18, s[2:3], s28, v12
	v_addc_co_u32_e64 v19, s[8:9], v14, v13, s[2:3]
	global_load_ushort v12, v[16:17], off
	global_load_ushort v14, v[18:19], off
	s_mov_b64 s[42:43], -1
	s_waitcnt vmcnt(0)
	v_cmp_eq_f16_e64 s[8:9], v12, v14
	s_and_saveexec_b64 s[38:39], s[8:9]
	s_cbranch_execz .LBB1297_97
; %bb.91:
	v_mov_b32_e32 v12, s29
	v_addc_co_u32_e64 v13, s[2:3], v13, v12, s[2:3]
	v_add_co_u32_e64 v12, s[2:3], 2, v18
	v_mov_b32_e32 v14, s29
	v_addc_co_u32_e64 v13, s[2:3], 0, v13, s[2:3]
	v_addc_co_u32_e32 v15, vcc, v15, v14, vcc
	v_add_co_u32_e32 v14, vcc, 2, v16
	s_add_u32 s2, s26, -1
	v_addc_co_u32_e32 v15, vcc, 0, v15, vcc
	s_addc_u32 s3, s27, -1
	s_mov_b64 s[8:9], 0
	s_mov_b64 s[44:45], 0
                                        ; implicit-def: $sgpr42_sgpr43
	s_branch .LBB1297_94
.LBB1297_92:                            ;   in Loop: Header=BB1297_94 Depth=1
	global_load_ushort v16, v[14:15], off
	global_load_ushort v17, v[12:13], off
	v_add_co_u32_e32 v12, vcc, 2, v12
	v_addc_co_u32_e32 v13, vcc, 0, v13, vcc
	v_add_co_u32_e32 v14, vcc, 2, v14
	v_addc_co_u32_e32 v15, vcc, 0, v15, vcc
	s_add_u32 s44, s44, 1
	s_addc_u32 s45, s45, 0
	s_andn2_b64 s[42:43], s[42:43], exec
	s_waitcnt vmcnt(0)
	v_cmp_neq_f16_e32 vcc, v16, v17
	s_and_b64 s[46:47], vcc, exec
	s_or_b64 s[42:43], s[42:43], s[46:47]
.LBB1297_93:                            ;   in Loop: Header=BB1297_94 Depth=1
	s_and_b64 s[46:47], exec, s[42:43]
	s_or_b64 s[8:9], s[46:47], s[8:9]
	v_pk_mov_b32 v[16:17], s[44:45], s[44:45] op_sel:[0,1]
	s_andn2_b64 exec, exec, s[8:9]
	s_cbranch_execz .LBB1297_96
.LBB1297_94:                            ; =>This Inner Loop Header: Depth=1
	s_or_b64 s[42:43], s[42:43], exec
	s_cmp_eq_u64 s[2:3], s[44:45]
	s_cbranch_scc0 .LBB1297_92
; %bb.95:                               ;   in Loop: Header=BB1297_94 Depth=1
                                        ; implicit-def: $vgpr12_vgpr13
                                        ; implicit-def: $vgpr14_vgpr15
	s_mov_b64 s[44:45], s[26:27]
	s_branch .LBB1297_93
.LBB1297_96:
	s_or_b64 exec, exec, s[8:9]
	v_cmp_gt_i64_e32 vcc, s[26:27], v[16:17]
	s_orn2_b64 s[42:43], vcc, exec
.LBB1297_97:
	s_or_b64 exec, exec, s[38:39]
.LBB1297_98:
	s_and_b64 s[38:39], s[42:43], exec
.LBB1297_99:
	s_or_b64 exec, exec, s[40:41]
	v_cmp_gt_u32_e32 vcc, s7, v24
	s_and_saveexec_b64 s[40:41], vcc
	s_cbranch_execz .LBB1297_110
; %bb.100:
	s_and_b64 vcc, exec, s[0:1]
	s_mov_b64 s[42:43], 0
	s_cbranch_vccnz .LBB1297_109
; %bb.101:
	s_waitcnt lgkmcnt(0)
	v_mul_lo_u32 v14, v7, s26
	v_mul_lo_u32 v15, v6, s27
	v_mad_u64_u32 v[12:13], s[2:3], v6, s26, 0
	v_add3_u32 v13, v13, v15, v14
	v_mul_lo_u32 v14, v9, s26
	v_mul_lo_u32 v15, v8, s27
	v_mad_u64_u32 v[18:19], s[2:3], v8, s26, 0
	v_add3_u32 v19, v19, v15, v14
	v_lshlrev_b64 v[14:15], 1, v[12:13]
	v_mov_b32_e32 v12, s29
	v_add_co_u32_e32 v16, vcc, s28, v14
	v_addc_co_u32_e64 v17, s[2:3], v12, v15, vcc
	v_lshlrev_b64 v[12:13], 1, v[18:19]
	v_mov_b32_e32 v14, s29
	v_add_co_u32_e64 v18, s[2:3], s28, v12
	v_addc_co_u32_e64 v19, s[8:9], v14, v13, s[2:3]
	global_load_ushort v12, v[16:17], off
	global_load_ushort v14, v[18:19], off
	s_mov_b64 s[42:43], -1
	s_waitcnt vmcnt(0)
	v_cmp_eq_f16_e64 s[8:9], v12, v14
	s_and_saveexec_b64 s[36:37], s[8:9]
	s_cbranch_execz .LBB1297_108
; %bb.102:
	v_mov_b32_e32 v12, s29
	v_addc_co_u32_e64 v13, s[2:3], v13, v12, s[2:3]
	v_add_co_u32_e64 v12, s[2:3], 2, v18
	v_mov_b32_e32 v14, s29
	v_addc_co_u32_e64 v13, s[2:3], 0, v13, s[2:3]
	v_addc_co_u32_e32 v15, vcc, v15, v14, vcc
	v_add_co_u32_e32 v14, vcc, 2, v16
	s_add_u32 s2, s26, -1
	v_addc_co_u32_e32 v15, vcc, 0, v15, vcc
	s_addc_u32 s3, s27, -1
	s_mov_b64 s[8:9], 0
	s_mov_b64 s[44:45], 0
                                        ; implicit-def: $sgpr42_sgpr43
	s_branch .LBB1297_105
.LBB1297_103:                           ;   in Loop: Header=BB1297_105 Depth=1
	global_load_ushort v16, v[14:15], off
	global_load_ushort v17, v[12:13], off
	v_add_co_u32_e32 v12, vcc, 2, v12
	v_addc_co_u32_e32 v13, vcc, 0, v13, vcc
	v_add_co_u32_e32 v14, vcc, 2, v14
	v_addc_co_u32_e32 v15, vcc, 0, v15, vcc
	s_add_u32 s44, s44, 1
	s_addc_u32 s45, s45, 0
	s_andn2_b64 s[42:43], s[42:43], exec
	s_waitcnt vmcnt(0)
	v_cmp_neq_f16_e32 vcc, v16, v17
	s_and_b64 s[46:47], vcc, exec
	s_or_b64 s[42:43], s[42:43], s[46:47]
.LBB1297_104:                           ;   in Loop: Header=BB1297_105 Depth=1
	s_and_b64 s[46:47], exec, s[42:43]
	s_or_b64 s[8:9], s[46:47], s[8:9]
	v_pk_mov_b32 v[16:17], s[44:45], s[44:45] op_sel:[0,1]
	s_andn2_b64 exec, exec, s[8:9]
	s_cbranch_execz .LBB1297_107
.LBB1297_105:                           ; =>This Inner Loop Header: Depth=1
	s_or_b64 s[42:43], s[42:43], exec
	s_cmp_eq_u64 s[2:3], s[44:45]
	s_cbranch_scc0 .LBB1297_103
; %bb.106:                              ;   in Loop: Header=BB1297_105 Depth=1
                                        ; implicit-def: $vgpr12_vgpr13
                                        ; implicit-def: $vgpr14_vgpr15
	s_mov_b64 s[44:45], s[26:27]
	s_branch .LBB1297_104
.LBB1297_107:
	s_or_b64 exec, exec, s[8:9]
	v_cmp_gt_i64_e32 vcc, s[26:27], v[16:17]
	s_orn2_b64 s[42:43], vcc, exec
.LBB1297_108:
	s_or_b64 exec, exec, s[36:37]
.LBB1297_109:
	s_and_b64 s[36:37], s[42:43], exec
.LBB1297_110:
	s_or_b64 exec, exec, s[40:41]
	v_cmp_ne_u32_e32 vcc, 0, v0
	s_waitcnt lgkmcnt(0)
	v_pk_mov_b32 v[12:13], s[12:13], s[12:13] op_sel:[0,1]
	s_barrier
	s_and_saveexec_b64 s[2:3], vcc
	s_cbranch_execz .LBB1297_112
; %bb.111:
	v_add_u32_e32 v12, -8, v21
	ds_read_b64 v[12:13], v12
.LBB1297_112:
	s_or_b64 exec, exec, s[2:3]
	v_cndmask_b32_e64 v15, 0, 1, s[18:19]
	v_cndmask_b32_e64 v14, 0, 1, s[38:39]
	;; [unrolled: 1-line block ×3, first 2 shown]
	v_lshlrev_b16_e32 v15, 8, v15
	v_cmp_gt_u32_e32 vcc, s7, v1
	v_lshlrev_b16_e32 v21, 8, v16
	v_or_b32_sdwa v26, v14, v15 dst_sel:WORD_1 dst_unused:UNUSED_PAD src0_sel:DWORD src1_sel:DWORD
	s_mov_b64 s[18:19], 0
	s_and_saveexec_b64 s[8:9], vcc
	s_cbranch_execz .LBB1297_123
; %bb.113:
	s_and_b64 vcc, exec, s[0:1]
	s_cbranch_vccnz .LBB1297_122
; %bb.114:
	s_waitcnt lgkmcnt(0)
	v_mul_lo_u32 v14, v13, s26
	v_mul_lo_u32 v15, v12, s27
	v_mad_u64_u32 v[12:13], s[0:1], v12, s26, 0
	v_add3_u32 v13, v13, v15, v14
	v_mul_lo_u32 v14, v7, s26
	v_mul_lo_u32 v15, v6, s27
	v_mad_u64_u32 v[18:19], s[0:1], v6, s26, 0
	v_add3_u32 v19, v19, v15, v14
	v_lshlrev_b64 v[14:15], 1, v[12:13]
	v_mov_b32_e32 v12, s29
	v_add_co_u32_e32 v16, vcc, s28, v14
	v_addc_co_u32_e64 v17, s[0:1], v12, v15, vcc
	v_lshlrev_b64 v[12:13], 1, v[18:19]
	v_mov_b32_e32 v14, s29
	v_add_co_u32_e64 v18, s[0:1], s28, v12
	v_addc_co_u32_e64 v19, s[2:3], v14, v13, s[0:1]
	global_load_ushort v12, v[16:17], off
	global_load_ushort v14, v[18:19], off
	s_mov_b64 s[18:19], -1
	s_waitcnt vmcnt(0)
	v_cmp_eq_f16_e64 s[2:3], v12, v14
	s_and_saveexec_b64 s[12:13], s[2:3]
	s_cbranch_execz .LBB1297_121
; %bb.115:
	v_mov_b32_e32 v12, s29
	v_addc_co_u32_e64 v13, s[0:1], v13, v12, s[0:1]
	v_add_co_u32_e64 v12, s[0:1], 2, v18
	v_mov_b32_e32 v14, s29
	v_addc_co_u32_e64 v13, s[0:1], 0, v13, s[0:1]
	v_addc_co_u32_e32 v15, vcc, v15, v14, vcc
	v_add_co_u32_e32 v14, vcc, 2, v16
	s_add_u32 s0, s26, -1
	v_addc_co_u32_e32 v15, vcc, 0, v15, vcc
	s_addc_u32 s1, s27, -1
	s_mov_b64 s[2:3], 0
	s_mov_b64 s[36:37], 0
                                        ; implicit-def: $sgpr18_sgpr19
	s_branch .LBB1297_118
.LBB1297_116:                           ;   in Loop: Header=BB1297_118 Depth=1
	global_load_ushort v16, v[14:15], off
	global_load_ushort v17, v[12:13], off
	v_add_co_u32_e32 v12, vcc, 2, v12
	v_addc_co_u32_e32 v13, vcc, 0, v13, vcc
	v_add_co_u32_e32 v14, vcc, 2, v14
	v_addc_co_u32_e32 v15, vcc, 0, v15, vcc
	s_add_u32 s36, s36, 1
	s_addc_u32 s37, s37, 0
	s_andn2_b64 s[18:19], s[18:19], exec
	s_waitcnt vmcnt(0)
	v_cmp_neq_f16_e32 vcc, v16, v17
	s_and_b64 s[38:39], vcc, exec
	s_or_b64 s[18:19], s[18:19], s[38:39]
.LBB1297_117:                           ;   in Loop: Header=BB1297_118 Depth=1
	s_and_b64 s[38:39], exec, s[18:19]
	s_or_b64 s[2:3], s[38:39], s[2:3]
	v_pk_mov_b32 v[16:17], s[36:37], s[36:37] op_sel:[0,1]
	s_andn2_b64 exec, exec, s[2:3]
	s_cbranch_execz .LBB1297_120
.LBB1297_118:                           ; =>This Inner Loop Header: Depth=1
	s_or_b64 s[18:19], s[18:19], exec
	s_cmp_eq_u64 s[0:1], s[36:37]
	s_cbranch_scc0 .LBB1297_116
; %bb.119:                              ;   in Loop: Header=BB1297_118 Depth=1
                                        ; implicit-def: $vgpr12_vgpr13
                                        ; implicit-def: $vgpr14_vgpr15
	s_mov_b64 s[36:37], s[26:27]
	s_branch .LBB1297_117
.LBB1297_120:
	s_or_b64 exec, exec, s[2:3]
	v_cmp_gt_i64_e32 vcc, s[26:27], v[16:17]
	s_orn2_b64 s[18:19], vcc, exec
.LBB1297_121:
	s_or_b64 exec, exec, s[12:13]
.LBB1297_122:
	s_and_b64 s[18:19], s[18:19], exec
.LBB1297_123:
	s_or_b64 exec, exec, s[8:9]
	s_waitcnt lgkmcnt(0)
	v_cndmask_b32_e64 v13, 0, 1, s[14:15]
	v_or_b32_e32 v16, v21, v26
.LBB1297_124:
	s_waitcnt lgkmcnt(0)
	s_mov_b64 s[12:13], -1
	s_cbranch_execnz .LBB1297_233
.LBB1297_125:
	v_lshlrev_b32_e32 v12, 5, v0
	v_sub_u32_e32 v26, v20, v12
	s_mov_b64 s[18:19], 0
	v_cmp_gt_i64_e64 s[14:15], s[26:27], 0
	s_and_b64 vcc, exec, s[34:35]
	ds_write_b64 v26, v[10:11]
	s_cbranch_vccz .LBB1297_133
; %bb.126:
	v_mul_lo_u32 v14, v5, s26
	v_mul_lo_u32 v15, v4, s27
	v_mad_u64_u32 v[12:13], s[0:1], v4, s26, 0
	v_add3_u32 v13, v13, v15, v14
	v_cndmask_b32_e64 v14, 0, 1, s[14:15]
	v_cmp_ne_u32_e64 s[0:1], 1, v14
	s_andn2_b64 vcc, exec, s[14:15]
	v_lshlrev_b64 v[12:13], 1, v[12:13]
	s_cbranch_vccnz .LBB1297_136
; %bb.127:
	v_mul_lo_u32 v16, v11, s26
	v_mul_lo_u32 v17, v10, s27
	v_mad_u64_u32 v[14:15], s[2:3], v10, s26, 0
	v_add3_u32 v15, v15, v17, v16
	v_mov_b32_e32 v17, s29
	v_add_co_u32_e32 v16, vcc, s28, v12
	v_addc_co_u32_e64 v17, s[2:3], v17, v13, vcc
	v_lshlrev_b64 v[14:15], 1, v[14:15]
	v_mov_b32_e32 v19, s29
	v_add_co_u32_e64 v18, s[2:3], s28, v14
	v_addc_co_u32_e64 v19, s[8:9], v19, v15, s[2:3]
	global_load_ushort v14, v[16:17], off
	global_load_ushort v20, v[18:19], off
	s_mov_b64 s[18:19], -1
	s_waitcnt vmcnt(0)
	v_cmp_eq_f16_e64 s[8:9], v14, v20
	s_and_saveexec_b64 s[36:37], s[8:9]
	s_cbranch_execz .LBB1297_135
; %bb.128:
	v_mov_b32_e32 v14, s29
	v_addc_co_u32_e64 v15, s[2:3], v15, v14, s[2:3]
	v_add_co_u32_e64 v14, s[2:3], 2, v18
	v_mov_b32_e32 v17, s29
	v_addc_co_u32_e64 v15, s[2:3], 0, v15, s[2:3]
	v_addc_co_u32_e32 v17, vcc, v13, v17, vcc
	v_add_co_u32_e32 v16, vcc, 2, v16
	s_add_u32 s2, s26, -1
	v_addc_co_u32_e32 v17, vcc, 0, v17, vcc
	s_addc_u32 s3, s27, -1
	s_mov_b64 s[8:9], 0
	s_mov_b64 s[38:39], 0
                                        ; implicit-def: $sgpr18_sgpr19
	s_branch .LBB1297_131
.LBB1297_129:                           ;   in Loop: Header=BB1297_131 Depth=1
	global_load_ushort v18, v[16:17], off
	global_load_ushort v19, v[14:15], off
	v_add_co_u32_e32 v14, vcc, 2, v14
	v_addc_co_u32_e32 v15, vcc, 0, v15, vcc
	v_add_co_u32_e32 v16, vcc, 2, v16
	v_addc_co_u32_e32 v17, vcc, 0, v17, vcc
	s_add_u32 s38, s38, 1
	s_addc_u32 s39, s39, 0
	s_andn2_b64 s[18:19], s[18:19], exec
	s_waitcnt vmcnt(0)
	v_cmp_neq_f16_e32 vcc, v18, v19
	s_and_b64 s[40:41], vcc, exec
	s_or_b64 s[18:19], s[18:19], s[40:41]
.LBB1297_130:                           ;   in Loop: Header=BB1297_131 Depth=1
	s_and_b64 s[40:41], exec, s[18:19]
	s_or_b64 s[8:9], s[40:41], s[8:9]
	v_pk_mov_b32 v[18:19], s[38:39], s[38:39] op_sel:[0,1]
	s_andn2_b64 exec, exec, s[8:9]
	s_cbranch_execz .LBB1297_134
.LBB1297_131:                           ; =>This Inner Loop Header: Depth=1
	s_or_b64 s[18:19], s[18:19], exec
	s_cmp_eq_u64 s[2:3], s[38:39]
	s_cbranch_scc0 .LBB1297_129
; %bb.132:                              ;   in Loop: Header=BB1297_131 Depth=1
                                        ; implicit-def: $vgpr14_vgpr15
                                        ; implicit-def: $vgpr16_vgpr17
	s_mov_b64 s[38:39], s[26:27]
	s_branch .LBB1297_130
.LBB1297_133:
                                        ; implicit-def: $sgpr18_sgpr19
                                        ; implicit-def: $vgpr13
                                        ; implicit-def: $vgpr16
	s_cbranch_execnz .LBB1297_175
	s_branch .LBB1297_233
.LBB1297_134:
	s_or_b64 exec, exec, s[8:9]
	v_cmp_gt_i64_e32 vcc, s[26:27], v[18:19]
	s_orn2_b64 s[18:19], vcc, exec
.LBB1297_135:
	s_or_b64 exec, exec, s[36:37]
.LBB1297_136:
	v_mul_lo_u32 v16, v3, s26
	v_mul_lo_u32 v17, v2, s27
	v_mad_u64_u32 v[14:15], s[2:3], v2, s26, 0
	v_add3_u32 v15, v15, v17, v16
	s_mov_b64 s[36:37], 0
	s_and_b64 vcc, exec, s[0:1]
	v_lshlrev_b64 v[14:15], 1, v[14:15]
	s_mov_b64 s[38:39], 0
	s_cbranch_vccnz .LBB1297_145
; %bb.137:
	v_mov_b32_e32 v17, s29
	v_add_co_u32_e32 v16, vcc, s28, v14
	v_addc_co_u32_e64 v17, s[2:3], v17, v15, vcc
	v_mov_b32_e32 v19, s29
	v_add_co_u32_e64 v18, s[2:3], s28, v12
	v_addc_co_u32_e64 v19, s[8:9], v19, v13, s[2:3]
	global_load_ushort v12, v[16:17], off
	global_load_ushort v20, v[18:19], off
	s_mov_b64 s[38:39], -1
	s_waitcnt vmcnt(0)
	v_cmp_eq_f16_e64 s[8:9], v12, v20
	s_and_saveexec_b64 s[40:41], s[8:9]
	s_cbranch_execz .LBB1297_144
; %bb.138:
	v_mov_b32_e32 v12, s29
	v_addc_co_u32_e64 v13, s[2:3], v13, v12, s[2:3]
	v_add_co_u32_e64 v12, s[2:3], 2, v18
	v_mov_b32_e32 v17, s29
	v_addc_co_u32_e64 v13, s[2:3], 0, v13, s[2:3]
	v_addc_co_u32_e32 v17, vcc, v15, v17, vcc
	v_add_co_u32_e32 v16, vcc, 2, v16
	s_add_u32 s2, s26, -1
	v_addc_co_u32_e32 v17, vcc, 0, v17, vcc
	s_addc_u32 s3, s27, -1
	s_mov_b64 s[8:9], 0
	s_mov_b64 s[42:43], 0
                                        ; implicit-def: $sgpr38_sgpr39
	s_branch .LBB1297_141
.LBB1297_139:                           ;   in Loop: Header=BB1297_141 Depth=1
	global_load_ushort v18, v[16:17], off
	global_load_ushort v19, v[12:13], off
	v_add_co_u32_e32 v12, vcc, 2, v12
	v_addc_co_u32_e32 v13, vcc, 0, v13, vcc
	v_add_co_u32_e32 v16, vcc, 2, v16
	v_addc_co_u32_e32 v17, vcc, 0, v17, vcc
	s_add_u32 s42, s42, 1
	s_addc_u32 s43, s43, 0
	s_andn2_b64 s[38:39], s[38:39], exec
	s_waitcnt vmcnt(0)
	v_cmp_neq_f16_e32 vcc, v18, v19
	s_and_b64 s[44:45], vcc, exec
	s_or_b64 s[38:39], s[38:39], s[44:45]
.LBB1297_140:                           ;   in Loop: Header=BB1297_141 Depth=1
	s_and_b64 s[44:45], exec, s[38:39]
	s_or_b64 s[8:9], s[44:45], s[8:9]
	v_pk_mov_b32 v[18:19], s[42:43], s[42:43] op_sel:[0,1]
	s_andn2_b64 exec, exec, s[8:9]
	s_cbranch_execz .LBB1297_143
.LBB1297_141:                           ; =>This Inner Loop Header: Depth=1
	s_or_b64 s[38:39], s[38:39], exec
	s_cmp_eq_u64 s[2:3], s[42:43]
	s_cbranch_scc0 .LBB1297_139
; %bb.142:                              ;   in Loop: Header=BB1297_141 Depth=1
                                        ; implicit-def: $vgpr12_vgpr13
                                        ; implicit-def: $vgpr16_vgpr17
	s_mov_b64 s[42:43], s[26:27]
	s_branch .LBB1297_140
.LBB1297_143:
	s_or_b64 exec, exec, s[8:9]
	v_cmp_gt_i64_e32 vcc, s[26:27], v[18:19]
	s_orn2_b64 s[38:39], vcc, exec
.LBB1297_144:
	s_or_b64 exec, exec, s[40:41]
.LBB1297_145:
	v_mul_lo_u32 v16, v9, s26
	v_mul_lo_u32 v17, v8, s27
	v_mad_u64_u32 v[12:13], s[2:3], v8, s26, 0
	v_add3_u32 v13, v13, v17, v16
	s_and_b64 vcc, exec, s[0:1]
	v_lshlrev_b64 v[12:13], 1, v[12:13]
	s_cbranch_vccnz .LBB1297_154
; %bb.146:
	v_mov_b32_e32 v17, s29
	v_add_co_u32_e32 v16, vcc, s28, v12
	v_addc_co_u32_e64 v17, s[2:3], v17, v13, vcc
	v_mov_b32_e32 v19, s29
	v_add_co_u32_e64 v18, s[2:3], s28, v14
	v_addc_co_u32_e64 v19, s[8:9], v19, v15, s[2:3]
	global_load_ushort v14, v[16:17], off
	global_load_ushort v20, v[18:19], off
	s_mov_b64 s[36:37], -1
	s_waitcnt vmcnt(0)
	v_cmp_eq_f16_e64 s[8:9], v14, v20
	s_and_saveexec_b64 s[40:41], s[8:9]
	s_cbranch_execz .LBB1297_153
; %bb.147:
	v_mov_b32_e32 v14, s29
	v_addc_co_u32_e64 v15, s[2:3], v15, v14, s[2:3]
	v_add_co_u32_e64 v14, s[2:3], 2, v18
	v_mov_b32_e32 v17, s29
	v_addc_co_u32_e64 v15, s[2:3], 0, v15, s[2:3]
	v_addc_co_u32_e32 v17, vcc, v13, v17, vcc
	v_add_co_u32_e32 v16, vcc, 2, v16
	s_add_u32 s2, s26, -1
	v_addc_co_u32_e32 v17, vcc, 0, v17, vcc
	s_addc_u32 s3, s27, -1
	s_mov_b64 s[8:9], 0
	s_mov_b64 s[42:43], 0
                                        ; implicit-def: $sgpr36_sgpr37
	s_branch .LBB1297_150
.LBB1297_148:                           ;   in Loop: Header=BB1297_150 Depth=1
	global_load_ushort v18, v[16:17], off
	global_load_ushort v19, v[14:15], off
	v_add_co_u32_e32 v14, vcc, 2, v14
	v_addc_co_u32_e32 v15, vcc, 0, v15, vcc
	v_add_co_u32_e32 v16, vcc, 2, v16
	v_addc_co_u32_e32 v17, vcc, 0, v17, vcc
	s_add_u32 s42, s42, 1
	s_addc_u32 s43, s43, 0
	s_andn2_b64 s[36:37], s[36:37], exec
	s_waitcnt vmcnt(0)
	v_cmp_neq_f16_e32 vcc, v18, v19
	s_and_b64 s[44:45], vcc, exec
	s_or_b64 s[36:37], s[36:37], s[44:45]
.LBB1297_149:                           ;   in Loop: Header=BB1297_150 Depth=1
	s_and_b64 s[44:45], exec, s[36:37]
	s_or_b64 s[8:9], s[44:45], s[8:9]
	v_pk_mov_b32 v[18:19], s[42:43], s[42:43] op_sel:[0,1]
	s_andn2_b64 exec, exec, s[8:9]
	s_cbranch_execz .LBB1297_152
.LBB1297_150:                           ; =>This Inner Loop Header: Depth=1
	s_or_b64 s[36:37], s[36:37], exec
	s_cmp_eq_u64 s[2:3], s[42:43]
	s_cbranch_scc0 .LBB1297_148
; %bb.151:                              ;   in Loop: Header=BB1297_150 Depth=1
                                        ; implicit-def: $vgpr14_vgpr15
                                        ; implicit-def: $vgpr16_vgpr17
	s_mov_b64 s[42:43], s[26:27]
	s_branch .LBB1297_149
.LBB1297_152:
	s_or_b64 exec, exec, s[8:9]
	v_cmp_gt_i64_e32 vcc, s[26:27], v[18:19]
	s_orn2_b64 s[36:37], vcc, exec
.LBB1297_153:
	s_or_b64 exec, exec, s[40:41]
.LBB1297_154:
	v_mul_lo_u32 v16, v7, s26
	v_mul_lo_u32 v17, v6, s27
	v_mad_u64_u32 v[14:15], s[2:3], v6, s26, 0
	v_add3_u32 v15, v15, v17, v16
	s_and_b64 vcc, exec, s[0:1]
	s_mov_b64 s[42:43], 0
	s_cbranch_vccnz .LBB1297_163
; %bb.155:
	v_lshlrev_b64 v[16:17], 1, v[14:15]
	v_mov_b32_e32 v19, s29
	v_add_co_u32_e32 v18, vcc, s28, v16
	v_addc_co_u32_e64 v19, s[2:3], v19, v17, vcc
	v_mov_b32_e32 v16, s29
	v_add_co_u32_e64 v20, s[2:3], s28, v12
	v_addc_co_u32_e64 v21, s[8:9], v16, v13, s[2:3]
	global_load_ushort v12, v[18:19], off
	global_load_ushort v16, v[20:21], off
	s_mov_b64 s[42:43], -1
	s_waitcnt vmcnt(0)
	v_cmp_eq_f16_e64 s[8:9], v12, v16
	s_and_saveexec_b64 s[40:41], s[8:9]
	s_cbranch_execz .LBB1297_162
; %bb.156:
	v_mov_b32_e32 v12, s29
	v_addc_co_u32_e64 v13, s[2:3], v13, v12, s[2:3]
	v_add_co_u32_e64 v12, s[2:3], 2, v20
	v_mov_b32_e32 v16, s29
	v_addc_co_u32_e64 v13, s[2:3], 0, v13, s[2:3]
	v_addc_co_u32_e32 v17, vcc, v17, v16, vcc
	v_add_co_u32_e32 v16, vcc, 2, v18
	s_add_u32 s2, s26, -1
	v_addc_co_u32_e32 v17, vcc, 0, v17, vcc
	s_addc_u32 s3, s27, -1
	s_mov_b64 s[8:9], 0
	s_mov_b64 s[44:45], 0
                                        ; implicit-def: $sgpr42_sgpr43
	s_branch .LBB1297_159
.LBB1297_157:                           ;   in Loop: Header=BB1297_159 Depth=1
	global_load_ushort v18, v[16:17], off
	global_load_ushort v19, v[12:13], off
	v_add_co_u32_e32 v12, vcc, 2, v12
	v_addc_co_u32_e32 v13, vcc, 0, v13, vcc
	v_add_co_u32_e32 v16, vcc, 2, v16
	v_addc_co_u32_e32 v17, vcc, 0, v17, vcc
	s_add_u32 s44, s44, 1
	s_addc_u32 s45, s45, 0
	s_andn2_b64 s[42:43], s[42:43], exec
	s_waitcnt vmcnt(0)
	v_cmp_neq_f16_e32 vcc, v18, v19
	s_and_b64 s[46:47], vcc, exec
	s_or_b64 s[42:43], s[42:43], s[46:47]
.LBB1297_158:                           ;   in Loop: Header=BB1297_159 Depth=1
	s_and_b64 s[46:47], exec, s[42:43]
	s_or_b64 s[8:9], s[46:47], s[8:9]
	v_pk_mov_b32 v[18:19], s[44:45], s[44:45] op_sel:[0,1]
	s_andn2_b64 exec, exec, s[8:9]
	s_cbranch_execz .LBB1297_161
.LBB1297_159:                           ; =>This Inner Loop Header: Depth=1
	s_or_b64 s[42:43], s[42:43], exec
	s_cmp_eq_u64 s[2:3], s[44:45]
	s_cbranch_scc0 .LBB1297_157
; %bb.160:                              ;   in Loop: Header=BB1297_159 Depth=1
                                        ; implicit-def: $vgpr12_vgpr13
                                        ; implicit-def: $vgpr16_vgpr17
	s_mov_b64 s[44:45], s[26:27]
	s_branch .LBB1297_158
.LBB1297_161:
	s_or_b64 exec, exec, s[8:9]
	v_cmp_gt_i64_e32 vcc, s[26:27], v[18:19]
	s_orn2_b64 s[42:43], vcc, exec
.LBB1297_162:
	s_or_b64 exec, exec, s[40:41]
.LBB1297_163:
	v_cndmask_b32_e64 v13, 0, 1, s[38:39]
	v_cndmask_b32_e64 v16, 0, 1, s[42:43]
	;; [unrolled: 1-line block ×3, first 2 shown]
	v_lshlrev_b16_e32 v16, 8, v16
	v_lshlrev_b16_e32 v13, 8, v13
	v_or_b32_e32 v16, 1, v16
	v_or_b32_sdwa v12, v12, v13 dst_sel:WORD_1 dst_unused:UNUSED_PAD src0_sel:DWORD src1_sel:DWORD
	v_or_b32_sdwa v12, v16, v12 dst_sel:DWORD dst_unused:UNUSED_PAD src0_sel:WORD_0 src1_sel:DWORD
	v_cndmask_b32_e64 v13, 0, 1, s[18:19]
	v_cmp_ne_u32_e32 vcc, 0, v0
	s_waitcnt lgkmcnt(0)
	s_barrier
	s_waitcnt lgkmcnt(0)
                                        ; implicit-def: $sgpr18_sgpr19
                                        ; implicit-def: $vgpr16
	s_and_saveexec_b64 s[2:3], vcc
	s_xor_b64 s[8:9], exec, s[2:3]
	s_cbranch_execz .LBB1297_174
; %bb.164:
	s_mov_b32 s33, 0x3020104
	s_and_b64 vcc, exec, s[0:1]
	s_mov_b64 s[36:37], 0
	s_cbranch_vccnz .LBB1297_173
; %bb.165:
	v_add_u32_e32 v16, -8, v26
	ds_read_b64 v[16:17], v16
	v_mov_b32_e32 v19, s29
	v_lshlrev_b64 v[14:15], 1, v[14:15]
	s_mov_b64 s[36:37], -1
	s_waitcnt lgkmcnt(0)
	v_mul_lo_u32 v18, v17, s26
	v_mul_lo_u32 v20, v16, s27
	v_mad_u64_u32 v[16:17], s[0:1], v16, s26, 0
	v_add3_u32 v17, v17, v20, v18
	v_lshlrev_b64 v[16:17], 1, v[16:17]
	v_add_co_u32_e32 v18, vcc, s28, v16
	v_addc_co_u32_e64 v19, s[0:1], v19, v17, vcc
	v_mov_b32_e32 v16, s29
	v_add_co_u32_e64 v20, s[0:1], s28, v14
	v_addc_co_u32_e64 v21, s[2:3], v16, v15, s[0:1]
	global_load_ushort v14, v[18:19], off
	global_load_ushort v16, v[20:21], off
	s_waitcnt vmcnt(0)
	v_cmp_eq_f16_e64 s[2:3], v14, v16
	s_and_saveexec_b64 s[18:19], s[2:3]
	s_cbranch_execz .LBB1297_172
; %bb.166:
	v_mov_b32_e32 v14, s29
	v_addc_co_u32_e64 v15, s[0:1], v15, v14, s[0:1]
	v_add_co_u32_e64 v14, s[0:1], 2, v20
	v_mov_b32_e32 v16, s29
	v_addc_co_u32_e64 v15, s[0:1], 0, v15, s[0:1]
	v_addc_co_u32_e32 v17, vcc, v17, v16, vcc
	v_add_co_u32_e32 v16, vcc, 2, v18
	s_add_u32 s0, s26, -1
	v_addc_co_u32_e32 v17, vcc, 0, v17, vcc
	s_addc_u32 s1, s27, -1
	s_mov_b64 s[2:3], 0
	s_mov_b64 s[38:39], 0
                                        ; implicit-def: $sgpr36_sgpr37
	s_branch .LBB1297_169
.LBB1297_167:                           ;   in Loop: Header=BB1297_169 Depth=1
	global_load_ushort v18, v[16:17], off
	global_load_ushort v19, v[14:15], off
	v_add_co_u32_e32 v14, vcc, 2, v14
	v_addc_co_u32_e32 v15, vcc, 0, v15, vcc
	v_add_co_u32_e32 v16, vcc, 2, v16
	v_addc_co_u32_e32 v17, vcc, 0, v17, vcc
	s_add_u32 s38, s38, 1
	s_addc_u32 s39, s39, 0
	s_andn2_b64 s[36:37], s[36:37], exec
	s_waitcnt vmcnt(0)
	v_cmp_neq_f16_e32 vcc, v18, v19
	s_and_b64 s[40:41], vcc, exec
	s_or_b64 s[36:37], s[36:37], s[40:41]
.LBB1297_168:                           ;   in Loop: Header=BB1297_169 Depth=1
	s_and_b64 s[40:41], exec, s[36:37]
	s_or_b64 s[2:3], s[40:41], s[2:3]
	v_pk_mov_b32 v[18:19], s[38:39], s[38:39] op_sel:[0,1]
	s_andn2_b64 exec, exec, s[2:3]
	s_cbranch_execz .LBB1297_171
.LBB1297_169:                           ; =>This Inner Loop Header: Depth=1
	s_or_b64 s[36:37], s[36:37], exec
	s_cmp_eq_u64 s[0:1], s[38:39]
	s_cbranch_scc0 .LBB1297_167
; %bb.170:                              ;   in Loop: Header=BB1297_169 Depth=1
                                        ; implicit-def: $vgpr14_vgpr15
                                        ; implicit-def: $vgpr16_vgpr17
	s_mov_b64 s[38:39], s[26:27]
	s_branch .LBB1297_168
.LBB1297_171:
	s_or_b64 exec, exec, s[2:3]
	v_cmp_gt_i64_e32 vcc, s[26:27], v[18:19]
	s_orn2_b64 s[36:37], vcc, exec
.LBB1297_172:
	s_or_b64 exec, exec, s[18:19]
.LBB1297_173:
	v_perm_b32 v16, v12, v12, s33
	s_and_b64 s[18:19], s[36:37], exec
	s_or_b64 s[12:13], s[12:13], exec
.LBB1297_174:
	s_or_b64 exec, exec, s[8:9]
	s_branch .LBB1297_233
.LBB1297_175:
	v_cmp_gt_u32_e32 vcc, s7, v23
	s_mov_b64 s[18:19], 0
	s_mov_b64 s[8:9], 0
	s_and_saveexec_b64 s[36:37], vcc
	s_cbranch_execz .LBB1297_186
; %bb.176:
	s_andn2_b64 vcc, exec, s[14:15]
	s_mov_b64 s[38:39], 0
	s_cbranch_vccnz .LBB1297_185
; %bb.177:
	v_mul_lo_u32 v14, v5, s26
	v_mul_lo_u32 v15, v4, s27
	v_mad_u64_u32 v[12:13], s[0:1], v4, s26, 0
	v_add3_u32 v13, v13, v15, v14
	v_mul_lo_u32 v14, v11, s26
	v_mul_lo_u32 v15, v10, s27
	v_mad_u64_u32 v[18:19], s[0:1], v10, s26, 0
	v_add3_u32 v19, v19, v15, v14
	v_lshlrev_b64 v[14:15], 1, v[12:13]
	v_mov_b32_e32 v12, s29
	v_add_co_u32_e32 v16, vcc, s28, v14
	v_addc_co_u32_e64 v17, s[0:1], v12, v15, vcc
	v_lshlrev_b64 v[12:13], 1, v[18:19]
	v_mov_b32_e32 v14, s29
	v_add_co_u32_e64 v18, s[0:1], s28, v12
	v_addc_co_u32_e64 v19, s[2:3], v14, v13, s[0:1]
	global_load_ushort v12, v[16:17], off
	global_load_ushort v14, v[18:19], off
	s_mov_b64 s[38:39], -1
	s_waitcnt vmcnt(0)
	v_cmp_eq_f16_e64 s[2:3], v12, v14
	s_and_saveexec_b64 s[8:9], s[2:3]
	s_cbranch_execz .LBB1297_184
; %bb.178:
	v_mov_b32_e32 v12, s29
	v_addc_co_u32_e64 v13, s[0:1], v13, v12, s[0:1]
	v_add_co_u32_e64 v12, s[0:1], 2, v18
	v_mov_b32_e32 v14, s29
	v_addc_co_u32_e64 v13, s[0:1], 0, v13, s[0:1]
	v_addc_co_u32_e32 v15, vcc, v15, v14, vcc
	v_add_co_u32_e32 v14, vcc, 2, v16
	s_add_u32 s0, s26, -1
	v_addc_co_u32_e32 v15, vcc, 0, v15, vcc
	s_addc_u32 s1, s27, -1
	s_mov_b64 s[2:3], 0
	s_mov_b64 s[40:41], 0
                                        ; implicit-def: $sgpr38_sgpr39
	s_branch .LBB1297_181
.LBB1297_179:                           ;   in Loop: Header=BB1297_181 Depth=1
	global_load_ushort v16, v[14:15], off
	global_load_ushort v17, v[12:13], off
	v_add_co_u32_e32 v12, vcc, 2, v12
	v_addc_co_u32_e32 v13, vcc, 0, v13, vcc
	v_add_co_u32_e32 v14, vcc, 2, v14
	v_addc_co_u32_e32 v15, vcc, 0, v15, vcc
	s_add_u32 s40, s40, 1
	s_addc_u32 s41, s41, 0
	s_andn2_b64 s[38:39], s[38:39], exec
	s_waitcnt vmcnt(0)
	v_cmp_neq_f16_e32 vcc, v16, v17
	s_and_b64 s[42:43], vcc, exec
	s_or_b64 s[38:39], s[38:39], s[42:43]
.LBB1297_180:                           ;   in Loop: Header=BB1297_181 Depth=1
	s_and_b64 s[42:43], exec, s[38:39]
	s_or_b64 s[2:3], s[42:43], s[2:3]
	v_pk_mov_b32 v[16:17], s[40:41], s[40:41] op_sel:[0,1]
	s_andn2_b64 exec, exec, s[2:3]
	s_cbranch_execz .LBB1297_183
.LBB1297_181:                           ; =>This Inner Loop Header: Depth=1
	s_or_b64 s[38:39], s[38:39], exec
	s_cmp_eq_u64 s[0:1], s[40:41]
	s_cbranch_scc0 .LBB1297_179
; %bb.182:                              ;   in Loop: Header=BB1297_181 Depth=1
                                        ; implicit-def: $vgpr12_vgpr13
                                        ; implicit-def: $vgpr14_vgpr15
	s_mov_b64 s[40:41], s[26:27]
	s_branch .LBB1297_180
.LBB1297_183:
	s_or_b64 exec, exec, s[2:3]
	v_cmp_gt_i64_e32 vcc, s[26:27], v[16:17]
	s_orn2_b64 s[38:39], vcc, exec
.LBB1297_184:
	s_or_b64 exec, exec, s[8:9]
.LBB1297_185:
	s_and_b64 s[8:9], s[38:39], exec
.LBB1297_186:
	s_or_b64 exec, exec, s[36:37]
	v_cmp_gt_u32_e32 vcc, s7, v25
	s_and_saveexec_b64 s[36:37], vcc
	s_cbranch_execz .LBB1297_197
; %bb.187:
	s_andn2_b64 vcc, exec, s[14:15]
	s_mov_b64 s[38:39], 0
	s_cbranch_vccnz .LBB1297_196
; %bb.188:
	v_mul_lo_u32 v14, v3, s26
	v_mul_lo_u32 v15, v2, s27
	v_mad_u64_u32 v[12:13], s[0:1], v2, s26, 0
	v_add3_u32 v13, v13, v15, v14
	v_mul_lo_u32 v14, v5, s26
	v_mul_lo_u32 v15, v4, s27
	v_mad_u64_u32 v[18:19], s[0:1], v4, s26, 0
	v_add3_u32 v19, v19, v15, v14
	v_lshlrev_b64 v[14:15], 1, v[12:13]
	v_mov_b32_e32 v12, s29
	v_add_co_u32_e32 v16, vcc, s28, v14
	v_addc_co_u32_e64 v17, s[0:1], v12, v15, vcc
	v_lshlrev_b64 v[12:13], 1, v[18:19]
	v_mov_b32_e32 v14, s29
	v_add_co_u32_e64 v18, s[0:1], s28, v12
	v_addc_co_u32_e64 v19, s[2:3], v14, v13, s[0:1]
	global_load_ushort v12, v[16:17], off
	global_load_ushort v14, v[18:19], off
	s_mov_b64 s[38:39], -1
	s_waitcnt vmcnt(0)
	v_cmp_eq_f16_e64 s[2:3], v12, v14
	s_and_saveexec_b64 s[18:19], s[2:3]
	s_cbranch_execz .LBB1297_195
; %bb.189:
	v_mov_b32_e32 v12, s29
	v_addc_co_u32_e64 v13, s[0:1], v13, v12, s[0:1]
	v_add_co_u32_e64 v12, s[0:1], 2, v18
	v_mov_b32_e32 v14, s29
	v_addc_co_u32_e64 v13, s[0:1], 0, v13, s[0:1]
	v_addc_co_u32_e32 v15, vcc, v15, v14, vcc
	v_add_co_u32_e32 v14, vcc, 2, v16
	s_add_u32 s0, s26, -1
	v_addc_co_u32_e32 v15, vcc, 0, v15, vcc
	s_addc_u32 s1, s27, -1
	s_mov_b64 s[2:3], 0
	s_mov_b64 s[40:41], 0
                                        ; implicit-def: $sgpr38_sgpr39
	s_branch .LBB1297_192
.LBB1297_190:                           ;   in Loop: Header=BB1297_192 Depth=1
	global_load_ushort v16, v[14:15], off
	global_load_ushort v17, v[12:13], off
	v_add_co_u32_e32 v12, vcc, 2, v12
	v_addc_co_u32_e32 v13, vcc, 0, v13, vcc
	v_add_co_u32_e32 v14, vcc, 2, v14
	v_addc_co_u32_e32 v15, vcc, 0, v15, vcc
	s_add_u32 s40, s40, 1
	s_addc_u32 s41, s41, 0
	s_andn2_b64 s[38:39], s[38:39], exec
	s_waitcnt vmcnt(0)
	v_cmp_neq_f16_e32 vcc, v16, v17
	s_and_b64 s[42:43], vcc, exec
	s_or_b64 s[38:39], s[38:39], s[42:43]
.LBB1297_191:                           ;   in Loop: Header=BB1297_192 Depth=1
	s_and_b64 s[42:43], exec, s[38:39]
	s_or_b64 s[2:3], s[42:43], s[2:3]
	v_pk_mov_b32 v[16:17], s[40:41], s[40:41] op_sel:[0,1]
	s_andn2_b64 exec, exec, s[2:3]
	s_cbranch_execz .LBB1297_194
.LBB1297_192:                           ; =>This Inner Loop Header: Depth=1
	s_or_b64 s[38:39], s[38:39], exec
	s_cmp_eq_u64 s[0:1], s[40:41]
	s_cbranch_scc0 .LBB1297_190
; %bb.193:                              ;   in Loop: Header=BB1297_192 Depth=1
                                        ; implicit-def: $vgpr12_vgpr13
                                        ; implicit-def: $vgpr14_vgpr15
	s_mov_b64 s[40:41], s[26:27]
	s_branch .LBB1297_191
.LBB1297_194:
	s_or_b64 exec, exec, s[2:3]
	v_cmp_gt_i64_e32 vcc, s[26:27], v[16:17]
	s_orn2_b64 s[38:39], vcc, exec
.LBB1297_195:
	s_or_b64 exec, exec, s[18:19]
.LBB1297_196:
	s_and_b64 s[18:19], s[38:39], exec
.LBB1297_197:
	s_or_b64 exec, exec, s[36:37]
	v_cmp_gt_u32_e32 vcc, s7, v22
	s_mov_b64 s[36:37], 0
	s_mov_b64 s[38:39], 0
	s_and_saveexec_b64 s[40:41], vcc
	s_cbranch_execz .LBB1297_208
; %bb.198:
	s_andn2_b64 vcc, exec, s[14:15]
	s_mov_b64 s[42:43], 0
	s_cbranch_vccnz .LBB1297_207
; %bb.199:
	v_mul_lo_u32 v14, v9, s26
	v_mul_lo_u32 v15, v8, s27
	v_mad_u64_u32 v[12:13], s[0:1], v8, s26, 0
	v_add3_u32 v13, v13, v15, v14
	v_mul_lo_u32 v14, v3, s26
	v_mul_lo_u32 v15, v2, s27
	v_mad_u64_u32 v[18:19], s[0:1], v2, s26, 0
	v_add3_u32 v19, v19, v15, v14
	v_lshlrev_b64 v[14:15], 1, v[12:13]
	v_mov_b32_e32 v12, s29
	v_add_co_u32_e32 v16, vcc, s28, v14
	v_addc_co_u32_e64 v17, s[0:1], v12, v15, vcc
	v_lshlrev_b64 v[12:13], 1, v[18:19]
	v_mov_b32_e32 v14, s29
	v_add_co_u32_e64 v18, s[0:1], s28, v12
	v_addc_co_u32_e64 v19, s[2:3], v14, v13, s[0:1]
	global_load_ushort v12, v[16:17], off
	global_load_ushort v14, v[18:19], off
	s_mov_b64 s[42:43], -1
	s_waitcnt vmcnt(0)
	v_cmp_eq_f16_e64 s[2:3], v12, v14
	s_and_saveexec_b64 s[38:39], s[2:3]
	s_cbranch_execz .LBB1297_206
; %bb.200:
	v_mov_b32_e32 v12, s29
	v_addc_co_u32_e64 v13, s[0:1], v13, v12, s[0:1]
	v_add_co_u32_e64 v12, s[0:1], 2, v18
	v_mov_b32_e32 v14, s29
	v_addc_co_u32_e64 v13, s[0:1], 0, v13, s[0:1]
	v_addc_co_u32_e32 v15, vcc, v15, v14, vcc
	v_add_co_u32_e32 v14, vcc, 2, v16
	s_add_u32 s0, s26, -1
	v_addc_co_u32_e32 v15, vcc, 0, v15, vcc
	s_addc_u32 s1, s27, -1
	s_mov_b64 s[2:3], 0
	s_mov_b64 s[44:45], 0
                                        ; implicit-def: $sgpr42_sgpr43
	s_branch .LBB1297_203
.LBB1297_201:                           ;   in Loop: Header=BB1297_203 Depth=1
	global_load_ushort v16, v[14:15], off
	global_load_ushort v17, v[12:13], off
	v_add_co_u32_e32 v12, vcc, 2, v12
	v_addc_co_u32_e32 v13, vcc, 0, v13, vcc
	v_add_co_u32_e32 v14, vcc, 2, v14
	v_addc_co_u32_e32 v15, vcc, 0, v15, vcc
	s_add_u32 s44, s44, 1
	s_addc_u32 s45, s45, 0
	s_andn2_b64 s[42:43], s[42:43], exec
	s_waitcnt vmcnt(0)
	v_cmp_neq_f16_e32 vcc, v16, v17
	s_and_b64 s[46:47], vcc, exec
	s_or_b64 s[42:43], s[42:43], s[46:47]
.LBB1297_202:                           ;   in Loop: Header=BB1297_203 Depth=1
	s_and_b64 s[46:47], exec, s[42:43]
	s_or_b64 s[2:3], s[46:47], s[2:3]
	v_pk_mov_b32 v[16:17], s[44:45], s[44:45] op_sel:[0,1]
	s_andn2_b64 exec, exec, s[2:3]
	s_cbranch_execz .LBB1297_205
.LBB1297_203:                           ; =>This Inner Loop Header: Depth=1
	s_or_b64 s[42:43], s[42:43], exec
	s_cmp_eq_u64 s[0:1], s[44:45]
	s_cbranch_scc0 .LBB1297_201
; %bb.204:                              ;   in Loop: Header=BB1297_203 Depth=1
                                        ; implicit-def: $vgpr12_vgpr13
                                        ; implicit-def: $vgpr14_vgpr15
	s_mov_b64 s[44:45], s[26:27]
	s_branch .LBB1297_202
.LBB1297_205:
	s_or_b64 exec, exec, s[2:3]
	v_cmp_gt_i64_e32 vcc, s[26:27], v[16:17]
	s_orn2_b64 s[42:43], vcc, exec
.LBB1297_206:
	s_or_b64 exec, exec, s[38:39]
.LBB1297_207:
	s_and_b64 s[38:39], s[42:43], exec
.LBB1297_208:
	s_or_b64 exec, exec, s[40:41]
	v_cmp_gt_u32_e32 vcc, s7, v24
	s_and_saveexec_b64 s[40:41], vcc
	s_cbranch_execz .LBB1297_219
; %bb.209:
	s_andn2_b64 vcc, exec, s[14:15]
	s_mov_b64 s[42:43], 0
	s_cbranch_vccnz .LBB1297_218
; %bb.210:
	v_mul_lo_u32 v14, v7, s26
	v_mul_lo_u32 v15, v6, s27
	v_mad_u64_u32 v[12:13], s[0:1], v6, s26, 0
	v_add3_u32 v13, v13, v15, v14
	v_mul_lo_u32 v14, v9, s26
	v_mul_lo_u32 v15, v8, s27
	v_mad_u64_u32 v[18:19], s[0:1], v8, s26, 0
	v_add3_u32 v19, v19, v15, v14
	v_lshlrev_b64 v[14:15], 1, v[12:13]
	v_mov_b32_e32 v12, s29
	v_add_co_u32_e32 v16, vcc, s28, v14
	v_addc_co_u32_e64 v17, s[0:1], v12, v15, vcc
	v_lshlrev_b64 v[12:13], 1, v[18:19]
	v_mov_b32_e32 v14, s29
	v_add_co_u32_e64 v18, s[0:1], s28, v12
	v_addc_co_u32_e64 v19, s[2:3], v14, v13, s[0:1]
	global_load_ushort v12, v[16:17], off
	global_load_ushort v14, v[18:19], off
	s_mov_b64 s[42:43], -1
	s_waitcnt vmcnt(0)
	v_cmp_eq_f16_e64 s[2:3], v12, v14
	s_and_saveexec_b64 s[36:37], s[2:3]
	s_cbranch_execz .LBB1297_217
; %bb.211:
	v_mov_b32_e32 v12, s29
	v_addc_co_u32_e64 v13, s[0:1], v13, v12, s[0:1]
	v_add_co_u32_e64 v12, s[0:1], 2, v18
	v_mov_b32_e32 v14, s29
	v_addc_co_u32_e64 v13, s[0:1], 0, v13, s[0:1]
	v_addc_co_u32_e32 v15, vcc, v15, v14, vcc
	v_add_co_u32_e32 v14, vcc, 2, v16
	s_add_u32 s0, s26, -1
	v_addc_co_u32_e32 v15, vcc, 0, v15, vcc
	s_addc_u32 s1, s27, -1
	s_mov_b64 s[2:3], 0
	s_mov_b64 s[44:45], 0
                                        ; implicit-def: $sgpr42_sgpr43
	s_branch .LBB1297_214
.LBB1297_212:                           ;   in Loop: Header=BB1297_214 Depth=1
	global_load_ushort v16, v[14:15], off
	global_load_ushort v17, v[12:13], off
	v_add_co_u32_e32 v12, vcc, 2, v12
	v_addc_co_u32_e32 v13, vcc, 0, v13, vcc
	v_add_co_u32_e32 v14, vcc, 2, v14
	v_addc_co_u32_e32 v15, vcc, 0, v15, vcc
	s_add_u32 s44, s44, 1
	s_addc_u32 s45, s45, 0
	s_andn2_b64 s[42:43], s[42:43], exec
	s_waitcnt vmcnt(0)
	v_cmp_neq_f16_e32 vcc, v16, v17
	s_and_b64 s[46:47], vcc, exec
	s_or_b64 s[42:43], s[42:43], s[46:47]
.LBB1297_213:                           ;   in Loop: Header=BB1297_214 Depth=1
	s_and_b64 s[46:47], exec, s[42:43]
	s_or_b64 s[2:3], s[46:47], s[2:3]
	v_pk_mov_b32 v[16:17], s[44:45], s[44:45] op_sel:[0,1]
	s_andn2_b64 exec, exec, s[2:3]
	s_cbranch_execz .LBB1297_216
.LBB1297_214:                           ; =>This Inner Loop Header: Depth=1
	s_or_b64 s[42:43], s[42:43], exec
	s_cmp_eq_u64 s[0:1], s[44:45]
	s_cbranch_scc0 .LBB1297_212
; %bb.215:                              ;   in Loop: Header=BB1297_214 Depth=1
                                        ; implicit-def: $vgpr12_vgpr13
                                        ; implicit-def: $vgpr14_vgpr15
	s_mov_b64 s[44:45], s[26:27]
	s_branch .LBB1297_213
.LBB1297_216:
	s_or_b64 exec, exec, s[2:3]
	v_cmp_gt_i64_e32 vcc, s[26:27], v[16:17]
	s_orn2_b64 s[42:43], vcc, exec
.LBB1297_217:
	s_or_b64 exec, exec, s[36:37]
.LBB1297_218:
	s_and_b64 s[36:37], s[42:43], exec
.LBB1297_219:
	s_or_b64 exec, exec, s[40:41]
	v_cndmask_b32_e64 v13, 0, 1, s[18:19]
	v_cndmask_b32_e64 v14, 0, 1, s[36:37]
	;; [unrolled: 1-line block ×3, first 2 shown]
	v_lshlrev_b16_e32 v14, 8, v14
	v_lshlrev_b16_e32 v13, 8, v13
	v_or_b32_e32 v14, 1, v14
	v_or_b32_sdwa v12, v12, v13 dst_sel:WORD_1 dst_unused:UNUSED_PAD src0_sel:DWORD src1_sel:DWORD
	v_or_b32_sdwa v12, v14, v12 dst_sel:DWORD dst_unused:UNUSED_PAD src0_sel:WORD_0 src1_sel:DWORD
	v_cndmask_b32_e64 v13, 0, 1, s[8:9]
	v_cmp_ne_u32_e32 vcc, 0, v0
	s_waitcnt lgkmcnt(0)
	s_barrier
	s_waitcnt lgkmcnt(0)
                                        ; implicit-def: $sgpr18_sgpr19
                                        ; implicit-def: $vgpr16
	s_and_saveexec_b64 s[8:9], vcc
	s_cbranch_execz .LBB1297_232
; %bb.220:
	v_cmp_gt_u32_e32 vcc, s7, v1
	s_mov_b32 s33, 0x3020104
	s_mov_b64 s[0:1], 0
	s_and_saveexec_b64 s[18:19], vcc
	s_cbranch_execz .LBB1297_231
; %bb.221:
	s_andn2_b64 vcc, exec, s[14:15]
	s_mov_b64 s[36:37], 0
	s_cbranch_vccnz .LBB1297_230
; %bb.222:
	v_add_u32_e32 v14, -8, v26
	ds_read_b64 v[14:15], v14
	v_mul_lo_u32 v16, v7, s26
	v_mad_u64_u32 v[20:21], s[0:1], v6, s26, 0
	s_mov_b64 s[36:37], -1
	s_waitcnt lgkmcnt(0)
	v_mul_lo_u32 v17, v15, s26
	v_mul_lo_u32 v18, v14, s27
	v_mad_u64_u32 v[14:15], s[0:1], v14, s26, 0
	v_add3_u32 v15, v15, v18, v17
	v_mul_lo_u32 v17, v6, s27
	v_add3_u32 v21, v21, v17, v16
	v_lshlrev_b64 v[16:17], 1, v[14:15]
	v_mov_b32_e32 v14, s29
	v_add_co_u32_e32 v18, vcc, s28, v16
	v_addc_co_u32_e64 v19, s[0:1], v14, v17, vcc
	v_lshlrev_b64 v[14:15], 1, v[20:21]
	v_mov_b32_e32 v16, s29
	v_add_co_u32_e64 v20, s[0:1], s28, v14
	v_addc_co_u32_e64 v21, s[2:3], v16, v15, s[0:1]
	global_load_ushort v14, v[18:19], off
	global_load_ushort v16, v[20:21], off
	s_waitcnt vmcnt(0)
	v_cmp_eq_f16_e64 s[2:3], v14, v16
	s_and_saveexec_b64 s[14:15], s[2:3]
	s_cbranch_execz .LBB1297_229
; %bb.223:
	v_mov_b32_e32 v14, s29
	v_addc_co_u32_e64 v15, s[0:1], v15, v14, s[0:1]
	v_add_co_u32_e64 v14, s[0:1], 2, v20
	v_mov_b32_e32 v16, s29
	v_addc_co_u32_e64 v15, s[0:1], 0, v15, s[0:1]
	v_addc_co_u32_e32 v17, vcc, v17, v16, vcc
	v_add_co_u32_e32 v16, vcc, 2, v18
	s_add_u32 s0, s26, -1
	v_addc_co_u32_e32 v17, vcc, 0, v17, vcc
	s_addc_u32 s1, s27, -1
	s_mov_b64 s[2:3], 0
	s_mov_b64 s[36:37], 0
                                        ; implicit-def: $sgpr28_sgpr29
	s_branch .LBB1297_226
.LBB1297_224:                           ;   in Loop: Header=BB1297_226 Depth=1
	global_load_ushort v18, v[16:17], off
	global_load_ushort v19, v[14:15], off
	v_add_co_u32_e32 v14, vcc, 2, v14
	v_addc_co_u32_e32 v15, vcc, 0, v15, vcc
	v_add_co_u32_e32 v16, vcc, 2, v16
	v_addc_co_u32_e32 v17, vcc, 0, v17, vcc
	s_add_u32 s36, s36, 1
	s_addc_u32 s37, s37, 0
	s_andn2_b64 s[28:29], s[28:29], exec
	s_waitcnt vmcnt(0)
	v_cmp_neq_f16_e32 vcc, v18, v19
	s_and_b64 s[38:39], vcc, exec
	s_or_b64 s[28:29], s[28:29], s[38:39]
.LBB1297_225:                           ;   in Loop: Header=BB1297_226 Depth=1
	s_and_b64 s[38:39], exec, s[28:29]
	s_or_b64 s[2:3], s[38:39], s[2:3]
	v_pk_mov_b32 v[18:19], s[36:37], s[36:37] op_sel:[0,1]
	s_andn2_b64 exec, exec, s[2:3]
	s_cbranch_execz .LBB1297_228
.LBB1297_226:                           ; =>This Inner Loop Header: Depth=1
	s_or_b64 s[28:29], s[28:29], exec
	s_cmp_eq_u64 s[0:1], s[36:37]
	s_cbranch_scc0 .LBB1297_224
; %bb.227:                              ;   in Loop: Header=BB1297_226 Depth=1
                                        ; implicit-def: $vgpr14_vgpr15
                                        ; implicit-def: $vgpr16_vgpr17
	s_mov_b64 s[36:37], s[26:27]
	s_branch .LBB1297_225
.LBB1297_228:
	s_or_b64 exec, exec, s[2:3]
	v_cmp_gt_i64_e32 vcc, s[26:27], v[18:19]
	s_orn2_b64 s[36:37], vcc, exec
.LBB1297_229:
	s_or_b64 exec, exec, s[14:15]
.LBB1297_230:
	s_and_b64 s[0:1], s[36:37], exec
.LBB1297_231:
	s_or_b64 exec, exec, s[18:19]
	v_perm_b32 v16, v12, v12, s33
	s_and_b64 s[18:19], s[0:1], exec
	s_or_b64 s[12:13], s[12:13], exec
.LBB1297_232:
	s_or_b64 exec, exec, s[8:9]
.LBB1297_233:
	s_and_saveexec_b64 s[0:1], s[12:13]
	s_cbranch_execz .LBB1297_235
; %bb.234:
	v_lshrrev_b32_e32 v14, 24, v16
	s_movk_i32 s2, 0xff
	v_lshlrev_b16_e32 v14, 8, v14
	v_and_b32_sdwa v15, v16, s2 dst_sel:DWORD dst_unused:UNUSED_PAD src0_sel:WORD_1 src1_sel:DWORD
	v_or_b32_sdwa v14, v15, v14 dst_sel:WORD_1 dst_unused:UNUSED_PAD src0_sel:DWORD src1_sel:DWORD
	v_mov_b32_e32 v15, 8
	v_cndmask_b32_e64 v12, 0, 1, s[18:19]
	v_lshrrev_b32_sdwa v15, v15, v16 dst_sel:BYTE_1 dst_unused:UNUSED_PAD src0_sel:DWORD src1_sel:DWORD
	v_or_b32_e32 v12, v12, v15
	s_mov_b32 s2, 0xffff
	v_or_b32_sdwa v12, v12, v14 dst_sel:DWORD dst_unused:UNUSED_PAD src0_sel:WORD_0 src1_sel:DWORD
	v_and_b32_sdwa v13, s2, v13 dst_sel:DWORD dst_unused:UNUSED_PAD src0_sel:DWORD src1_sel:BYTE_0
.LBB1297_235:
	s_or_b64 exec, exec, s[0:1]
	s_andn2_b64 vcc, exec, s[10:11]
	s_cbranch_vccnz .LBB1297_237
; %bb.236:
	v_cmp_gt_u32_e32 vcc, s7, v1
	v_cndmask_b32_e32 v1, 0, v12, vcc
	v_and_b32_e32 v1, 0xffff00ff, v1
	v_cmp_gt_u32_e64 s[0:1], s7, v24
	v_cndmask_b32_e64 v1, v1, v12, s[0:1]
	v_lshrrev_b32_e32 v14, 24, v1
	s_mov_b32 s2, 0x40c0100
	v_perm_b32 v1, v14, v1, s2
	v_cmp_gt_u32_e64 s[2:3], s7, v22
	v_cmp_gt_u32_e64 s[8:9], s7, v25
	v_cndmask_b32_e64 v1, v1, v12, s[2:3]
	s_or_b64 s[2:3], s[8:9], s[2:3]
	s_or_b64 s[0:1], s[2:3], s[0:1]
	s_or_b64 vcc, s[0:1], vcc
	v_and_b32_e32 v1, 0xffffff, v1
	v_cndmask_b32_e32 v14, 0, v13, vcc
	v_cndmask_b32_e64 v1, v1, v12, s[8:9]
	v_and_b32_e32 v14, 0xffffff00, v14
	v_cmp_gt_u32_e32 vcc, s7, v23
	v_cndmask_b32_e32 v1, v1, v12, vcc
	v_cndmask_b32_e32 v12, v14, v13, vcc
	s_mov_b32 s0, 0x3020104
	v_and_b32_e32 v13, 0xff, v12
	v_perm_b32 v12, v1, v1, s0
.LBB1297_237:
	v_and_b32_e32 v1, 0xff, v12
	v_bfe_u32 v25, v12, 8, 8
	v_bfe_u32 v27, v12, 16, 8
	v_alignbit_b32 v14, v13, v12, 24
	v_and_b32_e32 v28, 0xff, v14
	v_and_b32_e32 v14, 0xff, v13
	v_add3_u32 v15, v25, v1, v27
	v_add3_u32 v31, v15, v28, v14
	v_mbcnt_lo_u32_b32 v14, -1, 0
	v_mbcnt_hi_u32_b32 v29, -1, v14
	v_and_b32_e32 v14, 15, v29
	v_cmp_eq_u32_e64 s[14:15], 0, v14
	v_cmp_lt_u32_e64 s[12:13], 1, v14
	v_cmp_lt_u32_e64 s[10:11], 3, v14
	;; [unrolled: 1-line block ×3, first 2 shown]
	v_and_b32_e32 v14, 16, v29
	v_cmp_eq_u32_e64 s[18:19], 0, v14
	v_or_b32_e32 v14, 63, v0
	v_cmp_lt_u32_e64 s[0:1], 31, v29
	v_lshrrev_b32_e32 v30, 6, v0
	v_cmp_eq_u32_e64 s[2:3], v14, v0
	s_and_b64 vcc, exec, s[16:17]
	s_waitcnt lgkmcnt(0)
	s_barrier
	s_cbranch_vccz .LBB1297_264
; %bb.238:
	v_mov_b32_dpp v14, v31 row_shr:1 row_mask:0xf bank_mask:0xf
	v_cndmask_b32_e64 v14, v14, 0, s[14:15]
	v_add_u32_e32 v14, v14, v31
	s_nop 1
	v_mov_b32_dpp v15, v14 row_shr:2 row_mask:0xf bank_mask:0xf
	v_cndmask_b32_e64 v15, 0, v15, s[12:13]
	v_add_u32_e32 v14, v14, v15
	s_nop 1
	;; [unrolled: 4-line block ×4, first 2 shown]
	v_mov_b32_dpp v15, v14 row_bcast:15 row_mask:0xf bank_mask:0xf
	v_cndmask_b32_e64 v15, v15, 0, s[18:19]
	v_add_u32_e32 v14, v14, v15
	s_nop 1
	v_mov_b32_dpp v15, v14 row_bcast:31 row_mask:0xf bank_mask:0xf
	v_cndmask_b32_e64 v15, 0, v15, s[0:1]
	v_add_u32_e32 v14, v14, v15
	s_and_saveexec_b64 s[16:17], s[2:3]
	s_cbranch_execz .LBB1297_240
; %bb.239:
	v_lshlrev_b32_e32 v15, 2, v30
	ds_write_b32 v15, v14
.LBB1297_240:
	s_or_b64 exec, exec, s[16:17]
	v_cmp_gt_u32_e32 vcc, 4, v0
	s_waitcnt lgkmcnt(0)
	s_barrier
	s_and_saveexec_b64 s[16:17], vcc
	s_cbranch_execz .LBB1297_242
; %bb.241:
	v_lshlrev_b32_e32 v15, 2, v0
	ds_read_b32 v16, v15
	v_and_b32_e32 v17, 3, v29
	v_cmp_ne_u32_e32 vcc, 0, v17
	s_waitcnt lgkmcnt(0)
	v_mov_b32_dpp v18, v16 row_shr:1 row_mask:0xf bank_mask:0xf
	v_cndmask_b32_e32 v18, 0, v18, vcc
	v_add_u32_e32 v16, v18, v16
	v_cmp_lt_u32_e32 vcc, 1, v17
	s_nop 0
	v_mov_b32_dpp v18, v16 row_shr:2 row_mask:0xf bank_mask:0xf
	v_cndmask_b32_e32 v17, 0, v18, vcc
	v_add_u32_e32 v16, v16, v17
	ds_write_b32 v15, v16
.LBB1297_242:
	s_or_b64 exec, exec, s[16:17]
	v_cmp_gt_u32_e32 vcc, 64, v0
	v_cmp_lt_u32_e64 s[16:17], 63, v0
	s_waitcnt lgkmcnt(0)
	s_barrier
	s_waitcnt lgkmcnt(0)
                                        ; implicit-def: $vgpr24
	s_and_saveexec_b64 s[26:27], s[16:17]
	s_cbranch_execz .LBB1297_244
; %bb.243:
	v_lshl_add_u32 v15, v30, 2, -4
	ds_read_b32 v24, v15
	s_waitcnt lgkmcnt(0)
	v_add_u32_e32 v14, v24, v14
.LBB1297_244:
	s_or_b64 exec, exec, s[26:27]
	v_add_u32_e32 v15, -1, v29
	v_and_b32_e32 v16, 64, v29
	v_cmp_lt_i32_e64 s[16:17], v15, v16
	v_cndmask_b32_e64 v15, v15, v29, s[16:17]
	v_lshlrev_b32_e32 v15, 2, v15
	ds_bpermute_b32 v26, v15, v14
	v_cmp_eq_u32_e64 s[16:17], 0, v29
	s_and_saveexec_b64 s[26:27], vcc
	s_cbranch_execz .LBB1297_263
; %bb.245:
	v_mov_b32_e32 v21, 0
	ds_read_b32 v14, v21 offset:12
	s_and_saveexec_b64 s[28:29], s[16:17]
	s_cbranch_execz .LBB1297_247
; %bb.246:
	s_add_i32 s36, s6, 64
	s_mov_b32 s37, 0
	s_lshl_b64 s[36:37], s[36:37], 3
	s_add_u32 s36, s30, s36
	v_mov_b32_e32 v15, 1
	s_addc_u32 s37, s31, s37
	s_waitcnt lgkmcnt(0)
	global_store_dwordx2 v21, v[14:15], s[36:37]
.LBB1297_247:
	s_or_b64 exec, exec, s[28:29]
	v_xad_u32 v16, v29, -1, s6
	v_add_u32_e32 v20, 64, v16
	v_lshlrev_b64 v[18:19], 3, v[20:21]
	v_mov_b32_e32 v15, s31
	v_add_co_u32_e32 v22, vcc, s30, v18
	v_addc_co_u32_e32 v23, vcc, v15, v19, vcc
	global_load_dwordx2 v[18:19], v[22:23], off glc
	s_waitcnt vmcnt(0)
	v_cmp_eq_u16_sdwa s[36:37], v19, v21 src0_sel:BYTE_0 src1_sel:DWORD
	s_and_saveexec_b64 s[28:29], s[36:37]
	s_cbranch_execz .LBB1297_251
; %bb.248:
	s_mov_b64 s[36:37], 0
	v_mov_b32_e32 v15, 0
.LBB1297_249:                           ; =>This Inner Loop Header: Depth=1
	global_load_dwordx2 v[18:19], v[22:23], off glc
	s_waitcnt vmcnt(0)
	v_cmp_ne_u16_sdwa s[38:39], v19, v15 src0_sel:BYTE_0 src1_sel:DWORD
	s_or_b64 s[36:37], s[38:39], s[36:37]
	s_andn2_b64 exec, exec, s[36:37]
	s_cbranch_execnz .LBB1297_249
; %bb.250:
	s_or_b64 exec, exec, s[36:37]
.LBB1297_251:
	s_or_b64 exec, exec, s[28:29]
	v_and_b32_e32 v32, 63, v29
	v_mov_b32_e32 v15, 2
	v_cmp_ne_u32_e32 vcc, 63, v32
	v_cmp_eq_u16_sdwa s[28:29], v19, v15 src0_sel:BYTE_0 src1_sel:DWORD
	v_lshlrev_b64 v[20:21], v29, -1
	v_addc_co_u32_e32 v23, vcc, 0, v29, vcc
	v_and_b32_e32 v17, s29, v21
	v_lshlrev_b32_e32 v33, 2, v23
	v_or_b32_e32 v17, 0x80000000, v17
	ds_bpermute_b32 v23, v33, v18
	v_and_b32_e32 v22, s28, v20
	v_ffbl_b32_e32 v17, v17
	v_add_u32_e32 v17, 32, v17
	v_ffbl_b32_e32 v22, v22
	v_min_u32_e32 v17, v22, v17
	v_cmp_lt_u32_e32 vcc, v32, v17
	s_waitcnt lgkmcnt(0)
	v_cndmask_b32_e32 v22, 0, v23, vcc
	v_cmp_gt_u32_e32 vcc, 62, v32
	v_add_u32_e32 v18, v22, v18
	v_cndmask_b32_e64 v22, 0, 1, vcc
	v_lshlrev_b32_e32 v22, 1, v22
	v_add_lshl_u32 v34, v22, v29, 2
	ds_bpermute_b32 v22, v34, v18
	v_add_u32_e32 v35, 2, v32
	v_cmp_le_u32_e32 vcc, v35, v17
	v_add_u32_e32 v37, 4, v32
	v_add_u32_e32 v39, 8, v32
	s_waitcnt lgkmcnt(0)
	v_cndmask_b32_e32 v22, 0, v22, vcc
	v_cmp_gt_u32_e32 vcc, 60, v32
	v_add_u32_e32 v18, v18, v22
	v_cndmask_b32_e64 v22, 0, 1, vcc
	v_lshlrev_b32_e32 v22, 2, v22
	v_add_lshl_u32 v36, v22, v29, 2
	ds_bpermute_b32 v22, v36, v18
	v_cmp_le_u32_e32 vcc, v37, v17
	v_add_u32_e32 v42, 16, v32
	v_add_u32_e32 v44, 32, v32
	s_waitcnt lgkmcnt(0)
	v_cndmask_b32_e32 v22, 0, v22, vcc
	v_cmp_gt_u32_e32 vcc, 56, v32
	v_add_u32_e32 v18, v18, v22
	v_cndmask_b32_e64 v22, 0, 1, vcc
	v_lshlrev_b32_e32 v22, 3, v22
	v_add_lshl_u32 v38, v22, v29, 2
	ds_bpermute_b32 v22, v38, v18
	v_cmp_le_u32_e32 vcc, v39, v17
	s_waitcnt lgkmcnt(0)
	v_cndmask_b32_e32 v22, 0, v22, vcc
	v_cmp_gt_u32_e32 vcc, 48, v32
	v_add_u32_e32 v18, v18, v22
	v_cndmask_b32_e64 v22, 0, 1, vcc
	v_lshlrev_b32_e32 v22, 4, v22
	v_add_lshl_u32 v41, v22, v29, 2
	ds_bpermute_b32 v22, v41, v18
	v_cmp_le_u32_e32 vcc, v42, v17
	;; [unrolled: 9-line block ×3, first 2 shown]
	s_waitcnt lgkmcnt(0)
	v_cndmask_b32_e32 v17, 0, v22, vcc
	v_add_u32_e32 v18, v18, v17
	v_mov_b32_e32 v17, 0
	s_branch .LBB1297_253
.LBB1297_252:                           ;   in Loop: Header=BB1297_253 Depth=1
	s_or_b64 exec, exec, s[28:29]
	v_cmp_eq_u16_sdwa s[28:29], v19, v15 src0_sel:BYTE_0 src1_sel:DWORD
	v_and_b32_e32 v22, s29, v21
	v_or_b32_e32 v22, 0x80000000, v22
	ds_bpermute_b32 v45, v33, v18
	v_and_b32_e32 v23, s28, v20
	v_ffbl_b32_e32 v22, v22
	v_add_u32_e32 v22, 32, v22
	v_ffbl_b32_e32 v23, v23
	v_min_u32_e32 v22, v23, v22
	v_cmp_lt_u32_e32 vcc, v32, v22
	s_waitcnt lgkmcnt(0)
	v_cndmask_b32_e32 v23, 0, v45, vcc
	v_add_u32_e32 v18, v23, v18
	ds_bpermute_b32 v23, v34, v18
	v_cmp_le_u32_e32 vcc, v35, v22
	v_subrev_u32_e32 v16, 64, v16
	s_waitcnt lgkmcnt(0)
	v_cndmask_b32_e32 v23, 0, v23, vcc
	v_add_u32_e32 v18, v18, v23
	ds_bpermute_b32 v23, v36, v18
	v_cmp_le_u32_e32 vcc, v37, v22
	s_waitcnt lgkmcnt(0)
	v_cndmask_b32_e32 v23, 0, v23, vcc
	v_add_u32_e32 v18, v18, v23
	ds_bpermute_b32 v23, v38, v18
	v_cmp_le_u32_e32 vcc, v39, v22
	;; [unrolled: 5-line block ×4, first 2 shown]
	s_waitcnt lgkmcnt(0)
	v_cndmask_b32_e32 v22, 0, v23, vcc
	v_add3_u32 v18, v22, v40, v18
.LBB1297_253:                           ; =>This Loop Header: Depth=1
                                        ;     Child Loop BB1297_256 Depth 2
	v_cmp_ne_u16_sdwa s[28:29], v19, v15 src0_sel:BYTE_0 src1_sel:DWORD
	v_cndmask_b32_e64 v19, 0, 1, s[28:29]
	;;#ASMSTART
	;;#ASMEND
	v_cmp_ne_u32_e32 vcc, 0, v19
	s_cmp_lg_u64 vcc, exec
	v_mov_b32_e32 v40, v18
	s_cbranch_scc1 .LBB1297_258
; %bb.254:                              ;   in Loop: Header=BB1297_253 Depth=1
	v_lshlrev_b64 v[18:19], 3, v[16:17]
	v_mov_b32_e32 v23, s31
	v_add_co_u32_e32 v22, vcc, s30, v18
	v_addc_co_u32_e32 v23, vcc, v23, v19, vcc
	global_load_dwordx2 v[18:19], v[22:23], off glc
	s_waitcnt vmcnt(0)
	v_cmp_eq_u16_sdwa s[36:37], v19, v17 src0_sel:BYTE_0 src1_sel:DWORD
	s_and_saveexec_b64 s[28:29], s[36:37]
	s_cbranch_execz .LBB1297_252
; %bb.255:                              ;   in Loop: Header=BB1297_253 Depth=1
	s_mov_b64 s[36:37], 0
.LBB1297_256:                           ;   Parent Loop BB1297_253 Depth=1
                                        ; =>  This Inner Loop Header: Depth=2
	global_load_dwordx2 v[18:19], v[22:23], off glc
	s_waitcnt vmcnt(0)
	v_cmp_ne_u16_sdwa s[38:39], v19, v17 src0_sel:BYTE_0 src1_sel:DWORD
	s_or_b64 s[36:37], s[38:39], s[36:37]
	s_andn2_b64 exec, exec, s[36:37]
	s_cbranch_execnz .LBB1297_256
; %bb.257:                              ;   in Loop: Header=BB1297_253 Depth=1
	s_or_b64 exec, exec, s[36:37]
	s_branch .LBB1297_252
.LBB1297_258:                           ;   in Loop: Header=BB1297_253 Depth=1
                                        ; implicit-def: $vgpr18
                                        ; implicit-def: $vgpr19
	s_cbranch_execz .LBB1297_253
; %bb.259:
	s_and_saveexec_b64 s[28:29], s[16:17]
	s_cbranch_execz .LBB1297_261
; %bb.260:
	s_add_i32 s6, s6, 64
	s_mov_b32 s7, 0
	s_lshl_b64 s[6:7], s[6:7], 3
	s_add_u32 s6, s30, s6
	v_add_u32_e32 v16, v40, v14
	v_mov_b32_e32 v17, 2
	s_addc_u32 s7, s31, s7
	v_mov_b32_e32 v15, 0
	global_store_dwordx2 v15, v[16:17], s[6:7]
	s_movk_i32 s6, 0x2800
	v_add_u32_e64 v15, s6, 0
	ds_write2_b32 v15, v14, v40 offset1:2
.LBB1297_261:
	s_or_b64 exec, exec, s[28:29]
	v_cmp_eq_u32_e32 vcc, 0, v0
	s_and_b64 exec, exec, vcc
	s_cbranch_execz .LBB1297_263
; %bb.262:
	v_mov_b32_e32 v14, 0
	ds_write_b32 v14, v40 offset:12
.LBB1297_263:
	s_or_b64 exec, exec, s[26:27]
	v_mov_b32_e32 v14, 0
	s_waitcnt lgkmcnt(0)
	s_barrier
	ds_read_b32 v14, v14 offset:12
	v_cndmask_b32_e64 v15, v26, v24, s[16:17]
	v_cmp_ne_u32_e32 vcc, 0, v0
	v_cndmask_b32_e32 v15, 0, v15, vcc
	s_movk_i32 s6, 0x2800
	s_waitcnt lgkmcnt(0)
	v_add_u32_e32 v26, v14, v15
	v_add_u32_e64 v14, s6, 0
	s_barrier
	ds_read2_b32 v[14:15], v14 offset1:2
	v_add_u32_e32 v24, v26, v1
	v_add_u32_e32 v22, v24, v25
	v_add_u32_e32 v20, v22, v27
	v_add_u32_e32 v18, v20, v28
	s_load_dwordx2 s[4:5], s[4:5], 0x28
	v_lshrrev_b64 v[16:17], 24, v[12:13]
	s_branch .LBB1297_274
.LBB1297_264:
                                        ; implicit-def: $vgpr18
                                        ; implicit-def: $vgpr20
                                        ; implicit-def: $vgpr22
                                        ; implicit-def: $vgpr24
                                        ; implicit-def: $vgpr26
                                        ; implicit-def: $vgpr15
	s_load_dwordx2 s[4:5], s[4:5], 0x28
	v_lshrrev_b64 v[16:17], 24, v[12:13]
	s_cbranch_execz .LBB1297_274
; %bb.265:
	s_waitcnt lgkmcnt(0)
	v_mov_b32_dpp v14, v31 row_shr:1 row_mask:0xf bank_mask:0xf
	v_cndmask_b32_e64 v14, v14, 0, s[14:15]
	v_add_u32_e32 v14, v14, v31
	s_nop 1
	v_mov_b32_dpp v15, v14 row_shr:2 row_mask:0xf bank_mask:0xf
	v_cndmask_b32_e64 v15, 0, v15, s[12:13]
	v_add_u32_e32 v14, v14, v15
	s_nop 1
	;; [unrolled: 4-line block ×4, first 2 shown]
	v_mov_b32_dpp v15, v14 row_bcast:15 row_mask:0xf bank_mask:0xf
	v_cndmask_b32_e64 v15, v15, 0, s[18:19]
	v_add_u32_e32 v14, v14, v15
	s_nop 1
	v_mov_b32_dpp v15, v14 row_bcast:31 row_mask:0xf bank_mask:0xf
	v_cndmask_b32_e64 v15, 0, v15, s[0:1]
	v_add_u32_e32 v14, v14, v15
	s_and_saveexec_b64 s[0:1], s[2:3]
	s_cbranch_execz .LBB1297_267
; %bb.266:
	v_lshlrev_b32_e32 v15, 2, v30
	ds_write_b32 v15, v14
.LBB1297_267:
	s_or_b64 exec, exec, s[0:1]
	v_cmp_gt_u32_e32 vcc, 4, v0
	s_waitcnt lgkmcnt(0)
	s_barrier
	s_and_saveexec_b64 s[0:1], vcc
	s_cbranch_execz .LBB1297_269
; %bb.268:
	v_lshlrev_b32_e32 v15, 2, v0
	ds_read_b32 v17, v15
	v_and_b32_e32 v18, 3, v29
	v_cmp_ne_u32_e32 vcc, 0, v18
	s_waitcnt lgkmcnt(0)
	v_mov_b32_dpp v19, v17 row_shr:1 row_mask:0xf bank_mask:0xf
	v_cndmask_b32_e32 v19, 0, v19, vcc
	v_add_u32_e32 v17, v19, v17
	v_cmp_lt_u32_e32 vcc, 1, v18
	s_nop 0
	v_mov_b32_dpp v19, v17 row_shr:2 row_mask:0xf bank_mask:0xf
	v_cndmask_b32_e32 v18, 0, v19, vcc
	v_add_u32_e32 v17, v17, v18
	ds_write_b32 v15, v17
.LBB1297_269:
	s_or_b64 exec, exec, s[0:1]
	v_cmp_lt_u32_e32 vcc, 63, v0
	v_mov_b32_e32 v15, 0
	v_mov_b32_e32 v17, 0
	s_waitcnt lgkmcnt(0)
	s_barrier
	s_and_saveexec_b64 s[0:1], vcc
	s_cbranch_execz .LBB1297_271
; %bb.270:
	v_lshl_add_u32 v17, v30, 2, -4
	ds_read_b32 v17, v17
.LBB1297_271:
	s_or_b64 exec, exec, s[0:1]
	v_add_u32_e32 v18, -1, v29
	v_and_b32_e32 v19, 64, v29
	v_cmp_lt_i32_e32 vcc, v18, v19
	v_cndmask_b32_e32 v18, v18, v29, vcc
	s_waitcnt lgkmcnt(0)
	v_add_u32_e32 v14, v17, v14
	v_lshlrev_b32_e32 v18, 2, v18
	ds_bpermute_b32 v18, v18, v14
	ds_read_b32 v14, v15 offset:12
	v_cmp_eq_u32_e32 vcc, 0, v0
	s_and_saveexec_b64 s[0:1], vcc
	s_cbranch_execz .LBB1297_273
; %bb.272:
	v_mov_b32_e32 v19, 0
	v_mov_b32_e32 v15, 2
	s_waitcnt lgkmcnt(0)
	global_store_dwordx2 v19, v[14:15], s[30:31] offset:512
.LBB1297_273:
	s_or_b64 exec, exec, s[0:1]
	v_cmp_eq_u32_e64 s[0:1], 0, v29
	s_waitcnt lgkmcnt(1)
	v_cndmask_b32_e64 v17, v18, v17, s[0:1]
	v_cndmask_b32_e64 v26, v17, 0, vcc
	v_add_u32_e32 v24, v26, v1
	v_add_u32_e32 v22, v24, v25
	;; [unrolled: 1-line block ×3, first 2 shown]
	v_mov_b32_e32 v15, 0
	v_add_u32_e32 v18, v20, v28
	s_waitcnt lgkmcnt(0)
	s_barrier
.LBB1297_274:
	s_movk_i32 s0, 0x101
	s_waitcnt lgkmcnt(0)
	v_cmp_gt_u32_e32 vcc, s0, v14
	v_lshrrev_b32_e32 v1, 8, v12
	s_mov_b64 s[0:1], -1
	s_cbranch_vccnz .LBB1297_278
; %bb.275:
	s_and_b64 vcc, exec, s[0:1]
	s_cbranch_vccnz .LBB1297_294
.LBB1297_276:
	v_cmp_eq_u32_e32 vcc, 0, v0
	s_and_b64 s[0:1], vcc, s[24:25]
	s_and_saveexec_b64 s[2:3], s[0:1]
	s_cbranch_execnz .LBB1297_308
.LBB1297_277:
	s_endpgm
.LBB1297_278:
	v_add_u32_e32 v17, v15, v14
	v_cmp_lt_u32_e32 vcc, v26, v17
	s_or_b64 s[2:3], s[34:35], vcc
	s_and_saveexec_b64 s[0:1], s[2:3]
	s_cbranch_execz .LBB1297_281
; %bb.279:
	v_and_b32_e32 v19, 1, v12
	v_cmp_eq_u32_e32 vcc, 1, v19
	s_and_b64 exec, exec, vcc
	s_cbranch_execz .LBB1297_281
; %bb.280:
	s_lshl_b64 s[2:3], s[22:23], 3
	s_add_u32 s2, s4, s2
	v_mov_b32_e32 v27, 0
	s_addc_u32 s3, s5, s3
	v_lshlrev_b64 v[28:29], 3, v[26:27]
	v_mov_b32_e32 v19, s3
	v_add_co_u32_e32 v28, vcc, s2, v28
	v_addc_co_u32_e32 v29, vcc, v19, v29, vcc
	global_store_dwordx2 v[28:29], v[6:7], off
.LBB1297_281:
	s_or_b64 exec, exec, s[0:1]
	v_cmp_lt_u32_e32 vcc, v24, v17
	s_or_b64 s[2:3], s[34:35], vcc
	s_and_saveexec_b64 s[0:1], s[2:3]
	s_cbranch_execz .LBB1297_284
; %bb.282:
	v_and_b32_e32 v19, 1, v1
	v_cmp_eq_u32_e32 vcc, 1, v19
	s_and_b64 exec, exec, vcc
	s_cbranch_execz .LBB1297_284
; %bb.283:
	s_lshl_b64 s[2:3], s[22:23], 3
	s_add_u32 s2, s4, s2
	v_mov_b32_e32 v25, 0
	s_addc_u32 s3, s5, s3
	v_lshlrev_b64 v[28:29], 3, v[24:25]
	v_mov_b32_e32 v19, s3
	v_add_co_u32_e32 v28, vcc, s2, v28
	v_addc_co_u32_e32 v29, vcc, v19, v29, vcc
	global_store_dwordx2 v[28:29], v[8:9], off
.LBB1297_284:
	s_or_b64 exec, exec, s[0:1]
	v_cmp_lt_u32_e32 vcc, v22, v17
	s_or_b64 s[2:3], s[34:35], vcc
	s_and_saveexec_b64 s[0:1], s[2:3]
	s_cbranch_execz .LBB1297_287
; %bb.285:
	v_mov_b32_e32 v19, 1
	v_and_b32_sdwa v19, v19, v12 dst_sel:DWORD dst_unused:UNUSED_PAD src0_sel:DWORD src1_sel:WORD_1
	v_cmp_eq_u32_e32 vcc, 1, v19
	s_and_b64 exec, exec, vcc
	s_cbranch_execz .LBB1297_287
; %bb.286:
	s_lshl_b64 s[2:3], s[22:23], 3
	s_add_u32 s2, s4, s2
	v_mov_b32_e32 v23, 0
	s_addc_u32 s3, s5, s3
	v_lshlrev_b64 v[28:29], 3, v[22:23]
	v_mov_b32_e32 v19, s3
	v_add_co_u32_e32 v28, vcc, s2, v28
	v_addc_co_u32_e32 v29, vcc, v19, v29, vcc
	global_store_dwordx2 v[28:29], v[2:3], off
.LBB1297_287:
	s_or_b64 exec, exec, s[0:1]
	v_cmp_lt_u32_e32 vcc, v20, v17
	s_or_b64 s[2:3], s[34:35], vcc
	s_and_saveexec_b64 s[0:1], s[2:3]
	s_cbranch_execz .LBB1297_290
; %bb.288:
	v_and_b32_e32 v19, 1, v16
	v_cmp_eq_u32_e32 vcc, 1, v19
	s_and_b64 exec, exec, vcc
	s_cbranch_execz .LBB1297_290
; %bb.289:
	s_lshl_b64 s[2:3], s[22:23], 3
	s_add_u32 s2, s4, s2
	v_mov_b32_e32 v21, 0
	s_addc_u32 s3, s5, s3
	v_lshlrev_b64 v[28:29], 3, v[20:21]
	v_mov_b32_e32 v19, s3
	v_add_co_u32_e32 v28, vcc, s2, v28
	v_addc_co_u32_e32 v29, vcc, v19, v29, vcc
	global_store_dwordx2 v[28:29], v[4:5], off
.LBB1297_290:
	s_or_b64 exec, exec, s[0:1]
	v_cmp_lt_u32_e32 vcc, v18, v17
	s_or_b64 s[2:3], s[34:35], vcc
	s_and_saveexec_b64 s[0:1], s[2:3]
	s_cbranch_execz .LBB1297_293
; %bb.291:
	v_and_b32_e32 v17, 1, v13
	v_cmp_eq_u32_e32 vcc, 1, v17
	s_and_b64 exec, exec, vcc
	s_cbranch_execz .LBB1297_293
; %bb.292:
	s_lshl_b64 s[2:3], s[22:23], 3
	s_add_u32 s2, s4, s2
	v_mov_b32_e32 v19, 0
	s_addc_u32 s3, s5, s3
	v_lshlrev_b64 v[28:29], 3, v[18:19]
	v_mov_b32_e32 v17, s3
	v_add_co_u32_e32 v28, vcc, s2, v28
	v_addc_co_u32_e32 v29, vcc, v17, v29, vcc
	global_store_dwordx2 v[28:29], v[10:11], off
.LBB1297_293:
	s_or_b64 exec, exec, s[0:1]
	s_branch .LBB1297_276
.LBB1297_294:
	v_and_b32_e32 v17, 1, v12
	v_cmp_eq_u32_e32 vcc, 1, v17
	s_and_saveexec_b64 s[0:1], vcc
	s_cbranch_execz .LBB1297_296
; %bb.295:
	v_sub_u32_e32 v17, v26, v15
	v_lshlrev_b32_e32 v17, 3, v17
	ds_write_b64 v17, v[6:7]
.LBB1297_296:
	s_or_b64 exec, exec, s[0:1]
	v_and_b32_e32 v1, 1, v1
	v_cmp_eq_u32_e32 vcc, 1, v1
	s_and_saveexec_b64 s[0:1], vcc
	s_cbranch_execz .LBB1297_298
; %bb.297:
	v_sub_u32_e32 v1, v24, v15
	v_lshlrev_b32_e32 v1, 3, v1
	ds_write_b64 v1, v[8:9]
.LBB1297_298:
	s_or_b64 exec, exec, s[0:1]
	v_mov_b32_e32 v1, 1
	v_and_b32_sdwa v1, v1, v12 dst_sel:DWORD dst_unused:UNUSED_PAD src0_sel:DWORD src1_sel:WORD_1
	v_cmp_eq_u32_e32 vcc, 1, v1
	s_and_saveexec_b64 s[0:1], vcc
	s_cbranch_execz .LBB1297_300
; %bb.299:
	v_sub_u32_e32 v1, v22, v15
	v_lshlrev_b32_e32 v1, 3, v1
	ds_write_b64 v1, v[2:3]
.LBB1297_300:
	s_or_b64 exec, exec, s[0:1]
	v_and_b32_e32 v1, 1, v16
	v_cmp_eq_u32_e32 vcc, 1, v1
	s_and_saveexec_b64 s[0:1], vcc
	s_cbranch_execz .LBB1297_302
; %bb.301:
	v_sub_u32_e32 v1, v20, v15
	v_lshlrev_b32_e32 v1, 3, v1
	ds_write_b64 v1, v[4:5]
.LBB1297_302:
	s_or_b64 exec, exec, s[0:1]
	v_and_b32_e32 v1, 1, v13
	v_cmp_eq_u32_e32 vcc, 1, v1
	s_and_saveexec_b64 s[0:1], vcc
	s_cbranch_execz .LBB1297_304
; %bb.303:
	v_sub_u32_e32 v1, v18, v15
	v_lshlrev_b32_e32 v1, 3, v1
	ds_write_b64 v1, v[10:11]
.LBB1297_304:
	s_or_b64 exec, exec, s[0:1]
	v_cmp_lt_u32_e32 vcc, v0, v14
	s_waitcnt lgkmcnt(0)
	s_barrier
	s_and_saveexec_b64 s[0:1], vcc
	s_cbranch_execz .LBB1297_307
; %bb.305:
	v_mov_b32_e32 v3, 0
	v_mov_b32_e32 v2, v15
	v_lshlrev_b64 v[4:5], 3, v[2:3]
	v_mov_b32_e32 v1, s5
	v_add_co_u32_e32 v2, vcc, s4, v4
	v_addc_co_u32_e32 v4, vcc, v1, v5, vcc
	s_lshl_b64 s[2:3], s[22:23], 3
	v_mov_b32_e32 v5, s3
	v_add_co_u32_e32 v1, vcc, s2, v2
	v_addc_co_u32_e32 v4, vcc, v4, v5, vcc
	v_lshlrev_b32_e32 v5, 3, v0
	s_mov_b64 s[2:3], 0
	v_mov_b32_e32 v2, v0
.LBB1297_306:                           ; =>This Inner Loop Header: Depth=1
	ds_read_b64 v[6:7], v5
	v_lshlrev_b64 v[8:9], 3, v[2:3]
	v_add_co_u32_e32 v8, vcc, v1, v8
	v_add_u32_e32 v2, 0x100, v2
	v_addc_co_u32_e32 v9, vcc, v4, v9, vcc
	v_cmp_ge_u32_e32 vcc, v2, v14
	v_add_u32_e32 v5, 0x800, v5
	s_or_b64 s[2:3], vcc, s[2:3]
	s_waitcnt lgkmcnt(0)
	global_store_dwordx2 v[8:9], v[6:7], off
	s_andn2_b64 exec, exec, s[2:3]
	s_cbranch_execnz .LBB1297_306
.LBB1297_307:
	s_or_b64 exec, exec, s[0:1]
	v_cmp_eq_u32_e32 vcc, 0, v0
	s_and_b64 s[0:1], vcc, s[24:25]
	s_and_saveexec_b64 s[2:3], s[0:1]
	s_cbranch_execz .LBB1297_277
.LBB1297_308:
	v_mov_b32_e32 v0, s23
	v_add_co_u32_e32 v1, vcc, s22, v14
	v_addc_co_u32_e32 v3, vcc, 0, v0, vcc
	v_add_co_u32_e32 v0, vcc, v1, v15
	v_mov_b32_e32 v2, 0
	v_addc_co_u32_e32 v1, vcc, 0, v3, vcc
	global_store_dwordx2 v2, v[0:1], s[20:21]
	s_endpgm
	.section	.rodata,"a",@progbits
	.p2align	6, 0x0
	.amdhsa_kernel _ZN7rocprim17ROCPRIM_400000_NS6detail17trampoline_kernelINS0_14default_configENS1_25partition_config_selectorILNS1_17partition_subalgoE8ElNS0_10empty_typeEbEEZZNS1_14partition_implILS5_8ELb0ES3_jPlPS6_PKS6_NS0_5tupleIJS9_S6_EEENSD_IJSA_SA_EEENS0_18inequality_wrapperIZN2at6native12_GLOBAL__N_124unique_dim_cuda_templateIN3c104HalfEEESt5tupleIJNSH_6TensorESO_SO_EERKSO_lbbbEUlllE0_EEPmJS6_EEE10hipError_tPvRmT3_T4_T5_T6_T7_T9_mT8_P12ihipStream_tbDpT10_ENKUlT_T0_E_clISt17integral_constantIbLb0EES1E_EEDaS19_S1A_EUlS19_E_NS1_11comp_targetILNS1_3genE4ELNS1_11target_archE910ELNS1_3gpuE8ELNS1_3repE0EEENS1_30default_config_static_selectorELNS0_4arch9wavefront6targetE1EEEvT1_
		.amdhsa_group_segment_fixed_size 10252
		.amdhsa_private_segment_fixed_size 0
		.amdhsa_kernarg_size 120
		.amdhsa_user_sgpr_count 6
		.amdhsa_user_sgpr_private_segment_buffer 1
		.amdhsa_user_sgpr_dispatch_ptr 0
		.amdhsa_user_sgpr_queue_ptr 0
		.amdhsa_user_sgpr_kernarg_segment_ptr 1
		.amdhsa_user_sgpr_dispatch_id 0
		.amdhsa_user_sgpr_flat_scratch_init 0
		.amdhsa_user_sgpr_kernarg_preload_length 0
		.amdhsa_user_sgpr_kernarg_preload_offset 0
		.amdhsa_user_sgpr_private_segment_size 0
		.amdhsa_uses_dynamic_stack 0
		.amdhsa_system_sgpr_private_segment_wavefront_offset 0
		.amdhsa_system_sgpr_workgroup_id_x 1
		.amdhsa_system_sgpr_workgroup_id_y 0
		.amdhsa_system_sgpr_workgroup_id_z 0
		.amdhsa_system_sgpr_workgroup_info 0
		.amdhsa_system_vgpr_workitem_id 0
		.amdhsa_next_free_vgpr 46
		.amdhsa_next_free_sgpr 48
		.amdhsa_accum_offset 48
		.amdhsa_reserve_vcc 1
		.amdhsa_reserve_flat_scratch 0
		.amdhsa_float_round_mode_32 0
		.amdhsa_float_round_mode_16_64 0
		.amdhsa_float_denorm_mode_32 3
		.amdhsa_float_denorm_mode_16_64 3
		.amdhsa_dx10_clamp 1
		.amdhsa_ieee_mode 1
		.amdhsa_fp16_overflow 0
		.amdhsa_tg_split 0
		.amdhsa_exception_fp_ieee_invalid_op 0
		.amdhsa_exception_fp_denorm_src 0
		.amdhsa_exception_fp_ieee_div_zero 0
		.amdhsa_exception_fp_ieee_overflow 0
		.amdhsa_exception_fp_ieee_underflow 0
		.amdhsa_exception_fp_ieee_inexact 0
		.amdhsa_exception_int_div_zero 0
	.end_amdhsa_kernel
	.section	.text._ZN7rocprim17ROCPRIM_400000_NS6detail17trampoline_kernelINS0_14default_configENS1_25partition_config_selectorILNS1_17partition_subalgoE8ElNS0_10empty_typeEbEEZZNS1_14partition_implILS5_8ELb0ES3_jPlPS6_PKS6_NS0_5tupleIJS9_S6_EEENSD_IJSA_SA_EEENS0_18inequality_wrapperIZN2at6native12_GLOBAL__N_124unique_dim_cuda_templateIN3c104HalfEEESt5tupleIJNSH_6TensorESO_SO_EERKSO_lbbbEUlllE0_EEPmJS6_EEE10hipError_tPvRmT3_T4_T5_T6_T7_T9_mT8_P12ihipStream_tbDpT10_ENKUlT_T0_E_clISt17integral_constantIbLb0EES1E_EEDaS19_S1A_EUlS19_E_NS1_11comp_targetILNS1_3genE4ELNS1_11target_archE910ELNS1_3gpuE8ELNS1_3repE0EEENS1_30default_config_static_selectorELNS0_4arch9wavefront6targetE1EEEvT1_,"axG",@progbits,_ZN7rocprim17ROCPRIM_400000_NS6detail17trampoline_kernelINS0_14default_configENS1_25partition_config_selectorILNS1_17partition_subalgoE8ElNS0_10empty_typeEbEEZZNS1_14partition_implILS5_8ELb0ES3_jPlPS6_PKS6_NS0_5tupleIJS9_S6_EEENSD_IJSA_SA_EEENS0_18inequality_wrapperIZN2at6native12_GLOBAL__N_124unique_dim_cuda_templateIN3c104HalfEEESt5tupleIJNSH_6TensorESO_SO_EERKSO_lbbbEUlllE0_EEPmJS6_EEE10hipError_tPvRmT3_T4_T5_T6_T7_T9_mT8_P12ihipStream_tbDpT10_ENKUlT_T0_E_clISt17integral_constantIbLb0EES1E_EEDaS19_S1A_EUlS19_E_NS1_11comp_targetILNS1_3genE4ELNS1_11target_archE910ELNS1_3gpuE8ELNS1_3repE0EEENS1_30default_config_static_selectorELNS0_4arch9wavefront6targetE1EEEvT1_,comdat
.Lfunc_end1297:
	.size	_ZN7rocprim17ROCPRIM_400000_NS6detail17trampoline_kernelINS0_14default_configENS1_25partition_config_selectorILNS1_17partition_subalgoE8ElNS0_10empty_typeEbEEZZNS1_14partition_implILS5_8ELb0ES3_jPlPS6_PKS6_NS0_5tupleIJS9_S6_EEENSD_IJSA_SA_EEENS0_18inequality_wrapperIZN2at6native12_GLOBAL__N_124unique_dim_cuda_templateIN3c104HalfEEESt5tupleIJNSH_6TensorESO_SO_EERKSO_lbbbEUlllE0_EEPmJS6_EEE10hipError_tPvRmT3_T4_T5_T6_T7_T9_mT8_P12ihipStream_tbDpT10_ENKUlT_T0_E_clISt17integral_constantIbLb0EES1E_EEDaS19_S1A_EUlS19_E_NS1_11comp_targetILNS1_3genE4ELNS1_11target_archE910ELNS1_3gpuE8ELNS1_3repE0EEENS1_30default_config_static_selectorELNS0_4arch9wavefront6targetE1EEEvT1_, .Lfunc_end1297-_ZN7rocprim17ROCPRIM_400000_NS6detail17trampoline_kernelINS0_14default_configENS1_25partition_config_selectorILNS1_17partition_subalgoE8ElNS0_10empty_typeEbEEZZNS1_14partition_implILS5_8ELb0ES3_jPlPS6_PKS6_NS0_5tupleIJS9_S6_EEENSD_IJSA_SA_EEENS0_18inequality_wrapperIZN2at6native12_GLOBAL__N_124unique_dim_cuda_templateIN3c104HalfEEESt5tupleIJNSH_6TensorESO_SO_EERKSO_lbbbEUlllE0_EEPmJS6_EEE10hipError_tPvRmT3_T4_T5_T6_T7_T9_mT8_P12ihipStream_tbDpT10_ENKUlT_T0_E_clISt17integral_constantIbLb0EES1E_EEDaS19_S1A_EUlS19_E_NS1_11comp_targetILNS1_3genE4ELNS1_11target_archE910ELNS1_3gpuE8ELNS1_3repE0EEENS1_30default_config_static_selectorELNS0_4arch9wavefront6targetE1EEEvT1_
                                        ; -- End function
	.section	.AMDGPU.csdata,"",@progbits
; Kernel info:
; codeLenInByte = 11376
; NumSgprs: 52
; NumVgprs: 46
; NumAgprs: 0
; TotalNumVgprs: 46
; ScratchSize: 0
; MemoryBound: 0
; FloatMode: 240
; IeeeMode: 1
; LDSByteSize: 10252 bytes/workgroup (compile time only)
; SGPRBlocks: 6
; VGPRBlocks: 5
; NumSGPRsForWavesPerEU: 52
; NumVGPRsForWavesPerEU: 46
; AccumOffset: 48
; Occupancy: 6
; WaveLimiterHint : 1
; COMPUTE_PGM_RSRC2:SCRATCH_EN: 0
; COMPUTE_PGM_RSRC2:USER_SGPR: 6
; COMPUTE_PGM_RSRC2:TRAP_HANDLER: 0
; COMPUTE_PGM_RSRC2:TGID_X_EN: 1
; COMPUTE_PGM_RSRC2:TGID_Y_EN: 0
; COMPUTE_PGM_RSRC2:TGID_Z_EN: 0
; COMPUTE_PGM_RSRC2:TIDIG_COMP_CNT: 0
; COMPUTE_PGM_RSRC3_GFX90A:ACCUM_OFFSET: 11
; COMPUTE_PGM_RSRC3_GFX90A:TG_SPLIT: 0
	.section	.text._ZN7rocprim17ROCPRIM_400000_NS6detail17trampoline_kernelINS0_14default_configENS1_25partition_config_selectorILNS1_17partition_subalgoE8ElNS0_10empty_typeEbEEZZNS1_14partition_implILS5_8ELb0ES3_jPlPS6_PKS6_NS0_5tupleIJS9_S6_EEENSD_IJSA_SA_EEENS0_18inequality_wrapperIZN2at6native12_GLOBAL__N_124unique_dim_cuda_templateIN3c104HalfEEESt5tupleIJNSH_6TensorESO_SO_EERKSO_lbbbEUlllE0_EEPmJS6_EEE10hipError_tPvRmT3_T4_T5_T6_T7_T9_mT8_P12ihipStream_tbDpT10_ENKUlT_T0_E_clISt17integral_constantIbLb0EES1E_EEDaS19_S1A_EUlS19_E_NS1_11comp_targetILNS1_3genE3ELNS1_11target_archE908ELNS1_3gpuE7ELNS1_3repE0EEENS1_30default_config_static_selectorELNS0_4arch9wavefront6targetE1EEEvT1_,"axG",@progbits,_ZN7rocprim17ROCPRIM_400000_NS6detail17trampoline_kernelINS0_14default_configENS1_25partition_config_selectorILNS1_17partition_subalgoE8ElNS0_10empty_typeEbEEZZNS1_14partition_implILS5_8ELb0ES3_jPlPS6_PKS6_NS0_5tupleIJS9_S6_EEENSD_IJSA_SA_EEENS0_18inequality_wrapperIZN2at6native12_GLOBAL__N_124unique_dim_cuda_templateIN3c104HalfEEESt5tupleIJNSH_6TensorESO_SO_EERKSO_lbbbEUlllE0_EEPmJS6_EEE10hipError_tPvRmT3_T4_T5_T6_T7_T9_mT8_P12ihipStream_tbDpT10_ENKUlT_T0_E_clISt17integral_constantIbLb0EES1E_EEDaS19_S1A_EUlS19_E_NS1_11comp_targetILNS1_3genE3ELNS1_11target_archE908ELNS1_3gpuE7ELNS1_3repE0EEENS1_30default_config_static_selectorELNS0_4arch9wavefront6targetE1EEEvT1_,comdat
	.globl	_ZN7rocprim17ROCPRIM_400000_NS6detail17trampoline_kernelINS0_14default_configENS1_25partition_config_selectorILNS1_17partition_subalgoE8ElNS0_10empty_typeEbEEZZNS1_14partition_implILS5_8ELb0ES3_jPlPS6_PKS6_NS0_5tupleIJS9_S6_EEENSD_IJSA_SA_EEENS0_18inequality_wrapperIZN2at6native12_GLOBAL__N_124unique_dim_cuda_templateIN3c104HalfEEESt5tupleIJNSH_6TensorESO_SO_EERKSO_lbbbEUlllE0_EEPmJS6_EEE10hipError_tPvRmT3_T4_T5_T6_T7_T9_mT8_P12ihipStream_tbDpT10_ENKUlT_T0_E_clISt17integral_constantIbLb0EES1E_EEDaS19_S1A_EUlS19_E_NS1_11comp_targetILNS1_3genE3ELNS1_11target_archE908ELNS1_3gpuE7ELNS1_3repE0EEENS1_30default_config_static_selectorELNS0_4arch9wavefront6targetE1EEEvT1_ ; -- Begin function _ZN7rocprim17ROCPRIM_400000_NS6detail17trampoline_kernelINS0_14default_configENS1_25partition_config_selectorILNS1_17partition_subalgoE8ElNS0_10empty_typeEbEEZZNS1_14partition_implILS5_8ELb0ES3_jPlPS6_PKS6_NS0_5tupleIJS9_S6_EEENSD_IJSA_SA_EEENS0_18inequality_wrapperIZN2at6native12_GLOBAL__N_124unique_dim_cuda_templateIN3c104HalfEEESt5tupleIJNSH_6TensorESO_SO_EERKSO_lbbbEUlllE0_EEPmJS6_EEE10hipError_tPvRmT3_T4_T5_T6_T7_T9_mT8_P12ihipStream_tbDpT10_ENKUlT_T0_E_clISt17integral_constantIbLb0EES1E_EEDaS19_S1A_EUlS19_E_NS1_11comp_targetILNS1_3genE3ELNS1_11target_archE908ELNS1_3gpuE7ELNS1_3repE0EEENS1_30default_config_static_selectorELNS0_4arch9wavefront6targetE1EEEvT1_
	.p2align	8
	.type	_ZN7rocprim17ROCPRIM_400000_NS6detail17trampoline_kernelINS0_14default_configENS1_25partition_config_selectorILNS1_17partition_subalgoE8ElNS0_10empty_typeEbEEZZNS1_14partition_implILS5_8ELb0ES3_jPlPS6_PKS6_NS0_5tupleIJS9_S6_EEENSD_IJSA_SA_EEENS0_18inequality_wrapperIZN2at6native12_GLOBAL__N_124unique_dim_cuda_templateIN3c104HalfEEESt5tupleIJNSH_6TensorESO_SO_EERKSO_lbbbEUlllE0_EEPmJS6_EEE10hipError_tPvRmT3_T4_T5_T6_T7_T9_mT8_P12ihipStream_tbDpT10_ENKUlT_T0_E_clISt17integral_constantIbLb0EES1E_EEDaS19_S1A_EUlS19_E_NS1_11comp_targetILNS1_3genE3ELNS1_11target_archE908ELNS1_3gpuE7ELNS1_3repE0EEENS1_30default_config_static_selectorELNS0_4arch9wavefront6targetE1EEEvT1_,@function
_ZN7rocprim17ROCPRIM_400000_NS6detail17trampoline_kernelINS0_14default_configENS1_25partition_config_selectorILNS1_17partition_subalgoE8ElNS0_10empty_typeEbEEZZNS1_14partition_implILS5_8ELb0ES3_jPlPS6_PKS6_NS0_5tupleIJS9_S6_EEENSD_IJSA_SA_EEENS0_18inequality_wrapperIZN2at6native12_GLOBAL__N_124unique_dim_cuda_templateIN3c104HalfEEESt5tupleIJNSH_6TensorESO_SO_EERKSO_lbbbEUlllE0_EEPmJS6_EEE10hipError_tPvRmT3_T4_T5_T6_T7_T9_mT8_P12ihipStream_tbDpT10_ENKUlT_T0_E_clISt17integral_constantIbLb0EES1E_EEDaS19_S1A_EUlS19_E_NS1_11comp_targetILNS1_3genE3ELNS1_11target_archE908ELNS1_3gpuE7ELNS1_3repE0EEENS1_30default_config_static_selectorELNS0_4arch9wavefront6targetE1EEEvT1_: ; @_ZN7rocprim17ROCPRIM_400000_NS6detail17trampoline_kernelINS0_14default_configENS1_25partition_config_selectorILNS1_17partition_subalgoE8ElNS0_10empty_typeEbEEZZNS1_14partition_implILS5_8ELb0ES3_jPlPS6_PKS6_NS0_5tupleIJS9_S6_EEENSD_IJSA_SA_EEENS0_18inequality_wrapperIZN2at6native12_GLOBAL__N_124unique_dim_cuda_templateIN3c104HalfEEESt5tupleIJNSH_6TensorESO_SO_EERKSO_lbbbEUlllE0_EEPmJS6_EEE10hipError_tPvRmT3_T4_T5_T6_T7_T9_mT8_P12ihipStream_tbDpT10_ENKUlT_T0_E_clISt17integral_constantIbLb0EES1E_EEDaS19_S1A_EUlS19_E_NS1_11comp_targetILNS1_3genE3ELNS1_11target_archE908ELNS1_3gpuE7ELNS1_3repE0EEENS1_30default_config_static_selectorELNS0_4arch9wavefront6targetE1EEEvT1_
; %bb.0:
	.section	.rodata,"a",@progbits
	.p2align	6, 0x0
	.amdhsa_kernel _ZN7rocprim17ROCPRIM_400000_NS6detail17trampoline_kernelINS0_14default_configENS1_25partition_config_selectorILNS1_17partition_subalgoE8ElNS0_10empty_typeEbEEZZNS1_14partition_implILS5_8ELb0ES3_jPlPS6_PKS6_NS0_5tupleIJS9_S6_EEENSD_IJSA_SA_EEENS0_18inequality_wrapperIZN2at6native12_GLOBAL__N_124unique_dim_cuda_templateIN3c104HalfEEESt5tupleIJNSH_6TensorESO_SO_EERKSO_lbbbEUlllE0_EEPmJS6_EEE10hipError_tPvRmT3_T4_T5_T6_T7_T9_mT8_P12ihipStream_tbDpT10_ENKUlT_T0_E_clISt17integral_constantIbLb0EES1E_EEDaS19_S1A_EUlS19_E_NS1_11comp_targetILNS1_3genE3ELNS1_11target_archE908ELNS1_3gpuE7ELNS1_3repE0EEENS1_30default_config_static_selectorELNS0_4arch9wavefront6targetE1EEEvT1_
		.amdhsa_group_segment_fixed_size 0
		.amdhsa_private_segment_fixed_size 0
		.amdhsa_kernarg_size 120
		.amdhsa_user_sgpr_count 6
		.amdhsa_user_sgpr_private_segment_buffer 1
		.amdhsa_user_sgpr_dispatch_ptr 0
		.amdhsa_user_sgpr_queue_ptr 0
		.amdhsa_user_sgpr_kernarg_segment_ptr 1
		.amdhsa_user_sgpr_dispatch_id 0
		.amdhsa_user_sgpr_flat_scratch_init 0
		.amdhsa_user_sgpr_kernarg_preload_length 0
		.amdhsa_user_sgpr_kernarg_preload_offset 0
		.amdhsa_user_sgpr_private_segment_size 0
		.amdhsa_uses_dynamic_stack 0
		.amdhsa_system_sgpr_private_segment_wavefront_offset 0
		.amdhsa_system_sgpr_workgroup_id_x 1
		.amdhsa_system_sgpr_workgroup_id_y 0
		.amdhsa_system_sgpr_workgroup_id_z 0
		.amdhsa_system_sgpr_workgroup_info 0
		.amdhsa_system_vgpr_workitem_id 0
		.amdhsa_next_free_vgpr 1
		.amdhsa_next_free_sgpr 0
		.amdhsa_accum_offset 4
		.amdhsa_reserve_vcc 0
		.amdhsa_reserve_flat_scratch 0
		.amdhsa_float_round_mode_32 0
		.amdhsa_float_round_mode_16_64 0
		.amdhsa_float_denorm_mode_32 3
		.amdhsa_float_denorm_mode_16_64 3
		.amdhsa_dx10_clamp 1
		.amdhsa_ieee_mode 1
		.amdhsa_fp16_overflow 0
		.amdhsa_tg_split 0
		.amdhsa_exception_fp_ieee_invalid_op 0
		.amdhsa_exception_fp_denorm_src 0
		.amdhsa_exception_fp_ieee_div_zero 0
		.amdhsa_exception_fp_ieee_overflow 0
		.amdhsa_exception_fp_ieee_underflow 0
		.amdhsa_exception_fp_ieee_inexact 0
		.amdhsa_exception_int_div_zero 0
	.end_amdhsa_kernel
	.section	.text._ZN7rocprim17ROCPRIM_400000_NS6detail17trampoline_kernelINS0_14default_configENS1_25partition_config_selectorILNS1_17partition_subalgoE8ElNS0_10empty_typeEbEEZZNS1_14partition_implILS5_8ELb0ES3_jPlPS6_PKS6_NS0_5tupleIJS9_S6_EEENSD_IJSA_SA_EEENS0_18inequality_wrapperIZN2at6native12_GLOBAL__N_124unique_dim_cuda_templateIN3c104HalfEEESt5tupleIJNSH_6TensorESO_SO_EERKSO_lbbbEUlllE0_EEPmJS6_EEE10hipError_tPvRmT3_T4_T5_T6_T7_T9_mT8_P12ihipStream_tbDpT10_ENKUlT_T0_E_clISt17integral_constantIbLb0EES1E_EEDaS19_S1A_EUlS19_E_NS1_11comp_targetILNS1_3genE3ELNS1_11target_archE908ELNS1_3gpuE7ELNS1_3repE0EEENS1_30default_config_static_selectorELNS0_4arch9wavefront6targetE1EEEvT1_,"axG",@progbits,_ZN7rocprim17ROCPRIM_400000_NS6detail17trampoline_kernelINS0_14default_configENS1_25partition_config_selectorILNS1_17partition_subalgoE8ElNS0_10empty_typeEbEEZZNS1_14partition_implILS5_8ELb0ES3_jPlPS6_PKS6_NS0_5tupleIJS9_S6_EEENSD_IJSA_SA_EEENS0_18inequality_wrapperIZN2at6native12_GLOBAL__N_124unique_dim_cuda_templateIN3c104HalfEEESt5tupleIJNSH_6TensorESO_SO_EERKSO_lbbbEUlllE0_EEPmJS6_EEE10hipError_tPvRmT3_T4_T5_T6_T7_T9_mT8_P12ihipStream_tbDpT10_ENKUlT_T0_E_clISt17integral_constantIbLb0EES1E_EEDaS19_S1A_EUlS19_E_NS1_11comp_targetILNS1_3genE3ELNS1_11target_archE908ELNS1_3gpuE7ELNS1_3repE0EEENS1_30default_config_static_selectorELNS0_4arch9wavefront6targetE1EEEvT1_,comdat
.Lfunc_end1298:
	.size	_ZN7rocprim17ROCPRIM_400000_NS6detail17trampoline_kernelINS0_14default_configENS1_25partition_config_selectorILNS1_17partition_subalgoE8ElNS0_10empty_typeEbEEZZNS1_14partition_implILS5_8ELb0ES3_jPlPS6_PKS6_NS0_5tupleIJS9_S6_EEENSD_IJSA_SA_EEENS0_18inequality_wrapperIZN2at6native12_GLOBAL__N_124unique_dim_cuda_templateIN3c104HalfEEESt5tupleIJNSH_6TensorESO_SO_EERKSO_lbbbEUlllE0_EEPmJS6_EEE10hipError_tPvRmT3_T4_T5_T6_T7_T9_mT8_P12ihipStream_tbDpT10_ENKUlT_T0_E_clISt17integral_constantIbLb0EES1E_EEDaS19_S1A_EUlS19_E_NS1_11comp_targetILNS1_3genE3ELNS1_11target_archE908ELNS1_3gpuE7ELNS1_3repE0EEENS1_30default_config_static_selectorELNS0_4arch9wavefront6targetE1EEEvT1_, .Lfunc_end1298-_ZN7rocprim17ROCPRIM_400000_NS6detail17trampoline_kernelINS0_14default_configENS1_25partition_config_selectorILNS1_17partition_subalgoE8ElNS0_10empty_typeEbEEZZNS1_14partition_implILS5_8ELb0ES3_jPlPS6_PKS6_NS0_5tupleIJS9_S6_EEENSD_IJSA_SA_EEENS0_18inequality_wrapperIZN2at6native12_GLOBAL__N_124unique_dim_cuda_templateIN3c104HalfEEESt5tupleIJNSH_6TensorESO_SO_EERKSO_lbbbEUlllE0_EEPmJS6_EEE10hipError_tPvRmT3_T4_T5_T6_T7_T9_mT8_P12ihipStream_tbDpT10_ENKUlT_T0_E_clISt17integral_constantIbLb0EES1E_EEDaS19_S1A_EUlS19_E_NS1_11comp_targetILNS1_3genE3ELNS1_11target_archE908ELNS1_3gpuE7ELNS1_3repE0EEENS1_30default_config_static_selectorELNS0_4arch9wavefront6targetE1EEEvT1_
                                        ; -- End function
	.section	.AMDGPU.csdata,"",@progbits
; Kernel info:
; codeLenInByte = 0
; NumSgprs: 4
; NumVgprs: 0
; NumAgprs: 0
; TotalNumVgprs: 0
; ScratchSize: 0
; MemoryBound: 0
; FloatMode: 240
; IeeeMode: 1
; LDSByteSize: 0 bytes/workgroup (compile time only)
; SGPRBlocks: 0
; VGPRBlocks: 0
; NumSGPRsForWavesPerEU: 4
; NumVGPRsForWavesPerEU: 1
; AccumOffset: 4
; Occupancy: 8
; WaveLimiterHint : 0
; COMPUTE_PGM_RSRC2:SCRATCH_EN: 0
; COMPUTE_PGM_RSRC2:USER_SGPR: 6
; COMPUTE_PGM_RSRC2:TRAP_HANDLER: 0
; COMPUTE_PGM_RSRC2:TGID_X_EN: 1
; COMPUTE_PGM_RSRC2:TGID_Y_EN: 0
; COMPUTE_PGM_RSRC2:TGID_Z_EN: 0
; COMPUTE_PGM_RSRC2:TIDIG_COMP_CNT: 0
; COMPUTE_PGM_RSRC3_GFX90A:ACCUM_OFFSET: 0
; COMPUTE_PGM_RSRC3_GFX90A:TG_SPLIT: 0
	.section	.text._ZN7rocprim17ROCPRIM_400000_NS6detail17trampoline_kernelINS0_14default_configENS1_25partition_config_selectorILNS1_17partition_subalgoE8ElNS0_10empty_typeEbEEZZNS1_14partition_implILS5_8ELb0ES3_jPlPS6_PKS6_NS0_5tupleIJS9_S6_EEENSD_IJSA_SA_EEENS0_18inequality_wrapperIZN2at6native12_GLOBAL__N_124unique_dim_cuda_templateIN3c104HalfEEESt5tupleIJNSH_6TensorESO_SO_EERKSO_lbbbEUlllE0_EEPmJS6_EEE10hipError_tPvRmT3_T4_T5_T6_T7_T9_mT8_P12ihipStream_tbDpT10_ENKUlT_T0_E_clISt17integral_constantIbLb0EES1E_EEDaS19_S1A_EUlS19_E_NS1_11comp_targetILNS1_3genE2ELNS1_11target_archE906ELNS1_3gpuE6ELNS1_3repE0EEENS1_30default_config_static_selectorELNS0_4arch9wavefront6targetE1EEEvT1_,"axG",@progbits,_ZN7rocprim17ROCPRIM_400000_NS6detail17trampoline_kernelINS0_14default_configENS1_25partition_config_selectorILNS1_17partition_subalgoE8ElNS0_10empty_typeEbEEZZNS1_14partition_implILS5_8ELb0ES3_jPlPS6_PKS6_NS0_5tupleIJS9_S6_EEENSD_IJSA_SA_EEENS0_18inequality_wrapperIZN2at6native12_GLOBAL__N_124unique_dim_cuda_templateIN3c104HalfEEESt5tupleIJNSH_6TensorESO_SO_EERKSO_lbbbEUlllE0_EEPmJS6_EEE10hipError_tPvRmT3_T4_T5_T6_T7_T9_mT8_P12ihipStream_tbDpT10_ENKUlT_T0_E_clISt17integral_constantIbLb0EES1E_EEDaS19_S1A_EUlS19_E_NS1_11comp_targetILNS1_3genE2ELNS1_11target_archE906ELNS1_3gpuE6ELNS1_3repE0EEENS1_30default_config_static_selectorELNS0_4arch9wavefront6targetE1EEEvT1_,comdat
	.globl	_ZN7rocprim17ROCPRIM_400000_NS6detail17trampoline_kernelINS0_14default_configENS1_25partition_config_selectorILNS1_17partition_subalgoE8ElNS0_10empty_typeEbEEZZNS1_14partition_implILS5_8ELb0ES3_jPlPS6_PKS6_NS0_5tupleIJS9_S6_EEENSD_IJSA_SA_EEENS0_18inequality_wrapperIZN2at6native12_GLOBAL__N_124unique_dim_cuda_templateIN3c104HalfEEESt5tupleIJNSH_6TensorESO_SO_EERKSO_lbbbEUlllE0_EEPmJS6_EEE10hipError_tPvRmT3_T4_T5_T6_T7_T9_mT8_P12ihipStream_tbDpT10_ENKUlT_T0_E_clISt17integral_constantIbLb0EES1E_EEDaS19_S1A_EUlS19_E_NS1_11comp_targetILNS1_3genE2ELNS1_11target_archE906ELNS1_3gpuE6ELNS1_3repE0EEENS1_30default_config_static_selectorELNS0_4arch9wavefront6targetE1EEEvT1_ ; -- Begin function _ZN7rocprim17ROCPRIM_400000_NS6detail17trampoline_kernelINS0_14default_configENS1_25partition_config_selectorILNS1_17partition_subalgoE8ElNS0_10empty_typeEbEEZZNS1_14partition_implILS5_8ELb0ES3_jPlPS6_PKS6_NS0_5tupleIJS9_S6_EEENSD_IJSA_SA_EEENS0_18inequality_wrapperIZN2at6native12_GLOBAL__N_124unique_dim_cuda_templateIN3c104HalfEEESt5tupleIJNSH_6TensorESO_SO_EERKSO_lbbbEUlllE0_EEPmJS6_EEE10hipError_tPvRmT3_T4_T5_T6_T7_T9_mT8_P12ihipStream_tbDpT10_ENKUlT_T0_E_clISt17integral_constantIbLb0EES1E_EEDaS19_S1A_EUlS19_E_NS1_11comp_targetILNS1_3genE2ELNS1_11target_archE906ELNS1_3gpuE6ELNS1_3repE0EEENS1_30default_config_static_selectorELNS0_4arch9wavefront6targetE1EEEvT1_
	.p2align	8
	.type	_ZN7rocprim17ROCPRIM_400000_NS6detail17trampoline_kernelINS0_14default_configENS1_25partition_config_selectorILNS1_17partition_subalgoE8ElNS0_10empty_typeEbEEZZNS1_14partition_implILS5_8ELb0ES3_jPlPS6_PKS6_NS0_5tupleIJS9_S6_EEENSD_IJSA_SA_EEENS0_18inequality_wrapperIZN2at6native12_GLOBAL__N_124unique_dim_cuda_templateIN3c104HalfEEESt5tupleIJNSH_6TensorESO_SO_EERKSO_lbbbEUlllE0_EEPmJS6_EEE10hipError_tPvRmT3_T4_T5_T6_T7_T9_mT8_P12ihipStream_tbDpT10_ENKUlT_T0_E_clISt17integral_constantIbLb0EES1E_EEDaS19_S1A_EUlS19_E_NS1_11comp_targetILNS1_3genE2ELNS1_11target_archE906ELNS1_3gpuE6ELNS1_3repE0EEENS1_30default_config_static_selectorELNS0_4arch9wavefront6targetE1EEEvT1_,@function
_ZN7rocprim17ROCPRIM_400000_NS6detail17trampoline_kernelINS0_14default_configENS1_25partition_config_selectorILNS1_17partition_subalgoE8ElNS0_10empty_typeEbEEZZNS1_14partition_implILS5_8ELb0ES3_jPlPS6_PKS6_NS0_5tupleIJS9_S6_EEENSD_IJSA_SA_EEENS0_18inequality_wrapperIZN2at6native12_GLOBAL__N_124unique_dim_cuda_templateIN3c104HalfEEESt5tupleIJNSH_6TensorESO_SO_EERKSO_lbbbEUlllE0_EEPmJS6_EEE10hipError_tPvRmT3_T4_T5_T6_T7_T9_mT8_P12ihipStream_tbDpT10_ENKUlT_T0_E_clISt17integral_constantIbLb0EES1E_EEDaS19_S1A_EUlS19_E_NS1_11comp_targetILNS1_3genE2ELNS1_11target_archE906ELNS1_3gpuE6ELNS1_3repE0EEENS1_30default_config_static_selectorELNS0_4arch9wavefront6targetE1EEEvT1_: ; @_ZN7rocprim17ROCPRIM_400000_NS6detail17trampoline_kernelINS0_14default_configENS1_25partition_config_selectorILNS1_17partition_subalgoE8ElNS0_10empty_typeEbEEZZNS1_14partition_implILS5_8ELb0ES3_jPlPS6_PKS6_NS0_5tupleIJS9_S6_EEENSD_IJSA_SA_EEENS0_18inequality_wrapperIZN2at6native12_GLOBAL__N_124unique_dim_cuda_templateIN3c104HalfEEESt5tupleIJNSH_6TensorESO_SO_EERKSO_lbbbEUlllE0_EEPmJS6_EEE10hipError_tPvRmT3_T4_T5_T6_T7_T9_mT8_P12ihipStream_tbDpT10_ENKUlT_T0_E_clISt17integral_constantIbLb0EES1E_EEDaS19_S1A_EUlS19_E_NS1_11comp_targetILNS1_3genE2ELNS1_11target_archE906ELNS1_3gpuE6ELNS1_3repE0EEENS1_30default_config_static_selectorELNS0_4arch9wavefront6targetE1EEEvT1_
; %bb.0:
	.section	.rodata,"a",@progbits
	.p2align	6, 0x0
	.amdhsa_kernel _ZN7rocprim17ROCPRIM_400000_NS6detail17trampoline_kernelINS0_14default_configENS1_25partition_config_selectorILNS1_17partition_subalgoE8ElNS0_10empty_typeEbEEZZNS1_14partition_implILS5_8ELb0ES3_jPlPS6_PKS6_NS0_5tupleIJS9_S6_EEENSD_IJSA_SA_EEENS0_18inequality_wrapperIZN2at6native12_GLOBAL__N_124unique_dim_cuda_templateIN3c104HalfEEESt5tupleIJNSH_6TensorESO_SO_EERKSO_lbbbEUlllE0_EEPmJS6_EEE10hipError_tPvRmT3_T4_T5_T6_T7_T9_mT8_P12ihipStream_tbDpT10_ENKUlT_T0_E_clISt17integral_constantIbLb0EES1E_EEDaS19_S1A_EUlS19_E_NS1_11comp_targetILNS1_3genE2ELNS1_11target_archE906ELNS1_3gpuE6ELNS1_3repE0EEENS1_30default_config_static_selectorELNS0_4arch9wavefront6targetE1EEEvT1_
		.amdhsa_group_segment_fixed_size 0
		.amdhsa_private_segment_fixed_size 0
		.amdhsa_kernarg_size 120
		.amdhsa_user_sgpr_count 6
		.amdhsa_user_sgpr_private_segment_buffer 1
		.amdhsa_user_sgpr_dispatch_ptr 0
		.amdhsa_user_sgpr_queue_ptr 0
		.amdhsa_user_sgpr_kernarg_segment_ptr 1
		.amdhsa_user_sgpr_dispatch_id 0
		.amdhsa_user_sgpr_flat_scratch_init 0
		.amdhsa_user_sgpr_kernarg_preload_length 0
		.amdhsa_user_sgpr_kernarg_preload_offset 0
		.amdhsa_user_sgpr_private_segment_size 0
		.amdhsa_uses_dynamic_stack 0
		.amdhsa_system_sgpr_private_segment_wavefront_offset 0
		.amdhsa_system_sgpr_workgroup_id_x 1
		.amdhsa_system_sgpr_workgroup_id_y 0
		.amdhsa_system_sgpr_workgroup_id_z 0
		.amdhsa_system_sgpr_workgroup_info 0
		.amdhsa_system_vgpr_workitem_id 0
		.amdhsa_next_free_vgpr 1
		.amdhsa_next_free_sgpr 0
		.amdhsa_accum_offset 4
		.amdhsa_reserve_vcc 0
		.amdhsa_reserve_flat_scratch 0
		.amdhsa_float_round_mode_32 0
		.amdhsa_float_round_mode_16_64 0
		.amdhsa_float_denorm_mode_32 3
		.amdhsa_float_denorm_mode_16_64 3
		.amdhsa_dx10_clamp 1
		.amdhsa_ieee_mode 1
		.amdhsa_fp16_overflow 0
		.amdhsa_tg_split 0
		.amdhsa_exception_fp_ieee_invalid_op 0
		.amdhsa_exception_fp_denorm_src 0
		.amdhsa_exception_fp_ieee_div_zero 0
		.amdhsa_exception_fp_ieee_overflow 0
		.amdhsa_exception_fp_ieee_underflow 0
		.amdhsa_exception_fp_ieee_inexact 0
		.amdhsa_exception_int_div_zero 0
	.end_amdhsa_kernel
	.section	.text._ZN7rocprim17ROCPRIM_400000_NS6detail17trampoline_kernelINS0_14default_configENS1_25partition_config_selectorILNS1_17partition_subalgoE8ElNS0_10empty_typeEbEEZZNS1_14partition_implILS5_8ELb0ES3_jPlPS6_PKS6_NS0_5tupleIJS9_S6_EEENSD_IJSA_SA_EEENS0_18inequality_wrapperIZN2at6native12_GLOBAL__N_124unique_dim_cuda_templateIN3c104HalfEEESt5tupleIJNSH_6TensorESO_SO_EERKSO_lbbbEUlllE0_EEPmJS6_EEE10hipError_tPvRmT3_T4_T5_T6_T7_T9_mT8_P12ihipStream_tbDpT10_ENKUlT_T0_E_clISt17integral_constantIbLb0EES1E_EEDaS19_S1A_EUlS19_E_NS1_11comp_targetILNS1_3genE2ELNS1_11target_archE906ELNS1_3gpuE6ELNS1_3repE0EEENS1_30default_config_static_selectorELNS0_4arch9wavefront6targetE1EEEvT1_,"axG",@progbits,_ZN7rocprim17ROCPRIM_400000_NS6detail17trampoline_kernelINS0_14default_configENS1_25partition_config_selectorILNS1_17partition_subalgoE8ElNS0_10empty_typeEbEEZZNS1_14partition_implILS5_8ELb0ES3_jPlPS6_PKS6_NS0_5tupleIJS9_S6_EEENSD_IJSA_SA_EEENS0_18inequality_wrapperIZN2at6native12_GLOBAL__N_124unique_dim_cuda_templateIN3c104HalfEEESt5tupleIJNSH_6TensorESO_SO_EERKSO_lbbbEUlllE0_EEPmJS6_EEE10hipError_tPvRmT3_T4_T5_T6_T7_T9_mT8_P12ihipStream_tbDpT10_ENKUlT_T0_E_clISt17integral_constantIbLb0EES1E_EEDaS19_S1A_EUlS19_E_NS1_11comp_targetILNS1_3genE2ELNS1_11target_archE906ELNS1_3gpuE6ELNS1_3repE0EEENS1_30default_config_static_selectorELNS0_4arch9wavefront6targetE1EEEvT1_,comdat
.Lfunc_end1299:
	.size	_ZN7rocprim17ROCPRIM_400000_NS6detail17trampoline_kernelINS0_14default_configENS1_25partition_config_selectorILNS1_17partition_subalgoE8ElNS0_10empty_typeEbEEZZNS1_14partition_implILS5_8ELb0ES3_jPlPS6_PKS6_NS0_5tupleIJS9_S6_EEENSD_IJSA_SA_EEENS0_18inequality_wrapperIZN2at6native12_GLOBAL__N_124unique_dim_cuda_templateIN3c104HalfEEESt5tupleIJNSH_6TensorESO_SO_EERKSO_lbbbEUlllE0_EEPmJS6_EEE10hipError_tPvRmT3_T4_T5_T6_T7_T9_mT8_P12ihipStream_tbDpT10_ENKUlT_T0_E_clISt17integral_constantIbLb0EES1E_EEDaS19_S1A_EUlS19_E_NS1_11comp_targetILNS1_3genE2ELNS1_11target_archE906ELNS1_3gpuE6ELNS1_3repE0EEENS1_30default_config_static_selectorELNS0_4arch9wavefront6targetE1EEEvT1_, .Lfunc_end1299-_ZN7rocprim17ROCPRIM_400000_NS6detail17trampoline_kernelINS0_14default_configENS1_25partition_config_selectorILNS1_17partition_subalgoE8ElNS0_10empty_typeEbEEZZNS1_14partition_implILS5_8ELb0ES3_jPlPS6_PKS6_NS0_5tupleIJS9_S6_EEENSD_IJSA_SA_EEENS0_18inequality_wrapperIZN2at6native12_GLOBAL__N_124unique_dim_cuda_templateIN3c104HalfEEESt5tupleIJNSH_6TensorESO_SO_EERKSO_lbbbEUlllE0_EEPmJS6_EEE10hipError_tPvRmT3_T4_T5_T6_T7_T9_mT8_P12ihipStream_tbDpT10_ENKUlT_T0_E_clISt17integral_constantIbLb0EES1E_EEDaS19_S1A_EUlS19_E_NS1_11comp_targetILNS1_3genE2ELNS1_11target_archE906ELNS1_3gpuE6ELNS1_3repE0EEENS1_30default_config_static_selectorELNS0_4arch9wavefront6targetE1EEEvT1_
                                        ; -- End function
	.section	.AMDGPU.csdata,"",@progbits
; Kernel info:
; codeLenInByte = 0
; NumSgprs: 4
; NumVgprs: 0
; NumAgprs: 0
; TotalNumVgprs: 0
; ScratchSize: 0
; MemoryBound: 0
; FloatMode: 240
; IeeeMode: 1
; LDSByteSize: 0 bytes/workgroup (compile time only)
; SGPRBlocks: 0
; VGPRBlocks: 0
; NumSGPRsForWavesPerEU: 4
; NumVGPRsForWavesPerEU: 1
; AccumOffset: 4
; Occupancy: 8
; WaveLimiterHint : 0
; COMPUTE_PGM_RSRC2:SCRATCH_EN: 0
; COMPUTE_PGM_RSRC2:USER_SGPR: 6
; COMPUTE_PGM_RSRC2:TRAP_HANDLER: 0
; COMPUTE_PGM_RSRC2:TGID_X_EN: 1
; COMPUTE_PGM_RSRC2:TGID_Y_EN: 0
; COMPUTE_PGM_RSRC2:TGID_Z_EN: 0
; COMPUTE_PGM_RSRC2:TIDIG_COMP_CNT: 0
; COMPUTE_PGM_RSRC3_GFX90A:ACCUM_OFFSET: 0
; COMPUTE_PGM_RSRC3_GFX90A:TG_SPLIT: 0
	.section	.text._ZN7rocprim17ROCPRIM_400000_NS6detail17trampoline_kernelINS0_14default_configENS1_25partition_config_selectorILNS1_17partition_subalgoE8ElNS0_10empty_typeEbEEZZNS1_14partition_implILS5_8ELb0ES3_jPlPS6_PKS6_NS0_5tupleIJS9_S6_EEENSD_IJSA_SA_EEENS0_18inequality_wrapperIZN2at6native12_GLOBAL__N_124unique_dim_cuda_templateIN3c104HalfEEESt5tupleIJNSH_6TensorESO_SO_EERKSO_lbbbEUlllE0_EEPmJS6_EEE10hipError_tPvRmT3_T4_T5_T6_T7_T9_mT8_P12ihipStream_tbDpT10_ENKUlT_T0_E_clISt17integral_constantIbLb0EES1E_EEDaS19_S1A_EUlS19_E_NS1_11comp_targetILNS1_3genE10ELNS1_11target_archE1200ELNS1_3gpuE4ELNS1_3repE0EEENS1_30default_config_static_selectorELNS0_4arch9wavefront6targetE1EEEvT1_,"axG",@progbits,_ZN7rocprim17ROCPRIM_400000_NS6detail17trampoline_kernelINS0_14default_configENS1_25partition_config_selectorILNS1_17partition_subalgoE8ElNS0_10empty_typeEbEEZZNS1_14partition_implILS5_8ELb0ES3_jPlPS6_PKS6_NS0_5tupleIJS9_S6_EEENSD_IJSA_SA_EEENS0_18inequality_wrapperIZN2at6native12_GLOBAL__N_124unique_dim_cuda_templateIN3c104HalfEEESt5tupleIJNSH_6TensorESO_SO_EERKSO_lbbbEUlllE0_EEPmJS6_EEE10hipError_tPvRmT3_T4_T5_T6_T7_T9_mT8_P12ihipStream_tbDpT10_ENKUlT_T0_E_clISt17integral_constantIbLb0EES1E_EEDaS19_S1A_EUlS19_E_NS1_11comp_targetILNS1_3genE10ELNS1_11target_archE1200ELNS1_3gpuE4ELNS1_3repE0EEENS1_30default_config_static_selectorELNS0_4arch9wavefront6targetE1EEEvT1_,comdat
	.globl	_ZN7rocprim17ROCPRIM_400000_NS6detail17trampoline_kernelINS0_14default_configENS1_25partition_config_selectorILNS1_17partition_subalgoE8ElNS0_10empty_typeEbEEZZNS1_14partition_implILS5_8ELb0ES3_jPlPS6_PKS6_NS0_5tupleIJS9_S6_EEENSD_IJSA_SA_EEENS0_18inequality_wrapperIZN2at6native12_GLOBAL__N_124unique_dim_cuda_templateIN3c104HalfEEESt5tupleIJNSH_6TensorESO_SO_EERKSO_lbbbEUlllE0_EEPmJS6_EEE10hipError_tPvRmT3_T4_T5_T6_T7_T9_mT8_P12ihipStream_tbDpT10_ENKUlT_T0_E_clISt17integral_constantIbLb0EES1E_EEDaS19_S1A_EUlS19_E_NS1_11comp_targetILNS1_3genE10ELNS1_11target_archE1200ELNS1_3gpuE4ELNS1_3repE0EEENS1_30default_config_static_selectorELNS0_4arch9wavefront6targetE1EEEvT1_ ; -- Begin function _ZN7rocprim17ROCPRIM_400000_NS6detail17trampoline_kernelINS0_14default_configENS1_25partition_config_selectorILNS1_17partition_subalgoE8ElNS0_10empty_typeEbEEZZNS1_14partition_implILS5_8ELb0ES3_jPlPS6_PKS6_NS0_5tupleIJS9_S6_EEENSD_IJSA_SA_EEENS0_18inequality_wrapperIZN2at6native12_GLOBAL__N_124unique_dim_cuda_templateIN3c104HalfEEESt5tupleIJNSH_6TensorESO_SO_EERKSO_lbbbEUlllE0_EEPmJS6_EEE10hipError_tPvRmT3_T4_T5_T6_T7_T9_mT8_P12ihipStream_tbDpT10_ENKUlT_T0_E_clISt17integral_constantIbLb0EES1E_EEDaS19_S1A_EUlS19_E_NS1_11comp_targetILNS1_3genE10ELNS1_11target_archE1200ELNS1_3gpuE4ELNS1_3repE0EEENS1_30default_config_static_selectorELNS0_4arch9wavefront6targetE1EEEvT1_
	.p2align	8
	.type	_ZN7rocprim17ROCPRIM_400000_NS6detail17trampoline_kernelINS0_14default_configENS1_25partition_config_selectorILNS1_17partition_subalgoE8ElNS0_10empty_typeEbEEZZNS1_14partition_implILS5_8ELb0ES3_jPlPS6_PKS6_NS0_5tupleIJS9_S6_EEENSD_IJSA_SA_EEENS0_18inequality_wrapperIZN2at6native12_GLOBAL__N_124unique_dim_cuda_templateIN3c104HalfEEESt5tupleIJNSH_6TensorESO_SO_EERKSO_lbbbEUlllE0_EEPmJS6_EEE10hipError_tPvRmT3_T4_T5_T6_T7_T9_mT8_P12ihipStream_tbDpT10_ENKUlT_T0_E_clISt17integral_constantIbLb0EES1E_EEDaS19_S1A_EUlS19_E_NS1_11comp_targetILNS1_3genE10ELNS1_11target_archE1200ELNS1_3gpuE4ELNS1_3repE0EEENS1_30default_config_static_selectorELNS0_4arch9wavefront6targetE1EEEvT1_,@function
_ZN7rocprim17ROCPRIM_400000_NS6detail17trampoline_kernelINS0_14default_configENS1_25partition_config_selectorILNS1_17partition_subalgoE8ElNS0_10empty_typeEbEEZZNS1_14partition_implILS5_8ELb0ES3_jPlPS6_PKS6_NS0_5tupleIJS9_S6_EEENSD_IJSA_SA_EEENS0_18inequality_wrapperIZN2at6native12_GLOBAL__N_124unique_dim_cuda_templateIN3c104HalfEEESt5tupleIJNSH_6TensorESO_SO_EERKSO_lbbbEUlllE0_EEPmJS6_EEE10hipError_tPvRmT3_T4_T5_T6_T7_T9_mT8_P12ihipStream_tbDpT10_ENKUlT_T0_E_clISt17integral_constantIbLb0EES1E_EEDaS19_S1A_EUlS19_E_NS1_11comp_targetILNS1_3genE10ELNS1_11target_archE1200ELNS1_3gpuE4ELNS1_3repE0EEENS1_30default_config_static_selectorELNS0_4arch9wavefront6targetE1EEEvT1_: ; @_ZN7rocprim17ROCPRIM_400000_NS6detail17trampoline_kernelINS0_14default_configENS1_25partition_config_selectorILNS1_17partition_subalgoE8ElNS0_10empty_typeEbEEZZNS1_14partition_implILS5_8ELb0ES3_jPlPS6_PKS6_NS0_5tupleIJS9_S6_EEENSD_IJSA_SA_EEENS0_18inequality_wrapperIZN2at6native12_GLOBAL__N_124unique_dim_cuda_templateIN3c104HalfEEESt5tupleIJNSH_6TensorESO_SO_EERKSO_lbbbEUlllE0_EEPmJS6_EEE10hipError_tPvRmT3_T4_T5_T6_T7_T9_mT8_P12ihipStream_tbDpT10_ENKUlT_T0_E_clISt17integral_constantIbLb0EES1E_EEDaS19_S1A_EUlS19_E_NS1_11comp_targetILNS1_3genE10ELNS1_11target_archE1200ELNS1_3gpuE4ELNS1_3repE0EEENS1_30default_config_static_selectorELNS0_4arch9wavefront6targetE1EEEvT1_
; %bb.0:
	.section	.rodata,"a",@progbits
	.p2align	6, 0x0
	.amdhsa_kernel _ZN7rocprim17ROCPRIM_400000_NS6detail17trampoline_kernelINS0_14default_configENS1_25partition_config_selectorILNS1_17partition_subalgoE8ElNS0_10empty_typeEbEEZZNS1_14partition_implILS5_8ELb0ES3_jPlPS6_PKS6_NS0_5tupleIJS9_S6_EEENSD_IJSA_SA_EEENS0_18inequality_wrapperIZN2at6native12_GLOBAL__N_124unique_dim_cuda_templateIN3c104HalfEEESt5tupleIJNSH_6TensorESO_SO_EERKSO_lbbbEUlllE0_EEPmJS6_EEE10hipError_tPvRmT3_T4_T5_T6_T7_T9_mT8_P12ihipStream_tbDpT10_ENKUlT_T0_E_clISt17integral_constantIbLb0EES1E_EEDaS19_S1A_EUlS19_E_NS1_11comp_targetILNS1_3genE10ELNS1_11target_archE1200ELNS1_3gpuE4ELNS1_3repE0EEENS1_30default_config_static_selectorELNS0_4arch9wavefront6targetE1EEEvT1_
		.amdhsa_group_segment_fixed_size 0
		.amdhsa_private_segment_fixed_size 0
		.amdhsa_kernarg_size 120
		.amdhsa_user_sgpr_count 6
		.amdhsa_user_sgpr_private_segment_buffer 1
		.amdhsa_user_sgpr_dispatch_ptr 0
		.amdhsa_user_sgpr_queue_ptr 0
		.amdhsa_user_sgpr_kernarg_segment_ptr 1
		.amdhsa_user_sgpr_dispatch_id 0
		.amdhsa_user_sgpr_flat_scratch_init 0
		.amdhsa_user_sgpr_kernarg_preload_length 0
		.amdhsa_user_sgpr_kernarg_preload_offset 0
		.amdhsa_user_sgpr_private_segment_size 0
		.amdhsa_uses_dynamic_stack 0
		.amdhsa_system_sgpr_private_segment_wavefront_offset 0
		.amdhsa_system_sgpr_workgroup_id_x 1
		.amdhsa_system_sgpr_workgroup_id_y 0
		.amdhsa_system_sgpr_workgroup_id_z 0
		.amdhsa_system_sgpr_workgroup_info 0
		.amdhsa_system_vgpr_workitem_id 0
		.amdhsa_next_free_vgpr 1
		.amdhsa_next_free_sgpr 0
		.amdhsa_accum_offset 4
		.amdhsa_reserve_vcc 0
		.amdhsa_reserve_flat_scratch 0
		.amdhsa_float_round_mode_32 0
		.amdhsa_float_round_mode_16_64 0
		.amdhsa_float_denorm_mode_32 3
		.amdhsa_float_denorm_mode_16_64 3
		.amdhsa_dx10_clamp 1
		.amdhsa_ieee_mode 1
		.amdhsa_fp16_overflow 0
		.amdhsa_tg_split 0
		.amdhsa_exception_fp_ieee_invalid_op 0
		.amdhsa_exception_fp_denorm_src 0
		.amdhsa_exception_fp_ieee_div_zero 0
		.amdhsa_exception_fp_ieee_overflow 0
		.amdhsa_exception_fp_ieee_underflow 0
		.amdhsa_exception_fp_ieee_inexact 0
		.amdhsa_exception_int_div_zero 0
	.end_amdhsa_kernel
	.section	.text._ZN7rocprim17ROCPRIM_400000_NS6detail17trampoline_kernelINS0_14default_configENS1_25partition_config_selectorILNS1_17partition_subalgoE8ElNS0_10empty_typeEbEEZZNS1_14partition_implILS5_8ELb0ES3_jPlPS6_PKS6_NS0_5tupleIJS9_S6_EEENSD_IJSA_SA_EEENS0_18inequality_wrapperIZN2at6native12_GLOBAL__N_124unique_dim_cuda_templateIN3c104HalfEEESt5tupleIJNSH_6TensorESO_SO_EERKSO_lbbbEUlllE0_EEPmJS6_EEE10hipError_tPvRmT3_T4_T5_T6_T7_T9_mT8_P12ihipStream_tbDpT10_ENKUlT_T0_E_clISt17integral_constantIbLb0EES1E_EEDaS19_S1A_EUlS19_E_NS1_11comp_targetILNS1_3genE10ELNS1_11target_archE1200ELNS1_3gpuE4ELNS1_3repE0EEENS1_30default_config_static_selectorELNS0_4arch9wavefront6targetE1EEEvT1_,"axG",@progbits,_ZN7rocprim17ROCPRIM_400000_NS6detail17trampoline_kernelINS0_14default_configENS1_25partition_config_selectorILNS1_17partition_subalgoE8ElNS0_10empty_typeEbEEZZNS1_14partition_implILS5_8ELb0ES3_jPlPS6_PKS6_NS0_5tupleIJS9_S6_EEENSD_IJSA_SA_EEENS0_18inequality_wrapperIZN2at6native12_GLOBAL__N_124unique_dim_cuda_templateIN3c104HalfEEESt5tupleIJNSH_6TensorESO_SO_EERKSO_lbbbEUlllE0_EEPmJS6_EEE10hipError_tPvRmT3_T4_T5_T6_T7_T9_mT8_P12ihipStream_tbDpT10_ENKUlT_T0_E_clISt17integral_constantIbLb0EES1E_EEDaS19_S1A_EUlS19_E_NS1_11comp_targetILNS1_3genE10ELNS1_11target_archE1200ELNS1_3gpuE4ELNS1_3repE0EEENS1_30default_config_static_selectorELNS0_4arch9wavefront6targetE1EEEvT1_,comdat
.Lfunc_end1300:
	.size	_ZN7rocprim17ROCPRIM_400000_NS6detail17trampoline_kernelINS0_14default_configENS1_25partition_config_selectorILNS1_17partition_subalgoE8ElNS0_10empty_typeEbEEZZNS1_14partition_implILS5_8ELb0ES3_jPlPS6_PKS6_NS0_5tupleIJS9_S6_EEENSD_IJSA_SA_EEENS0_18inequality_wrapperIZN2at6native12_GLOBAL__N_124unique_dim_cuda_templateIN3c104HalfEEESt5tupleIJNSH_6TensorESO_SO_EERKSO_lbbbEUlllE0_EEPmJS6_EEE10hipError_tPvRmT3_T4_T5_T6_T7_T9_mT8_P12ihipStream_tbDpT10_ENKUlT_T0_E_clISt17integral_constantIbLb0EES1E_EEDaS19_S1A_EUlS19_E_NS1_11comp_targetILNS1_3genE10ELNS1_11target_archE1200ELNS1_3gpuE4ELNS1_3repE0EEENS1_30default_config_static_selectorELNS0_4arch9wavefront6targetE1EEEvT1_, .Lfunc_end1300-_ZN7rocprim17ROCPRIM_400000_NS6detail17trampoline_kernelINS0_14default_configENS1_25partition_config_selectorILNS1_17partition_subalgoE8ElNS0_10empty_typeEbEEZZNS1_14partition_implILS5_8ELb0ES3_jPlPS6_PKS6_NS0_5tupleIJS9_S6_EEENSD_IJSA_SA_EEENS0_18inequality_wrapperIZN2at6native12_GLOBAL__N_124unique_dim_cuda_templateIN3c104HalfEEESt5tupleIJNSH_6TensorESO_SO_EERKSO_lbbbEUlllE0_EEPmJS6_EEE10hipError_tPvRmT3_T4_T5_T6_T7_T9_mT8_P12ihipStream_tbDpT10_ENKUlT_T0_E_clISt17integral_constantIbLb0EES1E_EEDaS19_S1A_EUlS19_E_NS1_11comp_targetILNS1_3genE10ELNS1_11target_archE1200ELNS1_3gpuE4ELNS1_3repE0EEENS1_30default_config_static_selectorELNS0_4arch9wavefront6targetE1EEEvT1_
                                        ; -- End function
	.section	.AMDGPU.csdata,"",@progbits
; Kernel info:
; codeLenInByte = 0
; NumSgprs: 4
; NumVgprs: 0
; NumAgprs: 0
; TotalNumVgprs: 0
; ScratchSize: 0
; MemoryBound: 0
; FloatMode: 240
; IeeeMode: 1
; LDSByteSize: 0 bytes/workgroup (compile time only)
; SGPRBlocks: 0
; VGPRBlocks: 0
; NumSGPRsForWavesPerEU: 4
; NumVGPRsForWavesPerEU: 1
; AccumOffset: 4
; Occupancy: 8
; WaveLimiterHint : 0
; COMPUTE_PGM_RSRC2:SCRATCH_EN: 0
; COMPUTE_PGM_RSRC2:USER_SGPR: 6
; COMPUTE_PGM_RSRC2:TRAP_HANDLER: 0
; COMPUTE_PGM_RSRC2:TGID_X_EN: 1
; COMPUTE_PGM_RSRC2:TGID_Y_EN: 0
; COMPUTE_PGM_RSRC2:TGID_Z_EN: 0
; COMPUTE_PGM_RSRC2:TIDIG_COMP_CNT: 0
; COMPUTE_PGM_RSRC3_GFX90A:ACCUM_OFFSET: 0
; COMPUTE_PGM_RSRC3_GFX90A:TG_SPLIT: 0
	.section	.text._ZN7rocprim17ROCPRIM_400000_NS6detail17trampoline_kernelINS0_14default_configENS1_25partition_config_selectorILNS1_17partition_subalgoE8ElNS0_10empty_typeEbEEZZNS1_14partition_implILS5_8ELb0ES3_jPlPS6_PKS6_NS0_5tupleIJS9_S6_EEENSD_IJSA_SA_EEENS0_18inequality_wrapperIZN2at6native12_GLOBAL__N_124unique_dim_cuda_templateIN3c104HalfEEESt5tupleIJNSH_6TensorESO_SO_EERKSO_lbbbEUlllE0_EEPmJS6_EEE10hipError_tPvRmT3_T4_T5_T6_T7_T9_mT8_P12ihipStream_tbDpT10_ENKUlT_T0_E_clISt17integral_constantIbLb0EES1E_EEDaS19_S1A_EUlS19_E_NS1_11comp_targetILNS1_3genE9ELNS1_11target_archE1100ELNS1_3gpuE3ELNS1_3repE0EEENS1_30default_config_static_selectorELNS0_4arch9wavefront6targetE1EEEvT1_,"axG",@progbits,_ZN7rocprim17ROCPRIM_400000_NS6detail17trampoline_kernelINS0_14default_configENS1_25partition_config_selectorILNS1_17partition_subalgoE8ElNS0_10empty_typeEbEEZZNS1_14partition_implILS5_8ELb0ES3_jPlPS6_PKS6_NS0_5tupleIJS9_S6_EEENSD_IJSA_SA_EEENS0_18inequality_wrapperIZN2at6native12_GLOBAL__N_124unique_dim_cuda_templateIN3c104HalfEEESt5tupleIJNSH_6TensorESO_SO_EERKSO_lbbbEUlllE0_EEPmJS6_EEE10hipError_tPvRmT3_T4_T5_T6_T7_T9_mT8_P12ihipStream_tbDpT10_ENKUlT_T0_E_clISt17integral_constantIbLb0EES1E_EEDaS19_S1A_EUlS19_E_NS1_11comp_targetILNS1_3genE9ELNS1_11target_archE1100ELNS1_3gpuE3ELNS1_3repE0EEENS1_30default_config_static_selectorELNS0_4arch9wavefront6targetE1EEEvT1_,comdat
	.globl	_ZN7rocprim17ROCPRIM_400000_NS6detail17trampoline_kernelINS0_14default_configENS1_25partition_config_selectorILNS1_17partition_subalgoE8ElNS0_10empty_typeEbEEZZNS1_14partition_implILS5_8ELb0ES3_jPlPS6_PKS6_NS0_5tupleIJS9_S6_EEENSD_IJSA_SA_EEENS0_18inequality_wrapperIZN2at6native12_GLOBAL__N_124unique_dim_cuda_templateIN3c104HalfEEESt5tupleIJNSH_6TensorESO_SO_EERKSO_lbbbEUlllE0_EEPmJS6_EEE10hipError_tPvRmT3_T4_T5_T6_T7_T9_mT8_P12ihipStream_tbDpT10_ENKUlT_T0_E_clISt17integral_constantIbLb0EES1E_EEDaS19_S1A_EUlS19_E_NS1_11comp_targetILNS1_3genE9ELNS1_11target_archE1100ELNS1_3gpuE3ELNS1_3repE0EEENS1_30default_config_static_selectorELNS0_4arch9wavefront6targetE1EEEvT1_ ; -- Begin function _ZN7rocprim17ROCPRIM_400000_NS6detail17trampoline_kernelINS0_14default_configENS1_25partition_config_selectorILNS1_17partition_subalgoE8ElNS0_10empty_typeEbEEZZNS1_14partition_implILS5_8ELb0ES3_jPlPS6_PKS6_NS0_5tupleIJS9_S6_EEENSD_IJSA_SA_EEENS0_18inequality_wrapperIZN2at6native12_GLOBAL__N_124unique_dim_cuda_templateIN3c104HalfEEESt5tupleIJNSH_6TensorESO_SO_EERKSO_lbbbEUlllE0_EEPmJS6_EEE10hipError_tPvRmT3_T4_T5_T6_T7_T9_mT8_P12ihipStream_tbDpT10_ENKUlT_T0_E_clISt17integral_constantIbLb0EES1E_EEDaS19_S1A_EUlS19_E_NS1_11comp_targetILNS1_3genE9ELNS1_11target_archE1100ELNS1_3gpuE3ELNS1_3repE0EEENS1_30default_config_static_selectorELNS0_4arch9wavefront6targetE1EEEvT1_
	.p2align	8
	.type	_ZN7rocprim17ROCPRIM_400000_NS6detail17trampoline_kernelINS0_14default_configENS1_25partition_config_selectorILNS1_17partition_subalgoE8ElNS0_10empty_typeEbEEZZNS1_14partition_implILS5_8ELb0ES3_jPlPS6_PKS6_NS0_5tupleIJS9_S6_EEENSD_IJSA_SA_EEENS0_18inequality_wrapperIZN2at6native12_GLOBAL__N_124unique_dim_cuda_templateIN3c104HalfEEESt5tupleIJNSH_6TensorESO_SO_EERKSO_lbbbEUlllE0_EEPmJS6_EEE10hipError_tPvRmT3_T4_T5_T6_T7_T9_mT8_P12ihipStream_tbDpT10_ENKUlT_T0_E_clISt17integral_constantIbLb0EES1E_EEDaS19_S1A_EUlS19_E_NS1_11comp_targetILNS1_3genE9ELNS1_11target_archE1100ELNS1_3gpuE3ELNS1_3repE0EEENS1_30default_config_static_selectorELNS0_4arch9wavefront6targetE1EEEvT1_,@function
_ZN7rocprim17ROCPRIM_400000_NS6detail17trampoline_kernelINS0_14default_configENS1_25partition_config_selectorILNS1_17partition_subalgoE8ElNS0_10empty_typeEbEEZZNS1_14partition_implILS5_8ELb0ES3_jPlPS6_PKS6_NS0_5tupleIJS9_S6_EEENSD_IJSA_SA_EEENS0_18inequality_wrapperIZN2at6native12_GLOBAL__N_124unique_dim_cuda_templateIN3c104HalfEEESt5tupleIJNSH_6TensorESO_SO_EERKSO_lbbbEUlllE0_EEPmJS6_EEE10hipError_tPvRmT3_T4_T5_T6_T7_T9_mT8_P12ihipStream_tbDpT10_ENKUlT_T0_E_clISt17integral_constantIbLb0EES1E_EEDaS19_S1A_EUlS19_E_NS1_11comp_targetILNS1_3genE9ELNS1_11target_archE1100ELNS1_3gpuE3ELNS1_3repE0EEENS1_30default_config_static_selectorELNS0_4arch9wavefront6targetE1EEEvT1_: ; @_ZN7rocprim17ROCPRIM_400000_NS6detail17trampoline_kernelINS0_14default_configENS1_25partition_config_selectorILNS1_17partition_subalgoE8ElNS0_10empty_typeEbEEZZNS1_14partition_implILS5_8ELb0ES3_jPlPS6_PKS6_NS0_5tupleIJS9_S6_EEENSD_IJSA_SA_EEENS0_18inequality_wrapperIZN2at6native12_GLOBAL__N_124unique_dim_cuda_templateIN3c104HalfEEESt5tupleIJNSH_6TensorESO_SO_EERKSO_lbbbEUlllE0_EEPmJS6_EEE10hipError_tPvRmT3_T4_T5_T6_T7_T9_mT8_P12ihipStream_tbDpT10_ENKUlT_T0_E_clISt17integral_constantIbLb0EES1E_EEDaS19_S1A_EUlS19_E_NS1_11comp_targetILNS1_3genE9ELNS1_11target_archE1100ELNS1_3gpuE3ELNS1_3repE0EEENS1_30default_config_static_selectorELNS0_4arch9wavefront6targetE1EEEvT1_
; %bb.0:
	.section	.rodata,"a",@progbits
	.p2align	6, 0x0
	.amdhsa_kernel _ZN7rocprim17ROCPRIM_400000_NS6detail17trampoline_kernelINS0_14default_configENS1_25partition_config_selectorILNS1_17partition_subalgoE8ElNS0_10empty_typeEbEEZZNS1_14partition_implILS5_8ELb0ES3_jPlPS6_PKS6_NS0_5tupleIJS9_S6_EEENSD_IJSA_SA_EEENS0_18inequality_wrapperIZN2at6native12_GLOBAL__N_124unique_dim_cuda_templateIN3c104HalfEEESt5tupleIJNSH_6TensorESO_SO_EERKSO_lbbbEUlllE0_EEPmJS6_EEE10hipError_tPvRmT3_T4_T5_T6_T7_T9_mT8_P12ihipStream_tbDpT10_ENKUlT_T0_E_clISt17integral_constantIbLb0EES1E_EEDaS19_S1A_EUlS19_E_NS1_11comp_targetILNS1_3genE9ELNS1_11target_archE1100ELNS1_3gpuE3ELNS1_3repE0EEENS1_30default_config_static_selectorELNS0_4arch9wavefront6targetE1EEEvT1_
		.amdhsa_group_segment_fixed_size 0
		.amdhsa_private_segment_fixed_size 0
		.amdhsa_kernarg_size 120
		.amdhsa_user_sgpr_count 6
		.amdhsa_user_sgpr_private_segment_buffer 1
		.amdhsa_user_sgpr_dispatch_ptr 0
		.amdhsa_user_sgpr_queue_ptr 0
		.amdhsa_user_sgpr_kernarg_segment_ptr 1
		.amdhsa_user_sgpr_dispatch_id 0
		.amdhsa_user_sgpr_flat_scratch_init 0
		.amdhsa_user_sgpr_kernarg_preload_length 0
		.amdhsa_user_sgpr_kernarg_preload_offset 0
		.amdhsa_user_sgpr_private_segment_size 0
		.amdhsa_uses_dynamic_stack 0
		.amdhsa_system_sgpr_private_segment_wavefront_offset 0
		.amdhsa_system_sgpr_workgroup_id_x 1
		.amdhsa_system_sgpr_workgroup_id_y 0
		.amdhsa_system_sgpr_workgroup_id_z 0
		.amdhsa_system_sgpr_workgroup_info 0
		.amdhsa_system_vgpr_workitem_id 0
		.amdhsa_next_free_vgpr 1
		.amdhsa_next_free_sgpr 0
		.amdhsa_accum_offset 4
		.amdhsa_reserve_vcc 0
		.amdhsa_reserve_flat_scratch 0
		.amdhsa_float_round_mode_32 0
		.amdhsa_float_round_mode_16_64 0
		.amdhsa_float_denorm_mode_32 3
		.amdhsa_float_denorm_mode_16_64 3
		.amdhsa_dx10_clamp 1
		.amdhsa_ieee_mode 1
		.amdhsa_fp16_overflow 0
		.amdhsa_tg_split 0
		.amdhsa_exception_fp_ieee_invalid_op 0
		.amdhsa_exception_fp_denorm_src 0
		.amdhsa_exception_fp_ieee_div_zero 0
		.amdhsa_exception_fp_ieee_overflow 0
		.amdhsa_exception_fp_ieee_underflow 0
		.amdhsa_exception_fp_ieee_inexact 0
		.amdhsa_exception_int_div_zero 0
	.end_amdhsa_kernel
	.section	.text._ZN7rocprim17ROCPRIM_400000_NS6detail17trampoline_kernelINS0_14default_configENS1_25partition_config_selectorILNS1_17partition_subalgoE8ElNS0_10empty_typeEbEEZZNS1_14partition_implILS5_8ELb0ES3_jPlPS6_PKS6_NS0_5tupleIJS9_S6_EEENSD_IJSA_SA_EEENS0_18inequality_wrapperIZN2at6native12_GLOBAL__N_124unique_dim_cuda_templateIN3c104HalfEEESt5tupleIJNSH_6TensorESO_SO_EERKSO_lbbbEUlllE0_EEPmJS6_EEE10hipError_tPvRmT3_T4_T5_T6_T7_T9_mT8_P12ihipStream_tbDpT10_ENKUlT_T0_E_clISt17integral_constantIbLb0EES1E_EEDaS19_S1A_EUlS19_E_NS1_11comp_targetILNS1_3genE9ELNS1_11target_archE1100ELNS1_3gpuE3ELNS1_3repE0EEENS1_30default_config_static_selectorELNS0_4arch9wavefront6targetE1EEEvT1_,"axG",@progbits,_ZN7rocprim17ROCPRIM_400000_NS6detail17trampoline_kernelINS0_14default_configENS1_25partition_config_selectorILNS1_17partition_subalgoE8ElNS0_10empty_typeEbEEZZNS1_14partition_implILS5_8ELb0ES3_jPlPS6_PKS6_NS0_5tupleIJS9_S6_EEENSD_IJSA_SA_EEENS0_18inequality_wrapperIZN2at6native12_GLOBAL__N_124unique_dim_cuda_templateIN3c104HalfEEESt5tupleIJNSH_6TensorESO_SO_EERKSO_lbbbEUlllE0_EEPmJS6_EEE10hipError_tPvRmT3_T4_T5_T6_T7_T9_mT8_P12ihipStream_tbDpT10_ENKUlT_T0_E_clISt17integral_constantIbLb0EES1E_EEDaS19_S1A_EUlS19_E_NS1_11comp_targetILNS1_3genE9ELNS1_11target_archE1100ELNS1_3gpuE3ELNS1_3repE0EEENS1_30default_config_static_selectorELNS0_4arch9wavefront6targetE1EEEvT1_,comdat
.Lfunc_end1301:
	.size	_ZN7rocprim17ROCPRIM_400000_NS6detail17trampoline_kernelINS0_14default_configENS1_25partition_config_selectorILNS1_17partition_subalgoE8ElNS0_10empty_typeEbEEZZNS1_14partition_implILS5_8ELb0ES3_jPlPS6_PKS6_NS0_5tupleIJS9_S6_EEENSD_IJSA_SA_EEENS0_18inequality_wrapperIZN2at6native12_GLOBAL__N_124unique_dim_cuda_templateIN3c104HalfEEESt5tupleIJNSH_6TensorESO_SO_EERKSO_lbbbEUlllE0_EEPmJS6_EEE10hipError_tPvRmT3_T4_T5_T6_T7_T9_mT8_P12ihipStream_tbDpT10_ENKUlT_T0_E_clISt17integral_constantIbLb0EES1E_EEDaS19_S1A_EUlS19_E_NS1_11comp_targetILNS1_3genE9ELNS1_11target_archE1100ELNS1_3gpuE3ELNS1_3repE0EEENS1_30default_config_static_selectorELNS0_4arch9wavefront6targetE1EEEvT1_, .Lfunc_end1301-_ZN7rocprim17ROCPRIM_400000_NS6detail17trampoline_kernelINS0_14default_configENS1_25partition_config_selectorILNS1_17partition_subalgoE8ElNS0_10empty_typeEbEEZZNS1_14partition_implILS5_8ELb0ES3_jPlPS6_PKS6_NS0_5tupleIJS9_S6_EEENSD_IJSA_SA_EEENS0_18inequality_wrapperIZN2at6native12_GLOBAL__N_124unique_dim_cuda_templateIN3c104HalfEEESt5tupleIJNSH_6TensorESO_SO_EERKSO_lbbbEUlllE0_EEPmJS6_EEE10hipError_tPvRmT3_T4_T5_T6_T7_T9_mT8_P12ihipStream_tbDpT10_ENKUlT_T0_E_clISt17integral_constantIbLb0EES1E_EEDaS19_S1A_EUlS19_E_NS1_11comp_targetILNS1_3genE9ELNS1_11target_archE1100ELNS1_3gpuE3ELNS1_3repE0EEENS1_30default_config_static_selectorELNS0_4arch9wavefront6targetE1EEEvT1_
                                        ; -- End function
	.section	.AMDGPU.csdata,"",@progbits
; Kernel info:
; codeLenInByte = 0
; NumSgprs: 4
; NumVgprs: 0
; NumAgprs: 0
; TotalNumVgprs: 0
; ScratchSize: 0
; MemoryBound: 0
; FloatMode: 240
; IeeeMode: 1
; LDSByteSize: 0 bytes/workgroup (compile time only)
; SGPRBlocks: 0
; VGPRBlocks: 0
; NumSGPRsForWavesPerEU: 4
; NumVGPRsForWavesPerEU: 1
; AccumOffset: 4
; Occupancy: 8
; WaveLimiterHint : 0
; COMPUTE_PGM_RSRC2:SCRATCH_EN: 0
; COMPUTE_PGM_RSRC2:USER_SGPR: 6
; COMPUTE_PGM_RSRC2:TRAP_HANDLER: 0
; COMPUTE_PGM_RSRC2:TGID_X_EN: 1
; COMPUTE_PGM_RSRC2:TGID_Y_EN: 0
; COMPUTE_PGM_RSRC2:TGID_Z_EN: 0
; COMPUTE_PGM_RSRC2:TIDIG_COMP_CNT: 0
; COMPUTE_PGM_RSRC3_GFX90A:ACCUM_OFFSET: 0
; COMPUTE_PGM_RSRC3_GFX90A:TG_SPLIT: 0
	.section	.text._ZN7rocprim17ROCPRIM_400000_NS6detail17trampoline_kernelINS0_14default_configENS1_25partition_config_selectorILNS1_17partition_subalgoE8ElNS0_10empty_typeEbEEZZNS1_14partition_implILS5_8ELb0ES3_jPlPS6_PKS6_NS0_5tupleIJS9_S6_EEENSD_IJSA_SA_EEENS0_18inequality_wrapperIZN2at6native12_GLOBAL__N_124unique_dim_cuda_templateIN3c104HalfEEESt5tupleIJNSH_6TensorESO_SO_EERKSO_lbbbEUlllE0_EEPmJS6_EEE10hipError_tPvRmT3_T4_T5_T6_T7_T9_mT8_P12ihipStream_tbDpT10_ENKUlT_T0_E_clISt17integral_constantIbLb0EES1E_EEDaS19_S1A_EUlS19_E_NS1_11comp_targetILNS1_3genE8ELNS1_11target_archE1030ELNS1_3gpuE2ELNS1_3repE0EEENS1_30default_config_static_selectorELNS0_4arch9wavefront6targetE1EEEvT1_,"axG",@progbits,_ZN7rocprim17ROCPRIM_400000_NS6detail17trampoline_kernelINS0_14default_configENS1_25partition_config_selectorILNS1_17partition_subalgoE8ElNS0_10empty_typeEbEEZZNS1_14partition_implILS5_8ELb0ES3_jPlPS6_PKS6_NS0_5tupleIJS9_S6_EEENSD_IJSA_SA_EEENS0_18inequality_wrapperIZN2at6native12_GLOBAL__N_124unique_dim_cuda_templateIN3c104HalfEEESt5tupleIJNSH_6TensorESO_SO_EERKSO_lbbbEUlllE0_EEPmJS6_EEE10hipError_tPvRmT3_T4_T5_T6_T7_T9_mT8_P12ihipStream_tbDpT10_ENKUlT_T0_E_clISt17integral_constantIbLb0EES1E_EEDaS19_S1A_EUlS19_E_NS1_11comp_targetILNS1_3genE8ELNS1_11target_archE1030ELNS1_3gpuE2ELNS1_3repE0EEENS1_30default_config_static_selectorELNS0_4arch9wavefront6targetE1EEEvT1_,comdat
	.globl	_ZN7rocprim17ROCPRIM_400000_NS6detail17trampoline_kernelINS0_14default_configENS1_25partition_config_selectorILNS1_17partition_subalgoE8ElNS0_10empty_typeEbEEZZNS1_14partition_implILS5_8ELb0ES3_jPlPS6_PKS6_NS0_5tupleIJS9_S6_EEENSD_IJSA_SA_EEENS0_18inequality_wrapperIZN2at6native12_GLOBAL__N_124unique_dim_cuda_templateIN3c104HalfEEESt5tupleIJNSH_6TensorESO_SO_EERKSO_lbbbEUlllE0_EEPmJS6_EEE10hipError_tPvRmT3_T4_T5_T6_T7_T9_mT8_P12ihipStream_tbDpT10_ENKUlT_T0_E_clISt17integral_constantIbLb0EES1E_EEDaS19_S1A_EUlS19_E_NS1_11comp_targetILNS1_3genE8ELNS1_11target_archE1030ELNS1_3gpuE2ELNS1_3repE0EEENS1_30default_config_static_selectorELNS0_4arch9wavefront6targetE1EEEvT1_ ; -- Begin function _ZN7rocprim17ROCPRIM_400000_NS6detail17trampoline_kernelINS0_14default_configENS1_25partition_config_selectorILNS1_17partition_subalgoE8ElNS0_10empty_typeEbEEZZNS1_14partition_implILS5_8ELb0ES3_jPlPS6_PKS6_NS0_5tupleIJS9_S6_EEENSD_IJSA_SA_EEENS0_18inequality_wrapperIZN2at6native12_GLOBAL__N_124unique_dim_cuda_templateIN3c104HalfEEESt5tupleIJNSH_6TensorESO_SO_EERKSO_lbbbEUlllE0_EEPmJS6_EEE10hipError_tPvRmT3_T4_T5_T6_T7_T9_mT8_P12ihipStream_tbDpT10_ENKUlT_T0_E_clISt17integral_constantIbLb0EES1E_EEDaS19_S1A_EUlS19_E_NS1_11comp_targetILNS1_3genE8ELNS1_11target_archE1030ELNS1_3gpuE2ELNS1_3repE0EEENS1_30default_config_static_selectorELNS0_4arch9wavefront6targetE1EEEvT1_
	.p2align	8
	.type	_ZN7rocprim17ROCPRIM_400000_NS6detail17trampoline_kernelINS0_14default_configENS1_25partition_config_selectorILNS1_17partition_subalgoE8ElNS0_10empty_typeEbEEZZNS1_14partition_implILS5_8ELb0ES3_jPlPS6_PKS6_NS0_5tupleIJS9_S6_EEENSD_IJSA_SA_EEENS0_18inequality_wrapperIZN2at6native12_GLOBAL__N_124unique_dim_cuda_templateIN3c104HalfEEESt5tupleIJNSH_6TensorESO_SO_EERKSO_lbbbEUlllE0_EEPmJS6_EEE10hipError_tPvRmT3_T4_T5_T6_T7_T9_mT8_P12ihipStream_tbDpT10_ENKUlT_T0_E_clISt17integral_constantIbLb0EES1E_EEDaS19_S1A_EUlS19_E_NS1_11comp_targetILNS1_3genE8ELNS1_11target_archE1030ELNS1_3gpuE2ELNS1_3repE0EEENS1_30default_config_static_selectorELNS0_4arch9wavefront6targetE1EEEvT1_,@function
_ZN7rocprim17ROCPRIM_400000_NS6detail17trampoline_kernelINS0_14default_configENS1_25partition_config_selectorILNS1_17partition_subalgoE8ElNS0_10empty_typeEbEEZZNS1_14partition_implILS5_8ELb0ES3_jPlPS6_PKS6_NS0_5tupleIJS9_S6_EEENSD_IJSA_SA_EEENS0_18inequality_wrapperIZN2at6native12_GLOBAL__N_124unique_dim_cuda_templateIN3c104HalfEEESt5tupleIJNSH_6TensorESO_SO_EERKSO_lbbbEUlllE0_EEPmJS6_EEE10hipError_tPvRmT3_T4_T5_T6_T7_T9_mT8_P12ihipStream_tbDpT10_ENKUlT_T0_E_clISt17integral_constantIbLb0EES1E_EEDaS19_S1A_EUlS19_E_NS1_11comp_targetILNS1_3genE8ELNS1_11target_archE1030ELNS1_3gpuE2ELNS1_3repE0EEENS1_30default_config_static_selectorELNS0_4arch9wavefront6targetE1EEEvT1_: ; @_ZN7rocprim17ROCPRIM_400000_NS6detail17trampoline_kernelINS0_14default_configENS1_25partition_config_selectorILNS1_17partition_subalgoE8ElNS0_10empty_typeEbEEZZNS1_14partition_implILS5_8ELb0ES3_jPlPS6_PKS6_NS0_5tupleIJS9_S6_EEENSD_IJSA_SA_EEENS0_18inequality_wrapperIZN2at6native12_GLOBAL__N_124unique_dim_cuda_templateIN3c104HalfEEESt5tupleIJNSH_6TensorESO_SO_EERKSO_lbbbEUlllE0_EEPmJS6_EEE10hipError_tPvRmT3_T4_T5_T6_T7_T9_mT8_P12ihipStream_tbDpT10_ENKUlT_T0_E_clISt17integral_constantIbLb0EES1E_EEDaS19_S1A_EUlS19_E_NS1_11comp_targetILNS1_3genE8ELNS1_11target_archE1030ELNS1_3gpuE2ELNS1_3repE0EEENS1_30default_config_static_selectorELNS0_4arch9wavefront6targetE1EEEvT1_
; %bb.0:
	.section	.rodata,"a",@progbits
	.p2align	6, 0x0
	.amdhsa_kernel _ZN7rocprim17ROCPRIM_400000_NS6detail17trampoline_kernelINS0_14default_configENS1_25partition_config_selectorILNS1_17partition_subalgoE8ElNS0_10empty_typeEbEEZZNS1_14partition_implILS5_8ELb0ES3_jPlPS6_PKS6_NS0_5tupleIJS9_S6_EEENSD_IJSA_SA_EEENS0_18inequality_wrapperIZN2at6native12_GLOBAL__N_124unique_dim_cuda_templateIN3c104HalfEEESt5tupleIJNSH_6TensorESO_SO_EERKSO_lbbbEUlllE0_EEPmJS6_EEE10hipError_tPvRmT3_T4_T5_T6_T7_T9_mT8_P12ihipStream_tbDpT10_ENKUlT_T0_E_clISt17integral_constantIbLb0EES1E_EEDaS19_S1A_EUlS19_E_NS1_11comp_targetILNS1_3genE8ELNS1_11target_archE1030ELNS1_3gpuE2ELNS1_3repE0EEENS1_30default_config_static_selectorELNS0_4arch9wavefront6targetE1EEEvT1_
		.amdhsa_group_segment_fixed_size 0
		.amdhsa_private_segment_fixed_size 0
		.amdhsa_kernarg_size 120
		.amdhsa_user_sgpr_count 6
		.amdhsa_user_sgpr_private_segment_buffer 1
		.amdhsa_user_sgpr_dispatch_ptr 0
		.amdhsa_user_sgpr_queue_ptr 0
		.amdhsa_user_sgpr_kernarg_segment_ptr 1
		.amdhsa_user_sgpr_dispatch_id 0
		.amdhsa_user_sgpr_flat_scratch_init 0
		.amdhsa_user_sgpr_kernarg_preload_length 0
		.amdhsa_user_sgpr_kernarg_preload_offset 0
		.amdhsa_user_sgpr_private_segment_size 0
		.amdhsa_uses_dynamic_stack 0
		.amdhsa_system_sgpr_private_segment_wavefront_offset 0
		.amdhsa_system_sgpr_workgroup_id_x 1
		.amdhsa_system_sgpr_workgroup_id_y 0
		.amdhsa_system_sgpr_workgroup_id_z 0
		.amdhsa_system_sgpr_workgroup_info 0
		.amdhsa_system_vgpr_workitem_id 0
		.amdhsa_next_free_vgpr 1
		.amdhsa_next_free_sgpr 0
		.amdhsa_accum_offset 4
		.amdhsa_reserve_vcc 0
		.amdhsa_reserve_flat_scratch 0
		.amdhsa_float_round_mode_32 0
		.amdhsa_float_round_mode_16_64 0
		.amdhsa_float_denorm_mode_32 3
		.amdhsa_float_denorm_mode_16_64 3
		.amdhsa_dx10_clamp 1
		.amdhsa_ieee_mode 1
		.amdhsa_fp16_overflow 0
		.amdhsa_tg_split 0
		.amdhsa_exception_fp_ieee_invalid_op 0
		.amdhsa_exception_fp_denorm_src 0
		.amdhsa_exception_fp_ieee_div_zero 0
		.amdhsa_exception_fp_ieee_overflow 0
		.amdhsa_exception_fp_ieee_underflow 0
		.amdhsa_exception_fp_ieee_inexact 0
		.amdhsa_exception_int_div_zero 0
	.end_amdhsa_kernel
	.section	.text._ZN7rocprim17ROCPRIM_400000_NS6detail17trampoline_kernelINS0_14default_configENS1_25partition_config_selectorILNS1_17partition_subalgoE8ElNS0_10empty_typeEbEEZZNS1_14partition_implILS5_8ELb0ES3_jPlPS6_PKS6_NS0_5tupleIJS9_S6_EEENSD_IJSA_SA_EEENS0_18inequality_wrapperIZN2at6native12_GLOBAL__N_124unique_dim_cuda_templateIN3c104HalfEEESt5tupleIJNSH_6TensorESO_SO_EERKSO_lbbbEUlllE0_EEPmJS6_EEE10hipError_tPvRmT3_T4_T5_T6_T7_T9_mT8_P12ihipStream_tbDpT10_ENKUlT_T0_E_clISt17integral_constantIbLb0EES1E_EEDaS19_S1A_EUlS19_E_NS1_11comp_targetILNS1_3genE8ELNS1_11target_archE1030ELNS1_3gpuE2ELNS1_3repE0EEENS1_30default_config_static_selectorELNS0_4arch9wavefront6targetE1EEEvT1_,"axG",@progbits,_ZN7rocprim17ROCPRIM_400000_NS6detail17trampoline_kernelINS0_14default_configENS1_25partition_config_selectorILNS1_17partition_subalgoE8ElNS0_10empty_typeEbEEZZNS1_14partition_implILS5_8ELb0ES3_jPlPS6_PKS6_NS0_5tupleIJS9_S6_EEENSD_IJSA_SA_EEENS0_18inequality_wrapperIZN2at6native12_GLOBAL__N_124unique_dim_cuda_templateIN3c104HalfEEESt5tupleIJNSH_6TensorESO_SO_EERKSO_lbbbEUlllE0_EEPmJS6_EEE10hipError_tPvRmT3_T4_T5_T6_T7_T9_mT8_P12ihipStream_tbDpT10_ENKUlT_T0_E_clISt17integral_constantIbLb0EES1E_EEDaS19_S1A_EUlS19_E_NS1_11comp_targetILNS1_3genE8ELNS1_11target_archE1030ELNS1_3gpuE2ELNS1_3repE0EEENS1_30default_config_static_selectorELNS0_4arch9wavefront6targetE1EEEvT1_,comdat
.Lfunc_end1302:
	.size	_ZN7rocprim17ROCPRIM_400000_NS6detail17trampoline_kernelINS0_14default_configENS1_25partition_config_selectorILNS1_17partition_subalgoE8ElNS0_10empty_typeEbEEZZNS1_14partition_implILS5_8ELb0ES3_jPlPS6_PKS6_NS0_5tupleIJS9_S6_EEENSD_IJSA_SA_EEENS0_18inequality_wrapperIZN2at6native12_GLOBAL__N_124unique_dim_cuda_templateIN3c104HalfEEESt5tupleIJNSH_6TensorESO_SO_EERKSO_lbbbEUlllE0_EEPmJS6_EEE10hipError_tPvRmT3_T4_T5_T6_T7_T9_mT8_P12ihipStream_tbDpT10_ENKUlT_T0_E_clISt17integral_constantIbLb0EES1E_EEDaS19_S1A_EUlS19_E_NS1_11comp_targetILNS1_3genE8ELNS1_11target_archE1030ELNS1_3gpuE2ELNS1_3repE0EEENS1_30default_config_static_selectorELNS0_4arch9wavefront6targetE1EEEvT1_, .Lfunc_end1302-_ZN7rocprim17ROCPRIM_400000_NS6detail17trampoline_kernelINS0_14default_configENS1_25partition_config_selectorILNS1_17partition_subalgoE8ElNS0_10empty_typeEbEEZZNS1_14partition_implILS5_8ELb0ES3_jPlPS6_PKS6_NS0_5tupleIJS9_S6_EEENSD_IJSA_SA_EEENS0_18inequality_wrapperIZN2at6native12_GLOBAL__N_124unique_dim_cuda_templateIN3c104HalfEEESt5tupleIJNSH_6TensorESO_SO_EERKSO_lbbbEUlllE0_EEPmJS6_EEE10hipError_tPvRmT3_T4_T5_T6_T7_T9_mT8_P12ihipStream_tbDpT10_ENKUlT_T0_E_clISt17integral_constantIbLb0EES1E_EEDaS19_S1A_EUlS19_E_NS1_11comp_targetILNS1_3genE8ELNS1_11target_archE1030ELNS1_3gpuE2ELNS1_3repE0EEENS1_30default_config_static_selectorELNS0_4arch9wavefront6targetE1EEEvT1_
                                        ; -- End function
	.section	.AMDGPU.csdata,"",@progbits
; Kernel info:
; codeLenInByte = 0
; NumSgprs: 4
; NumVgprs: 0
; NumAgprs: 0
; TotalNumVgprs: 0
; ScratchSize: 0
; MemoryBound: 0
; FloatMode: 240
; IeeeMode: 1
; LDSByteSize: 0 bytes/workgroup (compile time only)
; SGPRBlocks: 0
; VGPRBlocks: 0
; NumSGPRsForWavesPerEU: 4
; NumVGPRsForWavesPerEU: 1
; AccumOffset: 4
; Occupancy: 8
; WaveLimiterHint : 0
; COMPUTE_PGM_RSRC2:SCRATCH_EN: 0
; COMPUTE_PGM_RSRC2:USER_SGPR: 6
; COMPUTE_PGM_RSRC2:TRAP_HANDLER: 0
; COMPUTE_PGM_RSRC2:TGID_X_EN: 1
; COMPUTE_PGM_RSRC2:TGID_Y_EN: 0
; COMPUTE_PGM_RSRC2:TGID_Z_EN: 0
; COMPUTE_PGM_RSRC2:TIDIG_COMP_CNT: 0
; COMPUTE_PGM_RSRC3_GFX90A:ACCUM_OFFSET: 0
; COMPUTE_PGM_RSRC3_GFX90A:TG_SPLIT: 0
	.section	.text._ZN7rocprim17ROCPRIM_400000_NS6detail17trampoline_kernelINS0_14default_configENS1_25partition_config_selectorILNS1_17partition_subalgoE8ElNS0_10empty_typeEbEEZZNS1_14partition_implILS5_8ELb0ES3_jPlPS6_PKS6_NS0_5tupleIJS9_S6_EEENSD_IJSA_SA_EEENS0_18inequality_wrapperIZN2at6native12_GLOBAL__N_124unique_dim_cuda_templateIN3c104HalfEEESt5tupleIJNSH_6TensorESO_SO_EERKSO_lbbbEUlllE0_EEPmJS6_EEE10hipError_tPvRmT3_T4_T5_T6_T7_T9_mT8_P12ihipStream_tbDpT10_ENKUlT_T0_E_clISt17integral_constantIbLb1EES1E_EEDaS19_S1A_EUlS19_E_NS1_11comp_targetILNS1_3genE0ELNS1_11target_archE4294967295ELNS1_3gpuE0ELNS1_3repE0EEENS1_30default_config_static_selectorELNS0_4arch9wavefront6targetE1EEEvT1_,"axG",@progbits,_ZN7rocprim17ROCPRIM_400000_NS6detail17trampoline_kernelINS0_14default_configENS1_25partition_config_selectorILNS1_17partition_subalgoE8ElNS0_10empty_typeEbEEZZNS1_14partition_implILS5_8ELb0ES3_jPlPS6_PKS6_NS0_5tupleIJS9_S6_EEENSD_IJSA_SA_EEENS0_18inequality_wrapperIZN2at6native12_GLOBAL__N_124unique_dim_cuda_templateIN3c104HalfEEESt5tupleIJNSH_6TensorESO_SO_EERKSO_lbbbEUlllE0_EEPmJS6_EEE10hipError_tPvRmT3_T4_T5_T6_T7_T9_mT8_P12ihipStream_tbDpT10_ENKUlT_T0_E_clISt17integral_constantIbLb1EES1E_EEDaS19_S1A_EUlS19_E_NS1_11comp_targetILNS1_3genE0ELNS1_11target_archE4294967295ELNS1_3gpuE0ELNS1_3repE0EEENS1_30default_config_static_selectorELNS0_4arch9wavefront6targetE1EEEvT1_,comdat
	.globl	_ZN7rocprim17ROCPRIM_400000_NS6detail17trampoline_kernelINS0_14default_configENS1_25partition_config_selectorILNS1_17partition_subalgoE8ElNS0_10empty_typeEbEEZZNS1_14partition_implILS5_8ELb0ES3_jPlPS6_PKS6_NS0_5tupleIJS9_S6_EEENSD_IJSA_SA_EEENS0_18inequality_wrapperIZN2at6native12_GLOBAL__N_124unique_dim_cuda_templateIN3c104HalfEEESt5tupleIJNSH_6TensorESO_SO_EERKSO_lbbbEUlllE0_EEPmJS6_EEE10hipError_tPvRmT3_T4_T5_T6_T7_T9_mT8_P12ihipStream_tbDpT10_ENKUlT_T0_E_clISt17integral_constantIbLb1EES1E_EEDaS19_S1A_EUlS19_E_NS1_11comp_targetILNS1_3genE0ELNS1_11target_archE4294967295ELNS1_3gpuE0ELNS1_3repE0EEENS1_30default_config_static_selectorELNS0_4arch9wavefront6targetE1EEEvT1_ ; -- Begin function _ZN7rocprim17ROCPRIM_400000_NS6detail17trampoline_kernelINS0_14default_configENS1_25partition_config_selectorILNS1_17partition_subalgoE8ElNS0_10empty_typeEbEEZZNS1_14partition_implILS5_8ELb0ES3_jPlPS6_PKS6_NS0_5tupleIJS9_S6_EEENSD_IJSA_SA_EEENS0_18inequality_wrapperIZN2at6native12_GLOBAL__N_124unique_dim_cuda_templateIN3c104HalfEEESt5tupleIJNSH_6TensorESO_SO_EERKSO_lbbbEUlllE0_EEPmJS6_EEE10hipError_tPvRmT3_T4_T5_T6_T7_T9_mT8_P12ihipStream_tbDpT10_ENKUlT_T0_E_clISt17integral_constantIbLb1EES1E_EEDaS19_S1A_EUlS19_E_NS1_11comp_targetILNS1_3genE0ELNS1_11target_archE4294967295ELNS1_3gpuE0ELNS1_3repE0EEENS1_30default_config_static_selectorELNS0_4arch9wavefront6targetE1EEEvT1_
	.p2align	8
	.type	_ZN7rocprim17ROCPRIM_400000_NS6detail17trampoline_kernelINS0_14default_configENS1_25partition_config_selectorILNS1_17partition_subalgoE8ElNS0_10empty_typeEbEEZZNS1_14partition_implILS5_8ELb0ES3_jPlPS6_PKS6_NS0_5tupleIJS9_S6_EEENSD_IJSA_SA_EEENS0_18inequality_wrapperIZN2at6native12_GLOBAL__N_124unique_dim_cuda_templateIN3c104HalfEEESt5tupleIJNSH_6TensorESO_SO_EERKSO_lbbbEUlllE0_EEPmJS6_EEE10hipError_tPvRmT3_T4_T5_T6_T7_T9_mT8_P12ihipStream_tbDpT10_ENKUlT_T0_E_clISt17integral_constantIbLb1EES1E_EEDaS19_S1A_EUlS19_E_NS1_11comp_targetILNS1_3genE0ELNS1_11target_archE4294967295ELNS1_3gpuE0ELNS1_3repE0EEENS1_30default_config_static_selectorELNS0_4arch9wavefront6targetE1EEEvT1_,@function
_ZN7rocprim17ROCPRIM_400000_NS6detail17trampoline_kernelINS0_14default_configENS1_25partition_config_selectorILNS1_17partition_subalgoE8ElNS0_10empty_typeEbEEZZNS1_14partition_implILS5_8ELb0ES3_jPlPS6_PKS6_NS0_5tupleIJS9_S6_EEENSD_IJSA_SA_EEENS0_18inequality_wrapperIZN2at6native12_GLOBAL__N_124unique_dim_cuda_templateIN3c104HalfEEESt5tupleIJNSH_6TensorESO_SO_EERKSO_lbbbEUlllE0_EEPmJS6_EEE10hipError_tPvRmT3_T4_T5_T6_T7_T9_mT8_P12ihipStream_tbDpT10_ENKUlT_T0_E_clISt17integral_constantIbLb1EES1E_EEDaS19_S1A_EUlS19_E_NS1_11comp_targetILNS1_3genE0ELNS1_11target_archE4294967295ELNS1_3gpuE0ELNS1_3repE0EEENS1_30default_config_static_selectorELNS0_4arch9wavefront6targetE1EEEvT1_: ; @_ZN7rocprim17ROCPRIM_400000_NS6detail17trampoline_kernelINS0_14default_configENS1_25partition_config_selectorILNS1_17partition_subalgoE8ElNS0_10empty_typeEbEEZZNS1_14partition_implILS5_8ELb0ES3_jPlPS6_PKS6_NS0_5tupleIJS9_S6_EEENSD_IJSA_SA_EEENS0_18inequality_wrapperIZN2at6native12_GLOBAL__N_124unique_dim_cuda_templateIN3c104HalfEEESt5tupleIJNSH_6TensorESO_SO_EERKSO_lbbbEUlllE0_EEPmJS6_EEE10hipError_tPvRmT3_T4_T5_T6_T7_T9_mT8_P12ihipStream_tbDpT10_ENKUlT_T0_E_clISt17integral_constantIbLb1EES1E_EEDaS19_S1A_EUlS19_E_NS1_11comp_targetILNS1_3genE0ELNS1_11target_archE4294967295ELNS1_3gpuE0ELNS1_3repE0EEENS1_30default_config_static_selectorELNS0_4arch9wavefront6targetE1EEEvT1_
; %bb.0:
	.section	.rodata,"a",@progbits
	.p2align	6, 0x0
	.amdhsa_kernel _ZN7rocprim17ROCPRIM_400000_NS6detail17trampoline_kernelINS0_14default_configENS1_25partition_config_selectorILNS1_17partition_subalgoE8ElNS0_10empty_typeEbEEZZNS1_14partition_implILS5_8ELb0ES3_jPlPS6_PKS6_NS0_5tupleIJS9_S6_EEENSD_IJSA_SA_EEENS0_18inequality_wrapperIZN2at6native12_GLOBAL__N_124unique_dim_cuda_templateIN3c104HalfEEESt5tupleIJNSH_6TensorESO_SO_EERKSO_lbbbEUlllE0_EEPmJS6_EEE10hipError_tPvRmT3_T4_T5_T6_T7_T9_mT8_P12ihipStream_tbDpT10_ENKUlT_T0_E_clISt17integral_constantIbLb1EES1E_EEDaS19_S1A_EUlS19_E_NS1_11comp_targetILNS1_3genE0ELNS1_11target_archE4294967295ELNS1_3gpuE0ELNS1_3repE0EEENS1_30default_config_static_selectorELNS0_4arch9wavefront6targetE1EEEvT1_
		.amdhsa_group_segment_fixed_size 0
		.amdhsa_private_segment_fixed_size 0
		.amdhsa_kernarg_size 136
		.amdhsa_user_sgpr_count 6
		.amdhsa_user_sgpr_private_segment_buffer 1
		.amdhsa_user_sgpr_dispatch_ptr 0
		.amdhsa_user_sgpr_queue_ptr 0
		.amdhsa_user_sgpr_kernarg_segment_ptr 1
		.amdhsa_user_sgpr_dispatch_id 0
		.amdhsa_user_sgpr_flat_scratch_init 0
		.amdhsa_user_sgpr_kernarg_preload_length 0
		.amdhsa_user_sgpr_kernarg_preload_offset 0
		.amdhsa_user_sgpr_private_segment_size 0
		.amdhsa_uses_dynamic_stack 0
		.amdhsa_system_sgpr_private_segment_wavefront_offset 0
		.amdhsa_system_sgpr_workgroup_id_x 1
		.amdhsa_system_sgpr_workgroup_id_y 0
		.amdhsa_system_sgpr_workgroup_id_z 0
		.amdhsa_system_sgpr_workgroup_info 0
		.amdhsa_system_vgpr_workitem_id 0
		.amdhsa_next_free_vgpr 1
		.amdhsa_next_free_sgpr 0
		.amdhsa_accum_offset 4
		.amdhsa_reserve_vcc 0
		.amdhsa_reserve_flat_scratch 0
		.amdhsa_float_round_mode_32 0
		.amdhsa_float_round_mode_16_64 0
		.amdhsa_float_denorm_mode_32 3
		.amdhsa_float_denorm_mode_16_64 3
		.amdhsa_dx10_clamp 1
		.amdhsa_ieee_mode 1
		.amdhsa_fp16_overflow 0
		.amdhsa_tg_split 0
		.amdhsa_exception_fp_ieee_invalid_op 0
		.amdhsa_exception_fp_denorm_src 0
		.amdhsa_exception_fp_ieee_div_zero 0
		.amdhsa_exception_fp_ieee_overflow 0
		.amdhsa_exception_fp_ieee_underflow 0
		.amdhsa_exception_fp_ieee_inexact 0
		.amdhsa_exception_int_div_zero 0
	.end_amdhsa_kernel
	.section	.text._ZN7rocprim17ROCPRIM_400000_NS6detail17trampoline_kernelINS0_14default_configENS1_25partition_config_selectorILNS1_17partition_subalgoE8ElNS0_10empty_typeEbEEZZNS1_14partition_implILS5_8ELb0ES3_jPlPS6_PKS6_NS0_5tupleIJS9_S6_EEENSD_IJSA_SA_EEENS0_18inequality_wrapperIZN2at6native12_GLOBAL__N_124unique_dim_cuda_templateIN3c104HalfEEESt5tupleIJNSH_6TensorESO_SO_EERKSO_lbbbEUlllE0_EEPmJS6_EEE10hipError_tPvRmT3_T4_T5_T6_T7_T9_mT8_P12ihipStream_tbDpT10_ENKUlT_T0_E_clISt17integral_constantIbLb1EES1E_EEDaS19_S1A_EUlS19_E_NS1_11comp_targetILNS1_3genE0ELNS1_11target_archE4294967295ELNS1_3gpuE0ELNS1_3repE0EEENS1_30default_config_static_selectorELNS0_4arch9wavefront6targetE1EEEvT1_,"axG",@progbits,_ZN7rocprim17ROCPRIM_400000_NS6detail17trampoline_kernelINS0_14default_configENS1_25partition_config_selectorILNS1_17partition_subalgoE8ElNS0_10empty_typeEbEEZZNS1_14partition_implILS5_8ELb0ES3_jPlPS6_PKS6_NS0_5tupleIJS9_S6_EEENSD_IJSA_SA_EEENS0_18inequality_wrapperIZN2at6native12_GLOBAL__N_124unique_dim_cuda_templateIN3c104HalfEEESt5tupleIJNSH_6TensorESO_SO_EERKSO_lbbbEUlllE0_EEPmJS6_EEE10hipError_tPvRmT3_T4_T5_T6_T7_T9_mT8_P12ihipStream_tbDpT10_ENKUlT_T0_E_clISt17integral_constantIbLb1EES1E_EEDaS19_S1A_EUlS19_E_NS1_11comp_targetILNS1_3genE0ELNS1_11target_archE4294967295ELNS1_3gpuE0ELNS1_3repE0EEENS1_30default_config_static_selectorELNS0_4arch9wavefront6targetE1EEEvT1_,comdat
.Lfunc_end1303:
	.size	_ZN7rocprim17ROCPRIM_400000_NS6detail17trampoline_kernelINS0_14default_configENS1_25partition_config_selectorILNS1_17partition_subalgoE8ElNS0_10empty_typeEbEEZZNS1_14partition_implILS5_8ELb0ES3_jPlPS6_PKS6_NS0_5tupleIJS9_S6_EEENSD_IJSA_SA_EEENS0_18inequality_wrapperIZN2at6native12_GLOBAL__N_124unique_dim_cuda_templateIN3c104HalfEEESt5tupleIJNSH_6TensorESO_SO_EERKSO_lbbbEUlllE0_EEPmJS6_EEE10hipError_tPvRmT3_T4_T5_T6_T7_T9_mT8_P12ihipStream_tbDpT10_ENKUlT_T0_E_clISt17integral_constantIbLb1EES1E_EEDaS19_S1A_EUlS19_E_NS1_11comp_targetILNS1_3genE0ELNS1_11target_archE4294967295ELNS1_3gpuE0ELNS1_3repE0EEENS1_30default_config_static_selectorELNS0_4arch9wavefront6targetE1EEEvT1_, .Lfunc_end1303-_ZN7rocprim17ROCPRIM_400000_NS6detail17trampoline_kernelINS0_14default_configENS1_25partition_config_selectorILNS1_17partition_subalgoE8ElNS0_10empty_typeEbEEZZNS1_14partition_implILS5_8ELb0ES3_jPlPS6_PKS6_NS0_5tupleIJS9_S6_EEENSD_IJSA_SA_EEENS0_18inequality_wrapperIZN2at6native12_GLOBAL__N_124unique_dim_cuda_templateIN3c104HalfEEESt5tupleIJNSH_6TensorESO_SO_EERKSO_lbbbEUlllE0_EEPmJS6_EEE10hipError_tPvRmT3_T4_T5_T6_T7_T9_mT8_P12ihipStream_tbDpT10_ENKUlT_T0_E_clISt17integral_constantIbLb1EES1E_EEDaS19_S1A_EUlS19_E_NS1_11comp_targetILNS1_3genE0ELNS1_11target_archE4294967295ELNS1_3gpuE0ELNS1_3repE0EEENS1_30default_config_static_selectorELNS0_4arch9wavefront6targetE1EEEvT1_
                                        ; -- End function
	.section	.AMDGPU.csdata,"",@progbits
; Kernel info:
; codeLenInByte = 0
; NumSgprs: 4
; NumVgprs: 0
; NumAgprs: 0
; TotalNumVgprs: 0
; ScratchSize: 0
; MemoryBound: 0
; FloatMode: 240
; IeeeMode: 1
; LDSByteSize: 0 bytes/workgroup (compile time only)
; SGPRBlocks: 0
; VGPRBlocks: 0
; NumSGPRsForWavesPerEU: 4
; NumVGPRsForWavesPerEU: 1
; AccumOffset: 4
; Occupancy: 8
; WaveLimiterHint : 0
; COMPUTE_PGM_RSRC2:SCRATCH_EN: 0
; COMPUTE_PGM_RSRC2:USER_SGPR: 6
; COMPUTE_PGM_RSRC2:TRAP_HANDLER: 0
; COMPUTE_PGM_RSRC2:TGID_X_EN: 1
; COMPUTE_PGM_RSRC2:TGID_Y_EN: 0
; COMPUTE_PGM_RSRC2:TGID_Z_EN: 0
; COMPUTE_PGM_RSRC2:TIDIG_COMP_CNT: 0
; COMPUTE_PGM_RSRC3_GFX90A:ACCUM_OFFSET: 0
; COMPUTE_PGM_RSRC3_GFX90A:TG_SPLIT: 0
	.section	.text._ZN7rocprim17ROCPRIM_400000_NS6detail17trampoline_kernelINS0_14default_configENS1_25partition_config_selectorILNS1_17partition_subalgoE8ElNS0_10empty_typeEbEEZZNS1_14partition_implILS5_8ELb0ES3_jPlPS6_PKS6_NS0_5tupleIJS9_S6_EEENSD_IJSA_SA_EEENS0_18inequality_wrapperIZN2at6native12_GLOBAL__N_124unique_dim_cuda_templateIN3c104HalfEEESt5tupleIJNSH_6TensorESO_SO_EERKSO_lbbbEUlllE0_EEPmJS6_EEE10hipError_tPvRmT3_T4_T5_T6_T7_T9_mT8_P12ihipStream_tbDpT10_ENKUlT_T0_E_clISt17integral_constantIbLb1EES1E_EEDaS19_S1A_EUlS19_E_NS1_11comp_targetILNS1_3genE5ELNS1_11target_archE942ELNS1_3gpuE9ELNS1_3repE0EEENS1_30default_config_static_selectorELNS0_4arch9wavefront6targetE1EEEvT1_,"axG",@progbits,_ZN7rocprim17ROCPRIM_400000_NS6detail17trampoline_kernelINS0_14default_configENS1_25partition_config_selectorILNS1_17partition_subalgoE8ElNS0_10empty_typeEbEEZZNS1_14partition_implILS5_8ELb0ES3_jPlPS6_PKS6_NS0_5tupleIJS9_S6_EEENSD_IJSA_SA_EEENS0_18inequality_wrapperIZN2at6native12_GLOBAL__N_124unique_dim_cuda_templateIN3c104HalfEEESt5tupleIJNSH_6TensorESO_SO_EERKSO_lbbbEUlllE0_EEPmJS6_EEE10hipError_tPvRmT3_T4_T5_T6_T7_T9_mT8_P12ihipStream_tbDpT10_ENKUlT_T0_E_clISt17integral_constantIbLb1EES1E_EEDaS19_S1A_EUlS19_E_NS1_11comp_targetILNS1_3genE5ELNS1_11target_archE942ELNS1_3gpuE9ELNS1_3repE0EEENS1_30default_config_static_selectorELNS0_4arch9wavefront6targetE1EEEvT1_,comdat
	.globl	_ZN7rocprim17ROCPRIM_400000_NS6detail17trampoline_kernelINS0_14default_configENS1_25partition_config_selectorILNS1_17partition_subalgoE8ElNS0_10empty_typeEbEEZZNS1_14partition_implILS5_8ELb0ES3_jPlPS6_PKS6_NS0_5tupleIJS9_S6_EEENSD_IJSA_SA_EEENS0_18inequality_wrapperIZN2at6native12_GLOBAL__N_124unique_dim_cuda_templateIN3c104HalfEEESt5tupleIJNSH_6TensorESO_SO_EERKSO_lbbbEUlllE0_EEPmJS6_EEE10hipError_tPvRmT3_T4_T5_T6_T7_T9_mT8_P12ihipStream_tbDpT10_ENKUlT_T0_E_clISt17integral_constantIbLb1EES1E_EEDaS19_S1A_EUlS19_E_NS1_11comp_targetILNS1_3genE5ELNS1_11target_archE942ELNS1_3gpuE9ELNS1_3repE0EEENS1_30default_config_static_selectorELNS0_4arch9wavefront6targetE1EEEvT1_ ; -- Begin function _ZN7rocprim17ROCPRIM_400000_NS6detail17trampoline_kernelINS0_14default_configENS1_25partition_config_selectorILNS1_17partition_subalgoE8ElNS0_10empty_typeEbEEZZNS1_14partition_implILS5_8ELb0ES3_jPlPS6_PKS6_NS0_5tupleIJS9_S6_EEENSD_IJSA_SA_EEENS0_18inequality_wrapperIZN2at6native12_GLOBAL__N_124unique_dim_cuda_templateIN3c104HalfEEESt5tupleIJNSH_6TensorESO_SO_EERKSO_lbbbEUlllE0_EEPmJS6_EEE10hipError_tPvRmT3_T4_T5_T6_T7_T9_mT8_P12ihipStream_tbDpT10_ENKUlT_T0_E_clISt17integral_constantIbLb1EES1E_EEDaS19_S1A_EUlS19_E_NS1_11comp_targetILNS1_3genE5ELNS1_11target_archE942ELNS1_3gpuE9ELNS1_3repE0EEENS1_30default_config_static_selectorELNS0_4arch9wavefront6targetE1EEEvT1_
	.p2align	8
	.type	_ZN7rocprim17ROCPRIM_400000_NS6detail17trampoline_kernelINS0_14default_configENS1_25partition_config_selectorILNS1_17partition_subalgoE8ElNS0_10empty_typeEbEEZZNS1_14partition_implILS5_8ELb0ES3_jPlPS6_PKS6_NS0_5tupleIJS9_S6_EEENSD_IJSA_SA_EEENS0_18inequality_wrapperIZN2at6native12_GLOBAL__N_124unique_dim_cuda_templateIN3c104HalfEEESt5tupleIJNSH_6TensorESO_SO_EERKSO_lbbbEUlllE0_EEPmJS6_EEE10hipError_tPvRmT3_T4_T5_T6_T7_T9_mT8_P12ihipStream_tbDpT10_ENKUlT_T0_E_clISt17integral_constantIbLb1EES1E_EEDaS19_S1A_EUlS19_E_NS1_11comp_targetILNS1_3genE5ELNS1_11target_archE942ELNS1_3gpuE9ELNS1_3repE0EEENS1_30default_config_static_selectorELNS0_4arch9wavefront6targetE1EEEvT1_,@function
_ZN7rocprim17ROCPRIM_400000_NS6detail17trampoline_kernelINS0_14default_configENS1_25partition_config_selectorILNS1_17partition_subalgoE8ElNS0_10empty_typeEbEEZZNS1_14partition_implILS5_8ELb0ES3_jPlPS6_PKS6_NS0_5tupleIJS9_S6_EEENSD_IJSA_SA_EEENS0_18inequality_wrapperIZN2at6native12_GLOBAL__N_124unique_dim_cuda_templateIN3c104HalfEEESt5tupleIJNSH_6TensorESO_SO_EERKSO_lbbbEUlllE0_EEPmJS6_EEE10hipError_tPvRmT3_T4_T5_T6_T7_T9_mT8_P12ihipStream_tbDpT10_ENKUlT_T0_E_clISt17integral_constantIbLb1EES1E_EEDaS19_S1A_EUlS19_E_NS1_11comp_targetILNS1_3genE5ELNS1_11target_archE942ELNS1_3gpuE9ELNS1_3repE0EEENS1_30default_config_static_selectorELNS0_4arch9wavefront6targetE1EEEvT1_: ; @_ZN7rocprim17ROCPRIM_400000_NS6detail17trampoline_kernelINS0_14default_configENS1_25partition_config_selectorILNS1_17partition_subalgoE8ElNS0_10empty_typeEbEEZZNS1_14partition_implILS5_8ELb0ES3_jPlPS6_PKS6_NS0_5tupleIJS9_S6_EEENSD_IJSA_SA_EEENS0_18inequality_wrapperIZN2at6native12_GLOBAL__N_124unique_dim_cuda_templateIN3c104HalfEEESt5tupleIJNSH_6TensorESO_SO_EERKSO_lbbbEUlllE0_EEPmJS6_EEE10hipError_tPvRmT3_T4_T5_T6_T7_T9_mT8_P12ihipStream_tbDpT10_ENKUlT_T0_E_clISt17integral_constantIbLb1EES1E_EEDaS19_S1A_EUlS19_E_NS1_11comp_targetILNS1_3genE5ELNS1_11target_archE942ELNS1_3gpuE9ELNS1_3repE0EEENS1_30default_config_static_selectorELNS0_4arch9wavefront6targetE1EEEvT1_
; %bb.0:
	.section	.rodata,"a",@progbits
	.p2align	6, 0x0
	.amdhsa_kernel _ZN7rocprim17ROCPRIM_400000_NS6detail17trampoline_kernelINS0_14default_configENS1_25partition_config_selectorILNS1_17partition_subalgoE8ElNS0_10empty_typeEbEEZZNS1_14partition_implILS5_8ELb0ES3_jPlPS6_PKS6_NS0_5tupleIJS9_S6_EEENSD_IJSA_SA_EEENS0_18inequality_wrapperIZN2at6native12_GLOBAL__N_124unique_dim_cuda_templateIN3c104HalfEEESt5tupleIJNSH_6TensorESO_SO_EERKSO_lbbbEUlllE0_EEPmJS6_EEE10hipError_tPvRmT3_T4_T5_T6_T7_T9_mT8_P12ihipStream_tbDpT10_ENKUlT_T0_E_clISt17integral_constantIbLb1EES1E_EEDaS19_S1A_EUlS19_E_NS1_11comp_targetILNS1_3genE5ELNS1_11target_archE942ELNS1_3gpuE9ELNS1_3repE0EEENS1_30default_config_static_selectorELNS0_4arch9wavefront6targetE1EEEvT1_
		.amdhsa_group_segment_fixed_size 0
		.amdhsa_private_segment_fixed_size 0
		.amdhsa_kernarg_size 136
		.amdhsa_user_sgpr_count 6
		.amdhsa_user_sgpr_private_segment_buffer 1
		.amdhsa_user_sgpr_dispatch_ptr 0
		.amdhsa_user_sgpr_queue_ptr 0
		.amdhsa_user_sgpr_kernarg_segment_ptr 1
		.amdhsa_user_sgpr_dispatch_id 0
		.amdhsa_user_sgpr_flat_scratch_init 0
		.amdhsa_user_sgpr_kernarg_preload_length 0
		.amdhsa_user_sgpr_kernarg_preload_offset 0
		.amdhsa_user_sgpr_private_segment_size 0
		.amdhsa_uses_dynamic_stack 0
		.amdhsa_system_sgpr_private_segment_wavefront_offset 0
		.amdhsa_system_sgpr_workgroup_id_x 1
		.amdhsa_system_sgpr_workgroup_id_y 0
		.amdhsa_system_sgpr_workgroup_id_z 0
		.amdhsa_system_sgpr_workgroup_info 0
		.amdhsa_system_vgpr_workitem_id 0
		.amdhsa_next_free_vgpr 1
		.amdhsa_next_free_sgpr 0
		.amdhsa_accum_offset 4
		.amdhsa_reserve_vcc 0
		.amdhsa_reserve_flat_scratch 0
		.amdhsa_float_round_mode_32 0
		.amdhsa_float_round_mode_16_64 0
		.amdhsa_float_denorm_mode_32 3
		.amdhsa_float_denorm_mode_16_64 3
		.amdhsa_dx10_clamp 1
		.amdhsa_ieee_mode 1
		.amdhsa_fp16_overflow 0
		.amdhsa_tg_split 0
		.amdhsa_exception_fp_ieee_invalid_op 0
		.amdhsa_exception_fp_denorm_src 0
		.amdhsa_exception_fp_ieee_div_zero 0
		.amdhsa_exception_fp_ieee_overflow 0
		.amdhsa_exception_fp_ieee_underflow 0
		.amdhsa_exception_fp_ieee_inexact 0
		.amdhsa_exception_int_div_zero 0
	.end_amdhsa_kernel
	.section	.text._ZN7rocprim17ROCPRIM_400000_NS6detail17trampoline_kernelINS0_14default_configENS1_25partition_config_selectorILNS1_17partition_subalgoE8ElNS0_10empty_typeEbEEZZNS1_14partition_implILS5_8ELb0ES3_jPlPS6_PKS6_NS0_5tupleIJS9_S6_EEENSD_IJSA_SA_EEENS0_18inequality_wrapperIZN2at6native12_GLOBAL__N_124unique_dim_cuda_templateIN3c104HalfEEESt5tupleIJNSH_6TensorESO_SO_EERKSO_lbbbEUlllE0_EEPmJS6_EEE10hipError_tPvRmT3_T4_T5_T6_T7_T9_mT8_P12ihipStream_tbDpT10_ENKUlT_T0_E_clISt17integral_constantIbLb1EES1E_EEDaS19_S1A_EUlS19_E_NS1_11comp_targetILNS1_3genE5ELNS1_11target_archE942ELNS1_3gpuE9ELNS1_3repE0EEENS1_30default_config_static_selectorELNS0_4arch9wavefront6targetE1EEEvT1_,"axG",@progbits,_ZN7rocprim17ROCPRIM_400000_NS6detail17trampoline_kernelINS0_14default_configENS1_25partition_config_selectorILNS1_17partition_subalgoE8ElNS0_10empty_typeEbEEZZNS1_14partition_implILS5_8ELb0ES3_jPlPS6_PKS6_NS0_5tupleIJS9_S6_EEENSD_IJSA_SA_EEENS0_18inequality_wrapperIZN2at6native12_GLOBAL__N_124unique_dim_cuda_templateIN3c104HalfEEESt5tupleIJNSH_6TensorESO_SO_EERKSO_lbbbEUlllE0_EEPmJS6_EEE10hipError_tPvRmT3_T4_T5_T6_T7_T9_mT8_P12ihipStream_tbDpT10_ENKUlT_T0_E_clISt17integral_constantIbLb1EES1E_EEDaS19_S1A_EUlS19_E_NS1_11comp_targetILNS1_3genE5ELNS1_11target_archE942ELNS1_3gpuE9ELNS1_3repE0EEENS1_30default_config_static_selectorELNS0_4arch9wavefront6targetE1EEEvT1_,comdat
.Lfunc_end1304:
	.size	_ZN7rocprim17ROCPRIM_400000_NS6detail17trampoline_kernelINS0_14default_configENS1_25partition_config_selectorILNS1_17partition_subalgoE8ElNS0_10empty_typeEbEEZZNS1_14partition_implILS5_8ELb0ES3_jPlPS6_PKS6_NS0_5tupleIJS9_S6_EEENSD_IJSA_SA_EEENS0_18inequality_wrapperIZN2at6native12_GLOBAL__N_124unique_dim_cuda_templateIN3c104HalfEEESt5tupleIJNSH_6TensorESO_SO_EERKSO_lbbbEUlllE0_EEPmJS6_EEE10hipError_tPvRmT3_T4_T5_T6_T7_T9_mT8_P12ihipStream_tbDpT10_ENKUlT_T0_E_clISt17integral_constantIbLb1EES1E_EEDaS19_S1A_EUlS19_E_NS1_11comp_targetILNS1_3genE5ELNS1_11target_archE942ELNS1_3gpuE9ELNS1_3repE0EEENS1_30default_config_static_selectorELNS0_4arch9wavefront6targetE1EEEvT1_, .Lfunc_end1304-_ZN7rocprim17ROCPRIM_400000_NS6detail17trampoline_kernelINS0_14default_configENS1_25partition_config_selectorILNS1_17partition_subalgoE8ElNS0_10empty_typeEbEEZZNS1_14partition_implILS5_8ELb0ES3_jPlPS6_PKS6_NS0_5tupleIJS9_S6_EEENSD_IJSA_SA_EEENS0_18inequality_wrapperIZN2at6native12_GLOBAL__N_124unique_dim_cuda_templateIN3c104HalfEEESt5tupleIJNSH_6TensorESO_SO_EERKSO_lbbbEUlllE0_EEPmJS6_EEE10hipError_tPvRmT3_T4_T5_T6_T7_T9_mT8_P12ihipStream_tbDpT10_ENKUlT_T0_E_clISt17integral_constantIbLb1EES1E_EEDaS19_S1A_EUlS19_E_NS1_11comp_targetILNS1_3genE5ELNS1_11target_archE942ELNS1_3gpuE9ELNS1_3repE0EEENS1_30default_config_static_selectorELNS0_4arch9wavefront6targetE1EEEvT1_
                                        ; -- End function
	.section	.AMDGPU.csdata,"",@progbits
; Kernel info:
; codeLenInByte = 0
; NumSgprs: 4
; NumVgprs: 0
; NumAgprs: 0
; TotalNumVgprs: 0
; ScratchSize: 0
; MemoryBound: 0
; FloatMode: 240
; IeeeMode: 1
; LDSByteSize: 0 bytes/workgroup (compile time only)
; SGPRBlocks: 0
; VGPRBlocks: 0
; NumSGPRsForWavesPerEU: 4
; NumVGPRsForWavesPerEU: 1
; AccumOffset: 4
; Occupancy: 8
; WaveLimiterHint : 0
; COMPUTE_PGM_RSRC2:SCRATCH_EN: 0
; COMPUTE_PGM_RSRC2:USER_SGPR: 6
; COMPUTE_PGM_RSRC2:TRAP_HANDLER: 0
; COMPUTE_PGM_RSRC2:TGID_X_EN: 1
; COMPUTE_PGM_RSRC2:TGID_Y_EN: 0
; COMPUTE_PGM_RSRC2:TGID_Z_EN: 0
; COMPUTE_PGM_RSRC2:TIDIG_COMP_CNT: 0
; COMPUTE_PGM_RSRC3_GFX90A:ACCUM_OFFSET: 0
; COMPUTE_PGM_RSRC3_GFX90A:TG_SPLIT: 0
	.section	.text._ZN7rocprim17ROCPRIM_400000_NS6detail17trampoline_kernelINS0_14default_configENS1_25partition_config_selectorILNS1_17partition_subalgoE8ElNS0_10empty_typeEbEEZZNS1_14partition_implILS5_8ELb0ES3_jPlPS6_PKS6_NS0_5tupleIJS9_S6_EEENSD_IJSA_SA_EEENS0_18inequality_wrapperIZN2at6native12_GLOBAL__N_124unique_dim_cuda_templateIN3c104HalfEEESt5tupleIJNSH_6TensorESO_SO_EERKSO_lbbbEUlllE0_EEPmJS6_EEE10hipError_tPvRmT3_T4_T5_T6_T7_T9_mT8_P12ihipStream_tbDpT10_ENKUlT_T0_E_clISt17integral_constantIbLb1EES1E_EEDaS19_S1A_EUlS19_E_NS1_11comp_targetILNS1_3genE4ELNS1_11target_archE910ELNS1_3gpuE8ELNS1_3repE0EEENS1_30default_config_static_selectorELNS0_4arch9wavefront6targetE1EEEvT1_,"axG",@progbits,_ZN7rocprim17ROCPRIM_400000_NS6detail17trampoline_kernelINS0_14default_configENS1_25partition_config_selectorILNS1_17partition_subalgoE8ElNS0_10empty_typeEbEEZZNS1_14partition_implILS5_8ELb0ES3_jPlPS6_PKS6_NS0_5tupleIJS9_S6_EEENSD_IJSA_SA_EEENS0_18inequality_wrapperIZN2at6native12_GLOBAL__N_124unique_dim_cuda_templateIN3c104HalfEEESt5tupleIJNSH_6TensorESO_SO_EERKSO_lbbbEUlllE0_EEPmJS6_EEE10hipError_tPvRmT3_T4_T5_T6_T7_T9_mT8_P12ihipStream_tbDpT10_ENKUlT_T0_E_clISt17integral_constantIbLb1EES1E_EEDaS19_S1A_EUlS19_E_NS1_11comp_targetILNS1_3genE4ELNS1_11target_archE910ELNS1_3gpuE8ELNS1_3repE0EEENS1_30default_config_static_selectorELNS0_4arch9wavefront6targetE1EEEvT1_,comdat
	.globl	_ZN7rocprim17ROCPRIM_400000_NS6detail17trampoline_kernelINS0_14default_configENS1_25partition_config_selectorILNS1_17partition_subalgoE8ElNS0_10empty_typeEbEEZZNS1_14partition_implILS5_8ELb0ES3_jPlPS6_PKS6_NS0_5tupleIJS9_S6_EEENSD_IJSA_SA_EEENS0_18inequality_wrapperIZN2at6native12_GLOBAL__N_124unique_dim_cuda_templateIN3c104HalfEEESt5tupleIJNSH_6TensorESO_SO_EERKSO_lbbbEUlllE0_EEPmJS6_EEE10hipError_tPvRmT3_T4_T5_T6_T7_T9_mT8_P12ihipStream_tbDpT10_ENKUlT_T0_E_clISt17integral_constantIbLb1EES1E_EEDaS19_S1A_EUlS19_E_NS1_11comp_targetILNS1_3genE4ELNS1_11target_archE910ELNS1_3gpuE8ELNS1_3repE0EEENS1_30default_config_static_selectorELNS0_4arch9wavefront6targetE1EEEvT1_ ; -- Begin function _ZN7rocprim17ROCPRIM_400000_NS6detail17trampoline_kernelINS0_14default_configENS1_25partition_config_selectorILNS1_17partition_subalgoE8ElNS0_10empty_typeEbEEZZNS1_14partition_implILS5_8ELb0ES3_jPlPS6_PKS6_NS0_5tupleIJS9_S6_EEENSD_IJSA_SA_EEENS0_18inequality_wrapperIZN2at6native12_GLOBAL__N_124unique_dim_cuda_templateIN3c104HalfEEESt5tupleIJNSH_6TensorESO_SO_EERKSO_lbbbEUlllE0_EEPmJS6_EEE10hipError_tPvRmT3_T4_T5_T6_T7_T9_mT8_P12ihipStream_tbDpT10_ENKUlT_T0_E_clISt17integral_constantIbLb1EES1E_EEDaS19_S1A_EUlS19_E_NS1_11comp_targetILNS1_3genE4ELNS1_11target_archE910ELNS1_3gpuE8ELNS1_3repE0EEENS1_30default_config_static_selectorELNS0_4arch9wavefront6targetE1EEEvT1_
	.p2align	8
	.type	_ZN7rocprim17ROCPRIM_400000_NS6detail17trampoline_kernelINS0_14default_configENS1_25partition_config_selectorILNS1_17partition_subalgoE8ElNS0_10empty_typeEbEEZZNS1_14partition_implILS5_8ELb0ES3_jPlPS6_PKS6_NS0_5tupleIJS9_S6_EEENSD_IJSA_SA_EEENS0_18inequality_wrapperIZN2at6native12_GLOBAL__N_124unique_dim_cuda_templateIN3c104HalfEEESt5tupleIJNSH_6TensorESO_SO_EERKSO_lbbbEUlllE0_EEPmJS6_EEE10hipError_tPvRmT3_T4_T5_T6_T7_T9_mT8_P12ihipStream_tbDpT10_ENKUlT_T0_E_clISt17integral_constantIbLb1EES1E_EEDaS19_S1A_EUlS19_E_NS1_11comp_targetILNS1_3genE4ELNS1_11target_archE910ELNS1_3gpuE8ELNS1_3repE0EEENS1_30default_config_static_selectorELNS0_4arch9wavefront6targetE1EEEvT1_,@function
_ZN7rocprim17ROCPRIM_400000_NS6detail17trampoline_kernelINS0_14default_configENS1_25partition_config_selectorILNS1_17partition_subalgoE8ElNS0_10empty_typeEbEEZZNS1_14partition_implILS5_8ELb0ES3_jPlPS6_PKS6_NS0_5tupleIJS9_S6_EEENSD_IJSA_SA_EEENS0_18inequality_wrapperIZN2at6native12_GLOBAL__N_124unique_dim_cuda_templateIN3c104HalfEEESt5tupleIJNSH_6TensorESO_SO_EERKSO_lbbbEUlllE0_EEPmJS6_EEE10hipError_tPvRmT3_T4_T5_T6_T7_T9_mT8_P12ihipStream_tbDpT10_ENKUlT_T0_E_clISt17integral_constantIbLb1EES1E_EEDaS19_S1A_EUlS19_E_NS1_11comp_targetILNS1_3genE4ELNS1_11target_archE910ELNS1_3gpuE8ELNS1_3repE0EEENS1_30default_config_static_selectorELNS0_4arch9wavefront6targetE1EEEvT1_: ; @_ZN7rocprim17ROCPRIM_400000_NS6detail17trampoline_kernelINS0_14default_configENS1_25partition_config_selectorILNS1_17partition_subalgoE8ElNS0_10empty_typeEbEEZZNS1_14partition_implILS5_8ELb0ES3_jPlPS6_PKS6_NS0_5tupleIJS9_S6_EEENSD_IJSA_SA_EEENS0_18inequality_wrapperIZN2at6native12_GLOBAL__N_124unique_dim_cuda_templateIN3c104HalfEEESt5tupleIJNSH_6TensorESO_SO_EERKSO_lbbbEUlllE0_EEPmJS6_EEE10hipError_tPvRmT3_T4_T5_T6_T7_T9_mT8_P12ihipStream_tbDpT10_ENKUlT_T0_E_clISt17integral_constantIbLb1EES1E_EEDaS19_S1A_EUlS19_E_NS1_11comp_targetILNS1_3genE4ELNS1_11target_archE910ELNS1_3gpuE8ELNS1_3repE0EEENS1_30default_config_static_selectorELNS0_4arch9wavefront6targetE1EEEvT1_
; %bb.0:
	s_load_dwordx2 s[28:29], s[4:5], 0x28
	s_load_dwordx8 s[20:27], s[4:5], 0x40
	s_load_dwordx4 s[16:19], s[4:5], 0x60
	v_cmp_ne_u32_e64 s[2:3], 0, v0
	v_cmp_eq_u32_e64 s[0:1], 0, v0
	s_and_saveexec_b64 s[6:7], s[0:1]
	s_cbranch_execz .LBB1305_4
; %bb.1:
	s_mov_b64 s[10:11], exec
	v_mbcnt_lo_u32_b32 v1, s10, 0
	v_mbcnt_hi_u32_b32 v1, s11, v1
	v_cmp_eq_u32_e32 vcc, 0, v1
                                        ; implicit-def: $vgpr2
	s_and_saveexec_b64 s[8:9], vcc
	s_cbranch_execz .LBB1305_3
; %bb.2:
	s_load_dwordx2 s[12:13], s[4:5], 0x78
	s_bcnt1_i32_b64 s10, s[10:11]
	v_mov_b32_e32 v2, 0
	v_mov_b32_e32 v3, s10
	s_waitcnt lgkmcnt(0)
	global_atomic_add v2, v2, v3, s[12:13] glc
.LBB1305_3:
	s_or_b64 exec, exec, s[8:9]
	s_waitcnt vmcnt(0)
	v_readfirstlane_b32 s8, v2
	v_add_u32_e32 v1, s8, v1
	v_mov_b32_e32 v2, 0
	ds_write_b32 v2, v1
.LBB1305_4:
	s_or_b64 exec, exec, s[6:7]
	v_mov_b32_e32 v3, 0
	s_load_dwordx4 s[8:11], s[4:5], 0x8
	s_load_dword s12, s[4:5], 0x70
	s_waitcnt lgkmcnt(0)
	s_barrier
	ds_read_b32 v1, v3
	s_waitcnt lgkmcnt(0)
	s_barrier
	global_load_dwordx2 v[4:5], v3, s[22:23]
	s_lshl_b64 s[4:5], s[10:11], 3
	s_mul_i32 s14, s12, 0x500
	s_add_u32 s8, s8, s4
	s_addc_u32 s4, s9, s5
	s_add_i32 s5, s14, s10
	s_add_i32 s12, s12, -1
	s_sub_i32 s48, s24, s5
	v_mov_b32_e32 v8, s4
	s_add_u32 s4, s10, s14
	s_addc_u32 s5, s11, 0
	v_readfirstlane_b32 s33, v1
	v_mov_b32_e32 v6, s24
	v_mov_b32_e32 v7, s25
	s_movk_i32 s13, 0x500
	s_cmp_eq_u32 s33, s12
	v_mul_lo_u32 v2, v1, s13
	v_cmp_ge_u64_e32 vcc, s[4:5], v[6:7]
	s_cselect_b64 s[24:25], -1, 0
	v_lshlrev_b64 v[2:3], 3, v[2:3]
	s_and_b64 s[12:13], vcc, s[24:25]
	v_add_co_u32_e64 v18, s[4:5], s8, v2
	s_xor_b64 s[30:31], s[12:13], -1
	s_mov_b64 s[6:7], -1
	v_addc_co_u32_e64 v19, s[4:5], v8, v3, s[4:5]
	s_and_b64 vcc, exec, s[30:31]
	s_waitcnt vmcnt(0)
	v_readfirstlane_b32 s22, v4
	v_readfirstlane_b32 s23, v5
	s_cbranch_vccz .LBB1305_6
; %bb.5:
	v_lshlrev_b32_e32 v1, 3, v0
	v_add_co_u32_e32 v12, vcc, v18, v1
	v_addc_co_u32_e32 v13, vcc, 0, v19, vcc
	v_add_co_u32_e32 v2, vcc, 0x1000, v12
	v_readfirstlane_b32 s4, v18
	v_readfirstlane_b32 s5, v19
	v_addc_co_u32_e32 v3, vcc, 0, v13, vcc
	s_nop 3
	global_load_dwordx2 v[4:5], v1, s[4:5]
	global_load_dwordx2 v[6:7], v1, s[4:5] offset:2048
	global_load_dwordx2 v[8:9], v[2:3], off
	global_load_dwordx2 v[10:11], v[2:3], off offset:2048
	v_add_co_u32_e32 v2, vcc, 0x2000, v12
	v_addc_co_u32_e32 v3, vcc, 0, v13, vcc
	global_load_dwordx2 v[2:3], v[2:3], off
	s_mov_b64 s[6:7], 0
	s_waitcnt vmcnt(3)
	ds_write2st64_b64 v1, v[4:5], v[6:7] offset1:4
	s_waitcnt vmcnt(1)
	ds_write2st64_b64 v1, v[8:9], v[10:11] offset0:8 offset1:12
	s_waitcnt vmcnt(0)
	ds_write_b64 v1, v[2:3] offset:8192
	s_waitcnt lgkmcnt(0)
	s_barrier
.LBB1305_6:
	s_andn2_b64 vcc, exec, s[6:7]
	s_addk_i32 s48, 0x500
	s_cbranch_vccnz .LBB1305_18
; %bb.7:
	v_cmp_gt_u32_e32 vcc, s48, v0
                                        ; implicit-def: $vgpr2_vgpr3_vgpr4_vgpr5_vgpr6_vgpr7_vgpr8_vgpr9_vgpr10_vgpr11_vgpr12_vgpr13_vgpr14_vgpr15_vgpr16_vgpr17
	s_and_saveexec_b64 s[4:5], vcc
	s_cbranch_execz .LBB1305_9
; %bb.8:
	v_lshlrev_b32_e32 v1, 3, v0
	v_readfirstlane_b32 s6, v18
	v_readfirstlane_b32 s7, v19
	s_nop 4
	global_load_dwordx2 v[2:3], v1, s[6:7]
.LBB1305_9:
	s_or_b64 exec, exec, s[4:5]
	v_or_b32_e32 v1, 0x100, v0
	v_cmp_gt_u32_e32 vcc, s48, v1
	s_and_saveexec_b64 s[4:5], vcc
	s_cbranch_execz .LBB1305_11
; %bb.10:
	v_lshlrev_b32_e32 v1, 3, v0
	v_readfirstlane_b32 s6, v18
	v_readfirstlane_b32 s7, v19
	s_nop 4
	global_load_dwordx2 v[4:5], v1, s[6:7] offset:2048
.LBB1305_11:
	s_or_b64 exec, exec, s[4:5]
	v_or_b32_e32 v1, 0x200, v0
	v_cmp_gt_u32_e32 vcc, s48, v1
	s_and_saveexec_b64 s[4:5], vcc
	s_cbranch_execz .LBB1305_13
; %bb.12:
	v_lshlrev_b32_e32 v1, 3, v1
	v_readfirstlane_b32 s6, v18
	v_readfirstlane_b32 s7, v19
	s_nop 4
	global_load_dwordx2 v[6:7], v1, s[6:7]
.LBB1305_13:
	s_or_b64 exec, exec, s[4:5]
	v_or_b32_e32 v1, 0x300, v0
	v_cmp_gt_u32_e32 vcc, s48, v1
	s_and_saveexec_b64 s[4:5], vcc
	s_cbranch_execz .LBB1305_15
; %bb.14:
	v_lshlrev_b32_e32 v1, 3, v1
	v_readfirstlane_b32 s6, v18
	v_readfirstlane_b32 s7, v19
	s_nop 4
	global_load_dwordx2 v[8:9], v1, s[6:7]
.LBB1305_15:
	;; [unrolled: 12-line block ×3, first 2 shown]
	s_or_b64 exec, exec, s[4:5]
	v_lshlrev_b32_e32 v1, 3, v0
	s_waitcnt vmcnt(0)
	ds_write2st64_b64 v1, v[2:3], v[4:5] offset1:4
	ds_write2st64_b64 v1, v[6:7], v[8:9] offset0:8 offset1:12
	ds_write_b64 v1, v[10:11] offset:8192
	s_waitcnt lgkmcnt(0)
	s_barrier
.LBB1305_18:
	v_mul_u32_u24_e32 v1, 5, v0
	v_lshlrev_b32_e32 v26, 3, v1
	ds_read2_b64 v[6:9], v26 offset1:1
	ds_read2_b64 v[2:5], v26 offset0:2 offset1:3
	ds_read_b64 v[10:11], v26 offset:32
	s_cmp_lg_u32 s33, 0
	s_cselect_b64 s[34:35], -1, 0
	s_cmp_lg_u64 s[10:11], 0
	s_cselect_b64 s[4:5], -1, 0
	s_or_b64 s[4:5], s[4:5], s[34:35]
	v_mad_u32_u24 v24, v0, 5, 1
	v_mad_u32_u24 v22, v0, 5, 2
	;; [unrolled: 1-line block ×4, first 2 shown]
	s_mov_b64 s[14:15], 0
	s_and_b64 vcc, exec, s[4:5]
	v_cmp_gt_i64_e64 s[4:5], s[26:27], 0
	s_waitcnt lgkmcnt(0)
	s_barrier
	s_cbranch_vccz .LBB1305_27
; %bb.19:
	global_load_dwordx2 v[14:15], v[18:19], off offset:-8
	v_cndmask_b32_e64 v12, 0, 1, s[4:5]
	v_lshlrev_b32_e32 v27, 3, v0
	s_mov_b64 s[10:11], 0
	s_and_b64 vcc, exec, s[30:31]
	v_cmp_ne_u32_e64 s[4:5], 1, v12
	ds_write_b64 v27, v[10:11]
	s_cbranch_vccz .LBB1305_28
; %bb.20:
	v_mul_lo_u32 v16, v5, s26
	v_mul_lo_u32 v17, v4, s27
	v_mad_u64_u32 v[12:13], s[6:7], v4, s26, 0
	v_add3_u32 v13, v13, v17, v16
	s_and_b64 vcc, exec, s[4:5]
	v_lshlrev_b64 v[12:13], 1, v[12:13]
	s_cbranch_vccnz .LBB1305_31
; %bb.21:
	v_mul_lo_u32 v18, v11, s26
	v_mul_lo_u32 v19, v10, s27
	v_mad_u64_u32 v[16:17], s[6:7], v10, s26, 0
	v_add3_u32 v17, v17, v19, v18
	v_mov_b32_e32 v19, s17
	v_add_co_u32_e32 v18, vcc, s16, v12
	v_addc_co_u32_e64 v19, s[6:7], v19, v13, vcc
	v_lshlrev_b64 v[16:17], 1, v[16:17]
	v_mov_b32_e32 v21, s17
	v_add_co_u32_e64 v20, s[6:7], s16, v16
	v_addc_co_u32_e64 v21, s[8:9], v21, v17, s[6:7]
	global_load_ushort v16, v[18:19], off
	global_load_ushort v28, v[20:21], off
	s_mov_b64 s[10:11], -1
	s_waitcnt vmcnt(0)
	v_cmp_eq_f16_e64 s[8:9], v16, v28
	s_and_saveexec_b64 s[14:15], s[8:9]
	s_cbranch_execz .LBB1305_30
; %bb.22:
	v_mov_b32_e32 v16, s17
	v_addc_co_u32_e64 v17, s[6:7], v17, v16, s[6:7]
	v_add_co_u32_e64 v16, s[6:7], 2, v20
	v_mov_b32_e32 v19, s17
	v_addc_co_u32_e64 v17, s[6:7], 0, v17, s[6:7]
	v_addc_co_u32_e32 v19, vcc, v13, v19, vcc
	v_add_co_u32_e32 v18, vcc, 2, v18
	s_add_u32 s6, s26, -1
	v_addc_co_u32_e32 v19, vcc, 0, v19, vcc
	s_addc_u32 s7, s27, -1
	s_mov_b64 s[8:9], 0
	s_mov_b64 s[36:37], 0
                                        ; implicit-def: $sgpr10_sgpr11
	s_branch .LBB1305_25
.LBB1305_23:                            ;   in Loop: Header=BB1305_25 Depth=1
	global_load_ushort v20, v[18:19], off
	global_load_ushort v21, v[16:17], off
	v_add_co_u32_e32 v16, vcc, 2, v16
	v_addc_co_u32_e32 v17, vcc, 0, v17, vcc
	v_add_co_u32_e32 v18, vcc, 2, v18
	v_addc_co_u32_e32 v19, vcc, 0, v19, vcc
	s_add_u32 s36, s36, 1
	s_addc_u32 s37, s37, 0
	s_andn2_b64 s[10:11], s[10:11], exec
	s_waitcnt vmcnt(0)
	v_cmp_neq_f16_e32 vcc, v20, v21
	s_and_b64 s[38:39], vcc, exec
	s_or_b64 s[10:11], s[10:11], s[38:39]
.LBB1305_24:                            ;   in Loop: Header=BB1305_25 Depth=1
	s_and_b64 s[38:39], exec, s[10:11]
	s_or_b64 s[8:9], s[38:39], s[8:9]
	v_pk_mov_b32 v[20:21], s[36:37], s[36:37] op_sel:[0,1]
	s_andn2_b64 exec, exec, s[8:9]
	s_cbranch_execz .LBB1305_29
.LBB1305_25:                            ; =>This Inner Loop Header: Depth=1
	s_or_b64 s[10:11], s[10:11], exec
	s_cmp_eq_u64 s[6:7], s[36:37]
	s_cbranch_scc0 .LBB1305_23
; %bb.26:                               ;   in Loop: Header=BB1305_25 Depth=1
                                        ; implicit-def: $vgpr16_vgpr17
                                        ; implicit-def: $vgpr18_vgpr19
	s_mov_b64 s[36:37], s[26:27]
	s_branch .LBB1305_24
.LBB1305_27:
                                        ; implicit-def: $sgpr36_sgpr37
                                        ; implicit-def: $vgpr13
                                        ; implicit-def: $vgpr16
	s_branch .LBB1305_129
.LBB1305_28:
                                        ; implicit-def: $sgpr36_sgpr37
                                        ; implicit-def: $vgpr13
                                        ; implicit-def: $vgpr16
	s_cbranch_execnz .LBB1305_70
	s_branch .LBB1305_128
.LBB1305_29:
	s_or_b64 exec, exec, s[8:9]
	v_cmp_gt_i64_e32 vcc, s[26:27], v[20:21]
	s_orn2_b64 s[10:11], vcc, exec
.LBB1305_30:
	s_or_b64 exec, exec, s[14:15]
.LBB1305_31:
	v_mul_lo_u32 v18, v3, s26
	v_mul_lo_u32 v19, v2, s27
	v_mad_u64_u32 v[16:17], s[6:7], v2, s26, 0
	v_add3_u32 v17, v17, v19, v18
	s_mov_b64 s[14:15], 0
	s_and_b64 vcc, exec, s[4:5]
	v_lshlrev_b64 v[18:19], 1, v[16:17]
	s_mov_b64 s[36:37], 0
	s_cbranch_vccnz .LBB1305_40
; %bb.32:
	v_mov_b32_e32 v17, s17
	v_add_co_u32_e32 v16, vcc, s16, v18
	v_addc_co_u32_e64 v17, s[6:7], v17, v19, vcc
	v_mov_b32_e32 v21, s17
	v_add_co_u32_e64 v20, s[6:7], s16, v12
	v_addc_co_u32_e64 v21, s[8:9], v21, v13, s[6:7]
	global_load_ushort v12, v[16:17], off
	global_load_ushort v28, v[20:21], off
	s_mov_b64 s[36:37], -1
	s_waitcnt vmcnt(0)
	v_cmp_eq_f16_e64 s[8:9], v12, v28
	s_and_saveexec_b64 s[38:39], s[8:9]
	s_cbranch_execz .LBB1305_39
; %bb.33:
	v_mov_b32_e32 v12, s17
	v_addc_co_u32_e64 v13, s[6:7], v13, v12, s[6:7]
	v_add_co_u32_e64 v12, s[6:7], 2, v20
	v_mov_b32_e32 v17, s17
	v_addc_co_u32_e64 v13, s[6:7], 0, v13, s[6:7]
	v_addc_co_u32_e32 v17, vcc, v19, v17, vcc
	v_add_co_u32_e32 v16, vcc, 2, v16
	s_add_u32 s6, s26, -1
	v_addc_co_u32_e32 v17, vcc, 0, v17, vcc
	s_addc_u32 s7, s27, -1
	s_mov_b64 s[8:9], 0
	s_mov_b64 s[40:41], 0
                                        ; implicit-def: $sgpr36_sgpr37
	s_branch .LBB1305_36
.LBB1305_34:                            ;   in Loop: Header=BB1305_36 Depth=1
	global_load_ushort v20, v[16:17], off
	global_load_ushort v21, v[12:13], off
	v_add_co_u32_e32 v12, vcc, 2, v12
	v_addc_co_u32_e32 v13, vcc, 0, v13, vcc
	v_add_co_u32_e32 v16, vcc, 2, v16
	v_addc_co_u32_e32 v17, vcc, 0, v17, vcc
	s_add_u32 s40, s40, 1
	s_addc_u32 s41, s41, 0
	s_andn2_b64 s[36:37], s[36:37], exec
	s_waitcnt vmcnt(0)
	v_cmp_neq_f16_e32 vcc, v20, v21
	s_and_b64 s[42:43], vcc, exec
	s_or_b64 s[36:37], s[36:37], s[42:43]
.LBB1305_35:                            ;   in Loop: Header=BB1305_36 Depth=1
	s_and_b64 s[42:43], exec, s[36:37]
	s_or_b64 s[8:9], s[42:43], s[8:9]
	v_pk_mov_b32 v[20:21], s[40:41], s[40:41] op_sel:[0,1]
	s_andn2_b64 exec, exec, s[8:9]
	s_cbranch_execz .LBB1305_38
.LBB1305_36:                            ; =>This Inner Loop Header: Depth=1
	s_or_b64 s[36:37], s[36:37], exec
	s_cmp_eq_u64 s[6:7], s[40:41]
	s_cbranch_scc0 .LBB1305_34
; %bb.37:                               ;   in Loop: Header=BB1305_36 Depth=1
                                        ; implicit-def: $vgpr12_vgpr13
                                        ; implicit-def: $vgpr16_vgpr17
	s_mov_b64 s[40:41], s[26:27]
	s_branch .LBB1305_35
.LBB1305_38:
	s_or_b64 exec, exec, s[8:9]
	v_cmp_gt_i64_e32 vcc, s[26:27], v[20:21]
	s_orn2_b64 s[36:37], vcc, exec
.LBB1305_39:
	s_or_b64 exec, exec, s[38:39]
.LBB1305_40:
	v_mul_lo_u32 v16, v9, s26
	v_mul_lo_u32 v17, v8, s27
	v_mad_u64_u32 v[12:13], s[6:7], v8, s26, 0
	v_add3_u32 v13, v13, v17, v16
	s_and_b64 vcc, exec, s[4:5]
	v_lshlrev_b64 v[16:17], 1, v[12:13]
	s_cbranch_vccnz .LBB1305_49
; %bb.41:
	v_mov_b32_e32 v12, s17
	v_add_co_u32_e32 v20, vcc, s16, v16
	v_addc_co_u32_e64 v21, s[6:7], v12, v17, vcc
	v_mov_b32_e32 v13, s17
	v_add_co_u32_e64 v12, s[6:7], s16, v18
	v_addc_co_u32_e64 v13, s[8:9], v13, v19, s[6:7]
	global_load_ushort v18, v[20:21], off
	global_load_ushort v28, v[12:13], off
	s_mov_b64 s[14:15], -1
	s_waitcnt vmcnt(0)
	v_cmp_eq_f16_e64 s[8:9], v18, v28
	s_and_saveexec_b64 s[38:39], s[8:9]
	s_cbranch_execz .LBB1305_48
; %bb.42:
	v_mov_b32_e32 v13, s17
	v_addc_co_u32_e64 v13, s[6:7], v19, v13, s[6:7]
	v_add_co_u32_e64 v12, s[6:7], 2, v12
	v_mov_b32_e32 v18, s17
	v_addc_co_u32_e64 v13, s[6:7], 0, v13, s[6:7]
	v_addc_co_u32_e32 v19, vcc, v17, v18, vcc
	v_add_co_u32_e32 v18, vcc, 2, v20
	s_add_u32 s6, s26, -1
	v_addc_co_u32_e32 v19, vcc, 0, v19, vcc
	s_addc_u32 s7, s27, -1
	s_mov_b64 s[8:9], 0
	s_mov_b64 s[40:41], 0
                                        ; implicit-def: $sgpr14_sgpr15
	s_branch .LBB1305_45
.LBB1305_43:                            ;   in Loop: Header=BB1305_45 Depth=1
	global_load_ushort v20, v[18:19], off
	global_load_ushort v21, v[12:13], off
	v_add_co_u32_e32 v12, vcc, 2, v12
	v_addc_co_u32_e32 v13, vcc, 0, v13, vcc
	v_add_co_u32_e32 v18, vcc, 2, v18
	v_addc_co_u32_e32 v19, vcc, 0, v19, vcc
	s_add_u32 s40, s40, 1
	s_addc_u32 s41, s41, 0
	s_andn2_b64 s[14:15], s[14:15], exec
	s_waitcnt vmcnt(0)
	v_cmp_neq_f16_e32 vcc, v20, v21
	s_and_b64 s[42:43], vcc, exec
	s_or_b64 s[14:15], s[14:15], s[42:43]
.LBB1305_44:                            ;   in Loop: Header=BB1305_45 Depth=1
	s_and_b64 s[42:43], exec, s[14:15]
	s_or_b64 s[8:9], s[42:43], s[8:9]
	v_pk_mov_b32 v[20:21], s[40:41], s[40:41] op_sel:[0,1]
	s_andn2_b64 exec, exec, s[8:9]
	s_cbranch_execz .LBB1305_47
.LBB1305_45:                            ; =>This Inner Loop Header: Depth=1
	s_or_b64 s[14:15], s[14:15], exec
	s_cmp_eq_u64 s[6:7], s[40:41]
	s_cbranch_scc0 .LBB1305_43
; %bb.46:                               ;   in Loop: Header=BB1305_45 Depth=1
                                        ; implicit-def: $vgpr12_vgpr13
                                        ; implicit-def: $vgpr18_vgpr19
	s_mov_b64 s[40:41], s[26:27]
	s_branch .LBB1305_44
.LBB1305_47:
	s_or_b64 exec, exec, s[8:9]
	v_cmp_gt_i64_e32 vcc, s[26:27], v[20:21]
	s_orn2_b64 s[14:15], vcc, exec
.LBB1305_48:
	s_or_b64 exec, exec, s[38:39]
.LBB1305_49:
	v_mul_lo_u32 v18, v7, s26
	v_mul_lo_u32 v19, v6, s27
	v_mad_u64_u32 v[12:13], s[6:7], v6, s26, 0
	v_add3_u32 v13, v13, v19, v18
	s_mov_b64 s[40:41], 0
	s_and_b64 vcc, exec, s[4:5]
	v_lshlrev_b64 v[12:13], 1, v[12:13]
	s_cbranch_vccnz .LBB1305_58
; %bb.50:
	v_mov_b32_e32 v19, s17
	v_add_co_u32_e32 v18, vcc, s16, v12
	v_addc_co_u32_e64 v19, s[6:7], v19, v13, vcc
	v_mov_b32_e32 v21, s17
	v_add_co_u32_e64 v20, s[6:7], s16, v16
	v_addc_co_u32_e64 v21, s[8:9], v21, v17, s[6:7]
	global_load_ushort v16, v[18:19], off
	global_load_ushort v28, v[20:21], off
	s_mov_b64 s[40:41], -1
	s_waitcnt vmcnt(0)
	v_cmp_eq_f16_e64 s[8:9], v16, v28
	s_and_saveexec_b64 s[38:39], s[8:9]
	s_cbranch_execz .LBB1305_57
; %bb.51:
	v_mov_b32_e32 v16, s17
	v_addc_co_u32_e64 v17, s[6:7], v17, v16, s[6:7]
	v_add_co_u32_e64 v16, s[6:7], 2, v20
	v_mov_b32_e32 v19, s17
	v_addc_co_u32_e64 v17, s[6:7], 0, v17, s[6:7]
	v_addc_co_u32_e32 v19, vcc, v13, v19, vcc
	v_add_co_u32_e32 v18, vcc, 2, v18
	s_add_u32 s6, s26, -1
	v_addc_co_u32_e32 v19, vcc, 0, v19, vcc
	s_addc_u32 s7, s27, -1
	s_mov_b64 s[8:9], 0
	s_mov_b64 s[42:43], 0
                                        ; implicit-def: $sgpr40_sgpr41
	s_branch .LBB1305_54
.LBB1305_52:                            ;   in Loop: Header=BB1305_54 Depth=1
	global_load_ushort v20, v[18:19], off
	global_load_ushort v21, v[16:17], off
	v_add_co_u32_e32 v16, vcc, 2, v16
	v_addc_co_u32_e32 v17, vcc, 0, v17, vcc
	v_add_co_u32_e32 v18, vcc, 2, v18
	v_addc_co_u32_e32 v19, vcc, 0, v19, vcc
	s_add_u32 s42, s42, 1
	s_addc_u32 s43, s43, 0
	s_andn2_b64 s[40:41], s[40:41], exec
	s_waitcnt vmcnt(0)
	v_cmp_neq_f16_e32 vcc, v20, v21
	s_and_b64 s[44:45], vcc, exec
	s_or_b64 s[40:41], s[40:41], s[44:45]
.LBB1305_53:                            ;   in Loop: Header=BB1305_54 Depth=1
	s_and_b64 s[44:45], exec, s[40:41]
	s_or_b64 s[8:9], s[44:45], s[8:9]
	v_pk_mov_b32 v[20:21], s[42:43], s[42:43] op_sel:[0,1]
	s_andn2_b64 exec, exec, s[8:9]
	s_cbranch_execz .LBB1305_56
.LBB1305_54:                            ; =>This Inner Loop Header: Depth=1
	s_or_b64 s[40:41], s[40:41], exec
	s_cmp_eq_u64 s[6:7], s[42:43]
	s_cbranch_scc0 .LBB1305_52
; %bb.55:                               ;   in Loop: Header=BB1305_54 Depth=1
                                        ; implicit-def: $vgpr16_vgpr17
                                        ; implicit-def: $vgpr18_vgpr19
	s_mov_b64 s[42:43], s[26:27]
	s_branch .LBB1305_53
.LBB1305_56:
	s_or_b64 exec, exec, s[8:9]
	v_cmp_gt_i64_e32 vcc, s[26:27], v[20:21]
	s_orn2_b64 s[40:41], vcc, exec
.LBB1305_57:
	s_or_b64 exec, exec, s[38:39]
.LBB1305_58:
	s_waitcnt vmcnt(0)
	v_pk_mov_b32 v[16:17], v[14:15], v[14:15] op_sel:[0,1]
	s_waitcnt lgkmcnt(0)
	s_barrier
	s_and_saveexec_b64 s[6:7], s[2:3]
	s_cbranch_execz .LBB1305_60
; %bb.59:
	v_add_u32_e32 v16, -8, v27
	ds_read_b64 v[16:17], v16
.LBB1305_60:
	s_or_b64 exec, exec, s[6:7]
	v_cndmask_b32_e64 v19, 0, 1, s[36:37]
	v_cndmask_b32_e64 v18, 0, 1, s[14:15]
	;; [unrolled: 1-line block ×3, first 2 shown]
	v_lshlrev_b16_e32 v19, 8, v19
	v_lshlrev_b16_e32 v28, 8, v20
	v_or_b32_sdwa v29, v18, v19 dst_sel:WORD_1 dst_unused:UNUSED_PAD src0_sel:DWORD src1_sel:DWORD
	s_mov_b64 s[14:15], 0
	s_and_b64 vcc, exec, s[4:5]
	s_mov_b64 s[36:37], 0
	s_cbranch_vccnz .LBB1305_69
; %bb.61:
	s_waitcnt lgkmcnt(0)
	v_mul_lo_u32 v18, v17, s26
	v_mul_lo_u32 v19, v16, s27
	v_mad_u64_u32 v[16:17], s[6:7], v16, s26, 0
	v_add3_u32 v17, v17, v19, v18
	v_lshlrev_b64 v[16:17], 1, v[16:17]
	v_mov_b32_e32 v19, s17
	v_add_co_u32_e32 v18, vcc, s16, v16
	v_addc_co_u32_e64 v19, s[6:7], v19, v17, vcc
	v_mov_b32_e32 v16, s17
	v_add_co_u32_e64 v20, s[6:7], s16, v12
	v_addc_co_u32_e64 v21, s[8:9], v16, v13, s[6:7]
	global_load_ushort v12, v[18:19], off
	global_load_ushort v16, v[20:21], off
	s_mov_b64 s[36:37], -1
	s_waitcnt vmcnt(0)
	v_cmp_eq_f16_e64 s[8:9], v12, v16
	s_and_saveexec_b64 s[38:39], s[8:9]
	s_cbranch_execz .LBB1305_68
; %bb.62:
	v_mov_b32_e32 v12, s17
	v_addc_co_u32_e64 v13, s[6:7], v13, v12, s[6:7]
	v_add_co_u32_e64 v12, s[6:7], 2, v20
	v_mov_b32_e32 v16, s17
	v_addc_co_u32_e64 v13, s[6:7], 0, v13, s[6:7]
	v_addc_co_u32_e32 v17, vcc, v17, v16, vcc
	v_add_co_u32_e32 v16, vcc, 2, v18
	s_add_u32 s6, s26, -1
	v_addc_co_u32_e32 v17, vcc, 0, v17, vcc
	s_addc_u32 s7, s27, -1
	s_mov_b64 s[8:9], 0
	s_mov_b64 s[40:41], 0
                                        ; implicit-def: $sgpr36_sgpr37
	s_branch .LBB1305_65
.LBB1305_63:                            ;   in Loop: Header=BB1305_65 Depth=1
	global_load_ushort v18, v[16:17], off
	global_load_ushort v19, v[12:13], off
	v_add_co_u32_e32 v12, vcc, 2, v12
	v_addc_co_u32_e32 v13, vcc, 0, v13, vcc
	v_add_co_u32_e32 v16, vcc, 2, v16
	v_addc_co_u32_e32 v17, vcc, 0, v17, vcc
	s_add_u32 s40, s40, 1
	s_addc_u32 s41, s41, 0
	s_andn2_b64 s[36:37], s[36:37], exec
	s_waitcnt vmcnt(0)
	v_cmp_neq_f16_e32 vcc, v18, v19
	s_and_b64 s[42:43], vcc, exec
	s_or_b64 s[36:37], s[36:37], s[42:43]
.LBB1305_64:                            ;   in Loop: Header=BB1305_65 Depth=1
	s_and_b64 s[42:43], exec, s[36:37]
	s_or_b64 s[8:9], s[42:43], s[8:9]
	v_pk_mov_b32 v[18:19], s[40:41], s[40:41] op_sel:[0,1]
	s_andn2_b64 exec, exec, s[8:9]
	s_cbranch_execz .LBB1305_67
.LBB1305_65:                            ; =>This Inner Loop Header: Depth=1
	s_or_b64 s[36:37], s[36:37], exec
	s_cmp_eq_u64 s[6:7], s[40:41]
	s_cbranch_scc0 .LBB1305_63
; %bb.66:                               ;   in Loop: Header=BB1305_65 Depth=1
                                        ; implicit-def: $vgpr12_vgpr13
                                        ; implicit-def: $vgpr16_vgpr17
	s_mov_b64 s[40:41], s[26:27]
	s_branch .LBB1305_64
.LBB1305_67:
	s_or_b64 exec, exec, s[8:9]
	v_cmp_gt_i64_e32 vcc, s[26:27], v[18:19]
	s_orn2_b64 s[36:37], vcc, exec
.LBB1305_68:
	s_or_b64 exec, exec, s[38:39]
.LBB1305_69:
	v_cndmask_b32_e64 v13, 0, 1, s[10:11]
	s_waitcnt lgkmcnt(0)
	v_or_b32_e32 v16, v28, v29
	s_and_b64 vcc, exec, s[14:15]
	s_cbranch_vccz .LBB1305_128
.LBB1305_70:
	v_cmp_gt_u32_e32 vcc, s48, v23
	s_mov_b64 s[14:15], 0
	s_mov_b64 s[10:11], 0
	s_and_saveexec_b64 s[36:37], vcc
	s_cbranch_execz .LBB1305_81
; %bb.71:
	s_and_b64 vcc, exec, s[4:5]
	s_mov_b64 s[38:39], 0
	s_cbranch_vccnz .LBB1305_80
; %bb.72:
	v_mul_lo_u32 v16, v5, s26
	v_mul_lo_u32 v17, v4, s27
	v_mad_u64_u32 v[12:13], s[6:7], v4, s26, 0
	v_add3_u32 v13, v13, v17, v16
	v_mul_lo_u32 v16, v11, s26
	v_mul_lo_u32 v17, v10, s27
	v_mad_u64_u32 v[20:21], s[6:7], v10, s26, 0
	v_add3_u32 v21, v21, v17, v16
	v_lshlrev_b64 v[16:17], 1, v[12:13]
	v_mov_b32_e32 v12, s17
	v_add_co_u32_e32 v18, vcc, s16, v16
	v_addc_co_u32_e64 v19, s[6:7], v12, v17, vcc
	v_lshlrev_b64 v[12:13], 1, v[20:21]
	v_mov_b32_e32 v16, s17
	v_add_co_u32_e64 v20, s[6:7], s16, v12
	v_addc_co_u32_e64 v21, s[8:9], v16, v13, s[6:7]
	global_load_ushort v12, v[18:19], off
	global_load_ushort v16, v[20:21], off
	s_mov_b64 s[38:39], -1
	s_waitcnt vmcnt(0)
	v_cmp_eq_f16_e64 s[8:9], v12, v16
	s_and_saveexec_b64 s[10:11], s[8:9]
	s_cbranch_execz .LBB1305_79
; %bb.73:
	v_mov_b32_e32 v12, s17
	v_addc_co_u32_e64 v13, s[6:7], v13, v12, s[6:7]
	v_add_co_u32_e64 v12, s[6:7], 2, v20
	v_mov_b32_e32 v16, s17
	v_addc_co_u32_e64 v13, s[6:7], 0, v13, s[6:7]
	v_addc_co_u32_e32 v17, vcc, v17, v16, vcc
	v_add_co_u32_e32 v16, vcc, 2, v18
	s_add_u32 s6, s26, -1
	v_addc_co_u32_e32 v17, vcc, 0, v17, vcc
	s_addc_u32 s7, s27, -1
	s_mov_b64 s[8:9], 0
	s_mov_b64 s[40:41], 0
                                        ; implicit-def: $sgpr38_sgpr39
	s_branch .LBB1305_76
.LBB1305_74:                            ;   in Loop: Header=BB1305_76 Depth=1
	global_load_ushort v18, v[16:17], off
	global_load_ushort v19, v[12:13], off
	v_add_co_u32_e32 v12, vcc, 2, v12
	v_addc_co_u32_e32 v13, vcc, 0, v13, vcc
	v_add_co_u32_e32 v16, vcc, 2, v16
	v_addc_co_u32_e32 v17, vcc, 0, v17, vcc
	s_add_u32 s40, s40, 1
	s_addc_u32 s41, s41, 0
	s_andn2_b64 s[38:39], s[38:39], exec
	s_waitcnt vmcnt(0)
	v_cmp_neq_f16_e32 vcc, v18, v19
	s_and_b64 s[42:43], vcc, exec
	s_or_b64 s[38:39], s[38:39], s[42:43]
.LBB1305_75:                            ;   in Loop: Header=BB1305_76 Depth=1
	s_and_b64 s[42:43], exec, s[38:39]
	s_or_b64 s[8:9], s[42:43], s[8:9]
	v_pk_mov_b32 v[18:19], s[40:41], s[40:41] op_sel:[0,1]
	s_andn2_b64 exec, exec, s[8:9]
	s_cbranch_execz .LBB1305_78
.LBB1305_76:                            ; =>This Inner Loop Header: Depth=1
	s_or_b64 s[38:39], s[38:39], exec
	s_cmp_eq_u64 s[6:7], s[40:41]
	s_cbranch_scc0 .LBB1305_74
; %bb.77:                               ;   in Loop: Header=BB1305_76 Depth=1
                                        ; implicit-def: $vgpr12_vgpr13
                                        ; implicit-def: $vgpr16_vgpr17
	s_mov_b64 s[40:41], s[26:27]
	s_branch .LBB1305_75
.LBB1305_78:
	s_or_b64 exec, exec, s[8:9]
	v_cmp_gt_i64_e32 vcc, s[26:27], v[18:19]
	s_orn2_b64 s[38:39], vcc, exec
.LBB1305_79:
	s_or_b64 exec, exec, s[10:11]
.LBB1305_80:
	s_and_b64 s[10:11], s[38:39], exec
.LBB1305_81:
	s_or_b64 exec, exec, s[36:37]
	v_cmp_gt_u32_e32 vcc, s48, v25
	s_and_saveexec_b64 s[36:37], vcc
	s_cbranch_execz .LBB1305_92
; %bb.82:
	s_and_b64 vcc, exec, s[4:5]
	s_mov_b64 s[38:39], 0
	s_cbranch_vccnz .LBB1305_91
; %bb.83:
	v_mul_lo_u32 v16, v3, s26
	v_mul_lo_u32 v17, v2, s27
	v_mad_u64_u32 v[12:13], s[6:7], v2, s26, 0
	v_add3_u32 v13, v13, v17, v16
	v_mul_lo_u32 v16, v5, s26
	v_mul_lo_u32 v17, v4, s27
	v_mad_u64_u32 v[20:21], s[6:7], v4, s26, 0
	v_add3_u32 v21, v21, v17, v16
	v_lshlrev_b64 v[16:17], 1, v[12:13]
	v_mov_b32_e32 v12, s17
	v_add_co_u32_e32 v18, vcc, s16, v16
	v_addc_co_u32_e64 v19, s[6:7], v12, v17, vcc
	v_lshlrev_b64 v[12:13], 1, v[20:21]
	v_mov_b32_e32 v16, s17
	v_add_co_u32_e64 v20, s[6:7], s16, v12
	v_addc_co_u32_e64 v21, s[8:9], v16, v13, s[6:7]
	global_load_ushort v12, v[18:19], off
	global_load_ushort v16, v[20:21], off
	s_mov_b64 s[38:39], -1
	s_waitcnt vmcnt(0)
	v_cmp_eq_f16_e64 s[8:9], v12, v16
	s_and_saveexec_b64 s[14:15], s[8:9]
	s_cbranch_execz .LBB1305_90
; %bb.84:
	v_mov_b32_e32 v12, s17
	v_addc_co_u32_e64 v13, s[6:7], v13, v12, s[6:7]
	v_add_co_u32_e64 v12, s[6:7], 2, v20
	v_mov_b32_e32 v16, s17
	v_addc_co_u32_e64 v13, s[6:7], 0, v13, s[6:7]
	v_addc_co_u32_e32 v17, vcc, v17, v16, vcc
	v_add_co_u32_e32 v16, vcc, 2, v18
	s_add_u32 s6, s26, -1
	v_addc_co_u32_e32 v17, vcc, 0, v17, vcc
	s_addc_u32 s7, s27, -1
	s_mov_b64 s[8:9], 0
	s_mov_b64 s[40:41], 0
                                        ; implicit-def: $sgpr38_sgpr39
	s_branch .LBB1305_87
.LBB1305_85:                            ;   in Loop: Header=BB1305_87 Depth=1
	global_load_ushort v18, v[16:17], off
	global_load_ushort v19, v[12:13], off
	v_add_co_u32_e32 v12, vcc, 2, v12
	v_addc_co_u32_e32 v13, vcc, 0, v13, vcc
	v_add_co_u32_e32 v16, vcc, 2, v16
	v_addc_co_u32_e32 v17, vcc, 0, v17, vcc
	s_add_u32 s40, s40, 1
	s_addc_u32 s41, s41, 0
	s_andn2_b64 s[38:39], s[38:39], exec
	s_waitcnt vmcnt(0)
	v_cmp_neq_f16_e32 vcc, v18, v19
	s_and_b64 s[42:43], vcc, exec
	s_or_b64 s[38:39], s[38:39], s[42:43]
.LBB1305_86:                            ;   in Loop: Header=BB1305_87 Depth=1
	s_and_b64 s[42:43], exec, s[38:39]
	s_or_b64 s[8:9], s[42:43], s[8:9]
	v_pk_mov_b32 v[18:19], s[40:41], s[40:41] op_sel:[0,1]
	s_andn2_b64 exec, exec, s[8:9]
	s_cbranch_execz .LBB1305_89
.LBB1305_87:                            ; =>This Inner Loop Header: Depth=1
	s_or_b64 s[38:39], s[38:39], exec
	s_cmp_eq_u64 s[6:7], s[40:41]
	s_cbranch_scc0 .LBB1305_85
; %bb.88:                               ;   in Loop: Header=BB1305_87 Depth=1
                                        ; implicit-def: $vgpr12_vgpr13
                                        ; implicit-def: $vgpr16_vgpr17
	s_mov_b64 s[40:41], s[26:27]
	s_branch .LBB1305_86
.LBB1305_89:
	s_or_b64 exec, exec, s[8:9]
	v_cmp_gt_i64_e32 vcc, s[26:27], v[18:19]
	s_orn2_b64 s[38:39], vcc, exec
.LBB1305_90:
	s_or_b64 exec, exec, s[14:15]
.LBB1305_91:
	s_and_b64 s[14:15], s[38:39], exec
.LBB1305_92:
	s_or_b64 exec, exec, s[36:37]
	v_cmp_gt_u32_e32 vcc, s48, v22
	s_mov_b64 s[36:37], 0
	s_mov_b64 s[38:39], 0
	s_and_saveexec_b64 s[40:41], vcc
	s_cbranch_execz .LBB1305_103
; %bb.93:
	s_and_b64 vcc, exec, s[4:5]
	s_mov_b64 s[42:43], 0
	s_cbranch_vccnz .LBB1305_102
; %bb.94:
	v_mul_lo_u32 v16, v9, s26
	v_mul_lo_u32 v17, v8, s27
	v_mad_u64_u32 v[12:13], s[6:7], v8, s26, 0
	v_add3_u32 v13, v13, v17, v16
	v_mul_lo_u32 v16, v3, s26
	v_mul_lo_u32 v17, v2, s27
	v_mad_u64_u32 v[20:21], s[6:7], v2, s26, 0
	v_add3_u32 v21, v21, v17, v16
	v_lshlrev_b64 v[16:17], 1, v[12:13]
	v_mov_b32_e32 v12, s17
	v_add_co_u32_e32 v18, vcc, s16, v16
	v_addc_co_u32_e64 v19, s[6:7], v12, v17, vcc
	v_lshlrev_b64 v[12:13], 1, v[20:21]
	v_mov_b32_e32 v16, s17
	v_add_co_u32_e64 v20, s[6:7], s16, v12
	v_addc_co_u32_e64 v21, s[8:9], v16, v13, s[6:7]
	global_load_ushort v12, v[18:19], off
	global_load_ushort v16, v[20:21], off
	s_mov_b64 s[42:43], -1
	s_waitcnt vmcnt(0)
	v_cmp_eq_f16_e64 s[8:9], v12, v16
	s_and_saveexec_b64 s[38:39], s[8:9]
	s_cbranch_execz .LBB1305_101
; %bb.95:
	v_mov_b32_e32 v12, s17
	v_addc_co_u32_e64 v13, s[6:7], v13, v12, s[6:7]
	v_add_co_u32_e64 v12, s[6:7], 2, v20
	v_mov_b32_e32 v16, s17
	v_addc_co_u32_e64 v13, s[6:7], 0, v13, s[6:7]
	v_addc_co_u32_e32 v17, vcc, v17, v16, vcc
	v_add_co_u32_e32 v16, vcc, 2, v18
	s_add_u32 s6, s26, -1
	v_addc_co_u32_e32 v17, vcc, 0, v17, vcc
	s_addc_u32 s7, s27, -1
	s_mov_b64 s[8:9], 0
	s_mov_b64 s[44:45], 0
                                        ; implicit-def: $sgpr42_sgpr43
	s_branch .LBB1305_98
.LBB1305_96:                            ;   in Loop: Header=BB1305_98 Depth=1
	global_load_ushort v18, v[16:17], off
	global_load_ushort v19, v[12:13], off
	v_add_co_u32_e32 v12, vcc, 2, v12
	v_addc_co_u32_e32 v13, vcc, 0, v13, vcc
	v_add_co_u32_e32 v16, vcc, 2, v16
	v_addc_co_u32_e32 v17, vcc, 0, v17, vcc
	s_add_u32 s44, s44, 1
	s_addc_u32 s45, s45, 0
	s_andn2_b64 s[42:43], s[42:43], exec
	s_waitcnt vmcnt(0)
	v_cmp_neq_f16_e32 vcc, v18, v19
	s_and_b64 s[46:47], vcc, exec
	s_or_b64 s[42:43], s[42:43], s[46:47]
.LBB1305_97:                            ;   in Loop: Header=BB1305_98 Depth=1
	s_and_b64 s[46:47], exec, s[42:43]
	s_or_b64 s[8:9], s[46:47], s[8:9]
	v_pk_mov_b32 v[18:19], s[44:45], s[44:45] op_sel:[0,1]
	s_andn2_b64 exec, exec, s[8:9]
	s_cbranch_execz .LBB1305_100
.LBB1305_98:                            ; =>This Inner Loop Header: Depth=1
	s_or_b64 s[42:43], s[42:43], exec
	s_cmp_eq_u64 s[6:7], s[44:45]
	s_cbranch_scc0 .LBB1305_96
; %bb.99:                               ;   in Loop: Header=BB1305_98 Depth=1
                                        ; implicit-def: $vgpr12_vgpr13
                                        ; implicit-def: $vgpr16_vgpr17
	s_mov_b64 s[44:45], s[26:27]
	s_branch .LBB1305_97
.LBB1305_100:
	s_or_b64 exec, exec, s[8:9]
	v_cmp_gt_i64_e32 vcc, s[26:27], v[18:19]
	s_orn2_b64 s[42:43], vcc, exec
.LBB1305_101:
	s_or_b64 exec, exec, s[38:39]
.LBB1305_102:
	s_and_b64 s[38:39], s[42:43], exec
.LBB1305_103:
	s_or_b64 exec, exec, s[40:41]
	v_cmp_gt_u32_e32 vcc, s48, v24
	s_and_saveexec_b64 s[40:41], vcc
	s_cbranch_execz .LBB1305_114
; %bb.104:
	s_and_b64 vcc, exec, s[4:5]
	s_mov_b64 s[42:43], 0
	s_cbranch_vccnz .LBB1305_113
; %bb.105:
	v_mul_lo_u32 v16, v7, s26
	v_mul_lo_u32 v17, v6, s27
	v_mad_u64_u32 v[12:13], s[6:7], v6, s26, 0
	v_add3_u32 v13, v13, v17, v16
	v_mul_lo_u32 v16, v9, s26
	v_mul_lo_u32 v17, v8, s27
	v_mad_u64_u32 v[20:21], s[6:7], v8, s26, 0
	v_add3_u32 v21, v21, v17, v16
	v_lshlrev_b64 v[16:17], 1, v[12:13]
	v_mov_b32_e32 v12, s17
	v_add_co_u32_e32 v18, vcc, s16, v16
	v_addc_co_u32_e64 v19, s[6:7], v12, v17, vcc
	v_lshlrev_b64 v[12:13], 1, v[20:21]
	v_mov_b32_e32 v16, s17
	v_add_co_u32_e64 v20, s[6:7], s16, v12
	v_addc_co_u32_e64 v21, s[8:9], v16, v13, s[6:7]
	global_load_ushort v12, v[18:19], off
	global_load_ushort v16, v[20:21], off
	s_mov_b64 s[42:43], -1
	s_waitcnt vmcnt(0)
	v_cmp_eq_f16_e64 s[8:9], v12, v16
	s_and_saveexec_b64 s[36:37], s[8:9]
	s_cbranch_execz .LBB1305_112
; %bb.106:
	v_mov_b32_e32 v12, s17
	v_addc_co_u32_e64 v13, s[6:7], v13, v12, s[6:7]
	v_add_co_u32_e64 v12, s[6:7], 2, v20
	v_mov_b32_e32 v16, s17
	v_addc_co_u32_e64 v13, s[6:7], 0, v13, s[6:7]
	v_addc_co_u32_e32 v17, vcc, v17, v16, vcc
	v_add_co_u32_e32 v16, vcc, 2, v18
	s_add_u32 s6, s26, -1
	v_addc_co_u32_e32 v17, vcc, 0, v17, vcc
	s_addc_u32 s7, s27, -1
	s_mov_b64 s[8:9], 0
	s_mov_b64 s[44:45], 0
                                        ; implicit-def: $sgpr42_sgpr43
	s_branch .LBB1305_109
.LBB1305_107:                           ;   in Loop: Header=BB1305_109 Depth=1
	global_load_ushort v18, v[16:17], off
	global_load_ushort v19, v[12:13], off
	v_add_co_u32_e32 v12, vcc, 2, v12
	v_addc_co_u32_e32 v13, vcc, 0, v13, vcc
	v_add_co_u32_e32 v16, vcc, 2, v16
	v_addc_co_u32_e32 v17, vcc, 0, v17, vcc
	s_add_u32 s44, s44, 1
	s_addc_u32 s45, s45, 0
	s_andn2_b64 s[42:43], s[42:43], exec
	s_waitcnt vmcnt(0)
	v_cmp_neq_f16_e32 vcc, v18, v19
	s_and_b64 s[46:47], vcc, exec
	s_or_b64 s[42:43], s[42:43], s[46:47]
.LBB1305_108:                           ;   in Loop: Header=BB1305_109 Depth=1
	s_and_b64 s[46:47], exec, s[42:43]
	s_or_b64 s[8:9], s[46:47], s[8:9]
	v_pk_mov_b32 v[18:19], s[44:45], s[44:45] op_sel:[0,1]
	s_andn2_b64 exec, exec, s[8:9]
	s_cbranch_execz .LBB1305_111
.LBB1305_109:                           ; =>This Inner Loop Header: Depth=1
	s_or_b64 s[42:43], s[42:43], exec
	s_cmp_eq_u64 s[6:7], s[44:45]
	s_cbranch_scc0 .LBB1305_107
; %bb.110:                              ;   in Loop: Header=BB1305_109 Depth=1
                                        ; implicit-def: $vgpr12_vgpr13
                                        ; implicit-def: $vgpr16_vgpr17
	s_mov_b64 s[44:45], s[26:27]
	s_branch .LBB1305_108
.LBB1305_111:
	s_or_b64 exec, exec, s[8:9]
	v_cmp_gt_i64_e32 vcc, s[26:27], v[18:19]
	s_orn2_b64 s[42:43], vcc, exec
.LBB1305_112:
	s_or_b64 exec, exec, s[36:37]
.LBB1305_113:
	s_and_b64 s[36:37], s[42:43], exec
.LBB1305_114:
	s_or_b64 exec, exec, s[40:41]
	s_waitcnt lgkmcnt(0)
	s_barrier
	s_and_saveexec_b64 s[6:7], s[2:3]
	s_cbranch_execz .LBB1305_116
; %bb.115:
	v_add_u32_e32 v12, -8, v27
	s_waitcnt vmcnt(0)
	ds_read_b64 v[14:15], v12
.LBB1305_116:
	s_or_b64 exec, exec, s[6:7]
	v_cndmask_b32_e64 v13, 0, 1, s[14:15]
	v_cndmask_b32_e64 v12, 0, 1, s[38:39]
	;; [unrolled: 1-line block ×3, first 2 shown]
	v_lshlrev_b16_e32 v13, 8, v13
	v_cmp_gt_u32_e32 vcc, s48, v1
	v_lshlrev_b16_e32 v20, 8, v16
	v_or_b32_sdwa v21, v12, v13 dst_sel:WORD_1 dst_unused:UNUSED_PAD src0_sel:DWORD src1_sel:DWORD
	s_mov_b64 s[36:37], 0
	s_and_saveexec_b64 s[8:9], vcc
	s_cbranch_execz .LBB1305_127
; %bb.117:
	s_and_b64 vcc, exec, s[4:5]
	s_cbranch_vccnz .LBB1305_126
; %bb.118:
	s_waitcnt vmcnt(0) lgkmcnt(0)
	v_mul_lo_u32 v15, v15, s26
	v_mul_lo_u32 v16, v14, s27
	v_mad_u64_u32 v[12:13], s[4:5], v14, s26, 0
	v_add3_u32 v13, v13, v16, v15
	v_mul_lo_u32 v14, v7, s26
	v_mul_lo_u32 v15, v6, s27
	v_mad_u64_u32 v[18:19], s[4:5], v6, s26, 0
	v_add3_u32 v19, v19, v15, v14
	v_lshlrev_b64 v[14:15], 1, v[12:13]
	v_mov_b32_e32 v12, s17
	v_add_co_u32_e32 v16, vcc, s16, v14
	v_addc_co_u32_e64 v17, s[4:5], v12, v15, vcc
	v_lshlrev_b64 v[12:13], 1, v[18:19]
	v_mov_b32_e32 v14, s17
	v_add_co_u32_e64 v18, s[4:5], s16, v12
	v_addc_co_u32_e64 v19, s[6:7], v14, v13, s[4:5]
	global_load_ushort v12, v[16:17], off
	global_load_ushort v14, v[18:19], off
	s_mov_b64 s[36:37], -1
	s_waitcnt vmcnt(0)
	v_cmp_eq_f16_e64 s[6:7], v12, v14
	s_and_saveexec_b64 s[14:15], s[6:7]
	s_cbranch_execz .LBB1305_125
; %bb.119:
	v_mov_b32_e32 v12, s17
	v_addc_co_u32_e64 v13, s[4:5], v13, v12, s[4:5]
	v_add_co_u32_e64 v12, s[4:5], 2, v18
	v_mov_b32_e32 v14, s17
	v_addc_co_u32_e64 v13, s[4:5], 0, v13, s[4:5]
	v_addc_co_u32_e32 v15, vcc, v15, v14, vcc
	v_add_co_u32_e32 v14, vcc, 2, v16
	s_add_u32 s4, s26, -1
	v_addc_co_u32_e32 v15, vcc, 0, v15, vcc
	s_addc_u32 s5, s27, -1
	s_mov_b64 s[6:7], 0
	s_mov_b64 s[38:39], 0
                                        ; implicit-def: $sgpr36_sgpr37
	s_branch .LBB1305_122
.LBB1305_120:                           ;   in Loop: Header=BB1305_122 Depth=1
	global_load_ushort v16, v[14:15], off
	global_load_ushort v17, v[12:13], off
	v_add_co_u32_e32 v12, vcc, 2, v12
	v_addc_co_u32_e32 v13, vcc, 0, v13, vcc
	v_add_co_u32_e32 v14, vcc, 2, v14
	v_addc_co_u32_e32 v15, vcc, 0, v15, vcc
	s_add_u32 s38, s38, 1
	s_addc_u32 s39, s39, 0
	s_andn2_b64 s[36:37], s[36:37], exec
	s_waitcnt vmcnt(0)
	v_cmp_neq_f16_e32 vcc, v16, v17
	s_and_b64 s[40:41], vcc, exec
	s_or_b64 s[36:37], s[36:37], s[40:41]
.LBB1305_121:                           ;   in Loop: Header=BB1305_122 Depth=1
	s_and_b64 s[40:41], exec, s[36:37]
	s_or_b64 s[6:7], s[40:41], s[6:7]
	v_pk_mov_b32 v[16:17], s[38:39], s[38:39] op_sel:[0,1]
	s_andn2_b64 exec, exec, s[6:7]
	s_cbranch_execz .LBB1305_124
.LBB1305_122:                           ; =>This Inner Loop Header: Depth=1
	s_or_b64 s[36:37], s[36:37], exec
	s_cmp_eq_u64 s[4:5], s[38:39]
	s_cbranch_scc0 .LBB1305_120
; %bb.123:                              ;   in Loop: Header=BB1305_122 Depth=1
                                        ; implicit-def: $vgpr12_vgpr13
                                        ; implicit-def: $vgpr14_vgpr15
	s_mov_b64 s[38:39], s[26:27]
	s_branch .LBB1305_121
.LBB1305_124:
	s_or_b64 exec, exec, s[6:7]
	v_cmp_gt_i64_e32 vcc, s[26:27], v[16:17]
	s_orn2_b64 s[36:37], vcc, exec
.LBB1305_125:
	s_or_b64 exec, exec, s[14:15]
.LBB1305_126:
	s_and_b64 s[36:37], s[36:37], exec
.LBB1305_127:
	s_or_b64 exec, exec, s[8:9]
	v_cndmask_b32_e64 v13, 0, 1, s[10:11]
	v_or_b32_e32 v16, v20, v21
.LBB1305_128:
	s_mov_b64 s[14:15], -1
	s_cbranch_execnz .LBB1305_237
.LBB1305_129:
	v_lshlrev_b32_e32 v12, 5, v0
	v_sub_u32_e32 v26, v26, v12
	s_mov_b64 s[36:37], 0
	v_cmp_gt_i64_e64 s[10:11], s[26:27], 0
	s_and_b64 vcc, exec, s[30:31]
	ds_write_b64 v26, v[10:11]
	s_cbranch_vccz .LBB1305_137
; %bb.130:
	s_waitcnt vmcnt(0) lgkmcnt(1)
	v_mul_lo_u32 v14, v5, s26
	v_mul_lo_u32 v15, v4, s27
	v_mad_u64_u32 v[12:13], s[4:5], v4, s26, 0
	v_add3_u32 v13, v13, v15, v14
	v_cndmask_b32_e64 v14, 0, 1, s[10:11]
	v_cmp_ne_u32_e64 s[4:5], 1, v14
	s_andn2_b64 vcc, exec, s[10:11]
	v_lshlrev_b64 v[12:13], 1, v[12:13]
	s_cbranch_vccnz .LBB1305_140
; %bb.131:
	v_mul_lo_u32 v16, v11, s26
	v_mul_lo_u32 v17, v10, s27
	v_mad_u64_u32 v[14:15], s[6:7], v10, s26, 0
	v_add3_u32 v15, v15, v17, v16
	v_mov_b32_e32 v17, s17
	v_add_co_u32_e32 v16, vcc, s16, v12
	v_addc_co_u32_e64 v17, s[6:7], v17, v13, vcc
	v_lshlrev_b64 v[14:15], 1, v[14:15]
	v_mov_b32_e32 v19, s17
	v_add_co_u32_e64 v18, s[6:7], s16, v14
	v_addc_co_u32_e64 v19, s[8:9], v19, v15, s[6:7]
	global_load_ushort v14, v[16:17], off
	global_load_ushort v20, v[18:19], off
	s_mov_b64 s[36:37], -1
	s_waitcnt vmcnt(0)
	v_cmp_eq_f16_e64 s[8:9], v14, v20
	s_and_saveexec_b64 s[38:39], s[8:9]
	s_cbranch_execz .LBB1305_139
; %bb.132:
	v_mov_b32_e32 v14, s17
	v_addc_co_u32_e64 v15, s[6:7], v15, v14, s[6:7]
	v_add_co_u32_e64 v14, s[6:7], 2, v18
	v_mov_b32_e32 v17, s17
	v_addc_co_u32_e64 v15, s[6:7], 0, v15, s[6:7]
	v_addc_co_u32_e32 v17, vcc, v13, v17, vcc
	v_add_co_u32_e32 v16, vcc, 2, v16
	s_add_u32 s6, s26, -1
	v_addc_co_u32_e32 v17, vcc, 0, v17, vcc
	s_addc_u32 s7, s27, -1
	s_mov_b64 s[8:9], 0
	s_mov_b64 s[40:41], 0
                                        ; implicit-def: $sgpr36_sgpr37
	s_branch .LBB1305_135
.LBB1305_133:                           ;   in Loop: Header=BB1305_135 Depth=1
	global_load_ushort v18, v[16:17], off
	global_load_ushort v19, v[14:15], off
	v_add_co_u32_e32 v14, vcc, 2, v14
	v_addc_co_u32_e32 v15, vcc, 0, v15, vcc
	v_add_co_u32_e32 v16, vcc, 2, v16
	v_addc_co_u32_e32 v17, vcc, 0, v17, vcc
	s_add_u32 s40, s40, 1
	s_addc_u32 s41, s41, 0
	s_andn2_b64 s[36:37], s[36:37], exec
	s_waitcnt vmcnt(0)
	v_cmp_neq_f16_e32 vcc, v18, v19
	s_and_b64 s[42:43], vcc, exec
	s_or_b64 s[36:37], s[36:37], s[42:43]
.LBB1305_134:                           ;   in Loop: Header=BB1305_135 Depth=1
	s_and_b64 s[42:43], exec, s[36:37]
	s_or_b64 s[8:9], s[42:43], s[8:9]
	v_pk_mov_b32 v[18:19], s[40:41], s[40:41] op_sel:[0,1]
	s_andn2_b64 exec, exec, s[8:9]
	s_cbranch_execz .LBB1305_138
.LBB1305_135:                           ; =>This Inner Loop Header: Depth=1
	s_or_b64 s[36:37], s[36:37], exec
	s_cmp_eq_u64 s[6:7], s[40:41]
	s_cbranch_scc0 .LBB1305_133
; %bb.136:                              ;   in Loop: Header=BB1305_135 Depth=1
                                        ; implicit-def: $vgpr14_vgpr15
                                        ; implicit-def: $vgpr16_vgpr17
	s_mov_b64 s[40:41], s[26:27]
	s_branch .LBB1305_134
.LBB1305_137:
                                        ; implicit-def: $sgpr36_sgpr37
                                        ; implicit-def: $vgpr13
                                        ; implicit-def: $vgpr16
	s_cbranch_execnz .LBB1305_179
	s_branch .LBB1305_237
.LBB1305_138:
	s_or_b64 exec, exec, s[8:9]
	v_cmp_gt_i64_e32 vcc, s[26:27], v[18:19]
	s_orn2_b64 s[36:37], vcc, exec
.LBB1305_139:
	s_or_b64 exec, exec, s[38:39]
.LBB1305_140:
	v_mul_lo_u32 v16, v3, s26
	v_mul_lo_u32 v17, v2, s27
	v_mad_u64_u32 v[14:15], s[6:7], v2, s26, 0
	v_add3_u32 v15, v15, v17, v16
	s_mov_b64 s[38:39], 0
	s_and_b64 vcc, exec, s[4:5]
	v_lshlrev_b64 v[14:15], 1, v[14:15]
	s_mov_b64 s[40:41], 0
	s_cbranch_vccnz .LBB1305_149
; %bb.141:
	v_mov_b32_e32 v17, s17
	v_add_co_u32_e32 v16, vcc, s16, v14
	v_addc_co_u32_e64 v17, s[6:7], v17, v15, vcc
	v_mov_b32_e32 v19, s17
	v_add_co_u32_e64 v18, s[6:7], s16, v12
	v_addc_co_u32_e64 v19, s[8:9], v19, v13, s[6:7]
	global_load_ushort v12, v[16:17], off
	global_load_ushort v20, v[18:19], off
	s_mov_b64 s[40:41], -1
	s_waitcnt vmcnt(0)
	v_cmp_eq_f16_e64 s[8:9], v12, v20
	s_and_saveexec_b64 s[42:43], s[8:9]
	s_cbranch_execz .LBB1305_148
; %bb.142:
	v_mov_b32_e32 v12, s17
	v_addc_co_u32_e64 v13, s[6:7], v13, v12, s[6:7]
	v_add_co_u32_e64 v12, s[6:7], 2, v18
	v_mov_b32_e32 v17, s17
	v_addc_co_u32_e64 v13, s[6:7], 0, v13, s[6:7]
	v_addc_co_u32_e32 v17, vcc, v15, v17, vcc
	v_add_co_u32_e32 v16, vcc, 2, v16
	s_add_u32 s6, s26, -1
	v_addc_co_u32_e32 v17, vcc, 0, v17, vcc
	s_addc_u32 s7, s27, -1
	s_mov_b64 s[8:9], 0
	s_mov_b64 s[44:45], 0
                                        ; implicit-def: $sgpr40_sgpr41
	s_branch .LBB1305_145
.LBB1305_143:                           ;   in Loop: Header=BB1305_145 Depth=1
	global_load_ushort v18, v[16:17], off
	global_load_ushort v19, v[12:13], off
	v_add_co_u32_e32 v12, vcc, 2, v12
	v_addc_co_u32_e32 v13, vcc, 0, v13, vcc
	v_add_co_u32_e32 v16, vcc, 2, v16
	v_addc_co_u32_e32 v17, vcc, 0, v17, vcc
	s_add_u32 s44, s44, 1
	s_addc_u32 s45, s45, 0
	s_andn2_b64 s[40:41], s[40:41], exec
	s_waitcnt vmcnt(0)
	v_cmp_neq_f16_e32 vcc, v18, v19
	s_and_b64 s[46:47], vcc, exec
	s_or_b64 s[40:41], s[40:41], s[46:47]
.LBB1305_144:                           ;   in Loop: Header=BB1305_145 Depth=1
	s_and_b64 s[46:47], exec, s[40:41]
	s_or_b64 s[8:9], s[46:47], s[8:9]
	v_pk_mov_b32 v[18:19], s[44:45], s[44:45] op_sel:[0,1]
	s_andn2_b64 exec, exec, s[8:9]
	s_cbranch_execz .LBB1305_147
.LBB1305_145:                           ; =>This Inner Loop Header: Depth=1
	s_or_b64 s[40:41], s[40:41], exec
	s_cmp_eq_u64 s[6:7], s[44:45]
	s_cbranch_scc0 .LBB1305_143
; %bb.146:                              ;   in Loop: Header=BB1305_145 Depth=1
                                        ; implicit-def: $vgpr12_vgpr13
                                        ; implicit-def: $vgpr16_vgpr17
	s_mov_b64 s[44:45], s[26:27]
	s_branch .LBB1305_144
.LBB1305_147:
	s_or_b64 exec, exec, s[8:9]
	v_cmp_gt_i64_e32 vcc, s[26:27], v[18:19]
	s_orn2_b64 s[40:41], vcc, exec
.LBB1305_148:
	s_or_b64 exec, exec, s[42:43]
.LBB1305_149:
	v_mul_lo_u32 v16, v9, s26
	v_mul_lo_u32 v17, v8, s27
	v_mad_u64_u32 v[12:13], s[6:7], v8, s26, 0
	v_add3_u32 v13, v13, v17, v16
	s_and_b64 vcc, exec, s[4:5]
	v_lshlrev_b64 v[12:13], 1, v[12:13]
	s_cbranch_vccnz .LBB1305_158
; %bb.150:
	v_mov_b32_e32 v17, s17
	v_add_co_u32_e32 v16, vcc, s16, v12
	v_addc_co_u32_e64 v17, s[6:7], v17, v13, vcc
	v_mov_b32_e32 v19, s17
	v_add_co_u32_e64 v18, s[6:7], s16, v14
	v_addc_co_u32_e64 v19, s[8:9], v19, v15, s[6:7]
	global_load_ushort v14, v[16:17], off
	global_load_ushort v20, v[18:19], off
	s_mov_b64 s[38:39], -1
	s_waitcnt vmcnt(0)
	v_cmp_eq_f16_e64 s[8:9], v14, v20
	s_and_saveexec_b64 s[42:43], s[8:9]
	s_cbranch_execz .LBB1305_157
; %bb.151:
	v_mov_b32_e32 v14, s17
	v_addc_co_u32_e64 v15, s[6:7], v15, v14, s[6:7]
	v_add_co_u32_e64 v14, s[6:7], 2, v18
	v_mov_b32_e32 v17, s17
	v_addc_co_u32_e64 v15, s[6:7], 0, v15, s[6:7]
	v_addc_co_u32_e32 v17, vcc, v13, v17, vcc
	v_add_co_u32_e32 v16, vcc, 2, v16
	s_add_u32 s6, s26, -1
	v_addc_co_u32_e32 v17, vcc, 0, v17, vcc
	s_addc_u32 s7, s27, -1
	s_mov_b64 s[8:9], 0
	s_mov_b64 s[44:45], 0
                                        ; implicit-def: $sgpr38_sgpr39
	s_branch .LBB1305_154
.LBB1305_152:                           ;   in Loop: Header=BB1305_154 Depth=1
	global_load_ushort v18, v[16:17], off
	global_load_ushort v19, v[14:15], off
	v_add_co_u32_e32 v14, vcc, 2, v14
	v_addc_co_u32_e32 v15, vcc, 0, v15, vcc
	v_add_co_u32_e32 v16, vcc, 2, v16
	v_addc_co_u32_e32 v17, vcc, 0, v17, vcc
	s_add_u32 s44, s44, 1
	s_addc_u32 s45, s45, 0
	s_andn2_b64 s[38:39], s[38:39], exec
	s_waitcnt vmcnt(0)
	v_cmp_neq_f16_e32 vcc, v18, v19
	s_and_b64 s[46:47], vcc, exec
	s_or_b64 s[38:39], s[38:39], s[46:47]
.LBB1305_153:                           ;   in Loop: Header=BB1305_154 Depth=1
	s_and_b64 s[46:47], exec, s[38:39]
	s_or_b64 s[8:9], s[46:47], s[8:9]
	v_pk_mov_b32 v[18:19], s[44:45], s[44:45] op_sel:[0,1]
	s_andn2_b64 exec, exec, s[8:9]
	s_cbranch_execz .LBB1305_156
.LBB1305_154:                           ; =>This Inner Loop Header: Depth=1
	s_or_b64 s[38:39], s[38:39], exec
	s_cmp_eq_u64 s[6:7], s[44:45]
	s_cbranch_scc0 .LBB1305_152
; %bb.155:                              ;   in Loop: Header=BB1305_154 Depth=1
                                        ; implicit-def: $vgpr14_vgpr15
                                        ; implicit-def: $vgpr16_vgpr17
	s_mov_b64 s[44:45], s[26:27]
	s_branch .LBB1305_153
.LBB1305_156:
	s_or_b64 exec, exec, s[8:9]
	v_cmp_gt_i64_e32 vcc, s[26:27], v[18:19]
	s_orn2_b64 s[38:39], vcc, exec
.LBB1305_157:
	s_or_b64 exec, exec, s[42:43]
.LBB1305_158:
	v_mul_lo_u32 v16, v7, s26
	v_mul_lo_u32 v17, v6, s27
	v_mad_u64_u32 v[14:15], s[6:7], v6, s26, 0
	v_add3_u32 v15, v15, v17, v16
	s_and_b64 vcc, exec, s[4:5]
	s_mov_b64 s[44:45], 0
	s_cbranch_vccnz .LBB1305_167
; %bb.159:
	v_lshlrev_b64 v[16:17], 1, v[14:15]
	v_mov_b32_e32 v19, s17
	v_add_co_u32_e32 v18, vcc, s16, v16
	v_addc_co_u32_e64 v19, s[6:7], v19, v17, vcc
	v_mov_b32_e32 v16, s17
	v_add_co_u32_e64 v20, s[6:7], s16, v12
	v_addc_co_u32_e64 v21, s[8:9], v16, v13, s[6:7]
	global_load_ushort v12, v[18:19], off
	global_load_ushort v16, v[20:21], off
	s_mov_b64 s[44:45], -1
	s_waitcnt vmcnt(0)
	v_cmp_eq_f16_e64 s[8:9], v12, v16
	s_and_saveexec_b64 s[42:43], s[8:9]
	s_cbranch_execz .LBB1305_166
; %bb.160:
	v_mov_b32_e32 v12, s17
	v_addc_co_u32_e64 v13, s[6:7], v13, v12, s[6:7]
	v_add_co_u32_e64 v12, s[6:7], 2, v20
	v_mov_b32_e32 v16, s17
	v_addc_co_u32_e64 v13, s[6:7], 0, v13, s[6:7]
	v_addc_co_u32_e32 v17, vcc, v17, v16, vcc
	v_add_co_u32_e32 v16, vcc, 2, v18
	s_add_u32 s6, s26, -1
	v_addc_co_u32_e32 v17, vcc, 0, v17, vcc
	s_addc_u32 s7, s27, -1
	s_mov_b64 s[8:9], 0
	s_mov_b64 s[46:47], 0
                                        ; implicit-def: $sgpr44_sgpr45
	s_branch .LBB1305_163
.LBB1305_161:                           ;   in Loop: Header=BB1305_163 Depth=1
	global_load_ushort v18, v[16:17], off
	global_load_ushort v19, v[12:13], off
	v_add_co_u32_e32 v12, vcc, 2, v12
	v_addc_co_u32_e32 v13, vcc, 0, v13, vcc
	v_add_co_u32_e32 v16, vcc, 2, v16
	v_addc_co_u32_e32 v17, vcc, 0, v17, vcc
	s_add_u32 s46, s46, 1
	s_addc_u32 s47, s47, 0
	s_andn2_b64 s[44:45], s[44:45], exec
	s_waitcnt vmcnt(0)
	v_cmp_neq_f16_e32 vcc, v18, v19
	s_and_b64 s[50:51], vcc, exec
	s_or_b64 s[44:45], s[44:45], s[50:51]
.LBB1305_162:                           ;   in Loop: Header=BB1305_163 Depth=1
	s_and_b64 s[50:51], exec, s[44:45]
	s_or_b64 s[8:9], s[50:51], s[8:9]
	v_pk_mov_b32 v[18:19], s[46:47], s[46:47] op_sel:[0,1]
	s_andn2_b64 exec, exec, s[8:9]
	s_cbranch_execz .LBB1305_165
.LBB1305_163:                           ; =>This Inner Loop Header: Depth=1
	s_or_b64 s[44:45], s[44:45], exec
	s_cmp_eq_u64 s[6:7], s[46:47]
	s_cbranch_scc0 .LBB1305_161
; %bb.164:                              ;   in Loop: Header=BB1305_163 Depth=1
                                        ; implicit-def: $vgpr12_vgpr13
                                        ; implicit-def: $vgpr16_vgpr17
	s_mov_b64 s[46:47], s[26:27]
	s_branch .LBB1305_162
.LBB1305_165:
	s_or_b64 exec, exec, s[8:9]
	v_cmp_gt_i64_e32 vcc, s[26:27], v[18:19]
	s_orn2_b64 s[44:45], vcc, exec
.LBB1305_166:
	s_or_b64 exec, exec, s[42:43]
.LBB1305_167:
	v_cndmask_b32_e64 v13, 0, 1, s[40:41]
	v_cndmask_b32_e64 v16, 0, 1, s[44:45]
	;; [unrolled: 1-line block ×3, first 2 shown]
	v_lshlrev_b16_e32 v16, 8, v16
	v_lshlrev_b16_e32 v13, 8, v13
	v_or_b32_e32 v16, 1, v16
	v_or_b32_sdwa v12, v12, v13 dst_sel:WORD_1 dst_unused:UNUSED_PAD src0_sel:DWORD src1_sel:DWORD
	v_or_b32_sdwa v12, v16, v12 dst_sel:DWORD dst_unused:UNUSED_PAD src0_sel:WORD_0 src1_sel:DWORD
	v_cndmask_b32_e64 v13, 0, 1, s[36:37]
	s_waitcnt lgkmcnt(0)
	s_barrier
	s_waitcnt lgkmcnt(0)
                                        ; implicit-def: $sgpr36_sgpr37
                                        ; implicit-def: $vgpr16
	s_and_saveexec_b64 s[6:7], s[2:3]
	s_xor_b64 s[8:9], exec, s[6:7]
	s_cbranch_execz .LBB1305_178
; %bb.168:
	s_mov_b32 s42, 0x3020104
	s_and_b64 vcc, exec, s[4:5]
	s_mov_b64 s[38:39], 0
	s_cbranch_vccnz .LBB1305_177
; %bb.169:
	v_add_u32_e32 v16, -8, v26
	ds_read_b64 v[16:17], v16
	v_mov_b32_e32 v19, s17
	v_lshlrev_b64 v[14:15], 1, v[14:15]
	s_mov_b64 s[38:39], -1
	s_waitcnt lgkmcnt(0)
	v_mul_lo_u32 v18, v17, s26
	v_mul_lo_u32 v20, v16, s27
	v_mad_u64_u32 v[16:17], s[4:5], v16, s26, 0
	v_add3_u32 v17, v17, v20, v18
	v_lshlrev_b64 v[16:17], 1, v[16:17]
	v_add_co_u32_e32 v18, vcc, s16, v16
	v_addc_co_u32_e64 v19, s[4:5], v19, v17, vcc
	v_mov_b32_e32 v16, s17
	v_add_co_u32_e64 v20, s[4:5], s16, v14
	v_addc_co_u32_e64 v21, s[6:7], v16, v15, s[4:5]
	global_load_ushort v14, v[18:19], off
	global_load_ushort v16, v[20:21], off
	s_waitcnt vmcnt(0)
	v_cmp_eq_f16_e64 s[6:7], v14, v16
	s_and_saveexec_b64 s[36:37], s[6:7]
	s_cbranch_execz .LBB1305_176
; %bb.170:
	v_mov_b32_e32 v14, s17
	v_addc_co_u32_e64 v15, s[4:5], v15, v14, s[4:5]
	v_add_co_u32_e64 v14, s[4:5], 2, v20
	v_mov_b32_e32 v16, s17
	v_addc_co_u32_e64 v15, s[4:5], 0, v15, s[4:5]
	v_addc_co_u32_e32 v17, vcc, v17, v16, vcc
	v_add_co_u32_e32 v16, vcc, 2, v18
	s_add_u32 s4, s26, -1
	v_addc_co_u32_e32 v17, vcc, 0, v17, vcc
	s_addc_u32 s5, s27, -1
	s_mov_b64 s[6:7], 0
	s_mov_b64 s[40:41], 0
                                        ; implicit-def: $sgpr38_sgpr39
	s_branch .LBB1305_173
.LBB1305_171:                           ;   in Loop: Header=BB1305_173 Depth=1
	global_load_ushort v18, v[16:17], off
	global_load_ushort v19, v[14:15], off
	v_add_co_u32_e32 v14, vcc, 2, v14
	v_addc_co_u32_e32 v15, vcc, 0, v15, vcc
	v_add_co_u32_e32 v16, vcc, 2, v16
	v_addc_co_u32_e32 v17, vcc, 0, v17, vcc
	s_add_u32 s40, s40, 1
	s_addc_u32 s41, s41, 0
	s_andn2_b64 s[38:39], s[38:39], exec
	s_waitcnt vmcnt(0)
	v_cmp_neq_f16_e32 vcc, v18, v19
	s_and_b64 s[44:45], vcc, exec
	s_or_b64 s[38:39], s[38:39], s[44:45]
.LBB1305_172:                           ;   in Loop: Header=BB1305_173 Depth=1
	s_and_b64 s[44:45], exec, s[38:39]
	s_or_b64 s[6:7], s[44:45], s[6:7]
	v_pk_mov_b32 v[18:19], s[40:41], s[40:41] op_sel:[0,1]
	s_andn2_b64 exec, exec, s[6:7]
	s_cbranch_execz .LBB1305_175
.LBB1305_173:                           ; =>This Inner Loop Header: Depth=1
	s_or_b64 s[38:39], s[38:39], exec
	s_cmp_eq_u64 s[4:5], s[40:41]
	s_cbranch_scc0 .LBB1305_171
; %bb.174:                              ;   in Loop: Header=BB1305_173 Depth=1
                                        ; implicit-def: $vgpr14_vgpr15
                                        ; implicit-def: $vgpr16_vgpr17
	s_mov_b64 s[40:41], s[26:27]
	s_branch .LBB1305_172
.LBB1305_175:
	s_or_b64 exec, exec, s[6:7]
	v_cmp_gt_i64_e32 vcc, s[26:27], v[18:19]
	s_orn2_b64 s[38:39], vcc, exec
.LBB1305_176:
	s_or_b64 exec, exec, s[36:37]
.LBB1305_177:
	v_perm_b32 v16, v12, v12, s42
	s_and_b64 s[36:37], s[38:39], exec
	s_or_b64 s[14:15], s[14:15], exec
.LBB1305_178:
	s_or_b64 exec, exec, s[8:9]
	s_branch .LBB1305_237
.LBB1305_179:
	v_cmp_gt_u32_e32 vcc, s48, v23
	s_mov_b64 s[36:37], 0
	s_mov_b64 s[8:9], 0
	s_and_saveexec_b64 s[38:39], vcc
	s_cbranch_execz .LBB1305_190
; %bb.180:
	s_andn2_b64 vcc, exec, s[10:11]
	s_mov_b64 s[40:41], 0
	s_cbranch_vccnz .LBB1305_189
; %bb.181:
	s_waitcnt vmcnt(0) lgkmcnt(1)
	v_mul_lo_u32 v14, v5, s26
	v_mul_lo_u32 v15, v4, s27
	v_mad_u64_u32 v[12:13], s[4:5], v4, s26, 0
	v_add3_u32 v13, v13, v15, v14
	v_mul_lo_u32 v14, v11, s26
	v_mul_lo_u32 v15, v10, s27
	v_mad_u64_u32 v[18:19], s[4:5], v10, s26, 0
	v_add3_u32 v19, v19, v15, v14
	v_lshlrev_b64 v[14:15], 1, v[12:13]
	v_mov_b32_e32 v12, s17
	v_add_co_u32_e32 v16, vcc, s16, v14
	v_addc_co_u32_e64 v17, s[4:5], v12, v15, vcc
	v_lshlrev_b64 v[12:13], 1, v[18:19]
	v_mov_b32_e32 v14, s17
	v_add_co_u32_e64 v18, s[4:5], s16, v12
	v_addc_co_u32_e64 v19, s[6:7], v14, v13, s[4:5]
	global_load_ushort v12, v[16:17], off
	global_load_ushort v14, v[18:19], off
	s_mov_b64 s[40:41], -1
	s_waitcnt vmcnt(0)
	v_cmp_eq_f16_e64 s[6:7], v12, v14
	s_and_saveexec_b64 s[8:9], s[6:7]
	s_cbranch_execz .LBB1305_188
; %bb.182:
	v_mov_b32_e32 v12, s17
	v_addc_co_u32_e64 v13, s[4:5], v13, v12, s[4:5]
	v_add_co_u32_e64 v12, s[4:5], 2, v18
	v_mov_b32_e32 v14, s17
	v_addc_co_u32_e64 v13, s[4:5], 0, v13, s[4:5]
	v_addc_co_u32_e32 v15, vcc, v15, v14, vcc
	v_add_co_u32_e32 v14, vcc, 2, v16
	s_add_u32 s4, s26, -1
	v_addc_co_u32_e32 v15, vcc, 0, v15, vcc
	s_addc_u32 s5, s27, -1
	s_mov_b64 s[6:7], 0
	s_mov_b64 s[42:43], 0
                                        ; implicit-def: $sgpr40_sgpr41
	s_branch .LBB1305_185
.LBB1305_183:                           ;   in Loop: Header=BB1305_185 Depth=1
	global_load_ushort v16, v[14:15], off
	global_load_ushort v17, v[12:13], off
	v_add_co_u32_e32 v12, vcc, 2, v12
	v_addc_co_u32_e32 v13, vcc, 0, v13, vcc
	v_add_co_u32_e32 v14, vcc, 2, v14
	v_addc_co_u32_e32 v15, vcc, 0, v15, vcc
	s_add_u32 s42, s42, 1
	s_addc_u32 s43, s43, 0
	s_andn2_b64 s[40:41], s[40:41], exec
	s_waitcnt vmcnt(0)
	v_cmp_neq_f16_e32 vcc, v16, v17
	s_and_b64 s[44:45], vcc, exec
	s_or_b64 s[40:41], s[40:41], s[44:45]
.LBB1305_184:                           ;   in Loop: Header=BB1305_185 Depth=1
	s_and_b64 s[44:45], exec, s[40:41]
	s_or_b64 s[6:7], s[44:45], s[6:7]
	v_pk_mov_b32 v[16:17], s[42:43], s[42:43] op_sel:[0,1]
	s_andn2_b64 exec, exec, s[6:7]
	s_cbranch_execz .LBB1305_187
.LBB1305_185:                           ; =>This Inner Loop Header: Depth=1
	s_or_b64 s[40:41], s[40:41], exec
	s_cmp_eq_u64 s[4:5], s[42:43]
	s_cbranch_scc0 .LBB1305_183
; %bb.186:                              ;   in Loop: Header=BB1305_185 Depth=1
                                        ; implicit-def: $vgpr12_vgpr13
                                        ; implicit-def: $vgpr14_vgpr15
	s_mov_b64 s[42:43], s[26:27]
	s_branch .LBB1305_184
.LBB1305_187:
	s_or_b64 exec, exec, s[6:7]
	v_cmp_gt_i64_e32 vcc, s[26:27], v[16:17]
	s_orn2_b64 s[40:41], vcc, exec
.LBB1305_188:
	s_or_b64 exec, exec, s[8:9]
.LBB1305_189:
	s_and_b64 s[8:9], s[40:41], exec
.LBB1305_190:
	s_or_b64 exec, exec, s[38:39]
	v_cmp_gt_u32_e32 vcc, s48, v25
	s_and_saveexec_b64 s[38:39], vcc
	s_cbranch_execz .LBB1305_201
; %bb.191:
	s_andn2_b64 vcc, exec, s[10:11]
	s_mov_b64 s[40:41], 0
	s_cbranch_vccnz .LBB1305_200
; %bb.192:
	s_waitcnt vmcnt(0) lgkmcnt(1)
	v_mul_lo_u32 v14, v3, s26
	v_mul_lo_u32 v15, v2, s27
	v_mad_u64_u32 v[12:13], s[4:5], v2, s26, 0
	v_add3_u32 v13, v13, v15, v14
	v_mul_lo_u32 v14, v5, s26
	v_mul_lo_u32 v15, v4, s27
	v_mad_u64_u32 v[18:19], s[4:5], v4, s26, 0
	v_add3_u32 v19, v19, v15, v14
	v_lshlrev_b64 v[14:15], 1, v[12:13]
	v_mov_b32_e32 v12, s17
	v_add_co_u32_e32 v16, vcc, s16, v14
	v_addc_co_u32_e64 v17, s[4:5], v12, v15, vcc
	v_lshlrev_b64 v[12:13], 1, v[18:19]
	v_mov_b32_e32 v14, s17
	v_add_co_u32_e64 v18, s[4:5], s16, v12
	v_addc_co_u32_e64 v19, s[6:7], v14, v13, s[4:5]
	global_load_ushort v12, v[16:17], off
	global_load_ushort v14, v[18:19], off
	s_mov_b64 s[40:41], -1
	s_waitcnt vmcnt(0)
	v_cmp_eq_f16_e64 s[6:7], v12, v14
	s_and_saveexec_b64 s[36:37], s[6:7]
	s_cbranch_execz .LBB1305_199
; %bb.193:
	v_mov_b32_e32 v12, s17
	v_addc_co_u32_e64 v13, s[4:5], v13, v12, s[4:5]
	v_add_co_u32_e64 v12, s[4:5], 2, v18
	v_mov_b32_e32 v14, s17
	v_addc_co_u32_e64 v13, s[4:5], 0, v13, s[4:5]
	v_addc_co_u32_e32 v15, vcc, v15, v14, vcc
	v_add_co_u32_e32 v14, vcc, 2, v16
	s_add_u32 s4, s26, -1
	v_addc_co_u32_e32 v15, vcc, 0, v15, vcc
	s_addc_u32 s5, s27, -1
	s_mov_b64 s[6:7], 0
	s_mov_b64 s[42:43], 0
                                        ; implicit-def: $sgpr40_sgpr41
	s_branch .LBB1305_196
.LBB1305_194:                           ;   in Loop: Header=BB1305_196 Depth=1
	global_load_ushort v16, v[14:15], off
	global_load_ushort v17, v[12:13], off
	v_add_co_u32_e32 v12, vcc, 2, v12
	v_addc_co_u32_e32 v13, vcc, 0, v13, vcc
	v_add_co_u32_e32 v14, vcc, 2, v14
	v_addc_co_u32_e32 v15, vcc, 0, v15, vcc
	s_add_u32 s42, s42, 1
	s_addc_u32 s43, s43, 0
	s_andn2_b64 s[40:41], s[40:41], exec
	s_waitcnt vmcnt(0)
	v_cmp_neq_f16_e32 vcc, v16, v17
	s_and_b64 s[44:45], vcc, exec
	s_or_b64 s[40:41], s[40:41], s[44:45]
.LBB1305_195:                           ;   in Loop: Header=BB1305_196 Depth=1
	s_and_b64 s[44:45], exec, s[40:41]
	s_or_b64 s[6:7], s[44:45], s[6:7]
	v_pk_mov_b32 v[16:17], s[42:43], s[42:43] op_sel:[0,1]
	s_andn2_b64 exec, exec, s[6:7]
	s_cbranch_execz .LBB1305_198
.LBB1305_196:                           ; =>This Inner Loop Header: Depth=1
	s_or_b64 s[40:41], s[40:41], exec
	s_cmp_eq_u64 s[4:5], s[42:43]
	s_cbranch_scc0 .LBB1305_194
; %bb.197:                              ;   in Loop: Header=BB1305_196 Depth=1
                                        ; implicit-def: $vgpr12_vgpr13
                                        ; implicit-def: $vgpr14_vgpr15
	s_mov_b64 s[42:43], s[26:27]
	s_branch .LBB1305_195
.LBB1305_198:
	s_or_b64 exec, exec, s[6:7]
	v_cmp_gt_i64_e32 vcc, s[26:27], v[16:17]
	s_orn2_b64 s[40:41], vcc, exec
.LBB1305_199:
	s_or_b64 exec, exec, s[36:37]
.LBB1305_200:
	s_and_b64 s[36:37], s[40:41], exec
.LBB1305_201:
	s_or_b64 exec, exec, s[38:39]
	v_cmp_gt_u32_e32 vcc, s48, v22
	s_mov_b64 s[38:39], 0
	s_mov_b64 s[40:41], 0
	s_and_saveexec_b64 s[42:43], vcc
	s_cbranch_execz .LBB1305_212
; %bb.202:
	s_andn2_b64 vcc, exec, s[10:11]
	s_mov_b64 s[44:45], 0
	s_cbranch_vccnz .LBB1305_211
; %bb.203:
	s_waitcnt vmcnt(0) lgkmcnt(1)
	v_mul_lo_u32 v14, v9, s26
	v_mul_lo_u32 v15, v8, s27
	v_mad_u64_u32 v[12:13], s[4:5], v8, s26, 0
	v_add3_u32 v13, v13, v15, v14
	v_mul_lo_u32 v14, v3, s26
	v_mul_lo_u32 v15, v2, s27
	v_mad_u64_u32 v[18:19], s[4:5], v2, s26, 0
	v_add3_u32 v19, v19, v15, v14
	v_lshlrev_b64 v[14:15], 1, v[12:13]
	v_mov_b32_e32 v12, s17
	v_add_co_u32_e32 v16, vcc, s16, v14
	v_addc_co_u32_e64 v17, s[4:5], v12, v15, vcc
	v_lshlrev_b64 v[12:13], 1, v[18:19]
	v_mov_b32_e32 v14, s17
	v_add_co_u32_e64 v18, s[4:5], s16, v12
	v_addc_co_u32_e64 v19, s[6:7], v14, v13, s[4:5]
	global_load_ushort v12, v[16:17], off
	global_load_ushort v14, v[18:19], off
	s_mov_b64 s[44:45], -1
	s_waitcnt vmcnt(0)
	v_cmp_eq_f16_e64 s[6:7], v12, v14
	s_and_saveexec_b64 s[40:41], s[6:7]
	s_cbranch_execz .LBB1305_210
; %bb.204:
	v_mov_b32_e32 v12, s17
	v_addc_co_u32_e64 v13, s[4:5], v13, v12, s[4:5]
	v_add_co_u32_e64 v12, s[4:5], 2, v18
	v_mov_b32_e32 v14, s17
	v_addc_co_u32_e64 v13, s[4:5], 0, v13, s[4:5]
	v_addc_co_u32_e32 v15, vcc, v15, v14, vcc
	v_add_co_u32_e32 v14, vcc, 2, v16
	s_add_u32 s4, s26, -1
	v_addc_co_u32_e32 v15, vcc, 0, v15, vcc
	s_addc_u32 s5, s27, -1
	s_mov_b64 s[6:7], 0
	s_mov_b64 s[46:47], 0
                                        ; implicit-def: $sgpr44_sgpr45
	s_branch .LBB1305_207
.LBB1305_205:                           ;   in Loop: Header=BB1305_207 Depth=1
	global_load_ushort v16, v[14:15], off
	global_load_ushort v17, v[12:13], off
	v_add_co_u32_e32 v12, vcc, 2, v12
	v_addc_co_u32_e32 v13, vcc, 0, v13, vcc
	v_add_co_u32_e32 v14, vcc, 2, v14
	v_addc_co_u32_e32 v15, vcc, 0, v15, vcc
	s_add_u32 s46, s46, 1
	s_addc_u32 s47, s47, 0
	s_andn2_b64 s[44:45], s[44:45], exec
	s_waitcnt vmcnt(0)
	v_cmp_neq_f16_e32 vcc, v16, v17
	s_and_b64 s[50:51], vcc, exec
	s_or_b64 s[44:45], s[44:45], s[50:51]
.LBB1305_206:                           ;   in Loop: Header=BB1305_207 Depth=1
	s_and_b64 s[50:51], exec, s[44:45]
	s_or_b64 s[6:7], s[50:51], s[6:7]
	v_pk_mov_b32 v[16:17], s[46:47], s[46:47] op_sel:[0,1]
	s_andn2_b64 exec, exec, s[6:7]
	s_cbranch_execz .LBB1305_209
.LBB1305_207:                           ; =>This Inner Loop Header: Depth=1
	s_or_b64 s[44:45], s[44:45], exec
	s_cmp_eq_u64 s[4:5], s[46:47]
	s_cbranch_scc0 .LBB1305_205
; %bb.208:                              ;   in Loop: Header=BB1305_207 Depth=1
                                        ; implicit-def: $vgpr12_vgpr13
                                        ; implicit-def: $vgpr14_vgpr15
	s_mov_b64 s[46:47], s[26:27]
	s_branch .LBB1305_206
.LBB1305_209:
	s_or_b64 exec, exec, s[6:7]
	v_cmp_gt_i64_e32 vcc, s[26:27], v[16:17]
	s_orn2_b64 s[44:45], vcc, exec
.LBB1305_210:
	s_or_b64 exec, exec, s[40:41]
.LBB1305_211:
	s_and_b64 s[40:41], s[44:45], exec
.LBB1305_212:
	s_or_b64 exec, exec, s[42:43]
	v_cmp_gt_u32_e32 vcc, s48, v24
	s_and_saveexec_b64 s[42:43], vcc
	s_cbranch_execz .LBB1305_223
; %bb.213:
	s_andn2_b64 vcc, exec, s[10:11]
	s_mov_b64 s[44:45], 0
	s_cbranch_vccnz .LBB1305_222
; %bb.214:
	s_waitcnt vmcnt(0) lgkmcnt(1)
	v_mul_lo_u32 v14, v7, s26
	v_mul_lo_u32 v15, v6, s27
	v_mad_u64_u32 v[12:13], s[4:5], v6, s26, 0
	v_add3_u32 v13, v13, v15, v14
	v_mul_lo_u32 v14, v9, s26
	v_mul_lo_u32 v15, v8, s27
	v_mad_u64_u32 v[18:19], s[4:5], v8, s26, 0
	v_add3_u32 v19, v19, v15, v14
	v_lshlrev_b64 v[14:15], 1, v[12:13]
	v_mov_b32_e32 v12, s17
	v_add_co_u32_e32 v16, vcc, s16, v14
	v_addc_co_u32_e64 v17, s[4:5], v12, v15, vcc
	v_lshlrev_b64 v[12:13], 1, v[18:19]
	v_mov_b32_e32 v14, s17
	v_add_co_u32_e64 v18, s[4:5], s16, v12
	v_addc_co_u32_e64 v19, s[6:7], v14, v13, s[4:5]
	global_load_ushort v12, v[16:17], off
	global_load_ushort v14, v[18:19], off
	s_mov_b64 s[44:45], -1
	s_waitcnt vmcnt(0)
	v_cmp_eq_f16_e64 s[6:7], v12, v14
	s_and_saveexec_b64 s[38:39], s[6:7]
	s_cbranch_execz .LBB1305_221
; %bb.215:
	v_mov_b32_e32 v12, s17
	v_addc_co_u32_e64 v13, s[4:5], v13, v12, s[4:5]
	v_add_co_u32_e64 v12, s[4:5], 2, v18
	v_mov_b32_e32 v14, s17
	v_addc_co_u32_e64 v13, s[4:5], 0, v13, s[4:5]
	v_addc_co_u32_e32 v15, vcc, v15, v14, vcc
	v_add_co_u32_e32 v14, vcc, 2, v16
	s_add_u32 s4, s26, -1
	v_addc_co_u32_e32 v15, vcc, 0, v15, vcc
	s_addc_u32 s5, s27, -1
	s_mov_b64 s[6:7], 0
	s_mov_b64 s[46:47], 0
                                        ; implicit-def: $sgpr44_sgpr45
	s_branch .LBB1305_218
.LBB1305_216:                           ;   in Loop: Header=BB1305_218 Depth=1
	global_load_ushort v16, v[14:15], off
	global_load_ushort v17, v[12:13], off
	v_add_co_u32_e32 v12, vcc, 2, v12
	v_addc_co_u32_e32 v13, vcc, 0, v13, vcc
	v_add_co_u32_e32 v14, vcc, 2, v14
	v_addc_co_u32_e32 v15, vcc, 0, v15, vcc
	s_add_u32 s46, s46, 1
	s_addc_u32 s47, s47, 0
	s_andn2_b64 s[44:45], s[44:45], exec
	s_waitcnt vmcnt(0)
	v_cmp_neq_f16_e32 vcc, v16, v17
	s_and_b64 s[50:51], vcc, exec
	s_or_b64 s[44:45], s[44:45], s[50:51]
.LBB1305_217:                           ;   in Loop: Header=BB1305_218 Depth=1
	s_and_b64 s[50:51], exec, s[44:45]
	s_or_b64 s[6:7], s[50:51], s[6:7]
	v_pk_mov_b32 v[16:17], s[46:47], s[46:47] op_sel:[0,1]
	s_andn2_b64 exec, exec, s[6:7]
	s_cbranch_execz .LBB1305_220
.LBB1305_218:                           ; =>This Inner Loop Header: Depth=1
	s_or_b64 s[44:45], s[44:45], exec
	s_cmp_eq_u64 s[4:5], s[46:47]
	s_cbranch_scc0 .LBB1305_216
; %bb.219:                              ;   in Loop: Header=BB1305_218 Depth=1
                                        ; implicit-def: $vgpr12_vgpr13
                                        ; implicit-def: $vgpr14_vgpr15
	s_mov_b64 s[46:47], s[26:27]
	s_branch .LBB1305_217
.LBB1305_220:
	s_or_b64 exec, exec, s[6:7]
	v_cmp_gt_i64_e32 vcc, s[26:27], v[16:17]
	s_orn2_b64 s[44:45], vcc, exec
.LBB1305_221:
	s_or_b64 exec, exec, s[38:39]
.LBB1305_222:
	s_and_b64 s[38:39], s[44:45], exec
.LBB1305_223:
	s_or_b64 exec, exec, s[42:43]
	v_cndmask_b32_e64 v13, 0, 1, s[36:37]
	s_waitcnt vmcnt(0) lgkmcnt(1)
	v_cndmask_b32_e64 v14, 0, 1, s[38:39]
	v_cndmask_b32_e64 v12, 0, 1, s[40:41]
	v_lshlrev_b16_e32 v14, 8, v14
	v_lshlrev_b16_e32 v13, 8, v13
	v_or_b32_e32 v14, 1, v14
	v_or_b32_sdwa v12, v12, v13 dst_sel:WORD_1 dst_unused:UNUSED_PAD src0_sel:DWORD src1_sel:DWORD
	v_or_b32_sdwa v12, v14, v12 dst_sel:DWORD dst_unused:UNUSED_PAD src0_sel:WORD_0 src1_sel:DWORD
	v_cndmask_b32_e64 v13, 0, 1, s[8:9]
	s_waitcnt lgkmcnt(0)
	s_barrier
	s_waitcnt lgkmcnt(0)
                                        ; implicit-def: $sgpr36_sgpr37
                                        ; implicit-def: $vgpr16
	s_and_saveexec_b64 s[6:7], s[2:3]
	s_cbranch_execz .LBB1305_236
; %bb.224:
	v_cmp_gt_u32_e32 vcc, s48, v1
	s_mov_b32 s38, 0x3020104
	s_mov_b64 s[2:3], 0
	s_and_saveexec_b64 s[8:9], vcc
	s_cbranch_execz .LBB1305_235
; %bb.225:
	s_andn2_b64 vcc, exec, s[10:11]
	s_mov_b64 s[36:37], 0
	s_cbranch_vccnz .LBB1305_234
; %bb.226:
	v_add_u32_e32 v14, -8, v26
	ds_read_b64 v[14:15], v14
	v_mul_lo_u32 v16, v7, s26
	v_mad_u64_u32 v[20:21], s[2:3], v6, s26, 0
	s_mov_b64 s[36:37], -1
	s_waitcnt lgkmcnt(0)
	v_mul_lo_u32 v17, v15, s26
	v_mul_lo_u32 v18, v14, s27
	v_mad_u64_u32 v[14:15], s[2:3], v14, s26, 0
	v_add3_u32 v15, v15, v18, v17
	v_mul_lo_u32 v17, v6, s27
	v_add3_u32 v21, v21, v17, v16
	v_lshlrev_b64 v[16:17], 1, v[14:15]
	v_mov_b32_e32 v14, s17
	v_add_co_u32_e32 v18, vcc, s16, v16
	v_addc_co_u32_e64 v19, s[2:3], v14, v17, vcc
	v_lshlrev_b64 v[14:15], 1, v[20:21]
	v_mov_b32_e32 v16, s17
	v_add_co_u32_e64 v20, s[2:3], s16, v14
	v_addc_co_u32_e64 v21, s[4:5], v16, v15, s[2:3]
	global_load_ushort v14, v[18:19], off
	global_load_ushort v16, v[20:21], off
	s_waitcnt vmcnt(0)
	v_cmp_eq_f16_e64 s[4:5], v14, v16
	s_and_saveexec_b64 s[10:11], s[4:5]
	s_cbranch_execz .LBB1305_233
; %bb.227:
	v_mov_b32_e32 v14, s17
	v_addc_co_u32_e64 v15, s[2:3], v15, v14, s[2:3]
	v_add_co_u32_e64 v14, s[2:3], 2, v20
	v_mov_b32_e32 v16, s17
	v_addc_co_u32_e64 v15, s[2:3], 0, v15, s[2:3]
	v_addc_co_u32_e32 v17, vcc, v17, v16, vcc
	v_add_co_u32_e32 v16, vcc, 2, v18
	s_add_u32 s2, s26, -1
	v_addc_co_u32_e32 v17, vcc, 0, v17, vcc
	s_addc_u32 s3, s27, -1
	s_mov_b64 s[4:5], 0
	s_mov_b64 s[36:37], 0
                                        ; implicit-def: $sgpr16_sgpr17
	s_branch .LBB1305_230
.LBB1305_228:                           ;   in Loop: Header=BB1305_230 Depth=1
	global_load_ushort v18, v[16:17], off
	global_load_ushort v19, v[14:15], off
	v_add_co_u32_e32 v14, vcc, 2, v14
	v_addc_co_u32_e32 v15, vcc, 0, v15, vcc
	v_add_co_u32_e32 v16, vcc, 2, v16
	v_addc_co_u32_e32 v17, vcc, 0, v17, vcc
	s_add_u32 s36, s36, 1
	s_addc_u32 s37, s37, 0
	s_andn2_b64 s[16:17], s[16:17], exec
	s_waitcnt vmcnt(0)
	v_cmp_neq_f16_e32 vcc, v18, v19
	s_and_b64 s[40:41], vcc, exec
	s_or_b64 s[16:17], s[16:17], s[40:41]
.LBB1305_229:                           ;   in Loop: Header=BB1305_230 Depth=1
	s_and_b64 s[40:41], exec, s[16:17]
	s_or_b64 s[4:5], s[40:41], s[4:5]
	v_pk_mov_b32 v[18:19], s[36:37], s[36:37] op_sel:[0,1]
	s_andn2_b64 exec, exec, s[4:5]
	s_cbranch_execz .LBB1305_232
.LBB1305_230:                           ; =>This Inner Loop Header: Depth=1
	s_or_b64 s[16:17], s[16:17], exec
	s_cmp_eq_u64 s[2:3], s[36:37]
	s_cbranch_scc0 .LBB1305_228
; %bb.231:                              ;   in Loop: Header=BB1305_230 Depth=1
                                        ; implicit-def: $vgpr14_vgpr15
                                        ; implicit-def: $vgpr16_vgpr17
	s_mov_b64 s[36:37], s[26:27]
	s_branch .LBB1305_229
.LBB1305_232:
	s_or_b64 exec, exec, s[4:5]
	v_cmp_gt_i64_e32 vcc, s[26:27], v[18:19]
	s_orn2_b64 s[36:37], vcc, exec
.LBB1305_233:
	s_or_b64 exec, exec, s[10:11]
.LBB1305_234:
	s_and_b64 s[2:3], s[36:37], exec
.LBB1305_235:
	s_or_b64 exec, exec, s[8:9]
	v_perm_b32 v16, v12, v12, s38
	s_and_b64 s[36:37], s[2:3], exec
	s_or_b64 s[14:15], s[14:15], exec
.LBB1305_236:
	s_or_b64 exec, exec, s[6:7]
.LBB1305_237:
	s_and_saveexec_b64 s[2:3], s[14:15]
	s_cbranch_execz .LBB1305_239
; %bb.238:
	s_waitcnt vmcnt(0) lgkmcnt(0)
	v_lshrrev_b32_e32 v14, 24, v16
	s_movk_i32 s4, 0xff
	v_lshlrev_b16_e32 v14, 8, v14
	v_and_b32_sdwa v15, v16, s4 dst_sel:DWORD dst_unused:UNUSED_PAD src0_sel:WORD_1 src1_sel:DWORD
	v_or_b32_sdwa v14, v15, v14 dst_sel:WORD_1 dst_unused:UNUSED_PAD src0_sel:DWORD src1_sel:DWORD
	v_mov_b32_e32 v15, 8
	v_cndmask_b32_e64 v12, 0, 1, s[36:37]
	v_lshrrev_b32_sdwa v15, v15, v16 dst_sel:BYTE_1 dst_unused:UNUSED_PAD src0_sel:DWORD src1_sel:DWORD
	v_or_b32_e32 v12, v12, v15
	s_mov_b32 s4, 0xffff
	v_or_b32_sdwa v12, v12, v14 dst_sel:DWORD dst_unused:UNUSED_PAD src0_sel:WORD_0 src1_sel:DWORD
	v_and_b32_sdwa v13, s4, v13 dst_sel:DWORD dst_unused:UNUSED_PAD src0_sel:DWORD src1_sel:BYTE_0
.LBB1305_239:
	s_or_b64 exec, exec, s[2:3]
	s_andn2_b64 vcc, exec, s[12:13]
	s_cbranch_vccnz .LBB1305_241
; %bb.240:
	v_cmp_gt_u32_e32 vcc, s48, v1
	v_cndmask_b32_e32 v1, 0, v12, vcc
	v_and_b32_e32 v1, 0xffff00ff, v1
	v_cmp_gt_u32_e64 s[2:3], s48, v24
	v_cndmask_b32_e64 v1, v1, v12, s[2:3]
	s_waitcnt vmcnt(0) lgkmcnt(0)
	v_lshrrev_b32_e32 v14, 24, v1
	s_mov_b32 s4, 0x40c0100
	v_perm_b32 v1, v14, v1, s4
	v_cmp_gt_u32_e64 s[4:5], s48, v22
	v_cmp_gt_u32_e64 s[6:7], s48, v25
	v_cndmask_b32_e64 v1, v1, v12, s[4:5]
	s_or_b64 s[4:5], s[6:7], s[4:5]
	s_or_b64 s[2:3], s[4:5], s[2:3]
	s_or_b64 vcc, s[2:3], vcc
	v_and_b32_e32 v1, 0xffffff, v1
	v_cndmask_b32_e32 v14, 0, v13, vcc
	v_cndmask_b32_e64 v1, v1, v12, s[6:7]
	v_and_b32_e32 v14, 0xffffff00, v14
	v_cmp_gt_u32_e32 vcc, s48, v23
	v_cndmask_b32_e32 v1, v1, v12, vcc
	v_cndmask_b32_e32 v12, v14, v13, vcc
	s_mov_b32 s2, 0x3020104
	v_and_b32_e32 v13, 0xff, v12
	v_perm_b32 v12, v1, v1, s2
.LBB1305_241:
	v_and_b32_e32 v1, 0xff, v12
	v_bfe_u32 v25, v12, 8, 8
	v_bfe_u32 v27, v12, 16, 8
	s_waitcnt vmcnt(0) lgkmcnt(0)
	v_alignbit_b32 v14, v13, v12, 24
	v_and_b32_e32 v28, 0xff, v14
	v_and_b32_e32 v14, 0xff, v13
	v_add3_u32 v15, v25, v1, v27
	v_add3_u32 v31, v15, v28, v14
	v_mbcnt_lo_u32_b32 v14, -1, 0
	v_mbcnt_hi_u32_b32 v29, -1, v14
	v_and_b32_e32 v14, 15, v29
	v_cmp_eq_u32_e64 s[14:15], 0, v14
	v_cmp_lt_u32_e64 s[12:13], 1, v14
	v_cmp_lt_u32_e64 s[10:11], 3, v14
	v_cmp_lt_u32_e64 s[8:9], 7, v14
	v_and_b32_e32 v14, 16, v29
	v_cmp_eq_u32_e64 s[6:7], 0, v14
	v_or_b32_e32 v14, 63, v0
	v_cmp_lt_u32_e64 s[2:3], 31, v29
	v_lshrrev_b32_e32 v30, 6, v0
	v_cmp_eq_u32_e64 s[4:5], v14, v0
	s_and_b64 vcc, exec, s[34:35]
	s_barrier
	s_cbranch_vccz .LBB1305_272
; %bb.242:
	v_mov_b32_dpp v14, v31 row_shr:1 row_mask:0xf bank_mask:0xf
	v_cndmask_b32_e64 v14, v14, 0, s[14:15]
	v_add_u32_e32 v14, v14, v31
	s_nop 1
	v_mov_b32_dpp v15, v14 row_shr:2 row_mask:0xf bank_mask:0xf
	v_cndmask_b32_e64 v15, 0, v15, s[12:13]
	v_add_u32_e32 v14, v14, v15
	s_nop 1
	;; [unrolled: 4-line block ×4, first 2 shown]
	v_mov_b32_dpp v15, v14 row_bcast:15 row_mask:0xf bank_mask:0xf
	v_cndmask_b32_e64 v15, v15, 0, s[6:7]
	v_add_u32_e32 v14, v14, v15
	s_nop 1
	v_mov_b32_dpp v15, v14 row_bcast:31 row_mask:0xf bank_mask:0xf
	v_cndmask_b32_e64 v15, 0, v15, s[2:3]
	v_add_u32_e32 v14, v14, v15
	s_and_saveexec_b64 s[16:17], s[4:5]
	s_cbranch_execz .LBB1305_244
; %bb.243:
	v_lshlrev_b32_e32 v15, 2, v30
	ds_write_b32 v15, v14
.LBB1305_244:
	s_or_b64 exec, exec, s[16:17]
	v_cmp_gt_u32_e32 vcc, 4, v0
	s_waitcnt lgkmcnt(0)
	s_barrier
	s_and_saveexec_b64 s[16:17], vcc
	s_cbranch_execz .LBB1305_246
; %bb.245:
	v_lshlrev_b32_e32 v15, 2, v0
	ds_read_b32 v16, v15
	v_and_b32_e32 v17, 3, v29
	v_cmp_ne_u32_e32 vcc, 0, v17
	s_waitcnt lgkmcnt(0)
	v_mov_b32_dpp v18, v16 row_shr:1 row_mask:0xf bank_mask:0xf
	v_cndmask_b32_e32 v18, 0, v18, vcc
	v_add_u32_e32 v16, v18, v16
	v_cmp_lt_u32_e32 vcc, 1, v17
	s_nop 0
	v_mov_b32_dpp v18, v16 row_shr:2 row_mask:0xf bank_mask:0xf
	v_cndmask_b32_e32 v17, 0, v18, vcc
	v_add_u32_e32 v16, v16, v17
	ds_write_b32 v15, v16
.LBB1305_246:
	s_or_b64 exec, exec, s[16:17]
	v_cmp_gt_u32_e32 vcc, 64, v0
	v_cmp_lt_u32_e64 s[16:17], 63, v0
	s_waitcnt lgkmcnt(0)
	s_barrier
	s_waitcnt lgkmcnt(0)
                                        ; implicit-def: $vgpr24
	s_and_saveexec_b64 s[26:27], s[16:17]
	s_cbranch_execz .LBB1305_248
; %bb.247:
	v_lshl_add_u32 v15, v30, 2, -4
	ds_read_b32 v24, v15
	s_waitcnt lgkmcnt(0)
	v_add_u32_e32 v14, v24, v14
.LBB1305_248:
	s_or_b64 exec, exec, s[26:27]
	v_add_u32_e32 v15, -1, v29
	v_and_b32_e32 v16, 64, v29
	v_cmp_lt_i32_e64 s[16:17], v15, v16
	v_cndmask_b32_e64 v15, v15, v29, s[16:17]
	v_lshlrev_b32_e32 v15, 2, v15
	ds_bpermute_b32 v26, v15, v14
	v_cmp_eq_u32_e64 s[16:17], 0, v29
	s_and_saveexec_b64 s[26:27], vcc
	s_cbranch_execz .LBB1305_271
; %bb.249:
	v_mov_b32_e32 v23, 0
	ds_read_b32 v14, v23 offset:12
	s_and_saveexec_b64 s[34:35], s[16:17]
	s_cbranch_execz .LBB1305_251
; %bb.250:
	s_add_i32 s36, s33, 64
	s_mov_b32 s37, 0
	s_lshl_b64 s[36:37], s[36:37], 3
	s_add_u32 s36, s18, s36
	v_mov_b32_e32 v15, 1
	s_addc_u32 s37, s19, s37
	s_waitcnt lgkmcnt(0)
	global_store_dwordx2 v23, v[14:15], s[36:37]
.LBB1305_251:
	s_or_b64 exec, exec, s[34:35]
	v_xad_u32 v16, v29, -1, s33
	v_add_u32_e32 v22, 64, v16
	v_lshlrev_b64 v[18:19], 3, v[22:23]
	v_mov_b32_e32 v15, s19
	v_add_co_u32_e32 v18, vcc, s18, v18
	v_addc_co_u32_e32 v19, vcc, v15, v19, vcc
	global_load_dwordx2 v[20:21], v[18:19], off glc
	s_waitcnt vmcnt(0)
	v_cmp_eq_u16_sdwa s[36:37], v21, v23 src0_sel:BYTE_0 src1_sel:DWORD
	s_and_saveexec_b64 s[34:35], s[36:37]
	s_cbranch_execz .LBB1305_257
; %bb.252:
	s_mov_b32 s38, 1
	s_mov_b64 s[36:37], 0
	v_mov_b32_e32 v15, 0
.LBB1305_253:                           ; =>This Loop Header: Depth=1
                                        ;     Child Loop BB1305_254 Depth 2
	s_max_u32 s39, s38, 1
.LBB1305_254:                           ;   Parent Loop BB1305_253 Depth=1
                                        ; =>  This Inner Loop Header: Depth=2
	s_add_i32 s39, s39, -1
	s_cmp_eq_u32 s39, 0
	s_sleep 1
	s_cbranch_scc0 .LBB1305_254
; %bb.255:                              ;   in Loop: Header=BB1305_253 Depth=1
	global_load_dwordx2 v[20:21], v[18:19], off glc
	s_cmp_lt_u32 s38, 32
	s_cselect_b64 s[40:41], -1, 0
	s_cmp_lg_u64 s[40:41], 0
	s_addc_u32 s38, s38, 0
	s_waitcnt vmcnt(0)
	v_cmp_ne_u16_sdwa s[40:41], v21, v15 src0_sel:BYTE_0 src1_sel:DWORD
	s_or_b64 s[36:37], s[40:41], s[36:37]
	s_andn2_b64 exec, exec, s[36:37]
	s_cbranch_execnz .LBB1305_253
; %bb.256:
	s_or_b64 exec, exec, s[36:37]
.LBB1305_257:
	s_or_b64 exec, exec, s[34:35]
	v_and_b32_e32 v32, 63, v29
	v_mov_b32_e32 v15, 2
	v_cmp_ne_u32_e32 vcc, 63, v32
	v_cmp_eq_u16_sdwa s[34:35], v21, v15 src0_sel:BYTE_0 src1_sel:DWORD
	v_lshlrev_b64 v[18:19], v29, -1
	v_addc_co_u32_e32 v23, vcc, 0, v29, vcc
	v_and_b32_e32 v17, s35, v19
	v_lshlrev_b32_e32 v33, 2, v23
	v_or_b32_e32 v17, 0x80000000, v17
	ds_bpermute_b32 v23, v33, v20
	v_and_b32_e32 v22, s34, v18
	v_ffbl_b32_e32 v17, v17
	v_add_u32_e32 v17, 32, v17
	v_ffbl_b32_e32 v22, v22
	v_min_u32_e32 v17, v22, v17
	v_cmp_lt_u32_e32 vcc, v32, v17
	s_waitcnt lgkmcnt(0)
	v_cndmask_b32_e32 v22, 0, v23, vcc
	v_cmp_gt_u32_e32 vcc, 62, v32
	v_add_u32_e32 v20, v22, v20
	v_cndmask_b32_e64 v22, 0, 1, vcc
	v_lshlrev_b32_e32 v22, 1, v22
	v_add_lshl_u32 v34, v22, v29, 2
	ds_bpermute_b32 v22, v34, v20
	v_add_u32_e32 v35, 2, v32
	v_cmp_le_u32_e32 vcc, v35, v17
	v_add_u32_e32 v37, 4, v32
	v_add_u32_e32 v39, 8, v32
	s_waitcnt lgkmcnt(0)
	v_cndmask_b32_e32 v22, 0, v22, vcc
	v_cmp_gt_u32_e32 vcc, 60, v32
	v_add_u32_e32 v20, v20, v22
	v_cndmask_b32_e64 v22, 0, 1, vcc
	v_lshlrev_b32_e32 v22, 2, v22
	v_add_lshl_u32 v36, v22, v29, 2
	ds_bpermute_b32 v22, v36, v20
	v_cmp_le_u32_e32 vcc, v37, v17
	v_add_u32_e32 v42, 16, v32
	v_add_u32_e32 v44, 32, v32
	s_waitcnt lgkmcnt(0)
	v_cndmask_b32_e32 v22, 0, v22, vcc
	v_cmp_gt_u32_e32 vcc, 56, v32
	v_add_u32_e32 v20, v20, v22
	v_cndmask_b32_e64 v22, 0, 1, vcc
	v_lshlrev_b32_e32 v22, 3, v22
	v_add_lshl_u32 v38, v22, v29, 2
	ds_bpermute_b32 v22, v38, v20
	v_cmp_le_u32_e32 vcc, v39, v17
	s_waitcnt lgkmcnt(0)
	v_cndmask_b32_e32 v22, 0, v22, vcc
	v_cmp_gt_u32_e32 vcc, 48, v32
	v_add_u32_e32 v20, v20, v22
	v_cndmask_b32_e64 v22, 0, 1, vcc
	v_lshlrev_b32_e32 v22, 4, v22
	v_add_lshl_u32 v41, v22, v29, 2
	ds_bpermute_b32 v22, v41, v20
	v_cmp_le_u32_e32 vcc, v42, v17
	;; [unrolled: 9-line block ×3, first 2 shown]
	s_waitcnt lgkmcnt(0)
	v_cndmask_b32_e32 v17, 0, v22, vcc
	v_add_u32_e32 v20, v20, v17
	v_mov_b32_e32 v17, 0
	s_branch .LBB1305_259
.LBB1305_258:                           ;   in Loop: Header=BB1305_259 Depth=1
	s_or_b64 exec, exec, s[34:35]
	v_cmp_eq_u16_sdwa s[34:35], v21, v15 src0_sel:BYTE_0 src1_sel:DWORD
	v_and_b32_e32 v22, s35, v19
	v_or_b32_e32 v22, 0x80000000, v22
	ds_bpermute_b32 v45, v33, v20
	v_and_b32_e32 v23, s34, v18
	v_ffbl_b32_e32 v22, v22
	v_add_u32_e32 v22, 32, v22
	v_ffbl_b32_e32 v23, v23
	v_min_u32_e32 v22, v23, v22
	v_cmp_lt_u32_e32 vcc, v32, v22
	s_waitcnt lgkmcnt(0)
	v_cndmask_b32_e32 v23, 0, v45, vcc
	v_add_u32_e32 v20, v23, v20
	ds_bpermute_b32 v23, v34, v20
	v_cmp_le_u32_e32 vcc, v35, v22
	v_subrev_u32_e32 v16, 64, v16
	s_waitcnt lgkmcnt(0)
	v_cndmask_b32_e32 v23, 0, v23, vcc
	v_add_u32_e32 v20, v20, v23
	ds_bpermute_b32 v23, v36, v20
	v_cmp_le_u32_e32 vcc, v37, v22
	s_waitcnt lgkmcnt(0)
	v_cndmask_b32_e32 v23, 0, v23, vcc
	v_add_u32_e32 v20, v20, v23
	ds_bpermute_b32 v23, v38, v20
	v_cmp_le_u32_e32 vcc, v39, v22
	;; [unrolled: 5-line block ×4, first 2 shown]
	s_waitcnt lgkmcnt(0)
	v_cndmask_b32_e32 v22, 0, v23, vcc
	v_add3_u32 v20, v22, v40, v20
.LBB1305_259:                           ; =>This Loop Header: Depth=1
                                        ;     Child Loop BB1305_262 Depth 2
                                        ;       Child Loop BB1305_263 Depth 3
	v_cmp_ne_u16_sdwa s[34:35], v21, v15 src0_sel:BYTE_0 src1_sel:DWORD
	v_cndmask_b32_e64 v21, 0, 1, s[34:35]
	;;#ASMSTART
	;;#ASMEND
	v_cmp_ne_u32_e32 vcc, 0, v21
	s_cmp_lg_u64 vcc, exec
	v_mov_b32_e32 v40, v20
	s_cbranch_scc1 .LBB1305_266
; %bb.260:                              ;   in Loop: Header=BB1305_259 Depth=1
	v_lshlrev_b64 v[20:21], 3, v[16:17]
	v_mov_b32_e32 v23, s19
	v_add_co_u32_e32 v22, vcc, s18, v20
	v_addc_co_u32_e32 v23, vcc, v23, v21, vcc
	global_load_dwordx2 v[20:21], v[22:23], off glc
	s_waitcnt vmcnt(0)
	v_cmp_eq_u16_sdwa s[36:37], v21, v17 src0_sel:BYTE_0 src1_sel:DWORD
	s_and_saveexec_b64 s[34:35], s[36:37]
	s_cbranch_execz .LBB1305_258
; %bb.261:                              ;   in Loop: Header=BB1305_259 Depth=1
	s_mov_b32 s38, 1
	s_mov_b64 s[36:37], 0
.LBB1305_262:                           ;   Parent Loop BB1305_259 Depth=1
                                        ; =>  This Loop Header: Depth=2
                                        ;       Child Loop BB1305_263 Depth 3
	s_max_u32 s39, s38, 1
.LBB1305_263:                           ;   Parent Loop BB1305_259 Depth=1
                                        ;     Parent Loop BB1305_262 Depth=2
                                        ; =>    This Inner Loop Header: Depth=3
	s_add_i32 s39, s39, -1
	s_cmp_eq_u32 s39, 0
	s_sleep 1
	s_cbranch_scc0 .LBB1305_263
; %bb.264:                              ;   in Loop: Header=BB1305_262 Depth=2
	global_load_dwordx2 v[20:21], v[22:23], off glc
	s_cmp_lt_u32 s38, 32
	s_cselect_b64 s[40:41], -1, 0
	s_cmp_lg_u64 s[40:41], 0
	s_addc_u32 s38, s38, 0
	s_waitcnt vmcnt(0)
	v_cmp_ne_u16_sdwa s[40:41], v21, v17 src0_sel:BYTE_0 src1_sel:DWORD
	s_or_b64 s[36:37], s[40:41], s[36:37]
	s_andn2_b64 exec, exec, s[36:37]
	s_cbranch_execnz .LBB1305_262
; %bb.265:                              ;   in Loop: Header=BB1305_259 Depth=1
	s_or_b64 exec, exec, s[36:37]
	s_branch .LBB1305_258
.LBB1305_266:                           ;   in Loop: Header=BB1305_259 Depth=1
                                        ; implicit-def: $vgpr20
                                        ; implicit-def: $vgpr21
	s_cbranch_execz .LBB1305_259
; %bb.267:
	s_and_saveexec_b64 s[34:35], s[16:17]
	s_cbranch_execz .LBB1305_269
; %bb.268:
	s_add_i32 s36, s33, 64
	s_mov_b32 s37, 0
	s_lshl_b64 s[36:37], s[36:37], 3
	s_add_u32 s36, s18, s36
	v_add_u32_e32 v16, v40, v14
	v_mov_b32_e32 v17, 2
	s_addc_u32 s37, s19, s37
	v_mov_b32_e32 v15, 0
	s_movk_i32 s33, 0x2800
	global_store_dwordx2 v15, v[16:17], s[36:37]
	v_add_u32_e64 v15, s33, 0
	ds_write2_b32 v15, v14, v40 offset1:2
.LBB1305_269:
	s_or_b64 exec, exec, s[34:35]
	s_and_b64 exec, exec, s[0:1]
	s_cbranch_execz .LBB1305_271
; %bb.270:
	v_mov_b32_e32 v14, 0
	ds_write_b32 v14, v40 offset:12
.LBB1305_271:
	s_or_b64 exec, exec, s[26:27]
	v_mov_b32_e32 v14, 0
	s_waitcnt lgkmcnt(0)
	s_barrier
	ds_read_b32 v14, v14 offset:12
	v_cndmask_b32_e64 v15, v26, v24, s[16:17]
	v_cndmask_b32_e64 v15, v15, 0, s[0:1]
	s_movk_i32 s16, 0x2800
	s_waitcnt lgkmcnt(0)
	v_add_u32_e32 v26, v14, v15
	v_add_u32_e64 v14, s16, 0
	s_barrier
	ds_read2_b32 v[14:15], v14 offset1:2
	v_add_u32_e32 v24, v26, v1
	v_add_u32_e32 v22, v24, v25
	v_add_u32_e32 v20, v22, v27
	v_add_u32_e32 v18, v20, v28
	v_lshrrev_b64 v[16:17], 24, v[12:13]
	s_branch .LBB1305_282
.LBB1305_272:
                                        ; implicit-def: $vgpr18
                                        ; implicit-def: $vgpr20
                                        ; implicit-def: $vgpr22
                                        ; implicit-def: $vgpr24
                                        ; implicit-def: $vgpr26
                                        ; implicit-def: $vgpr15
	v_lshrrev_b64 v[16:17], 24, v[12:13]
	s_cbranch_execz .LBB1305_282
; %bb.273:
	s_waitcnt lgkmcnt(0)
	v_mov_b32_dpp v14, v31 row_shr:1 row_mask:0xf bank_mask:0xf
	v_cndmask_b32_e64 v14, v14, 0, s[14:15]
	v_add_u32_e32 v14, v14, v31
	s_nop 1
	v_mov_b32_dpp v15, v14 row_shr:2 row_mask:0xf bank_mask:0xf
	v_cndmask_b32_e64 v15, 0, v15, s[12:13]
	v_add_u32_e32 v14, v14, v15
	s_nop 1
	;; [unrolled: 4-line block ×4, first 2 shown]
	v_mov_b32_dpp v15, v14 row_bcast:15 row_mask:0xf bank_mask:0xf
	v_cndmask_b32_e64 v15, v15, 0, s[6:7]
	v_add_u32_e32 v14, v14, v15
	s_nop 1
	v_mov_b32_dpp v15, v14 row_bcast:31 row_mask:0xf bank_mask:0xf
	v_cndmask_b32_e64 v15, 0, v15, s[2:3]
	v_add_u32_e32 v14, v14, v15
	s_and_saveexec_b64 s[2:3], s[4:5]
	s_cbranch_execz .LBB1305_275
; %bb.274:
	v_lshlrev_b32_e32 v15, 2, v30
	ds_write_b32 v15, v14
.LBB1305_275:
	s_or_b64 exec, exec, s[2:3]
	v_cmp_gt_u32_e32 vcc, 4, v0
	s_waitcnt lgkmcnt(0)
	s_barrier
	s_and_saveexec_b64 s[2:3], vcc
	s_cbranch_execz .LBB1305_277
; %bb.276:
	v_lshlrev_b32_e32 v15, 2, v0
	ds_read_b32 v17, v15
	v_and_b32_e32 v18, 3, v29
	v_cmp_ne_u32_e32 vcc, 0, v18
	s_waitcnt lgkmcnt(0)
	v_mov_b32_dpp v19, v17 row_shr:1 row_mask:0xf bank_mask:0xf
	v_cndmask_b32_e32 v19, 0, v19, vcc
	v_add_u32_e32 v17, v19, v17
	v_cmp_lt_u32_e32 vcc, 1, v18
	s_nop 0
	v_mov_b32_dpp v19, v17 row_shr:2 row_mask:0xf bank_mask:0xf
	v_cndmask_b32_e32 v18, 0, v19, vcc
	v_add_u32_e32 v17, v17, v18
	ds_write_b32 v15, v17
.LBB1305_277:
	s_or_b64 exec, exec, s[2:3]
	v_cmp_lt_u32_e32 vcc, 63, v0
	v_mov_b32_e32 v15, 0
	v_mov_b32_e32 v17, 0
	s_waitcnt lgkmcnt(0)
	s_barrier
	s_and_saveexec_b64 s[2:3], vcc
	s_cbranch_execz .LBB1305_279
; %bb.278:
	v_lshl_add_u32 v17, v30, 2, -4
	ds_read_b32 v17, v17
.LBB1305_279:
	s_or_b64 exec, exec, s[2:3]
	v_add_u32_e32 v18, -1, v29
	v_and_b32_e32 v19, 64, v29
	v_cmp_lt_i32_e32 vcc, v18, v19
	v_cndmask_b32_e32 v18, v18, v29, vcc
	s_waitcnt lgkmcnt(0)
	v_add_u32_e32 v14, v17, v14
	v_lshlrev_b32_e32 v18, 2, v18
	ds_bpermute_b32 v18, v18, v14
	ds_read_b32 v14, v15 offset:12
	s_and_saveexec_b64 s[2:3], s[0:1]
	s_cbranch_execz .LBB1305_281
; %bb.280:
	v_mov_b32_e32 v19, 0
	v_mov_b32_e32 v15, 2
	s_waitcnt lgkmcnt(0)
	global_store_dwordx2 v19, v[14:15], s[18:19] offset:512
.LBB1305_281:
	s_or_b64 exec, exec, s[2:3]
	v_cmp_eq_u32_e32 vcc, 0, v29
	s_waitcnt lgkmcnt(1)
	v_cndmask_b32_e32 v17, v18, v17, vcc
	v_cndmask_b32_e64 v26, v17, 0, s[0:1]
	v_add_u32_e32 v24, v26, v1
	v_add_u32_e32 v22, v24, v25
	;; [unrolled: 1-line block ×3, first 2 shown]
	v_mov_b32_e32 v15, 0
	v_add_u32_e32 v18, v20, v28
	s_waitcnt lgkmcnt(0)
	s_barrier
.LBB1305_282:
	s_movk_i32 s2, 0x101
	s_waitcnt lgkmcnt(0)
	v_cmp_gt_u32_e32 vcc, s2, v14
	v_lshrrev_b32_e32 v1, 8, v12
	s_mov_b64 s[2:3], -1
	s_cbranch_vccnz .LBB1305_286
; %bb.283:
	s_and_b64 vcc, exec, s[2:3]
	s_cbranch_vccnz .LBB1305_302
.LBB1305_284:
	s_and_b64 s[0:1], s[0:1], s[24:25]
	s_and_saveexec_b64 s[2:3], s[0:1]
	s_cbranch_execnz .LBB1305_316
.LBB1305_285:
	s_endpgm
.LBB1305_286:
	v_add_u32_e32 v17, v15, v14
	v_cmp_lt_u32_e32 vcc, v26, v17
	s_or_b64 s[4:5], s[30:31], vcc
	s_and_saveexec_b64 s[2:3], s[4:5]
	s_cbranch_execz .LBB1305_289
; %bb.287:
	v_and_b32_e32 v19, 1, v12
	v_cmp_eq_u32_e32 vcc, 1, v19
	s_and_b64 exec, exec, vcc
	s_cbranch_execz .LBB1305_289
; %bb.288:
	s_lshl_b64 s[4:5], s[22:23], 3
	s_add_u32 s4, s28, s4
	v_mov_b32_e32 v27, 0
	s_addc_u32 s5, s29, s5
	v_lshlrev_b64 v[28:29], 3, v[26:27]
	v_mov_b32_e32 v19, s5
	v_add_co_u32_e32 v28, vcc, s4, v28
	v_addc_co_u32_e32 v29, vcc, v19, v29, vcc
	global_store_dwordx2 v[28:29], v[6:7], off
.LBB1305_289:
	s_or_b64 exec, exec, s[2:3]
	v_cmp_lt_u32_e32 vcc, v24, v17
	s_or_b64 s[4:5], s[30:31], vcc
	s_and_saveexec_b64 s[2:3], s[4:5]
	s_cbranch_execz .LBB1305_292
; %bb.290:
	v_and_b32_e32 v19, 1, v1
	v_cmp_eq_u32_e32 vcc, 1, v19
	s_and_b64 exec, exec, vcc
	s_cbranch_execz .LBB1305_292
; %bb.291:
	s_lshl_b64 s[4:5], s[22:23], 3
	s_add_u32 s4, s28, s4
	v_mov_b32_e32 v25, 0
	s_addc_u32 s5, s29, s5
	v_lshlrev_b64 v[28:29], 3, v[24:25]
	v_mov_b32_e32 v19, s5
	v_add_co_u32_e32 v28, vcc, s4, v28
	v_addc_co_u32_e32 v29, vcc, v19, v29, vcc
	global_store_dwordx2 v[28:29], v[8:9], off
.LBB1305_292:
	s_or_b64 exec, exec, s[2:3]
	v_cmp_lt_u32_e32 vcc, v22, v17
	s_or_b64 s[4:5], s[30:31], vcc
	s_and_saveexec_b64 s[2:3], s[4:5]
	s_cbranch_execz .LBB1305_295
; %bb.293:
	v_mov_b32_e32 v19, 1
	v_and_b32_sdwa v19, v19, v12 dst_sel:DWORD dst_unused:UNUSED_PAD src0_sel:DWORD src1_sel:WORD_1
	v_cmp_eq_u32_e32 vcc, 1, v19
	s_and_b64 exec, exec, vcc
	s_cbranch_execz .LBB1305_295
; %bb.294:
	s_lshl_b64 s[4:5], s[22:23], 3
	s_add_u32 s4, s28, s4
	v_mov_b32_e32 v23, 0
	s_addc_u32 s5, s29, s5
	v_lshlrev_b64 v[28:29], 3, v[22:23]
	v_mov_b32_e32 v19, s5
	v_add_co_u32_e32 v28, vcc, s4, v28
	v_addc_co_u32_e32 v29, vcc, v19, v29, vcc
	global_store_dwordx2 v[28:29], v[2:3], off
.LBB1305_295:
	s_or_b64 exec, exec, s[2:3]
	v_cmp_lt_u32_e32 vcc, v20, v17
	s_or_b64 s[4:5], s[30:31], vcc
	s_and_saveexec_b64 s[2:3], s[4:5]
	s_cbranch_execz .LBB1305_298
; %bb.296:
	v_and_b32_e32 v19, 1, v16
	v_cmp_eq_u32_e32 vcc, 1, v19
	s_and_b64 exec, exec, vcc
	s_cbranch_execz .LBB1305_298
; %bb.297:
	s_lshl_b64 s[4:5], s[22:23], 3
	s_add_u32 s4, s28, s4
	v_mov_b32_e32 v21, 0
	s_addc_u32 s5, s29, s5
	v_lshlrev_b64 v[28:29], 3, v[20:21]
	v_mov_b32_e32 v19, s5
	v_add_co_u32_e32 v28, vcc, s4, v28
	v_addc_co_u32_e32 v29, vcc, v19, v29, vcc
	global_store_dwordx2 v[28:29], v[4:5], off
.LBB1305_298:
	s_or_b64 exec, exec, s[2:3]
	v_cmp_lt_u32_e32 vcc, v18, v17
	s_or_b64 s[4:5], s[30:31], vcc
	s_and_saveexec_b64 s[2:3], s[4:5]
	s_cbranch_execz .LBB1305_301
; %bb.299:
	v_and_b32_e32 v17, 1, v13
	v_cmp_eq_u32_e32 vcc, 1, v17
	s_and_b64 exec, exec, vcc
	s_cbranch_execz .LBB1305_301
; %bb.300:
	s_lshl_b64 s[4:5], s[22:23], 3
	s_add_u32 s4, s28, s4
	v_mov_b32_e32 v19, 0
	s_addc_u32 s5, s29, s5
	v_lshlrev_b64 v[28:29], 3, v[18:19]
	v_mov_b32_e32 v17, s5
	v_add_co_u32_e32 v28, vcc, s4, v28
	v_addc_co_u32_e32 v29, vcc, v17, v29, vcc
	global_store_dwordx2 v[28:29], v[10:11], off
.LBB1305_301:
	s_or_b64 exec, exec, s[2:3]
	s_branch .LBB1305_284
.LBB1305_302:
	v_and_b32_e32 v17, 1, v12
	v_cmp_eq_u32_e32 vcc, 1, v17
	s_and_saveexec_b64 s[2:3], vcc
	s_cbranch_execz .LBB1305_304
; %bb.303:
	v_sub_u32_e32 v17, v26, v15
	v_lshlrev_b32_e32 v17, 3, v17
	ds_write_b64 v17, v[6:7]
.LBB1305_304:
	s_or_b64 exec, exec, s[2:3]
	v_and_b32_e32 v1, 1, v1
	v_cmp_eq_u32_e32 vcc, 1, v1
	s_and_saveexec_b64 s[2:3], vcc
	s_cbranch_execz .LBB1305_306
; %bb.305:
	v_sub_u32_e32 v1, v24, v15
	v_lshlrev_b32_e32 v1, 3, v1
	ds_write_b64 v1, v[8:9]
.LBB1305_306:
	s_or_b64 exec, exec, s[2:3]
	v_mov_b32_e32 v1, 1
	v_and_b32_sdwa v1, v1, v12 dst_sel:DWORD dst_unused:UNUSED_PAD src0_sel:DWORD src1_sel:WORD_1
	v_cmp_eq_u32_e32 vcc, 1, v1
	s_and_saveexec_b64 s[2:3], vcc
	s_cbranch_execz .LBB1305_308
; %bb.307:
	v_sub_u32_e32 v1, v22, v15
	v_lshlrev_b32_e32 v1, 3, v1
	ds_write_b64 v1, v[2:3]
.LBB1305_308:
	s_or_b64 exec, exec, s[2:3]
	v_and_b32_e32 v1, 1, v16
	v_cmp_eq_u32_e32 vcc, 1, v1
	s_and_saveexec_b64 s[2:3], vcc
	s_cbranch_execz .LBB1305_310
; %bb.309:
	v_sub_u32_e32 v1, v20, v15
	v_lshlrev_b32_e32 v1, 3, v1
	ds_write_b64 v1, v[4:5]
.LBB1305_310:
	s_or_b64 exec, exec, s[2:3]
	v_and_b32_e32 v1, 1, v13
	v_cmp_eq_u32_e32 vcc, 1, v1
	s_and_saveexec_b64 s[2:3], vcc
	s_cbranch_execz .LBB1305_312
; %bb.311:
	v_sub_u32_e32 v1, v18, v15
	v_lshlrev_b32_e32 v1, 3, v1
	ds_write_b64 v1, v[10:11]
.LBB1305_312:
	s_or_b64 exec, exec, s[2:3]
	v_cmp_lt_u32_e32 vcc, v0, v14
	s_waitcnt lgkmcnt(0)
	s_barrier
	s_and_saveexec_b64 s[2:3], vcc
	s_cbranch_execz .LBB1305_315
; %bb.313:
	v_mov_b32_e32 v1, 0
	v_mov_b32_e32 v2, v15
	;; [unrolled: 1-line block ×3, first 2 shown]
	v_lshlrev_b64 v[2:3], 3, v[2:3]
	v_mov_b32_e32 v4, s29
	v_add_co_u32_e32 v2, vcc, s28, v2
	v_addc_co_u32_e32 v3, vcc, v4, v3, vcc
	s_lshl_b64 s[4:5], s[22:23], 3
	v_mov_b32_e32 v4, s5
	v_add_co_u32_e32 v2, vcc, s4, v2
	v_addc_co_u32_e32 v3, vcc, v3, v4, vcc
	v_lshlrev_b32_e32 v4, 3, v0
	s_mov_b64 s[4:5], 0
.LBB1305_314:                           ; =>This Inner Loop Header: Depth=1
	ds_read_b64 v[6:7], v4
	v_lshlrev_b64 v[8:9], 3, v[0:1]
	v_add_co_u32_e32 v8, vcc, v2, v8
	v_add_u32_e32 v0, 0x100, v0
	v_addc_co_u32_e32 v9, vcc, v3, v9, vcc
	v_cmp_ge_u32_e32 vcc, v0, v14
	v_add_u32_e32 v4, 0x800, v4
	s_or_b64 s[4:5], vcc, s[4:5]
	s_waitcnt lgkmcnt(0)
	global_store_dwordx2 v[8:9], v[6:7], off
	s_andn2_b64 exec, exec, s[4:5]
	s_cbranch_execnz .LBB1305_314
.LBB1305_315:
	s_or_b64 exec, exec, s[2:3]
	s_and_b64 s[0:1], s[0:1], s[24:25]
	s_and_saveexec_b64 s[2:3], s[0:1]
	s_cbranch_execz .LBB1305_285
.LBB1305_316:
	v_mov_b32_e32 v0, s23
	v_add_co_u32_e32 v1, vcc, s22, v14
	v_addc_co_u32_e32 v3, vcc, 0, v0, vcc
	v_add_co_u32_e32 v0, vcc, v1, v15
	v_mov_b32_e32 v2, 0
	v_addc_co_u32_e32 v1, vcc, 0, v3, vcc
	global_store_dwordx2 v2, v[0:1], s[20:21]
	s_endpgm
	.section	.rodata,"a",@progbits
	.p2align	6, 0x0
	.amdhsa_kernel _ZN7rocprim17ROCPRIM_400000_NS6detail17trampoline_kernelINS0_14default_configENS1_25partition_config_selectorILNS1_17partition_subalgoE8ElNS0_10empty_typeEbEEZZNS1_14partition_implILS5_8ELb0ES3_jPlPS6_PKS6_NS0_5tupleIJS9_S6_EEENSD_IJSA_SA_EEENS0_18inequality_wrapperIZN2at6native12_GLOBAL__N_124unique_dim_cuda_templateIN3c104HalfEEESt5tupleIJNSH_6TensorESO_SO_EERKSO_lbbbEUlllE0_EEPmJS6_EEE10hipError_tPvRmT3_T4_T5_T6_T7_T9_mT8_P12ihipStream_tbDpT10_ENKUlT_T0_E_clISt17integral_constantIbLb1EES1E_EEDaS19_S1A_EUlS19_E_NS1_11comp_targetILNS1_3genE4ELNS1_11target_archE910ELNS1_3gpuE8ELNS1_3repE0EEENS1_30default_config_static_selectorELNS0_4arch9wavefront6targetE1EEEvT1_
		.amdhsa_group_segment_fixed_size 10252
		.amdhsa_private_segment_fixed_size 0
		.amdhsa_kernarg_size 136
		.amdhsa_user_sgpr_count 6
		.amdhsa_user_sgpr_private_segment_buffer 1
		.amdhsa_user_sgpr_dispatch_ptr 0
		.amdhsa_user_sgpr_queue_ptr 0
		.amdhsa_user_sgpr_kernarg_segment_ptr 1
		.amdhsa_user_sgpr_dispatch_id 0
		.amdhsa_user_sgpr_flat_scratch_init 0
		.amdhsa_user_sgpr_kernarg_preload_length 0
		.amdhsa_user_sgpr_kernarg_preload_offset 0
		.amdhsa_user_sgpr_private_segment_size 0
		.amdhsa_uses_dynamic_stack 0
		.amdhsa_system_sgpr_private_segment_wavefront_offset 0
		.amdhsa_system_sgpr_workgroup_id_x 1
		.amdhsa_system_sgpr_workgroup_id_y 0
		.amdhsa_system_sgpr_workgroup_id_z 0
		.amdhsa_system_sgpr_workgroup_info 0
		.amdhsa_system_vgpr_workitem_id 0
		.amdhsa_next_free_vgpr 46
		.amdhsa_next_free_sgpr 52
		.amdhsa_accum_offset 48
		.amdhsa_reserve_vcc 1
		.amdhsa_reserve_flat_scratch 0
		.amdhsa_float_round_mode_32 0
		.amdhsa_float_round_mode_16_64 0
		.amdhsa_float_denorm_mode_32 3
		.amdhsa_float_denorm_mode_16_64 3
		.amdhsa_dx10_clamp 1
		.amdhsa_ieee_mode 1
		.amdhsa_fp16_overflow 0
		.amdhsa_tg_split 0
		.amdhsa_exception_fp_ieee_invalid_op 0
		.amdhsa_exception_fp_denorm_src 0
		.amdhsa_exception_fp_ieee_div_zero 0
		.amdhsa_exception_fp_ieee_overflow 0
		.amdhsa_exception_fp_ieee_underflow 0
		.amdhsa_exception_fp_ieee_inexact 0
		.amdhsa_exception_int_div_zero 0
	.end_amdhsa_kernel
	.section	.text._ZN7rocprim17ROCPRIM_400000_NS6detail17trampoline_kernelINS0_14default_configENS1_25partition_config_selectorILNS1_17partition_subalgoE8ElNS0_10empty_typeEbEEZZNS1_14partition_implILS5_8ELb0ES3_jPlPS6_PKS6_NS0_5tupleIJS9_S6_EEENSD_IJSA_SA_EEENS0_18inequality_wrapperIZN2at6native12_GLOBAL__N_124unique_dim_cuda_templateIN3c104HalfEEESt5tupleIJNSH_6TensorESO_SO_EERKSO_lbbbEUlllE0_EEPmJS6_EEE10hipError_tPvRmT3_T4_T5_T6_T7_T9_mT8_P12ihipStream_tbDpT10_ENKUlT_T0_E_clISt17integral_constantIbLb1EES1E_EEDaS19_S1A_EUlS19_E_NS1_11comp_targetILNS1_3genE4ELNS1_11target_archE910ELNS1_3gpuE8ELNS1_3repE0EEENS1_30default_config_static_selectorELNS0_4arch9wavefront6targetE1EEEvT1_,"axG",@progbits,_ZN7rocprim17ROCPRIM_400000_NS6detail17trampoline_kernelINS0_14default_configENS1_25partition_config_selectorILNS1_17partition_subalgoE8ElNS0_10empty_typeEbEEZZNS1_14partition_implILS5_8ELb0ES3_jPlPS6_PKS6_NS0_5tupleIJS9_S6_EEENSD_IJSA_SA_EEENS0_18inequality_wrapperIZN2at6native12_GLOBAL__N_124unique_dim_cuda_templateIN3c104HalfEEESt5tupleIJNSH_6TensorESO_SO_EERKSO_lbbbEUlllE0_EEPmJS6_EEE10hipError_tPvRmT3_T4_T5_T6_T7_T9_mT8_P12ihipStream_tbDpT10_ENKUlT_T0_E_clISt17integral_constantIbLb1EES1E_EEDaS19_S1A_EUlS19_E_NS1_11comp_targetILNS1_3genE4ELNS1_11target_archE910ELNS1_3gpuE8ELNS1_3repE0EEENS1_30default_config_static_selectorELNS0_4arch9wavefront6targetE1EEEvT1_,comdat
.Lfunc_end1305:
	.size	_ZN7rocprim17ROCPRIM_400000_NS6detail17trampoline_kernelINS0_14default_configENS1_25partition_config_selectorILNS1_17partition_subalgoE8ElNS0_10empty_typeEbEEZZNS1_14partition_implILS5_8ELb0ES3_jPlPS6_PKS6_NS0_5tupleIJS9_S6_EEENSD_IJSA_SA_EEENS0_18inequality_wrapperIZN2at6native12_GLOBAL__N_124unique_dim_cuda_templateIN3c104HalfEEESt5tupleIJNSH_6TensorESO_SO_EERKSO_lbbbEUlllE0_EEPmJS6_EEE10hipError_tPvRmT3_T4_T5_T6_T7_T9_mT8_P12ihipStream_tbDpT10_ENKUlT_T0_E_clISt17integral_constantIbLb1EES1E_EEDaS19_S1A_EUlS19_E_NS1_11comp_targetILNS1_3genE4ELNS1_11target_archE910ELNS1_3gpuE8ELNS1_3repE0EEENS1_30default_config_static_selectorELNS0_4arch9wavefront6targetE1EEEvT1_, .Lfunc_end1305-_ZN7rocprim17ROCPRIM_400000_NS6detail17trampoline_kernelINS0_14default_configENS1_25partition_config_selectorILNS1_17partition_subalgoE8ElNS0_10empty_typeEbEEZZNS1_14partition_implILS5_8ELb0ES3_jPlPS6_PKS6_NS0_5tupleIJS9_S6_EEENSD_IJSA_SA_EEENS0_18inequality_wrapperIZN2at6native12_GLOBAL__N_124unique_dim_cuda_templateIN3c104HalfEEESt5tupleIJNSH_6TensorESO_SO_EERKSO_lbbbEUlllE0_EEPmJS6_EEE10hipError_tPvRmT3_T4_T5_T6_T7_T9_mT8_P12ihipStream_tbDpT10_ENKUlT_T0_E_clISt17integral_constantIbLb1EES1E_EEDaS19_S1A_EUlS19_E_NS1_11comp_targetILNS1_3genE4ELNS1_11target_archE910ELNS1_3gpuE8ELNS1_3repE0EEENS1_30default_config_static_selectorELNS0_4arch9wavefront6targetE1EEEvT1_
                                        ; -- End function
	.section	.AMDGPU.csdata,"",@progbits
; Kernel info:
; codeLenInByte = 11652
; NumSgprs: 56
; NumVgprs: 46
; NumAgprs: 0
; TotalNumVgprs: 46
; ScratchSize: 0
; MemoryBound: 0
; FloatMode: 240
; IeeeMode: 1
; LDSByteSize: 10252 bytes/workgroup (compile time only)
; SGPRBlocks: 6
; VGPRBlocks: 5
; NumSGPRsForWavesPerEU: 56
; NumVGPRsForWavesPerEU: 46
; AccumOffset: 48
; Occupancy: 6
; WaveLimiterHint : 1
; COMPUTE_PGM_RSRC2:SCRATCH_EN: 0
; COMPUTE_PGM_RSRC2:USER_SGPR: 6
; COMPUTE_PGM_RSRC2:TRAP_HANDLER: 0
; COMPUTE_PGM_RSRC2:TGID_X_EN: 1
; COMPUTE_PGM_RSRC2:TGID_Y_EN: 0
; COMPUTE_PGM_RSRC2:TGID_Z_EN: 0
; COMPUTE_PGM_RSRC2:TIDIG_COMP_CNT: 0
; COMPUTE_PGM_RSRC3_GFX90A:ACCUM_OFFSET: 11
; COMPUTE_PGM_RSRC3_GFX90A:TG_SPLIT: 0
	.section	.text._ZN7rocprim17ROCPRIM_400000_NS6detail17trampoline_kernelINS0_14default_configENS1_25partition_config_selectorILNS1_17partition_subalgoE8ElNS0_10empty_typeEbEEZZNS1_14partition_implILS5_8ELb0ES3_jPlPS6_PKS6_NS0_5tupleIJS9_S6_EEENSD_IJSA_SA_EEENS0_18inequality_wrapperIZN2at6native12_GLOBAL__N_124unique_dim_cuda_templateIN3c104HalfEEESt5tupleIJNSH_6TensorESO_SO_EERKSO_lbbbEUlllE0_EEPmJS6_EEE10hipError_tPvRmT3_T4_T5_T6_T7_T9_mT8_P12ihipStream_tbDpT10_ENKUlT_T0_E_clISt17integral_constantIbLb1EES1E_EEDaS19_S1A_EUlS19_E_NS1_11comp_targetILNS1_3genE3ELNS1_11target_archE908ELNS1_3gpuE7ELNS1_3repE0EEENS1_30default_config_static_selectorELNS0_4arch9wavefront6targetE1EEEvT1_,"axG",@progbits,_ZN7rocprim17ROCPRIM_400000_NS6detail17trampoline_kernelINS0_14default_configENS1_25partition_config_selectorILNS1_17partition_subalgoE8ElNS0_10empty_typeEbEEZZNS1_14partition_implILS5_8ELb0ES3_jPlPS6_PKS6_NS0_5tupleIJS9_S6_EEENSD_IJSA_SA_EEENS0_18inequality_wrapperIZN2at6native12_GLOBAL__N_124unique_dim_cuda_templateIN3c104HalfEEESt5tupleIJNSH_6TensorESO_SO_EERKSO_lbbbEUlllE0_EEPmJS6_EEE10hipError_tPvRmT3_T4_T5_T6_T7_T9_mT8_P12ihipStream_tbDpT10_ENKUlT_T0_E_clISt17integral_constantIbLb1EES1E_EEDaS19_S1A_EUlS19_E_NS1_11comp_targetILNS1_3genE3ELNS1_11target_archE908ELNS1_3gpuE7ELNS1_3repE0EEENS1_30default_config_static_selectorELNS0_4arch9wavefront6targetE1EEEvT1_,comdat
	.globl	_ZN7rocprim17ROCPRIM_400000_NS6detail17trampoline_kernelINS0_14default_configENS1_25partition_config_selectorILNS1_17partition_subalgoE8ElNS0_10empty_typeEbEEZZNS1_14partition_implILS5_8ELb0ES3_jPlPS6_PKS6_NS0_5tupleIJS9_S6_EEENSD_IJSA_SA_EEENS0_18inequality_wrapperIZN2at6native12_GLOBAL__N_124unique_dim_cuda_templateIN3c104HalfEEESt5tupleIJNSH_6TensorESO_SO_EERKSO_lbbbEUlllE0_EEPmJS6_EEE10hipError_tPvRmT3_T4_T5_T6_T7_T9_mT8_P12ihipStream_tbDpT10_ENKUlT_T0_E_clISt17integral_constantIbLb1EES1E_EEDaS19_S1A_EUlS19_E_NS1_11comp_targetILNS1_3genE3ELNS1_11target_archE908ELNS1_3gpuE7ELNS1_3repE0EEENS1_30default_config_static_selectorELNS0_4arch9wavefront6targetE1EEEvT1_ ; -- Begin function _ZN7rocprim17ROCPRIM_400000_NS6detail17trampoline_kernelINS0_14default_configENS1_25partition_config_selectorILNS1_17partition_subalgoE8ElNS0_10empty_typeEbEEZZNS1_14partition_implILS5_8ELb0ES3_jPlPS6_PKS6_NS0_5tupleIJS9_S6_EEENSD_IJSA_SA_EEENS0_18inequality_wrapperIZN2at6native12_GLOBAL__N_124unique_dim_cuda_templateIN3c104HalfEEESt5tupleIJNSH_6TensorESO_SO_EERKSO_lbbbEUlllE0_EEPmJS6_EEE10hipError_tPvRmT3_T4_T5_T6_T7_T9_mT8_P12ihipStream_tbDpT10_ENKUlT_T0_E_clISt17integral_constantIbLb1EES1E_EEDaS19_S1A_EUlS19_E_NS1_11comp_targetILNS1_3genE3ELNS1_11target_archE908ELNS1_3gpuE7ELNS1_3repE0EEENS1_30default_config_static_selectorELNS0_4arch9wavefront6targetE1EEEvT1_
	.p2align	8
	.type	_ZN7rocprim17ROCPRIM_400000_NS6detail17trampoline_kernelINS0_14default_configENS1_25partition_config_selectorILNS1_17partition_subalgoE8ElNS0_10empty_typeEbEEZZNS1_14partition_implILS5_8ELb0ES3_jPlPS6_PKS6_NS0_5tupleIJS9_S6_EEENSD_IJSA_SA_EEENS0_18inequality_wrapperIZN2at6native12_GLOBAL__N_124unique_dim_cuda_templateIN3c104HalfEEESt5tupleIJNSH_6TensorESO_SO_EERKSO_lbbbEUlllE0_EEPmJS6_EEE10hipError_tPvRmT3_T4_T5_T6_T7_T9_mT8_P12ihipStream_tbDpT10_ENKUlT_T0_E_clISt17integral_constantIbLb1EES1E_EEDaS19_S1A_EUlS19_E_NS1_11comp_targetILNS1_3genE3ELNS1_11target_archE908ELNS1_3gpuE7ELNS1_3repE0EEENS1_30default_config_static_selectorELNS0_4arch9wavefront6targetE1EEEvT1_,@function
_ZN7rocprim17ROCPRIM_400000_NS6detail17trampoline_kernelINS0_14default_configENS1_25partition_config_selectorILNS1_17partition_subalgoE8ElNS0_10empty_typeEbEEZZNS1_14partition_implILS5_8ELb0ES3_jPlPS6_PKS6_NS0_5tupleIJS9_S6_EEENSD_IJSA_SA_EEENS0_18inequality_wrapperIZN2at6native12_GLOBAL__N_124unique_dim_cuda_templateIN3c104HalfEEESt5tupleIJNSH_6TensorESO_SO_EERKSO_lbbbEUlllE0_EEPmJS6_EEE10hipError_tPvRmT3_T4_T5_T6_T7_T9_mT8_P12ihipStream_tbDpT10_ENKUlT_T0_E_clISt17integral_constantIbLb1EES1E_EEDaS19_S1A_EUlS19_E_NS1_11comp_targetILNS1_3genE3ELNS1_11target_archE908ELNS1_3gpuE7ELNS1_3repE0EEENS1_30default_config_static_selectorELNS0_4arch9wavefront6targetE1EEEvT1_: ; @_ZN7rocprim17ROCPRIM_400000_NS6detail17trampoline_kernelINS0_14default_configENS1_25partition_config_selectorILNS1_17partition_subalgoE8ElNS0_10empty_typeEbEEZZNS1_14partition_implILS5_8ELb0ES3_jPlPS6_PKS6_NS0_5tupleIJS9_S6_EEENSD_IJSA_SA_EEENS0_18inequality_wrapperIZN2at6native12_GLOBAL__N_124unique_dim_cuda_templateIN3c104HalfEEESt5tupleIJNSH_6TensorESO_SO_EERKSO_lbbbEUlllE0_EEPmJS6_EEE10hipError_tPvRmT3_T4_T5_T6_T7_T9_mT8_P12ihipStream_tbDpT10_ENKUlT_T0_E_clISt17integral_constantIbLb1EES1E_EEDaS19_S1A_EUlS19_E_NS1_11comp_targetILNS1_3genE3ELNS1_11target_archE908ELNS1_3gpuE7ELNS1_3repE0EEENS1_30default_config_static_selectorELNS0_4arch9wavefront6targetE1EEEvT1_
; %bb.0:
	.section	.rodata,"a",@progbits
	.p2align	6, 0x0
	.amdhsa_kernel _ZN7rocprim17ROCPRIM_400000_NS6detail17trampoline_kernelINS0_14default_configENS1_25partition_config_selectorILNS1_17partition_subalgoE8ElNS0_10empty_typeEbEEZZNS1_14partition_implILS5_8ELb0ES3_jPlPS6_PKS6_NS0_5tupleIJS9_S6_EEENSD_IJSA_SA_EEENS0_18inequality_wrapperIZN2at6native12_GLOBAL__N_124unique_dim_cuda_templateIN3c104HalfEEESt5tupleIJNSH_6TensorESO_SO_EERKSO_lbbbEUlllE0_EEPmJS6_EEE10hipError_tPvRmT3_T4_T5_T6_T7_T9_mT8_P12ihipStream_tbDpT10_ENKUlT_T0_E_clISt17integral_constantIbLb1EES1E_EEDaS19_S1A_EUlS19_E_NS1_11comp_targetILNS1_3genE3ELNS1_11target_archE908ELNS1_3gpuE7ELNS1_3repE0EEENS1_30default_config_static_selectorELNS0_4arch9wavefront6targetE1EEEvT1_
		.amdhsa_group_segment_fixed_size 0
		.amdhsa_private_segment_fixed_size 0
		.amdhsa_kernarg_size 136
		.amdhsa_user_sgpr_count 6
		.amdhsa_user_sgpr_private_segment_buffer 1
		.amdhsa_user_sgpr_dispatch_ptr 0
		.amdhsa_user_sgpr_queue_ptr 0
		.amdhsa_user_sgpr_kernarg_segment_ptr 1
		.amdhsa_user_sgpr_dispatch_id 0
		.amdhsa_user_sgpr_flat_scratch_init 0
		.amdhsa_user_sgpr_kernarg_preload_length 0
		.amdhsa_user_sgpr_kernarg_preload_offset 0
		.amdhsa_user_sgpr_private_segment_size 0
		.amdhsa_uses_dynamic_stack 0
		.amdhsa_system_sgpr_private_segment_wavefront_offset 0
		.amdhsa_system_sgpr_workgroup_id_x 1
		.amdhsa_system_sgpr_workgroup_id_y 0
		.amdhsa_system_sgpr_workgroup_id_z 0
		.amdhsa_system_sgpr_workgroup_info 0
		.amdhsa_system_vgpr_workitem_id 0
		.amdhsa_next_free_vgpr 1
		.amdhsa_next_free_sgpr 0
		.amdhsa_accum_offset 4
		.amdhsa_reserve_vcc 0
		.amdhsa_reserve_flat_scratch 0
		.amdhsa_float_round_mode_32 0
		.amdhsa_float_round_mode_16_64 0
		.amdhsa_float_denorm_mode_32 3
		.amdhsa_float_denorm_mode_16_64 3
		.amdhsa_dx10_clamp 1
		.amdhsa_ieee_mode 1
		.amdhsa_fp16_overflow 0
		.amdhsa_tg_split 0
		.amdhsa_exception_fp_ieee_invalid_op 0
		.amdhsa_exception_fp_denorm_src 0
		.amdhsa_exception_fp_ieee_div_zero 0
		.amdhsa_exception_fp_ieee_overflow 0
		.amdhsa_exception_fp_ieee_underflow 0
		.amdhsa_exception_fp_ieee_inexact 0
		.amdhsa_exception_int_div_zero 0
	.end_amdhsa_kernel
	.section	.text._ZN7rocprim17ROCPRIM_400000_NS6detail17trampoline_kernelINS0_14default_configENS1_25partition_config_selectorILNS1_17partition_subalgoE8ElNS0_10empty_typeEbEEZZNS1_14partition_implILS5_8ELb0ES3_jPlPS6_PKS6_NS0_5tupleIJS9_S6_EEENSD_IJSA_SA_EEENS0_18inequality_wrapperIZN2at6native12_GLOBAL__N_124unique_dim_cuda_templateIN3c104HalfEEESt5tupleIJNSH_6TensorESO_SO_EERKSO_lbbbEUlllE0_EEPmJS6_EEE10hipError_tPvRmT3_T4_T5_T6_T7_T9_mT8_P12ihipStream_tbDpT10_ENKUlT_T0_E_clISt17integral_constantIbLb1EES1E_EEDaS19_S1A_EUlS19_E_NS1_11comp_targetILNS1_3genE3ELNS1_11target_archE908ELNS1_3gpuE7ELNS1_3repE0EEENS1_30default_config_static_selectorELNS0_4arch9wavefront6targetE1EEEvT1_,"axG",@progbits,_ZN7rocprim17ROCPRIM_400000_NS6detail17trampoline_kernelINS0_14default_configENS1_25partition_config_selectorILNS1_17partition_subalgoE8ElNS0_10empty_typeEbEEZZNS1_14partition_implILS5_8ELb0ES3_jPlPS6_PKS6_NS0_5tupleIJS9_S6_EEENSD_IJSA_SA_EEENS0_18inequality_wrapperIZN2at6native12_GLOBAL__N_124unique_dim_cuda_templateIN3c104HalfEEESt5tupleIJNSH_6TensorESO_SO_EERKSO_lbbbEUlllE0_EEPmJS6_EEE10hipError_tPvRmT3_T4_T5_T6_T7_T9_mT8_P12ihipStream_tbDpT10_ENKUlT_T0_E_clISt17integral_constantIbLb1EES1E_EEDaS19_S1A_EUlS19_E_NS1_11comp_targetILNS1_3genE3ELNS1_11target_archE908ELNS1_3gpuE7ELNS1_3repE0EEENS1_30default_config_static_selectorELNS0_4arch9wavefront6targetE1EEEvT1_,comdat
.Lfunc_end1306:
	.size	_ZN7rocprim17ROCPRIM_400000_NS6detail17trampoline_kernelINS0_14default_configENS1_25partition_config_selectorILNS1_17partition_subalgoE8ElNS0_10empty_typeEbEEZZNS1_14partition_implILS5_8ELb0ES3_jPlPS6_PKS6_NS0_5tupleIJS9_S6_EEENSD_IJSA_SA_EEENS0_18inequality_wrapperIZN2at6native12_GLOBAL__N_124unique_dim_cuda_templateIN3c104HalfEEESt5tupleIJNSH_6TensorESO_SO_EERKSO_lbbbEUlllE0_EEPmJS6_EEE10hipError_tPvRmT3_T4_T5_T6_T7_T9_mT8_P12ihipStream_tbDpT10_ENKUlT_T0_E_clISt17integral_constantIbLb1EES1E_EEDaS19_S1A_EUlS19_E_NS1_11comp_targetILNS1_3genE3ELNS1_11target_archE908ELNS1_3gpuE7ELNS1_3repE0EEENS1_30default_config_static_selectorELNS0_4arch9wavefront6targetE1EEEvT1_, .Lfunc_end1306-_ZN7rocprim17ROCPRIM_400000_NS6detail17trampoline_kernelINS0_14default_configENS1_25partition_config_selectorILNS1_17partition_subalgoE8ElNS0_10empty_typeEbEEZZNS1_14partition_implILS5_8ELb0ES3_jPlPS6_PKS6_NS0_5tupleIJS9_S6_EEENSD_IJSA_SA_EEENS0_18inequality_wrapperIZN2at6native12_GLOBAL__N_124unique_dim_cuda_templateIN3c104HalfEEESt5tupleIJNSH_6TensorESO_SO_EERKSO_lbbbEUlllE0_EEPmJS6_EEE10hipError_tPvRmT3_T4_T5_T6_T7_T9_mT8_P12ihipStream_tbDpT10_ENKUlT_T0_E_clISt17integral_constantIbLb1EES1E_EEDaS19_S1A_EUlS19_E_NS1_11comp_targetILNS1_3genE3ELNS1_11target_archE908ELNS1_3gpuE7ELNS1_3repE0EEENS1_30default_config_static_selectorELNS0_4arch9wavefront6targetE1EEEvT1_
                                        ; -- End function
	.section	.AMDGPU.csdata,"",@progbits
; Kernel info:
; codeLenInByte = 0
; NumSgprs: 4
; NumVgprs: 0
; NumAgprs: 0
; TotalNumVgprs: 0
; ScratchSize: 0
; MemoryBound: 0
; FloatMode: 240
; IeeeMode: 1
; LDSByteSize: 0 bytes/workgroup (compile time only)
; SGPRBlocks: 0
; VGPRBlocks: 0
; NumSGPRsForWavesPerEU: 4
; NumVGPRsForWavesPerEU: 1
; AccumOffset: 4
; Occupancy: 8
; WaveLimiterHint : 0
; COMPUTE_PGM_RSRC2:SCRATCH_EN: 0
; COMPUTE_PGM_RSRC2:USER_SGPR: 6
; COMPUTE_PGM_RSRC2:TRAP_HANDLER: 0
; COMPUTE_PGM_RSRC2:TGID_X_EN: 1
; COMPUTE_PGM_RSRC2:TGID_Y_EN: 0
; COMPUTE_PGM_RSRC2:TGID_Z_EN: 0
; COMPUTE_PGM_RSRC2:TIDIG_COMP_CNT: 0
; COMPUTE_PGM_RSRC3_GFX90A:ACCUM_OFFSET: 0
; COMPUTE_PGM_RSRC3_GFX90A:TG_SPLIT: 0
	.section	.text._ZN7rocprim17ROCPRIM_400000_NS6detail17trampoline_kernelINS0_14default_configENS1_25partition_config_selectorILNS1_17partition_subalgoE8ElNS0_10empty_typeEbEEZZNS1_14partition_implILS5_8ELb0ES3_jPlPS6_PKS6_NS0_5tupleIJS9_S6_EEENSD_IJSA_SA_EEENS0_18inequality_wrapperIZN2at6native12_GLOBAL__N_124unique_dim_cuda_templateIN3c104HalfEEESt5tupleIJNSH_6TensorESO_SO_EERKSO_lbbbEUlllE0_EEPmJS6_EEE10hipError_tPvRmT3_T4_T5_T6_T7_T9_mT8_P12ihipStream_tbDpT10_ENKUlT_T0_E_clISt17integral_constantIbLb1EES1E_EEDaS19_S1A_EUlS19_E_NS1_11comp_targetILNS1_3genE2ELNS1_11target_archE906ELNS1_3gpuE6ELNS1_3repE0EEENS1_30default_config_static_selectorELNS0_4arch9wavefront6targetE1EEEvT1_,"axG",@progbits,_ZN7rocprim17ROCPRIM_400000_NS6detail17trampoline_kernelINS0_14default_configENS1_25partition_config_selectorILNS1_17partition_subalgoE8ElNS0_10empty_typeEbEEZZNS1_14partition_implILS5_8ELb0ES3_jPlPS6_PKS6_NS0_5tupleIJS9_S6_EEENSD_IJSA_SA_EEENS0_18inequality_wrapperIZN2at6native12_GLOBAL__N_124unique_dim_cuda_templateIN3c104HalfEEESt5tupleIJNSH_6TensorESO_SO_EERKSO_lbbbEUlllE0_EEPmJS6_EEE10hipError_tPvRmT3_T4_T5_T6_T7_T9_mT8_P12ihipStream_tbDpT10_ENKUlT_T0_E_clISt17integral_constantIbLb1EES1E_EEDaS19_S1A_EUlS19_E_NS1_11comp_targetILNS1_3genE2ELNS1_11target_archE906ELNS1_3gpuE6ELNS1_3repE0EEENS1_30default_config_static_selectorELNS0_4arch9wavefront6targetE1EEEvT1_,comdat
	.globl	_ZN7rocprim17ROCPRIM_400000_NS6detail17trampoline_kernelINS0_14default_configENS1_25partition_config_selectorILNS1_17partition_subalgoE8ElNS0_10empty_typeEbEEZZNS1_14partition_implILS5_8ELb0ES3_jPlPS6_PKS6_NS0_5tupleIJS9_S6_EEENSD_IJSA_SA_EEENS0_18inequality_wrapperIZN2at6native12_GLOBAL__N_124unique_dim_cuda_templateIN3c104HalfEEESt5tupleIJNSH_6TensorESO_SO_EERKSO_lbbbEUlllE0_EEPmJS6_EEE10hipError_tPvRmT3_T4_T5_T6_T7_T9_mT8_P12ihipStream_tbDpT10_ENKUlT_T0_E_clISt17integral_constantIbLb1EES1E_EEDaS19_S1A_EUlS19_E_NS1_11comp_targetILNS1_3genE2ELNS1_11target_archE906ELNS1_3gpuE6ELNS1_3repE0EEENS1_30default_config_static_selectorELNS0_4arch9wavefront6targetE1EEEvT1_ ; -- Begin function _ZN7rocprim17ROCPRIM_400000_NS6detail17trampoline_kernelINS0_14default_configENS1_25partition_config_selectorILNS1_17partition_subalgoE8ElNS0_10empty_typeEbEEZZNS1_14partition_implILS5_8ELb0ES3_jPlPS6_PKS6_NS0_5tupleIJS9_S6_EEENSD_IJSA_SA_EEENS0_18inequality_wrapperIZN2at6native12_GLOBAL__N_124unique_dim_cuda_templateIN3c104HalfEEESt5tupleIJNSH_6TensorESO_SO_EERKSO_lbbbEUlllE0_EEPmJS6_EEE10hipError_tPvRmT3_T4_T5_T6_T7_T9_mT8_P12ihipStream_tbDpT10_ENKUlT_T0_E_clISt17integral_constantIbLb1EES1E_EEDaS19_S1A_EUlS19_E_NS1_11comp_targetILNS1_3genE2ELNS1_11target_archE906ELNS1_3gpuE6ELNS1_3repE0EEENS1_30default_config_static_selectorELNS0_4arch9wavefront6targetE1EEEvT1_
	.p2align	8
	.type	_ZN7rocprim17ROCPRIM_400000_NS6detail17trampoline_kernelINS0_14default_configENS1_25partition_config_selectorILNS1_17partition_subalgoE8ElNS0_10empty_typeEbEEZZNS1_14partition_implILS5_8ELb0ES3_jPlPS6_PKS6_NS0_5tupleIJS9_S6_EEENSD_IJSA_SA_EEENS0_18inequality_wrapperIZN2at6native12_GLOBAL__N_124unique_dim_cuda_templateIN3c104HalfEEESt5tupleIJNSH_6TensorESO_SO_EERKSO_lbbbEUlllE0_EEPmJS6_EEE10hipError_tPvRmT3_T4_T5_T6_T7_T9_mT8_P12ihipStream_tbDpT10_ENKUlT_T0_E_clISt17integral_constantIbLb1EES1E_EEDaS19_S1A_EUlS19_E_NS1_11comp_targetILNS1_3genE2ELNS1_11target_archE906ELNS1_3gpuE6ELNS1_3repE0EEENS1_30default_config_static_selectorELNS0_4arch9wavefront6targetE1EEEvT1_,@function
_ZN7rocprim17ROCPRIM_400000_NS6detail17trampoline_kernelINS0_14default_configENS1_25partition_config_selectorILNS1_17partition_subalgoE8ElNS0_10empty_typeEbEEZZNS1_14partition_implILS5_8ELb0ES3_jPlPS6_PKS6_NS0_5tupleIJS9_S6_EEENSD_IJSA_SA_EEENS0_18inequality_wrapperIZN2at6native12_GLOBAL__N_124unique_dim_cuda_templateIN3c104HalfEEESt5tupleIJNSH_6TensorESO_SO_EERKSO_lbbbEUlllE0_EEPmJS6_EEE10hipError_tPvRmT3_T4_T5_T6_T7_T9_mT8_P12ihipStream_tbDpT10_ENKUlT_T0_E_clISt17integral_constantIbLb1EES1E_EEDaS19_S1A_EUlS19_E_NS1_11comp_targetILNS1_3genE2ELNS1_11target_archE906ELNS1_3gpuE6ELNS1_3repE0EEENS1_30default_config_static_selectorELNS0_4arch9wavefront6targetE1EEEvT1_: ; @_ZN7rocprim17ROCPRIM_400000_NS6detail17trampoline_kernelINS0_14default_configENS1_25partition_config_selectorILNS1_17partition_subalgoE8ElNS0_10empty_typeEbEEZZNS1_14partition_implILS5_8ELb0ES3_jPlPS6_PKS6_NS0_5tupleIJS9_S6_EEENSD_IJSA_SA_EEENS0_18inequality_wrapperIZN2at6native12_GLOBAL__N_124unique_dim_cuda_templateIN3c104HalfEEESt5tupleIJNSH_6TensorESO_SO_EERKSO_lbbbEUlllE0_EEPmJS6_EEE10hipError_tPvRmT3_T4_T5_T6_T7_T9_mT8_P12ihipStream_tbDpT10_ENKUlT_T0_E_clISt17integral_constantIbLb1EES1E_EEDaS19_S1A_EUlS19_E_NS1_11comp_targetILNS1_3genE2ELNS1_11target_archE906ELNS1_3gpuE6ELNS1_3repE0EEENS1_30default_config_static_selectorELNS0_4arch9wavefront6targetE1EEEvT1_
; %bb.0:
	.section	.rodata,"a",@progbits
	.p2align	6, 0x0
	.amdhsa_kernel _ZN7rocprim17ROCPRIM_400000_NS6detail17trampoline_kernelINS0_14default_configENS1_25partition_config_selectorILNS1_17partition_subalgoE8ElNS0_10empty_typeEbEEZZNS1_14partition_implILS5_8ELb0ES3_jPlPS6_PKS6_NS0_5tupleIJS9_S6_EEENSD_IJSA_SA_EEENS0_18inequality_wrapperIZN2at6native12_GLOBAL__N_124unique_dim_cuda_templateIN3c104HalfEEESt5tupleIJNSH_6TensorESO_SO_EERKSO_lbbbEUlllE0_EEPmJS6_EEE10hipError_tPvRmT3_T4_T5_T6_T7_T9_mT8_P12ihipStream_tbDpT10_ENKUlT_T0_E_clISt17integral_constantIbLb1EES1E_EEDaS19_S1A_EUlS19_E_NS1_11comp_targetILNS1_3genE2ELNS1_11target_archE906ELNS1_3gpuE6ELNS1_3repE0EEENS1_30default_config_static_selectorELNS0_4arch9wavefront6targetE1EEEvT1_
		.amdhsa_group_segment_fixed_size 0
		.amdhsa_private_segment_fixed_size 0
		.amdhsa_kernarg_size 136
		.amdhsa_user_sgpr_count 6
		.amdhsa_user_sgpr_private_segment_buffer 1
		.amdhsa_user_sgpr_dispatch_ptr 0
		.amdhsa_user_sgpr_queue_ptr 0
		.amdhsa_user_sgpr_kernarg_segment_ptr 1
		.amdhsa_user_sgpr_dispatch_id 0
		.amdhsa_user_sgpr_flat_scratch_init 0
		.amdhsa_user_sgpr_kernarg_preload_length 0
		.amdhsa_user_sgpr_kernarg_preload_offset 0
		.amdhsa_user_sgpr_private_segment_size 0
		.amdhsa_uses_dynamic_stack 0
		.amdhsa_system_sgpr_private_segment_wavefront_offset 0
		.amdhsa_system_sgpr_workgroup_id_x 1
		.amdhsa_system_sgpr_workgroup_id_y 0
		.amdhsa_system_sgpr_workgroup_id_z 0
		.amdhsa_system_sgpr_workgroup_info 0
		.amdhsa_system_vgpr_workitem_id 0
		.amdhsa_next_free_vgpr 1
		.amdhsa_next_free_sgpr 0
		.amdhsa_accum_offset 4
		.amdhsa_reserve_vcc 0
		.amdhsa_reserve_flat_scratch 0
		.amdhsa_float_round_mode_32 0
		.amdhsa_float_round_mode_16_64 0
		.amdhsa_float_denorm_mode_32 3
		.amdhsa_float_denorm_mode_16_64 3
		.amdhsa_dx10_clamp 1
		.amdhsa_ieee_mode 1
		.amdhsa_fp16_overflow 0
		.amdhsa_tg_split 0
		.amdhsa_exception_fp_ieee_invalid_op 0
		.amdhsa_exception_fp_denorm_src 0
		.amdhsa_exception_fp_ieee_div_zero 0
		.amdhsa_exception_fp_ieee_overflow 0
		.amdhsa_exception_fp_ieee_underflow 0
		.amdhsa_exception_fp_ieee_inexact 0
		.amdhsa_exception_int_div_zero 0
	.end_amdhsa_kernel
	.section	.text._ZN7rocprim17ROCPRIM_400000_NS6detail17trampoline_kernelINS0_14default_configENS1_25partition_config_selectorILNS1_17partition_subalgoE8ElNS0_10empty_typeEbEEZZNS1_14partition_implILS5_8ELb0ES3_jPlPS6_PKS6_NS0_5tupleIJS9_S6_EEENSD_IJSA_SA_EEENS0_18inequality_wrapperIZN2at6native12_GLOBAL__N_124unique_dim_cuda_templateIN3c104HalfEEESt5tupleIJNSH_6TensorESO_SO_EERKSO_lbbbEUlllE0_EEPmJS6_EEE10hipError_tPvRmT3_T4_T5_T6_T7_T9_mT8_P12ihipStream_tbDpT10_ENKUlT_T0_E_clISt17integral_constantIbLb1EES1E_EEDaS19_S1A_EUlS19_E_NS1_11comp_targetILNS1_3genE2ELNS1_11target_archE906ELNS1_3gpuE6ELNS1_3repE0EEENS1_30default_config_static_selectorELNS0_4arch9wavefront6targetE1EEEvT1_,"axG",@progbits,_ZN7rocprim17ROCPRIM_400000_NS6detail17trampoline_kernelINS0_14default_configENS1_25partition_config_selectorILNS1_17partition_subalgoE8ElNS0_10empty_typeEbEEZZNS1_14partition_implILS5_8ELb0ES3_jPlPS6_PKS6_NS0_5tupleIJS9_S6_EEENSD_IJSA_SA_EEENS0_18inequality_wrapperIZN2at6native12_GLOBAL__N_124unique_dim_cuda_templateIN3c104HalfEEESt5tupleIJNSH_6TensorESO_SO_EERKSO_lbbbEUlllE0_EEPmJS6_EEE10hipError_tPvRmT3_T4_T5_T6_T7_T9_mT8_P12ihipStream_tbDpT10_ENKUlT_T0_E_clISt17integral_constantIbLb1EES1E_EEDaS19_S1A_EUlS19_E_NS1_11comp_targetILNS1_3genE2ELNS1_11target_archE906ELNS1_3gpuE6ELNS1_3repE0EEENS1_30default_config_static_selectorELNS0_4arch9wavefront6targetE1EEEvT1_,comdat
.Lfunc_end1307:
	.size	_ZN7rocprim17ROCPRIM_400000_NS6detail17trampoline_kernelINS0_14default_configENS1_25partition_config_selectorILNS1_17partition_subalgoE8ElNS0_10empty_typeEbEEZZNS1_14partition_implILS5_8ELb0ES3_jPlPS6_PKS6_NS0_5tupleIJS9_S6_EEENSD_IJSA_SA_EEENS0_18inequality_wrapperIZN2at6native12_GLOBAL__N_124unique_dim_cuda_templateIN3c104HalfEEESt5tupleIJNSH_6TensorESO_SO_EERKSO_lbbbEUlllE0_EEPmJS6_EEE10hipError_tPvRmT3_T4_T5_T6_T7_T9_mT8_P12ihipStream_tbDpT10_ENKUlT_T0_E_clISt17integral_constantIbLb1EES1E_EEDaS19_S1A_EUlS19_E_NS1_11comp_targetILNS1_3genE2ELNS1_11target_archE906ELNS1_3gpuE6ELNS1_3repE0EEENS1_30default_config_static_selectorELNS0_4arch9wavefront6targetE1EEEvT1_, .Lfunc_end1307-_ZN7rocprim17ROCPRIM_400000_NS6detail17trampoline_kernelINS0_14default_configENS1_25partition_config_selectorILNS1_17partition_subalgoE8ElNS0_10empty_typeEbEEZZNS1_14partition_implILS5_8ELb0ES3_jPlPS6_PKS6_NS0_5tupleIJS9_S6_EEENSD_IJSA_SA_EEENS0_18inequality_wrapperIZN2at6native12_GLOBAL__N_124unique_dim_cuda_templateIN3c104HalfEEESt5tupleIJNSH_6TensorESO_SO_EERKSO_lbbbEUlllE0_EEPmJS6_EEE10hipError_tPvRmT3_T4_T5_T6_T7_T9_mT8_P12ihipStream_tbDpT10_ENKUlT_T0_E_clISt17integral_constantIbLb1EES1E_EEDaS19_S1A_EUlS19_E_NS1_11comp_targetILNS1_3genE2ELNS1_11target_archE906ELNS1_3gpuE6ELNS1_3repE0EEENS1_30default_config_static_selectorELNS0_4arch9wavefront6targetE1EEEvT1_
                                        ; -- End function
	.section	.AMDGPU.csdata,"",@progbits
; Kernel info:
; codeLenInByte = 0
; NumSgprs: 4
; NumVgprs: 0
; NumAgprs: 0
; TotalNumVgprs: 0
; ScratchSize: 0
; MemoryBound: 0
; FloatMode: 240
; IeeeMode: 1
; LDSByteSize: 0 bytes/workgroup (compile time only)
; SGPRBlocks: 0
; VGPRBlocks: 0
; NumSGPRsForWavesPerEU: 4
; NumVGPRsForWavesPerEU: 1
; AccumOffset: 4
; Occupancy: 8
; WaveLimiterHint : 0
; COMPUTE_PGM_RSRC2:SCRATCH_EN: 0
; COMPUTE_PGM_RSRC2:USER_SGPR: 6
; COMPUTE_PGM_RSRC2:TRAP_HANDLER: 0
; COMPUTE_PGM_RSRC2:TGID_X_EN: 1
; COMPUTE_PGM_RSRC2:TGID_Y_EN: 0
; COMPUTE_PGM_RSRC2:TGID_Z_EN: 0
; COMPUTE_PGM_RSRC2:TIDIG_COMP_CNT: 0
; COMPUTE_PGM_RSRC3_GFX90A:ACCUM_OFFSET: 0
; COMPUTE_PGM_RSRC3_GFX90A:TG_SPLIT: 0
	.section	.text._ZN7rocprim17ROCPRIM_400000_NS6detail17trampoline_kernelINS0_14default_configENS1_25partition_config_selectorILNS1_17partition_subalgoE8ElNS0_10empty_typeEbEEZZNS1_14partition_implILS5_8ELb0ES3_jPlPS6_PKS6_NS0_5tupleIJS9_S6_EEENSD_IJSA_SA_EEENS0_18inequality_wrapperIZN2at6native12_GLOBAL__N_124unique_dim_cuda_templateIN3c104HalfEEESt5tupleIJNSH_6TensorESO_SO_EERKSO_lbbbEUlllE0_EEPmJS6_EEE10hipError_tPvRmT3_T4_T5_T6_T7_T9_mT8_P12ihipStream_tbDpT10_ENKUlT_T0_E_clISt17integral_constantIbLb1EES1E_EEDaS19_S1A_EUlS19_E_NS1_11comp_targetILNS1_3genE10ELNS1_11target_archE1200ELNS1_3gpuE4ELNS1_3repE0EEENS1_30default_config_static_selectorELNS0_4arch9wavefront6targetE1EEEvT1_,"axG",@progbits,_ZN7rocprim17ROCPRIM_400000_NS6detail17trampoline_kernelINS0_14default_configENS1_25partition_config_selectorILNS1_17partition_subalgoE8ElNS0_10empty_typeEbEEZZNS1_14partition_implILS5_8ELb0ES3_jPlPS6_PKS6_NS0_5tupleIJS9_S6_EEENSD_IJSA_SA_EEENS0_18inequality_wrapperIZN2at6native12_GLOBAL__N_124unique_dim_cuda_templateIN3c104HalfEEESt5tupleIJNSH_6TensorESO_SO_EERKSO_lbbbEUlllE0_EEPmJS6_EEE10hipError_tPvRmT3_T4_T5_T6_T7_T9_mT8_P12ihipStream_tbDpT10_ENKUlT_T0_E_clISt17integral_constantIbLb1EES1E_EEDaS19_S1A_EUlS19_E_NS1_11comp_targetILNS1_3genE10ELNS1_11target_archE1200ELNS1_3gpuE4ELNS1_3repE0EEENS1_30default_config_static_selectorELNS0_4arch9wavefront6targetE1EEEvT1_,comdat
	.globl	_ZN7rocprim17ROCPRIM_400000_NS6detail17trampoline_kernelINS0_14default_configENS1_25partition_config_selectorILNS1_17partition_subalgoE8ElNS0_10empty_typeEbEEZZNS1_14partition_implILS5_8ELb0ES3_jPlPS6_PKS6_NS0_5tupleIJS9_S6_EEENSD_IJSA_SA_EEENS0_18inequality_wrapperIZN2at6native12_GLOBAL__N_124unique_dim_cuda_templateIN3c104HalfEEESt5tupleIJNSH_6TensorESO_SO_EERKSO_lbbbEUlllE0_EEPmJS6_EEE10hipError_tPvRmT3_T4_T5_T6_T7_T9_mT8_P12ihipStream_tbDpT10_ENKUlT_T0_E_clISt17integral_constantIbLb1EES1E_EEDaS19_S1A_EUlS19_E_NS1_11comp_targetILNS1_3genE10ELNS1_11target_archE1200ELNS1_3gpuE4ELNS1_3repE0EEENS1_30default_config_static_selectorELNS0_4arch9wavefront6targetE1EEEvT1_ ; -- Begin function _ZN7rocprim17ROCPRIM_400000_NS6detail17trampoline_kernelINS0_14default_configENS1_25partition_config_selectorILNS1_17partition_subalgoE8ElNS0_10empty_typeEbEEZZNS1_14partition_implILS5_8ELb0ES3_jPlPS6_PKS6_NS0_5tupleIJS9_S6_EEENSD_IJSA_SA_EEENS0_18inequality_wrapperIZN2at6native12_GLOBAL__N_124unique_dim_cuda_templateIN3c104HalfEEESt5tupleIJNSH_6TensorESO_SO_EERKSO_lbbbEUlllE0_EEPmJS6_EEE10hipError_tPvRmT3_T4_T5_T6_T7_T9_mT8_P12ihipStream_tbDpT10_ENKUlT_T0_E_clISt17integral_constantIbLb1EES1E_EEDaS19_S1A_EUlS19_E_NS1_11comp_targetILNS1_3genE10ELNS1_11target_archE1200ELNS1_3gpuE4ELNS1_3repE0EEENS1_30default_config_static_selectorELNS0_4arch9wavefront6targetE1EEEvT1_
	.p2align	8
	.type	_ZN7rocprim17ROCPRIM_400000_NS6detail17trampoline_kernelINS0_14default_configENS1_25partition_config_selectorILNS1_17partition_subalgoE8ElNS0_10empty_typeEbEEZZNS1_14partition_implILS5_8ELb0ES3_jPlPS6_PKS6_NS0_5tupleIJS9_S6_EEENSD_IJSA_SA_EEENS0_18inequality_wrapperIZN2at6native12_GLOBAL__N_124unique_dim_cuda_templateIN3c104HalfEEESt5tupleIJNSH_6TensorESO_SO_EERKSO_lbbbEUlllE0_EEPmJS6_EEE10hipError_tPvRmT3_T4_T5_T6_T7_T9_mT8_P12ihipStream_tbDpT10_ENKUlT_T0_E_clISt17integral_constantIbLb1EES1E_EEDaS19_S1A_EUlS19_E_NS1_11comp_targetILNS1_3genE10ELNS1_11target_archE1200ELNS1_3gpuE4ELNS1_3repE0EEENS1_30default_config_static_selectorELNS0_4arch9wavefront6targetE1EEEvT1_,@function
_ZN7rocprim17ROCPRIM_400000_NS6detail17trampoline_kernelINS0_14default_configENS1_25partition_config_selectorILNS1_17partition_subalgoE8ElNS0_10empty_typeEbEEZZNS1_14partition_implILS5_8ELb0ES3_jPlPS6_PKS6_NS0_5tupleIJS9_S6_EEENSD_IJSA_SA_EEENS0_18inequality_wrapperIZN2at6native12_GLOBAL__N_124unique_dim_cuda_templateIN3c104HalfEEESt5tupleIJNSH_6TensorESO_SO_EERKSO_lbbbEUlllE0_EEPmJS6_EEE10hipError_tPvRmT3_T4_T5_T6_T7_T9_mT8_P12ihipStream_tbDpT10_ENKUlT_T0_E_clISt17integral_constantIbLb1EES1E_EEDaS19_S1A_EUlS19_E_NS1_11comp_targetILNS1_3genE10ELNS1_11target_archE1200ELNS1_3gpuE4ELNS1_3repE0EEENS1_30default_config_static_selectorELNS0_4arch9wavefront6targetE1EEEvT1_: ; @_ZN7rocprim17ROCPRIM_400000_NS6detail17trampoline_kernelINS0_14default_configENS1_25partition_config_selectorILNS1_17partition_subalgoE8ElNS0_10empty_typeEbEEZZNS1_14partition_implILS5_8ELb0ES3_jPlPS6_PKS6_NS0_5tupleIJS9_S6_EEENSD_IJSA_SA_EEENS0_18inequality_wrapperIZN2at6native12_GLOBAL__N_124unique_dim_cuda_templateIN3c104HalfEEESt5tupleIJNSH_6TensorESO_SO_EERKSO_lbbbEUlllE0_EEPmJS6_EEE10hipError_tPvRmT3_T4_T5_T6_T7_T9_mT8_P12ihipStream_tbDpT10_ENKUlT_T0_E_clISt17integral_constantIbLb1EES1E_EEDaS19_S1A_EUlS19_E_NS1_11comp_targetILNS1_3genE10ELNS1_11target_archE1200ELNS1_3gpuE4ELNS1_3repE0EEENS1_30default_config_static_selectorELNS0_4arch9wavefront6targetE1EEEvT1_
; %bb.0:
	.section	.rodata,"a",@progbits
	.p2align	6, 0x0
	.amdhsa_kernel _ZN7rocprim17ROCPRIM_400000_NS6detail17trampoline_kernelINS0_14default_configENS1_25partition_config_selectorILNS1_17partition_subalgoE8ElNS0_10empty_typeEbEEZZNS1_14partition_implILS5_8ELb0ES3_jPlPS6_PKS6_NS0_5tupleIJS9_S6_EEENSD_IJSA_SA_EEENS0_18inequality_wrapperIZN2at6native12_GLOBAL__N_124unique_dim_cuda_templateIN3c104HalfEEESt5tupleIJNSH_6TensorESO_SO_EERKSO_lbbbEUlllE0_EEPmJS6_EEE10hipError_tPvRmT3_T4_T5_T6_T7_T9_mT8_P12ihipStream_tbDpT10_ENKUlT_T0_E_clISt17integral_constantIbLb1EES1E_EEDaS19_S1A_EUlS19_E_NS1_11comp_targetILNS1_3genE10ELNS1_11target_archE1200ELNS1_3gpuE4ELNS1_3repE0EEENS1_30default_config_static_selectorELNS0_4arch9wavefront6targetE1EEEvT1_
		.amdhsa_group_segment_fixed_size 0
		.amdhsa_private_segment_fixed_size 0
		.amdhsa_kernarg_size 136
		.amdhsa_user_sgpr_count 6
		.amdhsa_user_sgpr_private_segment_buffer 1
		.amdhsa_user_sgpr_dispatch_ptr 0
		.amdhsa_user_sgpr_queue_ptr 0
		.amdhsa_user_sgpr_kernarg_segment_ptr 1
		.amdhsa_user_sgpr_dispatch_id 0
		.amdhsa_user_sgpr_flat_scratch_init 0
		.amdhsa_user_sgpr_kernarg_preload_length 0
		.amdhsa_user_sgpr_kernarg_preload_offset 0
		.amdhsa_user_sgpr_private_segment_size 0
		.amdhsa_uses_dynamic_stack 0
		.amdhsa_system_sgpr_private_segment_wavefront_offset 0
		.amdhsa_system_sgpr_workgroup_id_x 1
		.amdhsa_system_sgpr_workgroup_id_y 0
		.amdhsa_system_sgpr_workgroup_id_z 0
		.amdhsa_system_sgpr_workgroup_info 0
		.amdhsa_system_vgpr_workitem_id 0
		.amdhsa_next_free_vgpr 1
		.amdhsa_next_free_sgpr 0
		.amdhsa_accum_offset 4
		.amdhsa_reserve_vcc 0
		.amdhsa_reserve_flat_scratch 0
		.amdhsa_float_round_mode_32 0
		.amdhsa_float_round_mode_16_64 0
		.amdhsa_float_denorm_mode_32 3
		.amdhsa_float_denorm_mode_16_64 3
		.amdhsa_dx10_clamp 1
		.amdhsa_ieee_mode 1
		.amdhsa_fp16_overflow 0
		.amdhsa_tg_split 0
		.amdhsa_exception_fp_ieee_invalid_op 0
		.amdhsa_exception_fp_denorm_src 0
		.amdhsa_exception_fp_ieee_div_zero 0
		.amdhsa_exception_fp_ieee_overflow 0
		.amdhsa_exception_fp_ieee_underflow 0
		.amdhsa_exception_fp_ieee_inexact 0
		.amdhsa_exception_int_div_zero 0
	.end_amdhsa_kernel
	.section	.text._ZN7rocprim17ROCPRIM_400000_NS6detail17trampoline_kernelINS0_14default_configENS1_25partition_config_selectorILNS1_17partition_subalgoE8ElNS0_10empty_typeEbEEZZNS1_14partition_implILS5_8ELb0ES3_jPlPS6_PKS6_NS0_5tupleIJS9_S6_EEENSD_IJSA_SA_EEENS0_18inequality_wrapperIZN2at6native12_GLOBAL__N_124unique_dim_cuda_templateIN3c104HalfEEESt5tupleIJNSH_6TensorESO_SO_EERKSO_lbbbEUlllE0_EEPmJS6_EEE10hipError_tPvRmT3_T4_T5_T6_T7_T9_mT8_P12ihipStream_tbDpT10_ENKUlT_T0_E_clISt17integral_constantIbLb1EES1E_EEDaS19_S1A_EUlS19_E_NS1_11comp_targetILNS1_3genE10ELNS1_11target_archE1200ELNS1_3gpuE4ELNS1_3repE0EEENS1_30default_config_static_selectorELNS0_4arch9wavefront6targetE1EEEvT1_,"axG",@progbits,_ZN7rocprim17ROCPRIM_400000_NS6detail17trampoline_kernelINS0_14default_configENS1_25partition_config_selectorILNS1_17partition_subalgoE8ElNS0_10empty_typeEbEEZZNS1_14partition_implILS5_8ELb0ES3_jPlPS6_PKS6_NS0_5tupleIJS9_S6_EEENSD_IJSA_SA_EEENS0_18inequality_wrapperIZN2at6native12_GLOBAL__N_124unique_dim_cuda_templateIN3c104HalfEEESt5tupleIJNSH_6TensorESO_SO_EERKSO_lbbbEUlllE0_EEPmJS6_EEE10hipError_tPvRmT3_T4_T5_T6_T7_T9_mT8_P12ihipStream_tbDpT10_ENKUlT_T0_E_clISt17integral_constantIbLb1EES1E_EEDaS19_S1A_EUlS19_E_NS1_11comp_targetILNS1_3genE10ELNS1_11target_archE1200ELNS1_3gpuE4ELNS1_3repE0EEENS1_30default_config_static_selectorELNS0_4arch9wavefront6targetE1EEEvT1_,comdat
.Lfunc_end1308:
	.size	_ZN7rocprim17ROCPRIM_400000_NS6detail17trampoline_kernelINS0_14default_configENS1_25partition_config_selectorILNS1_17partition_subalgoE8ElNS0_10empty_typeEbEEZZNS1_14partition_implILS5_8ELb0ES3_jPlPS6_PKS6_NS0_5tupleIJS9_S6_EEENSD_IJSA_SA_EEENS0_18inequality_wrapperIZN2at6native12_GLOBAL__N_124unique_dim_cuda_templateIN3c104HalfEEESt5tupleIJNSH_6TensorESO_SO_EERKSO_lbbbEUlllE0_EEPmJS6_EEE10hipError_tPvRmT3_T4_T5_T6_T7_T9_mT8_P12ihipStream_tbDpT10_ENKUlT_T0_E_clISt17integral_constantIbLb1EES1E_EEDaS19_S1A_EUlS19_E_NS1_11comp_targetILNS1_3genE10ELNS1_11target_archE1200ELNS1_3gpuE4ELNS1_3repE0EEENS1_30default_config_static_selectorELNS0_4arch9wavefront6targetE1EEEvT1_, .Lfunc_end1308-_ZN7rocprim17ROCPRIM_400000_NS6detail17trampoline_kernelINS0_14default_configENS1_25partition_config_selectorILNS1_17partition_subalgoE8ElNS0_10empty_typeEbEEZZNS1_14partition_implILS5_8ELb0ES3_jPlPS6_PKS6_NS0_5tupleIJS9_S6_EEENSD_IJSA_SA_EEENS0_18inequality_wrapperIZN2at6native12_GLOBAL__N_124unique_dim_cuda_templateIN3c104HalfEEESt5tupleIJNSH_6TensorESO_SO_EERKSO_lbbbEUlllE0_EEPmJS6_EEE10hipError_tPvRmT3_T4_T5_T6_T7_T9_mT8_P12ihipStream_tbDpT10_ENKUlT_T0_E_clISt17integral_constantIbLb1EES1E_EEDaS19_S1A_EUlS19_E_NS1_11comp_targetILNS1_3genE10ELNS1_11target_archE1200ELNS1_3gpuE4ELNS1_3repE0EEENS1_30default_config_static_selectorELNS0_4arch9wavefront6targetE1EEEvT1_
                                        ; -- End function
	.section	.AMDGPU.csdata,"",@progbits
; Kernel info:
; codeLenInByte = 0
; NumSgprs: 4
; NumVgprs: 0
; NumAgprs: 0
; TotalNumVgprs: 0
; ScratchSize: 0
; MemoryBound: 0
; FloatMode: 240
; IeeeMode: 1
; LDSByteSize: 0 bytes/workgroup (compile time only)
; SGPRBlocks: 0
; VGPRBlocks: 0
; NumSGPRsForWavesPerEU: 4
; NumVGPRsForWavesPerEU: 1
; AccumOffset: 4
; Occupancy: 8
; WaveLimiterHint : 0
; COMPUTE_PGM_RSRC2:SCRATCH_EN: 0
; COMPUTE_PGM_RSRC2:USER_SGPR: 6
; COMPUTE_PGM_RSRC2:TRAP_HANDLER: 0
; COMPUTE_PGM_RSRC2:TGID_X_EN: 1
; COMPUTE_PGM_RSRC2:TGID_Y_EN: 0
; COMPUTE_PGM_RSRC2:TGID_Z_EN: 0
; COMPUTE_PGM_RSRC2:TIDIG_COMP_CNT: 0
; COMPUTE_PGM_RSRC3_GFX90A:ACCUM_OFFSET: 0
; COMPUTE_PGM_RSRC3_GFX90A:TG_SPLIT: 0
	.section	.text._ZN7rocprim17ROCPRIM_400000_NS6detail17trampoline_kernelINS0_14default_configENS1_25partition_config_selectorILNS1_17partition_subalgoE8ElNS0_10empty_typeEbEEZZNS1_14partition_implILS5_8ELb0ES3_jPlPS6_PKS6_NS0_5tupleIJS9_S6_EEENSD_IJSA_SA_EEENS0_18inequality_wrapperIZN2at6native12_GLOBAL__N_124unique_dim_cuda_templateIN3c104HalfEEESt5tupleIJNSH_6TensorESO_SO_EERKSO_lbbbEUlllE0_EEPmJS6_EEE10hipError_tPvRmT3_T4_T5_T6_T7_T9_mT8_P12ihipStream_tbDpT10_ENKUlT_T0_E_clISt17integral_constantIbLb1EES1E_EEDaS19_S1A_EUlS19_E_NS1_11comp_targetILNS1_3genE9ELNS1_11target_archE1100ELNS1_3gpuE3ELNS1_3repE0EEENS1_30default_config_static_selectorELNS0_4arch9wavefront6targetE1EEEvT1_,"axG",@progbits,_ZN7rocprim17ROCPRIM_400000_NS6detail17trampoline_kernelINS0_14default_configENS1_25partition_config_selectorILNS1_17partition_subalgoE8ElNS0_10empty_typeEbEEZZNS1_14partition_implILS5_8ELb0ES3_jPlPS6_PKS6_NS0_5tupleIJS9_S6_EEENSD_IJSA_SA_EEENS0_18inequality_wrapperIZN2at6native12_GLOBAL__N_124unique_dim_cuda_templateIN3c104HalfEEESt5tupleIJNSH_6TensorESO_SO_EERKSO_lbbbEUlllE0_EEPmJS6_EEE10hipError_tPvRmT3_T4_T5_T6_T7_T9_mT8_P12ihipStream_tbDpT10_ENKUlT_T0_E_clISt17integral_constantIbLb1EES1E_EEDaS19_S1A_EUlS19_E_NS1_11comp_targetILNS1_3genE9ELNS1_11target_archE1100ELNS1_3gpuE3ELNS1_3repE0EEENS1_30default_config_static_selectorELNS0_4arch9wavefront6targetE1EEEvT1_,comdat
	.globl	_ZN7rocprim17ROCPRIM_400000_NS6detail17trampoline_kernelINS0_14default_configENS1_25partition_config_selectorILNS1_17partition_subalgoE8ElNS0_10empty_typeEbEEZZNS1_14partition_implILS5_8ELb0ES3_jPlPS6_PKS6_NS0_5tupleIJS9_S6_EEENSD_IJSA_SA_EEENS0_18inequality_wrapperIZN2at6native12_GLOBAL__N_124unique_dim_cuda_templateIN3c104HalfEEESt5tupleIJNSH_6TensorESO_SO_EERKSO_lbbbEUlllE0_EEPmJS6_EEE10hipError_tPvRmT3_T4_T5_T6_T7_T9_mT8_P12ihipStream_tbDpT10_ENKUlT_T0_E_clISt17integral_constantIbLb1EES1E_EEDaS19_S1A_EUlS19_E_NS1_11comp_targetILNS1_3genE9ELNS1_11target_archE1100ELNS1_3gpuE3ELNS1_3repE0EEENS1_30default_config_static_selectorELNS0_4arch9wavefront6targetE1EEEvT1_ ; -- Begin function _ZN7rocprim17ROCPRIM_400000_NS6detail17trampoline_kernelINS0_14default_configENS1_25partition_config_selectorILNS1_17partition_subalgoE8ElNS0_10empty_typeEbEEZZNS1_14partition_implILS5_8ELb0ES3_jPlPS6_PKS6_NS0_5tupleIJS9_S6_EEENSD_IJSA_SA_EEENS0_18inequality_wrapperIZN2at6native12_GLOBAL__N_124unique_dim_cuda_templateIN3c104HalfEEESt5tupleIJNSH_6TensorESO_SO_EERKSO_lbbbEUlllE0_EEPmJS6_EEE10hipError_tPvRmT3_T4_T5_T6_T7_T9_mT8_P12ihipStream_tbDpT10_ENKUlT_T0_E_clISt17integral_constantIbLb1EES1E_EEDaS19_S1A_EUlS19_E_NS1_11comp_targetILNS1_3genE9ELNS1_11target_archE1100ELNS1_3gpuE3ELNS1_3repE0EEENS1_30default_config_static_selectorELNS0_4arch9wavefront6targetE1EEEvT1_
	.p2align	8
	.type	_ZN7rocprim17ROCPRIM_400000_NS6detail17trampoline_kernelINS0_14default_configENS1_25partition_config_selectorILNS1_17partition_subalgoE8ElNS0_10empty_typeEbEEZZNS1_14partition_implILS5_8ELb0ES3_jPlPS6_PKS6_NS0_5tupleIJS9_S6_EEENSD_IJSA_SA_EEENS0_18inequality_wrapperIZN2at6native12_GLOBAL__N_124unique_dim_cuda_templateIN3c104HalfEEESt5tupleIJNSH_6TensorESO_SO_EERKSO_lbbbEUlllE0_EEPmJS6_EEE10hipError_tPvRmT3_T4_T5_T6_T7_T9_mT8_P12ihipStream_tbDpT10_ENKUlT_T0_E_clISt17integral_constantIbLb1EES1E_EEDaS19_S1A_EUlS19_E_NS1_11comp_targetILNS1_3genE9ELNS1_11target_archE1100ELNS1_3gpuE3ELNS1_3repE0EEENS1_30default_config_static_selectorELNS0_4arch9wavefront6targetE1EEEvT1_,@function
_ZN7rocprim17ROCPRIM_400000_NS6detail17trampoline_kernelINS0_14default_configENS1_25partition_config_selectorILNS1_17partition_subalgoE8ElNS0_10empty_typeEbEEZZNS1_14partition_implILS5_8ELb0ES3_jPlPS6_PKS6_NS0_5tupleIJS9_S6_EEENSD_IJSA_SA_EEENS0_18inequality_wrapperIZN2at6native12_GLOBAL__N_124unique_dim_cuda_templateIN3c104HalfEEESt5tupleIJNSH_6TensorESO_SO_EERKSO_lbbbEUlllE0_EEPmJS6_EEE10hipError_tPvRmT3_T4_T5_T6_T7_T9_mT8_P12ihipStream_tbDpT10_ENKUlT_T0_E_clISt17integral_constantIbLb1EES1E_EEDaS19_S1A_EUlS19_E_NS1_11comp_targetILNS1_3genE9ELNS1_11target_archE1100ELNS1_3gpuE3ELNS1_3repE0EEENS1_30default_config_static_selectorELNS0_4arch9wavefront6targetE1EEEvT1_: ; @_ZN7rocprim17ROCPRIM_400000_NS6detail17trampoline_kernelINS0_14default_configENS1_25partition_config_selectorILNS1_17partition_subalgoE8ElNS0_10empty_typeEbEEZZNS1_14partition_implILS5_8ELb0ES3_jPlPS6_PKS6_NS0_5tupleIJS9_S6_EEENSD_IJSA_SA_EEENS0_18inequality_wrapperIZN2at6native12_GLOBAL__N_124unique_dim_cuda_templateIN3c104HalfEEESt5tupleIJNSH_6TensorESO_SO_EERKSO_lbbbEUlllE0_EEPmJS6_EEE10hipError_tPvRmT3_T4_T5_T6_T7_T9_mT8_P12ihipStream_tbDpT10_ENKUlT_T0_E_clISt17integral_constantIbLb1EES1E_EEDaS19_S1A_EUlS19_E_NS1_11comp_targetILNS1_3genE9ELNS1_11target_archE1100ELNS1_3gpuE3ELNS1_3repE0EEENS1_30default_config_static_selectorELNS0_4arch9wavefront6targetE1EEEvT1_
; %bb.0:
	.section	.rodata,"a",@progbits
	.p2align	6, 0x0
	.amdhsa_kernel _ZN7rocprim17ROCPRIM_400000_NS6detail17trampoline_kernelINS0_14default_configENS1_25partition_config_selectorILNS1_17partition_subalgoE8ElNS0_10empty_typeEbEEZZNS1_14partition_implILS5_8ELb0ES3_jPlPS6_PKS6_NS0_5tupleIJS9_S6_EEENSD_IJSA_SA_EEENS0_18inequality_wrapperIZN2at6native12_GLOBAL__N_124unique_dim_cuda_templateIN3c104HalfEEESt5tupleIJNSH_6TensorESO_SO_EERKSO_lbbbEUlllE0_EEPmJS6_EEE10hipError_tPvRmT3_T4_T5_T6_T7_T9_mT8_P12ihipStream_tbDpT10_ENKUlT_T0_E_clISt17integral_constantIbLb1EES1E_EEDaS19_S1A_EUlS19_E_NS1_11comp_targetILNS1_3genE9ELNS1_11target_archE1100ELNS1_3gpuE3ELNS1_3repE0EEENS1_30default_config_static_selectorELNS0_4arch9wavefront6targetE1EEEvT1_
		.amdhsa_group_segment_fixed_size 0
		.amdhsa_private_segment_fixed_size 0
		.amdhsa_kernarg_size 136
		.amdhsa_user_sgpr_count 6
		.amdhsa_user_sgpr_private_segment_buffer 1
		.amdhsa_user_sgpr_dispatch_ptr 0
		.amdhsa_user_sgpr_queue_ptr 0
		.amdhsa_user_sgpr_kernarg_segment_ptr 1
		.amdhsa_user_sgpr_dispatch_id 0
		.amdhsa_user_sgpr_flat_scratch_init 0
		.amdhsa_user_sgpr_kernarg_preload_length 0
		.amdhsa_user_sgpr_kernarg_preload_offset 0
		.amdhsa_user_sgpr_private_segment_size 0
		.amdhsa_uses_dynamic_stack 0
		.amdhsa_system_sgpr_private_segment_wavefront_offset 0
		.amdhsa_system_sgpr_workgroup_id_x 1
		.amdhsa_system_sgpr_workgroup_id_y 0
		.amdhsa_system_sgpr_workgroup_id_z 0
		.amdhsa_system_sgpr_workgroup_info 0
		.amdhsa_system_vgpr_workitem_id 0
		.amdhsa_next_free_vgpr 1
		.amdhsa_next_free_sgpr 0
		.amdhsa_accum_offset 4
		.amdhsa_reserve_vcc 0
		.amdhsa_reserve_flat_scratch 0
		.amdhsa_float_round_mode_32 0
		.amdhsa_float_round_mode_16_64 0
		.amdhsa_float_denorm_mode_32 3
		.amdhsa_float_denorm_mode_16_64 3
		.amdhsa_dx10_clamp 1
		.amdhsa_ieee_mode 1
		.amdhsa_fp16_overflow 0
		.amdhsa_tg_split 0
		.amdhsa_exception_fp_ieee_invalid_op 0
		.amdhsa_exception_fp_denorm_src 0
		.amdhsa_exception_fp_ieee_div_zero 0
		.amdhsa_exception_fp_ieee_overflow 0
		.amdhsa_exception_fp_ieee_underflow 0
		.amdhsa_exception_fp_ieee_inexact 0
		.amdhsa_exception_int_div_zero 0
	.end_amdhsa_kernel
	.section	.text._ZN7rocprim17ROCPRIM_400000_NS6detail17trampoline_kernelINS0_14default_configENS1_25partition_config_selectorILNS1_17partition_subalgoE8ElNS0_10empty_typeEbEEZZNS1_14partition_implILS5_8ELb0ES3_jPlPS6_PKS6_NS0_5tupleIJS9_S6_EEENSD_IJSA_SA_EEENS0_18inequality_wrapperIZN2at6native12_GLOBAL__N_124unique_dim_cuda_templateIN3c104HalfEEESt5tupleIJNSH_6TensorESO_SO_EERKSO_lbbbEUlllE0_EEPmJS6_EEE10hipError_tPvRmT3_T4_T5_T6_T7_T9_mT8_P12ihipStream_tbDpT10_ENKUlT_T0_E_clISt17integral_constantIbLb1EES1E_EEDaS19_S1A_EUlS19_E_NS1_11comp_targetILNS1_3genE9ELNS1_11target_archE1100ELNS1_3gpuE3ELNS1_3repE0EEENS1_30default_config_static_selectorELNS0_4arch9wavefront6targetE1EEEvT1_,"axG",@progbits,_ZN7rocprim17ROCPRIM_400000_NS6detail17trampoline_kernelINS0_14default_configENS1_25partition_config_selectorILNS1_17partition_subalgoE8ElNS0_10empty_typeEbEEZZNS1_14partition_implILS5_8ELb0ES3_jPlPS6_PKS6_NS0_5tupleIJS9_S6_EEENSD_IJSA_SA_EEENS0_18inequality_wrapperIZN2at6native12_GLOBAL__N_124unique_dim_cuda_templateIN3c104HalfEEESt5tupleIJNSH_6TensorESO_SO_EERKSO_lbbbEUlllE0_EEPmJS6_EEE10hipError_tPvRmT3_T4_T5_T6_T7_T9_mT8_P12ihipStream_tbDpT10_ENKUlT_T0_E_clISt17integral_constantIbLb1EES1E_EEDaS19_S1A_EUlS19_E_NS1_11comp_targetILNS1_3genE9ELNS1_11target_archE1100ELNS1_3gpuE3ELNS1_3repE0EEENS1_30default_config_static_selectorELNS0_4arch9wavefront6targetE1EEEvT1_,comdat
.Lfunc_end1309:
	.size	_ZN7rocprim17ROCPRIM_400000_NS6detail17trampoline_kernelINS0_14default_configENS1_25partition_config_selectorILNS1_17partition_subalgoE8ElNS0_10empty_typeEbEEZZNS1_14partition_implILS5_8ELb0ES3_jPlPS6_PKS6_NS0_5tupleIJS9_S6_EEENSD_IJSA_SA_EEENS0_18inequality_wrapperIZN2at6native12_GLOBAL__N_124unique_dim_cuda_templateIN3c104HalfEEESt5tupleIJNSH_6TensorESO_SO_EERKSO_lbbbEUlllE0_EEPmJS6_EEE10hipError_tPvRmT3_T4_T5_T6_T7_T9_mT8_P12ihipStream_tbDpT10_ENKUlT_T0_E_clISt17integral_constantIbLb1EES1E_EEDaS19_S1A_EUlS19_E_NS1_11comp_targetILNS1_3genE9ELNS1_11target_archE1100ELNS1_3gpuE3ELNS1_3repE0EEENS1_30default_config_static_selectorELNS0_4arch9wavefront6targetE1EEEvT1_, .Lfunc_end1309-_ZN7rocprim17ROCPRIM_400000_NS6detail17trampoline_kernelINS0_14default_configENS1_25partition_config_selectorILNS1_17partition_subalgoE8ElNS0_10empty_typeEbEEZZNS1_14partition_implILS5_8ELb0ES3_jPlPS6_PKS6_NS0_5tupleIJS9_S6_EEENSD_IJSA_SA_EEENS0_18inequality_wrapperIZN2at6native12_GLOBAL__N_124unique_dim_cuda_templateIN3c104HalfEEESt5tupleIJNSH_6TensorESO_SO_EERKSO_lbbbEUlllE0_EEPmJS6_EEE10hipError_tPvRmT3_T4_T5_T6_T7_T9_mT8_P12ihipStream_tbDpT10_ENKUlT_T0_E_clISt17integral_constantIbLb1EES1E_EEDaS19_S1A_EUlS19_E_NS1_11comp_targetILNS1_3genE9ELNS1_11target_archE1100ELNS1_3gpuE3ELNS1_3repE0EEENS1_30default_config_static_selectorELNS0_4arch9wavefront6targetE1EEEvT1_
                                        ; -- End function
	.section	.AMDGPU.csdata,"",@progbits
; Kernel info:
; codeLenInByte = 0
; NumSgprs: 4
; NumVgprs: 0
; NumAgprs: 0
; TotalNumVgprs: 0
; ScratchSize: 0
; MemoryBound: 0
; FloatMode: 240
; IeeeMode: 1
; LDSByteSize: 0 bytes/workgroup (compile time only)
; SGPRBlocks: 0
; VGPRBlocks: 0
; NumSGPRsForWavesPerEU: 4
; NumVGPRsForWavesPerEU: 1
; AccumOffset: 4
; Occupancy: 8
; WaveLimiterHint : 0
; COMPUTE_PGM_RSRC2:SCRATCH_EN: 0
; COMPUTE_PGM_RSRC2:USER_SGPR: 6
; COMPUTE_PGM_RSRC2:TRAP_HANDLER: 0
; COMPUTE_PGM_RSRC2:TGID_X_EN: 1
; COMPUTE_PGM_RSRC2:TGID_Y_EN: 0
; COMPUTE_PGM_RSRC2:TGID_Z_EN: 0
; COMPUTE_PGM_RSRC2:TIDIG_COMP_CNT: 0
; COMPUTE_PGM_RSRC3_GFX90A:ACCUM_OFFSET: 0
; COMPUTE_PGM_RSRC3_GFX90A:TG_SPLIT: 0
	.section	.text._ZN7rocprim17ROCPRIM_400000_NS6detail17trampoline_kernelINS0_14default_configENS1_25partition_config_selectorILNS1_17partition_subalgoE8ElNS0_10empty_typeEbEEZZNS1_14partition_implILS5_8ELb0ES3_jPlPS6_PKS6_NS0_5tupleIJS9_S6_EEENSD_IJSA_SA_EEENS0_18inequality_wrapperIZN2at6native12_GLOBAL__N_124unique_dim_cuda_templateIN3c104HalfEEESt5tupleIJNSH_6TensorESO_SO_EERKSO_lbbbEUlllE0_EEPmJS6_EEE10hipError_tPvRmT3_T4_T5_T6_T7_T9_mT8_P12ihipStream_tbDpT10_ENKUlT_T0_E_clISt17integral_constantIbLb1EES1E_EEDaS19_S1A_EUlS19_E_NS1_11comp_targetILNS1_3genE8ELNS1_11target_archE1030ELNS1_3gpuE2ELNS1_3repE0EEENS1_30default_config_static_selectorELNS0_4arch9wavefront6targetE1EEEvT1_,"axG",@progbits,_ZN7rocprim17ROCPRIM_400000_NS6detail17trampoline_kernelINS0_14default_configENS1_25partition_config_selectorILNS1_17partition_subalgoE8ElNS0_10empty_typeEbEEZZNS1_14partition_implILS5_8ELb0ES3_jPlPS6_PKS6_NS0_5tupleIJS9_S6_EEENSD_IJSA_SA_EEENS0_18inequality_wrapperIZN2at6native12_GLOBAL__N_124unique_dim_cuda_templateIN3c104HalfEEESt5tupleIJNSH_6TensorESO_SO_EERKSO_lbbbEUlllE0_EEPmJS6_EEE10hipError_tPvRmT3_T4_T5_T6_T7_T9_mT8_P12ihipStream_tbDpT10_ENKUlT_T0_E_clISt17integral_constantIbLb1EES1E_EEDaS19_S1A_EUlS19_E_NS1_11comp_targetILNS1_3genE8ELNS1_11target_archE1030ELNS1_3gpuE2ELNS1_3repE0EEENS1_30default_config_static_selectorELNS0_4arch9wavefront6targetE1EEEvT1_,comdat
	.globl	_ZN7rocprim17ROCPRIM_400000_NS6detail17trampoline_kernelINS0_14default_configENS1_25partition_config_selectorILNS1_17partition_subalgoE8ElNS0_10empty_typeEbEEZZNS1_14partition_implILS5_8ELb0ES3_jPlPS6_PKS6_NS0_5tupleIJS9_S6_EEENSD_IJSA_SA_EEENS0_18inequality_wrapperIZN2at6native12_GLOBAL__N_124unique_dim_cuda_templateIN3c104HalfEEESt5tupleIJNSH_6TensorESO_SO_EERKSO_lbbbEUlllE0_EEPmJS6_EEE10hipError_tPvRmT3_T4_T5_T6_T7_T9_mT8_P12ihipStream_tbDpT10_ENKUlT_T0_E_clISt17integral_constantIbLb1EES1E_EEDaS19_S1A_EUlS19_E_NS1_11comp_targetILNS1_3genE8ELNS1_11target_archE1030ELNS1_3gpuE2ELNS1_3repE0EEENS1_30default_config_static_selectorELNS0_4arch9wavefront6targetE1EEEvT1_ ; -- Begin function _ZN7rocprim17ROCPRIM_400000_NS6detail17trampoline_kernelINS0_14default_configENS1_25partition_config_selectorILNS1_17partition_subalgoE8ElNS0_10empty_typeEbEEZZNS1_14partition_implILS5_8ELb0ES3_jPlPS6_PKS6_NS0_5tupleIJS9_S6_EEENSD_IJSA_SA_EEENS0_18inequality_wrapperIZN2at6native12_GLOBAL__N_124unique_dim_cuda_templateIN3c104HalfEEESt5tupleIJNSH_6TensorESO_SO_EERKSO_lbbbEUlllE0_EEPmJS6_EEE10hipError_tPvRmT3_T4_T5_T6_T7_T9_mT8_P12ihipStream_tbDpT10_ENKUlT_T0_E_clISt17integral_constantIbLb1EES1E_EEDaS19_S1A_EUlS19_E_NS1_11comp_targetILNS1_3genE8ELNS1_11target_archE1030ELNS1_3gpuE2ELNS1_3repE0EEENS1_30default_config_static_selectorELNS0_4arch9wavefront6targetE1EEEvT1_
	.p2align	8
	.type	_ZN7rocprim17ROCPRIM_400000_NS6detail17trampoline_kernelINS0_14default_configENS1_25partition_config_selectorILNS1_17partition_subalgoE8ElNS0_10empty_typeEbEEZZNS1_14partition_implILS5_8ELb0ES3_jPlPS6_PKS6_NS0_5tupleIJS9_S6_EEENSD_IJSA_SA_EEENS0_18inequality_wrapperIZN2at6native12_GLOBAL__N_124unique_dim_cuda_templateIN3c104HalfEEESt5tupleIJNSH_6TensorESO_SO_EERKSO_lbbbEUlllE0_EEPmJS6_EEE10hipError_tPvRmT3_T4_T5_T6_T7_T9_mT8_P12ihipStream_tbDpT10_ENKUlT_T0_E_clISt17integral_constantIbLb1EES1E_EEDaS19_S1A_EUlS19_E_NS1_11comp_targetILNS1_3genE8ELNS1_11target_archE1030ELNS1_3gpuE2ELNS1_3repE0EEENS1_30default_config_static_selectorELNS0_4arch9wavefront6targetE1EEEvT1_,@function
_ZN7rocprim17ROCPRIM_400000_NS6detail17trampoline_kernelINS0_14default_configENS1_25partition_config_selectorILNS1_17partition_subalgoE8ElNS0_10empty_typeEbEEZZNS1_14partition_implILS5_8ELb0ES3_jPlPS6_PKS6_NS0_5tupleIJS9_S6_EEENSD_IJSA_SA_EEENS0_18inequality_wrapperIZN2at6native12_GLOBAL__N_124unique_dim_cuda_templateIN3c104HalfEEESt5tupleIJNSH_6TensorESO_SO_EERKSO_lbbbEUlllE0_EEPmJS6_EEE10hipError_tPvRmT3_T4_T5_T6_T7_T9_mT8_P12ihipStream_tbDpT10_ENKUlT_T0_E_clISt17integral_constantIbLb1EES1E_EEDaS19_S1A_EUlS19_E_NS1_11comp_targetILNS1_3genE8ELNS1_11target_archE1030ELNS1_3gpuE2ELNS1_3repE0EEENS1_30default_config_static_selectorELNS0_4arch9wavefront6targetE1EEEvT1_: ; @_ZN7rocprim17ROCPRIM_400000_NS6detail17trampoline_kernelINS0_14default_configENS1_25partition_config_selectorILNS1_17partition_subalgoE8ElNS0_10empty_typeEbEEZZNS1_14partition_implILS5_8ELb0ES3_jPlPS6_PKS6_NS0_5tupleIJS9_S6_EEENSD_IJSA_SA_EEENS0_18inequality_wrapperIZN2at6native12_GLOBAL__N_124unique_dim_cuda_templateIN3c104HalfEEESt5tupleIJNSH_6TensorESO_SO_EERKSO_lbbbEUlllE0_EEPmJS6_EEE10hipError_tPvRmT3_T4_T5_T6_T7_T9_mT8_P12ihipStream_tbDpT10_ENKUlT_T0_E_clISt17integral_constantIbLb1EES1E_EEDaS19_S1A_EUlS19_E_NS1_11comp_targetILNS1_3genE8ELNS1_11target_archE1030ELNS1_3gpuE2ELNS1_3repE0EEENS1_30default_config_static_selectorELNS0_4arch9wavefront6targetE1EEEvT1_
; %bb.0:
	.section	.rodata,"a",@progbits
	.p2align	6, 0x0
	.amdhsa_kernel _ZN7rocprim17ROCPRIM_400000_NS6detail17trampoline_kernelINS0_14default_configENS1_25partition_config_selectorILNS1_17partition_subalgoE8ElNS0_10empty_typeEbEEZZNS1_14partition_implILS5_8ELb0ES3_jPlPS6_PKS6_NS0_5tupleIJS9_S6_EEENSD_IJSA_SA_EEENS0_18inequality_wrapperIZN2at6native12_GLOBAL__N_124unique_dim_cuda_templateIN3c104HalfEEESt5tupleIJNSH_6TensorESO_SO_EERKSO_lbbbEUlllE0_EEPmJS6_EEE10hipError_tPvRmT3_T4_T5_T6_T7_T9_mT8_P12ihipStream_tbDpT10_ENKUlT_T0_E_clISt17integral_constantIbLb1EES1E_EEDaS19_S1A_EUlS19_E_NS1_11comp_targetILNS1_3genE8ELNS1_11target_archE1030ELNS1_3gpuE2ELNS1_3repE0EEENS1_30default_config_static_selectorELNS0_4arch9wavefront6targetE1EEEvT1_
		.amdhsa_group_segment_fixed_size 0
		.amdhsa_private_segment_fixed_size 0
		.amdhsa_kernarg_size 136
		.amdhsa_user_sgpr_count 6
		.amdhsa_user_sgpr_private_segment_buffer 1
		.amdhsa_user_sgpr_dispatch_ptr 0
		.amdhsa_user_sgpr_queue_ptr 0
		.amdhsa_user_sgpr_kernarg_segment_ptr 1
		.amdhsa_user_sgpr_dispatch_id 0
		.amdhsa_user_sgpr_flat_scratch_init 0
		.amdhsa_user_sgpr_kernarg_preload_length 0
		.amdhsa_user_sgpr_kernarg_preload_offset 0
		.amdhsa_user_sgpr_private_segment_size 0
		.amdhsa_uses_dynamic_stack 0
		.amdhsa_system_sgpr_private_segment_wavefront_offset 0
		.amdhsa_system_sgpr_workgroup_id_x 1
		.amdhsa_system_sgpr_workgroup_id_y 0
		.amdhsa_system_sgpr_workgroup_id_z 0
		.amdhsa_system_sgpr_workgroup_info 0
		.amdhsa_system_vgpr_workitem_id 0
		.amdhsa_next_free_vgpr 1
		.amdhsa_next_free_sgpr 0
		.amdhsa_accum_offset 4
		.amdhsa_reserve_vcc 0
		.amdhsa_reserve_flat_scratch 0
		.amdhsa_float_round_mode_32 0
		.amdhsa_float_round_mode_16_64 0
		.amdhsa_float_denorm_mode_32 3
		.amdhsa_float_denorm_mode_16_64 3
		.amdhsa_dx10_clamp 1
		.amdhsa_ieee_mode 1
		.amdhsa_fp16_overflow 0
		.amdhsa_tg_split 0
		.amdhsa_exception_fp_ieee_invalid_op 0
		.amdhsa_exception_fp_denorm_src 0
		.amdhsa_exception_fp_ieee_div_zero 0
		.amdhsa_exception_fp_ieee_overflow 0
		.amdhsa_exception_fp_ieee_underflow 0
		.amdhsa_exception_fp_ieee_inexact 0
		.amdhsa_exception_int_div_zero 0
	.end_amdhsa_kernel
	.section	.text._ZN7rocprim17ROCPRIM_400000_NS6detail17trampoline_kernelINS0_14default_configENS1_25partition_config_selectorILNS1_17partition_subalgoE8ElNS0_10empty_typeEbEEZZNS1_14partition_implILS5_8ELb0ES3_jPlPS6_PKS6_NS0_5tupleIJS9_S6_EEENSD_IJSA_SA_EEENS0_18inequality_wrapperIZN2at6native12_GLOBAL__N_124unique_dim_cuda_templateIN3c104HalfEEESt5tupleIJNSH_6TensorESO_SO_EERKSO_lbbbEUlllE0_EEPmJS6_EEE10hipError_tPvRmT3_T4_T5_T6_T7_T9_mT8_P12ihipStream_tbDpT10_ENKUlT_T0_E_clISt17integral_constantIbLb1EES1E_EEDaS19_S1A_EUlS19_E_NS1_11comp_targetILNS1_3genE8ELNS1_11target_archE1030ELNS1_3gpuE2ELNS1_3repE0EEENS1_30default_config_static_selectorELNS0_4arch9wavefront6targetE1EEEvT1_,"axG",@progbits,_ZN7rocprim17ROCPRIM_400000_NS6detail17trampoline_kernelINS0_14default_configENS1_25partition_config_selectorILNS1_17partition_subalgoE8ElNS0_10empty_typeEbEEZZNS1_14partition_implILS5_8ELb0ES3_jPlPS6_PKS6_NS0_5tupleIJS9_S6_EEENSD_IJSA_SA_EEENS0_18inequality_wrapperIZN2at6native12_GLOBAL__N_124unique_dim_cuda_templateIN3c104HalfEEESt5tupleIJNSH_6TensorESO_SO_EERKSO_lbbbEUlllE0_EEPmJS6_EEE10hipError_tPvRmT3_T4_T5_T6_T7_T9_mT8_P12ihipStream_tbDpT10_ENKUlT_T0_E_clISt17integral_constantIbLb1EES1E_EEDaS19_S1A_EUlS19_E_NS1_11comp_targetILNS1_3genE8ELNS1_11target_archE1030ELNS1_3gpuE2ELNS1_3repE0EEENS1_30default_config_static_selectorELNS0_4arch9wavefront6targetE1EEEvT1_,comdat
.Lfunc_end1310:
	.size	_ZN7rocprim17ROCPRIM_400000_NS6detail17trampoline_kernelINS0_14default_configENS1_25partition_config_selectorILNS1_17partition_subalgoE8ElNS0_10empty_typeEbEEZZNS1_14partition_implILS5_8ELb0ES3_jPlPS6_PKS6_NS0_5tupleIJS9_S6_EEENSD_IJSA_SA_EEENS0_18inequality_wrapperIZN2at6native12_GLOBAL__N_124unique_dim_cuda_templateIN3c104HalfEEESt5tupleIJNSH_6TensorESO_SO_EERKSO_lbbbEUlllE0_EEPmJS6_EEE10hipError_tPvRmT3_T4_T5_T6_T7_T9_mT8_P12ihipStream_tbDpT10_ENKUlT_T0_E_clISt17integral_constantIbLb1EES1E_EEDaS19_S1A_EUlS19_E_NS1_11comp_targetILNS1_3genE8ELNS1_11target_archE1030ELNS1_3gpuE2ELNS1_3repE0EEENS1_30default_config_static_selectorELNS0_4arch9wavefront6targetE1EEEvT1_, .Lfunc_end1310-_ZN7rocprim17ROCPRIM_400000_NS6detail17trampoline_kernelINS0_14default_configENS1_25partition_config_selectorILNS1_17partition_subalgoE8ElNS0_10empty_typeEbEEZZNS1_14partition_implILS5_8ELb0ES3_jPlPS6_PKS6_NS0_5tupleIJS9_S6_EEENSD_IJSA_SA_EEENS0_18inequality_wrapperIZN2at6native12_GLOBAL__N_124unique_dim_cuda_templateIN3c104HalfEEESt5tupleIJNSH_6TensorESO_SO_EERKSO_lbbbEUlllE0_EEPmJS6_EEE10hipError_tPvRmT3_T4_T5_T6_T7_T9_mT8_P12ihipStream_tbDpT10_ENKUlT_T0_E_clISt17integral_constantIbLb1EES1E_EEDaS19_S1A_EUlS19_E_NS1_11comp_targetILNS1_3genE8ELNS1_11target_archE1030ELNS1_3gpuE2ELNS1_3repE0EEENS1_30default_config_static_selectorELNS0_4arch9wavefront6targetE1EEEvT1_
                                        ; -- End function
	.section	.AMDGPU.csdata,"",@progbits
; Kernel info:
; codeLenInByte = 0
; NumSgprs: 4
; NumVgprs: 0
; NumAgprs: 0
; TotalNumVgprs: 0
; ScratchSize: 0
; MemoryBound: 0
; FloatMode: 240
; IeeeMode: 1
; LDSByteSize: 0 bytes/workgroup (compile time only)
; SGPRBlocks: 0
; VGPRBlocks: 0
; NumSGPRsForWavesPerEU: 4
; NumVGPRsForWavesPerEU: 1
; AccumOffset: 4
; Occupancy: 8
; WaveLimiterHint : 0
; COMPUTE_PGM_RSRC2:SCRATCH_EN: 0
; COMPUTE_PGM_RSRC2:USER_SGPR: 6
; COMPUTE_PGM_RSRC2:TRAP_HANDLER: 0
; COMPUTE_PGM_RSRC2:TGID_X_EN: 1
; COMPUTE_PGM_RSRC2:TGID_Y_EN: 0
; COMPUTE_PGM_RSRC2:TGID_Z_EN: 0
; COMPUTE_PGM_RSRC2:TIDIG_COMP_CNT: 0
; COMPUTE_PGM_RSRC3_GFX90A:ACCUM_OFFSET: 0
; COMPUTE_PGM_RSRC3_GFX90A:TG_SPLIT: 0
	.section	.text._ZN7rocprim17ROCPRIM_400000_NS6detail17trampoline_kernelINS0_14default_configENS1_25partition_config_selectorILNS1_17partition_subalgoE8ElNS0_10empty_typeEbEEZZNS1_14partition_implILS5_8ELb0ES3_jPlPS6_PKS6_NS0_5tupleIJS9_S6_EEENSD_IJSA_SA_EEENS0_18inequality_wrapperIZN2at6native12_GLOBAL__N_124unique_dim_cuda_templateIN3c104HalfEEESt5tupleIJNSH_6TensorESO_SO_EERKSO_lbbbEUlllE0_EEPmJS6_EEE10hipError_tPvRmT3_T4_T5_T6_T7_T9_mT8_P12ihipStream_tbDpT10_ENKUlT_T0_E_clISt17integral_constantIbLb1EES1D_IbLb0EEEEDaS19_S1A_EUlS19_E_NS1_11comp_targetILNS1_3genE0ELNS1_11target_archE4294967295ELNS1_3gpuE0ELNS1_3repE0EEENS1_30default_config_static_selectorELNS0_4arch9wavefront6targetE1EEEvT1_,"axG",@progbits,_ZN7rocprim17ROCPRIM_400000_NS6detail17trampoline_kernelINS0_14default_configENS1_25partition_config_selectorILNS1_17partition_subalgoE8ElNS0_10empty_typeEbEEZZNS1_14partition_implILS5_8ELb0ES3_jPlPS6_PKS6_NS0_5tupleIJS9_S6_EEENSD_IJSA_SA_EEENS0_18inequality_wrapperIZN2at6native12_GLOBAL__N_124unique_dim_cuda_templateIN3c104HalfEEESt5tupleIJNSH_6TensorESO_SO_EERKSO_lbbbEUlllE0_EEPmJS6_EEE10hipError_tPvRmT3_T4_T5_T6_T7_T9_mT8_P12ihipStream_tbDpT10_ENKUlT_T0_E_clISt17integral_constantIbLb1EES1D_IbLb0EEEEDaS19_S1A_EUlS19_E_NS1_11comp_targetILNS1_3genE0ELNS1_11target_archE4294967295ELNS1_3gpuE0ELNS1_3repE0EEENS1_30default_config_static_selectorELNS0_4arch9wavefront6targetE1EEEvT1_,comdat
	.globl	_ZN7rocprim17ROCPRIM_400000_NS6detail17trampoline_kernelINS0_14default_configENS1_25partition_config_selectorILNS1_17partition_subalgoE8ElNS0_10empty_typeEbEEZZNS1_14partition_implILS5_8ELb0ES3_jPlPS6_PKS6_NS0_5tupleIJS9_S6_EEENSD_IJSA_SA_EEENS0_18inequality_wrapperIZN2at6native12_GLOBAL__N_124unique_dim_cuda_templateIN3c104HalfEEESt5tupleIJNSH_6TensorESO_SO_EERKSO_lbbbEUlllE0_EEPmJS6_EEE10hipError_tPvRmT3_T4_T5_T6_T7_T9_mT8_P12ihipStream_tbDpT10_ENKUlT_T0_E_clISt17integral_constantIbLb1EES1D_IbLb0EEEEDaS19_S1A_EUlS19_E_NS1_11comp_targetILNS1_3genE0ELNS1_11target_archE4294967295ELNS1_3gpuE0ELNS1_3repE0EEENS1_30default_config_static_selectorELNS0_4arch9wavefront6targetE1EEEvT1_ ; -- Begin function _ZN7rocprim17ROCPRIM_400000_NS6detail17trampoline_kernelINS0_14default_configENS1_25partition_config_selectorILNS1_17partition_subalgoE8ElNS0_10empty_typeEbEEZZNS1_14partition_implILS5_8ELb0ES3_jPlPS6_PKS6_NS0_5tupleIJS9_S6_EEENSD_IJSA_SA_EEENS0_18inequality_wrapperIZN2at6native12_GLOBAL__N_124unique_dim_cuda_templateIN3c104HalfEEESt5tupleIJNSH_6TensorESO_SO_EERKSO_lbbbEUlllE0_EEPmJS6_EEE10hipError_tPvRmT3_T4_T5_T6_T7_T9_mT8_P12ihipStream_tbDpT10_ENKUlT_T0_E_clISt17integral_constantIbLb1EES1D_IbLb0EEEEDaS19_S1A_EUlS19_E_NS1_11comp_targetILNS1_3genE0ELNS1_11target_archE4294967295ELNS1_3gpuE0ELNS1_3repE0EEENS1_30default_config_static_selectorELNS0_4arch9wavefront6targetE1EEEvT1_
	.p2align	8
	.type	_ZN7rocprim17ROCPRIM_400000_NS6detail17trampoline_kernelINS0_14default_configENS1_25partition_config_selectorILNS1_17partition_subalgoE8ElNS0_10empty_typeEbEEZZNS1_14partition_implILS5_8ELb0ES3_jPlPS6_PKS6_NS0_5tupleIJS9_S6_EEENSD_IJSA_SA_EEENS0_18inequality_wrapperIZN2at6native12_GLOBAL__N_124unique_dim_cuda_templateIN3c104HalfEEESt5tupleIJNSH_6TensorESO_SO_EERKSO_lbbbEUlllE0_EEPmJS6_EEE10hipError_tPvRmT3_T4_T5_T6_T7_T9_mT8_P12ihipStream_tbDpT10_ENKUlT_T0_E_clISt17integral_constantIbLb1EES1D_IbLb0EEEEDaS19_S1A_EUlS19_E_NS1_11comp_targetILNS1_3genE0ELNS1_11target_archE4294967295ELNS1_3gpuE0ELNS1_3repE0EEENS1_30default_config_static_selectorELNS0_4arch9wavefront6targetE1EEEvT1_,@function
_ZN7rocprim17ROCPRIM_400000_NS6detail17trampoline_kernelINS0_14default_configENS1_25partition_config_selectorILNS1_17partition_subalgoE8ElNS0_10empty_typeEbEEZZNS1_14partition_implILS5_8ELb0ES3_jPlPS6_PKS6_NS0_5tupleIJS9_S6_EEENSD_IJSA_SA_EEENS0_18inequality_wrapperIZN2at6native12_GLOBAL__N_124unique_dim_cuda_templateIN3c104HalfEEESt5tupleIJNSH_6TensorESO_SO_EERKSO_lbbbEUlllE0_EEPmJS6_EEE10hipError_tPvRmT3_T4_T5_T6_T7_T9_mT8_P12ihipStream_tbDpT10_ENKUlT_T0_E_clISt17integral_constantIbLb1EES1D_IbLb0EEEEDaS19_S1A_EUlS19_E_NS1_11comp_targetILNS1_3genE0ELNS1_11target_archE4294967295ELNS1_3gpuE0ELNS1_3repE0EEENS1_30default_config_static_selectorELNS0_4arch9wavefront6targetE1EEEvT1_: ; @_ZN7rocprim17ROCPRIM_400000_NS6detail17trampoline_kernelINS0_14default_configENS1_25partition_config_selectorILNS1_17partition_subalgoE8ElNS0_10empty_typeEbEEZZNS1_14partition_implILS5_8ELb0ES3_jPlPS6_PKS6_NS0_5tupleIJS9_S6_EEENSD_IJSA_SA_EEENS0_18inequality_wrapperIZN2at6native12_GLOBAL__N_124unique_dim_cuda_templateIN3c104HalfEEESt5tupleIJNSH_6TensorESO_SO_EERKSO_lbbbEUlllE0_EEPmJS6_EEE10hipError_tPvRmT3_T4_T5_T6_T7_T9_mT8_P12ihipStream_tbDpT10_ENKUlT_T0_E_clISt17integral_constantIbLb1EES1D_IbLb0EEEEDaS19_S1A_EUlS19_E_NS1_11comp_targetILNS1_3genE0ELNS1_11target_archE4294967295ELNS1_3gpuE0ELNS1_3repE0EEENS1_30default_config_static_selectorELNS0_4arch9wavefront6targetE1EEEvT1_
; %bb.0:
	.section	.rodata,"a",@progbits
	.p2align	6, 0x0
	.amdhsa_kernel _ZN7rocprim17ROCPRIM_400000_NS6detail17trampoline_kernelINS0_14default_configENS1_25partition_config_selectorILNS1_17partition_subalgoE8ElNS0_10empty_typeEbEEZZNS1_14partition_implILS5_8ELb0ES3_jPlPS6_PKS6_NS0_5tupleIJS9_S6_EEENSD_IJSA_SA_EEENS0_18inequality_wrapperIZN2at6native12_GLOBAL__N_124unique_dim_cuda_templateIN3c104HalfEEESt5tupleIJNSH_6TensorESO_SO_EERKSO_lbbbEUlllE0_EEPmJS6_EEE10hipError_tPvRmT3_T4_T5_T6_T7_T9_mT8_P12ihipStream_tbDpT10_ENKUlT_T0_E_clISt17integral_constantIbLb1EES1D_IbLb0EEEEDaS19_S1A_EUlS19_E_NS1_11comp_targetILNS1_3genE0ELNS1_11target_archE4294967295ELNS1_3gpuE0ELNS1_3repE0EEENS1_30default_config_static_selectorELNS0_4arch9wavefront6targetE1EEEvT1_
		.amdhsa_group_segment_fixed_size 0
		.amdhsa_private_segment_fixed_size 0
		.amdhsa_kernarg_size 120
		.amdhsa_user_sgpr_count 6
		.amdhsa_user_sgpr_private_segment_buffer 1
		.amdhsa_user_sgpr_dispatch_ptr 0
		.amdhsa_user_sgpr_queue_ptr 0
		.amdhsa_user_sgpr_kernarg_segment_ptr 1
		.amdhsa_user_sgpr_dispatch_id 0
		.amdhsa_user_sgpr_flat_scratch_init 0
		.amdhsa_user_sgpr_kernarg_preload_length 0
		.amdhsa_user_sgpr_kernarg_preload_offset 0
		.amdhsa_user_sgpr_private_segment_size 0
		.amdhsa_uses_dynamic_stack 0
		.amdhsa_system_sgpr_private_segment_wavefront_offset 0
		.amdhsa_system_sgpr_workgroup_id_x 1
		.amdhsa_system_sgpr_workgroup_id_y 0
		.amdhsa_system_sgpr_workgroup_id_z 0
		.amdhsa_system_sgpr_workgroup_info 0
		.amdhsa_system_vgpr_workitem_id 0
		.amdhsa_next_free_vgpr 1
		.amdhsa_next_free_sgpr 0
		.amdhsa_accum_offset 4
		.amdhsa_reserve_vcc 0
		.amdhsa_reserve_flat_scratch 0
		.amdhsa_float_round_mode_32 0
		.amdhsa_float_round_mode_16_64 0
		.amdhsa_float_denorm_mode_32 3
		.amdhsa_float_denorm_mode_16_64 3
		.amdhsa_dx10_clamp 1
		.amdhsa_ieee_mode 1
		.amdhsa_fp16_overflow 0
		.amdhsa_tg_split 0
		.amdhsa_exception_fp_ieee_invalid_op 0
		.amdhsa_exception_fp_denorm_src 0
		.amdhsa_exception_fp_ieee_div_zero 0
		.amdhsa_exception_fp_ieee_overflow 0
		.amdhsa_exception_fp_ieee_underflow 0
		.amdhsa_exception_fp_ieee_inexact 0
		.amdhsa_exception_int_div_zero 0
	.end_amdhsa_kernel
	.section	.text._ZN7rocprim17ROCPRIM_400000_NS6detail17trampoline_kernelINS0_14default_configENS1_25partition_config_selectorILNS1_17partition_subalgoE8ElNS0_10empty_typeEbEEZZNS1_14partition_implILS5_8ELb0ES3_jPlPS6_PKS6_NS0_5tupleIJS9_S6_EEENSD_IJSA_SA_EEENS0_18inequality_wrapperIZN2at6native12_GLOBAL__N_124unique_dim_cuda_templateIN3c104HalfEEESt5tupleIJNSH_6TensorESO_SO_EERKSO_lbbbEUlllE0_EEPmJS6_EEE10hipError_tPvRmT3_T4_T5_T6_T7_T9_mT8_P12ihipStream_tbDpT10_ENKUlT_T0_E_clISt17integral_constantIbLb1EES1D_IbLb0EEEEDaS19_S1A_EUlS19_E_NS1_11comp_targetILNS1_3genE0ELNS1_11target_archE4294967295ELNS1_3gpuE0ELNS1_3repE0EEENS1_30default_config_static_selectorELNS0_4arch9wavefront6targetE1EEEvT1_,"axG",@progbits,_ZN7rocprim17ROCPRIM_400000_NS6detail17trampoline_kernelINS0_14default_configENS1_25partition_config_selectorILNS1_17partition_subalgoE8ElNS0_10empty_typeEbEEZZNS1_14partition_implILS5_8ELb0ES3_jPlPS6_PKS6_NS0_5tupleIJS9_S6_EEENSD_IJSA_SA_EEENS0_18inequality_wrapperIZN2at6native12_GLOBAL__N_124unique_dim_cuda_templateIN3c104HalfEEESt5tupleIJNSH_6TensorESO_SO_EERKSO_lbbbEUlllE0_EEPmJS6_EEE10hipError_tPvRmT3_T4_T5_T6_T7_T9_mT8_P12ihipStream_tbDpT10_ENKUlT_T0_E_clISt17integral_constantIbLb1EES1D_IbLb0EEEEDaS19_S1A_EUlS19_E_NS1_11comp_targetILNS1_3genE0ELNS1_11target_archE4294967295ELNS1_3gpuE0ELNS1_3repE0EEENS1_30default_config_static_selectorELNS0_4arch9wavefront6targetE1EEEvT1_,comdat
.Lfunc_end1311:
	.size	_ZN7rocprim17ROCPRIM_400000_NS6detail17trampoline_kernelINS0_14default_configENS1_25partition_config_selectorILNS1_17partition_subalgoE8ElNS0_10empty_typeEbEEZZNS1_14partition_implILS5_8ELb0ES3_jPlPS6_PKS6_NS0_5tupleIJS9_S6_EEENSD_IJSA_SA_EEENS0_18inequality_wrapperIZN2at6native12_GLOBAL__N_124unique_dim_cuda_templateIN3c104HalfEEESt5tupleIJNSH_6TensorESO_SO_EERKSO_lbbbEUlllE0_EEPmJS6_EEE10hipError_tPvRmT3_T4_T5_T6_T7_T9_mT8_P12ihipStream_tbDpT10_ENKUlT_T0_E_clISt17integral_constantIbLb1EES1D_IbLb0EEEEDaS19_S1A_EUlS19_E_NS1_11comp_targetILNS1_3genE0ELNS1_11target_archE4294967295ELNS1_3gpuE0ELNS1_3repE0EEENS1_30default_config_static_selectorELNS0_4arch9wavefront6targetE1EEEvT1_, .Lfunc_end1311-_ZN7rocprim17ROCPRIM_400000_NS6detail17trampoline_kernelINS0_14default_configENS1_25partition_config_selectorILNS1_17partition_subalgoE8ElNS0_10empty_typeEbEEZZNS1_14partition_implILS5_8ELb0ES3_jPlPS6_PKS6_NS0_5tupleIJS9_S6_EEENSD_IJSA_SA_EEENS0_18inequality_wrapperIZN2at6native12_GLOBAL__N_124unique_dim_cuda_templateIN3c104HalfEEESt5tupleIJNSH_6TensorESO_SO_EERKSO_lbbbEUlllE0_EEPmJS6_EEE10hipError_tPvRmT3_T4_T5_T6_T7_T9_mT8_P12ihipStream_tbDpT10_ENKUlT_T0_E_clISt17integral_constantIbLb1EES1D_IbLb0EEEEDaS19_S1A_EUlS19_E_NS1_11comp_targetILNS1_3genE0ELNS1_11target_archE4294967295ELNS1_3gpuE0ELNS1_3repE0EEENS1_30default_config_static_selectorELNS0_4arch9wavefront6targetE1EEEvT1_
                                        ; -- End function
	.section	.AMDGPU.csdata,"",@progbits
; Kernel info:
; codeLenInByte = 0
; NumSgprs: 4
; NumVgprs: 0
; NumAgprs: 0
; TotalNumVgprs: 0
; ScratchSize: 0
; MemoryBound: 0
; FloatMode: 240
; IeeeMode: 1
; LDSByteSize: 0 bytes/workgroup (compile time only)
; SGPRBlocks: 0
; VGPRBlocks: 0
; NumSGPRsForWavesPerEU: 4
; NumVGPRsForWavesPerEU: 1
; AccumOffset: 4
; Occupancy: 8
; WaveLimiterHint : 0
; COMPUTE_PGM_RSRC2:SCRATCH_EN: 0
; COMPUTE_PGM_RSRC2:USER_SGPR: 6
; COMPUTE_PGM_RSRC2:TRAP_HANDLER: 0
; COMPUTE_PGM_RSRC2:TGID_X_EN: 1
; COMPUTE_PGM_RSRC2:TGID_Y_EN: 0
; COMPUTE_PGM_RSRC2:TGID_Z_EN: 0
; COMPUTE_PGM_RSRC2:TIDIG_COMP_CNT: 0
; COMPUTE_PGM_RSRC3_GFX90A:ACCUM_OFFSET: 0
; COMPUTE_PGM_RSRC3_GFX90A:TG_SPLIT: 0
	.section	.text._ZN7rocprim17ROCPRIM_400000_NS6detail17trampoline_kernelINS0_14default_configENS1_25partition_config_selectorILNS1_17partition_subalgoE8ElNS0_10empty_typeEbEEZZNS1_14partition_implILS5_8ELb0ES3_jPlPS6_PKS6_NS0_5tupleIJS9_S6_EEENSD_IJSA_SA_EEENS0_18inequality_wrapperIZN2at6native12_GLOBAL__N_124unique_dim_cuda_templateIN3c104HalfEEESt5tupleIJNSH_6TensorESO_SO_EERKSO_lbbbEUlllE0_EEPmJS6_EEE10hipError_tPvRmT3_T4_T5_T6_T7_T9_mT8_P12ihipStream_tbDpT10_ENKUlT_T0_E_clISt17integral_constantIbLb1EES1D_IbLb0EEEEDaS19_S1A_EUlS19_E_NS1_11comp_targetILNS1_3genE5ELNS1_11target_archE942ELNS1_3gpuE9ELNS1_3repE0EEENS1_30default_config_static_selectorELNS0_4arch9wavefront6targetE1EEEvT1_,"axG",@progbits,_ZN7rocprim17ROCPRIM_400000_NS6detail17trampoline_kernelINS0_14default_configENS1_25partition_config_selectorILNS1_17partition_subalgoE8ElNS0_10empty_typeEbEEZZNS1_14partition_implILS5_8ELb0ES3_jPlPS6_PKS6_NS0_5tupleIJS9_S6_EEENSD_IJSA_SA_EEENS0_18inequality_wrapperIZN2at6native12_GLOBAL__N_124unique_dim_cuda_templateIN3c104HalfEEESt5tupleIJNSH_6TensorESO_SO_EERKSO_lbbbEUlllE0_EEPmJS6_EEE10hipError_tPvRmT3_T4_T5_T6_T7_T9_mT8_P12ihipStream_tbDpT10_ENKUlT_T0_E_clISt17integral_constantIbLb1EES1D_IbLb0EEEEDaS19_S1A_EUlS19_E_NS1_11comp_targetILNS1_3genE5ELNS1_11target_archE942ELNS1_3gpuE9ELNS1_3repE0EEENS1_30default_config_static_selectorELNS0_4arch9wavefront6targetE1EEEvT1_,comdat
	.globl	_ZN7rocprim17ROCPRIM_400000_NS6detail17trampoline_kernelINS0_14default_configENS1_25partition_config_selectorILNS1_17partition_subalgoE8ElNS0_10empty_typeEbEEZZNS1_14partition_implILS5_8ELb0ES3_jPlPS6_PKS6_NS0_5tupleIJS9_S6_EEENSD_IJSA_SA_EEENS0_18inequality_wrapperIZN2at6native12_GLOBAL__N_124unique_dim_cuda_templateIN3c104HalfEEESt5tupleIJNSH_6TensorESO_SO_EERKSO_lbbbEUlllE0_EEPmJS6_EEE10hipError_tPvRmT3_T4_T5_T6_T7_T9_mT8_P12ihipStream_tbDpT10_ENKUlT_T0_E_clISt17integral_constantIbLb1EES1D_IbLb0EEEEDaS19_S1A_EUlS19_E_NS1_11comp_targetILNS1_3genE5ELNS1_11target_archE942ELNS1_3gpuE9ELNS1_3repE0EEENS1_30default_config_static_selectorELNS0_4arch9wavefront6targetE1EEEvT1_ ; -- Begin function _ZN7rocprim17ROCPRIM_400000_NS6detail17trampoline_kernelINS0_14default_configENS1_25partition_config_selectorILNS1_17partition_subalgoE8ElNS0_10empty_typeEbEEZZNS1_14partition_implILS5_8ELb0ES3_jPlPS6_PKS6_NS0_5tupleIJS9_S6_EEENSD_IJSA_SA_EEENS0_18inequality_wrapperIZN2at6native12_GLOBAL__N_124unique_dim_cuda_templateIN3c104HalfEEESt5tupleIJNSH_6TensorESO_SO_EERKSO_lbbbEUlllE0_EEPmJS6_EEE10hipError_tPvRmT3_T4_T5_T6_T7_T9_mT8_P12ihipStream_tbDpT10_ENKUlT_T0_E_clISt17integral_constantIbLb1EES1D_IbLb0EEEEDaS19_S1A_EUlS19_E_NS1_11comp_targetILNS1_3genE5ELNS1_11target_archE942ELNS1_3gpuE9ELNS1_3repE0EEENS1_30default_config_static_selectorELNS0_4arch9wavefront6targetE1EEEvT1_
	.p2align	8
	.type	_ZN7rocprim17ROCPRIM_400000_NS6detail17trampoline_kernelINS0_14default_configENS1_25partition_config_selectorILNS1_17partition_subalgoE8ElNS0_10empty_typeEbEEZZNS1_14partition_implILS5_8ELb0ES3_jPlPS6_PKS6_NS0_5tupleIJS9_S6_EEENSD_IJSA_SA_EEENS0_18inequality_wrapperIZN2at6native12_GLOBAL__N_124unique_dim_cuda_templateIN3c104HalfEEESt5tupleIJNSH_6TensorESO_SO_EERKSO_lbbbEUlllE0_EEPmJS6_EEE10hipError_tPvRmT3_T4_T5_T6_T7_T9_mT8_P12ihipStream_tbDpT10_ENKUlT_T0_E_clISt17integral_constantIbLb1EES1D_IbLb0EEEEDaS19_S1A_EUlS19_E_NS1_11comp_targetILNS1_3genE5ELNS1_11target_archE942ELNS1_3gpuE9ELNS1_3repE0EEENS1_30default_config_static_selectorELNS0_4arch9wavefront6targetE1EEEvT1_,@function
_ZN7rocprim17ROCPRIM_400000_NS6detail17trampoline_kernelINS0_14default_configENS1_25partition_config_selectorILNS1_17partition_subalgoE8ElNS0_10empty_typeEbEEZZNS1_14partition_implILS5_8ELb0ES3_jPlPS6_PKS6_NS0_5tupleIJS9_S6_EEENSD_IJSA_SA_EEENS0_18inequality_wrapperIZN2at6native12_GLOBAL__N_124unique_dim_cuda_templateIN3c104HalfEEESt5tupleIJNSH_6TensorESO_SO_EERKSO_lbbbEUlllE0_EEPmJS6_EEE10hipError_tPvRmT3_T4_T5_T6_T7_T9_mT8_P12ihipStream_tbDpT10_ENKUlT_T0_E_clISt17integral_constantIbLb1EES1D_IbLb0EEEEDaS19_S1A_EUlS19_E_NS1_11comp_targetILNS1_3genE5ELNS1_11target_archE942ELNS1_3gpuE9ELNS1_3repE0EEENS1_30default_config_static_selectorELNS0_4arch9wavefront6targetE1EEEvT1_: ; @_ZN7rocprim17ROCPRIM_400000_NS6detail17trampoline_kernelINS0_14default_configENS1_25partition_config_selectorILNS1_17partition_subalgoE8ElNS0_10empty_typeEbEEZZNS1_14partition_implILS5_8ELb0ES3_jPlPS6_PKS6_NS0_5tupleIJS9_S6_EEENSD_IJSA_SA_EEENS0_18inequality_wrapperIZN2at6native12_GLOBAL__N_124unique_dim_cuda_templateIN3c104HalfEEESt5tupleIJNSH_6TensorESO_SO_EERKSO_lbbbEUlllE0_EEPmJS6_EEE10hipError_tPvRmT3_T4_T5_T6_T7_T9_mT8_P12ihipStream_tbDpT10_ENKUlT_T0_E_clISt17integral_constantIbLb1EES1D_IbLb0EEEEDaS19_S1A_EUlS19_E_NS1_11comp_targetILNS1_3genE5ELNS1_11target_archE942ELNS1_3gpuE9ELNS1_3repE0EEENS1_30default_config_static_selectorELNS0_4arch9wavefront6targetE1EEEvT1_
; %bb.0:
	.section	.rodata,"a",@progbits
	.p2align	6, 0x0
	.amdhsa_kernel _ZN7rocprim17ROCPRIM_400000_NS6detail17trampoline_kernelINS0_14default_configENS1_25partition_config_selectorILNS1_17partition_subalgoE8ElNS0_10empty_typeEbEEZZNS1_14partition_implILS5_8ELb0ES3_jPlPS6_PKS6_NS0_5tupleIJS9_S6_EEENSD_IJSA_SA_EEENS0_18inequality_wrapperIZN2at6native12_GLOBAL__N_124unique_dim_cuda_templateIN3c104HalfEEESt5tupleIJNSH_6TensorESO_SO_EERKSO_lbbbEUlllE0_EEPmJS6_EEE10hipError_tPvRmT3_T4_T5_T6_T7_T9_mT8_P12ihipStream_tbDpT10_ENKUlT_T0_E_clISt17integral_constantIbLb1EES1D_IbLb0EEEEDaS19_S1A_EUlS19_E_NS1_11comp_targetILNS1_3genE5ELNS1_11target_archE942ELNS1_3gpuE9ELNS1_3repE0EEENS1_30default_config_static_selectorELNS0_4arch9wavefront6targetE1EEEvT1_
		.amdhsa_group_segment_fixed_size 0
		.amdhsa_private_segment_fixed_size 0
		.amdhsa_kernarg_size 120
		.amdhsa_user_sgpr_count 6
		.amdhsa_user_sgpr_private_segment_buffer 1
		.amdhsa_user_sgpr_dispatch_ptr 0
		.amdhsa_user_sgpr_queue_ptr 0
		.amdhsa_user_sgpr_kernarg_segment_ptr 1
		.amdhsa_user_sgpr_dispatch_id 0
		.amdhsa_user_sgpr_flat_scratch_init 0
		.amdhsa_user_sgpr_kernarg_preload_length 0
		.amdhsa_user_sgpr_kernarg_preload_offset 0
		.amdhsa_user_sgpr_private_segment_size 0
		.amdhsa_uses_dynamic_stack 0
		.amdhsa_system_sgpr_private_segment_wavefront_offset 0
		.amdhsa_system_sgpr_workgroup_id_x 1
		.amdhsa_system_sgpr_workgroup_id_y 0
		.amdhsa_system_sgpr_workgroup_id_z 0
		.amdhsa_system_sgpr_workgroup_info 0
		.amdhsa_system_vgpr_workitem_id 0
		.amdhsa_next_free_vgpr 1
		.amdhsa_next_free_sgpr 0
		.amdhsa_accum_offset 4
		.amdhsa_reserve_vcc 0
		.amdhsa_reserve_flat_scratch 0
		.amdhsa_float_round_mode_32 0
		.amdhsa_float_round_mode_16_64 0
		.amdhsa_float_denorm_mode_32 3
		.amdhsa_float_denorm_mode_16_64 3
		.amdhsa_dx10_clamp 1
		.amdhsa_ieee_mode 1
		.amdhsa_fp16_overflow 0
		.amdhsa_tg_split 0
		.amdhsa_exception_fp_ieee_invalid_op 0
		.amdhsa_exception_fp_denorm_src 0
		.amdhsa_exception_fp_ieee_div_zero 0
		.amdhsa_exception_fp_ieee_overflow 0
		.amdhsa_exception_fp_ieee_underflow 0
		.amdhsa_exception_fp_ieee_inexact 0
		.amdhsa_exception_int_div_zero 0
	.end_amdhsa_kernel
	.section	.text._ZN7rocprim17ROCPRIM_400000_NS6detail17trampoline_kernelINS0_14default_configENS1_25partition_config_selectorILNS1_17partition_subalgoE8ElNS0_10empty_typeEbEEZZNS1_14partition_implILS5_8ELb0ES3_jPlPS6_PKS6_NS0_5tupleIJS9_S6_EEENSD_IJSA_SA_EEENS0_18inequality_wrapperIZN2at6native12_GLOBAL__N_124unique_dim_cuda_templateIN3c104HalfEEESt5tupleIJNSH_6TensorESO_SO_EERKSO_lbbbEUlllE0_EEPmJS6_EEE10hipError_tPvRmT3_T4_T5_T6_T7_T9_mT8_P12ihipStream_tbDpT10_ENKUlT_T0_E_clISt17integral_constantIbLb1EES1D_IbLb0EEEEDaS19_S1A_EUlS19_E_NS1_11comp_targetILNS1_3genE5ELNS1_11target_archE942ELNS1_3gpuE9ELNS1_3repE0EEENS1_30default_config_static_selectorELNS0_4arch9wavefront6targetE1EEEvT1_,"axG",@progbits,_ZN7rocprim17ROCPRIM_400000_NS6detail17trampoline_kernelINS0_14default_configENS1_25partition_config_selectorILNS1_17partition_subalgoE8ElNS0_10empty_typeEbEEZZNS1_14partition_implILS5_8ELb0ES3_jPlPS6_PKS6_NS0_5tupleIJS9_S6_EEENSD_IJSA_SA_EEENS0_18inequality_wrapperIZN2at6native12_GLOBAL__N_124unique_dim_cuda_templateIN3c104HalfEEESt5tupleIJNSH_6TensorESO_SO_EERKSO_lbbbEUlllE0_EEPmJS6_EEE10hipError_tPvRmT3_T4_T5_T6_T7_T9_mT8_P12ihipStream_tbDpT10_ENKUlT_T0_E_clISt17integral_constantIbLb1EES1D_IbLb0EEEEDaS19_S1A_EUlS19_E_NS1_11comp_targetILNS1_3genE5ELNS1_11target_archE942ELNS1_3gpuE9ELNS1_3repE0EEENS1_30default_config_static_selectorELNS0_4arch9wavefront6targetE1EEEvT1_,comdat
.Lfunc_end1312:
	.size	_ZN7rocprim17ROCPRIM_400000_NS6detail17trampoline_kernelINS0_14default_configENS1_25partition_config_selectorILNS1_17partition_subalgoE8ElNS0_10empty_typeEbEEZZNS1_14partition_implILS5_8ELb0ES3_jPlPS6_PKS6_NS0_5tupleIJS9_S6_EEENSD_IJSA_SA_EEENS0_18inequality_wrapperIZN2at6native12_GLOBAL__N_124unique_dim_cuda_templateIN3c104HalfEEESt5tupleIJNSH_6TensorESO_SO_EERKSO_lbbbEUlllE0_EEPmJS6_EEE10hipError_tPvRmT3_T4_T5_T6_T7_T9_mT8_P12ihipStream_tbDpT10_ENKUlT_T0_E_clISt17integral_constantIbLb1EES1D_IbLb0EEEEDaS19_S1A_EUlS19_E_NS1_11comp_targetILNS1_3genE5ELNS1_11target_archE942ELNS1_3gpuE9ELNS1_3repE0EEENS1_30default_config_static_selectorELNS0_4arch9wavefront6targetE1EEEvT1_, .Lfunc_end1312-_ZN7rocprim17ROCPRIM_400000_NS6detail17trampoline_kernelINS0_14default_configENS1_25partition_config_selectorILNS1_17partition_subalgoE8ElNS0_10empty_typeEbEEZZNS1_14partition_implILS5_8ELb0ES3_jPlPS6_PKS6_NS0_5tupleIJS9_S6_EEENSD_IJSA_SA_EEENS0_18inequality_wrapperIZN2at6native12_GLOBAL__N_124unique_dim_cuda_templateIN3c104HalfEEESt5tupleIJNSH_6TensorESO_SO_EERKSO_lbbbEUlllE0_EEPmJS6_EEE10hipError_tPvRmT3_T4_T5_T6_T7_T9_mT8_P12ihipStream_tbDpT10_ENKUlT_T0_E_clISt17integral_constantIbLb1EES1D_IbLb0EEEEDaS19_S1A_EUlS19_E_NS1_11comp_targetILNS1_3genE5ELNS1_11target_archE942ELNS1_3gpuE9ELNS1_3repE0EEENS1_30default_config_static_selectorELNS0_4arch9wavefront6targetE1EEEvT1_
                                        ; -- End function
	.section	.AMDGPU.csdata,"",@progbits
; Kernel info:
; codeLenInByte = 0
; NumSgprs: 4
; NumVgprs: 0
; NumAgprs: 0
; TotalNumVgprs: 0
; ScratchSize: 0
; MemoryBound: 0
; FloatMode: 240
; IeeeMode: 1
; LDSByteSize: 0 bytes/workgroup (compile time only)
; SGPRBlocks: 0
; VGPRBlocks: 0
; NumSGPRsForWavesPerEU: 4
; NumVGPRsForWavesPerEU: 1
; AccumOffset: 4
; Occupancy: 8
; WaveLimiterHint : 0
; COMPUTE_PGM_RSRC2:SCRATCH_EN: 0
; COMPUTE_PGM_RSRC2:USER_SGPR: 6
; COMPUTE_PGM_RSRC2:TRAP_HANDLER: 0
; COMPUTE_PGM_RSRC2:TGID_X_EN: 1
; COMPUTE_PGM_RSRC2:TGID_Y_EN: 0
; COMPUTE_PGM_RSRC2:TGID_Z_EN: 0
; COMPUTE_PGM_RSRC2:TIDIG_COMP_CNT: 0
; COMPUTE_PGM_RSRC3_GFX90A:ACCUM_OFFSET: 0
; COMPUTE_PGM_RSRC3_GFX90A:TG_SPLIT: 0
	.section	.text._ZN7rocprim17ROCPRIM_400000_NS6detail17trampoline_kernelINS0_14default_configENS1_25partition_config_selectorILNS1_17partition_subalgoE8ElNS0_10empty_typeEbEEZZNS1_14partition_implILS5_8ELb0ES3_jPlPS6_PKS6_NS0_5tupleIJS9_S6_EEENSD_IJSA_SA_EEENS0_18inequality_wrapperIZN2at6native12_GLOBAL__N_124unique_dim_cuda_templateIN3c104HalfEEESt5tupleIJNSH_6TensorESO_SO_EERKSO_lbbbEUlllE0_EEPmJS6_EEE10hipError_tPvRmT3_T4_T5_T6_T7_T9_mT8_P12ihipStream_tbDpT10_ENKUlT_T0_E_clISt17integral_constantIbLb1EES1D_IbLb0EEEEDaS19_S1A_EUlS19_E_NS1_11comp_targetILNS1_3genE4ELNS1_11target_archE910ELNS1_3gpuE8ELNS1_3repE0EEENS1_30default_config_static_selectorELNS0_4arch9wavefront6targetE1EEEvT1_,"axG",@progbits,_ZN7rocprim17ROCPRIM_400000_NS6detail17trampoline_kernelINS0_14default_configENS1_25partition_config_selectorILNS1_17partition_subalgoE8ElNS0_10empty_typeEbEEZZNS1_14partition_implILS5_8ELb0ES3_jPlPS6_PKS6_NS0_5tupleIJS9_S6_EEENSD_IJSA_SA_EEENS0_18inequality_wrapperIZN2at6native12_GLOBAL__N_124unique_dim_cuda_templateIN3c104HalfEEESt5tupleIJNSH_6TensorESO_SO_EERKSO_lbbbEUlllE0_EEPmJS6_EEE10hipError_tPvRmT3_T4_T5_T6_T7_T9_mT8_P12ihipStream_tbDpT10_ENKUlT_T0_E_clISt17integral_constantIbLb1EES1D_IbLb0EEEEDaS19_S1A_EUlS19_E_NS1_11comp_targetILNS1_3genE4ELNS1_11target_archE910ELNS1_3gpuE8ELNS1_3repE0EEENS1_30default_config_static_selectorELNS0_4arch9wavefront6targetE1EEEvT1_,comdat
	.globl	_ZN7rocprim17ROCPRIM_400000_NS6detail17trampoline_kernelINS0_14default_configENS1_25partition_config_selectorILNS1_17partition_subalgoE8ElNS0_10empty_typeEbEEZZNS1_14partition_implILS5_8ELb0ES3_jPlPS6_PKS6_NS0_5tupleIJS9_S6_EEENSD_IJSA_SA_EEENS0_18inequality_wrapperIZN2at6native12_GLOBAL__N_124unique_dim_cuda_templateIN3c104HalfEEESt5tupleIJNSH_6TensorESO_SO_EERKSO_lbbbEUlllE0_EEPmJS6_EEE10hipError_tPvRmT3_T4_T5_T6_T7_T9_mT8_P12ihipStream_tbDpT10_ENKUlT_T0_E_clISt17integral_constantIbLb1EES1D_IbLb0EEEEDaS19_S1A_EUlS19_E_NS1_11comp_targetILNS1_3genE4ELNS1_11target_archE910ELNS1_3gpuE8ELNS1_3repE0EEENS1_30default_config_static_selectorELNS0_4arch9wavefront6targetE1EEEvT1_ ; -- Begin function _ZN7rocprim17ROCPRIM_400000_NS6detail17trampoline_kernelINS0_14default_configENS1_25partition_config_selectorILNS1_17partition_subalgoE8ElNS0_10empty_typeEbEEZZNS1_14partition_implILS5_8ELb0ES3_jPlPS6_PKS6_NS0_5tupleIJS9_S6_EEENSD_IJSA_SA_EEENS0_18inequality_wrapperIZN2at6native12_GLOBAL__N_124unique_dim_cuda_templateIN3c104HalfEEESt5tupleIJNSH_6TensorESO_SO_EERKSO_lbbbEUlllE0_EEPmJS6_EEE10hipError_tPvRmT3_T4_T5_T6_T7_T9_mT8_P12ihipStream_tbDpT10_ENKUlT_T0_E_clISt17integral_constantIbLb1EES1D_IbLb0EEEEDaS19_S1A_EUlS19_E_NS1_11comp_targetILNS1_3genE4ELNS1_11target_archE910ELNS1_3gpuE8ELNS1_3repE0EEENS1_30default_config_static_selectorELNS0_4arch9wavefront6targetE1EEEvT1_
	.p2align	8
	.type	_ZN7rocprim17ROCPRIM_400000_NS6detail17trampoline_kernelINS0_14default_configENS1_25partition_config_selectorILNS1_17partition_subalgoE8ElNS0_10empty_typeEbEEZZNS1_14partition_implILS5_8ELb0ES3_jPlPS6_PKS6_NS0_5tupleIJS9_S6_EEENSD_IJSA_SA_EEENS0_18inequality_wrapperIZN2at6native12_GLOBAL__N_124unique_dim_cuda_templateIN3c104HalfEEESt5tupleIJNSH_6TensorESO_SO_EERKSO_lbbbEUlllE0_EEPmJS6_EEE10hipError_tPvRmT3_T4_T5_T6_T7_T9_mT8_P12ihipStream_tbDpT10_ENKUlT_T0_E_clISt17integral_constantIbLb1EES1D_IbLb0EEEEDaS19_S1A_EUlS19_E_NS1_11comp_targetILNS1_3genE4ELNS1_11target_archE910ELNS1_3gpuE8ELNS1_3repE0EEENS1_30default_config_static_selectorELNS0_4arch9wavefront6targetE1EEEvT1_,@function
_ZN7rocprim17ROCPRIM_400000_NS6detail17trampoline_kernelINS0_14default_configENS1_25partition_config_selectorILNS1_17partition_subalgoE8ElNS0_10empty_typeEbEEZZNS1_14partition_implILS5_8ELb0ES3_jPlPS6_PKS6_NS0_5tupleIJS9_S6_EEENSD_IJSA_SA_EEENS0_18inequality_wrapperIZN2at6native12_GLOBAL__N_124unique_dim_cuda_templateIN3c104HalfEEESt5tupleIJNSH_6TensorESO_SO_EERKSO_lbbbEUlllE0_EEPmJS6_EEE10hipError_tPvRmT3_T4_T5_T6_T7_T9_mT8_P12ihipStream_tbDpT10_ENKUlT_T0_E_clISt17integral_constantIbLb1EES1D_IbLb0EEEEDaS19_S1A_EUlS19_E_NS1_11comp_targetILNS1_3genE4ELNS1_11target_archE910ELNS1_3gpuE8ELNS1_3repE0EEENS1_30default_config_static_selectorELNS0_4arch9wavefront6targetE1EEEvT1_: ; @_ZN7rocprim17ROCPRIM_400000_NS6detail17trampoline_kernelINS0_14default_configENS1_25partition_config_selectorILNS1_17partition_subalgoE8ElNS0_10empty_typeEbEEZZNS1_14partition_implILS5_8ELb0ES3_jPlPS6_PKS6_NS0_5tupleIJS9_S6_EEENSD_IJSA_SA_EEENS0_18inequality_wrapperIZN2at6native12_GLOBAL__N_124unique_dim_cuda_templateIN3c104HalfEEESt5tupleIJNSH_6TensorESO_SO_EERKSO_lbbbEUlllE0_EEPmJS6_EEE10hipError_tPvRmT3_T4_T5_T6_T7_T9_mT8_P12ihipStream_tbDpT10_ENKUlT_T0_E_clISt17integral_constantIbLb1EES1D_IbLb0EEEEDaS19_S1A_EUlS19_E_NS1_11comp_targetILNS1_3genE4ELNS1_11target_archE910ELNS1_3gpuE8ELNS1_3repE0EEENS1_30default_config_static_selectorELNS0_4arch9wavefront6targetE1EEEvT1_
; %bb.0:
	s_load_dwordx8 s[20:27], s[4:5], 0x40
	s_load_dwordx4 s[0:3], s[4:5], 0x8
	s_load_dwordx4 s[28:31], s[4:5], 0x60
	s_load_dword s7, s[4:5], 0x70
	s_waitcnt lgkmcnt(0)
	v_mov_b32_e32 v2, s24
	s_lshl_b64 s[8:9], s[2:3], 3
	s_add_u32 s12, s0, s8
	s_mul_i32 s8, s7, 0x500
	s_addc_u32 s13, s1, s9
	s_add_i32 s1, s8, s2
	s_add_i32 s10, s7, -1
	s_sub_i32 s7, s24, s1
	s_add_u32 s8, s2, s8
	s_addc_u32 s9, s3, 0
	v_mov_b32_e32 v3, s25
	s_cmp_eq_u32 s6, s10
	s_load_dwordx2 s[22:23], s[22:23], 0x0
	v_cmp_ge_u64_e32 vcc, s[8:9], v[2:3]
	s_cselect_b64 s[24:25], -1, 0
	s_mul_i32 s0, s6, 0x500
	s_mov_b32 s1, 0
	s_and_b64 s[10:11], s[24:25], vcc
	s_xor_b64 s[34:35], s[10:11], -1
	s_lshl_b64 s[0:1], s[0:1], 3
	s_add_u32 s0, s12, s0
	s_mov_b64 s[8:9], -1
	s_addc_u32 s1, s13, s1
	s_and_b64 vcc, exec, s[34:35]
	s_cbranch_vccz .LBB1313_2
; %bb.1:
	v_lshlrev_b32_e32 v1, 3, v0
	v_mov_b32_e32 v2, s1
	v_add_co_u32_e32 v12, vcc, s0, v1
	v_addc_co_u32_e32 v13, vcc, 0, v2, vcc
	v_add_co_u32_e32 v2, vcc, 0x1000, v12
	v_addc_co_u32_e32 v3, vcc, 0, v13, vcc
	global_load_dwordx2 v[4:5], v1, s[0:1]
	global_load_dwordx2 v[6:7], v1, s[0:1] offset:2048
	global_load_dwordx2 v[8:9], v[2:3], off
	global_load_dwordx2 v[10:11], v[2:3], off offset:2048
	v_add_co_u32_e32 v2, vcc, 0x2000, v12
	v_addc_co_u32_e32 v3, vcc, 0, v13, vcc
	global_load_dwordx2 v[2:3], v[2:3], off
	s_mov_b64 s[8:9], 0
	s_waitcnt vmcnt(3)
	ds_write2st64_b64 v1, v[4:5], v[6:7] offset1:4
	s_waitcnt vmcnt(1)
	ds_write2st64_b64 v1, v[8:9], v[10:11] offset0:8 offset1:12
	s_waitcnt vmcnt(0)
	ds_write_b64 v1, v[2:3] offset:8192
	s_waitcnt lgkmcnt(0)
	s_barrier
.LBB1313_2:
	s_andn2_b64 vcc, exec, s[8:9]
	s_addk_i32 s7, 0x500
	s_cbranch_vccnz .LBB1313_14
; %bb.3:
	v_cmp_gt_u32_e32 vcc, s7, v0
                                        ; implicit-def: $vgpr2_vgpr3_vgpr4_vgpr5_vgpr6_vgpr7_vgpr8_vgpr9_vgpr10_vgpr11_vgpr12_vgpr13_vgpr14_vgpr15_vgpr16_vgpr17
	s_and_saveexec_b64 s[8:9], vcc
	s_cbranch_execz .LBB1313_5
; %bb.4:
	v_lshlrev_b32_e32 v1, 3, v0
	global_load_dwordx2 v[2:3], v1, s[0:1]
.LBB1313_5:
	s_or_b64 exec, exec, s[8:9]
	v_or_b32_e32 v1, 0x100, v0
	v_cmp_gt_u32_e32 vcc, s7, v1
	s_and_saveexec_b64 s[8:9], vcc
	s_cbranch_execz .LBB1313_7
; %bb.6:
	v_lshlrev_b32_e32 v1, 3, v0
	global_load_dwordx2 v[4:5], v1, s[0:1] offset:2048
.LBB1313_7:
	s_or_b64 exec, exec, s[8:9]
	v_or_b32_e32 v1, 0x200, v0
	v_cmp_gt_u32_e32 vcc, s7, v1
	s_and_saveexec_b64 s[8:9], vcc
	s_cbranch_execz .LBB1313_9
; %bb.8:
	v_lshlrev_b32_e32 v1, 3, v1
	global_load_dwordx2 v[6:7], v1, s[0:1]
.LBB1313_9:
	s_or_b64 exec, exec, s[8:9]
	v_or_b32_e32 v1, 0x300, v0
	v_cmp_gt_u32_e32 vcc, s7, v1
	s_and_saveexec_b64 s[8:9], vcc
	s_cbranch_execz .LBB1313_11
; %bb.10:
	v_lshlrev_b32_e32 v1, 3, v1
	global_load_dwordx2 v[8:9], v1, s[0:1]
.LBB1313_11:
	;; [unrolled: 9-line block ×3, first 2 shown]
	s_or_b64 exec, exec, s[8:9]
	v_lshlrev_b32_e32 v1, 3, v0
	s_waitcnt vmcnt(0)
	ds_write2st64_b64 v1, v[2:3], v[4:5] offset1:4
	ds_write2st64_b64 v1, v[6:7], v[8:9] offset0:8 offset1:12
	ds_write_b64 v1, v[10:11] offset:8192
	s_waitcnt lgkmcnt(0)
	s_barrier
.LBB1313_14:
	v_mul_u32_u24_e32 v1, 5, v0
	v_lshlrev_b32_e32 v20, 3, v1
	s_waitcnt lgkmcnt(0)
	ds_read2_b64 v[6:9], v20 offset1:1
	ds_read2_b64 v[2:5], v20 offset0:2 offset1:3
	ds_read_b64 v[10:11], v20 offset:32
	s_cmp_lg_u32 s6, 0
	s_cselect_b64 s[16:17], -1, 0
	s_cmp_lg_u64 s[2:3], 0
	s_cselect_b64 s[2:3], -1, 0
	s_or_b64 s[2:3], s[16:17], s[2:3]
	v_mad_u32_u24 v24, v0, 5, 1
	v_mad_u32_u24 v22, v0, 5, 2
	v_mad_u32_u24 v25, v0, 5, 3
	v_mad_u32_u24 v23, v0, 5, 4
	s_mov_b64 s[12:13], 0
	s_and_b64 vcc, exec, s[2:3]
	v_cmp_gt_i64_e64 s[2:3], s[26:27], 0
	s_waitcnt lgkmcnt(0)
	s_barrier
	s_cbranch_vccz .LBB1313_23
; %bb.15:
	s_add_u32 s0, s0, -8
	s_addc_u32 s1, s1, -1
	s_load_dwordx2 s[12:13], s[0:1], 0x0
	v_cndmask_b32_e64 v12, 0, 1, s[2:3]
	v_lshlrev_b32_e32 v21, 3, v0
	s_mov_b64 s[14:15], 0
	s_and_b64 vcc, exec, s[34:35]
	v_cmp_ne_u32_e64 s[0:1], 1, v12
	ds_write_b64 v21, v[10:11]
	s_cbranch_vccz .LBB1313_24
; %bb.16:
	v_mul_lo_u32 v14, v5, s26
	v_mul_lo_u32 v15, v4, s27
	v_mad_u64_u32 v[12:13], s[2:3], v4, s26, 0
	v_add3_u32 v13, v13, v15, v14
	s_and_b64 vcc, exec, s[0:1]
	v_lshlrev_b64 v[12:13], 1, v[12:13]
	s_cbranch_vccnz .LBB1313_27
; %bb.17:
	v_mul_lo_u32 v16, v11, s26
	v_mul_lo_u32 v17, v10, s27
	v_mad_u64_u32 v[14:15], s[2:3], v10, s26, 0
	v_add3_u32 v15, v15, v17, v16
	v_mov_b32_e32 v17, s29
	v_add_co_u32_e32 v16, vcc, s28, v12
	v_addc_co_u32_e64 v17, s[2:3], v17, v13, vcc
	v_lshlrev_b64 v[14:15], 1, v[14:15]
	v_mov_b32_e32 v19, s29
	v_add_co_u32_e64 v18, s[2:3], s28, v14
	v_addc_co_u32_e64 v19, s[8:9], v19, v15, s[2:3]
	global_load_ushort v14, v[16:17], off
	global_load_ushort v26, v[18:19], off
	s_mov_b64 s[14:15], -1
	s_waitcnt vmcnt(0)
	v_cmp_eq_f16_e64 s[8:9], v14, v26
	s_and_saveexec_b64 s[18:19], s[8:9]
	s_cbranch_execz .LBB1313_26
; %bb.18:
	v_mov_b32_e32 v14, s29
	v_addc_co_u32_e64 v15, s[2:3], v15, v14, s[2:3]
	v_add_co_u32_e64 v14, s[2:3], 2, v18
	v_mov_b32_e32 v17, s29
	v_addc_co_u32_e64 v15, s[2:3], 0, v15, s[2:3]
	v_addc_co_u32_e32 v17, vcc, v13, v17, vcc
	v_add_co_u32_e32 v16, vcc, 2, v16
	s_add_u32 s2, s26, -1
	v_addc_co_u32_e32 v17, vcc, 0, v17, vcc
	s_addc_u32 s3, s27, -1
	s_mov_b64 s[8:9], 0
	s_mov_b64 s[36:37], 0
                                        ; implicit-def: $sgpr14_sgpr15
	s_branch .LBB1313_21
.LBB1313_19:                            ;   in Loop: Header=BB1313_21 Depth=1
	global_load_ushort v18, v[16:17], off
	global_load_ushort v19, v[14:15], off
	v_add_co_u32_e32 v14, vcc, 2, v14
	v_addc_co_u32_e32 v15, vcc, 0, v15, vcc
	v_add_co_u32_e32 v16, vcc, 2, v16
	v_addc_co_u32_e32 v17, vcc, 0, v17, vcc
	s_add_u32 s36, s36, 1
	s_addc_u32 s37, s37, 0
	s_andn2_b64 s[14:15], s[14:15], exec
	s_waitcnt vmcnt(0)
	v_cmp_neq_f16_e32 vcc, v18, v19
	s_and_b64 s[38:39], vcc, exec
	s_or_b64 s[14:15], s[14:15], s[38:39]
.LBB1313_20:                            ;   in Loop: Header=BB1313_21 Depth=1
	s_and_b64 s[38:39], exec, s[14:15]
	s_or_b64 s[8:9], s[38:39], s[8:9]
	v_pk_mov_b32 v[18:19], s[36:37], s[36:37] op_sel:[0,1]
	s_andn2_b64 exec, exec, s[8:9]
	s_cbranch_execz .LBB1313_25
.LBB1313_21:                            ; =>This Inner Loop Header: Depth=1
	s_or_b64 s[14:15], s[14:15], exec
	s_cmp_eq_u64 s[2:3], s[36:37]
	s_cbranch_scc0 .LBB1313_19
; %bb.22:                               ;   in Loop: Header=BB1313_21 Depth=1
                                        ; implicit-def: $vgpr14_vgpr15
                                        ; implicit-def: $vgpr16_vgpr17
	s_mov_b64 s[36:37], s[26:27]
	s_branch .LBB1313_20
.LBB1313_23:
                                        ; implicit-def: $sgpr18_sgpr19
                                        ; implicit-def: $vgpr13
                                        ; implicit-def: $vgpr16
	s_branch .LBB1313_125
.LBB1313_24:
                                        ; implicit-def: $sgpr18_sgpr19
                                        ; implicit-def: $vgpr13
                                        ; implicit-def: $vgpr16
	s_cbranch_execnz .LBB1313_66
	s_branch .LBB1313_124
.LBB1313_25:
	s_or_b64 exec, exec, s[8:9]
	v_cmp_gt_i64_e32 vcc, s[26:27], v[18:19]
	s_orn2_b64 s[14:15], vcc, exec
.LBB1313_26:
	s_or_b64 exec, exec, s[18:19]
.LBB1313_27:
	v_mul_lo_u32 v16, v3, s26
	v_mul_lo_u32 v17, v2, s27
	v_mad_u64_u32 v[14:15], s[2:3], v2, s26, 0
	v_add3_u32 v15, v15, v17, v16
	s_mov_b64 s[18:19], 0
	s_and_b64 vcc, exec, s[0:1]
	v_lshlrev_b64 v[16:17], 1, v[14:15]
	s_mov_b64 s[36:37], 0
	s_cbranch_vccnz .LBB1313_36
; %bb.28:
	v_mov_b32_e32 v15, s29
	v_add_co_u32_e32 v14, vcc, s28, v16
	v_addc_co_u32_e64 v15, s[2:3], v15, v17, vcc
	v_mov_b32_e32 v19, s29
	v_add_co_u32_e64 v18, s[2:3], s28, v12
	v_addc_co_u32_e64 v19, s[8:9], v19, v13, s[2:3]
	global_load_ushort v12, v[14:15], off
	global_load_ushort v26, v[18:19], off
	s_mov_b64 s[36:37], -1
	s_waitcnt vmcnt(0)
	v_cmp_eq_f16_e64 s[8:9], v12, v26
	s_and_saveexec_b64 s[38:39], s[8:9]
	s_cbranch_execz .LBB1313_35
; %bb.29:
	v_mov_b32_e32 v12, s29
	v_addc_co_u32_e64 v13, s[2:3], v13, v12, s[2:3]
	v_add_co_u32_e64 v12, s[2:3], 2, v18
	v_mov_b32_e32 v15, s29
	v_addc_co_u32_e64 v13, s[2:3], 0, v13, s[2:3]
	v_addc_co_u32_e32 v15, vcc, v17, v15, vcc
	v_add_co_u32_e32 v14, vcc, 2, v14
	s_add_u32 s2, s26, -1
	v_addc_co_u32_e32 v15, vcc, 0, v15, vcc
	s_addc_u32 s3, s27, -1
	s_mov_b64 s[8:9], 0
	s_mov_b64 s[40:41], 0
                                        ; implicit-def: $sgpr36_sgpr37
	s_branch .LBB1313_32
.LBB1313_30:                            ;   in Loop: Header=BB1313_32 Depth=1
	global_load_ushort v18, v[14:15], off
	global_load_ushort v19, v[12:13], off
	v_add_co_u32_e32 v12, vcc, 2, v12
	v_addc_co_u32_e32 v13, vcc, 0, v13, vcc
	v_add_co_u32_e32 v14, vcc, 2, v14
	v_addc_co_u32_e32 v15, vcc, 0, v15, vcc
	s_add_u32 s40, s40, 1
	s_addc_u32 s41, s41, 0
	s_andn2_b64 s[36:37], s[36:37], exec
	s_waitcnt vmcnt(0)
	v_cmp_neq_f16_e32 vcc, v18, v19
	s_and_b64 s[42:43], vcc, exec
	s_or_b64 s[36:37], s[36:37], s[42:43]
.LBB1313_31:                            ;   in Loop: Header=BB1313_32 Depth=1
	s_and_b64 s[42:43], exec, s[36:37]
	s_or_b64 s[8:9], s[42:43], s[8:9]
	v_pk_mov_b32 v[18:19], s[40:41], s[40:41] op_sel:[0,1]
	s_andn2_b64 exec, exec, s[8:9]
	s_cbranch_execz .LBB1313_34
.LBB1313_32:                            ; =>This Inner Loop Header: Depth=1
	s_or_b64 s[36:37], s[36:37], exec
	s_cmp_eq_u64 s[2:3], s[40:41]
	s_cbranch_scc0 .LBB1313_30
; %bb.33:                               ;   in Loop: Header=BB1313_32 Depth=1
                                        ; implicit-def: $vgpr12_vgpr13
                                        ; implicit-def: $vgpr14_vgpr15
	s_mov_b64 s[40:41], s[26:27]
	s_branch .LBB1313_31
.LBB1313_34:
	s_or_b64 exec, exec, s[8:9]
	v_cmp_gt_i64_e32 vcc, s[26:27], v[18:19]
	s_orn2_b64 s[36:37], vcc, exec
.LBB1313_35:
	s_or_b64 exec, exec, s[38:39]
.LBB1313_36:
	v_mul_lo_u32 v14, v9, s26
	v_mul_lo_u32 v15, v8, s27
	v_mad_u64_u32 v[12:13], s[2:3], v8, s26, 0
	v_add3_u32 v13, v13, v15, v14
	s_and_b64 vcc, exec, s[0:1]
	v_lshlrev_b64 v[14:15], 1, v[12:13]
	s_cbranch_vccnz .LBB1313_45
; %bb.37:
	v_mov_b32_e32 v12, s29
	v_add_co_u32_e32 v18, vcc, s28, v14
	v_addc_co_u32_e64 v19, s[2:3], v12, v15, vcc
	v_mov_b32_e32 v13, s29
	v_add_co_u32_e64 v12, s[2:3], s28, v16
	v_addc_co_u32_e64 v13, s[8:9], v13, v17, s[2:3]
	global_load_ushort v16, v[18:19], off
	global_load_ushort v26, v[12:13], off
	s_mov_b64 s[18:19], -1
	s_waitcnt vmcnt(0)
	v_cmp_eq_f16_e64 s[8:9], v16, v26
	s_and_saveexec_b64 s[38:39], s[8:9]
	s_cbranch_execz .LBB1313_44
; %bb.38:
	v_mov_b32_e32 v13, s29
	v_addc_co_u32_e64 v13, s[2:3], v17, v13, s[2:3]
	v_add_co_u32_e64 v12, s[2:3], 2, v12
	v_mov_b32_e32 v16, s29
	v_addc_co_u32_e64 v13, s[2:3], 0, v13, s[2:3]
	v_addc_co_u32_e32 v17, vcc, v15, v16, vcc
	v_add_co_u32_e32 v16, vcc, 2, v18
	s_add_u32 s2, s26, -1
	v_addc_co_u32_e32 v17, vcc, 0, v17, vcc
	s_addc_u32 s3, s27, -1
	s_mov_b64 s[8:9], 0
	s_mov_b64 s[40:41], 0
                                        ; implicit-def: $sgpr18_sgpr19
	s_branch .LBB1313_41
.LBB1313_39:                            ;   in Loop: Header=BB1313_41 Depth=1
	global_load_ushort v18, v[16:17], off
	global_load_ushort v19, v[12:13], off
	v_add_co_u32_e32 v12, vcc, 2, v12
	v_addc_co_u32_e32 v13, vcc, 0, v13, vcc
	v_add_co_u32_e32 v16, vcc, 2, v16
	v_addc_co_u32_e32 v17, vcc, 0, v17, vcc
	s_add_u32 s40, s40, 1
	s_addc_u32 s41, s41, 0
	s_andn2_b64 s[18:19], s[18:19], exec
	s_waitcnt vmcnt(0)
	v_cmp_neq_f16_e32 vcc, v18, v19
	s_and_b64 s[42:43], vcc, exec
	s_or_b64 s[18:19], s[18:19], s[42:43]
.LBB1313_40:                            ;   in Loop: Header=BB1313_41 Depth=1
	s_and_b64 s[42:43], exec, s[18:19]
	s_or_b64 s[8:9], s[42:43], s[8:9]
	v_pk_mov_b32 v[18:19], s[40:41], s[40:41] op_sel:[0,1]
	s_andn2_b64 exec, exec, s[8:9]
	s_cbranch_execz .LBB1313_43
.LBB1313_41:                            ; =>This Inner Loop Header: Depth=1
	s_or_b64 s[18:19], s[18:19], exec
	s_cmp_eq_u64 s[2:3], s[40:41]
	s_cbranch_scc0 .LBB1313_39
; %bb.42:                               ;   in Loop: Header=BB1313_41 Depth=1
                                        ; implicit-def: $vgpr12_vgpr13
                                        ; implicit-def: $vgpr16_vgpr17
	s_mov_b64 s[40:41], s[26:27]
	s_branch .LBB1313_40
.LBB1313_43:
	s_or_b64 exec, exec, s[8:9]
	v_cmp_gt_i64_e32 vcc, s[26:27], v[18:19]
	s_orn2_b64 s[18:19], vcc, exec
.LBB1313_44:
	s_or_b64 exec, exec, s[38:39]
.LBB1313_45:
	v_mul_lo_u32 v16, v7, s26
	v_mul_lo_u32 v17, v6, s27
	v_mad_u64_u32 v[12:13], s[2:3], v6, s26, 0
	v_add3_u32 v13, v13, v17, v16
	s_mov_b64 s[40:41], 0
	s_and_b64 vcc, exec, s[0:1]
	v_lshlrev_b64 v[12:13], 1, v[12:13]
	s_cbranch_vccnz .LBB1313_54
; %bb.46:
	v_mov_b32_e32 v17, s29
	v_add_co_u32_e32 v16, vcc, s28, v12
	v_addc_co_u32_e64 v17, s[2:3], v17, v13, vcc
	v_mov_b32_e32 v19, s29
	v_add_co_u32_e64 v18, s[2:3], s28, v14
	v_addc_co_u32_e64 v19, s[8:9], v19, v15, s[2:3]
	global_load_ushort v14, v[16:17], off
	global_load_ushort v26, v[18:19], off
	s_mov_b64 s[40:41], -1
	s_waitcnt vmcnt(0)
	v_cmp_eq_f16_e64 s[8:9], v14, v26
	s_and_saveexec_b64 s[38:39], s[8:9]
	s_cbranch_execz .LBB1313_53
; %bb.47:
	v_mov_b32_e32 v14, s29
	v_addc_co_u32_e64 v15, s[2:3], v15, v14, s[2:3]
	v_add_co_u32_e64 v14, s[2:3], 2, v18
	v_mov_b32_e32 v17, s29
	v_addc_co_u32_e64 v15, s[2:3], 0, v15, s[2:3]
	v_addc_co_u32_e32 v17, vcc, v13, v17, vcc
	v_add_co_u32_e32 v16, vcc, 2, v16
	s_add_u32 s2, s26, -1
	v_addc_co_u32_e32 v17, vcc, 0, v17, vcc
	s_addc_u32 s3, s27, -1
	s_mov_b64 s[8:9], 0
	s_mov_b64 s[42:43], 0
                                        ; implicit-def: $sgpr40_sgpr41
	s_branch .LBB1313_50
.LBB1313_48:                            ;   in Loop: Header=BB1313_50 Depth=1
	global_load_ushort v18, v[16:17], off
	global_load_ushort v19, v[14:15], off
	v_add_co_u32_e32 v14, vcc, 2, v14
	v_addc_co_u32_e32 v15, vcc, 0, v15, vcc
	v_add_co_u32_e32 v16, vcc, 2, v16
	v_addc_co_u32_e32 v17, vcc, 0, v17, vcc
	s_add_u32 s42, s42, 1
	s_addc_u32 s43, s43, 0
	s_andn2_b64 s[40:41], s[40:41], exec
	s_waitcnt vmcnt(0)
	v_cmp_neq_f16_e32 vcc, v18, v19
	s_and_b64 s[44:45], vcc, exec
	s_or_b64 s[40:41], s[40:41], s[44:45]
.LBB1313_49:                            ;   in Loop: Header=BB1313_50 Depth=1
	s_and_b64 s[44:45], exec, s[40:41]
	s_or_b64 s[8:9], s[44:45], s[8:9]
	v_pk_mov_b32 v[18:19], s[42:43], s[42:43] op_sel:[0,1]
	s_andn2_b64 exec, exec, s[8:9]
	s_cbranch_execz .LBB1313_52
.LBB1313_50:                            ; =>This Inner Loop Header: Depth=1
	s_or_b64 s[40:41], s[40:41], exec
	s_cmp_eq_u64 s[2:3], s[42:43]
	s_cbranch_scc0 .LBB1313_48
; %bb.51:                               ;   in Loop: Header=BB1313_50 Depth=1
                                        ; implicit-def: $vgpr14_vgpr15
                                        ; implicit-def: $vgpr16_vgpr17
	s_mov_b64 s[42:43], s[26:27]
	s_branch .LBB1313_49
.LBB1313_52:
	s_or_b64 exec, exec, s[8:9]
	v_cmp_gt_i64_e32 vcc, s[26:27], v[18:19]
	s_orn2_b64 s[40:41], vcc, exec
.LBB1313_53:
	s_or_b64 exec, exec, s[38:39]
.LBB1313_54:
	v_cmp_ne_u32_e32 vcc, 0, v0
	s_waitcnt lgkmcnt(0)
	v_pk_mov_b32 v[14:15], s[12:13], s[12:13] op_sel:[0,1]
	s_barrier
	s_and_saveexec_b64 s[2:3], vcc
	s_cbranch_execz .LBB1313_56
; %bb.55:
	v_add_u32_e32 v14, -8, v21
	ds_read_b64 v[14:15], v14
.LBB1313_56:
	s_or_b64 exec, exec, s[2:3]
	v_cndmask_b32_e64 v17, 0, 1, s[36:37]
	v_cndmask_b32_e64 v16, 0, 1, s[18:19]
	;; [unrolled: 1-line block ×3, first 2 shown]
	v_lshlrev_b16_e32 v17, 8, v17
	v_lshlrev_b16_e32 v26, 8, v18
	v_or_b32_sdwa v27, v16, v17 dst_sel:WORD_1 dst_unused:UNUSED_PAD src0_sel:DWORD src1_sel:DWORD
	s_mov_b64 s[36:37], 0
	s_and_b64 vcc, exec, s[0:1]
	s_mov_b64 s[18:19], 0
	s_cbranch_vccnz .LBB1313_65
; %bb.57:
	s_waitcnt lgkmcnt(0)
	v_mul_lo_u32 v16, v15, s26
	v_mul_lo_u32 v17, v14, s27
	v_mad_u64_u32 v[14:15], s[2:3], v14, s26, 0
	v_add3_u32 v15, v15, v17, v16
	v_lshlrev_b64 v[14:15], 1, v[14:15]
	v_mov_b32_e32 v17, s29
	v_add_co_u32_e32 v16, vcc, s28, v14
	v_addc_co_u32_e64 v17, s[2:3], v17, v15, vcc
	v_mov_b32_e32 v14, s29
	v_add_co_u32_e64 v18, s[2:3], s28, v12
	v_addc_co_u32_e64 v19, s[8:9], v14, v13, s[2:3]
	global_load_ushort v12, v[16:17], off
	global_load_ushort v14, v[18:19], off
	s_mov_b64 s[18:19], -1
	s_waitcnt vmcnt(0)
	v_cmp_eq_f16_e64 s[8:9], v12, v14
	s_and_saveexec_b64 s[38:39], s[8:9]
	s_cbranch_execz .LBB1313_64
; %bb.58:
	v_mov_b32_e32 v12, s29
	v_addc_co_u32_e64 v13, s[2:3], v13, v12, s[2:3]
	v_add_co_u32_e64 v12, s[2:3], 2, v18
	v_mov_b32_e32 v14, s29
	v_addc_co_u32_e64 v13, s[2:3], 0, v13, s[2:3]
	v_addc_co_u32_e32 v15, vcc, v15, v14, vcc
	v_add_co_u32_e32 v14, vcc, 2, v16
	s_add_u32 s2, s26, -1
	v_addc_co_u32_e32 v15, vcc, 0, v15, vcc
	s_addc_u32 s3, s27, -1
	s_mov_b64 s[8:9], 0
	s_mov_b64 s[40:41], 0
                                        ; implicit-def: $sgpr18_sgpr19
	s_branch .LBB1313_61
.LBB1313_59:                            ;   in Loop: Header=BB1313_61 Depth=1
	global_load_ushort v16, v[14:15], off
	global_load_ushort v17, v[12:13], off
	v_add_co_u32_e32 v12, vcc, 2, v12
	v_addc_co_u32_e32 v13, vcc, 0, v13, vcc
	v_add_co_u32_e32 v14, vcc, 2, v14
	v_addc_co_u32_e32 v15, vcc, 0, v15, vcc
	s_add_u32 s40, s40, 1
	s_addc_u32 s41, s41, 0
	s_andn2_b64 s[18:19], s[18:19], exec
	s_waitcnt vmcnt(0)
	v_cmp_neq_f16_e32 vcc, v16, v17
	s_and_b64 s[42:43], vcc, exec
	s_or_b64 s[18:19], s[18:19], s[42:43]
.LBB1313_60:                            ;   in Loop: Header=BB1313_61 Depth=1
	s_and_b64 s[42:43], exec, s[18:19]
	s_or_b64 s[8:9], s[42:43], s[8:9]
	v_pk_mov_b32 v[16:17], s[40:41], s[40:41] op_sel:[0,1]
	s_andn2_b64 exec, exec, s[8:9]
	s_cbranch_execz .LBB1313_63
.LBB1313_61:                            ; =>This Inner Loop Header: Depth=1
	s_or_b64 s[18:19], s[18:19], exec
	s_cmp_eq_u64 s[2:3], s[40:41]
	s_cbranch_scc0 .LBB1313_59
; %bb.62:                               ;   in Loop: Header=BB1313_61 Depth=1
                                        ; implicit-def: $vgpr12_vgpr13
                                        ; implicit-def: $vgpr14_vgpr15
	s_mov_b64 s[40:41], s[26:27]
	s_branch .LBB1313_60
.LBB1313_63:
	s_or_b64 exec, exec, s[8:9]
	v_cmp_gt_i64_e32 vcc, s[26:27], v[16:17]
	s_orn2_b64 s[18:19], vcc, exec
.LBB1313_64:
	s_or_b64 exec, exec, s[38:39]
.LBB1313_65:
	v_cndmask_b32_e64 v13, 0, 1, s[14:15]
	v_or_b32_e32 v16, v26, v27
	s_and_b64 vcc, exec, s[36:37]
	s_cbranch_vccz .LBB1313_124
.LBB1313_66:
	v_cmp_gt_u32_e32 vcc, s7, v23
	s_mov_b64 s[18:19], 0
	s_mov_b64 s[14:15], 0
	s_and_saveexec_b64 s[36:37], vcc
	s_cbranch_execz .LBB1313_77
; %bb.67:
	s_and_b64 vcc, exec, s[0:1]
	s_mov_b64 s[38:39], 0
	s_cbranch_vccnz .LBB1313_76
; %bb.68:
	s_waitcnt lgkmcnt(0)
	v_mul_lo_u32 v14, v5, s26
	v_mul_lo_u32 v15, v4, s27
	v_mad_u64_u32 v[12:13], s[2:3], v4, s26, 0
	v_add3_u32 v13, v13, v15, v14
	v_mul_lo_u32 v14, v11, s26
	v_mul_lo_u32 v15, v10, s27
	v_mad_u64_u32 v[18:19], s[2:3], v10, s26, 0
	v_add3_u32 v19, v19, v15, v14
	v_lshlrev_b64 v[14:15], 1, v[12:13]
	v_mov_b32_e32 v12, s29
	v_add_co_u32_e32 v16, vcc, s28, v14
	v_addc_co_u32_e64 v17, s[2:3], v12, v15, vcc
	v_lshlrev_b64 v[12:13], 1, v[18:19]
	v_mov_b32_e32 v14, s29
	v_add_co_u32_e64 v18, s[2:3], s28, v12
	v_addc_co_u32_e64 v19, s[8:9], v14, v13, s[2:3]
	global_load_ushort v12, v[16:17], off
	global_load_ushort v14, v[18:19], off
	s_mov_b64 s[38:39], -1
	s_waitcnt vmcnt(0)
	v_cmp_eq_f16_e64 s[8:9], v12, v14
	s_and_saveexec_b64 s[14:15], s[8:9]
	s_cbranch_execz .LBB1313_75
; %bb.69:
	v_mov_b32_e32 v12, s29
	v_addc_co_u32_e64 v13, s[2:3], v13, v12, s[2:3]
	v_add_co_u32_e64 v12, s[2:3], 2, v18
	v_mov_b32_e32 v14, s29
	v_addc_co_u32_e64 v13, s[2:3], 0, v13, s[2:3]
	v_addc_co_u32_e32 v15, vcc, v15, v14, vcc
	v_add_co_u32_e32 v14, vcc, 2, v16
	s_add_u32 s2, s26, -1
	v_addc_co_u32_e32 v15, vcc, 0, v15, vcc
	s_addc_u32 s3, s27, -1
	s_mov_b64 s[8:9], 0
	s_mov_b64 s[40:41], 0
                                        ; implicit-def: $sgpr38_sgpr39
	s_branch .LBB1313_72
.LBB1313_70:                            ;   in Loop: Header=BB1313_72 Depth=1
	global_load_ushort v16, v[14:15], off
	global_load_ushort v17, v[12:13], off
	v_add_co_u32_e32 v12, vcc, 2, v12
	v_addc_co_u32_e32 v13, vcc, 0, v13, vcc
	v_add_co_u32_e32 v14, vcc, 2, v14
	v_addc_co_u32_e32 v15, vcc, 0, v15, vcc
	s_add_u32 s40, s40, 1
	s_addc_u32 s41, s41, 0
	s_andn2_b64 s[38:39], s[38:39], exec
	s_waitcnt vmcnt(0)
	v_cmp_neq_f16_e32 vcc, v16, v17
	s_and_b64 s[42:43], vcc, exec
	s_or_b64 s[38:39], s[38:39], s[42:43]
.LBB1313_71:                            ;   in Loop: Header=BB1313_72 Depth=1
	s_and_b64 s[42:43], exec, s[38:39]
	s_or_b64 s[8:9], s[42:43], s[8:9]
	v_pk_mov_b32 v[16:17], s[40:41], s[40:41] op_sel:[0,1]
	s_andn2_b64 exec, exec, s[8:9]
	s_cbranch_execz .LBB1313_74
.LBB1313_72:                            ; =>This Inner Loop Header: Depth=1
	s_or_b64 s[38:39], s[38:39], exec
	s_cmp_eq_u64 s[2:3], s[40:41]
	s_cbranch_scc0 .LBB1313_70
; %bb.73:                               ;   in Loop: Header=BB1313_72 Depth=1
                                        ; implicit-def: $vgpr12_vgpr13
                                        ; implicit-def: $vgpr14_vgpr15
	s_mov_b64 s[40:41], s[26:27]
	s_branch .LBB1313_71
.LBB1313_74:
	s_or_b64 exec, exec, s[8:9]
	v_cmp_gt_i64_e32 vcc, s[26:27], v[16:17]
	s_orn2_b64 s[38:39], vcc, exec
.LBB1313_75:
	s_or_b64 exec, exec, s[14:15]
.LBB1313_76:
	s_and_b64 s[14:15], s[38:39], exec
.LBB1313_77:
	s_or_b64 exec, exec, s[36:37]
	v_cmp_gt_u32_e32 vcc, s7, v25
	s_and_saveexec_b64 s[36:37], vcc
	s_cbranch_execz .LBB1313_88
; %bb.78:
	s_and_b64 vcc, exec, s[0:1]
	s_mov_b64 s[38:39], 0
	s_cbranch_vccnz .LBB1313_87
; %bb.79:
	s_waitcnt lgkmcnt(0)
	v_mul_lo_u32 v14, v3, s26
	v_mul_lo_u32 v15, v2, s27
	v_mad_u64_u32 v[12:13], s[2:3], v2, s26, 0
	v_add3_u32 v13, v13, v15, v14
	v_mul_lo_u32 v14, v5, s26
	v_mul_lo_u32 v15, v4, s27
	v_mad_u64_u32 v[18:19], s[2:3], v4, s26, 0
	v_add3_u32 v19, v19, v15, v14
	v_lshlrev_b64 v[14:15], 1, v[12:13]
	v_mov_b32_e32 v12, s29
	v_add_co_u32_e32 v16, vcc, s28, v14
	v_addc_co_u32_e64 v17, s[2:3], v12, v15, vcc
	v_lshlrev_b64 v[12:13], 1, v[18:19]
	v_mov_b32_e32 v14, s29
	v_add_co_u32_e64 v18, s[2:3], s28, v12
	v_addc_co_u32_e64 v19, s[8:9], v14, v13, s[2:3]
	global_load_ushort v12, v[16:17], off
	global_load_ushort v14, v[18:19], off
	s_mov_b64 s[38:39], -1
	s_waitcnt vmcnt(0)
	v_cmp_eq_f16_e64 s[8:9], v12, v14
	s_and_saveexec_b64 s[18:19], s[8:9]
	s_cbranch_execz .LBB1313_86
; %bb.80:
	v_mov_b32_e32 v12, s29
	v_addc_co_u32_e64 v13, s[2:3], v13, v12, s[2:3]
	v_add_co_u32_e64 v12, s[2:3], 2, v18
	v_mov_b32_e32 v14, s29
	v_addc_co_u32_e64 v13, s[2:3], 0, v13, s[2:3]
	v_addc_co_u32_e32 v15, vcc, v15, v14, vcc
	v_add_co_u32_e32 v14, vcc, 2, v16
	s_add_u32 s2, s26, -1
	v_addc_co_u32_e32 v15, vcc, 0, v15, vcc
	s_addc_u32 s3, s27, -1
	s_mov_b64 s[8:9], 0
	s_mov_b64 s[40:41], 0
                                        ; implicit-def: $sgpr38_sgpr39
	s_branch .LBB1313_83
.LBB1313_81:                            ;   in Loop: Header=BB1313_83 Depth=1
	global_load_ushort v16, v[14:15], off
	global_load_ushort v17, v[12:13], off
	v_add_co_u32_e32 v12, vcc, 2, v12
	v_addc_co_u32_e32 v13, vcc, 0, v13, vcc
	v_add_co_u32_e32 v14, vcc, 2, v14
	v_addc_co_u32_e32 v15, vcc, 0, v15, vcc
	s_add_u32 s40, s40, 1
	s_addc_u32 s41, s41, 0
	s_andn2_b64 s[38:39], s[38:39], exec
	s_waitcnt vmcnt(0)
	v_cmp_neq_f16_e32 vcc, v16, v17
	s_and_b64 s[42:43], vcc, exec
	s_or_b64 s[38:39], s[38:39], s[42:43]
.LBB1313_82:                            ;   in Loop: Header=BB1313_83 Depth=1
	s_and_b64 s[42:43], exec, s[38:39]
	s_or_b64 s[8:9], s[42:43], s[8:9]
	v_pk_mov_b32 v[16:17], s[40:41], s[40:41] op_sel:[0,1]
	s_andn2_b64 exec, exec, s[8:9]
	s_cbranch_execz .LBB1313_85
.LBB1313_83:                            ; =>This Inner Loop Header: Depth=1
	s_or_b64 s[38:39], s[38:39], exec
	s_cmp_eq_u64 s[2:3], s[40:41]
	s_cbranch_scc0 .LBB1313_81
; %bb.84:                               ;   in Loop: Header=BB1313_83 Depth=1
                                        ; implicit-def: $vgpr12_vgpr13
                                        ; implicit-def: $vgpr14_vgpr15
	s_mov_b64 s[40:41], s[26:27]
	s_branch .LBB1313_82
.LBB1313_85:
	s_or_b64 exec, exec, s[8:9]
	v_cmp_gt_i64_e32 vcc, s[26:27], v[16:17]
	s_orn2_b64 s[38:39], vcc, exec
.LBB1313_86:
	s_or_b64 exec, exec, s[18:19]
.LBB1313_87:
	s_and_b64 s[18:19], s[38:39], exec
.LBB1313_88:
	s_or_b64 exec, exec, s[36:37]
	v_cmp_gt_u32_e32 vcc, s7, v22
	s_mov_b64 s[36:37], 0
	s_mov_b64 s[38:39], 0
	s_and_saveexec_b64 s[40:41], vcc
	s_cbranch_execz .LBB1313_99
; %bb.89:
	s_and_b64 vcc, exec, s[0:1]
	s_mov_b64 s[42:43], 0
	s_cbranch_vccnz .LBB1313_98
; %bb.90:
	s_waitcnt lgkmcnt(0)
	v_mul_lo_u32 v14, v9, s26
	v_mul_lo_u32 v15, v8, s27
	v_mad_u64_u32 v[12:13], s[2:3], v8, s26, 0
	v_add3_u32 v13, v13, v15, v14
	v_mul_lo_u32 v14, v3, s26
	v_mul_lo_u32 v15, v2, s27
	v_mad_u64_u32 v[18:19], s[2:3], v2, s26, 0
	v_add3_u32 v19, v19, v15, v14
	v_lshlrev_b64 v[14:15], 1, v[12:13]
	v_mov_b32_e32 v12, s29
	v_add_co_u32_e32 v16, vcc, s28, v14
	v_addc_co_u32_e64 v17, s[2:3], v12, v15, vcc
	v_lshlrev_b64 v[12:13], 1, v[18:19]
	v_mov_b32_e32 v14, s29
	v_add_co_u32_e64 v18, s[2:3], s28, v12
	v_addc_co_u32_e64 v19, s[8:9], v14, v13, s[2:3]
	global_load_ushort v12, v[16:17], off
	global_load_ushort v14, v[18:19], off
	s_mov_b64 s[42:43], -1
	s_waitcnt vmcnt(0)
	v_cmp_eq_f16_e64 s[8:9], v12, v14
	s_and_saveexec_b64 s[38:39], s[8:9]
	s_cbranch_execz .LBB1313_97
; %bb.91:
	v_mov_b32_e32 v12, s29
	v_addc_co_u32_e64 v13, s[2:3], v13, v12, s[2:3]
	v_add_co_u32_e64 v12, s[2:3], 2, v18
	v_mov_b32_e32 v14, s29
	v_addc_co_u32_e64 v13, s[2:3], 0, v13, s[2:3]
	v_addc_co_u32_e32 v15, vcc, v15, v14, vcc
	v_add_co_u32_e32 v14, vcc, 2, v16
	s_add_u32 s2, s26, -1
	v_addc_co_u32_e32 v15, vcc, 0, v15, vcc
	s_addc_u32 s3, s27, -1
	s_mov_b64 s[8:9], 0
	s_mov_b64 s[44:45], 0
                                        ; implicit-def: $sgpr42_sgpr43
	s_branch .LBB1313_94
.LBB1313_92:                            ;   in Loop: Header=BB1313_94 Depth=1
	global_load_ushort v16, v[14:15], off
	global_load_ushort v17, v[12:13], off
	v_add_co_u32_e32 v12, vcc, 2, v12
	v_addc_co_u32_e32 v13, vcc, 0, v13, vcc
	v_add_co_u32_e32 v14, vcc, 2, v14
	v_addc_co_u32_e32 v15, vcc, 0, v15, vcc
	s_add_u32 s44, s44, 1
	s_addc_u32 s45, s45, 0
	s_andn2_b64 s[42:43], s[42:43], exec
	s_waitcnt vmcnt(0)
	v_cmp_neq_f16_e32 vcc, v16, v17
	s_and_b64 s[46:47], vcc, exec
	s_or_b64 s[42:43], s[42:43], s[46:47]
.LBB1313_93:                            ;   in Loop: Header=BB1313_94 Depth=1
	s_and_b64 s[46:47], exec, s[42:43]
	s_or_b64 s[8:9], s[46:47], s[8:9]
	v_pk_mov_b32 v[16:17], s[44:45], s[44:45] op_sel:[0,1]
	s_andn2_b64 exec, exec, s[8:9]
	s_cbranch_execz .LBB1313_96
.LBB1313_94:                            ; =>This Inner Loop Header: Depth=1
	s_or_b64 s[42:43], s[42:43], exec
	s_cmp_eq_u64 s[2:3], s[44:45]
	s_cbranch_scc0 .LBB1313_92
; %bb.95:                               ;   in Loop: Header=BB1313_94 Depth=1
                                        ; implicit-def: $vgpr12_vgpr13
                                        ; implicit-def: $vgpr14_vgpr15
	s_mov_b64 s[44:45], s[26:27]
	s_branch .LBB1313_93
.LBB1313_96:
	s_or_b64 exec, exec, s[8:9]
	v_cmp_gt_i64_e32 vcc, s[26:27], v[16:17]
	s_orn2_b64 s[42:43], vcc, exec
.LBB1313_97:
	s_or_b64 exec, exec, s[38:39]
.LBB1313_98:
	s_and_b64 s[38:39], s[42:43], exec
.LBB1313_99:
	s_or_b64 exec, exec, s[40:41]
	v_cmp_gt_u32_e32 vcc, s7, v24
	s_and_saveexec_b64 s[40:41], vcc
	s_cbranch_execz .LBB1313_110
; %bb.100:
	s_and_b64 vcc, exec, s[0:1]
	s_mov_b64 s[42:43], 0
	s_cbranch_vccnz .LBB1313_109
; %bb.101:
	s_waitcnt lgkmcnt(0)
	v_mul_lo_u32 v14, v7, s26
	v_mul_lo_u32 v15, v6, s27
	v_mad_u64_u32 v[12:13], s[2:3], v6, s26, 0
	v_add3_u32 v13, v13, v15, v14
	v_mul_lo_u32 v14, v9, s26
	v_mul_lo_u32 v15, v8, s27
	v_mad_u64_u32 v[18:19], s[2:3], v8, s26, 0
	v_add3_u32 v19, v19, v15, v14
	v_lshlrev_b64 v[14:15], 1, v[12:13]
	v_mov_b32_e32 v12, s29
	v_add_co_u32_e32 v16, vcc, s28, v14
	v_addc_co_u32_e64 v17, s[2:3], v12, v15, vcc
	v_lshlrev_b64 v[12:13], 1, v[18:19]
	v_mov_b32_e32 v14, s29
	v_add_co_u32_e64 v18, s[2:3], s28, v12
	v_addc_co_u32_e64 v19, s[8:9], v14, v13, s[2:3]
	global_load_ushort v12, v[16:17], off
	global_load_ushort v14, v[18:19], off
	s_mov_b64 s[42:43], -1
	s_waitcnt vmcnt(0)
	v_cmp_eq_f16_e64 s[8:9], v12, v14
	s_and_saveexec_b64 s[36:37], s[8:9]
	s_cbranch_execz .LBB1313_108
; %bb.102:
	v_mov_b32_e32 v12, s29
	v_addc_co_u32_e64 v13, s[2:3], v13, v12, s[2:3]
	v_add_co_u32_e64 v12, s[2:3], 2, v18
	v_mov_b32_e32 v14, s29
	v_addc_co_u32_e64 v13, s[2:3], 0, v13, s[2:3]
	v_addc_co_u32_e32 v15, vcc, v15, v14, vcc
	v_add_co_u32_e32 v14, vcc, 2, v16
	s_add_u32 s2, s26, -1
	v_addc_co_u32_e32 v15, vcc, 0, v15, vcc
	s_addc_u32 s3, s27, -1
	s_mov_b64 s[8:9], 0
	s_mov_b64 s[44:45], 0
                                        ; implicit-def: $sgpr42_sgpr43
	s_branch .LBB1313_105
.LBB1313_103:                           ;   in Loop: Header=BB1313_105 Depth=1
	global_load_ushort v16, v[14:15], off
	global_load_ushort v17, v[12:13], off
	v_add_co_u32_e32 v12, vcc, 2, v12
	v_addc_co_u32_e32 v13, vcc, 0, v13, vcc
	v_add_co_u32_e32 v14, vcc, 2, v14
	v_addc_co_u32_e32 v15, vcc, 0, v15, vcc
	s_add_u32 s44, s44, 1
	s_addc_u32 s45, s45, 0
	s_andn2_b64 s[42:43], s[42:43], exec
	s_waitcnt vmcnt(0)
	v_cmp_neq_f16_e32 vcc, v16, v17
	s_and_b64 s[46:47], vcc, exec
	s_or_b64 s[42:43], s[42:43], s[46:47]
.LBB1313_104:                           ;   in Loop: Header=BB1313_105 Depth=1
	s_and_b64 s[46:47], exec, s[42:43]
	s_or_b64 s[8:9], s[46:47], s[8:9]
	v_pk_mov_b32 v[16:17], s[44:45], s[44:45] op_sel:[0,1]
	s_andn2_b64 exec, exec, s[8:9]
	s_cbranch_execz .LBB1313_107
.LBB1313_105:                           ; =>This Inner Loop Header: Depth=1
	s_or_b64 s[42:43], s[42:43], exec
	s_cmp_eq_u64 s[2:3], s[44:45]
	s_cbranch_scc0 .LBB1313_103
; %bb.106:                              ;   in Loop: Header=BB1313_105 Depth=1
                                        ; implicit-def: $vgpr12_vgpr13
                                        ; implicit-def: $vgpr14_vgpr15
	s_mov_b64 s[44:45], s[26:27]
	s_branch .LBB1313_104
.LBB1313_107:
	s_or_b64 exec, exec, s[8:9]
	v_cmp_gt_i64_e32 vcc, s[26:27], v[16:17]
	s_orn2_b64 s[42:43], vcc, exec
.LBB1313_108:
	s_or_b64 exec, exec, s[36:37]
.LBB1313_109:
	s_and_b64 s[36:37], s[42:43], exec
.LBB1313_110:
	s_or_b64 exec, exec, s[40:41]
	v_cmp_ne_u32_e32 vcc, 0, v0
	s_waitcnt lgkmcnt(0)
	v_pk_mov_b32 v[12:13], s[12:13], s[12:13] op_sel:[0,1]
	s_barrier
	s_and_saveexec_b64 s[2:3], vcc
	s_cbranch_execz .LBB1313_112
; %bb.111:
	v_add_u32_e32 v12, -8, v21
	ds_read_b64 v[12:13], v12
.LBB1313_112:
	s_or_b64 exec, exec, s[2:3]
	v_cndmask_b32_e64 v15, 0, 1, s[18:19]
	v_cndmask_b32_e64 v14, 0, 1, s[38:39]
	v_cndmask_b32_e64 v16, 0, 1, s[36:37]
	v_lshlrev_b16_e32 v15, 8, v15
	v_cmp_gt_u32_e32 vcc, s7, v1
	v_lshlrev_b16_e32 v21, 8, v16
	v_or_b32_sdwa v26, v14, v15 dst_sel:WORD_1 dst_unused:UNUSED_PAD src0_sel:DWORD src1_sel:DWORD
	s_mov_b64 s[18:19], 0
	s_and_saveexec_b64 s[8:9], vcc
	s_cbranch_execz .LBB1313_123
; %bb.113:
	s_and_b64 vcc, exec, s[0:1]
	s_cbranch_vccnz .LBB1313_122
; %bb.114:
	s_waitcnt lgkmcnt(0)
	v_mul_lo_u32 v14, v13, s26
	v_mul_lo_u32 v15, v12, s27
	v_mad_u64_u32 v[12:13], s[0:1], v12, s26, 0
	v_add3_u32 v13, v13, v15, v14
	v_mul_lo_u32 v14, v7, s26
	v_mul_lo_u32 v15, v6, s27
	v_mad_u64_u32 v[18:19], s[0:1], v6, s26, 0
	v_add3_u32 v19, v19, v15, v14
	v_lshlrev_b64 v[14:15], 1, v[12:13]
	v_mov_b32_e32 v12, s29
	v_add_co_u32_e32 v16, vcc, s28, v14
	v_addc_co_u32_e64 v17, s[0:1], v12, v15, vcc
	v_lshlrev_b64 v[12:13], 1, v[18:19]
	v_mov_b32_e32 v14, s29
	v_add_co_u32_e64 v18, s[0:1], s28, v12
	v_addc_co_u32_e64 v19, s[2:3], v14, v13, s[0:1]
	global_load_ushort v12, v[16:17], off
	global_load_ushort v14, v[18:19], off
	s_mov_b64 s[18:19], -1
	s_waitcnt vmcnt(0)
	v_cmp_eq_f16_e64 s[2:3], v12, v14
	s_and_saveexec_b64 s[12:13], s[2:3]
	s_cbranch_execz .LBB1313_121
; %bb.115:
	v_mov_b32_e32 v12, s29
	v_addc_co_u32_e64 v13, s[0:1], v13, v12, s[0:1]
	v_add_co_u32_e64 v12, s[0:1], 2, v18
	v_mov_b32_e32 v14, s29
	v_addc_co_u32_e64 v13, s[0:1], 0, v13, s[0:1]
	v_addc_co_u32_e32 v15, vcc, v15, v14, vcc
	v_add_co_u32_e32 v14, vcc, 2, v16
	s_add_u32 s0, s26, -1
	v_addc_co_u32_e32 v15, vcc, 0, v15, vcc
	s_addc_u32 s1, s27, -1
	s_mov_b64 s[2:3], 0
	s_mov_b64 s[36:37], 0
                                        ; implicit-def: $sgpr18_sgpr19
	s_branch .LBB1313_118
.LBB1313_116:                           ;   in Loop: Header=BB1313_118 Depth=1
	global_load_ushort v16, v[14:15], off
	global_load_ushort v17, v[12:13], off
	v_add_co_u32_e32 v12, vcc, 2, v12
	v_addc_co_u32_e32 v13, vcc, 0, v13, vcc
	v_add_co_u32_e32 v14, vcc, 2, v14
	v_addc_co_u32_e32 v15, vcc, 0, v15, vcc
	s_add_u32 s36, s36, 1
	s_addc_u32 s37, s37, 0
	s_andn2_b64 s[18:19], s[18:19], exec
	s_waitcnt vmcnt(0)
	v_cmp_neq_f16_e32 vcc, v16, v17
	s_and_b64 s[38:39], vcc, exec
	s_or_b64 s[18:19], s[18:19], s[38:39]
.LBB1313_117:                           ;   in Loop: Header=BB1313_118 Depth=1
	s_and_b64 s[38:39], exec, s[18:19]
	s_or_b64 s[2:3], s[38:39], s[2:3]
	v_pk_mov_b32 v[16:17], s[36:37], s[36:37] op_sel:[0,1]
	s_andn2_b64 exec, exec, s[2:3]
	s_cbranch_execz .LBB1313_120
.LBB1313_118:                           ; =>This Inner Loop Header: Depth=1
	s_or_b64 s[18:19], s[18:19], exec
	s_cmp_eq_u64 s[0:1], s[36:37]
	s_cbranch_scc0 .LBB1313_116
; %bb.119:                              ;   in Loop: Header=BB1313_118 Depth=1
                                        ; implicit-def: $vgpr12_vgpr13
                                        ; implicit-def: $vgpr14_vgpr15
	s_mov_b64 s[36:37], s[26:27]
	s_branch .LBB1313_117
.LBB1313_120:
	s_or_b64 exec, exec, s[2:3]
	v_cmp_gt_i64_e32 vcc, s[26:27], v[16:17]
	s_orn2_b64 s[18:19], vcc, exec
.LBB1313_121:
	s_or_b64 exec, exec, s[12:13]
.LBB1313_122:
	s_and_b64 s[18:19], s[18:19], exec
.LBB1313_123:
	s_or_b64 exec, exec, s[8:9]
	s_waitcnt lgkmcnt(0)
	v_cndmask_b32_e64 v13, 0, 1, s[14:15]
	v_or_b32_e32 v16, v21, v26
.LBB1313_124:
	s_waitcnt lgkmcnt(0)
	s_mov_b64 s[12:13], -1
	s_cbranch_execnz .LBB1313_233
.LBB1313_125:
	v_lshlrev_b32_e32 v12, 5, v0
	v_sub_u32_e32 v26, v20, v12
	s_mov_b64 s[18:19], 0
	v_cmp_gt_i64_e64 s[14:15], s[26:27], 0
	s_and_b64 vcc, exec, s[34:35]
	ds_write_b64 v26, v[10:11]
	s_cbranch_vccz .LBB1313_133
; %bb.126:
	v_mul_lo_u32 v14, v5, s26
	v_mul_lo_u32 v15, v4, s27
	v_mad_u64_u32 v[12:13], s[0:1], v4, s26, 0
	v_add3_u32 v13, v13, v15, v14
	v_cndmask_b32_e64 v14, 0, 1, s[14:15]
	v_cmp_ne_u32_e64 s[0:1], 1, v14
	s_andn2_b64 vcc, exec, s[14:15]
	v_lshlrev_b64 v[12:13], 1, v[12:13]
	s_cbranch_vccnz .LBB1313_136
; %bb.127:
	v_mul_lo_u32 v16, v11, s26
	v_mul_lo_u32 v17, v10, s27
	v_mad_u64_u32 v[14:15], s[2:3], v10, s26, 0
	v_add3_u32 v15, v15, v17, v16
	v_mov_b32_e32 v17, s29
	v_add_co_u32_e32 v16, vcc, s28, v12
	v_addc_co_u32_e64 v17, s[2:3], v17, v13, vcc
	v_lshlrev_b64 v[14:15], 1, v[14:15]
	v_mov_b32_e32 v19, s29
	v_add_co_u32_e64 v18, s[2:3], s28, v14
	v_addc_co_u32_e64 v19, s[8:9], v19, v15, s[2:3]
	global_load_ushort v14, v[16:17], off
	global_load_ushort v20, v[18:19], off
	s_mov_b64 s[18:19], -1
	s_waitcnt vmcnt(0)
	v_cmp_eq_f16_e64 s[8:9], v14, v20
	s_and_saveexec_b64 s[36:37], s[8:9]
	s_cbranch_execz .LBB1313_135
; %bb.128:
	v_mov_b32_e32 v14, s29
	v_addc_co_u32_e64 v15, s[2:3], v15, v14, s[2:3]
	v_add_co_u32_e64 v14, s[2:3], 2, v18
	v_mov_b32_e32 v17, s29
	v_addc_co_u32_e64 v15, s[2:3], 0, v15, s[2:3]
	v_addc_co_u32_e32 v17, vcc, v13, v17, vcc
	v_add_co_u32_e32 v16, vcc, 2, v16
	s_add_u32 s2, s26, -1
	v_addc_co_u32_e32 v17, vcc, 0, v17, vcc
	s_addc_u32 s3, s27, -1
	s_mov_b64 s[8:9], 0
	s_mov_b64 s[38:39], 0
                                        ; implicit-def: $sgpr18_sgpr19
	s_branch .LBB1313_131
.LBB1313_129:                           ;   in Loop: Header=BB1313_131 Depth=1
	global_load_ushort v18, v[16:17], off
	global_load_ushort v19, v[14:15], off
	v_add_co_u32_e32 v14, vcc, 2, v14
	v_addc_co_u32_e32 v15, vcc, 0, v15, vcc
	v_add_co_u32_e32 v16, vcc, 2, v16
	v_addc_co_u32_e32 v17, vcc, 0, v17, vcc
	s_add_u32 s38, s38, 1
	s_addc_u32 s39, s39, 0
	s_andn2_b64 s[18:19], s[18:19], exec
	s_waitcnt vmcnt(0)
	v_cmp_neq_f16_e32 vcc, v18, v19
	s_and_b64 s[40:41], vcc, exec
	s_or_b64 s[18:19], s[18:19], s[40:41]
.LBB1313_130:                           ;   in Loop: Header=BB1313_131 Depth=1
	s_and_b64 s[40:41], exec, s[18:19]
	s_or_b64 s[8:9], s[40:41], s[8:9]
	v_pk_mov_b32 v[18:19], s[38:39], s[38:39] op_sel:[0,1]
	s_andn2_b64 exec, exec, s[8:9]
	s_cbranch_execz .LBB1313_134
.LBB1313_131:                           ; =>This Inner Loop Header: Depth=1
	s_or_b64 s[18:19], s[18:19], exec
	s_cmp_eq_u64 s[2:3], s[38:39]
	s_cbranch_scc0 .LBB1313_129
; %bb.132:                              ;   in Loop: Header=BB1313_131 Depth=1
                                        ; implicit-def: $vgpr14_vgpr15
                                        ; implicit-def: $vgpr16_vgpr17
	s_mov_b64 s[38:39], s[26:27]
	s_branch .LBB1313_130
.LBB1313_133:
                                        ; implicit-def: $sgpr18_sgpr19
                                        ; implicit-def: $vgpr13
                                        ; implicit-def: $vgpr16
	s_cbranch_execnz .LBB1313_175
	s_branch .LBB1313_233
.LBB1313_134:
	s_or_b64 exec, exec, s[8:9]
	v_cmp_gt_i64_e32 vcc, s[26:27], v[18:19]
	s_orn2_b64 s[18:19], vcc, exec
.LBB1313_135:
	s_or_b64 exec, exec, s[36:37]
.LBB1313_136:
	v_mul_lo_u32 v16, v3, s26
	v_mul_lo_u32 v17, v2, s27
	v_mad_u64_u32 v[14:15], s[2:3], v2, s26, 0
	v_add3_u32 v15, v15, v17, v16
	s_mov_b64 s[36:37], 0
	s_and_b64 vcc, exec, s[0:1]
	v_lshlrev_b64 v[14:15], 1, v[14:15]
	s_mov_b64 s[38:39], 0
	s_cbranch_vccnz .LBB1313_145
; %bb.137:
	v_mov_b32_e32 v17, s29
	v_add_co_u32_e32 v16, vcc, s28, v14
	v_addc_co_u32_e64 v17, s[2:3], v17, v15, vcc
	v_mov_b32_e32 v19, s29
	v_add_co_u32_e64 v18, s[2:3], s28, v12
	v_addc_co_u32_e64 v19, s[8:9], v19, v13, s[2:3]
	global_load_ushort v12, v[16:17], off
	global_load_ushort v20, v[18:19], off
	s_mov_b64 s[38:39], -1
	s_waitcnt vmcnt(0)
	v_cmp_eq_f16_e64 s[8:9], v12, v20
	s_and_saveexec_b64 s[40:41], s[8:9]
	s_cbranch_execz .LBB1313_144
; %bb.138:
	v_mov_b32_e32 v12, s29
	v_addc_co_u32_e64 v13, s[2:3], v13, v12, s[2:3]
	v_add_co_u32_e64 v12, s[2:3], 2, v18
	v_mov_b32_e32 v17, s29
	v_addc_co_u32_e64 v13, s[2:3], 0, v13, s[2:3]
	v_addc_co_u32_e32 v17, vcc, v15, v17, vcc
	v_add_co_u32_e32 v16, vcc, 2, v16
	s_add_u32 s2, s26, -1
	v_addc_co_u32_e32 v17, vcc, 0, v17, vcc
	s_addc_u32 s3, s27, -1
	s_mov_b64 s[8:9], 0
	s_mov_b64 s[42:43], 0
                                        ; implicit-def: $sgpr38_sgpr39
	s_branch .LBB1313_141
.LBB1313_139:                           ;   in Loop: Header=BB1313_141 Depth=1
	global_load_ushort v18, v[16:17], off
	global_load_ushort v19, v[12:13], off
	v_add_co_u32_e32 v12, vcc, 2, v12
	v_addc_co_u32_e32 v13, vcc, 0, v13, vcc
	v_add_co_u32_e32 v16, vcc, 2, v16
	v_addc_co_u32_e32 v17, vcc, 0, v17, vcc
	s_add_u32 s42, s42, 1
	s_addc_u32 s43, s43, 0
	s_andn2_b64 s[38:39], s[38:39], exec
	s_waitcnt vmcnt(0)
	v_cmp_neq_f16_e32 vcc, v18, v19
	s_and_b64 s[44:45], vcc, exec
	s_or_b64 s[38:39], s[38:39], s[44:45]
.LBB1313_140:                           ;   in Loop: Header=BB1313_141 Depth=1
	s_and_b64 s[44:45], exec, s[38:39]
	s_or_b64 s[8:9], s[44:45], s[8:9]
	v_pk_mov_b32 v[18:19], s[42:43], s[42:43] op_sel:[0,1]
	s_andn2_b64 exec, exec, s[8:9]
	s_cbranch_execz .LBB1313_143
.LBB1313_141:                           ; =>This Inner Loop Header: Depth=1
	s_or_b64 s[38:39], s[38:39], exec
	s_cmp_eq_u64 s[2:3], s[42:43]
	s_cbranch_scc0 .LBB1313_139
; %bb.142:                              ;   in Loop: Header=BB1313_141 Depth=1
                                        ; implicit-def: $vgpr12_vgpr13
                                        ; implicit-def: $vgpr16_vgpr17
	s_mov_b64 s[42:43], s[26:27]
	s_branch .LBB1313_140
.LBB1313_143:
	s_or_b64 exec, exec, s[8:9]
	v_cmp_gt_i64_e32 vcc, s[26:27], v[18:19]
	s_orn2_b64 s[38:39], vcc, exec
.LBB1313_144:
	s_or_b64 exec, exec, s[40:41]
.LBB1313_145:
	v_mul_lo_u32 v16, v9, s26
	v_mul_lo_u32 v17, v8, s27
	v_mad_u64_u32 v[12:13], s[2:3], v8, s26, 0
	v_add3_u32 v13, v13, v17, v16
	s_and_b64 vcc, exec, s[0:1]
	v_lshlrev_b64 v[12:13], 1, v[12:13]
	s_cbranch_vccnz .LBB1313_154
; %bb.146:
	v_mov_b32_e32 v17, s29
	v_add_co_u32_e32 v16, vcc, s28, v12
	v_addc_co_u32_e64 v17, s[2:3], v17, v13, vcc
	v_mov_b32_e32 v19, s29
	v_add_co_u32_e64 v18, s[2:3], s28, v14
	v_addc_co_u32_e64 v19, s[8:9], v19, v15, s[2:3]
	global_load_ushort v14, v[16:17], off
	global_load_ushort v20, v[18:19], off
	s_mov_b64 s[36:37], -1
	s_waitcnt vmcnt(0)
	v_cmp_eq_f16_e64 s[8:9], v14, v20
	s_and_saveexec_b64 s[40:41], s[8:9]
	s_cbranch_execz .LBB1313_153
; %bb.147:
	v_mov_b32_e32 v14, s29
	v_addc_co_u32_e64 v15, s[2:3], v15, v14, s[2:3]
	v_add_co_u32_e64 v14, s[2:3], 2, v18
	v_mov_b32_e32 v17, s29
	v_addc_co_u32_e64 v15, s[2:3], 0, v15, s[2:3]
	v_addc_co_u32_e32 v17, vcc, v13, v17, vcc
	v_add_co_u32_e32 v16, vcc, 2, v16
	s_add_u32 s2, s26, -1
	v_addc_co_u32_e32 v17, vcc, 0, v17, vcc
	s_addc_u32 s3, s27, -1
	s_mov_b64 s[8:9], 0
	s_mov_b64 s[42:43], 0
                                        ; implicit-def: $sgpr36_sgpr37
	s_branch .LBB1313_150
.LBB1313_148:                           ;   in Loop: Header=BB1313_150 Depth=1
	global_load_ushort v18, v[16:17], off
	global_load_ushort v19, v[14:15], off
	v_add_co_u32_e32 v14, vcc, 2, v14
	v_addc_co_u32_e32 v15, vcc, 0, v15, vcc
	v_add_co_u32_e32 v16, vcc, 2, v16
	v_addc_co_u32_e32 v17, vcc, 0, v17, vcc
	s_add_u32 s42, s42, 1
	s_addc_u32 s43, s43, 0
	s_andn2_b64 s[36:37], s[36:37], exec
	s_waitcnt vmcnt(0)
	v_cmp_neq_f16_e32 vcc, v18, v19
	s_and_b64 s[44:45], vcc, exec
	s_or_b64 s[36:37], s[36:37], s[44:45]
.LBB1313_149:                           ;   in Loop: Header=BB1313_150 Depth=1
	s_and_b64 s[44:45], exec, s[36:37]
	s_or_b64 s[8:9], s[44:45], s[8:9]
	v_pk_mov_b32 v[18:19], s[42:43], s[42:43] op_sel:[0,1]
	s_andn2_b64 exec, exec, s[8:9]
	s_cbranch_execz .LBB1313_152
.LBB1313_150:                           ; =>This Inner Loop Header: Depth=1
	s_or_b64 s[36:37], s[36:37], exec
	s_cmp_eq_u64 s[2:3], s[42:43]
	s_cbranch_scc0 .LBB1313_148
; %bb.151:                              ;   in Loop: Header=BB1313_150 Depth=1
                                        ; implicit-def: $vgpr14_vgpr15
                                        ; implicit-def: $vgpr16_vgpr17
	s_mov_b64 s[42:43], s[26:27]
	s_branch .LBB1313_149
.LBB1313_152:
	s_or_b64 exec, exec, s[8:9]
	v_cmp_gt_i64_e32 vcc, s[26:27], v[18:19]
	s_orn2_b64 s[36:37], vcc, exec
.LBB1313_153:
	s_or_b64 exec, exec, s[40:41]
.LBB1313_154:
	v_mul_lo_u32 v16, v7, s26
	v_mul_lo_u32 v17, v6, s27
	v_mad_u64_u32 v[14:15], s[2:3], v6, s26, 0
	v_add3_u32 v15, v15, v17, v16
	s_and_b64 vcc, exec, s[0:1]
	s_mov_b64 s[42:43], 0
	s_cbranch_vccnz .LBB1313_163
; %bb.155:
	v_lshlrev_b64 v[16:17], 1, v[14:15]
	v_mov_b32_e32 v19, s29
	v_add_co_u32_e32 v18, vcc, s28, v16
	v_addc_co_u32_e64 v19, s[2:3], v19, v17, vcc
	v_mov_b32_e32 v16, s29
	v_add_co_u32_e64 v20, s[2:3], s28, v12
	v_addc_co_u32_e64 v21, s[8:9], v16, v13, s[2:3]
	global_load_ushort v12, v[18:19], off
	global_load_ushort v16, v[20:21], off
	s_mov_b64 s[42:43], -1
	s_waitcnt vmcnt(0)
	v_cmp_eq_f16_e64 s[8:9], v12, v16
	s_and_saveexec_b64 s[40:41], s[8:9]
	s_cbranch_execz .LBB1313_162
; %bb.156:
	v_mov_b32_e32 v12, s29
	v_addc_co_u32_e64 v13, s[2:3], v13, v12, s[2:3]
	v_add_co_u32_e64 v12, s[2:3], 2, v20
	v_mov_b32_e32 v16, s29
	v_addc_co_u32_e64 v13, s[2:3], 0, v13, s[2:3]
	v_addc_co_u32_e32 v17, vcc, v17, v16, vcc
	v_add_co_u32_e32 v16, vcc, 2, v18
	s_add_u32 s2, s26, -1
	v_addc_co_u32_e32 v17, vcc, 0, v17, vcc
	s_addc_u32 s3, s27, -1
	s_mov_b64 s[8:9], 0
	s_mov_b64 s[44:45], 0
                                        ; implicit-def: $sgpr42_sgpr43
	s_branch .LBB1313_159
.LBB1313_157:                           ;   in Loop: Header=BB1313_159 Depth=1
	global_load_ushort v18, v[16:17], off
	global_load_ushort v19, v[12:13], off
	v_add_co_u32_e32 v12, vcc, 2, v12
	v_addc_co_u32_e32 v13, vcc, 0, v13, vcc
	v_add_co_u32_e32 v16, vcc, 2, v16
	v_addc_co_u32_e32 v17, vcc, 0, v17, vcc
	s_add_u32 s44, s44, 1
	s_addc_u32 s45, s45, 0
	s_andn2_b64 s[42:43], s[42:43], exec
	s_waitcnt vmcnt(0)
	v_cmp_neq_f16_e32 vcc, v18, v19
	s_and_b64 s[46:47], vcc, exec
	s_or_b64 s[42:43], s[42:43], s[46:47]
.LBB1313_158:                           ;   in Loop: Header=BB1313_159 Depth=1
	s_and_b64 s[46:47], exec, s[42:43]
	s_or_b64 s[8:9], s[46:47], s[8:9]
	v_pk_mov_b32 v[18:19], s[44:45], s[44:45] op_sel:[0,1]
	s_andn2_b64 exec, exec, s[8:9]
	s_cbranch_execz .LBB1313_161
.LBB1313_159:                           ; =>This Inner Loop Header: Depth=1
	s_or_b64 s[42:43], s[42:43], exec
	s_cmp_eq_u64 s[2:3], s[44:45]
	s_cbranch_scc0 .LBB1313_157
; %bb.160:                              ;   in Loop: Header=BB1313_159 Depth=1
                                        ; implicit-def: $vgpr12_vgpr13
                                        ; implicit-def: $vgpr16_vgpr17
	s_mov_b64 s[44:45], s[26:27]
	s_branch .LBB1313_158
.LBB1313_161:
	s_or_b64 exec, exec, s[8:9]
	v_cmp_gt_i64_e32 vcc, s[26:27], v[18:19]
	s_orn2_b64 s[42:43], vcc, exec
.LBB1313_162:
	s_or_b64 exec, exec, s[40:41]
.LBB1313_163:
	v_cndmask_b32_e64 v13, 0, 1, s[38:39]
	v_cndmask_b32_e64 v16, 0, 1, s[42:43]
	;; [unrolled: 1-line block ×3, first 2 shown]
	v_lshlrev_b16_e32 v16, 8, v16
	v_lshlrev_b16_e32 v13, 8, v13
	v_or_b32_e32 v16, 1, v16
	v_or_b32_sdwa v12, v12, v13 dst_sel:WORD_1 dst_unused:UNUSED_PAD src0_sel:DWORD src1_sel:DWORD
	v_or_b32_sdwa v12, v16, v12 dst_sel:DWORD dst_unused:UNUSED_PAD src0_sel:WORD_0 src1_sel:DWORD
	v_cndmask_b32_e64 v13, 0, 1, s[18:19]
	v_cmp_ne_u32_e32 vcc, 0, v0
	s_waitcnt lgkmcnt(0)
	s_barrier
	s_waitcnt lgkmcnt(0)
                                        ; implicit-def: $sgpr18_sgpr19
                                        ; implicit-def: $vgpr16
	s_and_saveexec_b64 s[2:3], vcc
	s_xor_b64 s[8:9], exec, s[2:3]
	s_cbranch_execz .LBB1313_174
; %bb.164:
	s_mov_b32 s33, 0x3020104
	s_and_b64 vcc, exec, s[0:1]
	s_mov_b64 s[36:37], 0
	s_cbranch_vccnz .LBB1313_173
; %bb.165:
	v_add_u32_e32 v16, -8, v26
	ds_read_b64 v[16:17], v16
	v_mov_b32_e32 v19, s29
	v_lshlrev_b64 v[14:15], 1, v[14:15]
	s_mov_b64 s[36:37], -1
	s_waitcnt lgkmcnt(0)
	v_mul_lo_u32 v18, v17, s26
	v_mul_lo_u32 v20, v16, s27
	v_mad_u64_u32 v[16:17], s[0:1], v16, s26, 0
	v_add3_u32 v17, v17, v20, v18
	v_lshlrev_b64 v[16:17], 1, v[16:17]
	v_add_co_u32_e32 v18, vcc, s28, v16
	v_addc_co_u32_e64 v19, s[0:1], v19, v17, vcc
	v_mov_b32_e32 v16, s29
	v_add_co_u32_e64 v20, s[0:1], s28, v14
	v_addc_co_u32_e64 v21, s[2:3], v16, v15, s[0:1]
	global_load_ushort v14, v[18:19], off
	global_load_ushort v16, v[20:21], off
	s_waitcnt vmcnt(0)
	v_cmp_eq_f16_e64 s[2:3], v14, v16
	s_and_saveexec_b64 s[18:19], s[2:3]
	s_cbranch_execz .LBB1313_172
; %bb.166:
	v_mov_b32_e32 v14, s29
	v_addc_co_u32_e64 v15, s[0:1], v15, v14, s[0:1]
	v_add_co_u32_e64 v14, s[0:1], 2, v20
	v_mov_b32_e32 v16, s29
	v_addc_co_u32_e64 v15, s[0:1], 0, v15, s[0:1]
	v_addc_co_u32_e32 v17, vcc, v17, v16, vcc
	v_add_co_u32_e32 v16, vcc, 2, v18
	s_add_u32 s0, s26, -1
	v_addc_co_u32_e32 v17, vcc, 0, v17, vcc
	s_addc_u32 s1, s27, -1
	s_mov_b64 s[2:3], 0
	s_mov_b64 s[38:39], 0
                                        ; implicit-def: $sgpr36_sgpr37
	s_branch .LBB1313_169
.LBB1313_167:                           ;   in Loop: Header=BB1313_169 Depth=1
	global_load_ushort v18, v[16:17], off
	global_load_ushort v19, v[14:15], off
	v_add_co_u32_e32 v14, vcc, 2, v14
	v_addc_co_u32_e32 v15, vcc, 0, v15, vcc
	v_add_co_u32_e32 v16, vcc, 2, v16
	v_addc_co_u32_e32 v17, vcc, 0, v17, vcc
	s_add_u32 s38, s38, 1
	s_addc_u32 s39, s39, 0
	s_andn2_b64 s[36:37], s[36:37], exec
	s_waitcnt vmcnt(0)
	v_cmp_neq_f16_e32 vcc, v18, v19
	s_and_b64 s[40:41], vcc, exec
	s_or_b64 s[36:37], s[36:37], s[40:41]
.LBB1313_168:                           ;   in Loop: Header=BB1313_169 Depth=1
	s_and_b64 s[40:41], exec, s[36:37]
	s_or_b64 s[2:3], s[40:41], s[2:3]
	v_pk_mov_b32 v[18:19], s[38:39], s[38:39] op_sel:[0,1]
	s_andn2_b64 exec, exec, s[2:3]
	s_cbranch_execz .LBB1313_171
.LBB1313_169:                           ; =>This Inner Loop Header: Depth=1
	s_or_b64 s[36:37], s[36:37], exec
	s_cmp_eq_u64 s[0:1], s[38:39]
	s_cbranch_scc0 .LBB1313_167
; %bb.170:                              ;   in Loop: Header=BB1313_169 Depth=1
                                        ; implicit-def: $vgpr14_vgpr15
                                        ; implicit-def: $vgpr16_vgpr17
	s_mov_b64 s[38:39], s[26:27]
	s_branch .LBB1313_168
.LBB1313_171:
	s_or_b64 exec, exec, s[2:3]
	v_cmp_gt_i64_e32 vcc, s[26:27], v[18:19]
	s_orn2_b64 s[36:37], vcc, exec
.LBB1313_172:
	s_or_b64 exec, exec, s[18:19]
.LBB1313_173:
	v_perm_b32 v16, v12, v12, s33
	s_and_b64 s[18:19], s[36:37], exec
	s_or_b64 s[12:13], s[12:13], exec
.LBB1313_174:
	s_or_b64 exec, exec, s[8:9]
	s_branch .LBB1313_233
.LBB1313_175:
	v_cmp_gt_u32_e32 vcc, s7, v23
	s_mov_b64 s[18:19], 0
	s_mov_b64 s[8:9], 0
	s_and_saveexec_b64 s[36:37], vcc
	s_cbranch_execz .LBB1313_186
; %bb.176:
	s_andn2_b64 vcc, exec, s[14:15]
	s_mov_b64 s[38:39], 0
	s_cbranch_vccnz .LBB1313_185
; %bb.177:
	v_mul_lo_u32 v14, v5, s26
	v_mul_lo_u32 v15, v4, s27
	v_mad_u64_u32 v[12:13], s[0:1], v4, s26, 0
	v_add3_u32 v13, v13, v15, v14
	v_mul_lo_u32 v14, v11, s26
	v_mul_lo_u32 v15, v10, s27
	v_mad_u64_u32 v[18:19], s[0:1], v10, s26, 0
	v_add3_u32 v19, v19, v15, v14
	v_lshlrev_b64 v[14:15], 1, v[12:13]
	v_mov_b32_e32 v12, s29
	v_add_co_u32_e32 v16, vcc, s28, v14
	v_addc_co_u32_e64 v17, s[0:1], v12, v15, vcc
	v_lshlrev_b64 v[12:13], 1, v[18:19]
	v_mov_b32_e32 v14, s29
	v_add_co_u32_e64 v18, s[0:1], s28, v12
	v_addc_co_u32_e64 v19, s[2:3], v14, v13, s[0:1]
	global_load_ushort v12, v[16:17], off
	global_load_ushort v14, v[18:19], off
	s_mov_b64 s[38:39], -1
	s_waitcnt vmcnt(0)
	v_cmp_eq_f16_e64 s[2:3], v12, v14
	s_and_saveexec_b64 s[8:9], s[2:3]
	s_cbranch_execz .LBB1313_184
; %bb.178:
	v_mov_b32_e32 v12, s29
	v_addc_co_u32_e64 v13, s[0:1], v13, v12, s[0:1]
	v_add_co_u32_e64 v12, s[0:1], 2, v18
	v_mov_b32_e32 v14, s29
	v_addc_co_u32_e64 v13, s[0:1], 0, v13, s[0:1]
	v_addc_co_u32_e32 v15, vcc, v15, v14, vcc
	v_add_co_u32_e32 v14, vcc, 2, v16
	s_add_u32 s0, s26, -1
	v_addc_co_u32_e32 v15, vcc, 0, v15, vcc
	s_addc_u32 s1, s27, -1
	s_mov_b64 s[2:3], 0
	s_mov_b64 s[40:41], 0
                                        ; implicit-def: $sgpr38_sgpr39
	s_branch .LBB1313_181
.LBB1313_179:                           ;   in Loop: Header=BB1313_181 Depth=1
	global_load_ushort v16, v[14:15], off
	global_load_ushort v17, v[12:13], off
	v_add_co_u32_e32 v12, vcc, 2, v12
	v_addc_co_u32_e32 v13, vcc, 0, v13, vcc
	v_add_co_u32_e32 v14, vcc, 2, v14
	v_addc_co_u32_e32 v15, vcc, 0, v15, vcc
	s_add_u32 s40, s40, 1
	s_addc_u32 s41, s41, 0
	s_andn2_b64 s[38:39], s[38:39], exec
	s_waitcnt vmcnt(0)
	v_cmp_neq_f16_e32 vcc, v16, v17
	s_and_b64 s[42:43], vcc, exec
	s_or_b64 s[38:39], s[38:39], s[42:43]
.LBB1313_180:                           ;   in Loop: Header=BB1313_181 Depth=1
	s_and_b64 s[42:43], exec, s[38:39]
	s_or_b64 s[2:3], s[42:43], s[2:3]
	v_pk_mov_b32 v[16:17], s[40:41], s[40:41] op_sel:[0,1]
	s_andn2_b64 exec, exec, s[2:3]
	s_cbranch_execz .LBB1313_183
.LBB1313_181:                           ; =>This Inner Loop Header: Depth=1
	s_or_b64 s[38:39], s[38:39], exec
	s_cmp_eq_u64 s[0:1], s[40:41]
	s_cbranch_scc0 .LBB1313_179
; %bb.182:                              ;   in Loop: Header=BB1313_181 Depth=1
                                        ; implicit-def: $vgpr12_vgpr13
                                        ; implicit-def: $vgpr14_vgpr15
	s_mov_b64 s[40:41], s[26:27]
	s_branch .LBB1313_180
.LBB1313_183:
	s_or_b64 exec, exec, s[2:3]
	v_cmp_gt_i64_e32 vcc, s[26:27], v[16:17]
	s_orn2_b64 s[38:39], vcc, exec
.LBB1313_184:
	s_or_b64 exec, exec, s[8:9]
.LBB1313_185:
	s_and_b64 s[8:9], s[38:39], exec
.LBB1313_186:
	s_or_b64 exec, exec, s[36:37]
	v_cmp_gt_u32_e32 vcc, s7, v25
	s_and_saveexec_b64 s[36:37], vcc
	s_cbranch_execz .LBB1313_197
; %bb.187:
	s_andn2_b64 vcc, exec, s[14:15]
	s_mov_b64 s[38:39], 0
	s_cbranch_vccnz .LBB1313_196
; %bb.188:
	v_mul_lo_u32 v14, v3, s26
	v_mul_lo_u32 v15, v2, s27
	v_mad_u64_u32 v[12:13], s[0:1], v2, s26, 0
	v_add3_u32 v13, v13, v15, v14
	v_mul_lo_u32 v14, v5, s26
	v_mul_lo_u32 v15, v4, s27
	v_mad_u64_u32 v[18:19], s[0:1], v4, s26, 0
	v_add3_u32 v19, v19, v15, v14
	v_lshlrev_b64 v[14:15], 1, v[12:13]
	v_mov_b32_e32 v12, s29
	v_add_co_u32_e32 v16, vcc, s28, v14
	v_addc_co_u32_e64 v17, s[0:1], v12, v15, vcc
	v_lshlrev_b64 v[12:13], 1, v[18:19]
	v_mov_b32_e32 v14, s29
	v_add_co_u32_e64 v18, s[0:1], s28, v12
	v_addc_co_u32_e64 v19, s[2:3], v14, v13, s[0:1]
	global_load_ushort v12, v[16:17], off
	global_load_ushort v14, v[18:19], off
	s_mov_b64 s[38:39], -1
	s_waitcnt vmcnt(0)
	v_cmp_eq_f16_e64 s[2:3], v12, v14
	s_and_saveexec_b64 s[18:19], s[2:3]
	s_cbranch_execz .LBB1313_195
; %bb.189:
	v_mov_b32_e32 v12, s29
	v_addc_co_u32_e64 v13, s[0:1], v13, v12, s[0:1]
	v_add_co_u32_e64 v12, s[0:1], 2, v18
	v_mov_b32_e32 v14, s29
	v_addc_co_u32_e64 v13, s[0:1], 0, v13, s[0:1]
	v_addc_co_u32_e32 v15, vcc, v15, v14, vcc
	v_add_co_u32_e32 v14, vcc, 2, v16
	s_add_u32 s0, s26, -1
	v_addc_co_u32_e32 v15, vcc, 0, v15, vcc
	s_addc_u32 s1, s27, -1
	s_mov_b64 s[2:3], 0
	s_mov_b64 s[40:41], 0
                                        ; implicit-def: $sgpr38_sgpr39
	s_branch .LBB1313_192
.LBB1313_190:                           ;   in Loop: Header=BB1313_192 Depth=1
	global_load_ushort v16, v[14:15], off
	global_load_ushort v17, v[12:13], off
	v_add_co_u32_e32 v12, vcc, 2, v12
	v_addc_co_u32_e32 v13, vcc, 0, v13, vcc
	v_add_co_u32_e32 v14, vcc, 2, v14
	v_addc_co_u32_e32 v15, vcc, 0, v15, vcc
	s_add_u32 s40, s40, 1
	s_addc_u32 s41, s41, 0
	s_andn2_b64 s[38:39], s[38:39], exec
	s_waitcnt vmcnt(0)
	v_cmp_neq_f16_e32 vcc, v16, v17
	s_and_b64 s[42:43], vcc, exec
	s_or_b64 s[38:39], s[38:39], s[42:43]
.LBB1313_191:                           ;   in Loop: Header=BB1313_192 Depth=1
	s_and_b64 s[42:43], exec, s[38:39]
	s_or_b64 s[2:3], s[42:43], s[2:3]
	v_pk_mov_b32 v[16:17], s[40:41], s[40:41] op_sel:[0,1]
	s_andn2_b64 exec, exec, s[2:3]
	s_cbranch_execz .LBB1313_194
.LBB1313_192:                           ; =>This Inner Loop Header: Depth=1
	s_or_b64 s[38:39], s[38:39], exec
	s_cmp_eq_u64 s[0:1], s[40:41]
	s_cbranch_scc0 .LBB1313_190
; %bb.193:                              ;   in Loop: Header=BB1313_192 Depth=1
                                        ; implicit-def: $vgpr12_vgpr13
                                        ; implicit-def: $vgpr14_vgpr15
	s_mov_b64 s[40:41], s[26:27]
	s_branch .LBB1313_191
.LBB1313_194:
	s_or_b64 exec, exec, s[2:3]
	v_cmp_gt_i64_e32 vcc, s[26:27], v[16:17]
	s_orn2_b64 s[38:39], vcc, exec
.LBB1313_195:
	s_or_b64 exec, exec, s[18:19]
.LBB1313_196:
	s_and_b64 s[18:19], s[38:39], exec
.LBB1313_197:
	s_or_b64 exec, exec, s[36:37]
	v_cmp_gt_u32_e32 vcc, s7, v22
	s_mov_b64 s[36:37], 0
	s_mov_b64 s[38:39], 0
	s_and_saveexec_b64 s[40:41], vcc
	s_cbranch_execz .LBB1313_208
; %bb.198:
	s_andn2_b64 vcc, exec, s[14:15]
	s_mov_b64 s[42:43], 0
	s_cbranch_vccnz .LBB1313_207
; %bb.199:
	v_mul_lo_u32 v14, v9, s26
	v_mul_lo_u32 v15, v8, s27
	v_mad_u64_u32 v[12:13], s[0:1], v8, s26, 0
	v_add3_u32 v13, v13, v15, v14
	v_mul_lo_u32 v14, v3, s26
	v_mul_lo_u32 v15, v2, s27
	v_mad_u64_u32 v[18:19], s[0:1], v2, s26, 0
	v_add3_u32 v19, v19, v15, v14
	v_lshlrev_b64 v[14:15], 1, v[12:13]
	v_mov_b32_e32 v12, s29
	v_add_co_u32_e32 v16, vcc, s28, v14
	v_addc_co_u32_e64 v17, s[0:1], v12, v15, vcc
	v_lshlrev_b64 v[12:13], 1, v[18:19]
	v_mov_b32_e32 v14, s29
	v_add_co_u32_e64 v18, s[0:1], s28, v12
	v_addc_co_u32_e64 v19, s[2:3], v14, v13, s[0:1]
	global_load_ushort v12, v[16:17], off
	global_load_ushort v14, v[18:19], off
	s_mov_b64 s[42:43], -1
	s_waitcnt vmcnt(0)
	v_cmp_eq_f16_e64 s[2:3], v12, v14
	s_and_saveexec_b64 s[38:39], s[2:3]
	s_cbranch_execz .LBB1313_206
; %bb.200:
	v_mov_b32_e32 v12, s29
	v_addc_co_u32_e64 v13, s[0:1], v13, v12, s[0:1]
	v_add_co_u32_e64 v12, s[0:1], 2, v18
	v_mov_b32_e32 v14, s29
	v_addc_co_u32_e64 v13, s[0:1], 0, v13, s[0:1]
	v_addc_co_u32_e32 v15, vcc, v15, v14, vcc
	v_add_co_u32_e32 v14, vcc, 2, v16
	s_add_u32 s0, s26, -1
	v_addc_co_u32_e32 v15, vcc, 0, v15, vcc
	s_addc_u32 s1, s27, -1
	s_mov_b64 s[2:3], 0
	s_mov_b64 s[44:45], 0
                                        ; implicit-def: $sgpr42_sgpr43
	s_branch .LBB1313_203
.LBB1313_201:                           ;   in Loop: Header=BB1313_203 Depth=1
	global_load_ushort v16, v[14:15], off
	global_load_ushort v17, v[12:13], off
	v_add_co_u32_e32 v12, vcc, 2, v12
	v_addc_co_u32_e32 v13, vcc, 0, v13, vcc
	v_add_co_u32_e32 v14, vcc, 2, v14
	v_addc_co_u32_e32 v15, vcc, 0, v15, vcc
	s_add_u32 s44, s44, 1
	s_addc_u32 s45, s45, 0
	s_andn2_b64 s[42:43], s[42:43], exec
	s_waitcnt vmcnt(0)
	v_cmp_neq_f16_e32 vcc, v16, v17
	s_and_b64 s[46:47], vcc, exec
	s_or_b64 s[42:43], s[42:43], s[46:47]
.LBB1313_202:                           ;   in Loop: Header=BB1313_203 Depth=1
	s_and_b64 s[46:47], exec, s[42:43]
	s_or_b64 s[2:3], s[46:47], s[2:3]
	v_pk_mov_b32 v[16:17], s[44:45], s[44:45] op_sel:[0,1]
	s_andn2_b64 exec, exec, s[2:3]
	s_cbranch_execz .LBB1313_205
.LBB1313_203:                           ; =>This Inner Loop Header: Depth=1
	s_or_b64 s[42:43], s[42:43], exec
	s_cmp_eq_u64 s[0:1], s[44:45]
	s_cbranch_scc0 .LBB1313_201
; %bb.204:                              ;   in Loop: Header=BB1313_203 Depth=1
                                        ; implicit-def: $vgpr12_vgpr13
                                        ; implicit-def: $vgpr14_vgpr15
	s_mov_b64 s[44:45], s[26:27]
	s_branch .LBB1313_202
.LBB1313_205:
	s_or_b64 exec, exec, s[2:3]
	v_cmp_gt_i64_e32 vcc, s[26:27], v[16:17]
	s_orn2_b64 s[42:43], vcc, exec
.LBB1313_206:
	s_or_b64 exec, exec, s[38:39]
.LBB1313_207:
	s_and_b64 s[38:39], s[42:43], exec
.LBB1313_208:
	s_or_b64 exec, exec, s[40:41]
	v_cmp_gt_u32_e32 vcc, s7, v24
	s_and_saveexec_b64 s[40:41], vcc
	s_cbranch_execz .LBB1313_219
; %bb.209:
	s_andn2_b64 vcc, exec, s[14:15]
	s_mov_b64 s[42:43], 0
	s_cbranch_vccnz .LBB1313_218
; %bb.210:
	v_mul_lo_u32 v14, v7, s26
	v_mul_lo_u32 v15, v6, s27
	v_mad_u64_u32 v[12:13], s[0:1], v6, s26, 0
	v_add3_u32 v13, v13, v15, v14
	v_mul_lo_u32 v14, v9, s26
	v_mul_lo_u32 v15, v8, s27
	v_mad_u64_u32 v[18:19], s[0:1], v8, s26, 0
	v_add3_u32 v19, v19, v15, v14
	v_lshlrev_b64 v[14:15], 1, v[12:13]
	v_mov_b32_e32 v12, s29
	v_add_co_u32_e32 v16, vcc, s28, v14
	v_addc_co_u32_e64 v17, s[0:1], v12, v15, vcc
	v_lshlrev_b64 v[12:13], 1, v[18:19]
	v_mov_b32_e32 v14, s29
	v_add_co_u32_e64 v18, s[0:1], s28, v12
	v_addc_co_u32_e64 v19, s[2:3], v14, v13, s[0:1]
	global_load_ushort v12, v[16:17], off
	global_load_ushort v14, v[18:19], off
	s_mov_b64 s[42:43], -1
	s_waitcnt vmcnt(0)
	v_cmp_eq_f16_e64 s[2:3], v12, v14
	s_and_saveexec_b64 s[36:37], s[2:3]
	s_cbranch_execz .LBB1313_217
; %bb.211:
	v_mov_b32_e32 v12, s29
	v_addc_co_u32_e64 v13, s[0:1], v13, v12, s[0:1]
	v_add_co_u32_e64 v12, s[0:1], 2, v18
	v_mov_b32_e32 v14, s29
	v_addc_co_u32_e64 v13, s[0:1], 0, v13, s[0:1]
	v_addc_co_u32_e32 v15, vcc, v15, v14, vcc
	v_add_co_u32_e32 v14, vcc, 2, v16
	s_add_u32 s0, s26, -1
	v_addc_co_u32_e32 v15, vcc, 0, v15, vcc
	s_addc_u32 s1, s27, -1
	s_mov_b64 s[2:3], 0
	s_mov_b64 s[44:45], 0
                                        ; implicit-def: $sgpr42_sgpr43
	s_branch .LBB1313_214
.LBB1313_212:                           ;   in Loop: Header=BB1313_214 Depth=1
	global_load_ushort v16, v[14:15], off
	global_load_ushort v17, v[12:13], off
	v_add_co_u32_e32 v12, vcc, 2, v12
	v_addc_co_u32_e32 v13, vcc, 0, v13, vcc
	v_add_co_u32_e32 v14, vcc, 2, v14
	v_addc_co_u32_e32 v15, vcc, 0, v15, vcc
	s_add_u32 s44, s44, 1
	s_addc_u32 s45, s45, 0
	s_andn2_b64 s[42:43], s[42:43], exec
	s_waitcnt vmcnt(0)
	v_cmp_neq_f16_e32 vcc, v16, v17
	s_and_b64 s[46:47], vcc, exec
	s_or_b64 s[42:43], s[42:43], s[46:47]
.LBB1313_213:                           ;   in Loop: Header=BB1313_214 Depth=1
	s_and_b64 s[46:47], exec, s[42:43]
	s_or_b64 s[2:3], s[46:47], s[2:3]
	v_pk_mov_b32 v[16:17], s[44:45], s[44:45] op_sel:[0,1]
	s_andn2_b64 exec, exec, s[2:3]
	s_cbranch_execz .LBB1313_216
.LBB1313_214:                           ; =>This Inner Loop Header: Depth=1
	s_or_b64 s[42:43], s[42:43], exec
	s_cmp_eq_u64 s[0:1], s[44:45]
	s_cbranch_scc0 .LBB1313_212
; %bb.215:                              ;   in Loop: Header=BB1313_214 Depth=1
                                        ; implicit-def: $vgpr12_vgpr13
                                        ; implicit-def: $vgpr14_vgpr15
	s_mov_b64 s[44:45], s[26:27]
	s_branch .LBB1313_213
.LBB1313_216:
	s_or_b64 exec, exec, s[2:3]
	v_cmp_gt_i64_e32 vcc, s[26:27], v[16:17]
	s_orn2_b64 s[42:43], vcc, exec
.LBB1313_217:
	s_or_b64 exec, exec, s[36:37]
.LBB1313_218:
	s_and_b64 s[36:37], s[42:43], exec
.LBB1313_219:
	s_or_b64 exec, exec, s[40:41]
	v_cndmask_b32_e64 v13, 0, 1, s[18:19]
	v_cndmask_b32_e64 v14, 0, 1, s[36:37]
	;; [unrolled: 1-line block ×3, first 2 shown]
	v_lshlrev_b16_e32 v14, 8, v14
	v_lshlrev_b16_e32 v13, 8, v13
	v_or_b32_e32 v14, 1, v14
	v_or_b32_sdwa v12, v12, v13 dst_sel:WORD_1 dst_unused:UNUSED_PAD src0_sel:DWORD src1_sel:DWORD
	v_or_b32_sdwa v12, v14, v12 dst_sel:DWORD dst_unused:UNUSED_PAD src0_sel:WORD_0 src1_sel:DWORD
	v_cndmask_b32_e64 v13, 0, 1, s[8:9]
	v_cmp_ne_u32_e32 vcc, 0, v0
	s_waitcnt lgkmcnt(0)
	s_barrier
	s_waitcnt lgkmcnt(0)
                                        ; implicit-def: $sgpr18_sgpr19
                                        ; implicit-def: $vgpr16
	s_and_saveexec_b64 s[8:9], vcc
	s_cbranch_execz .LBB1313_232
; %bb.220:
	v_cmp_gt_u32_e32 vcc, s7, v1
	s_mov_b32 s33, 0x3020104
	s_mov_b64 s[0:1], 0
	s_and_saveexec_b64 s[18:19], vcc
	s_cbranch_execz .LBB1313_231
; %bb.221:
	s_andn2_b64 vcc, exec, s[14:15]
	s_mov_b64 s[36:37], 0
	s_cbranch_vccnz .LBB1313_230
; %bb.222:
	v_add_u32_e32 v14, -8, v26
	ds_read_b64 v[14:15], v14
	v_mul_lo_u32 v16, v7, s26
	v_mad_u64_u32 v[20:21], s[0:1], v6, s26, 0
	s_mov_b64 s[36:37], -1
	s_waitcnt lgkmcnt(0)
	v_mul_lo_u32 v17, v15, s26
	v_mul_lo_u32 v18, v14, s27
	v_mad_u64_u32 v[14:15], s[0:1], v14, s26, 0
	v_add3_u32 v15, v15, v18, v17
	v_mul_lo_u32 v17, v6, s27
	v_add3_u32 v21, v21, v17, v16
	v_lshlrev_b64 v[16:17], 1, v[14:15]
	v_mov_b32_e32 v14, s29
	v_add_co_u32_e32 v18, vcc, s28, v16
	v_addc_co_u32_e64 v19, s[0:1], v14, v17, vcc
	v_lshlrev_b64 v[14:15], 1, v[20:21]
	v_mov_b32_e32 v16, s29
	v_add_co_u32_e64 v20, s[0:1], s28, v14
	v_addc_co_u32_e64 v21, s[2:3], v16, v15, s[0:1]
	global_load_ushort v14, v[18:19], off
	global_load_ushort v16, v[20:21], off
	s_waitcnt vmcnt(0)
	v_cmp_eq_f16_e64 s[2:3], v14, v16
	s_and_saveexec_b64 s[14:15], s[2:3]
	s_cbranch_execz .LBB1313_229
; %bb.223:
	v_mov_b32_e32 v14, s29
	v_addc_co_u32_e64 v15, s[0:1], v15, v14, s[0:1]
	v_add_co_u32_e64 v14, s[0:1], 2, v20
	v_mov_b32_e32 v16, s29
	v_addc_co_u32_e64 v15, s[0:1], 0, v15, s[0:1]
	v_addc_co_u32_e32 v17, vcc, v17, v16, vcc
	v_add_co_u32_e32 v16, vcc, 2, v18
	s_add_u32 s0, s26, -1
	v_addc_co_u32_e32 v17, vcc, 0, v17, vcc
	s_addc_u32 s1, s27, -1
	s_mov_b64 s[2:3], 0
	s_mov_b64 s[36:37], 0
                                        ; implicit-def: $sgpr28_sgpr29
	s_branch .LBB1313_226
.LBB1313_224:                           ;   in Loop: Header=BB1313_226 Depth=1
	global_load_ushort v18, v[16:17], off
	global_load_ushort v19, v[14:15], off
	v_add_co_u32_e32 v14, vcc, 2, v14
	v_addc_co_u32_e32 v15, vcc, 0, v15, vcc
	v_add_co_u32_e32 v16, vcc, 2, v16
	v_addc_co_u32_e32 v17, vcc, 0, v17, vcc
	s_add_u32 s36, s36, 1
	s_addc_u32 s37, s37, 0
	s_andn2_b64 s[28:29], s[28:29], exec
	s_waitcnt vmcnt(0)
	v_cmp_neq_f16_e32 vcc, v18, v19
	s_and_b64 s[38:39], vcc, exec
	s_or_b64 s[28:29], s[28:29], s[38:39]
.LBB1313_225:                           ;   in Loop: Header=BB1313_226 Depth=1
	s_and_b64 s[38:39], exec, s[28:29]
	s_or_b64 s[2:3], s[38:39], s[2:3]
	v_pk_mov_b32 v[18:19], s[36:37], s[36:37] op_sel:[0,1]
	s_andn2_b64 exec, exec, s[2:3]
	s_cbranch_execz .LBB1313_228
.LBB1313_226:                           ; =>This Inner Loop Header: Depth=1
	s_or_b64 s[28:29], s[28:29], exec
	s_cmp_eq_u64 s[0:1], s[36:37]
	s_cbranch_scc0 .LBB1313_224
; %bb.227:                              ;   in Loop: Header=BB1313_226 Depth=1
                                        ; implicit-def: $vgpr14_vgpr15
                                        ; implicit-def: $vgpr16_vgpr17
	s_mov_b64 s[36:37], s[26:27]
	s_branch .LBB1313_225
.LBB1313_228:
	s_or_b64 exec, exec, s[2:3]
	v_cmp_gt_i64_e32 vcc, s[26:27], v[18:19]
	s_orn2_b64 s[36:37], vcc, exec
.LBB1313_229:
	s_or_b64 exec, exec, s[14:15]
.LBB1313_230:
	s_and_b64 s[0:1], s[36:37], exec
.LBB1313_231:
	s_or_b64 exec, exec, s[18:19]
	v_perm_b32 v16, v12, v12, s33
	s_and_b64 s[18:19], s[0:1], exec
	s_or_b64 s[12:13], s[12:13], exec
.LBB1313_232:
	s_or_b64 exec, exec, s[8:9]
.LBB1313_233:
	s_and_saveexec_b64 s[0:1], s[12:13]
	s_cbranch_execz .LBB1313_235
; %bb.234:
	v_lshrrev_b32_e32 v14, 24, v16
	s_movk_i32 s2, 0xff
	v_lshlrev_b16_e32 v14, 8, v14
	v_and_b32_sdwa v15, v16, s2 dst_sel:DWORD dst_unused:UNUSED_PAD src0_sel:WORD_1 src1_sel:DWORD
	v_or_b32_sdwa v14, v15, v14 dst_sel:WORD_1 dst_unused:UNUSED_PAD src0_sel:DWORD src1_sel:DWORD
	v_mov_b32_e32 v15, 8
	v_cndmask_b32_e64 v12, 0, 1, s[18:19]
	v_lshrrev_b32_sdwa v15, v15, v16 dst_sel:BYTE_1 dst_unused:UNUSED_PAD src0_sel:DWORD src1_sel:DWORD
	v_or_b32_e32 v12, v12, v15
	s_mov_b32 s2, 0xffff
	v_or_b32_sdwa v12, v12, v14 dst_sel:DWORD dst_unused:UNUSED_PAD src0_sel:WORD_0 src1_sel:DWORD
	v_and_b32_sdwa v13, s2, v13 dst_sel:DWORD dst_unused:UNUSED_PAD src0_sel:DWORD src1_sel:BYTE_0
.LBB1313_235:
	s_or_b64 exec, exec, s[0:1]
	s_andn2_b64 vcc, exec, s[10:11]
	s_cbranch_vccnz .LBB1313_237
; %bb.236:
	v_cmp_gt_u32_e32 vcc, s7, v1
	v_cndmask_b32_e32 v1, 0, v12, vcc
	v_and_b32_e32 v1, 0xffff00ff, v1
	v_cmp_gt_u32_e64 s[0:1], s7, v24
	v_cndmask_b32_e64 v1, v1, v12, s[0:1]
	v_lshrrev_b32_e32 v14, 24, v1
	s_mov_b32 s2, 0x40c0100
	v_perm_b32 v1, v14, v1, s2
	v_cmp_gt_u32_e64 s[2:3], s7, v22
	v_cmp_gt_u32_e64 s[8:9], s7, v25
	v_cndmask_b32_e64 v1, v1, v12, s[2:3]
	s_or_b64 s[2:3], s[8:9], s[2:3]
	s_or_b64 s[0:1], s[2:3], s[0:1]
	s_or_b64 vcc, s[0:1], vcc
	v_and_b32_e32 v1, 0xffffff, v1
	v_cndmask_b32_e32 v14, 0, v13, vcc
	v_cndmask_b32_e64 v1, v1, v12, s[8:9]
	v_and_b32_e32 v14, 0xffffff00, v14
	v_cmp_gt_u32_e32 vcc, s7, v23
	v_cndmask_b32_e32 v1, v1, v12, vcc
	v_cndmask_b32_e32 v12, v14, v13, vcc
	s_mov_b32 s0, 0x3020104
	v_and_b32_e32 v13, 0xff, v12
	v_perm_b32 v12, v1, v1, s0
.LBB1313_237:
	v_and_b32_e32 v1, 0xff, v12
	v_bfe_u32 v25, v12, 8, 8
	v_bfe_u32 v27, v12, 16, 8
	v_alignbit_b32 v14, v13, v12, 24
	v_and_b32_e32 v28, 0xff, v14
	v_and_b32_e32 v14, 0xff, v13
	v_add3_u32 v15, v25, v1, v27
	v_add3_u32 v31, v15, v28, v14
	v_mbcnt_lo_u32_b32 v14, -1, 0
	v_mbcnt_hi_u32_b32 v29, -1, v14
	v_and_b32_e32 v14, 15, v29
	v_cmp_eq_u32_e64 s[14:15], 0, v14
	v_cmp_lt_u32_e64 s[12:13], 1, v14
	v_cmp_lt_u32_e64 s[10:11], 3, v14
	v_cmp_lt_u32_e64 s[8:9], 7, v14
	v_and_b32_e32 v14, 16, v29
	v_cmp_eq_u32_e64 s[18:19], 0, v14
	v_or_b32_e32 v14, 63, v0
	v_cmp_lt_u32_e64 s[0:1], 31, v29
	v_lshrrev_b32_e32 v30, 6, v0
	v_cmp_eq_u32_e64 s[2:3], v14, v0
	s_and_b64 vcc, exec, s[16:17]
	s_waitcnt lgkmcnt(0)
	s_barrier
	s_cbranch_vccz .LBB1313_268
; %bb.238:
	v_mov_b32_dpp v14, v31 row_shr:1 row_mask:0xf bank_mask:0xf
	v_cndmask_b32_e64 v14, v14, 0, s[14:15]
	v_add_u32_e32 v14, v14, v31
	s_nop 1
	v_mov_b32_dpp v15, v14 row_shr:2 row_mask:0xf bank_mask:0xf
	v_cndmask_b32_e64 v15, 0, v15, s[12:13]
	v_add_u32_e32 v14, v14, v15
	s_nop 1
	;; [unrolled: 4-line block ×4, first 2 shown]
	v_mov_b32_dpp v15, v14 row_bcast:15 row_mask:0xf bank_mask:0xf
	v_cndmask_b32_e64 v15, v15, 0, s[18:19]
	v_add_u32_e32 v14, v14, v15
	s_nop 1
	v_mov_b32_dpp v15, v14 row_bcast:31 row_mask:0xf bank_mask:0xf
	v_cndmask_b32_e64 v15, 0, v15, s[0:1]
	v_add_u32_e32 v14, v14, v15
	s_and_saveexec_b64 s[16:17], s[2:3]
	s_cbranch_execz .LBB1313_240
; %bb.239:
	v_lshlrev_b32_e32 v15, 2, v30
	ds_write_b32 v15, v14
.LBB1313_240:
	s_or_b64 exec, exec, s[16:17]
	v_cmp_gt_u32_e32 vcc, 4, v0
	s_waitcnt lgkmcnt(0)
	s_barrier
	s_and_saveexec_b64 s[16:17], vcc
	s_cbranch_execz .LBB1313_242
; %bb.241:
	v_lshlrev_b32_e32 v15, 2, v0
	ds_read_b32 v16, v15
	v_and_b32_e32 v17, 3, v29
	v_cmp_ne_u32_e32 vcc, 0, v17
	s_waitcnt lgkmcnt(0)
	v_mov_b32_dpp v18, v16 row_shr:1 row_mask:0xf bank_mask:0xf
	v_cndmask_b32_e32 v18, 0, v18, vcc
	v_add_u32_e32 v16, v18, v16
	v_cmp_lt_u32_e32 vcc, 1, v17
	s_nop 0
	v_mov_b32_dpp v18, v16 row_shr:2 row_mask:0xf bank_mask:0xf
	v_cndmask_b32_e32 v17, 0, v18, vcc
	v_add_u32_e32 v16, v16, v17
	ds_write_b32 v15, v16
.LBB1313_242:
	s_or_b64 exec, exec, s[16:17]
	v_cmp_gt_u32_e32 vcc, 64, v0
	v_cmp_lt_u32_e64 s[16:17], 63, v0
	s_waitcnt lgkmcnt(0)
	s_barrier
	s_waitcnt lgkmcnt(0)
                                        ; implicit-def: $vgpr24
	s_and_saveexec_b64 s[26:27], s[16:17]
	s_cbranch_execz .LBB1313_244
; %bb.243:
	v_lshl_add_u32 v15, v30, 2, -4
	ds_read_b32 v24, v15
	s_waitcnt lgkmcnt(0)
	v_add_u32_e32 v14, v24, v14
.LBB1313_244:
	s_or_b64 exec, exec, s[26:27]
	v_add_u32_e32 v15, -1, v29
	v_and_b32_e32 v16, 64, v29
	v_cmp_lt_i32_e64 s[16:17], v15, v16
	v_cndmask_b32_e64 v15, v15, v29, s[16:17]
	v_lshlrev_b32_e32 v15, 2, v15
	ds_bpermute_b32 v26, v15, v14
	v_cmp_eq_u32_e64 s[16:17], 0, v29
	s_and_saveexec_b64 s[26:27], vcc
	s_cbranch_execz .LBB1313_267
; %bb.245:
	v_mov_b32_e32 v23, 0
	ds_read_b32 v14, v23 offset:12
	s_and_saveexec_b64 s[28:29], s[16:17]
	s_cbranch_execz .LBB1313_247
; %bb.246:
	s_add_i32 s36, s6, 64
	s_mov_b32 s37, 0
	s_lshl_b64 s[36:37], s[36:37], 3
	s_add_u32 s36, s30, s36
	v_mov_b32_e32 v15, 1
	s_addc_u32 s37, s31, s37
	s_waitcnt lgkmcnt(0)
	global_store_dwordx2 v23, v[14:15], s[36:37]
.LBB1313_247:
	s_or_b64 exec, exec, s[28:29]
	v_xad_u32 v16, v29, -1, s6
	v_add_u32_e32 v22, 64, v16
	v_lshlrev_b64 v[18:19], 3, v[22:23]
	v_mov_b32_e32 v15, s31
	v_add_co_u32_e32 v18, vcc, s30, v18
	v_addc_co_u32_e32 v19, vcc, v15, v19, vcc
	global_load_dwordx2 v[20:21], v[18:19], off glc
	s_waitcnt vmcnt(0)
	v_cmp_eq_u16_sdwa s[36:37], v21, v23 src0_sel:BYTE_0 src1_sel:DWORD
	s_and_saveexec_b64 s[28:29], s[36:37]
	s_cbranch_execz .LBB1313_253
; %bb.248:
	s_mov_b32 s7, 1
	s_mov_b64 s[36:37], 0
	v_mov_b32_e32 v15, 0
.LBB1313_249:                           ; =>This Loop Header: Depth=1
                                        ;     Child Loop BB1313_250 Depth 2
	s_max_u32 s33, s7, 1
.LBB1313_250:                           ;   Parent Loop BB1313_249 Depth=1
                                        ; =>  This Inner Loop Header: Depth=2
	s_add_i32 s33, s33, -1
	s_cmp_eq_u32 s33, 0
	s_sleep 1
	s_cbranch_scc0 .LBB1313_250
; %bb.251:                              ;   in Loop: Header=BB1313_249 Depth=1
	global_load_dwordx2 v[20:21], v[18:19], off glc
	s_cmp_lt_u32 s7, 32
	s_cselect_b64 s[38:39], -1, 0
	s_cmp_lg_u64 s[38:39], 0
	s_addc_u32 s7, s7, 0
	s_waitcnt vmcnt(0)
	v_cmp_ne_u16_sdwa s[38:39], v21, v15 src0_sel:BYTE_0 src1_sel:DWORD
	s_or_b64 s[36:37], s[38:39], s[36:37]
	s_andn2_b64 exec, exec, s[36:37]
	s_cbranch_execnz .LBB1313_249
; %bb.252:
	s_or_b64 exec, exec, s[36:37]
.LBB1313_253:
	s_or_b64 exec, exec, s[28:29]
	v_and_b32_e32 v32, 63, v29
	v_mov_b32_e32 v15, 2
	v_cmp_ne_u32_e32 vcc, 63, v32
	v_cmp_eq_u16_sdwa s[28:29], v21, v15 src0_sel:BYTE_0 src1_sel:DWORD
	v_lshlrev_b64 v[18:19], v29, -1
	v_addc_co_u32_e32 v23, vcc, 0, v29, vcc
	v_and_b32_e32 v17, s29, v19
	v_lshlrev_b32_e32 v33, 2, v23
	v_or_b32_e32 v17, 0x80000000, v17
	ds_bpermute_b32 v23, v33, v20
	v_and_b32_e32 v22, s28, v18
	v_ffbl_b32_e32 v17, v17
	v_add_u32_e32 v17, 32, v17
	v_ffbl_b32_e32 v22, v22
	v_min_u32_e32 v17, v22, v17
	v_cmp_lt_u32_e32 vcc, v32, v17
	s_waitcnt lgkmcnt(0)
	v_cndmask_b32_e32 v22, 0, v23, vcc
	v_cmp_gt_u32_e32 vcc, 62, v32
	v_add_u32_e32 v20, v22, v20
	v_cndmask_b32_e64 v22, 0, 1, vcc
	v_lshlrev_b32_e32 v22, 1, v22
	v_add_lshl_u32 v34, v22, v29, 2
	ds_bpermute_b32 v22, v34, v20
	v_add_u32_e32 v35, 2, v32
	v_cmp_le_u32_e32 vcc, v35, v17
	v_add_u32_e32 v37, 4, v32
	v_add_u32_e32 v39, 8, v32
	s_waitcnt lgkmcnt(0)
	v_cndmask_b32_e32 v22, 0, v22, vcc
	v_cmp_gt_u32_e32 vcc, 60, v32
	v_add_u32_e32 v20, v20, v22
	v_cndmask_b32_e64 v22, 0, 1, vcc
	v_lshlrev_b32_e32 v22, 2, v22
	v_add_lshl_u32 v36, v22, v29, 2
	ds_bpermute_b32 v22, v36, v20
	v_cmp_le_u32_e32 vcc, v37, v17
	v_add_u32_e32 v42, 16, v32
	v_add_u32_e32 v44, 32, v32
	s_waitcnt lgkmcnt(0)
	v_cndmask_b32_e32 v22, 0, v22, vcc
	v_cmp_gt_u32_e32 vcc, 56, v32
	v_add_u32_e32 v20, v20, v22
	v_cndmask_b32_e64 v22, 0, 1, vcc
	v_lshlrev_b32_e32 v22, 3, v22
	v_add_lshl_u32 v38, v22, v29, 2
	ds_bpermute_b32 v22, v38, v20
	v_cmp_le_u32_e32 vcc, v39, v17
	s_waitcnt lgkmcnt(0)
	v_cndmask_b32_e32 v22, 0, v22, vcc
	v_cmp_gt_u32_e32 vcc, 48, v32
	v_add_u32_e32 v20, v20, v22
	v_cndmask_b32_e64 v22, 0, 1, vcc
	v_lshlrev_b32_e32 v22, 4, v22
	v_add_lshl_u32 v41, v22, v29, 2
	ds_bpermute_b32 v22, v41, v20
	v_cmp_le_u32_e32 vcc, v42, v17
	;; [unrolled: 9-line block ×3, first 2 shown]
	s_waitcnt lgkmcnt(0)
	v_cndmask_b32_e32 v17, 0, v22, vcc
	v_add_u32_e32 v20, v20, v17
	v_mov_b32_e32 v17, 0
	s_branch .LBB1313_255
.LBB1313_254:                           ;   in Loop: Header=BB1313_255 Depth=1
	s_or_b64 exec, exec, s[28:29]
	v_cmp_eq_u16_sdwa s[28:29], v21, v15 src0_sel:BYTE_0 src1_sel:DWORD
	v_and_b32_e32 v22, s29, v19
	v_or_b32_e32 v22, 0x80000000, v22
	ds_bpermute_b32 v45, v33, v20
	v_and_b32_e32 v23, s28, v18
	v_ffbl_b32_e32 v22, v22
	v_add_u32_e32 v22, 32, v22
	v_ffbl_b32_e32 v23, v23
	v_min_u32_e32 v22, v23, v22
	v_cmp_lt_u32_e32 vcc, v32, v22
	s_waitcnt lgkmcnt(0)
	v_cndmask_b32_e32 v23, 0, v45, vcc
	v_add_u32_e32 v20, v23, v20
	ds_bpermute_b32 v23, v34, v20
	v_cmp_le_u32_e32 vcc, v35, v22
	v_subrev_u32_e32 v16, 64, v16
	s_waitcnt lgkmcnt(0)
	v_cndmask_b32_e32 v23, 0, v23, vcc
	v_add_u32_e32 v20, v20, v23
	ds_bpermute_b32 v23, v36, v20
	v_cmp_le_u32_e32 vcc, v37, v22
	s_waitcnt lgkmcnt(0)
	v_cndmask_b32_e32 v23, 0, v23, vcc
	v_add_u32_e32 v20, v20, v23
	ds_bpermute_b32 v23, v38, v20
	v_cmp_le_u32_e32 vcc, v39, v22
	;; [unrolled: 5-line block ×4, first 2 shown]
	s_waitcnt lgkmcnt(0)
	v_cndmask_b32_e32 v22, 0, v23, vcc
	v_add3_u32 v20, v22, v40, v20
.LBB1313_255:                           ; =>This Loop Header: Depth=1
                                        ;     Child Loop BB1313_258 Depth 2
                                        ;       Child Loop BB1313_259 Depth 3
	v_cmp_ne_u16_sdwa s[28:29], v21, v15 src0_sel:BYTE_0 src1_sel:DWORD
	v_cndmask_b32_e64 v21, 0, 1, s[28:29]
	;;#ASMSTART
	;;#ASMEND
	v_cmp_ne_u32_e32 vcc, 0, v21
	s_cmp_lg_u64 vcc, exec
	v_mov_b32_e32 v40, v20
	s_cbranch_scc1 .LBB1313_262
; %bb.256:                              ;   in Loop: Header=BB1313_255 Depth=1
	v_lshlrev_b64 v[20:21], 3, v[16:17]
	v_mov_b32_e32 v23, s31
	v_add_co_u32_e32 v22, vcc, s30, v20
	v_addc_co_u32_e32 v23, vcc, v23, v21, vcc
	global_load_dwordx2 v[20:21], v[22:23], off glc
	s_waitcnt vmcnt(0)
	v_cmp_eq_u16_sdwa s[36:37], v21, v17 src0_sel:BYTE_0 src1_sel:DWORD
	s_and_saveexec_b64 s[28:29], s[36:37]
	s_cbranch_execz .LBB1313_254
; %bb.257:                              ;   in Loop: Header=BB1313_255 Depth=1
	s_mov_b32 s7, 1
	s_mov_b64 s[36:37], 0
.LBB1313_258:                           ;   Parent Loop BB1313_255 Depth=1
                                        ; =>  This Loop Header: Depth=2
                                        ;       Child Loop BB1313_259 Depth 3
	s_max_u32 s33, s7, 1
.LBB1313_259:                           ;   Parent Loop BB1313_255 Depth=1
                                        ;     Parent Loop BB1313_258 Depth=2
                                        ; =>    This Inner Loop Header: Depth=3
	s_add_i32 s33, s33, -1
	s_cmp_eq_u32 s33, 0
	s_sleep 1
	s_cbranch_scc0 .LBB1313_259
; %bb.260:                              ;   in Loop: Header=BB1313_258 Depth=2
	global_load_dwordx2 v[20:21], v[22:23], off glc
	s_cmp_lt_u32 s7, 32
	s_cselect_b64 s[38:39], -1, 0
	s_cmp_lg_u64 s[38:39], 0
	s_addc_u32 s7, s7, 0
	s_waitcnt vmcnt(0)
	v_cmp_ne_u16_sdwa s[38:39], v21, v17 src0_sel:BYTE_0 src1_sel:DWORD
	s_or_b64 s[36:37], s[38:39], s[36:37]
	s_andn2_b64 exec, exec, s[36:37]
	s_cbranch_execnz .LBB1313_258
; %bb.261:                              ;   in Loop: Header=BB1313_255 Depth=1
	s_or_b64 exec, exec, s[36:37]
	s_branch .LBB1313_254
.LBB1313_262:                           ;   in Loop: Header=BB1313_255 Depth=1
                                        ; implicit-def: $vgpr20
                                        ; implicit-def: $vgpr21
	s_cbranch_execz .LBB1313_255
; %bb.263:
	s_and_saveexec_b64 s[28:29], s[16:17]
	s_cbranch_execz .LBB1313_265
; %bb.264:
	s_add_i32 s6, s6, 64
	s_mov_b32 s7, 0
	s_lshl_b64 s[6:7], s[6:7], 3
	s_add_u32 s6, s30, s6
	v_add_u32_e32 v16, v40, v14
	v_mov_b32_e32 v17, 2
	s_addc_u32 s7, s31, s7
	v_mov_b32_e32 v15, 0
	global_store_dwordx2 v15, v[16:17], s[6:7]
	s_movk_i32 s6, 0x2800
	v_add_u32_e64 v15, s6, 0
	ds_write2_b32 v15, v14, v40 offset1:2
.LBB1313_265:
	s_or_b64 exec, exec, s[28:29]
	v_cmp_eq_u32_e32 vcc, 0, v0
	s_and_b64 exec, exec, vcc
	s_cbranch_execz .LBB1313_267
; %bb.266:
	v_mov_b32_e32 v14, 0
	ds_write_b32 v14, v40 offset:12
.LBB1313_267:
	s_or_b64 exec, exec, s[26:27]
	v_mov_b32_e32 v14, 0
	s_waitcnt lgkmcnt(0)
	s_barrier
	ds_read_b32 v14, v14 offset:12
	v_cndmask_b32_e64 v15, v26, v24, s[16:17]
	v_cmp_ne_u32_e32 vcc, 0, v0
	v_cndmask_b32_e32 v15, 0, v15, vcc
	s_movk_i32 s6, 0x2800
	s_waitcnt lgkmcnt(0)
	v_add_u32_e32 v26, v14, v15
	v_add_u32_e64 v14, s6, 0
	s_barrier
	ds_read2_b32 v[14:15], v14 offset1:2
	v_add_u32_e32 v24, v26, v1
	v_add_u32_e32 v22, v24, v25
	;; [unrolled: 1-line block ×4, first 2 shown]
	s_load_dwordx2 s[4:5], s[4:5], 0x28
	v_lshrrev_b64 v[16:17], 24, v[12:13]
	s_branch .LBB1313_278
.LBB1313_268:
                                        ; implicit-def: $vgpr18
                                        ; implicit-def: $vgpr20
                                        ; implicit-def: $vgpr22
                                        ; implicit-def: $vgpr24
                                        ; implicit-def: $vgpr26
                                        ; implicit-def: $vgpr15
	s_load_dwordx2 s[4:5], s[4:5], 0x28
	v_lshrrev_b64 v[16:17], 24, v[12:13]
	s_cbranch_execz .LBB1313_278
; %bb.269:
	s_waitcnt lgkmcnt(0)
	v_mov_b32_dpp v14, v31 row_shr:1 row_mask:0xf bank_mask:0xf
	v_cndmask_b32_e64 v14, v14, 0, s[14:15]
	v_add_u32_e32 v14, v14, v31
	s_nop 1
	v_mov_b32_dpp v15, v14 row_shr:2 row_mask:0xf bank_mask:0xf
	v_cndmask_b32_e64 v15, 0, v15, s[12:13]
	v_add_u32_e32 v14, v14, v15
	s_nop 1
	;; [unrolled: 4-line block ×4, first 2 shown]
	v_mov_b32_dpp v15, v14 row_bcast:15 row_mask:0xf bank_mask:0xf
	v_cndmask_b32_e64 v15, v15, 0, s[18:19]
	v_add_u32_e32 v14, v14, v15
	s_nop 1
	v_mov_b32_dpp v15, v14 row_bcast:31 row_mask:0xf bank_mask:0xf
	v_cndmask_b32_e64 v15, 0, v15, s[0:1]
	v_add_u32_e32 v14, v14, v15
	s_and_saveexec_b64 s[0:1], s[2:3]
	s_cbranch_execz .LBB1313_271
; %bb.270:
	v_lshlrev_b32_e32 v15, 2, v30
	ds_write_b32 v15, v14
.LBB1313_271:
	s_or_b64 exec, exec, s[0:1]
	v_cmp_gt_u32_e32 vcc, 4, v0
	s_waitcnt lgkmcnt(0)
	s_barrier
	s_and_saveexec_b64 s[0:1], vcc
	s_cbranch_execz .LBB1313_273
; %bb.272:
	v_lshlrev_b32_e32 v15, 2, v0
	ds_read_b32 v17, v15
	v_and_b32_e32 v18, 3, v29
	v_cmp_ne_u32_e32 vcc, 0, v18
	s_waitcnt lgkmcnt(0)
	v_mov_b32_dpp v19, v17 row_shr:1 row_mask:0xf bank_mask:0xf
	v_cndmask_b32_e32 v19, 0, v19, vcc
	v_add_u32_e32 v17, v19, v17
	v_cmp_lt_u32_e32 vcc, 1, v18
	s_nop 0
	v_mov_b32_dpp v19, v17 row_shr:2 row_mask:0xf bank_mask:0xf
	v_cndmask_b32_e32 v18, 0, v19, vcc
	v_add_u32_e32 v17, v17, v18
	ds_write_b32 v15, v17
.LBB1313_273:
	s_or_b64 exec, exec, s[0:1]
	v_cmp_lt_u32_e32 vcc, 63, v0
	v_mov_b32_e32 v15, 0
	v_mov_b32_e32 v17, 0
	s_waitcnt lgkmcnt(0)
	s_barrier
	s_and_saveexec_b64 s[0:1], vcc
	s_cbranch_execz .LBB1313_275
; %bb.274:
	v_lshl_add_u32 v17, v30, 2, -4
	ds_read_b32 v17, v17
.LBB1313_275:
	s_or_b64 exec, exec, s[0:1]
	v_add_u32_e32 v18, -1, v29
	v_and_b32_e32 v19, 64, v29
	v_cmp_lt_i32_e32 vcc, v18, v19
	v_cndmask_b32_e32 v18, v18, v29, vcc
	s_waitcnt lgkmcnt(0)
	v_add_u32_e32 v14, v17, v14
	v_lshlrev_b32_e32 v18, 2, v18
	ds_bpermute_b32 v18, v18, v14
	ds_read_b32 v14, v15 offset:12
	v_cmp_eq_u32_e32 vcc, 0, v0
	s_and_saveexec_b64 s[0:1], vcc
	s_cbranch_execz .LBB1313_277
; %bb.276:
	v_mov_b32_e32 v19, 0
	v_mov_b32_e32 v15, 2
	s_waitcnt lgkmcnt(0)
	global_store_dwordx2 v19, v[14:15], s[30:31] offset:512
.LBB1313_277:
	s_or_b64 exec, exec, s[0:1]
	v_cmp_eq_u32_e64 s[0:1], 0, v29
	s_waitcnt lgkmcnt(1)
	v_cndmask_b32_e64 v17, v18, v17, s[0:1]
	v_cndmask_b32_e64 v26, v17, 0, vcc
	v_add_u32_e32 v24, v26, v1
	v_add_u32_e32 v22, v24, v25
	;; [unrolled: 1-line block ×3, first 2 shown]
	v_mov_b32_e32 v15, 0
	v_add_u32_e32 v18, v20, v28
	s_waitcnt lgkmcnt(0)
	s_barrier
.LBB1313_278:
	s_movk_i32 s0, 0x101
	s_waitcnt lgkmcnt(0)
	v_cmp_gt_u32_e32 vcc, s0, v14
	v_lshrrev_b32_e32 v1, 8, v12
	s_mov_b64 s[0:1], -1
	s_cbranch_vccnz .LBB1313_282
; %bb.279:
	s_and_b64 vcc, exec, s[0:1]
	s_cbranch_vccnz .LBB1313_298
.LBB1313_280:
	v_cmp_eq_u32_e32 vcc, 0, v0
	s_and_b64 s[0:1], vcc, s[24:25]
	s_and_saveexec_b64 s[2:3], s[0:1]
	s_cbranch_execnz .LBB1313_312
.LBB1313_281:
	s_endpgm
.LBB1313_282:
	v_add_u32_e32 v17, v15, v14
	v_cmp_lt_u32_e32 vcc, v26, v17
	s_or_b64 s[2:3], s[34:35], vcc
	s_and_saveexec_b64 s[0:1], s[2:3]
	s_cbranch_execz .LBB1313_285
; %bb.283:
	v_and_b32_e32 v19, 1, v12
	v_cmp_eq_u32_e32 vcc, 1, v19
	s_and_b64 exec, exec, vcc
	s_cbranch_execz .LBB1313_285
; %bb.284:
	s_lshl_b64 s[2:3], s[22:23], 3
	s_add_u32 s2, s4, s2
	v_mov_b32_e32 v27, 0
	s_addc_u32 s3, s5, s3
	v_lshlrev_b64 v[28:29], 3, v[26:27]
	v_mov_b32_e32 v19, s3
	v_add_co_u32_e32 v28, vcc, s2, v28
	v_addc_co_u32_e32 v29, vcc, v19, v29, vcc
	global_store_dwordx2 v[28:29], v[6:7], off
.LBB1313_285:
	s_or_b64 exec, exec, s[0:1]
	v_cmp_lt_u32_e32 vcc, v24, v17
	s_or_b64 s[2:3], s[34:35], vcc
	s_and_saveexec_b64 s[0:1], s[2:3]
	s_cbranch_execz .LBB1313_288
; %bb.286:
	v_and_b32_e32 v19, 1, v1
	v_cmp_eq_u32_e32 vcc, 1, v19
	s_and_b64 exec, exec, vcc
	s_cbranch_execz .LBB1313_288
; %bb.287:
	s_lshl_b64 s[2:3], s[22:23], 3
	s_add_u32 s2, s4, s2
	v_mov_b32_e32 v25, 0
	s_addc_u32 s3, s5, s3
	v_lshlrev_b64 v[28:29], 3, v[24:25]
	v_mov_b32_e32 v19, s3
	v_add_co_u32_e32 v28, vcc, s2, v28
	v_addc_co_u32_e32 v29, vcc, v19, v29, vcc
	global_store_dwordx2 v[28:29], v[8:9], off
.LBB1313_288:
	s_or_b64 exec, exec, s[0:1]
	v_cmp_lt_u32_e32 vcc, v22, v17
	s_or_b64 s[2:3], s[34:35], vcc
	s_and_saveexec_b64 s[0:1], s[2:3]
	s_cbranch_execz .LBB1313_291
; %bb.289:
	v_mov_b32_e32 v19, 1
	v_and_b32_sdwa v19, v19, v12 dst_sel:DWORD dst_unused:UNUSED_PAD src0_sel:DWORD src1_sel:WORD_1
	v_cmp_eq_u32_e32 vcc, 1, v19
	s_and_b64 exec, exec, vcc
	s_cbranch_execz .LBB1313_291
; %bb.290:
	s_lshl_b64 s[2:3], s[22:23], 3
	s_add_u32 s2, s4, s2
	v_mov_b32_e32 v23, 0
	s_addc_u32 s3, s5, s3
	v_lshlrev_b64 v[28:29], 3, v[22:23]
	v_mov_b32_e32 v19, s3
	v_add_co_u32_e32 v28, vcc, s2, v28
	v_addc_co_u32_e32 v29, vcc, v19, v29, vcc
	global_store_dwordx2 v[28:29], v[2:3], off
.LBB1313_291:
	s_or_b64 exec, exec, s[0:1]
	v_cmp_lt_u32_e32 vcc, v20, v17
	s_or_b64 s[2:3], s[34:35], vcc
	s_and_saveexec_b64 s[0:1], s[2:3]
	s_cbranch_execz .LBB1313_294
; %bb.292:
	v_and_b32_e32 v19, 1, v16
	v_cmp_eq_u32_e32 vcc, 1, v19
	s_and_b64 exec, exec, vcc
	s_cbranch_execz .LBB1313_294
; %bb.293:
	s_lshl_b64 s[2:3], s[22:23], 3
	s_add_u32 s2, s4, s2
	v_mov_b32_e32 v21, 0
	s_addc_u32 s3, s5, s3
	v_lshlrev_b64 v[28:29], 3, v[20:21]
	v_mov_b32_e32 v19, s3
	v_add_co_u32_e32 v28, vcc, s2, v28
	v_addc_co_u32_e32 v29, vcc, v19, v29, vcc
	global_store_dwordx2 v[28:29], v[4:5], off
.LBB1313_294:
	s_or_b64 exec, exec, s[0:1]
	v_cmp_lt_u32_e32 vcc, v18, v17
	s_or_b64 s[2:3], s[34:35], vcc
	s_and_saveexec_b64 s[0:1], s[2:3]
	s_cbranch_execz .LBB1313_297
; %bb.295:
	v_and_b32_e32 v17, 1, v13
	v_cmp_eq_u32_e32 vcc, 1, v17
	s_and_b64 exec, exec, vcc
	s_cbranch_execz .LBB1313_297
; %bb.296:
	s_lshl_b64 s[2:3], s[22:23], 3
	s_add_u32 s2, s4, s2
	v_mov_b32_e32 v19, 0
	s_addc_u32 s3, s5, s3
	v_lshlrev_b64 v[28:29], 3, v[18:19]
	v_mov_b32_e32 v17, s3
	v_add_co_u32_e32 v28, vcc, s2, v28
	v_addc_co_u32_e32 v29, vcc, v17, v29, vcc
	global_store_dwordx2 v[28:29], v[10:11], off
.LBB1313_297:
	s_or_b64 exec, exec, s[0:1]
	s_branch .LBB1313_280
.LBB1313_298:
	v_and_b32_e32 v17, 1, v12
	v_cmp_eq_u32_e32 vcc, 1, v17
	s_and_saveexec_b64 s[0:1], vcc
	s_cbranch_execz .LBB1313_300
; %bb.299:
	v_sub_u32_e32 v17, v26, v15
	v_lshlrev_b32_e32 v17, 3, v17
	ds_write_b64 v17, v[6:7]
.LBB1313_300:
	s_or_b64 exec, exec, s[0:1]
	v_and_b32_e32 v1, 1, v1
	v_cmp_eq_u32_e32 vcc, 1, v1
	s_and_saveexec_b64 s[0:1], vcc
	s_cbranch_execz .LBB1313_302
; %bb.301:
	v_sub_u32_e32 v1, v24, v15
	v_lshlrev_b32_e32 v1, 3, v1
	ds_write_b64 v1, v[8:9]
.LBB1313_302:
	s_or_b64 exec, exec, s[0:1]
	v_mov_b32_e32 v1, 1
	v_and_b32_sdwa v1, v1, v12 dst_sel:DWORD dst_unused:UNUSED_PAD src0_sel:DWORD src1_sel:WORD_1
	v_cmp_eq_u32_e32 vcc, 1, v1
	s_and_saveexec_b64 s[0:1], vcc
	s_cbranch_execz .LBB1313_304
; %bb.303:
	v_sub_u32_e32 v1, v22, v15
	v_lshlrev_b32_e32 v1, 3, v1
	ds_write_b64 v1, v[2:3]
.LBB1313_304:
	s_or_b64 exec, exec, s[0:1]
	v_and_b32_e32 v1, 1, v16
	v_cmp_eq_u32_e32 vcc, 1, v1
	s_and_saveexec_b64 s[0:1], vcc
	s_cbranch_execz .LBB1313_306
; %bb.305:
	v_sub_u32_e32 v1, v20, v15
	v_lshlrev_b32_e32 v1, 3, v1
	ds_write_b64 v1, v[4:5]
.LBB1313_306:
	s_or_b64 exec, exec, s[0:1]
	v_and_b32_e32 v1, 1, v13
	v_cmp_eq_u32_e32 vcc, 1, v1
	s_and_saveexec_b64 s[0:1], vcc
	s_cbranch_execz .LBB1313_308
; %bb.307:
	v_sub_u32_e32 v1, v18, v15
	v_lshlrev_b32_e32 v1, 3, v1
	ds_write_b64 v1, v[10:11]
.LBB1313_308:
	s_or_b64 exec, exec, s[0:1]
	v_cmp_lt_u32_e32 vcc, v0, v14
	s_waitcnt lgkmcnt(0)
	s_barrier
	s_and_saveexec_b64 s[0:1], vcc
	s_cbranch_execz .LBB1313_311
; %bb.309:
	v_mov_b32_e32 v3, 0
	v_mov_b32_e32 v2, v15
	v_lshlrev_b64 v[4:5], 3, v[2:3]
	v_mov_b32_e32 v1, s5
	v_add_co_u32_e32 v2, vcc, s4, v4
	v_addc_co_u32_e32 v4, vcc, v1, v5, vcc
	s_lshl_b64 s[2:3], s[22:23], 3
	v_mov_b32_e32 v5, s3
	v_add_co_u32_e32 v1, vcc, s2, v2
	v_addc_co_u32_e32 v4, vcc, v4, v5, vcc
	v_lshlrev_b32_e32 v5, 3, v0
	s_mov_b64 s[2:3], 0
	v_mov_b32_e32 v2, v0
.LBB1313_310:                           ; =>This Inner Loop Header: Depth=1
	ds_read_b64 v[6:7], v5
	v_lshlrev_b64 v[8:9], 3, v[2:3]
	v_add_co_u32_e32 v8, vcc, v1, v8
	v_add_u32_e32 v2, 0x100, v2
	v_addc_co_u32_e32 v9, vcc, v4, v9, vcc
	v_cmp_ge_u32_e32 vcc, v2, v14
	v_add_u32_e32 v5, 0x800, v5
	s_or_b64 s[2:3], vcc, s[2:3]
	s_waitcnt lgkmcnt(0)
	global_store_dwordx2 v[8:9], v[6:7], off
	s_andn2_b64 exec, exec, s[2:3]
	s_cbranch_execnz .LBB1313_310
.LBB1313_311:
	s_or_b64 exec, exec, s[0:1]
	v_cmp_eq_u32_e32 vcc, 0, v0
	s_and_b64 s[0:1], vcc, s[24:25]
	s_and_saveexec_b64 s[2:3], s[0:1]
	s_cbranch_execz .LBB1313_281
.LBB1313_312:
	v_mov_b32_e32 v0, s23
	v_add_co_u32_e32 v1, vcc, s22, v14
	v_addc_co_u32_e32 v3, vcc, 0, v0, vcc
	v_add_co_u32_e32 v0, vcc, v1, v15
	v_mov_b32_e32 v2, 0
	v_addc_co_u32_e32 v1, vcc, 0, v3, vcc
	global_store_dwordx2 v2, v[0:1], s[20:21]
	s_endpgm
	.section	.rodata,"a",@progbits
	.p2align	6, 0x0
	.amdhsa_kernel _ZN7rocprim17ROCPRIM_400000_NS6detail17trampoline_kernelINS0_14default_configENS1_25partition_config_selectorILNS1_17partition_subalgoE8ElNS0_10empty_typeEbEEZZNS1_14partition_implILS5_8ELb0ES3_jPlPS6_PKS6_NS0_5tupleIJS9_S6_EEENSD_IJSA_SA_EEENS0_18inequality_wrapperIZN2at6native12_GLOBAL__N_124unique_dim_cuda_templateIN3c104HalfEEESt5tupleIJNSH_6TensorESO_SO_EERKSO_lbbbEUlllE0_EEPmJS6_EEE10hipError_tPvRmT3_T4_T5_T6_T7_T9_mT8_P12ihipStream_tbDpT10_ENKUlT_T0_E_clISt17integral_constantIbLb1EES1D_IbLb0EEEEDaS19_S1A_EUlS19_E_NS1_11comp_targetILNS1_3genE4ELNS1_11target_archE910ELNS1_3gpuE8ELNS1_3repE0EEENS1_30default_config_static_selectorELNS0_4arch9wavefront6targetE1EEEvT1_
		.amdhsa_group_segment_fixed_size 10252
		.amdhsa_private_segment_fixed_size 0
		.amdhsa_kernarg_size 120
		.amdhsa_user_sgpr_count 6
		.amdhsa_user_sgpr_private_segment_buffer 1
		.amdhsa_user_sgpr_dispatch_ptr 0
		.amdhsa_user_sgpr_queue_ptr 0
		.amdhsa_user_sgpr_kernarg_segment_ptr 1
		.amdhsa_user_sgpr_dispatch_id 0
		.amdhsa_user_sgpr_flat_scratch_init 0
		.amdhsa_user_sgpr_kernarg_preload_length 0
		.amdhsa_user_sgpr_kernarg_preload_offset 0
		.amdhsa_user_sgpr_private_segment_size 0
		.amdhsa_uses_dynamic_stack 0
		.amdhsa_system_sgpr_private_segment_wavefront_offset 0
		.amdhsa_system_sgpr_workgroup_id_x 1
		.amdhsa_system_sgpr_workgroup_id_y 0
		.amdhsa_system_sgpr_workgroup_id_z 0
		.amdhsa_system_sgpr_workgroup_info 0
		.amdhsa_system_vgpr_workitem_id 0
		.amdhsa_next_free_vgpr 46
		.amdhsa_next_free_sgpr 48
		.amdhsa_accum_offset 48
		.amdhsa_reserve_vcc 1
		.amdhsa_reserve_flat_scratch 0
		.amdhsa_float_round_mode_32 0
		.amdhsa_float_round_mode_16_64 0
		.amdhsa_float_denorm_mode_32 3
		.amdhsa_float_denorm_mode_16_64 3
		.amdhsa_dx10_clamp 1
		.amdhsa_ieee_mode 1
		.amdhsa_fp16_overflow 0
		.amdhsa_tg_split 0
		.amdhsa_exception_fp_ieee_invalid_op 0
		.amdhsa_exception_fp_denorm_src 0
		.amdhsa_exception_fp_ieee_div_zero 0
		.amdhsa_exception_fp_ieee_overflow 0
		.amdhsa_exception_fp_ieee_underflow 0
		.amdhsa_exception_fp_ieee_inexact 0
		.amdhsa_exception_int_div_zero 0
	.end_amdhsa_kernel
	.section	.text._ZN7rocprim17ROCPRIM_400000_NS6detail17trampoline_kernelINS0_14default_configENS1_25partition_config_selectorILNS1_17partition_subalgoE8ElNS0_10empty_typeEbEEZZNS1_14partition_implILS5_8ELb0ES3_jPlPS6_PKS6_NS0_5tupleIJS9_S6_EEENSD_IJSA_SA_EEENS0_18inequality_wrapperIZN2at6native12_GLOBAL__N_124unique_dim_cuda_templateIN3c104HalfEEESt5tupleIJNSH_6TensorESO_SO_EERKSO_lbbbEUlllE0_EEPmJS6_EEE10hipError_tPvRmT3_T4_T5_T6_T7_T9_mT8_P12ihipStream_tbDpT10_ENKUlT_T0_E_clISt17integral_constantIbLb1EES1D_IbLb0EEEEDaS19_S1A_EUlS19_E_NS1_11comp_targetILNS1_3genE4ELNS1_11target_archE910ELNS1_3gpuE8ELNS1_3repE0EEENS1_30default_config_static_selectorELNS0_4arch9wavefront6targetE1EEEvT1_,"axG",@progbits,_ZN7rocprim17ROCPRIM_400000_NS6detail17trampoline_kernelINS0_14default_configENS1_25partition_config_selectorILNS1_17partition_subalgoE8ElNS0_10empty_typeEbEEZZNS1_14partition_implILS5_8ELb0ES3_jPlPS6_PKS6_NS0_5tupleIJS9_S6_EEENSD_IJSA_SA_EEENS0_18inequality_wrapperIZN2at6native12_GLOBAL__N_124unique_dim_cuda_templateIN3c104HalfEEESt5tupleIJNSH_6TensorESO_SO_EERKSO_lbbbEUlllE0_EEPmJS6_EEE10hipError_tPvRmT3_T4_T5_T6_T7_T9_mT8_P12ihipStream_tbDpT10_ENKUlT_T0_E_clISt17integral_constantIbLb1EES1D_IbLb0EEEEDaS19_S1A_EUlS19_E_NS1_11comp_targetILNS1_3genE4ELNS1_11target_archE910ELNS1_3gpuE8ELNS1_3repE0EEENS1_30default_config_static_selectorELNS0_4arch9wavefront6targetE1EEEvT1_,comdat
.Lfunc_end1313:
	.size	_ZN7rocprim17ROCPRIM_400000_NS6detail17trampoline_kernelINS0_14default_configENS1_25partition_config_selectorILNS1_17partition_subalgoE8ElNS0_10empty_typeEbEEZZNS1_14partition_implILS5_8ELb0ES3_jPlPS6_PKS6_NS0_5tupleIJS9_S6_EEENSD_IJSA_SA_EEENS0_18inequality_wrapperIZN2at6native12_GLOBAL__N_124unique_dim_cuda_templateIN3c104HalfEEESt5tupleIJNSH_6TensorESO_SO_EERKSO_lbbbEUlllE0_EEPmJS6_EEE10hipError_tPvRmT3_T4_T5_T6_T7_T9_mT8_P12ihipStream_tbDpT10_ENKUlT_T0_E_clISt17integral_constantIbLb1EES1D_IbLb0EEEEDaS19_S1A_EUlS19_E_NS1_11comp_targetILNS1_3genE4ELNS1_11target_archE910ELNS1_3gpuE8ELNS1_3repE0EEENS1_30default_config_static_selectorELNS0_4arch9wavefront6targetE1EEEvT1_, .Lfunc_end1313-_ZN7rocprim17ROCPRIM_400000_NS6detail17trampoline_kernelINS0_14default_configENS1_25partition_config_selectorILNS1_17partition_subalgoE8ElNS0_10empty_typeEbEEZZNS1_14partition_implILS5_8ELb0ES3_jPlPS6_PKS6_NS0_5tupleIJS9_S6_EEENSD_IJSA_SA_EEENS0_18inequality_wrapperIZN2at6native12_GLOBAL__N_124unique_dim_cuda_templateIN3c104HalfEEESt5tupleIJNSH_6TensorESO_SO_EERKSO_lbbbEUlllE0_EEPmJS6_EEE10hipError_tPvRmT3_T4_T5_T6_T7_T9_mT8_P12ihipStream_tbDpT10_ENKUlT_T0_E_clISt17integral_constantIbLb1EES1D_IbLb0EEEEDaS19_S1A_EUlS19_E_NS1_11comp_targetILNS1_3genE4ELNS1_11target_archE910ELNS1_3gpuE8ELNS1_3repE0EEENS1_30default_config_static_selectorELNS0_4arch9wavefront6targetE1EEEvT1_
                                        ; -- End function
	.section	.AMDGPU.csdata,"",@progbits
; Kernel info:
; codeLenInByte = 11456
; NumSgprs: 52
; NumVgprs: 46
; NumAgprs: 0
; TotalNumVgprs: 46
; ScratchSize: 0
; MemoryBound: 0
; FloatMode: 240
; IeeeMode: 1
; LDSByteSize: 10252 bytes/workgroup (compile time only)
; SGPRBlocks: 6
; VGPRBlocks: 5
; NumSGPRsForWavesPerEU: 52
; NumVGPRsForWavesPerEU: 46
; AccumOffset: 48
; Occupancy: 6
; WaveLimiterHint : 1
; COMPUTE_PGM_RSRC2:SCRATCH_EN: 0
; COMPUTE_PGM_RSRC2:USER_SGPR: 6
; COMPUTE_PGM_RSRC2:TRAP_HANDLER: 0
; COMPUTE_PGM_RSRC2:TGID_X_EN: 1
; COMPUTE_PGM_RSRC2:TGID_Y_EN: 0
; COMPUTE_PGM_RSRC2:TGID_Z_EN: 0
; COMPUTE_PGM_RSRC2:TIDIG_COMP_CNT: 0
; COMPUTE_PGM_RSRC3_GFX90A:ACCUM_OFFSET: 11
; COMPUTE_PGM_RSRC3_GFX90A:TG_SPLIT: 0
	.section	.text._ZN7rocprim17ROCPRIM_400000_NS6detail17trampoline_kernelINS0_14default_configENS1_25partition_config_selectorILNS1_17partition_subalgoE8ElNS0_10empty_typeEbEEZZNS1_14partition_implILS5_8ELb0ES3_jPlPS6_PKS6_NS0_5tupleIJS9_S6_EEENSD_IJSA_SA_EEENS0_18inequality_wrapperIZN2at6native12_GLOBAL__N_124unique_dim_cuda_templateIN3c104HalfEEESt5tupleIJNSH_6TensorESO_SO_EERKSO_lbbbEUlllE0_EEPmJS6_EEE10hipError_tPvRmT3_T4_T5_T6_T7_T9_mT8_P12ihipStream_tbDpT10_ENKUlT_T0_E_clISt17integral_constantIbLb1EES1D_IbLb0EEEEDaS19_S1A_EUlS19_E_NS1_11comp_targetILNS1_3genE3ELNS1_11target_archE908ELNS1_3gpuE7ELNS1_3repE0EEENS1_30default_config_static_selectorELNS0_4arch9wavefront6targetE1EEEvT1_,"axG",@progbits,_ZN7rocprim17ROCPRIM_400000_NS6detail17trampoline_kernelINS0_14default_configENS1_25partition_config_selectorILNS1_17partition_subalgoE8ElNS0_10empty_typeEbEEZZNS1_14partition_implILS5_8ELb0ES3_jPlPS6_PKS6_NS0_5tupleIJS9_S6_EEENSD_IJSA_SA_EEENS0_18inequality_wrapperIZN2at6native12_GLOBAL__N_124unique_dim_cuda_templateIN3c104HalfEEESt5tupleIJNSH_6TensorESO_SO_EERKSO_lbbbEUlllE0_EEPmJS6_EEE10hipError_tPvRmT3_T4_T5_T6_T7_T9_mT8_P12ihipStream_tbDpT10_ENKUlT_T0_E_clISt17integral_constantIbLb1EES1D_IbLb0EEEEDaS19_S1A_EUlS19_E_NS1_11comp_targetILNS1_3genE3ELNS1_11target_archE908ELNS1_3gpuE7ELNS1_3repE0EEENS1_30default_config_static_selectorELNS0_4arch9wavefront6targetE1EEEvT1_,comdat
	.globl	_ZN7rocprim17ROCPRIM_400000_NS6detail17trampoline_kernelINS0_14default_configENS1_25partition_config_selectorILNS1_17partition_subalgoE8ElNS0_10empty_typeEbEEZZNS1_14partition_implILS5_8ELb0ES3_jPlPS6_PKS6_NS0_5tupleIJS9_S6_EEENSD_IJSA_SA_EEENS0_18inequality_wrapperIZN2at6native12_GLOBAL__N_124unique_dim_cuda_templateIN3c104HalfEEESt5tupleIJNSH_6TensorESO_SO_EERKSO_lbbbEUlllE0_EEPmJS6_EEE10hipError_tPvRmT3_T4_T5_T6_T7_T9_mT8_P12ihipStream_tbDpT10_ENKUlT_T0_E_clISt17integral_constantIbLb1EES1D_IbLb0EEEEDaS19_S1A_EUlS19_E_NS1_11comp_targetILNS1_3genE3ELNS1_11target_archE908ELNS1_3gpuE7ELNS1_3repE0EEENS1_30default_config_static_selectorELNS0_4arch9wavefront6targetE1EEEvT1_ ; -- Begin function _ZN7rocprim17ROCPRIM_400000_NS6detail17trampoline_kernelINS0_14default_configENS1_25partition_config_selectorILNS1_17partition_subalgoE8ElNS0_10empty_typeEbEEZZNS1_14partition_implILS5_8ELb0ES3_jPlPS6_PKS6_NS0_5tupleIJS9_S6_EEENSD_IJSA_SA_EEENS0_18inequality_wrapperIZN2at6native12_GLOBAL__N_124unique_dim_cuda_templateIN3c104HalfEEESt5tupleIJNSH_6TensorESO_SO_EERKSO_lbbbEUlllE0_EEPmJS6_EEE10hipError_tPvRmT3_T4_T5_T6_T7_T9_mT8_P12ihipStream_tbDpT10_ENKUlT_T0_E_clISt17integral_constantIbLb1EES1D_IbLb0EEEEDaS19_S1A_EUlS19_E_NS1_11comp_targetILNS1_3genE3ELNS1_11target_archE908ELNS1_3gpuE7ELNS1_3repE0EEENS1_30default_config_static_selectorELNS0_4arch9wavefront6targetE1EEEvT1_
	.p2align	8
	.type	_ZN7rocprim17ROCPRIM_400000_NS6detail17trampoline_kernelINS0_14default_configENS1_25partition_config_selectorILNS1_17partition_subalgoE8ElNS0_10empty_typeEbEEZZNS1_14partition_implILS5_8ELb0ES3_jPlPS6_PKS6_NS0_5tupleIJS9_S6_EEENSD_IJSA_SA_EEENS0_18inequality_wrapperIZN2at6native12_GLOBAL__N_124unique_dim_cuda_templateIN3c104HalfEEESt5tupleIJNSH_6TensorESO_SO_EERKSO_lbbbEUlllE0_EEPmJS6_EEE10hipError_tPvRmT3_T4_T5_T6_T7_T9_mT8_P12ihipStream_tbDpT10_ENKUlT_T0_E_clISt17integral_constantIbLb1EES1D_IbLb0EEEEDaS19_S1A_EUlS19_E_NS1_11comp_targetILNS1_3genE3ELNS1_11target_archE908ELNS1_3gpuE7ELNS1_3repE0EEENS1_30default_config_static_selectorELNS0_4arch9wavefront6targetE1EEEvT1_,@function
_ZN7rocprim17ROCPRIM_400000_NS6detail17trampoline_kernelINS0_14default_configENS1_25partition_config_selectorILNS1_17partition_subalgoE8ElNS0_10empty_typeEbEEZZNS1_14partition_implILS5_8ELb0ES3_jPlPS6_PKS6_NS0_5tupleIJS9_S6_EEENSD_IJSA_SA_EEENS0_18inequality_wrapperIZN2at6native12_GLOBAL__N_124unique_dim_cuda_templateIN3c104HalfEEESt5tupleIJNSH_6TensorESO_SO_EERKSO_lbbbEUlllE0_EEPmJS6_EEE10hipError_tPvRmT3_T4_T5_T6_T7_T9_mT8_P12ihipStream_tbDpT10_ENKUlT_T0_E_clISt17integral_constantIbLb1EES1D_IbLb0EEEEDaS19_S1A_EUlS19_E_NS1_11comp_targetILNS1_3genE3ELNS1_11target_archE908ELNS1_3gpuE7ELNS1_3repE0EEENS1_30default_config_static_selectorELNS0_4arch9wavefront6targetE1EEEvT1_: ; @_ZN7rocprim17ROCPRIM_400000_NS6detail17trampoline_kernelINS0_14default_configENS1_25partition_config_selectorILNS1_17partition_subalgoE8ElNS0_10empty_typeEbEEZZNS1_14partition_implILS5_8ELb0ES3_jPlPS6_PKS6_NS0_5tupleIJS9_S6_EEENSD_IJSA_SA_EEENS0_18inequality_wrapperIZN2at6native12_GLOBAL__N_124unique_dim_cuda_templateIN3c104HalfEEESt5tupleIJNSH_6TensorESO_SO_EERKSO_lbbbEUlllE0_EEPmJS6_EEE10hipError_tPvRmT3_T4_T5_T6_T7_T9_mT8_P12ihipStream_tbDpT10_ENKUlT_T0_E_clISt17integral_constantIbLb1EES1D_IbLb0EEEEDaS19_S1A_EUlS19_E_NS1_11comp_targetILNS1_3genE3ELNS1_11target_archE908ELNS1_3gpuE7ELNS1_3repE0EEENS1_30default_config_static_selectorELNS0_4arch9wavefront6targetE1EEEvT1_
; %bb.0:
	.section	.rodata,"a",@progbits
	.p2align	6, 0x0
	.amdhsa_kernel _ZN7rocprim17ROCPRIM_400000_NS6detail17trampoline_kernelINS0_14default_configENS1_25partition_config_selectorILNS1_17partition_subalgoE8ElNS0_10empty_typeEbEEZZNS1_14partition_implILS5_8ELb0ES3_jPlPS6_PKS6_NS0_5tupleIJS9_S6_EEENSD_IJSA_SA_EEENS0_18inequality_wrapperIZN2at6native12_GLOBAL__N_124unique_dim_cuda_templateIN3c104HalfEEESt5tupleIJNSH_6TensorESO_SO_EERKSO_lbbbEUlllE0_EEPmJS6_EEE10hipError_tPvRmT3_T4_T5_T6_T7_T9_mT8_P12ihipStream_tbDpT10_ENKUlT_T0_E_clISt17integral_constantIbLb1EES1D_IbLb0EEEEDaS19_S1A_EUlS19_E_NS1_11comp_targetILNS1_3genE3ELNS1_11target_archE908ELNS1_3gpuE7ELNS1_3repE0EEENS1_30default_config_static_selectorELNS0_4arch9wavefront6targetE1EEEvT1_
		.amdhsa_group_segment_fixed_size 0
		.amdhsa_private_segment_fixed_size 0
		.amdhsa_kernarg_size 120
		.amdhsa_user_sgpr_count 6
		.amdhsa_user_sgpr_private_segment_buffer 1
		.amdhsa_user_sgpr_dispatch_ptr 0
		.amdhsa_user_sgpr_queue_ptr 0
		.amdhsa_user_sgpr_kernarg_segment_ptr 1
		.amdhsa_user_sgpr_dispatch_id 0
		.amdhsa_user_sgpr_flat_scratch_init 0
		.amdhsa_user_sgpr_kernarg_preload_length 0
		.amdhsa_user_sgpr_kernarg_preload_offset 0
		.amdhsa_user_sgpr_private_segment_size 0
		.amdhsa_uses_dynamic_stack 0
		.amdhsa_system_sgpr_private_segment_wavefront_offset 0
		.amdhsa_system_sgpr_workgroup_id_x 1
		.amdhsa_system_sgpr_workgroup_id_y 0
		.amdhsa_system_sgpr_workgroup_id_z 0
		.amdhsa_system_sgpr_workgroup_info 0
		.amdhsa_system_vgpr_workitem_id 0
		.amdhsa_next_free_vgpr 1
		.amdhsa_next_free_sgpr 0
		.amdhsa_accum_offset 4
		.amdhsa_reserve_vcc 0
		.amdhsa_reserve_flat_scratch 0
		.amdhsa_float_round_mode_32 0
		.amdhsa_float_round_mode_16_64 0
		.amdhsa_float_denorm_mode_32 3
		.amdhsa_float_denorm_mode_16_64 3
		.amdhsa_dx10_clamp 1
		.amdhsa_ieee_mode 1
		.amdhsa_fp16_overflow 0
		.amdhsa_tg_split 0
		.amdhsa_exception_fp_ieee_invalid_op 0
		.amdhsa_exception_fp_denorm_src 0
		.amdhsa_exception_fp_ieee_div_zero 0
		.amdhsa_exception_fp_ieee_overflow 0
		.amdhsa_exception_fp_ieee_underflow 0
		.amdhsa_exception_fp_ieee_inexact 0
		.amdhsa_exception_int_div_zero 0
	.end_amdhsa_kernel
	.section	.text._ZN7rocprim17ROCPRIM_400000_NS6detail17trampoline_kernelINS0_14default_configENS1_25partition_config_selectorILNS1_17partition_subalgoE8ElNS0_10empty_typeEbEEZZNS1_14partition_implILS5_8ELb0ES3_jPlPS6_PKS6_NS0_5tupleIJS9_S6_EEENSD_IJSA_SA_EEENS0_18inequality_wrapperIZN2at6native12_GLOBAL__N_124unique_dim_cuda_templateIN3c104HalfEEESt5tupleIJNSH_6TensorESO_SO_EERKSO_lbbbEUlllE0_EEPmJS6_EEE10hipError_tPvRmT3_T4_T5_T6_T7_T9_mT8_P12ihipStream_tbDpT10_ENKUlT_T0_E_clISt17integral_constantIbLb1EES1D_IbLb0EEEEDaS19_S1A_EUlS19_E_NS1_11comp_targetILNS1_3genE3ELNS1_11target_archE908ELNS1_3gpuE7ELNS1_3repE0EEENS1_30default_config_static_selectorELNS0_4arch9wavefront6targetE1EEEvT1_,"axG",@progbits,_ZN7rocprim17ROCPRIM_400000_NS6detail17trampoline_kernelINS0_14default_configENS1_25partition_config_selectorILNS1_17partition_subalgoE8ElNS0_10empty_typeEbEEZZNS1_14partition_implILS5_8ELb0ES3_jPlPS6_PKS6_NS0_5tupleIJS9_S6_EEENSD_IJSA_SA_EEENS0_18inequality_wrapperIZN2at6native12_GLOBAL__N_124unique_dim_cuda_templateIN3c104HalfEEESt5tupleIJNSH_6TensorESO_SO_EERKSO_lbbbEUlllE0_EEPmJS6_EEE10hipError_tPvRmT3_T4_T5_T6_T7_T9_mT8_P12ihipStream_tbDpT10_ENKUlT_T0_E_clISt17integral_constantIbLb1EES1D_IbLb0EEEEDaS19_S1A_EUlS19_E_NS1_11comp_targetILNS1_3genE3ELNS1_11target_archE908ELNS1_3gpuE7ELNS1_3repE0EEENS1_30default_config_static_selectorELNS0_4arch9wavefront6targetE1EEEvT1_,comdat
.Lfunc_end1314:
	.size	_ZN7rocprim17ROCPRIM_400000_NS6detail17trampoline_kernelINS0_14default_configENS1_25partition_config_selectorILNS1_17partition_subalgoE8ElNS0_10empty_typeEbEEZZNS1_14partition_implILS5_8ELb0ES3_jPlPS6_PKS6_NS0_5tupleIJS9_S6_EEENSD_IJSA_SA_EEENS0_18inequality_wrapperIZN2at6native12_GLOBAL__N_124unique_dim_cuda_templateIN3c104HalfEEESt5tupleIJNSH_6TensorESO_SO_EERKSO_lbbbEUlllE0_EEPmJS6_EEE10hipError_tPvRmT3_T4_T5_T6_T7_T9_mT8_P12ihipStream_tbDpT10_ENKUlT_T0_E_clISt17integral_constantIbLb1EES1D_IbLb0EEEEDaS19_S1A_EUlS19_E_NS1_11comp_targetILNS1_3genE3ELNS1_11target_archE908ELNS1_3gpuE7ELNS1_3repE0EEENS1_30default_config_static_selectorELNS0_4arch9wavefront6targetE1EEEvT1_, .Lfunc_end1314-_ZN7rocprim17ROCPRIM_400000_NS6detail17trampoline_kernelINS0_14default_configENS1_25partition_config_selectorILNS1_17partition_subalgoE8ElNS0_10empty_typeEbEEZZNS1_14partition_implILS5_8ELb0ES3_jPlPS6_PKS6_NS0_5tupleIJS9_S6_EEENSD_IJSA_SA_EEENS0_18inequality_wrapperIZN2at6native12_GLOBAL__N_124unique_dim_cuda_templateIN3c104HalfEEESt5tupleIJNSH_6TensorESO_SO_EERKSO_lbbbEUlllE0_EEPmJS6_EEE10hipError_tPvRmT3_T4_T5_T6_T7_T9_mT8_P12ihipStream_tbDpT10_ENKUlT_T0_E_clISt17integral_constantIbLb1EES1D_IbLb0EEEEDaS19_S1A_EUlS19_E_NS1_11comp_targetILNS1_3genE3ELNS1_11target_archE908ELNS1_3gpuE7ELNS1_3repE0EEENS1_30default_config_static_selectorELNS0_4arch9wavefront6targetE1EEEvT1_
                                        ; -- End function
	.section	.AMDGPU.csdata,"",@progbits
; Kernel info:
; codeLenInByte = 0
; NumSgprs: 4
; NumVgprs: 0
; NumAgprs: 0
; TotalNumVgprs: 0
; ScratchSize: 0
; MemoryBound: 0
; FloatMode: 240
; IeeeMode: 1
; LDSByteSize: 0 bytes/workgroup (compile time only)
; SGPRBlocks: 0
; VGPRBlocks: 0
; NumSGPRsForWavesPerEU: 4
; NumVGPRsForWavesPerEU: 1
; AccumOffset: 4
; Occupancy: 8
; WaveLimiterHint : 0
; COMPUTE_PGM_RSRC2:SCRATCH_EN: 0
; COMPUTE_PGM_RSRC2:USER_SGPR: 6
; COMPUTE_PGM_RSRC2:TRAP_HANDLER: 0
; COMPUTE_PGM_RSRC2:TGID_X_EN: 1
; COMPUTE_PGM_RSRC2:TGID_Y_EN: 0
; COMPUTE_PGM_RSRC2:TGID_Z_EN: 0
; COMPUTE_PGM_RSRC2:TIDIG_COMP_CNT: 0
; COMPUTE_PGM_RSRC3_GFX90A:ACCUM_OFFSET: 0
; COMPUTE_PGM_RSRC3_GFX90A:TG_SPLIT: 0
	.section	.text._ZN7rocprim17ROCPRIM_400000_NS6detail17trampoline_kernelINS0_14default_configENS1_25partition_config_selectorILNS1_17partition_subalgoE8ElNS0_10empty_typeEbEEZZNS1_14partition_implILS5_8ELb0ES3_jPlPS6_PKS6_NS0_5tupleIJS9_S6_EEENSD_IJSA_SA_EEENS0_18inequality_wrapperIZN2at6native12_GLOBAL__N_124unique_dim_cuda_templateIN3c104HalfEEESt5tupleIJNSH_6TensorESO_SO_EERKSO_lbbbEUlllE0_EEPmJS6_EEE10hipError_tPvRmT3_T4_T5_T6_T7_T9_mT8_P12ihipStream_tbDpT10_ENKUlT_T0_E_clISt17integral_constantIbLb1EES1D_IbLb0EEEEDaS19_S1A_EUlS19_E_NS1_11comp_targetILNS1_3genE2ELNS1_11target_archE906ELNS1_3gpuE6ELNS1_3repE0EEENS1_30default_config_static_selectorELNS0_4arch9wavefront6targetE1EEEvT1_,"axG",@progbits,_ZN7rocprim17ROCPRIM_400000_NS6detail17trampoline_kernelINS0_14default_configENS1_25partition_config_selectorILNS1_17partition_subalgoE8ElNS0_10empty_typeEbEEZZNS1_14partition_implILS5_8ELb0ES3_jPlPS6_PKS6_NS0_5tupleIJS9_S6_EEENSD_IJSA_SA_EEENS0_18inequality_wrapperIZN2at6native12_GLOBAL__N_124unique_dim_cuda_templateIN3c104HalfEEESt5tupleIJNSH_6TensorESO_SO_EERKSO_lbbbEUlllE0_EEPmJS6_EEE10hipError_tPvRmT3_T4_T5_T6_T7_T9_mT8_P12ihipStream_tbDpT10_ENKUlT_T0_E_clISt17integral_constantIbLb1EES1D_IbLb0EEEEDaS19_S1A_EUlS19_E_NS1_11comp_targetILNS1_3genE2ELNS1_11target_archE906ELNS1_3gpuE6ELNS1_3repE0EEENS1_30default_config_static_selectorELNS0_4arch9wavefront6targetE1EEEvT1_,comdat
	.globl	_ZN7rocprim17ROCPRIM_400000_NS6detail17trampoline_kernelINS0_14default_configENS1_25partition_config_selectorILNS1_17partition_subalgoE8ElNS0_10empty_typeEbEEZZNS1_14partition_implILS5_8ELb0ES3_jPlPS6_PKS6_NS0_5tupleIJS9_S6_EEENSD_IJSA_SA_EEENS0_18inequality_wrapperIZN2at6native12_GLOBAL__N_124unique_dim_cuda_templateIN3c104HalfEEESt5tupleIJNSH_6TensorESO_SO_EERKSO_lbbbEUlllE0_EEPmJS6_EEE10hipError_tPvRmT3_T4_T5_T6_T7_T9_mT8_P12ihipStream_tbDpT10_ENKUlT_T0_E_clISt17integral_constantIbLb1EES1D_IbLb0EEEEDaS19_S1A_EUlS19_E_NS1_11comp_targetILNS1_3genE2ELNS1_11target_archE906ELNS1_3gpuE6ELNS1_3repE0EEENS1_30default_config_static_selectorELNS0_4arch9wavefront6targetE1EEEvT1_ ; -- Begin function _ZN7rocprim17ROCPRIM_400000_NS6detail17trampoline_kernelINS0_14default_configENS1_25partition_config_selectorILNS1_17partition_subalgoE8ElNS0_10empty_typeEbEEZZNS1_14partition_implILS5_8ELb0ES3_jPlPS6_PKS6_NS0_5tupleIJS9_S6_EEENSD_IJSA_SA_EEENS0_18inequality_wrapperIZN2at6native12_GLOBAL__N_124unique_dim_cuda_templateIN3c104HalfEEESt5tupleIJNSH_6TensorESO_SO_EERKSO_lbbbEUlllE0_EEPmJS6_EEE10hipError_tPvRmT3_T4_T5_T6_T7_T9_mT8_P12ihipStream_tbDpT10_ENKUlT_T0_E_clISt17integral_constantIbLb1EES1D_IbLb0EEEEDaS19_S1A_EUlS19_E_NS1_11comp_targetILNS1_3genE2ELNS1_11target_archE906ELNS1_3gpuE6ELNS1_3repE0EEENS1_30default_config_static_selectorELNS0_4arch9wavefront6targetE1EEEvT1_
	.p2align	8
	.type	_ZN7rocprim17ROCPRIM_400000_NS6detail17trampoline_kernelINS0_14default_configENS1_25partition_config_selectorILNS1_17partition_subalgoE8ElNS0_10empty_typeEbEEZZNS1_14partition_implILS5_8ELb0ES3_jPlPS6_PKS6_NS0_5tupleIJS9_S6_EEENSD_IJSA_SA_EEENS0_18inequality_wrapperIZN2at6native12_GLOBAL__N_124unique_dim_cuda_templateIN3c104HalfEEESt5tupleIJNSH_6TensorESO_SO_EERKSO_lbbbEUlllE0_EEPmJS6_EEE10hipError_tPvRmT3_T4_T5_T6_T7_T9_mT8_P12ihipStream_tbDpT10_ENKUlT_T0_E_clISt17integral_constantIbLb1EES1D_IbLb0EEEEDaS19_S1A_EUlS19_E_NS1_11comp_targetILNS1_3genE2ELNS1_11target_archE906ELNS1_3gpuE6ELNS1_3repE0EEENS1_30default_config_static_selectorELNS0_4arch9wavefront6targetE1EEEvT1_,@function
_ZN7rocprim17ROCPRIM_400000_NS6detail17trampoline_kernelINS0_14default_configENS1_25partition_config_selectorILNS1_17partition_subalgoE8ElNS0_10empty_typeEbEEZZNS1_14partition_implILS5_8ELb0ES3_jPlPS6_PKS6_NS0_5tupleIJS9_S6_EEENSD_IJSA_SA_EEENS0_18inequality_wrapperIZN2at6native12_GLOBAL__N_124unique_dim_cuda_templateIN3c104HalfEEESt5tupleIJNSH_6TensorESO_SO_EERKSO_lbbbEUlllE0_EEPmJS6_EEE10hipError_tPvRmT3_T4_T5_T6_T7_T9_mT8_P12ihipStream_tbDpT10_ENKUlT_T0_E_clISt17integral_constantIbLb1EES1D_IbLb0EEEEDaS19_S1A_EUlS19_E_NS1_11comp_targetILNS1_3genE2ELNS1_11target_archE906ELNS1_3gpuE6ELNS1_3repE0EEENS1_30default_config_static_selectorELNS0_4arch9wavefront6targetE1EEEvT1_: ; @_ZN7rocprim17ROCPRIM_400000_NS6detail17trampoline_kernelINS0_14default_configENS1_25partition_config_selectorILNS1_17partition_subalgoE8ElNS0_10empty_typeEbEEZZNS1_14partition_implILS5_8ELb0ES3_jPlPS6_PKS6_NS0_5tupleIJS9_S6_EEENSD_IJSA_SA_EEENS0_18inequality_wrapperIZN2at6native12_GLOBAL__N_124unique_dim_cuda_templateIN3c104HalfEEESt5tupleIJNSH_6TensorESO_SO_EERKSO_lbbbEUlllE0_EEPmJS6_EEE10hipError_tPvRmT3_T4_T5_T6_T7_T9_mT8_P12ihipStream_tbDpT10_ENKUlT_T0_E_clISt17integral_constantIbLb1EES1D_IbLb0EEEEDaS19_S1A_EUlS19_E_NS1_11comp_targetILNS1_3genE2ELNS1_11target_archE906ELNS1_3gpuE6ELNS1_3repE0EEENS1_30default_config_static_selectorELNS0_4arch9wavefront6targetE1EEEvT1_
; %bb.0:
	.section	.rodata,"a",@progbits
	.p2align	6, 0x0
	.amdhsa_kernel _ZN7rocprim17ROCPRIM_400000_NS6detail17trampoline_kernelINS0_14default_configENS1_25partition_config_selectorILNS1_17partition_subalgoE8ElNS0_10empty_typeEbEEZZNS1_14partition_implILS5_8ELb0ES3_jPlPS6_PKS6_NS0_5tupleIJS9_S6_EEENSD_IJSA_SA_EEENS0_18inequality_wrapperIZN2at6native12_GLOBAL__N_124unique_dim_cuda_templateIN3c104HalfEEESt5tupleIJNSH_6TensorESO_SO_EERKSO_lbbbEUlllE0_EEPmJS6_EEE10hipError_tPvRmT3_T4_T5_T6_T7_T9_mT8_P12ihipStream_tbDpT10_ENKUlT_T0_E_clISt17integral_constantIbLb1EES1D_IbLb0EEEEDaS19_S1A_EUlS19_E_NS1_11comp_targetILNS1_3genE2ELNS1_11target_archE906ELNS1_3gpuE6ELNS1_3repE0EEENS1_30default_config_static_selectorELNS0_4arch9wavefront6targetE1EEEvT1_
		.amdhsa_group_segment_fixed_size 0
		.amdhsa_private_segment_fixed_size 0
		.amdhsa_kernarg_size 120
		.amdhsa_user_sgpr_count 6
		.amdhsa_user_sgpr_private_segment_buffer 1
		.amdhsa_user_sgpr_dispatch_ptr 0
		.amdhsa_user_sgpr_queue_ptr 0
		.amdhsa_user_sgpr_kernarg_segment_ptr 1
		.amdhsa_user_sgpr_dispatch_id 0
		.amdhsa_user_sgpr_flat_scratch_init 0
		.amdhsa_user_sgpr_kernarg_preload_length 0
		.amdhsa_user_sgpr_kernarg_preload_offset 0
		.amdhsa_user_sgpr_private_segment_size 0
		.amdhsa_uses_dynamic_stack 0
		.amdhsa_system_sgpr_private_segment_wavefront_offset 0
		.amdhsa_system_sgpr_workgroup_id_x 1
		.amdhsa_system_sgpr_workgroup_id_y 0
		.amdhsa_system_sgpr_workgroup_id_z 0
		.amdhsa_system_sgpr_workgroup_info 0
		.amdhsa_system_vgpr_workitem_id 0
		.amdhsa_next_free_vgpr 1
		.amdhsa_next_free_sgpr 0
		.amdhsa_accum_offset 4
		.amdhsa_reserve_vcc 0
		.amdhsa_reserve_flat_scratch 0
		.amdhsa_float_round_mode_32 0
		.amdhsa_float_round_mode_16_64 0
		.amdhsa_float_denorm_mode_32 3
		.amdhsa_float_denorm_mode_16_64 3
		.amdhsa_dx10_clamp 1
		.amdhsa_ieee_mode 1
		.amdhsa_fp16_overflow 0
		.amdhsa_tg_split 0
		.amdhsa_exception_fp_ieee_invalid_op 0
		.amdhsa_exception_fp_denorm_src 0
		.amdhsa_exception_fp_ieee_div_zero 0
		.amdhsa_exception_fp_ieee_overflow 0
		.amdhsa_exception_fp_ieee_underflow 0
		.amdhsa_exception_fp_ieee_inexact 0
		.amdhsa_exception_int_div_zero 0
	.end_amdhsa_kernel
	.section	.text._ZN7rocprim17ROCPRIM_400000_NS6detail17trampoline_kernelINS0_14default_configENS1_25partition_config_selectorILNS1_17partition_subalgoE8ElNS0_10empty_typeEbEEZZNS1_14partition_implILS5_8ELb0ES3_jPlPS6_PKS6_NS0_5tupleIJS9_S6_EEENSD_IJSA_SA_EEENS0_18inequality_wrapperIZN2at6native12_GLOBAL__N_124unique_dim_cuda_templateIN3c104HalfEEESt5tupleIJNSH_6TensorESO_SO_EERKSO_lbbbEUlllE0_EEPmJS6_EEE10hipError_tPvRmT3_T4_T5_T6_T7_T9_mT8_P12ihipStream_tbDpT10_ENKUlT_T0_E_clISt17integral_constantIbLb1EES1D_IbLb0EEEEDaS19_S1A_EUlS19_E_NS1_11comp_targetILNS1_3genE2ELNS1_11target_archE906ELNS1_3gpuE6ELNS1_3repE0EEENS1_30default_config_static_selectorELNS0_4arch9wavefront6targetE1EEEvT1_,"axG",@progbits,_ZN7rocprim17ROCPRIM_400000_NS6detail17trampoline_kernelINS0_14default_configENS1_25partition_config_selectorILNS1_17partition_subalgoE8ElNS0_10empty_typeEbEEZZNS1_14partition_implILS5_8ELb0ES3_jPlPS6_PKS6_NS0_5tupleIJS9_S6_EEENSD_IJSA_SA_EEENS0_18inequality_wrapperIZN2at6native12_GLOBAL__N_124unique_dim_cuda_templateIN3c104HalfEEESt5tupleIJNSH_6TensorESO_SO_EERKSO_lbbbEUlllE0_EEPmJS6_EEE10hipError_tPvRmT3_T4_T5_T6_T7_T9_mT8_P12ihipStream_tbDpT10_ENKUlT_T0_E_clISt17integral_constantIbLb1EES1D_IbLb0EEEEDaS19_S1A_EUlS19_E_NS1_11comp_targetILNS1_3genE2ELNS1_11target_archE906ELNS1_3gpuE6ELNS1_3repE0EEENS1_30default_config_static_selectorELNS0_4arch9wavefront6targetE1EEEvT1_,comdat
.Lfunc_end1315:
	.size	_ZN7rocprim17ROCPRIM_400000_NS6detail17trampoline_kernelINS0_14default_configENS1_25partition_config_selectorILNS1_17partition_subalgoE8ElNS0_10empty_typeEbEEZZNS1_14partition_implILS5_8ELb0ES3_jPlPS6_PKS6_NS0_5tupleIJS9_S6_EEENSD_IJSA_SA_EEENS0_18inequality_wrapperIZN2at6native12_GLOBAL__N_124unique_dim_cuda_templateIN3c104HalfEEESt5tupleIJNSH_6TensorESO_SO_EERKSO_lbbbEUlllE0_EEPmJS6_EEE10hipError_tPvRmT3_T4_T5_T6_T7_T9_mT8_P12ihipStream_tbDpT10_ENKUlT_T0_E_clISt17integral_constantIbLb1EES1D_IbLb0EEEEDaS19_S1A_EUlS19_E_NS1_11comp_targetILNS1_3genE2ELNS1_11target_archE906ELNS1_3gpuE6ELNS1_3repE0EEENS1_30default_config_static_selectorELNS0_4arch9wavefront6targetE1EEEvT1_, .Lfunc_end1315-_ZN7rocprim17ROCPRIM_400000_NS6detail17trampoline_kernelINS0_14default_configENS1_25partition_config_selectorILNS1_17partition_subalgoE8ElNS0_10empty_typeEbEEZZNS1_14partition_implILS5_8ELb0ES3_jPlPS6_PKS6_NS0_5tupleIJS9_S6_EEENSD_IJSA_SA_EEENS0_18inequality_wrapperIZN2at6native12_GLOBAL__N_124unique_dim_cuda_templateIN3c104HalfEEESt5tupleIJNSH_6TensorESO_SO_EERKSO_lbbbEUlllE0_EEPmJS6_EEE10hipError_tPvRmT3_T4_T5_T6_T7_T9_mT8_P12ihipStream_tbDpT10_ENKUlT_T0_E_clISt17integral_constantIbLb1EES1D_IbLb0EEEEDaS19_S1A_EUlS19_E_NS1_11comp_targetILNS1_3genE2ELNS1_11target_archE906ELNS1_3gpuE6ELNS1_3repE0EEENS1_30default_config_static_selectorELNS0_4arch9wavefront6targetE1EEEvT1_
                                        ; -- End function
	.section	.AMDGPU.csdata,"",@progbits
; Kernel info:
; codeLenInByte = 0
; NumSgprs: 4
; NumVgprs: 0
; NumAgprs: 0
; TotalNumVgprs: 0
; ScratchSize: 0
; MemoryBound: 0
; FloatMode: 240
; IeeeMode: 1
; LDSByteSize: 0 bytes/workgroup (compile time only)
; SGPRBlocks: 0
; VGPRBlocks: 0
; NumSGPRsForWavesPerEU: 4
; NumVGPRsForWavesPerEU: 1
; AccumOffset: 4
; Occupancy: 8
; WaveLimiterHint : 0
; COMPUTE_PGM_RSRC2:SCRATCH_EN: 0
; COMPUTE_PGM_RSRC2:USER_SGPR: 6
; COMPUTE_PGM_RSRC2:TRAP_HANDLER: 0
; COMPUTE_PGM_RSRC2:TGID_X_EN: 1
; COMPUTE_PGM_RSRC2:TGID_Y_EN: 0
; COMPUTE_PGM_RSRC2:TGID_Z_EN: 0
; COMPUTE_PGM_RSRC2:TIDIG_COMP_CNT: 0
; COMPUTE_PGM_RSRC3_GFX90A:ACCUM_OFFSET: 0
; COMPUTE_PGM_RSRC3_GFX90A:TG_SPLIT: 0
	.section	.text._ZN7rocprim17ROCPRIM_400000_NS6detail17trampoline_kernelINS0_14default_configENS1_25partition_config_selectorILNS1_17partition_subalgoE8ElNS0_10empty_typeEbEEZZNS1_14partition_implILS5_8ELb0ES3_jPlPS6_PKS6_NS0_5tupleIJS9_S6_EEENSD_IJSA_SA_EEENS0_18inequality_wrapperIZN2at6native12_GLOBAL__N_124unique_dim_cuda_templateIN3c104HalfEEESt5tupleIJNSH_6TensorESO_SO_EERKSO_lbbbEUlllE0_EEPmJS6_EEE10hipError_tPvRmT3_T4_T5_T6_T7_T9_mT8_P12ihipStream_tbDpT10_ENKUlT_T0_E_clISt17integral_constantIbLb1EES1D_IbLb0EEEEDaS19_S1A_EUlS19_E_NS1_11comp_targetILNS1_3genE10ELNS1_11target_archE1200ELNS1_3gpuE4ELNS1_3repE0EEENS1_30default_config_static_selectorELNS0_4arch9wavefront6targetE1EEEvT1_,"axG",@progbits,_ZN7rocprim17ROCPRIM_400000_NS6detail17trampoline_kernelINS0_14default_configENS1_25partition_config_selectorILNS1_17partition_subalgoE8ElNS0_10empty_typeEbEEZZNS1_14partition_implILS5_8ELb0ES3_jPlPS6_PKS6_NS0_5tupleIJS9_S6_EEENSD_IJSA_SA_EEENS0_18inequality_wrapperIZN2at6native12_GLOBAL__N_124unique_dim_cuda_templateIN3c104HalfEEESt5tupleIJNSH_6TensorESO_SO_EERKSO_lbbbEUlllE0_EEPmJS6_EEE10hipError_tPvRmT3_T4_T5_T6_T7_T9_mT8_P12ihipStream_tbDpT10_ENKUlT_T0_E_clISt17integral_constantIbLb1EES1D_IbLb0EEEEDaS19_S1A_EUlS19_E_NS1_11comp_targetILNS1_3genE10ELNS1_11target_archE1200ELNS1_3gpuE4ELNS1_3repE0EEENS1_30default_config_static_selectorELNS0_4arch9wavefront6targetE1EEEvT1_,comdat
	.globl	_ZN7rocprim17ROCPRIM_400000_NS6detail17trampoline_kernelINS0_14default_configENS1_25partition_config_selectorILNS1_17partition_subalgoE8ElNS0_10empty_typeEbEEZZNS1_14partition_implILS5_8ELb0ES3_jPlPS6_PKS6_NS0_5tupleIJS9_S6_EEENSD_IJSA_SA_EEENS0_18inequality_wrapperIZN2at6native12_GLOBAL__N_124unique_dim_cuda_templateIN3c104HalfEEESt5tupleIJNSH_6TensorESO_SO_EERKSO_lbbbEUlllE0_EEPmJS6_EEE10hipError_tPvRmT3_T4_T5_T6_T7_T9_mT8_P12ihipStream_tbDpT10_ENKUlT_T0_E_clISt17integral_constantIbLb1EES1D_IbLb0EEEEDaS19_S1A_EUlS19_E_NS1_11comp_targetILNS1_3genE10ELNS1_11target_archE1200ELNS1_3gpuE4ELNS1_3repE0EEENS1_30default_config_static_selectorELNS0_4arch9wavefront6targetE1EEEvT1_ ; -- Begin function _ZN7rocprim17ROCPRIM_400000_NS6detail17trampoline_kernelINS0_14default_configENS1_25partition_config_selectorILNS1_17partition_subalgoE8ElNS0_10empty_typeEbEEZZNS1_14partition_implILS5_8ELb0ES3_jPlPS6_PKS6_NS0_5tupleIJS9_S6_EEENSD_IJSA_SA_EEENS0_18inequality_wrapperIZN2at6native12_GLOBAL__N_124unique_dim_cuda_templateIN3c104HalfEEESt5tupleIJNSH_6TensorESO_SO_EERKSO_lbbbEUlllE0_EEPmJS6_EEE10hipError_tPvRmT3_T4_T5_T6_T7_T9_mT8_P12ihipStream_tbDpT10_ENKUlT_T0_E_clISt17integral_constantIbLb1EES1D_IbLb0EEEEDaS19_S1A_EUlS19_E_NS1_11comp_targetILNS1_3genE10ELNS1_11target_archE1200ELNS1_3gpuE4ELNS1_3repE0EEENS1_30default_config_static_selectorELNS0_4arch9wavefront6targetE1EEEvT1_
	.p2align	8
	.type	_ZN7rocprim17ROCPRIM_400000_NS6detail17trampoline_kernelINS0_14default_configENS1_25partition_config_selectorILNS1_17partition_subalgoE8ElNS0_10empty_typeEbEEZZNS1_14partition_implILS5_8ELb0ES3_jPlPS6_PKS6_NS0_5tupleIJS9_S6_EEENSD_IJSA_SA_EEENS0_18inequality_wrapperIZN2at6native12_GLOBAL__N_124unique_dim_cuda_templateIN3c104HalfEEESt5tupleIJNSH_6TensorESO_SO_EERKSO_lbbbEUlllE0_EEPmJS6_EEE10hipError_tPvRmT3_T4_T5_T6_T7_T9_mT8_P12ihipStream_tbDpT10_ENKUlT_T0_E_clISt17integral_constantIbLb1EES1D_IbLb0EEEEDaS19_S1A_EUlS19_E_NS1_11comp_targetILNS1_3genE10ELNS1_11target_archE1200ELNS1_3gpuE4ELNS1_3repE0EEENS1_30default_config_static_selectorELNS0_4arch9wavefront6targetE1EEEvT1_,@function
_ZN7rocprim17ROCPRIM_400000_NS6detail17trampoline_kernelINS0_14default_configENS1_25partition_config_selectorILNS1_17partition_subalgoE8ElNS0_10empty_typeEbEEZZNS1_14partition_implILS5_8ELb0ES3_jPlPS6_PKS6_NS0_5tupleIJS9_S6_EEENSD_IJSA_SA_EEENS0_18inequality_wrapperIZN2at6native12_GLOBAL__N_124unique_dim_cuda_templateIN3c104HalfEEESt5tupleIJNSH_6TensorESO_SO_EERKSO_lbbbEUlllE0_EEPmJS6_EEE10hipError_tPvRmT3_T4_T5_T6_T7_T9_mT8_P12ihipStream_tbDpT10_ENKUlT_T0_E_clISt17integral_constantIbLb1EES1D_IbLb0EEEEDaS19_S1A_EUlS19_E_NS1_11comp_targetILNS1_3genE10ELNS1_11target_archE1200ELNS1_3gpuE4ELNS1_3repE0EEENS1_30default_config_static_selectorELNS0_4arch9wavefront6targetE1EEEvT1_: ; @_ZN7rocprim17ROCPRIM_400000_NS6detail17trampoline_kernelINS0_14default_configENS1_25partition_config_selectorILNS1_17partition_subalgoE8ElNS0_10empty_typeEbEEZZNS1_14partition_implILS5_8ELb0ES3_jPlPS6_PKS6_NS0_5tupleIJS9_S6_EEENSD_IJSA_SA_EEENS0_18inequality_wrapperIZN2at6native12_GLOBAL__N_124unique_dim_cuda_templateIN3c104HalfEEESt5tupleIJNSH_6TensorESO_SO_EERKSO_lbbbEUlllE0_EEPmJS6_EEE10hipError_tPvRmT3_T4_T5_T6_T7_T9_mT8_P12ihipStream_tbDpT10_ENKUlT_T0_E_clISt17integral_constantIbLb1EES1D_IbLb0EEEEDaS19_S1A_EUlS19_E_NS1_11comp_targetILNS1_3genE10ELNS1_11target_archE1200ELNS1_3gpuE4ELNS1_3repE0EEENS1_30default_config_static_selectorELNS0_4arch9wavefront6targetE1EEEvT1_
; %bb.0:
	.section	.rodata,"a",@progbits
	.p2align	6, 0x0
	.amdhsa_kernel _ZN7rocprim17ROCPRIM_400000_NS6detail17trampoline_kernelINS0_14default_configENS1_25partition_config_selectorILNS1_17partition_subalgoE8ElNS0_10empty_typeEbEEZZNS1_14partition_implILS5_8ELb0ES3_jPlPS6_PKS6_NS0_5tupleIJS9_S6_EEENSD_IJSA_SA_EEENS0_18inequality_wrapperIZN2at6native12_GLOBAL__N_124unique_dim_cuda_templateIN3c104HalfEEESt5tupleIJNSH_6TensorESO_SO_EERKSO_lbbbEUlllE0_EEPmJS6_EEE10hipError_tPvRmT3_T4_T5_T6_T7_T9_mT8_P12ihipStream_tbDpT10_ENKUlT_T0_E_clISt17integral_constantIbLb1EES1D_IbLb0EEEEDaS19_S1A_EUlS19_E_NS1_11comp_targetILNS1_3genE10ELNS1_11target_archE1200ELNS1_3gpuE4ELNS1_3repE0EEENS1_30default_config_static_selectorELNS0_4arch9wavefront6targetE1EEEvT1_
		.amdhsa_group_segment_fixed_size 0
		.amdhsa_private_segment_fixed_size 0
		.amdhsa_kernarg_size 120
		.amdhsa_user_sgpr_count 6
		.amdhsa_user_sgpr_private_segment_buffer 1
		.amdhsa_user_sgpr_dispatch_ptr 0
		.amdhsa_user_sgpr_queue_ptr 0
		.amdhsa_user_sgpr_kernarg_segment_ptr 1
		.amdhsa_user_sgpr_dispatch_id 0
		.amdhsa_user_sgpr_flat_scratch_init 0
		.amdhsa_user_sgpr_kernarg_preload_length 0
		.amdhsa_user_sgpr_kernarg_preload_offset 0
		.amdhsa_user_sgpr_private_segment_size 0
		.amdhsa_uses_dynamic_stack 0
		.amdhsa_system_sgpr_private_segment_wavefront_offset 0
		.amdhsa_system_sgpr_workgroup_id_x 1
		.amdhsa_system_sgpr_workgroup_id_y 0
		.amdhsa_system_sgpr_workgroup_id_z 0
		.amdhsa_system_sgpr_workgroup_info 0
		.amdhsa_system_vgpr_workitem_id 0
		.amdhsa_next_free_vgpr 1
		.amdhsa_next_free_sgpr 0
		.amdhsa_accum_offset 4
		.amdhsa_reserve_vcc 0
		.amdhsa_reserve_flat_scratch 0
		.amdhsa_float_round_mode_32 0
		.amdhsa_float_round_mode_16_64 0
		.amdhsa_float_denorm_mode_32 3
		.amdhsa_float_denorm_mode_16_64 3
		.amdhsa_dx10_clamp 1
		.amdhsa_ieee_mode 1
		.amdhsa_fp16_overflow 0
		.amdhsa_tg_split 0
		.amdhsa_exception_fp_ieee_invalid_op 0
		.amdhsa_exception_fp_denorm_src 0
		.amdhsa_exception_fp_ieee_div_zero 0
		.amdhsa_exception_fp_ieee_overflow 0
		.amdhsa_exception_fp_ieee_underflow 0
		.amdhsa_exception_fp_ieee_inexact 0
		.amdhsa_exception_int_div_zero 0
	.end_amdhsa_kernel
	.section	.text._ZN7rocprim17ROCPRIM_400000_NS6detail17trampoline_kernelINS0_14default_configENS1_25partition_config_selectorILNS1_17partition_subalgoE8ElNS0_10empty_typeEbEEZZNS1_14partition_implILS5_8ELb0ES3_jPlPS6_PKS6_NS0_5tupleIJS9_S6_EEENSD_IJSA_SA_EEENS0_18inequality_wrapperIZN2at6native12_GLOBAL__N_124unique_dim_cuda_templateIN3c104HalfEEESt5tupleIJNSH_6TensorESO_SO_EERKSO_lbbbEUlllE0_EEPmJS6_EEE10hipError_tPvRmT3_T4_T5_T6_T7_T9_mT8_P12ihipStream_tbDpT10_ENKUlT_T0_E_clISt17integral_constantIbLb1EES1D_IbLb0EEEEDaS19_S1A_EUlS19_E_NS1_11comp_targetILNS1_3genE10ELNS1_11target_archE1200ELNS1_3gpuE4ELNS1_3repE0EEENS1_30default_config_static_selectorELNS0_4arch9wavefront6targetE1EEEvT1_,"axG",@progbits,_ZN7rocprim17ROCPRIM_400000_NS6detail17trampoline_kernelINS0_14default_configENS1_25partition_config_selectorILNS1_17partition_subalgoE8ElNS0_10empty_typeEbEEZZNS1_14partition_implILS5_8ELb0ES3_jPlPS6_PKS6_NS0_5tupleIJS9_S6_EEENSD_IJSA_SA_EEENS0_18inequality_wrapperIZN2at6native12_GLOBAL__N_124unique_dim_cuda_templateIN3c104HalfEEESt5tupleIJNSH_6TensorESO_SO_EERKSO_lbbbEUlllE0_EEPmJS6_EEE10hipError_tPvRmT3_T4_T5_T6_T7_T9_mT8_P12ihipStream_tbDpT10_ENKUlT_T0_E_clISt17integral_constantIbLb1EES1D_IbLb0EEEEDaS19_S1A_EUlS19_E_NS1_11comp_targetILNS1_3genE10ELNS1_11target_archE1200ELNS1_3gpuE4ELNS1_3repE0EEENS1_30default_config_static_selectorELNS0_4arch9wavefront6targetE1EEEvT1_,comdat
.Lfunc_end1316:
	.size	_ZN7rocprim17ROCPRIM_400000_NS6detail17trampoline_kernelINS0_14default_configENS1_25partition_config_selectorILNS1_17partition_subalgoE8ElNS0_10empty_typeEbEEZZNS1_14partition_implILS5_8ELb0ES3_jPlPS6_PKS6_NS0_5tupleIJS9_S6_EEENSD_IJSA_SA_EEENS0_18inequality_wrapperIZN2at6native12_GLOBAL__N_124unique_dim_cuda_templateIN3c104HalfEEESt5tupleIJNSH_6TensorESO_SO_EERKSO_lbbbEUlllE0_EEPmJS6_EEE10hipError_tPvRmT3_T4_T5_T6_T7_T9_mT8_P12ihipStream_tbDpT10_ENKUlT_T0_E_clISt17integral_constantIbLb1EES1D_IbLb0EEEEDaS19_S1A_EUlS19_E_NS1_11comp_targetILNS1_3genE10ELNS1_11target_archE1200ELNS1_3gpuE4ELNS1_3repE0EEENS1_30default_config_static_selectorELNS0_4arch9wavefront6targetE1EEEvT1_, .Lfunc_end1316-_ZN7rocprim17ROCPRIM_400000_NS6detail17trampoline_kernelINS0_14default_configENS1_25partition_config_selectorILNS1_17partition_subalgoE8ElNS0_10empty_typeEbEEZZNS1_14partition_implILS5_8ELb0ES3_jPlPS6_PKS6_NS0_5tupleIJS9_S6_EEENSD_IJSA_SA_EEENS0_18inequality_wrapperIZN2at6native12_GLOBAL__N_124unique_dim_cuda_templateIN3c104HalfEEESt5tupleIJNSH_6TensorESO_SO_EERKSO_lbbbEUlllE0_EEPmJS6_EEE10hipError_tPvRmT3_T4_T5_T6_T7_T9_mT8_P12ihipStream_tbDpT10_ENKUlT_T0_E_clISt17integral_constantIbLb1EES1D_IbLb0EEEEDaS19_S1A_EUlS19_E_NS1_11comp_targetILNS1_3genE10ELNS1_11target_archE1200ELNS1_3gpuE4ELNS1_3repE0EEENS1_30default_config_static_selectorELNS0_4arch9wavefront6targetE1EEEvT1_
                                        ; -- End function
	.section	.AMDGPU.csdata,"",@progbits
; Kernel info:
; codeLenInByte = 0
; NumSgprs: 4
; NumVgprs: 0
; NumAgprs: 0
; TotalNumVgprs: 0
; ScratchSize: 0
; MemoryBound: 0
; FloatMode: 240
; IeeeMode: 1
; LDSByteSize: 0 bytes/workgroup (compile time only)
; SGPRBlocks: 0
; VGPRBlocks: 0
; NumSGPRsForWavesPerEU: 4
; NumVGPRsForWavesPerEU: 1
; AccumOffset: 4
; Occupancy: 8
; WaveLimiterHint : 0
; COMPUTE_PGM_RSRC2:SCRATCH_EN: 0
; COMPUTE_PGM_RSRC2:USER_SGPR: 6
; COMPUTE_PGM_RSRC2:TRAP_HANDLER: 0
; COMPUTE_PGM_RSRC2:TGID_X_EN: 1
; COMPUTE_PGM_RSRC2:TGID_Y_EN: 0
; COMPUTE_PGM_RSRC2:TGID_Z_EN: 0
; COMPUTE_PGM_RSRC2:TIDIG_COMP_CNT: 0
; COMPUTE_PGM_RSRC3_GFX90A:ACCUM_OFFSET: 0
; COMPUTE_PGM_RSRC3_GFX90A:TG_SPLIT: 0
	.section	.text._ZN7rocprim17ROCPRIM_400000_NS6detail17trampoline_kernelINS0_14default_configENS1_25partition_config_selectorILNS1_17partition_subalgoE8ElNS0_10empty_typeEbEEZZNS1_14partition_implILS5_8ELb0ES3_jPlPS6_PKS6_NS0_5tupleIJS9_S6_EEENSD_IJSA_SA_EEENS0_18inequality_wrapperIZN2at6native12_GLOBAL__N_124unique_dim_cuda_templateIN3c104HalfEEESt5tupleIJNSH_6TensorESO_SO_EERKSO_lbbbEUlllE0_EEPmJS6_EEE10hipError_tPvRmT3_T4_T5_T6_T7_T9_mT8_P12ihipStream_tbDpT10_ENKUlT_T0_E_clISt17integral_constantIbLb1EES1D_IbLb0EEEEDaS19_S1A_EUlS19_E_NS1_11comp_targetILNS1_3genE9ELNS1_11target_archE1100ELNS1_3gpuE3ELNS1_3repE0EEENS1_30default_config_static_selectorELNS0_4arch9wavefront6targetE1EEEvT1_,"axG",@progbits,_ZN7rocprim17ROCPRIM_400000_NS6detail17trampoline_kernelINS0_14default_configENS1_25partition_config_selectorILNS1_17partition_subalgoE8ElNS0_10empty_typeEbEEZZNS1_14partition_implILS5_8ELb0ES3_jPlPS6_PKS6_NS0_5tupleIJS9_S6_EEENSD_IJSA_SA_EEENS0_18inequality_wrapperIZN2at6native12_GLOBAL__N_124unique_dim_cuda_templateIN3c104HalfEEESt5tupleIJNSH_6TensorESO_SO_EERKSO_lbbbEUlllE0_EEPmJS6_EEE10hipError_tPvRmT3_T4_T5_T6_T7_T9_mT8_P12ihipStream_tbDpT10_ENKUlT_T0_E_clISt17integral_constantIbLb1EES1D_IbLb0EEEEDaS19_S1A_EUlS19_E_NS1_11comp_targetILNS1_3genE9ELNS1_11target_archE1100ELNS1_3gpuE3ELNS1_3repE0EEENS1_30default_config_static_selectorELNS0_4arch9wavefront6targetE1EEEvT1_,comdat
	.globl	_ZN7rocprim17ROCPRIM_400000_NS6detail17trampoline_kernelINS0_14default_configENS1_25partition_config_selectorILNS1_17partition_subalgoE8ElNS0_10empty_typeEbEEZZNS1_14partition_implILS5_8ELb0ES3_jPlPS6_PKS6_NS0_5tupleIJS9_S6_EEENSD_IJSA_SA_EEENS0_18inequality_wrapperIZN2at6native12_GLOBAL__N_124unique_dim_cuda_templateIN3c104HalfEEESt5tupleIJNSH_6TensorESO_SO_EERKSO_lbbbEUlllE0_EEPmJS6_EEE10hipError_tPvRmT3_T4_T5_T6_T7_T9_mT8_P12ihipStream_tbDpT10_ENKUlT_T0_E_clISt17integral_constantIbLb1EES1D_IbLb0EEEEDaS19_S1A_EUlS19_E_NS1_11comp_targetILNS1_3genE9ELNS1_11target_archE1100ELNS1_3gpuE3ELNS1_3repE0EEENS1_30default_config_static_selectorELNS0_4arch9wavefront6targetE1EEEvT1_ ; -- Begin function _ZN7rocprim17ROCPRIM_400000_NS6detail17trampoline_kernelINS0_14default_configENS1_25partition_config_selectorILNS1_17partition_subalgoE8ElNS0_10empty_typeEbEEZZNS1_14partition_implILS5_8ELb0ES3_jPlPS6_PKS6_NS0_5tupleIJS9_S6_EEENSD_IJSA_SA_EEENS0_18inequality_wrapperIZN2at6native12_GLOBAL__N_124unique_dim_cuda_templateIN3c104HalfEEESt5tupleIJNSH_6TensorESO_SO_EERKSO_lbbbEUlllE0_EEPmJS6_EEE10hipError_tPvRmT3_T4_T5_T6_T7_T9_mT8_P12ihipStream_tbDpT10_ENKUlT_T0_E_clISt17integral_constantIbLb1EES1D_IbLb0EEEEDaS19_S1A_EUlS19_E_NS1_11comp_targetILNS1_3genE9ELNS1_11target_archE1100ELNS1_3gpuE3ELNS1_3repE0EEENS1_30default_config_static_selectorELNS0_4arch9wavefront6targetE1EEEvT1_
	.p2align	8
	.type	_ZN7rocprim17ROCPRIM_400000_NS6detail17trampoline_kernelINS0_14default_configENS1_25partition_config_selectorILNS1_17partition_subalgoE8ElNS0_10empty_typeEbEEZZNS1_14partition_implILS5_8ELb0ES3_jPlPS6_PKS6_NS0_5tupleIJS9_S6_EEENSD_IJSA_SA_EEENS0_18inequality_wrapperIZN2at6native12_GLOBAL__N_124unique_dim_cuda_templateIN3c104HalfEEESt5tupleIJNSH_6TensorESO_SO_EERKSO_lbbbEUlllE0_EEPmJS6_EEE10hipError_tPvRmT3_T4_T5_T6_T7_T9_mT8_P12ihipStream_tbDpT10_ENKUlT_T0_E_clISt17integral_constantIbLb1EES1D_IbLb0EEEEDaS19_S1A_EUlS19_E_NS1_11comp_targetILNS1_3genE9ELNS1_11target_archE1100ELNS1_3gpuE3ELNS1_3repE0EEENS1_30default_config_static_selectorELNS0_4arch9wavefront6targetE1EEEvT1_,@function
_ZN7rocprim17ROCPRIM_400000_NS6detail17trampoline_kernelINS0_14default_configENS1_25partition_config_selectorILNS1_17partition_subalgoE8ElNS0_10empty_typeEbEEZZNS1_14partition_implILS5_8ELb0ES3_jPlPS6_PKS6_NS0_5tupleIJS9_S6_EEENSD_IJSA_SA_EEENS0_18inequality_wrapperIZN2at6native12_GLOBAL__N_124unique_dim_cuda_templateIN3c104HalfEEESt5tupleIJNSH_6TensorESO_SO_EERKSO_lbbbEUlllE0_EEPmJS6_EEE10hipError_tPvRmT3_T4_T5_T6_T7_T9_mT8_P12ihipStream_tbDpT10_ENKUlT_T0_E_clISt17integral_constantIbLb1EES1D_IbLb0EEEEDaS19_S1A_EUlS19_E_NS1_11comp_targetILNS1_3genE9ELNS1_11target_archE1100ELNS1_3gpuE3ELNS1_3repE0EEENS1_30default_config_static_selectorELNS0_4arch9wavefront6targetE1EEEvT1_: ; @_ZN7rocprim17ROCPRIM_400000_NS6detail17trampoline_kernelINS0_14default_configENS1_25partition_config_selectorILNS1_17partition_subalgoE8ElNS0_10empty_typeEbEEZZNS1_14partition_implILS5_8ELb0ES3_jPlPS6_PKS6_NS0_5tupleIJS9_S6_EEENSD_IJSA_SA_EEENS0_18inequality_wrapperIZN2at6native12_GLOBAL__N_124unique_dim_cuda_templateIN3c104HalfEEESt5tupleIJNSH_6TensorESO_SO_EERKSO_lbbbEUlllE0_EEPmJS6_EEE10hipError_tPvRmT3_T4_T5_T6_T7_T9_mT8_P12ihipStream_tbDpT10_ENKUlT_T0_E_clISt17integral_constantIbLb1EES1D_IbLb0EEEEDaS19_S1A_EUlS19_E_NS1_11comp_targetILNS1_3genE9ELNS1_11target_archE1100ELNS1_3gpuE3ELNS1_3repE0EEENS1_30default_config_static_selectorELNS0_4arch9wavefront6targetE1EEEvT1_
; %bb.0:
	.section	.rodata,"a",@progbits
	.p2align	6, 0x0
	.amdhsa_kernel _ZN7rocprim17ROCPRIM_400000_NS6detail17trampoline_kernelINS0_14default_configENS1_25partition_config_selectorILNS1_17partition_subalgoE8ElNS0_10empty_typeEbEEZZNS1_14partition_implILS5_8ELb0ES3_jPlPS6_PKS6_NS0_5tupleIJS9_S6_EEENSD_IJSA_SA_EEENS0_18inequality_wrapperIZN2at6native12_GLOBAL__N_124unique_dim_cuda_templateIN3c104HalfEEESt5tupleIJNSH_6TensorESO_SO_EERKSO_lbbbEUlllE0_EEPmJS6_EEE10hipError_tPvRmT3_T4_T5_T6_T7_T9_mT8_P12ihipStream_tbDpT10_ENKUlT_T0_E_clISt17integral_constantIbLb1EES1D_IbLb0EEEEDaS19_S1A_EUlS19_E_NS1_11comp_targetILNS1_3genE9ELNS1_11target_archE1100ELNS1_3gpuE3ELNS1_3repE0EEENS1_30default_config_static_selectorELNS0_4arch9wavefront6targetE1EEEvT1_
		.amdhsa_group_segment_fixed_size 0
		.amdhsa_private_segment_fixed_size 0
		.amdhsa_kernarg_size 120
		.amdhsa_user_sgpr_count 6
		.amdhsa_user_sgpr_private_segment_buffer 1
		.amdhsa_user_sgpr_dispatch_ptr 0
		.amdhsa_user_sgpr_queue_ptr 0
		.amdhsa_user_sgpr_kernarg_segment_ptr 1
		.amdhsa_user_sgpr_dispatch_id 0
		.amdhsa_user_sgpr_flat_scratch_init 0
		.amdhsa_user_sgpr_kernarg_preload_length 0
		.amdhsa_user_sgpr_kernarg_preload_offset 0
		.amdhsa_user_sgpr_private_segment_size 0
		.amdhsa_uses_dynamic_stack 0
		.amdhsa_system_sgpr_private_segment_wavefront_offset 0
		.amdhsa_system_sgpr_workgroup_id_x 1
		.amdhsa_system_sgpr_workgroup_id_y 0
		.amdhsa_system_sgpr_workgroup_id_z 0
		.amdhsa_system_sgpr_workgroup_info 0
		.amdhsa_system_vgpr_workitem_id 0
		.amdhsa_next_free_vgpr 1
		.amdhsa_next_free_sgpr 0
		.amdhsa_accum_offset 4
		.amdhsa_reserve_vcc 0
		.amdhsa_reserve_flat_scratch 0
		.amdhsa_float_round_mode_32 0
		.amdhsa_float_round_mode_16_64 0
		.amdhsa_float_denorm_mode_32 3
		.amdhsa_float_denorm_mode_16_64 3
		.amdhsa_dx10_clamp 1
		.amdhsa_ieee_mode 1
		.amdhsa_fp16_overflow 0
		.amdhsa_tg_split 0
		.amdhsa_exception_fp_ieee_invalid_op 0
		.amdhsa_exception_fp_denorm_src 0
		.amdhsa_exception_fp_ieee_div_zero 0
		.amdhsa_exception_fp_ieee_overflow 0
		.amdhsa_exception_fp_ieee_underflow 0
		.amdhsa_exception_fp_ieee_inexact 0
		.amdhsa_exception_int_div_zero 0
	.end_amdhsa_kernel
	.section	.text._ZN7rocprim17ROCPRIM_400000_NS6detail17trampoline_kernelINS0_14default_configENS1_25partition_config_selectorILNS1_17partition_subalgoE8ElNS0_10empty_typeEbEEZZNS1_14partition_implILS5_8ELb0ES3_jPlPS6_PKS6_NS0_5tupleIJS9_S6_EEENSD_IJSA_SA_EEENS0_18inequality_wrapperIZN2at6native12_GLOBAL__N_124unique_dim_cuda_templateIN3c104HalfEEESt5tupleIJNSH_6TensorESO_SO_EERKSO_lbbbEUlllE0_EEPmJS6_EEE10hipError_tPvRmT3_T4_T5_T6_T7_T9_mT8_P12ihipStream_tbDpT10_ENKUlT_T0_E_clISt17integral_constantIbLb1EES1D_IbLb0EEEEDaS19_S1A_EUlS19_E_NS1_11comp_targetILNS1_3genE9ELNS1_11target_archE1100ELNS1_3gpuE3ELNS1_3repE0EEENS1_30default_config_static_selectorELNS0_4arch9wavefront6targetE1EEEvT1_,"axG",@progbits,_ZN7rocprim17ROCPRIM_400000_NS6detail17trampoline_kernelINS0_14default_configENS1_25partition_config_selectorILNS1_17partition_subalgoE8ElNS0_10empty_typeEbEEZZNS1_14partition_implILS5_8ELb0ES3_jPlPS6_PKS6_NS0_5tupleIJS9_S6_EEENSD_IJSA_SA_EEENS0_18inequality_wrapperIZN2at6native12_GLOBAL__N_124unique_dim_cuda_templateIN3c104HalfEEESt5tupleIJNSH_6TensorESO_SO_EERKSO_lbbbEUlllE0_EEPmJS6_EEE10hipError_tPvRmT3_T4_T5_T6_T7_T9_mT8_P12ihipStream_tbDpT10_ENKUlT_T0_E_clISt17integral_constantIbLb1EES1D_IbLb0EEEEDaS19_S1A_EUlS19_E_NS1_11comp_targetILNS1_3genE9ELNS1_11target_archE1100ELNS1_3gpuE3ELNS1_3repE0EEENS1_30default_config_static_selectorELNS0_4arch9wavefront6targetE1EEEvT1_,comdat
.Lfunc_end1317:
	.size	_ZN7rocprim17ROCPRIM_400000_NS6detail17trampoline_kernelINS0_14default_configENS1_25partition_config_selectorILNS1_17partition_subalgoE8ElNS0_10empty_typeEbEEZZNS1_14partition_implILS5_8ELb0ES3_jPlPS6_PKS6_NS0_5tupleIJS9_S6_EEENSD_IJSA_SA_EEENS0_18inequality_wrapperIZN2at6native12_GLOBAL__N_124unique_dim_cuda_templateIN3c104HalfEEESt5tupleIJNSH_6TensorESO_SO_EERKSO_lbbbEUlllE0_EEPmJS6_EEE10hipError_tPvRmT3_T4_T5_T6_T7_T9_mT8_P12ihipStream_tbDpT10_ENKUlT_T0_E_clISt17integral_constantIbLb1EES1D_IbLb0EEEEDaS19_S1A_EUlS19_E_NS1_11comp_targetILNS1_3genE9ELNS1_11target_archE1100ELNS1_3gpuE3ELNS1_3repE0EEENS1_30default_config_static_selectorELNS0_4arch9wavefront6targetE1EEEvT1_, .Lfunc_end1317-_ZN7rocprim17ROCPRIM_400000_NS6detail17trampoline_kernelINS0_14default_configENS1_25partition_config_selectorILNS1_17partition_subalgoE8ElNS0_10empty_typeEbEEZZNS1_14partition_implILS5_8ELb0ES3_jPlPS6_PKS6_NS0_5tupleIJS9_S6_EEENSD_IJSA_SA_EEENS0_18inequality_wrapperIZN2at6native12_GLOBAL__N_124unique_dim_cuda_templateIN3c104HalfEEESt5tupleIJNSH_6TensorESO_SO_EERKSO_lbbbEUlllE0_EEPmJS6_EEE10hipError_tPvRmT3_T4_T5_T6_T7_T9_mT8_P12ihipStream_tbDpT10_ENKUlT_T0_E_clISt17integral_constantIbLb1EES1D_IbLb0EEEEDaS19_S1A_EUlS19_E_NS1_11comp_targetILNS1_3genE9ELNS1_11target_archE1100ELNS1_3gpuE3ELNS1_3repE0EEENS1_30default_config_static_selectorELNS0_4arch9wavefront6targetE1EEEvT1_
                                        ; -- End function
	.section	.AMDGPU.csdata,"",@progbits
; Kernel info:
; codeLenInByte = 0
; NumSgprs: 4
; NumVgprs: 0
; NumAgprs: 0
; TotalNumVgprs: 0
; ScratchSize: 0
; MemoryBound: 0
; FloatMode: 240
; IeeeMode: 1
; LDSByteSize: 0 bytes/workgroup (compile time only)
; SGPRBlocks: 0
; VGPRBlocks: 0
; NumSGPRsForWavesPerEU: 4
; NumVGPRsForWavesPerEU: 1
; AccumOffset: 4
; Occupancy: 8
; WaveLimiterHint : 0
; COMPUTE_PGM_RSRC2:SCRATCH_EN: 0
; COMPUTE_PGM_RSRC2:USER_SGPR: 6
; COMPUTE_PGM_RSRC2:TRAP_HANDLER: 0
; COMPUTE_PGM_RSRC2:TGID_X_EN: 1
; COMPUTE_PGM_RSRC2:TGID_Y_EN: 0
; COMPUTE_PGM_RSRC2:TGID_Z_EN: 0
; COMPUTE_PGM_RSRC2:TIDIG_COMP_CNT: 0
; COMPUTE_PGM_RSRC3_GFX90A:ACCUM_OFFSET: 0
; COMPUTE_PGM_RSRC3_GFX90A:TG_SPLIT: 0
	.section	.text._ZN7rocprim17ROCPRIM_400000_NS6detail17trampoline_kernelINS0_14default_configENS1_25partition_config_selectorILNS1_17partition_subalgoE8ElNS0_10empty_typeEbEEZZNS1_14partition_implILS5_8ELb0ES3_jPlPS6_PKS6_NS0_5tupleIJS9_S6_EEENSD_IJSA_SA_EEENS0_18inequality_wrapperIZN2at6native12_GLOBAL__N_124unique_dim_cuda_templateIN3c104HalfEEESt5tupleIJNSH_6TensorESO_SO_EERKSO_lbbbEUlllE0_EEPmJS6_EEE10hipError_tPvRmT3_T4_T5_T6_T7_T9_mT8_P12ihipStream_tbDpT10_ENKUlT_T0_E_clISt17integral_constantIbLb1EES1D_IbLb0EEEEDaS19_S1A_EUlS19_E_NS1_11comp_targetILNS1_3genE8ELNS1_11target_archE1030ELNS1_3gpuE2ELNS1_3repE0EEENS1_30default_config_static_selectorELNS0_4arch9wavefront6targetE1EEEvT1_,"axG",@progbits,_ZN7rocprim17ROCPRIM_400000_NS6detail17trampoline_kernelINS0_14default_configENS1_25partition_config_selectorILNS1_17partition_subalgoE8ElNS0_10empty_typeEbEEZZNS1_14partition_implILS5_8ELb0ES3_jPlPS6_PKS6_NS0_5tupleIJS9_S6_EEENSD_IJSA_SA_EEENS0_18inequality_wrapperIZN2at6native12_GLOBAL__N_124unique_dim_cuda_templateIN3c104HalfEEESt5tupleIJNSH_6TensorESO_SO_EERKSO_lbbbEUlllE0_EEPmJS6_EEE10hipError_tPvRmT3_T4_T5_T6_T7_T9_mT8_P12ihipStream_tbDpT10_ENKUlT_T0_E_clISt17integral_constantIbLb1EES1D_IbLb0EEEEDaS19_S1A_EUlS19_E_NS1_11comp_targetILNS1_3genE8ELNS1_11target_archE1030ELNS1_3gpuE2ELNS1_3repE0EEENS1_30default_config_static_selectorELNS0_4arch9wavefront6targetE1EEEvT1_,comdat
	.globl	_ZN7rocprim17ROCPRIM_400000_NS6detail17trampoline_kernelINS0_14default_configENS1_25partition_config_selectorILNS1_17partition_subalgoE8ElNS0_10empty_typeEbEEZZNS1_14partition_implILS5_8ELb0ES3_jPlPS6_PKS6_NS0_5tupleIJS9_S6_EEENSD_IJSA_SA_EEENS0_18inequality_wrapperIZN2at6native12_GLOBAL__N_124unique_dim_cuda_templateIN3c104HalfEEESt5tupleIJNSH_6TensorESO_SO_EERKSO_lbbbEUlllE0_EEPmJS6_EEE10hipError_tPvRmT3_T4_T5_T6_T7_T9_mT8_P12ihipStream_tbDpT10_ENKUlT_T0_E_clISt17integral_constantIbLb1EES1D_IbLb0EEEEDaS19_S1A_EUlS19_E_NS1_11comp_targetILNS1_3genE8ELNS1_11target_archE1030ELNS1_3gpuE2ELNS1_3repE0EEENS1_30default_config_static_selectorELNS0_4arch9wavefront6targetE1EEEvT1_ ; -- Begin function _ZN7rocprim17ROCPRIM_400000_NS6detail17trampoline_kernelINS0_14default_configENS1_25partition_config_selectorILNS1_17partition_subalgoE8ElNS0_10empty_typeEbEEZZNS1_14partition_implILS5_8ELb0ES3_jPlPS6_PKS6_NS0_5tupleIJS9_S6_EEENSD_IJSA_SA_EEENS0_18inequality_wrapperIZN2at6native12_GLOBAL__N_124unique_dim_cuda_templateIN3c104HalfEEESt5tupleIJNSH_6TensorESO_SO_EERKSO_lbbbEUlllE0_EEPmJS6_EEE10hipError_tPvRmT3_T4_T5_T6_T7_T9_mT8_P12ihipStream_tbDpT10_ENKUlT_T0_E_clISt17integral_constantIbLb1EES1D_IbLb0EEEEDaS19_S1A_EUlS19_E_NS1_11comp_targetILNS1_3genE8ELNS1_11target_archE1030ELNS1_3gpuE2ELNS1_3repE0EEENS1_30default_config_static_selectorELNS0_4arch9wavefront6targetE1EEEvT1_
	.p2align	8
	.type	_ZN7rocprim17ROCPRIM_400000_NS6detail17trampoline_kernelINS0_14default_configENS1_25partition_config_selectorILNS1_17partition_subalgoE8ElNS0_10empty_typeEbEEZZNS1_14partition_implILS5_8ELb0ES3_jPlPS6_PKS6_NS0_5tupleIJS9_S6_EEENSD_IJSA_SA_EEENS0_18inequality_wrapperIZN2at6native12_GLOBAL__N_124unique_dim_cuda_templateIN3c104HalfEEESt5tupleIJNSH_6TensorESO_SO_EERKSO_lbbbEUlllE0_EEPmJS6_EEE10hipError_tPvRmT3_T4_T5_T6_T7_T9_mT8_P12ihipStream_tbDpT10_ENKUlT_T0_E_clISt17integral_constantIbLb1EES1D_IbLb0EEEEDaS19_S1A_EUlS19_E_NS1_11comp_targetILNS1_3genE8ELNS1_11target_archE1030ELNS1_3gpuE2ELNS1_3repE0EEENS1_30default_config_static_selectorELNS0_4arch9wavefront6targetE1EEEvT1_,@function
_ZN7rocprim17ROCPRIM_400000_NS6detail17trampoline_kernelINS0_14default_configENS1_25partition_config_selectorILNS1_17partition_subalgoE8ElNS0_10empty_typeEbEEZZNS1_14partition_implILS5_8ELb0ES3_jPlPS6_PKS6_NS0_5tupleIJS9_S6_EEENSD_IJSA_SA_EEENS0_18inequality_wrapperIZN2at6native12_GLOBAL__N_124unique_dim_cuda_templateIN3c104HalfEEESt5tupleIJNSH_6TensorESO_SO_EERKSO_lbbbEUlllE0_EEPmJS6_EEE10hipError_tPvRmT3_T4_T5_T6_T7_T9_mT8_P12ihipStream_tbDpT10_ENKUlT_T0_E_clISt17integral_constantIbLb1EES1D_IbLb0EEEEDaS19_S1A_EUlS19_E_NS1_11comp_targetILNS1_3genE8ELNS1_11target_archE1030ELNS1_3gpuE2ELNS1_3repE0EEENS1_30default_config_static_selectorELNS0_4arch9wavefront6targetE1EEEvT1_: ; @_ZN7rocprim17ROCPRIM_400000_NS6detail17trampoline_kernelINS0_14default_configENS1_25partition_config_selectorILNS1_17partition_subalgoE8ElNS0_10empty_typeEbEEZZNS1_14partition_implILS5_8ELb0ES3_jPlPS6_PKS6_NS0_5tupleIJS9_S6_EEENSD_IJSA_SA_EEENS0_18inequality_wrapperIZN2at6native12_GLOBAL__N_124unique_dim_cuda_templateIN3c104HalfEEESt5tupleIJNSH_6TensorESO_SO_EERKSO_lbbbEUlllE0_EEPmJS6_EEE10hipError_tPvRmT3_T4_T5_T6_T7_T9_mT8_P12ihipStream_tbDpT10_ENKUlT_T0_E_clISt17integral_constantIbLb1EES1D_IbLb0EEEEDaS19_S1A_EUlS19_E_NS1_11comp_targetILNS1_3genE8ELNS1_11target_archE1030ELNS1_3gpuE2ELNS1_3repE0EEENS1_30default_config_static_selectorELNS0_4arch9wavefront6targetE1EEEvT1_
; %bb.0:
	.section	.rodata,"a",@progbits
	.p2align	6, 0x0
	.amdhsa_kernel _ZN7rocprim17ROCPRIM_400000_NS6detail17trampoline_kernelINS0_14default_configENS1_25partition_config_selectorILNS1_17partition_subalgoE8ElNS0_10empty_typeEbEEZZNS1_14partition_implILS5_8ELb0ES3_jPlPS6_PKS6_NS0_5tupleIJS9_S6_EEENSD_IJSA_SA_EEENS0_18inequality_wrapperIZN2at6native12_GLOBAL__N_124unique_dim_cuda_templateIN3c104HalfEEESt5tupleIJNSH_6TensorESO_SO_EERKSO_lbbbEUlllE0_EEPmJS6_EEE10hipError_tPvRmT3_T4_T5_T6_T7_T9_mT8_P12ihipStream_tbDpT10_ENKUlT_T0_E_clISt17integral_constantIbLb1EES1D_IbLb0EEEEDaS19_S1A_EUlS19_E_NS1_11comp_targetILNS1_3genE8ELNS1_11target_archE1030ELNS1_3gpuE2ELNS1_3repE0EEENS1_30default_config_static_selectorELNS0_4arch9wavefront6targetE1EEEvT1_
		.amdhsa_group_segment_fixed_size 0
		.amdhsa_private_segment_fixed_size 0
		.amdhsa_kernarg_size 120
		.amdhsa_user_sgpr_count 6
		.amdhsa_user_sgpr_private_segment_buffer 1
		.amdhsa_user_sgpr_dispatch_ptr 0
		.amdhsa_user_sgpr_queue_ptr 0
		.amdhsa_user_sgpr_kernarg_segment_ptr 1
		.amdhsa_user_sgpr_dispatch_id 0
		.amdhsa_user_sgpr_flat_scratch_init 0
		.amdhsa_user_sgpr_kernarg_preload_length 0
		.amdhsa_user_sgpr_kernarg_preload_offset 0
		.amdhsa_user_sgpr_private_segment_size 0
		.amdhsa_uses_dynamic_stack 0
		.amdhsa_system_sgpr_private_segment_wavefront_offset 0
		.amdhsa_system_sgpr_workgroup_id_x 1
		.amdhsa_system_sgpr_workgroup_id_y 0
		.amdhsa_system_sgpr_workgroup_id_z 0
		.amdhsa_system_sgpr_workgroup_info 0
		.amdhsa_system_vgpr_workitem_id 0
		.amdhsa_next_free_vgpr 1
		.amdhsa_next_free_sgpr 0
		.amdhsa_accum_offset 4
		.amdhsa_reserve_vcc 0
		.amdhsa_reserve_flat_scratch 0
		.amdhsa_float_round_mode_32 0
		.amdhsa_float_round_mode_16_64 0
		.amdhsa_float_denorm_mode_32 3
		.amdhsa_float_denorm_mode_16_64 3
		.amdhsa_dx10_clamp 1
		.amdhsa_ieee_mode 1
		.amdhsa_fp16_overflow 0
		.amdhsa_tg_split 0
		.amdhsa_exception_fp_ieee_invalid_op 0
		.amdhsa_exception_fp_denorm_src 0
		.amdhsa_exception_fp_ieee_div_zero 0
		.amdhsa_exception_fp_ieee_overflow 0
		.amdhsa_exception_fp_ieee_underflow 0
		.amdhsa_exception_fp_ieee_inexact 0
		.amdhsa_exception_int_div_zero 0
	.end_amdhsa_kernel
	.section	.text._ZN7rocprim17ROCPRIM_400000_NS6detail17trampoline_kernelINS0_14default_configENS1_25partition_config_selectorILNS1_17partition_subalgoE8ElNS0_10empty_typeEbEEZZNS1_14partition_implILS5_8ELb0ES3_jPlPS6_PKS6_NS0_5tupleIJS9_S6_EEENSD_IJSA_SA_EEENS0_18inequality_wrapperIZN2at6native12_GLOBAL__N_124unique_dim_cuda_templateIN3c104HalfEEESt5tupleIJNSH_6TensorESO_SO_EERKSO_lbbbEUlllE0_EEPmJS6_EEE10hipError_tPvRmT3_T4_T5_T6_T7_T9_mT8_P12ihipStream_tbDpT10_ENKUlT_T0_E_clISt17integral_constantIbLb1EES1D_IbLb0EEEEDaS19_S1A_EUlS19_E_NS1_11comp_targetILNS1_3genE8ELNS1_11target_archE1030ELNS1_3gpuE2ELNS1_3repE0EEENS1_30default_config_static_selectorELNS0_4arch9wavefront6targetE1EEEvT1_,"axG",@progbits,_ZN7rocprim17ROCPRIM_400000_NS6detail17trampoline_kernelINS0_14default_configENS1_25partition_config_selectorILNS1_17partition_subalgoE8ElNS0_10empty_typeEbEEZZNS1_14partition_implILS5_8ELb0ES3_jPlPS6_PKS6_NS0_5tupleIJS9_S6_EEENSD_IJSA_SA_EEENS0_18inequality_wrapperIZN2at6native12_GLOBAL__N_124unique_dim_cuda_templateIN3c104HalfEEESt5tupleIJNSH_6TensorESO_SO_EERKSO_lbbbEUlllE0_EEPmJS6_EEE10hipError_tPvRmT3_T4_T5_T6_T7_T9_mT8_P12ihipStream_tbDpT10_ENKUlT_T0_E_clISt17integral_constantIbLb1EES1D_IbLb0EEEEDaS19_S1A_EUlS19_E_NS1_11comp_targetILNS1_3genE8ELNS1_11target_archE1030ELNS1_3gpuE2ELNS1_3repE0EEENS1_30default_config_static_selectorELNS0_4arch9wavefront6targetE1EEEvT1_,comdat
.Lfunc_end1318:
	.size	_ZN7rocprim17ROCPRIM_400000_NS6detail17trampoline_kernelINS0_14default_configENS1_25partition_config_selectorILNS1_17partition_subalgoE8ElNS0_10empty_typeEbEEZZNS1_14partition_implILS5_8ELb0ES3_jPlPS6_PKS6_NS0_5tupleIJS9_S6_EEENSD_IJSA_SA_EEENS0_18inequality_wrapperIZN2at6native12_GLOBAL__N_124unique_dim_cuda_templateIN3c104HalfEEESt5tupleIJNSH_6TensorESO_SO_EERKSO_lbbbEUlllE0_EEPmJS6_EEE10hipError_tPvRmT3_T4_T5_T6_T7_T9_mT8_P12ihipStream_tbDpT10_ENKUlT_T0_E_clISt17integral_constantIbLb1EES1D_IbLb0EEEEDaS19_S1A_EUlS19_E_NS1_11comp_targetILNS1_3genE8ELNS1_11target_archE1030ELNS1_3gpuE2ELNS1_3repE0EEENS1_30default_config_static_selectorELNS0_4arch9wavefront6targetE1EEEvT1_, .Lfunc_end1318-_ZN7rocprim17ROCPRIM_400000_NS6detail17trampoline_kernelINS0_14default_configENS1_25partition_config_selectorILNS1_17partition_subalgoE8ElNS0_10empty_typeEbEEZZNS1_14partition_implILS5_8ELb0ES3_jPlPS6_PKS6_NS0_5tupleIJS9_S6_EEENSD_IJSA_SA_EEENS0_18inequality_wrapperIZN2at6native12_GLOBAL__N_124unique_dim_cuda_templateIN3c104HalfEEESt5tupleIJNSH_6TensorESO_SO_EERKSO_lbbbEUlllE0_EEPmJS6_EEE10hipError_tPvRmT3_T4_T5_T6_T7_T9_mT8_P12ihipStream_tbDpT10_ENKUlT_T0_E_clISt17integral_constantIbLb1EES1D_IbLb0EEEEDaS19_S1A_EUlS19_E_NS1_11comp_targetILNS1_3genE8ELNS1_11target_archE1030ELNS1_3gpuE2ELNS1_3repE0EEENS1_30default_config_static_selectorELNS0_4arch9wavefront6targetE1EEEvT1_
                                        ; -- End function
	.section	.AMDGPU.csdata,"",@progbits
; Kernel info:
; codeLenInByte = 0
; NumSgprs: 4
; NumVgprs: 0
; NumAgprs: 0
; TotalNumVgprs: 0
; ScratchSize: 0
; MemoryBound: 0
; FloatMode: 240
; IeeeMode: 1
; LDSByteSize: 0 bytes/workgroup (compile time only)
; SGPRBlocks: 0
; VGPRBlocks: 0
; NumSGPRsForWavesPerEU: 4
; NumVGPRsForWavesPerEU: 1
; AccumOffset: 4
; Occupancy: 8
; WaveLimiterHint : 0
; COMPUTE_PGM_RSRC2:SCRATCH_EN: 0
; COMPUTE_PGM_RSRC2:USER_SGPR: 6
; COMPUTE_PGM_RSRC2:TRAP_HANDLER: 0
; COMPUTE_PGM_RSRC2:TGID_X_EN: 1
; COMPUTE_PGM_RSRC2:TGID_Y_EN: 0
; COMPUTE_PGM_RSRC2:TGID_Z_EN: 0
; COMPUTE_PGM_RSRC2:TIDIG_COMP_CNT: 0
; COMPUTE_PGM_RSRC3_GFX90A:ACCUM_OFFSET: 0
; COMPUTE_PGM_RSRC3_GFX90A:TG_SPLIT: 0
	.section	.text._ZN7rocprim17ROCPRIM_400000_NS6detail17trampoline_kernelINS0_14default_configENS1_25partition_config_selectorILNS1_17partition_subalgoE8ElNS0_10empty_typeEbEEZZNS1_14partition_implILS5_8ELb0ES3_jPlPS6_PKS6_NS0_5tupleIJS9_S6_EEENSD_IJSA_SA_EEENS0_18inequality_wrapperIZN2at6native12_GLOBAL__N_124unique_dim_cuda_templateIN3c104HalfEEESt5tupleIJNSH_6TensorESO_SO_EERKSO_lbbbEUlllE0_EEPmJS6_EEE10hipError_tPvRmT3_T4_T5_T6_T7_T9_mT8_P12ihipStream_tbDpT10_ENKUlT_T0_E_clISt17integral_constantIbLb0EES1D_IbLb1EEEEDaS19_S1A_EUlS19_E_NS1_11comp_targetILNS1_3genE0ELNS1_11target_archE4294967295ELNS1_3gpuE0ELNS1_3repE0EEENS1_30default_config_static_selectorELNS0_4arch9wavefront6targetE1EEEvT1_,"axG",@progbits,_ZN7rocprim17ROCPRIM_400000_NS6detail17trampoline_kernelINS0_14default_configENS1_25partition_config_selectorILNS1_17partition_subalgoE8ElNS0_10empty_typeEbEEZZNS1_14partition_implILS5_8ELb0ES3_jPlPS6_PKS6_NS0_5tupleIJS9_S6_EEENSD_IJSA_SA_EEENS0_18inequality_wrapperIZN2at6native12_GLOBAL__N_124unique_dim_cuda_templateIN3c104HalfEEESt5tupleIJNSH_6TensorESO_SO_EERKSO_lbbbEUlllE0_EEPmJS6_EEE10hipError_tPvRmT3_T4_T5_T6_T7_T9_mT8_P12ihipStream_tbDpT10_ENKUlT_T0_E_clISt17integral_constantIbLb0EES1D_IbLb1EEEEDaS19_S1A_EUlS19_E_NS1_11comp_targetILNS1_3genE0ELNS1_11target_archE4294967295ELNS1_3gpuE0ELNS1_3repE0EEENS1_30default_config_static_selectorELNS0_4arch9wavefront6targetE1EEEvT1_,comdat
	.globl	_ZN7rocprim17ROCPRIM_400000_NS6detail17trampoline_kernelINS0_14default_configENS1_25partition_config_selectorILNS1_17partition_subalgoE8ElNS0_10empty_typeEbEEZZNS1_14partition_implILS5_8ELb0ES3_jPlPS6_PKS6_NS0_5tupleIJS9_S6_EEENSD_IJSA_SA_EEENS0_18inequality_wrapperIZN2at6native12_GLOBAL__N_124unique_dim_cuda_templateIN3c104HalfEEESt5tupleIJNSH_6TensorESO_SO_EERKSO_lbbbEUlllE0_EEPmJS6_EEE10hipError_tPvRmT3_T4_T5_T6_T7_T9_mT8_P12ihipStream_tbDpT10_ENKUlT_T0_E_clISt17integral_constantIbLb0EES1D_IbLb1EEEEDaS19_S1A_EUlS19_E_NS1_11comp_targetILNS1_3genE0ELNS1_11target_archE4294967295ELNS1_3gpuE0ELNS1_3repE0EEENS1_30default_config_static_selectorELNS0_4arch9wavefront6targetE1EEEvT1_ ; -- Begin function _ZN7rocprim17ROCPRIM_400000_NS6detail17trampoline_kernelINS0_14default_configENS1_25partition_config_selectorILNS1_17partition_subalgoE8ElNS0_10empty_typeEbEEZZNS1_14partition_implILS5_8ELb0ES3_jPlPS6_PKS6_NS0_5tupleIJS9_S6_EEENSD_IJSA_SA_EEENS0_18inequality_wrapperIZN2at6native12_GLOBAL__N_124unique_dim_cuda_templateIN3c104HalfEEESt5tupleIJNSH_6TensorESO_SO_EERKSO_lbbbEUlllE0_EEPmJS6_EEE10hipError_tPvRmT3_T4_T5_T6_T7_T9_mT8_P12ihipStream_tbDpT10_ENKUlT_T0_E_clISt17integral_constantIbLb0EES1D_IbLb1EEEEDaS19_S1A_EUlS19_E_NS1_11comp_targetILNS1_3genE0ELNS1_11target_archE4294967295ELNS1_3gpuE0ELNS1_3repE0EEENS1_30default_config_static_selectorELNS0_4arch9wavefront6targetE1EEEvT1_
	.p2align	8
	.type	_ZN7rocprim17ROCPRIM_400000_NS6detail17trampoline_kernelINS0_14default_configENS1_25partition_config_selectorILNS1_17partition_subalgoE8ElNS0_10empty_typeEbEEZZNS1_14partition_implILS5_8ELb0ES3_jPlPS6_PKS6_NS0_5tupleIJS9_S6_EEENSD_IJSA_SA_EEENS0_18inequality_wrapperIZN2at6native12_GLOBAL__N_124unique_dim_cuda_templateIN3c104HalfEEESt5tupleIJNSH_6TensorESO_SO_EERKSO_lbbbEUlllE0_EEPmJS6_EEE10hipError_tPvRmT3_T4_T5_T6_T7_T9_mT8_P12ihipStream_tbDpT10_ENKUlT_T0_E_clISt17integral_constantIbLb0EES1D_IbLb1EEEEDaS19_S1A_EUlS19_E_NS1_11comp_targetILNS1_3genE0ELNS1_11target_archE4294967295ELNS1_3gpuE0ELNS1_3repE0EEENS1_30default_config_static_selectorELNS0_4arch9wavefront6targetE1EEEvT1_,@function
_ZN7rocprim17ROCPRIM_400000_NS6detail17trampoline_kernelINS0_14default_configENS1_25partition_config_selectorILNS1_17partition_subalgoE8ElNS0_10empty_typeEbEEZZNS1_14partition_implILS5_8ELb0ES3_jPlPS6_PKS6_NS0_5tupleIJS9_S6_EEENSD_IJSA_SA_EEENS0_18inequality_wrapperIZN2at6native12_GLOBAL__N_124unique_dim_cuda_templateIN3c104HalfEEESt5tupleIJNSH_6TensorESO_SO_EERKSO_lbbbEUlllE0_EEPmJS6_EEE10hipError_tPvRmT3_T4_T5_T6_T7_T9_mT8_P12ihipStream_tbDpT10_ENKUlT_T0_E_clISt17integral_constantIbLb0EES1D_IbLb1EEEEDaS19_S1A_EUlS19_E_NS1_11comp_targetILNS1_3genE0ELNS1_11target_archE4294967295ELNS1_3gpuE0ELNS1_3repE0EEENS1_30default_config_static_selectorELNS0_4arch9wavefront6targetE1EEEvT1_: ; @_ZN7rocprim17ROCPRIM_400000_NS6detail17trampoline_kernelINS0_14default_configENS1_25partition_config_selectorILNS1_17partition_subalgoE8ElNS0_10empty_typeEbEEZZNS1_14partition_implILS5_8ELb0ES3_jPlPS6_PKS6_NS0_5tupleIJS9_S6_EEENSD_IJSA_SA_EEENS0_18inequality_wrapperIZN2at6native12_GLOBAL__N_124unique_dim_cuda_templateIN3c104HalfEEESt5tupleIJNSH_6TensorESO_SO_EERKSO_lbbbEUlllE0_EEPmJS6_EEE10hipError_tPvRmT3_T4_T5_T6_T7_T9_mT8_P12ihipStream_tbDpT10_ENKUlT_T0_E_clISt17integral_constantIbLb0EES1D_IbLb1EEEEDaS19_S1A_EUlS19_E_NS1_11comp_targetILNS1_3genE0ELNS1_11target_archE4294967295ELNS1_3gpuE0ELNS1_3repE0EEENS1_30default_config_static_selectorELNS0_4arch9wavefront6targetE1EEEvT1_
; %bb.0:
	.section	.rodata,"a",@progbits
	.p2align	6, 0x0
	.amdhsa_kernel _ZN7rocprim17ROCPRIM_400000_NS6detail17trampoline_kernelINS0_14default_configENS1_25partition_config_selectorILNS1_17partition_subalgoE8ElNS0_10empty_typeEbEEZZNS1_14partition_implILS5_8ELb0ES3_jPlPS6_PKS6_NS0_5tupleIJS9_S6_EEENSD_IJSA_SA_EEENS0_18inequality_wrapperIZN2at6native12_GLOBAL__N_124unique_dim_cuda_templateIN3c104HalfEEESt5tupleIJNSH_6TensorESO_SO_EERKSO_lbbbEUlllE0_EEPmJS6_EEE10hipError_tPvRmT3_T4_T5_T6_T7_T9_mT8_P12ihipStream_tbDpT10_ENKUlT_T0_E_clISt17integral_constantIbLb0EES1D_IbLb1EEEEDaS19_S1A_EUlS19_E_NS1_11comp_targetILNS1_3genE0ELNS1_11target_archE4294967295ELNS1_3gpuE0ELNS1_3repE0EEENS1_30default_config_static_selectorELNS0_4arch9wavefront6targetE1EEEvT1_
		.amdhsa_group_segment_fixed_size 0
		.amdhsa_private_segment_fixed_size 0
		.amdhsa_kernarg_size 136
		.amdhsa_user_sgpr_count 6
		.amdhsa_user_sgpr_private_segment_buffer 1
		.amdhsa_user_sgpr_dispatch_ptr 0
		.amdhsa_user_sgpr_queue_ptr 0
		.amdhsa_user_sgpr_kernarg_segment_ptr 1
		.amdhsa_user_sgpr_dispatch_id 0
		.amdhsa_user_sgpr_flat_scratch_init 0
		.amdhsa_user_sgpr_kernarg_preload_length 0
		.amdhsa_user_sgpr_kernarg_preload_offset 0
		.amdhsa_user_sgpr_private_segment_size 0
		.amdhsa_uses_dynamic_stack 0
		.amdhsa_system_sgpr_private_segment_wavefront_offset 0
		.amdhsa_system_sgpr_workgroup_id_x 1
		.amdhsa_system_sgpr_workgroup_id_y 0
		.amdhsa_system_sgpr_workgroup_id_z 0
		.amdhsa_system_sgpr_workgroup_info 0
		.amdhsa_system_vgpr_workitem_id 0
		.amdhsa_next_free_vgpr 1
		.amdhsa_next_free_sgpr 0
		.amdhsa_accum_offset 4
		.amdhsa_reserve_vcc 0
		.amdhsa_reserve_flat_scratch 0
		.amdhsa_float_round_mode_32 0
		.amdhsa_float_round_mode_16_64 0
		.amdhsa_float_denorm_mode_32 3
		.amdhsa_float_denorm_mode_16_64 3
		.amdhsa_dx10_clamp 1
		.amdhsa_ieee_mode 1
		.amdhsa_fp16_overflow 0
		.amdhsa_tg_split 0
		.amdhsa_exception_fp_ieee_invalid_op 0
		.amdhsa_exception_fp_denorm_src 0
		.amdhsa_exception_fp_ieee_div_zero 0
		.amdhsa_exception_fp_ieee_overflow 0
		.amdhsa_exception_fp_ieee_underflow 0
		.amdhsa_exception_fp_ieee_inexact 0
		.amdhsa_exception_int_div_zero 0
	.end_amdhsa_kernel
	.section	.text._ZN7rocprim17ROCPRIM_400000_NS6detail17trampoline_kernelINS0_14default_configENS1_25partition_config_selectorILNS1_17partition_subalgoE8ElNS0_10empty_typeEbEEZZNS1_14partition_implILS5_8ELb0ES3_jPlPS6_PKS6_NS0_5tupleIJS9_S6_EEENSD_IJSA_SA_EEENS0_18inequality_wrapperIZN2at6native12_GLOBAL__N_124unique_dim_cuda_templateIN3c104HalfEEESt5tupleIJNSH_6TensorESO_SO_EERKSO_lbbbEUlllE0_EEPmJS6_EEE10hipError_tPvRmT3_T4_T5_T6_T7_T9_mT8_P12ihipStream_tbDpT10_ENKUlT_T0_E_clISt17integral_constantIbLb0EES1D_IbLb1EEEEDaS19_S1A_EUlS19_E_NS1_11comp_targetILNS1_3genE0ELNS1_11target_archE4294967295ELNS1_3gpuE0ELNS1_3repE0EEENS1_30default_config_static_selectorELNS0_4arch9wavefront6targetE1EEEvT1_,"axG",@progbits,_ZN7rocprim17ROCPRIM_400000_NS6detail17trampoline_kernelINS0_14default_configENS1_25partition_config_selectorILNS1_17partition_subalgoE8ElNS0_10empty_typeEbEEZZNS1_14partition_implILS5_8ELb0ES3_jPlPS6_PKS6_NS0_5tupleIJS9_S6_EEENSD_IJSA_SA_EEENS0_18inequality_wrapperIZN2at6native12_GLOBAL__N_124unique_dim_cuda_templateIN3c104HalfEEESt5tupleIJNSH_6TensorESO_SO_EERKSO_lbbbEUlllE0_EEPmJS6_EEE10hipError_tPvRmT3_T4_T5_T6_T7_T9_mT8_P12ihipStream_tbDpT10_ENKUlT_T0_E_clISt17integral_constantIbLb0EES1D_IbLb1EEEEDaS19_S1A_EUlS19_E_NS1_11comp_targetILNS1_3genE0ELNS1_11target_archE4294967295ELNS1_3gpuE0ELNS1_3repE0EEENS1_30default_config_static_selectorELNS0_4arch9wavefront6targetE1EEEvT1_,comdat
.Lfunc_end1319:
	.size	_ZN7rocprim17ROCPRIM_400000_NS6detail17trampoline_kernelINS0_14default_configENS1_25partition_config_selectorILNS1_17partition_subalgoE8ElNS0_10empty_typeEbEEZZNS1_14partition_implILS5_8ELb0ES3_jPlPS6_PKS6_NS0_5tupleIJS9_S6_EEENSD_IJSA_SA_EEENS0_18inequality_wrapperIZN2at6native12_GLOBAL__N_124unique_dim_cuda_templateIN3c104HalfEEESt5tupleIJNSH_6TensorESO_SO_EERKSO_lbbbEUlllE0_EEPmJS6_EEE10hipError_tPvRmT3_T4_T5_T6_T7_T9_mT8_P12ihipStream_tbDpT10_ENKUlT_T0_E_clISt17integral_constantIbLb0EES1D_IbLb1EEEEDaS19_S1A_EUlS19_E_NS1_11comp_targetILNS1_3genE0ELNS1_11target_archE4294967295ELNS1_3gpuE0ELNS1_3repE0EEENS1_30default_config_static_selectorELNS0_4arch9wavefront6targetE1EEEvT1_, .Lfunc_end1319-_ZN7rocprim17ROCPRIM_400000_NS6detail17trampoline_kernelINS0_14default_configENS1_25partition_config_selectorILNS1_17partition_subalgoE8ElNS0_10empty_typeEbEEZZNS1_14partition_implILS5_8ELb0ES3_jPlPS6_PKS6_NS0_5tupleIJS9_S6_EEENSD_IJSA_SA_EEENS0_18inequality_wrapperIZN2at6native12_GLOBAL__N_124unique_dim_cuda_templateIN3c104HalfEEESt5tupleIJNSH_6TensorESO_SO_EERKSO_lbbbEUlllE0_EEPmJS6_EEE10hipError_tPvRmT3_T4_T5_T6_T7_T9_mT8_P12ihipStream_tbDpT10_ENKUlT_T0_E_clISt17integral_constantIbLb0EES1D_IbLb1EEEEDaS19_S1A_EUlS19_E_NS1_11comp_targetILNS1_3genE0ELNS1_11target_archE4294967295ELNS1_3gpuE0ELNS1_3repE0EEENS1_30default_config_static_selectorELNS0_4arch9wavefront6targetE1EEEvT1_
                                        ; -- End function
	.section	.AMDGPU.csdata,"",@progbits
; Kernel info:
; codeLenInByte = 0
; NumSgprs: 4
; NumVgprs: 0
; NumAgprs: 0
; TotalNumVgprs: 0
; ScratchSize: 0
; MemoryBound: 0
; FloatMode: 240
; IeeeMode: 1
; LDSByteSize: 0 bytes/workgroup (compile time only)
; SGPRBlocks: 0
; VGPRBlocks: 0
; NumSGPRsForWavesPerEU: 4
; NumVGPRsForWavesPerEU: 1
; AccumOffset: 4
; Occupancy: 8
; WaveLimiterHint : 0
; COMPUTE_PGM_RSRC2:SCRATCH_EN: 0
; COMPUTE_PGM_RSRC2:USER_SGPR: 6
; COMPUTE_PGM_RSRC2:TRAP_HANDLER: 0
; COMPUTE_PGM_RSRC2:TGID_X_EN: 1
; COMPUTE_PGM_RSRC2:TGID_Y_EN: 0
; COMPUTE_PGM_RSRC2:TGID_Z_EN: 0
; COMPUTE_PGM_RSRC2:TIDIG_COMP_CNT: 0
; COMPUTE_PGM_RSRC3_GFX90A:ACCUM_OFFSET: 0
; COMPUTE_PGM_RSRC3_GFX90A:TG_SPLIT: 0
	.section	.text._ZN7rocprim17ROCPRIM_400000_NS6detail17trampoline_kernelINS0_14default_configENS1_25partition_config_selectorILNS1_17partition_subalgoE8ElNS0_10empty_typeEbEEZZNS1_14partition_implILS5_8ELb0ES3_jPlPS6_PKS6_NS0_5tupleIJS9_S6_EEENSD_IJSA_SA_EEENS0_18inequality_wrapperIZN2at6native12_GLOBAL__N_124unique_dim_cuda_templateIN3c104HalfEEESt5tupleIJNSH_6TensorESO_SO_EERKSO_lbbbEUlllE0_EEPmJS6_EEE10hipError_tPvRmT3_T4_T5_T6_T7_T9_mT8_P12ihipStream_tbDpT10_ENKUlT_T0_E_clISt17integral_constantIbLb0EES1D_IbLb1EEEEDaS19_S1A_EUlS19_E_NS1_11comp_targetILNS1_3genE5ELNS1_11target_archE942ELNS1_3gpuE9ELNS1_3repE0EEENS1_30default_config_static_selectorELNS0_4arch9wavefront6targetE1EEEvT1_,"axG",@progbits,_ZN7rocprim17ROCPRIM_400000_NS6detail17trampoline_kernelINS0_14default_configENS1_25partition_config_selectorILNS1_17partition_subalgoE8ElNS0_10empty_typeEbEEZZNS1_14partition_implILS5_8ELb0ES3_jPlPS6_PKS6_NS0_5tupleIJS9_S6_EEENSD_IJSA_SA_EEENS0_18inequality_wrapperIZN2at6native12_GLOBAL__N_124unique_dim_cuda_templateIN3c104HalfEEESt5tupleIJNSH_6TensorESO_SO_EERKSO_lbbbEUlllE0_EEPmJS6_EEE10hipError_tPvRmT3_T4_T5_T6_T7_T9_mT8_P12ihipStream_tbDpT10_ENKUlT_T0_E_clISt17integral_constantIbLb0EES1D_IbLb1EEEEDaS19_S1A_EUlS19_E_NS1_11comp_targetILNS1_3genE5ELNS1_11target_archE942ELNS1_3gpuE9ELNS1_3repE0EEENS1_30default_config_static_selectorELNS0_4arch9wavefront6targetE1EEEvT1_,comdat
	.globl	_ZN7rocprim17ROCPRIM_400000_NS6detail17trampoline_kernelINS0_14default_configENS1_25partition_config_selectorILNS1_17partition_subalgoE8ElNS0_10empty_typeEbEEZZNS1_14partition_implILS5_8ELb0ES3_jPlPS6_PKS6_NS0_5tupleIJS9_S6_EEENSD_IJSA_SA_EEENS0_18inequality_wrapperIZN2at6native12_GLOBAL__N_124unique_dim_cuda_templateIN3c104HalfEEESt5tupleIJNSH_6TensorESO_SO_EERKSO_lbbbEUlllE0_EEPmJS6_EEE10hipError_tPvRmT3_T4_T5_T6_T7_T9_mT8_P12ihipStream_tbDpT10_ENKUlT_T0_E_clISt17integral_constantIbLb0EES1D_IbLb1EEEEDaS19_S1A_EUlS19_E_NS1_11comp_targetILNS1_3genE5ELNS1_11target_archE942ELNS1_3gpuE9ELNS1_3repE0EEENS1_30default_config_static_selectorELNS0_4arch9wavefront6targetE1EEEvT1_ ; -- Begin function _ZN7rocprim17ROCPRIM_400000_NS6detail17trampoline_kernelINS0_14default_configENS1_25partition_config_selectorILNS1_17partition_subalgoE8ElNS0_10empty_typeEbEEZZNS1_14partition_implILS5_8ELb0ES3_jPlPS6_PKS6_NS0_5tupleIJS9_S6_EEENSD_IJSA_SA_EEENS0_18inequality_wrapperIZN2at6native12_GLOBAL__N_124unique_dim_cuda_templateIN3c104HalfEEESt5tupleIJNSH_6TensorESO_SO_EERKSO_lbbbEUlllE0_EEPmJS6_EEE10hipError_tPvRmT3_T4_T5_T6_T7_T9_mT8_P12ihipStream_tbDpT10_ENKUlT_T0_E_clISt17integral_constantIbLb0EES1D_IbLb1EEEEDaS19_S1A_EUlS19_E_NS1_11comp_targetILNS1_3genE5ELNS1_11target_archE942ELNS1_3gpuE9ELNS1_3repE0EEENS1_30default_config_static_selectorELNS0_4arch9wavefront6targetE1EEEvT1_
	.p2align	8
	.type	_ZN7rocprim17ROCPRIM_400000_NS6detail17trampoline_kernelINS0_14default_configENS1_25partition_config_selectorILNS1_17partition_subalgoE8ElNS0_10empty_typeEbEEZZNS1_14partition_implILS5_8ELb0ES3_jPlPS6_PKS6_NS0_5tupleIJS9_S6_EEENSD_IJSA_SA_EEENS0_18inequality_wrapperIZN2at6native12_GLOBAL__N_124unique_dim_cuda_templateIN3c104HalfEEESt5tupleIJNSH_6TensorESO_SO_EERKSO_lbbbEUlllE0_EEPmJS6_EEE10hipError_tPvRmT3_T4_T5_T6_T7_T9_mT8_P12ihipStream_tbDpT10_ENKUlT_T0_E_clISt17integral_constantIbLb0EES1D_IbLb1EEEEDaS19_S1A_EUlS19_E_NS1_11comp_targetILNS1_3genE5ELNS1_11target_archE942ELNS1_3gpuE9ELNS1_3repE0EEENS1_30default_config_static_selectorELNS0_4arch9wavefront6targetE1EEEvT1_,@function
_ZN7rocprim17ROCPRIM_400000_NS6detail17trampoline_kernelINS0_14default_configENS1_25partition_config_selectorILNS1_17partition_subalgoE8ElNS0_10empty_typeEbEEZZNS1_14partition_implILS5_8ELb0ES3_jPlPS6_PKS6_NS0_5tupleIJS9_S6_EEENSD_IJSA_SA_EEENS0_18inequality_wrapperIZN2at6native12_GLOBAL__N_124unique_dim_cuda_templateIN3c104HalfEEESt5tupleIJNSH_6TensorESO_SO_EERKSO_lbbbEUlllE0_EEPmJS6_EEE10hipError_tPvRmT3_T4_T5_T6_T7_T9_mT8_P12ihipStream_tbDpT10_ENKUlT_T0_E_clISt17integral_constantIbLb0EES1D_IbLb1EEEEDaS19_S1A_EUlS19_E_NS1_11comp_targetILNS1_3genE5ELNS1_11target_archE942ELNS1_3gpuE9ELNS1_3repE0EEENS1_30default_config_static_selectorELNS0_4arch9wavefront6targetE1EEEvT1_: ; @_ZN7rocprim17ROCPRIM_400000_NS6detail17trampoline_kernelINS0_14default_configENS1_25partition_config_selectorILNS1_17partition_subalgoE8ElNS0_10empty_typeEbEEZZNS1_14partition_implILS5_8ELb0ES3_jPlPS6_PKS6_NS0_5tupleIJS9_S6_EEENSD_IJSA_SA_EEENS0_18inequality_wrapperIZN2at6native12_GLOBAL__N_124unique_dim_cuda_templateIN3c104HalfEEESt5tupleIJNSH_6TensorESO_SO_EERKSO_lbbbEUlllE0_EEPmJS6_EEE10hipError_tPvRmT3_T4_T5_T6_T7_T9_mT8_P12ihipStream_tbDpT10_ENKUlT_T0_E_clISt17integral_constantIbLb0EES1D_IbLb1EEEEDaS19_S1A_EUlS19_E_NS1_11comp_targetILNS1_3genE5ELNS1_11target_archE942ELNS1_3gpuE9ELNS1_3repE0EEENS1_30default_config_static_selectorELNS0_4arch9wavefront6targetE1EEEvT1_
; %bb.0:
	.section	.rodata,"a",@progbits
	.p2align	6, 0x0
	.amdhsa_kernel _ZN7rocprim17ROCPRIM_400000_NS6detail17trampoline_kernelINS0_14default_configENS1_25partition_config_selectorILNS1_17partition_subalgoE8ElNS0_10empty_typeEbEEZZNS1_14partition_implILS5_8ELb0ES3_jPlPS6_PKS6_NS0_5tupleIJS9_S6_EEENSD_IJSA_SA_EEENS0_18inequality_wrapperIZN2at6native12_GLOBAL__N_124unique_dim_cuda_templateIN3c104HalfEEESt5tupleIJNSH_6TensorESO_SO_EERKSO_lbbbEUlllE0_EEPmJS6_EEE10hipError_tPvRmT3_T4_T5_T6_T7_T9_mT8_P12ihipStream_tbDpT10_ENKUlT_T0_E_clISt17integral_constantIbLb0EES1D_IbLb1EEEEDaS19_S1A_EUlS19_E_NS1_11comp_targetILNS1_3genE5ELNS1_11target_archE942ELNS1_3gpuE9ELNS1_3repE0EEENS1_30default_config_static_selectorELNS0_4arch9wavefront6targetE1EEEvT1_
		.amdhsa_group_segment_fixed_size 0
		.amdhsa_private_segment_fixed_size 0
		.amdhsa_kernarg_size 136
		.amdhsa_user_sgpr_count 6
		.amdhsa_user_sgpr_private_segment_buffer 1
		.amdhsa_user_sgpr_dispatch_ptr 0
		.amdhsa_user_sgpr_queue_ptr 0
		.amdhsa_user_sgpr_kernarg_segment_ptr 1
		.amdhsa_user_sgpr_dispatch_id 0
		.amdhsa_user_sgpr_flat_scratch_init 0
		.amdhsa_user_sgpr_kernarg_preload_length 0
		.amdhsa_user_sgpr_kernarg_preload_offset 0
		.amdhsa_user_sgpr_private_segment_size 0
		.amdhsa_uses_dynamic_stack 0
		.amdhsa_system_sgpr_private_segment_wavefront_offset 0
		.amdhsa_system_sgpr_workgroup_id_x 1
		.amdhsa_system_sgpr_workgroup_id_y 0
		.amdhsa_system_sgpr_workgroup_id_z 0
		.amdhsa_system_sgpr_workgroup_info 0
		.amdhsa_system_vgpr_workitem_id 0
		.amdhsa_next_free_vgpr 1
		.amdhsa_next_free_sgpr 0
		.amdhsa_accum_offset 4
		.amdhsa_reserve_vcc 0
		.amdhsa_reserve_flat_scratch 0
		.amdhsa_float_round_mode_32 0
		.amdhsa_float_round_mode_16_64 0
		.amdhsa_float_denorm_mode_32 3
		.amdhsa_float_denorm_mode_16_64 3
		.amdhsa_dx10_clamp 1
		.amdhsa_ieee_mode 1
		.amdhsa_fp16_overflow 0
		.amdhsa_tg_split 0
		.amdhsa_exception_fp_ieee_invalid_op 0
		.amdhsa_exception_fp_denorm_src 0
		.amdhsa_exception_fp_ieee_div_zero 0
		.amdhsa_exception_fp_ieee_overflow 0
		.amdhsa_exception_fp_ieee_underflow 0
		.amdhsa_exception_fp_ieee_inexact 0
		.amdhsa_exception_int_div_zero 0
	.end_amdhsa_kernel
	.section	.text._ZN7rocprim17ROCPRIM_400000_NS6detail17trampoline_kernelINS0_14default_configENS1_25partition_config_selectorILNS1_17partition_subalgoE8ElNS0_10empty_typeEbEEZZNS1_14partition_implILS5_8ELb0ES3_jPlPS6_PKS6_NS0_5tupleIJS9_S6_EEENSD_IJSA_SA_EEENS0_18inequality_wrapperIZN2at6native12_GLOBAL__N_124unique_dim_cuda_templateIN3c104HalfEEESt5tupleIJNSH_6TensorESO_SO_EERKSO_lbbbEUlllE0_EEPmJS6_EEE10hipError_tPvRmT3_T4_T5_T6_T7_T9_mT8_P12ihipStream_tbDpT10_ENKUlT_T0_E_clISt17integral_constantIbLb0EES1D_IbLb1EEEEDaS19_S1A_EUlS19_E_NS1_11comp_targetILNS1_3genE5ELNS1_11target_archE942ELNS1_3gpuE9ELNS1_3repE0EEENS1_30default_config_static_selectorELNS0_4arch9wavefront6targetE1EEEvT1_,"axG",@progbits,_ZN7rocprim17ROCPRIM_400000_NS6detail17trampoline_kernelINS0_14default_configENS1_25partition_config_selectorILNS1_17partition_subalgoE8ElNS0_10empty_typeEbEEZZNS1_14partition_implILS5_8ELb0ES3_jPlPS6_PKS6_NS0_5tupleIJS9_S6_EEENSD_IJSA_SA_EEENS0_18inequality_wrapperIZN2at6native12_GLOBAL__N_124unique_dim_cuda_templateIN3c104HalfEEESt5tupleIJNSH_6TensorESO_SO_EERKSO_lbbbEUlllE0_EEPmJS6_EEE10hipError_tPvRmT3_T4_T5_T6_T7_T9_mT8_P12ihipStream_tbDpT10_ENKUlT_T0_E_clISt17integral_constantIbLb0EES1D_IbLb1EEEEDaS19_S1A_EUlS19_E_NS1_11comp_targetILNS1_3genE5ELNS1_11target_archE942ELNS1_3gpuE9ELNS1_3repE0EEENS1_30default_config_static_selectorELNS0_4arch9wavefront6targetE1EEEvT1_,comdat
.Lfunc_end1320:
	.size	_ZN7rocprim17ROCPRIM_400000_NS6detail17trampoline_kernelINS0_14default_configENS1_25partition_config_selectorILNS1_17partition_subalgoE8ElNS0_10empty_typeEbEEZZNS1_14partition_implILS5_8ELb0ES3_jPlPS6_PKS6_NS0_5tupleIJS9_S6_EEENSD_IJSA_SA_EEENS0_18inequality_wrapperIZN2at6native12_GLOBAL__N_124unique_dim_cuda_templateIN3c104HalfEEESt5tupleIJNSH_6TensorESO_SO_EERKSO_lbbbEUlllE0_EEPmJS6_EEE10hipError_tPvRmT3_T4_T5_T6_T7_T9_mT8_P12ihipStream_tbDpT10_ENKUlT_T0_E_clISt17integral_constantIbLb0EES1D_IbLb1EEEEDaS19_S1A_EUlS19_E_NS1_11comp_targetILNS1_3genE5ELNS1_11target_archE942ELNS1_3gpuE9ELNS1_3repE0EEENS1_30default_config_static_selectorELNS0_4arch9wavefront6targetE1EEEvT1_, .Lfunc_end1320-_ZN7rocprim17ROCPRIM_400000_NS6detail17trampoline_kernelINS0_14default_configENS1_25partition_config_selectorILNS1_17partition_subalgoE8ElNS0_10empty_typeEbEEZZNS1_14partition_implILS5_8ELb0ES3_jPlPS6_PKS6_NS0_5tupleIJS9_S6_EEENSD_IJSA_SA_EEENS0_18inequality_wrapperIZN2at6native12_GLOBAL__N_124unique_dim_cuda_templateIN3c104HalfEEESt5tupleIJNSH_6TensorESO_SO_EERKSO_lbbbEUlllE0_EEPmJS6_EEE10hipError_tPvRmT3_T4_T5_T6_T7_T9_mT8_P12ihipStream_tbDpT10_ENKUlT_T0_E_clISt17integral_constantIbLb0EES1D_IbLb1EEEEDaS19_S1A_EUlS19_E_NS1_11comp_targetILNS1_3genE5ELNS1_11target_archE942ELNS1_3gpuE9ELNS1_3repE0EEENS1_30default_config_static_selectorELNS0_4arch9wavefront6targetE1EEEvT1_
                                        ; -- End function
	.section	.AMDGPU.csdata,"",@progbits
; Kernel info:
; codeLenInByte = 0
; NumSgprs: 4
; NumVgprs: 0
; NumAgprs: 0
; TotalNumVgprs: 0
; ScratchSize: 0
; MemoryBound: 0
; FloatMode: 240
; IeeeMode: 1
; LDSByteSize: 0 bytes/workgroup (compile time only)
; SGPRBlocks: 0
; VGPRBlocks: 0
; NumSGPRsForWavesPerEU: 4
; NumVGPRsForWavesPerEU: 1
; AccumOffset: 4
; Occupancy: 8
; WaveLimiterHint : 0
; COMPUTE_PGM_RSRC2:SCRATCH_EN: 0
; COMPUTE_PGM_RSRC2:USER_SGPR: 6
; COMPUTE_PGM_RSRC2:TRAP_HANDLER: 0
; COMPUTE_PGM_RSRC2:TGID_X_EN: 1
; COMPUTE_PGM_RSRC2:TGID_Y_EN: 0
; COMPUTE_PGM_RSRC2:TGID_Z_EN: 0
; COMPUTE_PGM_RSRC2:TIDIG_COMP_CNT: 0
; COMPUTE_PGM_RSRC3_GFX90A:ACCUM_OFFSET: 0
; COMPUTE_PGM_RSRC3_GFX90A:TG_SPLIT: 0
	.section	.text._ZN7rocprim17ROCPRIM_400000_NS6detail17trampoline_kernelINS0_14default_configENS1_25partition_config_selectorILNS1_17partition_subalgoE8ElNS0_10empty_typeEbEEZZNS1_14partition_implILS5_8ELb0ES3_jPlPS6_PKS6_NS0_5tupleIJS9_S6_EEENSD_IJSA_SA_EEENS0_18inequality_wrapperIZN2at6native12_GLOBAL__N_124unique_dim_cuda_templateIN3c104HalfEEESt5tupleIJNSH_6TensorESO_SO_EERKSO_lbbbEUlllE0_EEPmJS6_EEE10hipError_tPvRmT3_T4_T5_T6_T7_T9_mT8_P12ihipStream_tbDpT10_ENKUlT_T0_E_clISt17integral_constantIbLb0EES1D_IbLb1EEEEDaS19_S1A_EUlS19_E_NS1_11comp_targetILNS1_3genE4ELNS1_11target_archE910ELNS1_3gpuE8ELNS1_3repE0EEENS1_30default_config_static_selectorELNS0_4arch9wavefront6targetE1EEEvT1_,"axG",@progbits,_ZN7rocprim17ROCPRIM_400000_NS6detail17trampoline_kernelINS0_14default_configENS1_25partition_config_selectorILNS1_17partition_subalgoE8ElNS0_10empty_typeEbEEZZNS1_14partition_implILS5_8ELb0ES3_jPlPS6_PKS6_NS0_5tupleIJS9_S6_EEENSD_IJSA_SA_EEENS0_18inequality_wrapperIZN2at6native12_GLOBAL__N_124unique_dim_cuda_templateIN3c104HalfEEESt5tupleIJNSH_6TensorESO_SO_EERKSO_lbbbEUlllE0_EEPmJS6_EEE10hipError_tPvRmT3_T4_T5_T6_T7_T9_mT8_P12ihipStream_tbDpT10_ENKUlT_T0_E_clISt17integral_constantIbLb0EES1D_IbLb1EEEEDaS19_S1A_EUlS19_E_NS1_11comp_targetILNS1_3genE4ELNS1_11target_archE910ELNS1_3gpuE8ELNS1_3repE0EEENS1_30default_config_static_selectorELNS0_4arch9wavefront6targetE1EEEvT1_,comdat
	.globl	_ZN7rocprim17ROCPRIM_400000_NS6detail17trampoline_kernelINS0_14default_configENS1_25partition_config_selectorILNS1_17partition_subalgoE8ElNS0_10empty_typeEbEEZZNS1_14partition_implILS5_8ELb0ES3_jPlPS6_PKS6_NS0_5tupleIJS9_S6_EEENSD_IJSA_SA_EEENS0_18inequality_wrapperIZN2at6native12_GLOBAL__N_124unique_dim_cuda_templateIN3c104HalfEEESt5tupleIJNSH_6TensorESO_SO_EERKSO_lbbbEUlllE0_EEPmJS6_EEE10hipError_tPvRmT3_T4_T5_T6_T7_T9_mT8_P12ihipStream_tbDpT10_ENKUlT_T0_E_clISt17integral_constantIbLb0EES1D_IbLb1EEEEDaS19_S1A_EUlS19_E_NS1_11comp_targetILNS1_3genE4ELNS1_11target_archE910ELNS1_3gpuE8ELNS1_3repE0EEENS1_30default_config_static_selectorELNS0_4arch9wavefront6targetE1EEEvT1_ ; -- Begin function _ZN7rocprim17ROCPRIM_400000_NS6detail17trampoline_kernelINS0_14default_configENS1_25partition_config_selectorILNS1_17partition_subalgoE8ElNS0_10empty_typeEbEEZZNS1_14partition_implILS5_8ELb0ES3_jPlPS6_PKS6_NS0_5tupleIJS9_S6_EEENSD_IJSA_SA_EEENS0_18inequality_wrapperIZN2at6native12_GLOBAL__N_124unique_dim_cuda_templateIN3c104HalfEEESt5tupleIJNSH_6TensorESO_SO_EERKSO_lbbbEUlllE0_EEPmJS6_EEE10hipError_tPvRmT3_T4_T5_T6_T7_T9_mT8_P12ihipStream_tbDpT10_ENKUlT_T0_E_clISt17integral_constantIbLb0EES1D_IbLb1EEEEDaS19_S1A_EUlS19_E_NS1_11comp_targetILNS1_3genE4ELNS1_11target_archE910ELNS1_3gpuE8ELNS1_3repE0EEENS1_30default_config_static_selectorELNS0_4arch9wavefront6targetE1EEEvT1_
	.p2align	8
	.type	_ZN7rocprim17ROCPRIM_400000_NS6detail17trampoline_kernelINS0_14default_configENS1_25partition_config_selectorILNS1_17partition_subalgoE8ElNS0_10empty_typeEbEEZZNS1_14partition_implILS5_8ELb0ES3_jPlPS6_PKS6_NS0_5tupleIJS9_S6_EEENSD_IJSA_SA_EEENS0_18inequality_wrapperIZN2at6native12_GLOBAL__N_124unique_dim_cuda_templateIN3c104HalfEEESt5tupleIJNSH_6TensorESO_SO_EERKSO_lbbbEUlllE0_EEPmJS6_EEE10hipError_tPvRmT3_T4_T5_T6_T7_T9_mT8_P12ihipStream_tbDpT10_ENKUlT_T0_E_clISt17integral_constantIbLb0EES1D_IbLb1EEEEDaS19_S1A_EUlS19_E_NS1_11comp_targetILNS1_3genE4ELNS1_11target_archE910ELNS1_3gpuE8ELNS1_3repE0EEENS1_30default_config_static_selectorELNS0_4arch9wavefront6targetE1EEEvT1_,@function
_ZN7rocprim17ROCPRIM_400000_NS6detail17trampoline_kernelINS0_14default_configENS1_25partition_config_selectorILNS1_17partition_subalgoE8ElNS0_10empty_typeEbEEZZNS1_14partition_implILS5_8ELb0ES3_jPlPS6_PKS6_NS0_5tupleIJS9_S6_EEENSD_IJSA_SA_EEENS0_18inequality_wrapperIZN2at6native12_GLOBAL__N_124unique_dim_cuda_templateIN3c104HalfEEESt5tupleIJNSH_6TensorESO_SO_EERKSO_lbbbEUlllE0_EEPmJS6_EEE10hipError_tPvRmT3_T4_T5_T6_T7_T9_mT8_P12ihipStream_tbDpT10_ENKUlT_T0_E_clISt17integral_constantIbLb0EES1D_IbLb1EEEEDaS19_S1A_EUlS19_E_NS1_11comp_targetILNS1_3genE4ELNS1_11target_archE910ELNS1_3gpuE8ELNS1_3repE0EEENS1_30default_config_static_selectorELNS0_4arch9wavefront6targetE1EEEvT1_: ; @_ZN7rocprim17ROCPRIM_400000_NS6detail17trampoline_kernelINS0_14default_configENS1_25partition_config_selectorILNS1_17partition_subalgoE8ElNS0_10empty_typeEbEEZZNS1_14partition_implILS5_8ELb0ES3_jPlPS6_PKS6_NS0_5tupleIJS9_S6_EEENSD_IJSA_SA_EEENS0_18inequality_wrapperIZN2at6native12_GLOBAL__N_124unique_dim_cuda_templateIN3c104HalfEEESt5tupleIJNSH_6TensorESO_SO_EERKSO_lbbbEUlllE0_EEPmJS6_EEE10hipError_tPvRmT3_T4_T5_T6_T7_T9_mT8_P12ihipStream_tbDpT10_ENKUlT_T0_E_clISt17integral_constantIbLb0EES1D_IbLb1EEEEDaS19_S1A_EUlS19_E_NS1_11comp_targetILNS1_3genE4ELNS1_11target_archE910ELNS1_3gpuE8ELNS1_3repE0EEENS1_30default_config_static_selectorELNS0_4arch9wavefront6targetE1EEEvT1_
; %bb.0:
	s_load_dwordx2 s[28:29], s[4:5], 0x28
	s_load_dwordx8 s[20:27], s[4:5], 0x40
	s_load_dwordx4 s[16:19], s[4:5], 0x60
	v_cmp_ne_u32_e64 s[2:3], 0, v0
	v_cmp_eq_u32_e64 s[0:1], 0, v0
	s_and_saveexec_b64 s[6:7], s[0:1]
	s_cbranch_execz .LBB1321_4
; %bb.1:
	s_mov_b64 s[10:11], exec
	v_mbcnt_lo_u32_b32 v1, s10, 0
	v_mbcnt_hi_u32_b32 v1, s11, v1
	v_cmp_eq_u32_e32 vcc, 0, v1
                                        ; implicit-def: $vgpr2
	s_and_saveexec_b64 s[8:9], vcc
	s_cbranch_execz .LBB1321_3
; %bb.2:
	s_load_dwordx2 s[12:13], s[4:5], 0x78
	s_bcnt1_i32_b64 s10, s[10:11]
	v_mov_b32_e32 v2, 0
	v_mov_b32_e32 v3, s10
	s_waitcnt lgkmcnt(0)
	global_atomic_add v2, v2, v3, s[12:13] glc
.LBB1321_3:
	s_or_b64 exec, exec, s[8:9]
	s_waitcnt vmcnt(0)
	v_readfirstlane_b32 s8, v2
	v_add_u32_e32 v1, s8, v1
	v_mov_b32_e32 v2, 0
	ds_write_b32 v2, v1
.LBB1321_4:
	s_or_b64 exec, exec, s[6:7]
	v_mov_b32_e32 v3, 0
	s_load_dwordx4 s[8:11], s[4:5], 0x8
	s_load_dword s12, s[4:5], 0x70
	s_waitcnt lgkmcnt(0)
	s_barrier
	ds_read_b32 v1, v3
	s_waitcnt lgkmcnt(0)
	s_barrier
	global_load_dwordx2 v[4:5], v3, s[22:23]
	s_lshl_b64 s[4:5], s[10:11], 3
	s_mul_i32 s14, s12, 0x500
	s_add_u32 s8, s8, s4
	s_addc_u32 s4, s9, s5
	s_add_i32 s5, s14, s10
	s_add_i32 s12, s12, -1
	s_sub_i32 s48, s24, s5
	v_mov_b32_e32 v8, s4
	s_add_u32 s4, s10, s14
	s_addc_u32 s5, s11, 0
	v_readfirstlane_b32 s33, v1
	v_mov_b32_e32 v6, s24
	v_mov_b32_e32 v7, s25
	s_movk_i32 s13, 0x500
	s_cmp_eq_u32 s33, s12
	v_mul_lo_u32 v2, v1, s13
	v_cmp_ge_u64_e32 vcc, s[4:5], v[6:7]
	s_cselect_b64 s[24:25], -1, 0
	v_lshlrev_b64 v[2:3], 3, v[2:3]
	s_and_b64 s[12:13], vcc, s[24:25]
	v_add_co_u32_e64 v18, s[4:5], s8, v2
	s_xor_b64 s[30:31], s[12:13], -1
	s_mov_b64 s[6:7], -1
	v_addc_co_u32_e64 v19, s[4:5], v8, v3, s[4:5]
	s_and_b64 vcc, exec, s[30:31]
	s_waitcnt vmcnt(0)
	v_readfirstlane_b32 s22, v4
	v_readfirstlane_b32 s23, v5
	s_cbranch_vccz .LBB1321_6
; %bb.5:
	v_lshlrev_b32_e32 v1, 3, v0
	v_add_co_u32_e32 v12, vcc, v18, v1
	v_addc_co_u32_e32 v13, vcc, 0, v19, vcc
	v_add_co_u32_e32 v2, vcc, 0x1000, v12
	v_readfirstlane_b32 s4, v18
	v_readfirstlane_b32 s5, v19
	v_addc_co_u32_e32 v3, vcc, 0, v13, vcc
	s_nop 3
	global_load_dwordx2 v[4:5], v1, s[4:5]
	global_load_dwordx2 v[6:7], v1, s[4:5] offset:2048
	global_load_dwordx2 v[8:9], v[2:3], off
	global_load_dwordx2 v[10:11], v[2:3], off offset:2048
	v_add_co_u32_e32 v2, vcc, 0x2000, v12
	v_addc_co_u32_e32 v3, vcc, 0, v13, vcc
	global_load_dwordx2 v[2:3], v[2:3], off
	s_mov_b64 s[6:7], 0
	s_waitcnt vmcnt(3)
	ds_write2st64_b64 v1, v[4:5], v[6:7] offset1:4
	s_waitcnt vmcnt(1)
	ds_write2st64_b64 v1, v[8:9], v[10:11] offset0:8 offset1:12
	s_waitcnt vmcnt(0)
	ds_write_b64 v1, v[2:3] offset:8192
	s_waitcnt lgkmcnt(0)
	s_barrier
.LBB1321_6:
	s_andn2_b64 vcc, exec, s[6:7]
	s_addk_i32 s48, 0x500
	s_cbranch_vccnz .LBB1321_18
; %bb.7:
	v_cmp_gt_u32_e32 vcc, s48, v0
                                        ; implicit-def: $vgpr2_vgpr3_vgpr4_vgpr5_vgpr6_vgpr7_vgpr8_vgpr9_vgpr10_vgpr11_vgpr12_vgpr13_vgpr14_vgpr15_vgpr16_vgpr17
	s_and_saveexec_b64 s[4:5], vcc
	s_cbranch_execz .LBB1321_9
; %bb.8:
	v_lshlrev_b32_e32 v1, 3, v0
	v_readfirstlane_b32 s6, v18
	v_readfirstlane_b32 s7, v19
	s_nop 4
	global_load_dwordx2 v[2:3], v1, s[6:7]
.LBB1321_9:
	s_or_b64 exec, exec, s[4:5]
	v_or_b32_e32 v1, 0x100, v0
	v_cmp_gt_u32_e32 vcc, s48, v1
	s_and_saveexec_b64 s[4:5], vcc
	s_cbranch_execz .LBB1321_11
; %bb.10:
	v_lshlrev_b32_e32 v1, 3, v0
	v_readfirstlane_b32 s6, v18
	v_readfirstlane_b32 s7, v19
	s_nop 4
	global_load_dwordx2 v[4:5], v1, s[6:7] offset:2048
.LBB1321_11:
	s_or_b64 exec, exec, s[4:5]
	v_or_b32_e32 v1, 0x200, v0
	v_cmp_gt_u32_e32 vcc, s48, v1
	s_and_saveexec_b64 s[4:5], vcc
	s_cbranch_execz .LBB1321_13
; %bb.12:
	v_lshlrev_b32_e32 v1, 3, v1
	v_readfirstlane_b32 s6, v18
	v_readfirstlane_b32 s7, v19
	s_nop 4
	global_load_dwordx2 v[6:7], v1, s[6:7]
.LBB1321_13:
	s_or_b64 exec, exec, s[4:5]
	v_or_b32_e32 v1, 0x300, v0
	v_cmp_gt_u32_e32 vcc, s48, v1
	s_and_saveexec_b64 s[4:5], vcc
	s_cbranch_execz .LBB1321_15
; %bb.14:
	v_lshlrev_b32_e32 v1, 3, v1
	v_readfirstlane_b32 s6, v18
	v_readfirstlane_b32 s7, v19
	s_nop 4
	global_load_dwordx2 v[8:9], v1, s[6:7]
.LBB1321_15:
	;; [unrolled: 12-line block ×3, first 2 shown]
	s_or_b64 exec, exec, s[4:5]
	v_lshlrev_b32_e32 v1, 3, v0
	s_waitcnt vmcnt(0)
	ds_write2st64_b64 v1, v[2:3], v[4:5] offset1:4
	ds_write2st64_b64 v1, v[6:7], v[8:9] offset0:8 offset1:12
	ds_write_b64 v1, v[10:11] offset:8192
	s_waitcnt lgkmcnt(0)
	s_barrier
.LBB1321_18:
	v_mul_u32_u24_e32 v1, 5, v0
	v_lshlrev_b32_e32 v26, 3, v1
	ds_read2_b64 v[6:9], v26 offset1:1
	ds_read2_b64 v[2:5], v26 offset0:2 offset1:3
	ds_read_b64 v[10:11], v26 offset:32
	s_cmp_lg_u32 s33, 0
	s_cselect_b64 s[34:35], -1, 0
	s_cmp_lg_u64 s[10:11], 0
	s_cselect_b64 s[4:5], -1, 0
	s_or_b64 s[4:5], s[4:5], s[34:35]
	v_mad_u32_u24 v24, v0, 5, 1
	v_mad_u32_u24 v22, v0, 5, 2
	;; [unrolled: 1-line block ×4, first 2 shown]
	s_mov_b64 s[14:15], 0
	s_and_b64 vcc, exec, s[4:5]
	v_cmp_gt_i64_e64 s[4:5], s[26:27], 0
	s_waitcnt lgkmcnt(0)
	s_barrier
	s_cbranch_vccz .LBB1321_27
; %bb.19:
	global_load_dwordx2 v[14:15], v[18:19], off offset:-8
	v_cndmask_b32_e64 v12, 0, 1, s[4:5]
	v_lshlrev_b32_e32 v27, 3, v0
	s_mov_b64 s[10:11], 0
	s_and_b64 vcc, exec, s[30:31]
	v_cmp_ne_u32_e64 s[4:5], 1, v12
	ds_write_b64 v27, v[10:11]
	s_cbranch_vccz .LBB1321_28
; %bb.20:
	v_mul_lo_u32 v16, v5, s26
	v_mul_lo_u32 v17, v4, s27
	v_mad_u64_u32 v[12:13], s[6:7], v4, s26, 0
	v_add3_u32 v13, v13, v17, v16
	s_and_b64 vcc, exec, s[4:5]
	v_lshlrev_b64 v[12:13], 1, v[12:13]
	s_cbranch_vccnz .LBB1321_31
; %bb.21:
	v_mul_lo_u32 v18, v11, s26
	v_mul_lo_u32 v19, v10, s27
	v_mad_u64_u32 v[16:17], s[6:7], v10, s26, 0
	v_add3_u32 v17, v17, v19, v18
	v_mov_b32_e32 v19, s17
	v_add_co_u32_e32 v18, vcc, s16, v12
	v_addc_co_u32_e64 v19, s[6:7], v19, v13, vcc
	v_lshlrev_b64 v[16:17], 1, v[16:17]
	v_mov_b32_e32 v21, s17
	v_add_co_u32_e64 v20, s[6:7], s16, v16
	v_addc_co_u32_e64 v21, s[8:9], v21, v17, s[6:7]
	global_load_ushort v16, v[18:19], off
	global_load_ushort v28, v[20:21], off
	s_mov_b64 s[10:11], -1
	s_waitcnt vmcnt(0)
	v_cmp_eq_f16_e64 s[8:9], v16, v28
	s_and_saveexec_b64 s[14:15], s[8:9]
	s_cbranch_execz .LBB1321_30
; %bb.22:
	v_mov_b32_e32 v16, s17
	v_addc_co_u32_e64 v17, s[6:7], v17, v16, s[6:7]
	v_add_co_u32_e64 v16, s[6:7], 2, v20
	v_mov_b32_e32 v19, s17
	v_addc_co_u32_e64 v17, s[6:7], 0, v17, s[6:7]
	v_addc_co_u32_e32 v19, vcc, v13, v19, vcc
	v_add_co_u32_e32 v18, vcc, 2, v18
	s_add_u32 s6, s26, -1
	v_addc_co_u32_e32 v19, vcc, 0, v19, vcc
	s_addc_u32 s7, s27, -1
	s_mov_b64 s[8:9], 0
	s_mov_b64 s[36:37], 0
                                        ; implicit-def: $sgpr10_sgpr11
	s_branch .LBB1321_25
.LBB1321_23:                            ;   in Loop: Header=BB1321_25 Depth=1
	global_load_ushort v20, v[18:19], off
	global_load_ushort v21, v[16:17], off
	v_add_co_u32_e32 v16, vcc, 2, v16
	v_addc_co_u32_e32 v17, vcc, 0, v17, vcc
	v_add_co_u32_e32 v18, vcc, 2, v18
	v_addc_co_u32_e32 v19, vcc, 0, v19, vcc
	s_add_u32 s36, s36, 1
	s_addc_u32 s37, s37, 0
	s_andn2_b64 s[10:11], s[10:11], exec
	s_waitcnt vmcnt(0)
	v_cmp_neq_f16_e32 vcc, v20, v21
	s_and_b64 s[38:39], vcc, exec
	s_or_b64 s[10:11], s[10:11], s[38:39]
.LBB1321_24:                            ;   in Loop: Header=BB1321_25 Depth=1
	s_and_b64 s[38:39], exec, s[10:11]
	s_or_b64 s[8:9], s[38:39], s[8:9]
	v_pk_mov_b32 v[20:21], s[36:37], s[36:37] op_sel:[0,1]
	s_andn2_b64 exec, exec, s[8:9]
	s_cbranch_execz .LBB1321_29
.LBB1321_25:                            ; =>This Inner Loop Header: Depth=1
	s_or_b64 s[10:11], s[10:11], exec
	s_cmp_eq_u64 s[6:7], s[36:37]
	s_cbranch_scc0 .LBB1321_23
; %bb.26:                               ;   in Loop: Header=BB1321_25 Depth=1
                                        ; implicit-def: $vgpr16_vgpr17
                                        ; implicit-def: $vgpr18_vgpr19
	s_mov_b64 s[36:37], s[26:27]
	s_branch .LBB1321_24
.LBB1321_27:
                                        ; implicit-def: $sgpr36_sgpr37
                                        ; implicit-def: $vgpr13
                                        ; implicit-def: $vgpr16
	s_branch .LBB1321_129
.LBB1321_28:
                                        ; implicit-def: $sgpr36_sgpr37
                                        ; implicit-def: $vgpr13
                                        ; implicit-def: $vgpr16
	s_cbranch_execnz .LBB1321_70
	s_branch .LBB1321_128
.LBB1321_29:
	s_or_b64 exec, exec, s[8:9]
	v_cmp_gt_i64_e32 vcc, s[26:27], v[20:21]
	s_orn2_b64 s[10:11], vcc, exec
.LBB1321_30:
	s_or_b64 exec, exec, s[14:15]
.LBB1321_31:
	v_mul_lo_u32 v18, v3, s26
	v_mul_lo_u32 v19, v2, s27
	v_mad_u64_u32 v[16:17], s[6:7], v2, s26, 0
	v_add3_u32 v17, v17, v19, v18
	s_mov_b64 s[14:15], 0
	s_and_b64 vcc, exec, s[4:5]
	v_lshlrev_b64 v[18:19], 1, v[16:17]
	s_mov_b64 s[36:37], 0
	s_cbranch_vccnz .LBB1321_40
; %bb.32:
	v_mov_b32_e32 v17, s17
	v_add_co_u32_e32 v16, vcc, s16, v18
	v_addc_co_u32_e64 v17, s[6:7], v17, v19, vcc
	v_mov_b32_e32 v21, s17
	v_add_co_u32_e64 v20, s[6:7], s16, v12
	v_addc_co_u32_e64 v21, s[8:9], v21, v13, s[6:7]
	global_load_ushort v12, v[16:17], off
	global_load_ushort v28, v[20:21], off
	s_mov_b64 s[36:37], -1
	s_waitcnt vmcnt(0)
	v_cmp_eq_f16_e64 s[8:9], v12, v28
	s_and_saveexec_b64 s[38:39], s[8:9]
	s_cbranch_execz .LBB1321_39
; %bb.33:
	v_mov_b32_e32 v12, s17
	v_addc_co_u32_e64 v13, s[6:7], v13, v12, s[6:7]
	v_add_co_u32_e64 v12, s[6:7], 2, v20
	v_mov_b32_e32 v17, s17
	v_addc_co_u32_e64 v13, s[6:7], 0, v13, s[6:7]
	v_addc_co_u32_e32 v17, vcc, v19, v17, vcc
	v_add_co_u32_e32 v16, vcc, 2, v16
	s_add_u32 s6, s26, -1
	v_addc_co_u32_e32 v17, vcc, 0, v17, vcc
	s_addc_u32 s7, s27, -1
	s_mov_b64 s[8:9], 0
	s_mov_b64 s[40:41], 0
                                        ; implicit-def: $sgpr36_sgpr37
	s_branch .LBB1321_36
.LBB1321_34:                            ;   in Loop: Header=BB1321_36 Depth=1
	global_load_ushort v20, v[16:17], off
	global_load_ushort v21, v[12:13], off
	v_add_co_u32_e32 v12, vcc, 2, v12
	v_addc_co_u32_e32 v13, vcc, 0, v13, vcc
	v_add_co_u32_e32 v16, vcc, 2, v16
	v_addc_co_u32_e32 v17, vcc, 0, v17, vcc
	s_add_u32 s40, s40, 1
	s_addc_u32 s41, s41, 0
	s_andn2_b64 s[36:37], s[36:37], exec
	s_waitcnt vmcnt(0)
	v_cmp_neq_f16_e32 vcc, v20, v21
	s_and_b64 s[42:43], vcc, exec
	s_or_b64 s[36:37], s[36:37], s[42:43]
.LBB1321_35:                            ;   in Loop: Header=BB1321_36 Depth=1
	s_and_b64 s[42:43], exec, s[36:37]
	s_or_b64 s[8:9], s[42:43], s[8:9]
	v_pk_mov_b32 v[20:21], s[40:41], s[40:41] op_sel:[0,1]
	s_andn2_b64 exec, exec, s[8:9]
	s_cbranch_execz .LBB1321_38
.LBB1321_36:                            ; =>This Inner Loop Header: Depth=1
	s_or_b64 s[36:37], s[36:37], exec
	s_cmp_eq_u64 s[6:7], s[40:41]
	s_cbranch_scc0 .LBB1321_34
; %bb.37:                               ;   in Loop: Header=BB1321_36 Depth=1
                                        ; implicit-def: $vgpr12_vgpr13
                                        ; implicit-def: $vgpr16_vgpr17
	s_mov_b64 s[40:41], s[26:27]
	s_branch .LBB1321_35
.LBB1321_38:
	s_or_b64 exec, exec, s[8:9]
	v_cmp_gt_i64_e32 vcc, s[26:27], v[20:21]
	s_orn2_b64 s[36:37], vcc, exec
.LBB1321_39:
	s_or_b64 exec, exec, s[38:39]
.LBB1321_40:
	v_mul_lo_u32 v16, v9, s26
	v_mul_lo_u32 v17, v8, s27
	v_mad_u64_u32 v[12:13], s[6:7], v8, s26, 0
	v_add3_u32 v13, v13, v17, v16
	s_and_b64 vcc, exec, s[4:5]
	v_lshlrev_b64 v[16:17], 1, v[12:13]
	s_cbranch_vccnz .LBB1321_49
; %bb.41:
	v_mov_b32_e32 v12, s17
	v_add_co_u32_e32 v20, vcc, s16, v16
	v_addc_co_u32_e64 v21, s[6:7], v12, v17, vcc
	v_mov_b32_e32 v13, s17
	v_add_co_u32_e64 v12, s[6:7], s16, v18
	v_addc_co_u32_e64 v13, s[8:9], v13, v19, s[6:7]
	global_load_ushort v18, v[20:21], off
	global_load_ushort v28, v[12:13], off
	s_mov_b64 s[14:15], -1
	s_waitcnt vmcnt(0)
	v_cmp_eq_f16_e64 s[8:9], v18, v28
	s_and_saveexec_b64 s[38:39], s[8:9]
	s_cbranch_execz .LBB1321_48
; %bb.42:
	v_mov_b32_e32 v13, s17
	v_addc_co_u32_e64 v13, s[6:7], v19, v13, s[6:7]
	v_add_co_u32_e64 v12, s[6:7], 2, v12
	v_mov_b32_e32 v18, s17
	v_addc_co_u32_e64 v13, s[6:7], 0, v13, s[6:7]
	v_addc_co_u32_e32 v19, vcc, v17, v18, vcc
	v_add_co_u32_e32 v18, vcc, 2, v20
	s_add_u32 s6, s26, -1
	v_addc_co_u32_e32 v19, vcc, 0, v19, vcc
	s_addc_u32 s7, s27, -1
	s_mov_b64 s[8:9], 0
	s_mov_b64 s[40:41], 0
                                        ; implicit-def: $sgpr14_sgpr15
	s_branch .LBB1321_45
.LBB1321_43:                            ;   in Loop: Header=BB1321_45 Depth=1
	global_load_ushort v20, v[18:19], off
	global_load_ushort v21, v[12:13], off
	v_add_co_u32_e32 v12, vcc, 2, v12
	v_addc_co_u32_e32 v13, vcc, 0, v13, vcc
	v_add_co_u32_e32 v18, vcc, 2, v18
	v_addc_co_u32_e32 v19, vcc, 0, v19, vcc
	s_add_u32 s40, s40, 1
	s_addc_u32 s41, s41, 0
	s_andn2_b64 s[14:15], s[14:15], exec
	s_waitcnt vmcnt(0)
	v_cmp_neq_f16_e32 vcc, v20, v21
	s_and_b64 s[42:43], vcc, exec
	s_or_b64 s[14:15], s[14:15], s[42:43]
.LBB1321_44:                            ;   in Loop: Header=BB1321_45 Depth=1
	s_and_b64 s[42:43], exec, s[14:15]
	s_or_b64 s[8:9], s[42:43], s[8:9]
	v_pk_mov_b32 v[20:21], s[40:41], s[40:41] op_sel:[0,1]
	s_andn2_b64 exec, exec, s[8:9]
	s_cbranch_execz .LBB1321_47
.LBB1321_45:                            ; =>This Inner Loop Header: Depth=1
	s_or_b64 s[14:15], s[14:15], exec
	s_cmp_eq_u64 s[6:7], s[40:41]
	s_cbranch_scc0 .LBB1321_43
; %bb.46:                               ;   in Loop: Header=BB1321_45 Depth=1
                                        ; implicit-def: $vgpr12_vgpr13
                                        ; implicit-def: $vgpr18_vgpr19
	s_mov_b64 s[40:41], s[26:27]
	s_branch .LBB1321_44
.LBB1321_47:
	s_or_b64 exec, exec, s[8:9]
	v_cmp_gt_i64_e32 vcc, s[26:27], v[20:21]
	s_orn2_b64 s[14:15], vcc, exec
.LBB1321_48:
	s_or_b64 exec, exec, s[38:39]
.LBB1321_49:
	v_mul_lo_u32 v18, v7, s26
	v_mul_lo_u32 v19, v6, s27
	v_mad_u64_u32 v[12:13], s[6:7], v6, s26, 0
	v_add3_u32 v13, v13, v19, v18
	s_mov_b64 s[40:41], 0
	s_and_b64 vcc, exec, s[4:5]
	v_lshlrev_b64 v[12:13], 1, v[12:13]
	s_cbranch_vccnz .LBB1321_58
; %bb.50:
	v_mov_b32_e32 v19, s17
	v_add_co_u32_e32 v18, vcc, s16, v12
	v_addc_co_u32_e64 v19, s[6:7], v19, v13, vcc
	v_mov_b32_e32 v21, s17
	v_add_co_u32_e64 v20, s[6:7], s16, v16
	v_addc_co_u32_e64 v21, s[8:9], v21, v17, s[6:7]
	global_load_ushort v16, v[18:19], off
	global_load_ushort v28, v[20:21], off
	s_mov_b64 s[40:41], -1
	s_waitcnt vmcnt(0)
	v_cmp_eq_f16_e64 s[8:9], v16, v28
	s_and_saveexec_b64 s[38:39], s[8:9]
	s_cbranch_execz .LBB1321_57
; %bb.51:
	v_mov_b32_e32 v16, s17
	v_addc_co_u32_e64 v17, s[6:7], v17, v16, s[6:7]
	v_add_co_u32_e64 v16, s[6:7], 2, v20
	v_mov_b32_e32 v19, s17
	v_addc_co_u32_e64 v17, s[6:7], 0, v17, s[6:7]
	v_addc_co_u32_e32 v19, vcc, v13, v19, vcc
	v_add_co_u32_e32 v18, vcc, 2, v18
	s_add_u32 s6, s26, -1
	v_addc_co_u32_e32 v19, vcc, 0, v19, vcc
	s_addc_u32 s7, s27, -1
	s_mov_b64 s[8:9], 0
	s_mov_b64 s[42:43], 0
                                        ; implicit-def: $sgpr40_sgpr41
	s_branch .LBB1321_54
.LBB1321_52:                            ;   in Loop: Header=BB1321_54 Depth=1
	global_load_ushort v20, v[18:19], off
	global_load_ushort v21, v[16:17], off
	v_add_co_u32_e32 v16, vcc, 2, v16
	v_addc_co_u32_e32 v17, vcc, 0, v17, vcc
	v_add_co_u32_e32 v18, vcc, 2, v18
	v_addc_co_u32_e32 v19, vcc, 0, v19, vcc
	s_add_u32 s42, s42, 1
	s_addc_u32 s43, s43, 0
	s_andn2_b64 s[40:41], s[40:41], exec
	s_waitcnt vmcnt(0)
	v_cmp_neq_f16_e32 vcc, v20, v21
	s_and_b64 s[44:45], vcc, exec
	s_or_b64 s[40:41], s[40:41], s[44:45]
.LBB1321_53:                            ;   in Loop: Header=BB1321_54 Depth=1
	s_and_b64 s[44:45], exec, s[40:41]
	s_or_b64 s[8:9], s[44:45], s[8:9]
	v_pk_mov_b32 v[20:21], s[42:43], s[42:43] op_sel:[0,1]
	s_andn2_b64 exec, exec, s[8:9]
	s_cbranch_execz .LBB1321_56
.LBB1321_54:                            ; =>This Inner Loop Header: Depth=1
	s_or_b64 s[40:41], s[40:41], exec
	s_cmp_eq_u64 s[6:7], s[42:43]
	s_cbranch_scc0 .LBB1321_52
; %bb.55:                               ;   in Loop: Header=BB1321_54 Depth=1
                                        ; implicit-def: $vgpr16_vgpr17
                                        ; implicit-def: $vgpr18_vgpr19
	s_mov_b64 s[42:43], s[26:27]
	s_branch .LBB1321_53
.LBB1321_56:
	s_or_b64 exec, exec, s[8:9]
	v_cmp_gt_i64_e32 vcc, s[26:27], v[20:21]
	s_orn2_b64 s[40:41], vcc, exec
.LBB1321_57:
	s_or_b64 exec, exec, s[38:39]
.LBB1321_58:
	s_waitcnt vmcnt(0)
	v_pk_mov_b32 v[16:17], v[14:15], v[14:15] op_sel:[0,1]
	s_waitcnt lgkmcnt(0)
	s_barrier
	s_and_saveexec_b64 s[6:7], s[2:3]
	s_cbranch_execz .LBB1321_60
; %bb.59:
	v_add_u32_e32 v16, -8, v27
	ds_read_b64 v[16:17], v16
.LBB1321_60:
	s_or_b64 exec, exec, s[6:7]
	v_cndmask_b32_e64 v19, 0, 1, s[36:37]
	v_cndmask_b32_e64 v18, 0, 1, s[14:15]
	;; [unrolled: 1-line block ×3, first 2 shown]
	v_lshlrev_b16_e32 v19, 8, v19
	v_lshlrev_b16_e32 v28, 8, v20
	v_or_b32_sdwa v29, v18, v19 dst_sel:WORD_1 dst_unused:UNUSED_PAD src0_sel:DWORD src1_sel:DWORD
	s_mov_b64 s[14:15], 0
	s_and_b64 vcc, exec, s[4:5]
	s_mov_b64 s[36:37], 0
	s_cbranch_vccnz .LBB1321_69
; %bb.61:
	s_waitcnt lgkmcnt(0)
	v_mul_lo_u32 v18, v17, s26
	v_mul_lo_u32 v19, v16, s27
	v_mad_u64_u32 v[16:17], s[6:7], v16, s26, 0
	v_add3_u32 v17, v17, v19, v18
	v_lshlrev_b64 v[16:17], 1, v[16:17]
	v_mov_b32_e32 v19, s17
	v_add_co_u32_e32 v18, vcc, s16, v16
	v_addc_co_u32_e64 v19, s[6:7], v19, v17, vcc
	v_mov_b32_e32 v16, s17
	v_add_co_u32_e64 v20, s[6:7], s16, v12
	v_addc_co_u32_e64 v21, s[8:9], v16, v13, s[6:7]
	global_load_ushort v12, v[18:19], off
	global_load_ushort v16, v[20:21], off
	s_mov_b64 s[36:37], -1
	s_waitcnt vmcnt(0)
	v_cmp_eq_f16_e64 s[8:9], v12, v16
	s_and_saveexec_b64 s[38:39], s[8:9]
	s_cbranch_execz .LBB1321_68
; %bb.62:
	v_mov_b32_e32 v12, s17
	v_addc_co_u32_e64 v13, s[6:7], v13, v12, s[6:7]
	v_add_co_u32_e64 v12, s[6:7], 2, v20
	v_mov_b32_e32 v16, s17
	v_addc_co_u32_e64 v13, s[6:7], 0, v13, s[6:7]
	v_addc_co_u32_e32 v17, vcc, v17, v16, vcc
	v_add_co_u32_e32 v16, vcc, 2, v18
	s_add_u32 s6, s26, -1
	v_addc_co_u32_e32 v17, vcc, 0, v17, vcc
	s_addc_u32 s7, s27, -1
	s_mov_b64 s[8:9], 0
	s_mov_b64 s[40:41], 0
                                        ; implicit-def: $sgpr36_sgpr37
	s_branch .LBB1321_65
.LBB1321_63:                            ;   in Loop: Header=BB1321_65 Depth=1
	global_load_ushort v18, v[16:17], off
	global_load_ushort v19, v[12:13], off
	v_add_co_u32_e32 v12, vcc, 2, v12
	v_addc_co_u32_e32 v13, vcc, 0, v13, vcc
	v_add_co_u32_e32 v16, vcc, 2, v16
	v_addc_co_u32_e32 v17, vcc, 0, v17, vcc
	s_add_u32 s40, s40, 1
	s_addc_u32 s41, s41, 0
	s_andn2_b64 s[36:37], s[36:37], exec
	s_waitcnt vmcnt(0)
	v_cmp_neq_f16_e32 vcc, v18, v19
	s_and_b64 s[42:43], vcc, exec
	s_or_b64 s[36:37], s[36:37], s[42:43]
.LBB1321_64:                            ;   in Loop: Header=BB1321_65 Depth=1
	s_and_b64 s[42:43], exec, s[36:37]
	s_or_b64 s[8:9], s[42:43], s[8:9]
	v_pk_mov_b32 v[18:19], s[40:41], s[40:41] op_sel:[0,1]
	s_andn2_b64 exec, exec, s[8:9]
	s_cbranch_execz .LBB1321_67
.LBB1321_65:                            ; =>This Inner Loop Header: Depth=1
	s_or_b64 s[36:37], s[36:37], exec
	s_cmp_eq_u64 s[6:7], s[40:41]
	s_cbranch_scc0 .LBB1321_63
; %bb.66:                               ;   in Loop: Header=BB1321_65 Depth=1
                                        ; implicit-def: $vgpr12_vgpr13
                                        ; implicit-def: $vgpr16_vgpr17
	s_mov_b64 s[40:41], s[26:27]
	s_branch .LBB1321_64
.LBB1321_67:
	s_or_b64 exec, exec, s[8:9]
	v_cmp_gt_i64_e32 vcc, s[26:27], v[18:19]
	s_orn2_b64 s[36:37], vcc, exec
.LBB1321_68:
	s_or_b64 exec, exec, s[38:39]
.LBB1321_69:
	v_cndmask_b32_e64 v13, 0, 1, s[10:11]
	s_waitcnt lgkmcnt(0)
	v_or_b32_e32 v16, v28, v29
	s_and_b64 vcc, exec, s[14:15]
	s_cbranch_vccz .LBB1321_128
.LBB1321_70:
	v_cmp_gt_u32_e32 vcc, s48, v23
	s_mov_b64 s[14:15], 0
	s_mov_b64 s[10:11], 0
	s_and_saveexec_b64 s[36:37], vcc
	s_cbranch_execz .LBB1321_81
; %bb.71:
	s_and_b64 vcc, exec, s[4:5]
	s_mov_b64 s[38:39], 0
	s_cbranch_vccnz .LBB1321_80
; %bb.72:
	v_mul_lo_u32 v16, v5, s26
	v_mul_lo_u32 v17, v4, s27
	v_mad_u64_u32 v[12:13], s[6:7], v4, s26, 0
	v_add3_u32 v13, v13, v17, v16
	v_mul_lo_u32 v16, v11, s26
	v_mul_lo_u32 v17, v10, s27
	v_mad_u64_u32 v[20:21], s[6:7], v10, s26, 0
	v_add3_u32 v21, v21, v17, v16
	v_lshlrev_b64 v[16:17], 1, v[12:13]
	v_mov_b32_e32 v12, s17
	v_add_co_u32_e32 v18, vcc, s16, v16
	v_addc_co_u32_e64 v19, s[6:7], v12, v17, vcc
	v_lshlrev_b64 v[12:13], 1, v[20:21]
	v_mov_b32_e32 v16, s17
	v_add_co_u32_e64 v20, s[6:7], s16, v12
	v_addc_co_u32_e64 v21, s[8:9], v16, v13, s[6:7]
	global_load_ushort v12, v[18:19], off
	global_load_ushort v16, v[20:21], off
	s_mov_b64 s[38:39], -1
	s_waitcnt vmcnt(0)
	v_cmp_eq_f16_e64 s[8:9], v12, v16
	s_and_saveexec_b64 s[10:11], s[8:9]
	s_cbranch_execz .LBB1321_79
; %bb.73:
	v_mov_b32_e32 v12, s17
	v_addc_co_u32_e64 v13, s[6:7], v13, v12, s[6:7]
	v_add_co_u32_e64 v12, s[6:7], 2, v20
	v_mov_b32_e32 v16, s17
	v_addc_co_u32_e64 v13, s[6:7], 0, v13, s[6:7]
	v_addc_co_u32_e32 v17, vcc, v17, v16, vcc
	v_add_co_u32_e32 v16, vcc, 2, v18
	s_add_u32 s6, s26, -1
	v_addc_co_u32_e32 v17, vcc, 0, v17, vcc
	s_addc_u32 s7, s27, -1
	s_mov_b64 s[8:9], 0
	s_mov_b64 s[40:41], 0
                                        ; implicit-def: $sgpr38_sgpr39
	s_branch .LBB1321_76
.LBB1321_74:                            ;   in Loop: Header=BB1321_76 Depth=1
	global_load_ushort v18, v[16:17], off
	global_load_ushort v19, v[12:13], off
	v_add_co_u32_e32 v12, vcc, 2, v12
	v_addc_co_u32_e32 v13, vcc, 0, v13, vcc
	v_add_co_u32_e32 v16, vcc, 2, v16
	v_addc_co_u32_e32 v17, vcc, 0, v17, vcc
	s_add_u32 s40, s40, 1
	s_addc_u32 s41, s41, 0
	s_andn2_b64 s[38:39], s[38:39], exec
	s_waitcnt vmcnt(0)
	v_cmp_neq_f16_e32 vcc, v18, v19
	s_and_b64 s[42:43], vcc, exec
	s_or_b64 s[38:39], s[38:39], s[42:43]
.LBB1321_75:                            ;   in Loop: Header=BB1321_76 Depth=1
	s_and_b64 s[42:43], exec, s[38:39]
	s_or_b64 s[8:9], s[42:43], s[8:9]
	v_pk_mov_b32 v[18:19], s[40:41], s[40:41] op_sel:[0,1]
	s_andn2_b64 exec, exec, s[8:9]
	s_cbranch_execz .LBB1321_78
.LBB1321_76:                            ; =>This Inner Loop Header: Depth=1
	s_or_b64 s[38:39], s[38:39], exec
	s_cmp_eq_u64 s[6:7], s[40:41]
	s_cbranch_scc0 .LBB1321_74
; %bb.77:                               ;   in Loop: Header=BB1321_76 Depth=1
                                        ; implicit-def: $vgpr12_vgpr13
                                        ; implicit-def: $vgpr16_vgpr17
	s_mov_b64 s[40:41], s[26:27]
	s_branch .LBB1321_75
.LBB1321_78:
	s_or_b64 exec, exec, s[8:9]
	v_cmp_gt_i64_e32 vcc, s[26:27], v[18:19]
	s_orn2_b64 s[38:39], vcc, exec
.LBB1321_79:
	s_or_b64 exec, exec, s[10:11]
.LBB1321_80:
	s_and_b64 s[10:11], s[38:39], exec
.LBB1321_81:
	s_or_b64 exec, exec, s[36:37]
	v_cmp_gt_u32_e32 vcc, s48, v25
	s_and_saveexec_b64 s[36:37], vcc
	s_cbranch_execz .LBB1321_92
; %bb.82:
	s_and_b64 vcc, exec, s[4:5]
	s_mov_b64 s[38:39], 0
	s_cbranch_vccnz .LBB1321_91
; %bb.83:
	v_mul_lo_u32 v16, v3, s26
	v_mul_lo_u32 v17, v2, s27
	v_mad_u64_u32 v[12:13], s[6:7], v2, s26, 0
	v_add3_u32 v13, v13, v17, v16
	v_mul_lo_u32 v16, v5, s26
	v_mul_lo_u32 v17, v4, s27
	v_mad_u64_u32 v[20:21], s[6:7], v4, s26, 0
	v_add3_u32 v21, v21, v17, v16
	v_lshlrev_b64 v[16:17], 1, v[12:13]
	v_mov_b32_e32 v12, s17
	v_add_co_u32_e32 v18, vcc, s16, v16
	v_addc_co_u32_e64 v19, s[6:7], v12, v17, vcc
	v_lshlrev_b64 v[12:13], 1, v[20:21]
	v_mov_b32_e32 v16, s17
	v_add_co_u32_e64 v20, s[6:7], s16, v12
	v_addc_co_u32_e64 v21, s[8:9], v16, v13, s[6:7]
	global_load_ushort v12, v[18:19], off
	global_load_ushort v16, v[20:21], off
	s_mov_b64 s[38:39], -1
	s_waitcnt vmcnt(0)
	v_cmp_eq_f16_e64 s[8:9], v12, v16
	s_and_saveexec_b64 s[14:15], s[8:9]
	s_cbranch_execz .LBB1321_90
; %bb.84:
	v_mov_b32_e32 v12, s17
	v_addc_co_u32_e64 v13, s[6:7], v13, v12, s[6:7]
	v_add_co_u32_e64 v12, s[6:7], 2, v20
	v_mov_b32_e32 v16, s17
	v_addc_co_u32_e64 v13, s[6:7], 0, v13, s[6:7]
	v_addc_co_u32_e32 v17, vcc, v17, v16, vcc
	v_add_co_u32_e32 v16, vcc, 2, v18
	s_add_u32 s6, s26, -1
	v_addc_co_u32_e32 v17, vcc, 0, v17, vcc
	s_addc_u32 s7, s27, -1
	s_mov_b64 s[8:9], 0
	s_mov_b64 s[40:41], 0
                                        ; implicit-def: $sgpr38_sgpr39
	s_branch .LBB1321_87
.LBB1321_85:                            ;   in Loop: Header=BB1321_87 Depth=1
	global_load_ushort v18, v[16:17], off
	global_load_ushort v19, v[12:13], off
	v_add_co_u32_e32 v12, vcc, 2, v12
	v_addc_co_u32_e32 v13, vcc, 0, v13, vcc
	v_add_co_u32_e32 v16, vcc, 2, v16
	v_addc_co_u32_e32 v17, vcc, 0, v17, vcc
	s_add_u32 s40, s40, 1
	s_addc_u32 s41, s41, 0
	s_andn2_b64 s[38:39], s[38:39], exec
	s_waitcnt vmcnt(0)
	v_cmp_neq_f16_e32 vcc, v18, v19
	s_and_b64 s[42:43], vcc, exec
	s_or_b64 s[38:39], s[38:39], s[42:43]
.LBB1321_86:                            ;   in Loop: Header=BB1321_87 Depth=1
	s_and_b64 s[42:43], exec, s[38:39]
	s_or_b64 s[8:9], s[42:43], s[8:9]
	v_pk_mov_b32 v[18:19], s[40:41], s[40:41] op_sel:[0,1]
	s_andn2_b64 exec, exec, s[8:9]
	s_cbranch_execz .LBB1321_89
.LBB1321_87:                            ; =>This Inner Loop Header: Depth=1
	s_or_b64 s[38:39], s[38:39], exec
	s_cmp_eq_u64 s[6:7], s[40:41]
	s_cbranch_scc0 .LBB1321_85
; %bb.88:                               ;   in Loop: Header=BB1321_87 Depth=1
                                        ; implicit-def: $vgpr12_vgpr13
                                        ; implicit-def: $vgpr16_vgpr17
	s_mov_b64 s[40:41], s[26:27]
	s_branch .LBB1321_86
.LBB1321_89:
	s_or_b64 exec, exec, s[8:9]
	v_cmp_gt_i64_e32 vcc, s[26:27], v[18:19]
	s_orn2_b64 s[38:39], vcc, exec
.LBB1321_90:
	s_or_b64 exec, exec, s[14:15]
.LBB1321_91:
	s_and_b64 s[14:15], s[38:39], exec
.LBB1321_92:
	s_or_b64 exec, exec, s[36:37]
	v_cmp_gt_u32_e32 vcc, s48, v22
	s_mov_b64 s[36:37], 0
	s_mov_b64 s[38:39], 0
	s_and_saveexec_b64 s[40:41], vcc
	s_cbranch_execz .LBB1321_103
; %bb.93:
	s_and_b64 vcc, exec, s[4:5]
	s_mov_b64 s[42:43], 0
	s_cbranch_vccnz .LBB1321_102
; %bb.94:
	v_mul_lo_u32 v16, v9, s26
	v_mul_lo_u32 v17, v8, s27
	v_mad_u64_u32 v[12:13], s[6:7], v8, s26, 0
	v_add3_u32 v13, v13, v17, v16
	v_mul_lo_u32 v16, v3, s26
	v_mul_lo_u32 v17, v2, s27
	v_mad_u64_u32 v[20:21], s[6:7], v2, s26, 0
	v_add3_u32 v21, v21, v17, v16
	v_lshlrev_b64 v[16:17], 1, v[12:13]
	v_mov_b32_e32 v12, s17
	v_add_co_u32_e32 v18, vcc, s16, v16
	v_addc_co_u32_e64 v19, s[6:7], v12, v17, vcc
	v_lshlrev_b64 v[12:13], 1, v[20:21]
	v_mov_b32_e32 v16, s17
	v_add_co_u32_e64 v20, s[6:7], s16, v12
	v_addc_co_u32_e64 v21, s[8:9], v16, v13, s[6:7]
	global_load_ushort v12, v[18:19], off
	global_load_ushort v16, v[20:21], off
	s_mov_b64 s[42:43], -1
	s_waitcnt vmcnt(0)
	v_cmp_eq_f16_e64 s[8:9], v12, v16
	s_and_saveexec_b64 s[38:39], s[8:9]
	s_cbranch_execz .LBB1321_101
; %bb.95:
	v_mov_b32_e32 v12, s17
	v_addc_co_u32_e64 v13, s[6:7], v13, v12, s[6:7]
	v_add_co_u32_e64 v12, s[6:7], 2, v20
	v_mov_b32_e32 v16, s17
	v_addc_co_u32_e64 v13, s[6:7], 0, v13, s[6:7]
	v_addc_co_u32_e32 v17, vcc, v17, v16, vcc
	v_add_co_u32_e32 v16, vcc, 2, v18
	s_add_u32 s6, s26, -1
	v_addc_co_u32_e32 v17, vcc, 0, v17, vcc
	s_addc_u32 s7, s27, -1
	s_mov_b64 s[8:9], 0
	s_mov_b64 s[44:45], 0
                                        ; implicit-def: $sgpr42_sgpr43
	s_branch .LBB1321_98
.LBB1321_96:                            ;   in Loop: Header=BB1321_98 Depth=1
	global_load_ushort v18, v[16:17], off
	global_load_ushort v19, v[12:13], off
	v_add_co_u32_e32 v12, vcc, 2, v12
	v_addc_co_u32_e32 v13, vcc, 0, v13, vcc
	v_add_co_u32_e32 v16, vcc, 2, v16
	v_addc_co_u32_e32 v17, vcc, 0, v17, vcc
	s_add_u32 s44, s44, 1
	s_addc_u32 s45, s45, 0
	s_andn2_b64 s[42:43], s[42:43], exec
	s_waitcnt vmcnt(0)
	v_cmp_neq_f16_e32 vcc, v18, v19
	s_and_b64 s[46:47], vcc, exec
	s_or_b64 s[42:43], s[42:43], s[46:47]
.LBB1321_97:                            ;   in Loop: Header=BB1321_98 Depth=1
	s_and_b64 s[46:47], exec, s[42:43]
	s_or_b64 s[8:9], s[46:47], s[8:9]
	v_pk_mov_b32 v[18:19], s[44:45], s[44:45] op_sel:[0,1]
	s_andn2_b64 exec, exec, s[8:9]
	s_cbranch_execz .LBB1321_100
.LBB1321_98:                            ; =>This Inner Loop Header: Depth=1
	s_or_b64 s[42:43], s[42:43], exec
	s_cmp_eq_u64 s[6:7], s[44:45]
	s_cbranch_scc0 .LBB1321_96
; %bb.99:                               ;   in Loop: Header=BB1321_98 Depth=1
                                        ; implicit-def: $vgpr12_vgpr13
                                        ; implicit-def: $vgpr16_vgpr17
	s_mov_b64 s[44:45], s[26:27]
	s_branch .LBB1321_97
.LBB1321_100:
	s_or_b64 exec, exec, s[8:9]
	v_cmp_gt_i64_e32 vcc, s[26:27], v[18:19]
	s_orn2_b64 s[42:43], vcc, exec
.LBB1321_101:
	s_or_b64 exec, exec, s[38:39]
.LBB1321_102:
	s_and_b64 s[38:39], s[42:43], exec
.LBB1321_103:
	s_or_b64 exec, exec, s[40:41]
	v_cmp_gt_u32_e32 vcc, s48, v24
	s_and_saveexec_b64 s[40:41], vcc
	s_cbranch_execz .LBB1321_114
; %bb.104:
	s_and_b64 vcc, exec, s[4:5]
	s_mov_b64 s[42:43], 0
	s_cbranch_vccnz .LBB1321_113
; %bb.105:
	v_mul_lo_u32 v16, v7, s26
	v_mul_lo_u32 v17, v6, s27
	v_mad_u64_u32 v[12:13], s[6:7], v6, s26, 0
	v_add3_u32 v13, v13, v17, v16
	v_mul_lo_u32 v16, v9, s26
	v_mul_lo_u32 v17, v8, s27
	v_mad_u64_u32 v[20:21], s[6:7], v8, s26, 0
	v_add3_u32 v21, v21, v17, v16
	v_lshlrev_b64 v[16:17], 1, v[12:13]
	v_mov_b32_e32 v12, s17
	v_add_co_u32_e32 v18, vcc, s16, v16
	v_addc_co_u32_e64 v19, s[6:7], v12, v17, vcc
	v_lshlrev_b64 v[12:13], 1, v[20:21]
	v_mov_b32_e32 v16, s17
	v_add_co_u32_e64 v20, s[6:7], s16, v12
	v_addc_co_u32_e64 v21, s[8:9], v16, v13, s[6:7]
	global_load_ushort v12, v[18:19], off
	global_load_ushort v16, v[20:21], off
	s_mov_b64 s[42:43], -1
	s_waitcnt vmcnt(0)
	v_cmp_eq_f16_e64 s[8:9], v12, v16
	s_and_saveexec_b64 s[36:37], s[8:9]
	s_cbranch_execz .LBB1321_112
; %bb.106:
	v_mov_b32_e32 v12, s17
	v_addc_co_u32_e64 v13, s[6:7], v13, v12, s[6:7]
	v_add_co_u32_e64 v12, s[6:7], 2, v20
	v_mov_b32_e32 v16, s17
	v_addc_co_u32_e64 v13, s[6:7], 0, v13, s[6:7]
	v_addc_co_u32_e32 v17, vcc, v17, v16, vcc
	v_add_co_u32_e32 v16, vcc, 2, v18
	s_add_u32 s6, s26, -1
	v_addc_co_u32_e32 v17, vcc, 0, v17, vcc
	s_addc_u32 s7, s27, -1
	s_mov_b64 s[8:9], 0
	s_mov_b64 s[44:45], 0
                                        ; implicit-def: $sgpr42_sgpr43
	s_branch .LBB1321_109
.LBB1321_107:                           ;   in Loop: Header=BB1321_109 Depth=1
	global_load_ushort v18, v[16:17], off
	global_load_ushort v19, v[12:13], off
	v_add_co_u32_e32 v12, vcc, 2, v12
	v_addc_co_u32_e32 v13, vcc, 0, v13, vcc
	v_add_co_u32_e32 v16, vcc, 2, v16
	v_addc_co_u32_e32 v17, vcc, 0, v17, vcc
	s_add_u32 s44, s44, 1
	s_addc_u32 s45, s45, 0
	s_andn2_b64 s[42:43], s[42:43], exec
	s_waitcnt vmcnt(0)
	v_cmp_neq_f16_e32 vcc, v18, v19
	s_and_b64 s[46:47], vcc, exec
	s_or_b64 s[42:43], s[42:43], s[46:47]
.LBB1321_108:                           ;   in Loop: Header=BB1321_109 Depth=1
	s_and_b64 s[46:47], exec, s[42:43]
	s_or_b64 s[8:9], s[46:47], s[8:9]
	v_pk_mov_b32 v[18:19], s[44:45], s[44:45] op_sel:[0,1]
	s_andn2_b64 exec, exec, s[8:9]
	s_cbranch_execz .LBB1321_111
.LBB1321_109:                           ; =>This Inner Loop Header: Depth=1
	s_or_b64 s[42:43], s[42:43], exec
	s_cmp_eq_u64 s[6:7], s[44:45]
	s_cbranch_scc0 .LBB1321_107
; %bb.110:                              ;   in Loop: Header=BB1321_109 Depth=1
                                        ; implicit-def: $vgpr12_vgpr13
                                        ; implicit-def: $vgpr16_vgpr17
	s_mov_b64 s[44:45], s[26:27]
	s_branch .LBB1321_108
.LBB1321_111:
	s_or_b64 exec, exec, s[8:9]
	v_cmp_gt_i64_e32 vcc, s[26:27], v[18:19]
	s_orn2_b64 s[42:43], vcc, exec
.LBB1321_112:
	s_or_b64 exec, exec, s[36:37]
.LBB1321_113:
	s_and_b64 s[36:37], s[42:43], exec
.LBB1321_114:
	s_or_b64 exec, exec, s[40:41]
	s_waitcnt lgkmcnt(0)
	s_barrier
	s_and_saveexec_b64 s[6:7], s[2:3]
	s_cbranch_execz .LBB1321_116
; %bb.115:
	v_add_u32_e32 v12, -8, v27
	s_waitcnt vmcnt(0)
	ds_read_b64 v[14:15], v12
.LBB1321_116:
	s_or_b64 exec, exec, s[6:7]
	v_cndmask_b32_e64 v13, 0, 1, s[14:15]
	v_cndmask_b32_e64 v12, 0, 1, s[38:39]
	;; [unrolled: 1-line block ×3, first 2 shown]
	v_lshlrev_b16_e32 v13, 8, v13
	v_cmp_gt_u32_e32 vcc, s48, v1
	v_lshlrev_b16_e32 v20, 8, v16
	v_or_b32_sdwa v21, v12, v13 dst_sel:WORD_1 dst_unused:UNUSED_PAD src0_sel:DWORD src1_sel:DWORD
	s_mov_b64 s[36:37], 0
	s_and_saveexec_b64 s[8:9], vcc
	s_cbranch_execz .LBB1321_127
; %bb.117:
	s_and_b64 vcc, exec, s[4:5]
	s_cbranch_vccnz .LBB1321_126
; %bb.118:
	s_waitcnt vmcnt(0) lgkmcnt(0)
	v_mul_lo_u32 v15, v15, s26
	v_mul_lo_u32 v16, v14, s27
	v_mad_u64_u32 v[12:13], s[4:5], v14, s26, 0
	v_add3_u32 v13, v13, v16, v15
	v_mul_lo_u32 v14, v7, s26
	v_mul_lo_u32 v15, v6, s27
	v_mad_u64_u32 v[18:19], s[4:5], v6, s26, 0
	v_add3_u32 v19, v19, v15, v14
	v_lshlrev_b64 v[14:15], 1, v[12:13]
	v_mov_b32_e32 v12, s17
	v_add_co_u32_e32 v16, vcc, s16, v14
	v_addc_co_u32_e64 v17, s[4:5], v12, v15, vcc
	v_lshlrev_b64 v[12:13], 1, v[18:19]
	v_mov_b32_e32 v14, s17
	v_add_co_u32_e64 v18, s[4:5], s16, v12
	v_addc_co_u32_e64 v19, s[6:7], v14, v13, s[4:5]
	global_load_ushort v12, v[16:17], off
	global_load_ushort v14, v[18:19], off
	s_mov_b64 s[36:37], -1
	s_waitcnt vmcnt(0)
	v_cmp_eq_f16_e64 s[6:7], v12, v14
	s_and_saveexec_b64 s[14:15], s[6:7]
	s_cbranch_execz .LBB1321_125
; %bb.119:
	v_mov_b32_e32 v12, s17
	v_addc_co_u32_e64 v13, s[4:5], v13, v12, s[4:5]
	v_add_co_u32_e64 v12, s[4:5], 2, v18
	v_mov_b32_e32 v14, s17
	v_addc_co_u32_e64 v13, s[4:5], 0, v13, s[4:5]
	v_addc_co_u32_e32 v15, vcc, v15, v14, vcc
	v_add_co_u32_e32 v14, vcc, 2, v16
	s_add_u32 s4, s26, -1
	v_addc_co_u32_e32 v15, vcc, 0, v15, vcc
	s_addc_u32 s5, s27, -1
	s_mov_b64 s[6:7], 0
	s_mov_b64 s[38:39], 0
                                        ; implicit-def: $sgpr36_sgpr37
	s_branch .LBB1321_122
.LBB1321_120:                           ;   in Loop: Header=BB1321_122 Depth=1
	global_load_ushort v16, v[14:15], off
	global_load_ushort v17, v[12:13], off
	v_add_co_u32_e32 v12, vcc, 2, v12
	v_addc_co_u32_e32 v13, vcc, 0, v13, vcc
	v_add_co_u32_e32 v14, vcc, 2, v14
	v_addc_co_u32_e32 v15, vcc, 0, v15, vcc
	s_add_u32 s38, s38, 1
	s_addc_u32 s39, s39, 0
	s_andn2_b64 s[36:37], s[36:37], exec
	s_waitcnt vmcnt(0)
	v_cmp_neq_f16_e32 vcc, v16, v17
	s_and_b64 s[40:41], vcc, exec
	s_or_b64 s[36:37], s[36:37], s[40:41]
.LBB1321_121:                           ;   in Loop: Header=BB1321_122 Depth=1
	s_and_b64 s[40:41], exec, s[36:37]
	s_or_b64 s[6:7], s[40:41], s[6:7]
	v_pk_mov_b32 v[16:17], s[38:39], s[38:39] op_sel:[0,1]
	s_andn2_b64 exec, exec, s[6:7]
	s_cbranch_execz .LBB1321_124
.LBB1321_122:                           ; =>This Inner Loop Header: Depth=1
	s_or_b64 s[36:37], s[36:37], exec
	s_cmp_eq_u64 s[4:5], s[38:39]
	s_cbranch_scc0 .LBB1321_120
; %bb.123:                              ;   in Loop: Header=BB1321_122 Depth=1
                                        ; implicit-def: $vgpr12_vgpr13
                                        ; implicit-def: $vgpr14_vgpr15
	s_mov_b64 s[38:39], s[26:27]
	s_branch .LBB1321_121
.LBB1321_124:
	s_or_b64 exec, exec, s[6:7]
	v_cmp_gt_i64_e32 vcc, s[26:27], v[16:17]
	s_orn2_b64 s[36:37], vcc, exec
.LBB1321_125:
	s_or_b64 exec, exec, s[14:15]
.LBB1321_126:
	s_and_b64 s[36:37], s[36:37], exec
.LBB1321_127:
	s_or_b64 exec, exec, s[8:9]
	v_cndmask_b32_e64 v13, 0, 1, s[10:11]
	v_or_b32_e32 v16, v20, v21
.LBB1321_128:
	s_mov_b64 s[14:15], -1
	s_cbranch_execnz .LBB1321_237
.LBB1321_129:
	v_lshlrev_b32_e32 v12, 5, v0
	v_sub_u32_e32 v26, v26, v12
	s_mov_b64 s[36:37], 0
	v_cmp_gt_i64_e64 s[10:11], s[26:27], 0
	s_and_b64 vcc, exec, s[30:31]
	ds_write_b64 v26, v[10:11]
	s_cbranch_vccz .LBB1321_137
; %bb.130:
	s_waitcnt vmcnt(0) lgkmcnt(1)
	v_mul_lo_u32 v14, v5, s26
	v_mul_lo_u32 v15, v4, s27
	v_mad_u64_u32 v[12:13], s[4:5], v4, s26, 0
	v_add3_u32 v13, v13, v15, v14
	v_cndmask_b32_e64 v14, 0, 1, s[10:11]
	v_cmp_ne_u32_e64 s[4:5], 1, v14
	s_andn2_b64 vcc, exec, s[10:11]
	v_lshlrev_b64 v[12:13], 1, v[12:13]
	s_cbranch_vccnz .LBB1321_140
; %bb.131:
	v_mul_lo_u32 v16, v11, s26
	v_mul_lo_u32 v17, v10, s27
	v_mad_u64_u32 v[14:15], s[6:7], v10, s26, 0
	v_add3_u32 v15, v15, v17, v16
	v_mov_b32_e32 v17, s17
	v_add_co_u32_e32 v16, vcc, s16, v12
	v_addc_co_u32_e64 v17, s[6:7], v17, v13, vcc
	v_lshlrev_b64 v[14:15], 1, v[14:15]
	v_mov_b32_e32 v19, s17
	v_add_co_u32_e64 v18, s[6:7], s16, v14
	v_addc_co_u32_e64 v19, s[8:9], v19, v15, s[6:7]
	global_load_ushort v14, v[16:17], off
	global_load_ushort v20, v[18:19], off
	s_mov_b64 s[36:37], -1
	s_waitcnt vmcnt(0)
	v_cmp_eq_f16_e64 s[8:9], v14, v20
	s_and_saveexec_b64 s[38:39], s[8:9]
	s_cbranch_execz .LBB1321_139
; %bb.132:
	v_mov_b32_e32 v14, s17
	v_addc_co_u32_e64 v15, s[6:7], v15, v14, s[6:7]
	v_add_co_u32_e64 v14, s[6:7], 2, v18
	v_mov_b32_e32 v17, s17
	v_addc_co_u32_e64 v15, s[6:7], 0, v15, s[6:7]
	v_addc_co_u32_e32 v17, vcc, v13, v17, vcc
	v_add_co_u32_e32 v16, vcc, 2, v16
	s_add_u32 s6, s26, -1
	v_addc_co_u32_e32 v17, vcc, 0, v17, vcc
	s_addc_u32 s7, s27, -1
	s_mov_b64 s[8:9], 0
	s_mov_b64 s[40:41], 0
                                        ; implicit-def: $sgpr36_sgpr37
	s_branch .LBB1321_135
.LBB1321_133:                           ;   in Loop: Header=BB1321_135 Depth=1
	global_load_ushort v18, v[16:17], off
	global_load_ushort v19, v[14:15], off
	v_add_co_u32_e32 v14, vcc, 2, v14
	v_addc_co_u32_e32 v15, vcc, 0, v15, vcc
	v_add_co_u32_e32 v16, vcc, 2, v16
	v_addc_co_u32_e32 v17, vcc, 0, v17, vcc
	s_add_u32 s40, s40, 1
	s_addc_u32 s41, s41, 0
	s_andn2_b64 s[36:37], s[36:37], exec
	s_waitcnt vmcnt(0)
	v_cmp_neq_f16_e32 vcc, v18, v19
	s_and_b64 s[42:43], vcc, exec
	s_or_b64 s[36:37], s[36:37], s[42:43]
.LBB1321_134:                           ;   in Loop: Header=BB1321_135 Depth=1
	s_and_b64 s[42:43], exec, s[36:37]
	s_or_b64 s[8:9], s[42:43], s[8:9]
	v_pk_mov_b32 v[18:19], s[40:41], s[40:41] op_sel:[0,1]
	s_andn2_b64 exec, exec, s[8:9]
	s_cbranch_execz .LBB1321_138
.LBB1321_135:                           ; =>This Inner Loop Header: Depth=1
	s_or_b64 s[36:37], s[36:37], exec
	s_cmp_eq_u64 s[6:7], s[40:41]
	s_cbranch_scc0 .LBB1321_133
; %bb.136:                              ;   in Loop: Header=BB1321_135 Depth=1
                                        ; implicit-def: $vgpr14_vgpr15
                                        ; implicit-def: $vgpr16_vgpr17
	s_mov_b64 s[40:41], s[26:27]
	s_branch .LBB1321_134
.LBB1321_137:
                                        ; implicit-def: $sgpr36_sgpr37
                                        ; implicit-def: $vgpr13
                                        ; implicit-def: $vgpr16
	s_cbranch_execnz .LBB1321_179
	s_branch .LBB1321_237
.LBB1321_138:
	s_or_b64 exec, exec, s[8:9]
	v_cmp_gt_i64_e32 vcc, s[26:27], v[18:19]
	s_orn2_b64 s[36:37], vcc, exec
.LBB1321_139:
	s_or_b64 exec, exec, s[38:39]
.LBB1321_140:
	v_mul_lo_u32 v16, v3, s26
	v_mul_lo_u32 v17, v2, s27
	v_mad_u64_u32 v[14:15], s[6:7], v2, s26, 0
	v_add3_u32 v15, v15, v17, v16
	s_mov_b64 s[38:39], 0
	s_and_b64 vcc, exec, s[4:5]
	v_lshlrev_b64 v[14:15], 1, v[14:15]
	s_mov_b64 s[40:41], 0
	s_cbranch_vccnz .LBB1321_149
; %bb.141:
	v_mov_b32_e32 v17, s17
	v_add_co_u32_e32 v16, vcc, s16, v14
	v_addc_co_u32_e64 v17, s[6:7], v17, v15, vcc
	v_mov_b32_e32 v19, s17
	v_add_co_u32_e64 v18, s[6:7], s16, v12
	v_addc_co_u32_e64 v19, s[8:9], v19, v13, s[6:7]
	global_load_ushort v12, v[16:17], off
	global_load_ushort v20, v[18:19], off
	s_mov_b64 s[40:41], -1
	s_waitcnt vmcnt(0)
	v_cmp_eq_f16_e64 s[8:9], v12, v20
	s_and_saveexec_b64 s[42:43], s[8:9]
	s_cbranch_execz .LBB1321_148
; %bb.142:
	v_mov_b32_e32 v12, s17
	v_addc_co_u32_e64 v13, s[6:7], v13, v12, s[6:7]
	v_add_co_u32_e64 v12, s[6:7], 2, v18
	v_mov_b32_e32 v17, s17
	v_addc_co_u32_e64 v13, s[6:7], 0, v13, s[6:7]
	v_addc_co_u32_e32 v17, vcc, v15, v17, vcc
	v_add_co_u32_e32 v16, vcc, 2, v16
	s_add_u32 s6, s26, -1
	v_addc_co_u32_e32 v17, vcc, 0, v17, vcc
	s_addc_u32 s7, s27, -1
	s_mov_b64 s[8:9], 0
	s_mov_b64 s[44:45], 0
                                        ; implicit-def: $sgpr40_sgpr41
	s_branch .LBB1321_145
.LBB1321_143:                           ;   in Loop: Header=BB1321_145 Depth=1
	global_load_ushort v18, v[16:17], off
	global_load_ushort v19, v[12:13], off
	v_add_co_u32_e32 v12, vcc, 2, v12
	v_addc_co_u32_e32 v13, vcc, 0, v13, vcc
	v_add_co_u32_e32 v16, vcc, 2, v16
	v_addc_co_u32_e32 v17, vcc, 0, v17, vcc
	s_add_u32 s44, s44, 1
	s_addc_u32 s45, s45, 0
	s_andn2_b64 s[40:41], s[40:41], exec
	s_waitcnt vmcnt(0)
	v_cmp_neq_f16_e32 vcc, v18, v19
	s_and_b64 s[46:47], vcc, exec
	s_or_b64 s[40:41], s[40:41], s[46:47]
.LBB1321_144:                           ;   in Loop: Header=BB1321_145 Depth=1
	s_and_b64 s[46:47], exec, s[40:41]
	s_or_b64 s[8:9], s[46:47], s[8:9]
	v_pk_mov_b32 v[18:19], s[44:45], s[44:45] op_sel:[0,1]
	s_andn2_b64 exec, exec, s[8:9]
	s_cbranch_execz .LBB1321_147
.LBB1321_145:                           ; =>This Inner Loop Header: Depth=1
	s_or_b64 s[40:41], s[40:41], exec
	s_cmp_eq_u64 s[6:7], s[44:45]
	s_cbranch_scc0 .LBB1321_143
; %bb.146:                              ;   in Loop: Header=BB1321_145 Depth=1
                                        ; implicit-def: $vgpr12_vgpr13
                                        ; implicit-def: $vgpr16_vgpr17
	s_mov_b64 s[44:45], s[26:27]
	s_branch .LBB1321_144
.LBB1321_147:
	s_or_b64 exec, exec, s[8:9]
	v_cmp_gt_i64_e32 vcc, s[26:27], v[18:19]
	s_orn2_b64 s[40:41], vcc, exec
.LBB1321_148:
	s_or_b64 exec, exec, s[42:43]
.LBB1321_149:
	v_mul_lo_u32 v16, v9, s26
	v_mul_lo_u32 v17, v8, s27
	v_mad_u64_u32 v[12:13], s[6:7], v8, s26, 0
	v_add3_u32 v13, v13, v17, v16
	s_and_b64 vcc, exec, s[4:5]
	v_lshlrev_b64 v[12:13], 1, v[12:13]
	s_cbranch_vccnz .LBB1321_158
; %bb.150:
	v_mov_b32_e32 v17, s17
	v_add_co_u32_e32 v16, vcc, s16, v12
	v_addc_co_u32_e64 v17, s[6:7], v17, v13, vcc
	v_mov_b32_e32 v19, s17
	v_add_co_u32_e64 v18, s[6:7], s16, v14
	v_addc_co_u32_e64 v19, s[8:9], v19, v15, s[6:7]
	global_load_ushort v14, v[16:17], off
	global_load_ushort v20, v[18:19], off
	s_mov_b64 s[38:39], -1
	s_waitcnt vmcnt(0)
	v_cmp_eq_f16_e64 s[8:9], v14, v20
	s_and_saveexec_b64 s[42:43], s[8:9]
	s_cbranch_execz .LBB1321_157
; %bb.151:
	v_mov_b32_e32 v14, s17
	v_addc_co_u32_e64 v15, s[6:7], v15, v14, s[6:7]
	v_add_co_u32_e64 v14, s[6:7], 2, v18
	v_mov_b32_e32 v17, s17
	v_addc_co_u32_e64 v15, s[6:7], 0, v15, s[6:7]
	v_addc_co_u32_e32 v17, vcc, v13, v17, vcc
	v_add_co_u32_e32 v16, vcc, 2, v16
	s_add_u32 s6, s26, -1
	v_addc_co_u32_e32 v17, vcc, 0, v17, vcc
	s_addc_u32 s7, s27, -1
	s_mov_b64 s[8:9], 0
	s_mov_b64 s[44:45], 0
                                        ; implicit-def: $sgpr38_sgpr39
	s_branch .LBB1321_154
.LBB1321_152:                           ;   in Loop: Header=BB1321_154 Depth=1
	global_load_ushort v18, v[16:17], off
	global_load_ushort v19, v[14:15], off
	v_add_co_u32_e32 v14, vcc, 2, v14
	v_addc_co_u32_e32 v15, vcc, 0, v15, vcc
	v_add_co_u32_e32 v16, vcc, 2, v16
	v_addc_co_u32_e32 v17, vcc, 0, v17, vcc
	s_add_u32 s44, s44, 1
	s_addc_u32 s45, s45, 0
	s_andn2_b64 s[38:39], s[38:39], exec
	s_waitcnt vmcnt(0)
	v_cmp_neq_f16_e32 vcc, v18, v19
	s_and_b64 s[46:47], vcc, exec
	s_or_b64 s[38:39], s[38:39], s[46:47]
.LBB1321_153:                           ;   in Loop: Header=BB1321_154 Depth=1
	s_and_b64 s[46:47], exec, s[38:39]
	s_or_b64 s[8:9], s[46:47], s[8:9]
	v_pk_mov_b32 v[18:19], s[44:45], s[44:45] op_sel:[0,1]
	s_andn2_b64 exec, exec, s[8:9]
	s_cbranch_execz .LBB1321_156
.LBB1321_154:                           ; =>This Inner Loop Header: Depth=1
	s_or_b64 s[38:39], s[38:39], exec
	s_cmp_eq_u64 s[6:7], s[44:45]
	s_cbranch_scc0 .LBB1321_152
; %bb.155:                              ;   in Loop: Header=BB1321_154 Depth=1
                                        ; implicit-def: $vgpr14_vgpr15
                                        ; implicit-def: $vgpr16_vgpr17
	s_mov_b64 s[44:45], s[26:27]
	s_branch .LBB1321_153
.LBB1321_156:
	s_or_b64 exec, exec, s[8:9]
	v_cmp_gt_i64_e32 vcc, s[26:27], v[18:19]
	s_orn2_b64 s[38:39], vcc, exec
.LBB1321_157:
	s_or_b64 exec, exec, s[42:43]
.LBB1321_158:
	v_mul_lo_u32 v16, v7, s26
	v_mul_lo_u32 v17, v6, s27
	v_mad_u64_u32 v[14:15], s[6:7], v6, s26, 0
	v_add3_u32 v15, v15, v17, v16
	s_and_b64 vcc, exec, s[4:5]
	s_mov_b64 s[44:45], 0
	s_cbranch_vccnz .LBB1321_167
; %bb.159:
	v_lshlrev_b64 v[16:17], 1, v[14:15]
	v_mov_b32_e32 v19, s17
	v_add_co_u32_e32 v18, vcc, s16, v16
	v_addc_co_u32_e64 v19, s[6:7], v19, v17, vcc
	v_mov_b32_e32 v16, s17
	v_add_co_u32_e64 v20, s[6:7], s16, v12
	v_addc_co_u32_e64 v21, s[8:9], v16, v13, s[6:7]
	global_load_ushort v12, v[18:19], off
	global_load_ushort v16, v[20:21], off
	s_mov_b64 s[44:45], -1
	s_waitcnt vmcnt(0)
	v_cmp_eq_f16_e64 s[8:9], v12, v16
	s_and_saveexec_b64 s[42:43], s[8:9]
	s_cbranch_execz .LBB1321_166
; %bb.160:
	v_mov_b32_e32 v12, s17
	v_addc_co_u32_e64 v13, s[6:7], v13, v12, s[6:7]
	v_add_co_u32_e64 v12, s[6:7], 2, v20
	v_mov_b32_e32 v16, s17
	v_addc_co_u32_e64 v13, s[6:7], 0, v13, s[6:7]
	v_addc_co_u32_e32 v17, vcc, v17, v16, vcc
	v_add_co_u32_e32 v16, vcc, 2, v18
	s_add_u32 s6, s26, -1
	v_addc_co_u32_e32 v17, vcc, 0, v17, vcc
	s_addc_u32 s7, s27, -1
	s_mov_b64 s[8:9], 0
	s_mov_b64 s[46:47], 0
                                        ; implicit-def: $sgpr44_sgpr45
	s_branch .LBB1321_163
.LBB1321_161:                           ;   in Loop: Header=BB1321_163 Depth=1
	global_load_ushort v18, v[16:17], off
	global_load_ushort v19, v[12:13], off
	v_add_co_u32_e32 v12, vcc, 2, v12
	v_addc_co_u32_e32 v13, vcc, 0, v13, vcc
	v_add_co_u32_e32 v16, vcc, 2, v16
	v_addc_co_u32_e32 v17, vcc, 0, v17, vcc
	s_add_u32 s46, s46, 1
	s_addc_u32 s47, s47, 0
	s_andn2_b64 s[44:45], s[44:45], exec
	s_waitcnt vmcnt(0)
	v_cmp_neq_f16_e32 vcc, v18, v19
	s_and_b64 s[50:51], vcc, exec
	s_or_b64 s[44:45], s[44:45], s[50:51]
.LBB1321_162:                           ;   in Loop: Header=BB1321_163 Depth=1
	s_and_b64 s[50:51], exec, s[44:45]
	s_or_b64 s[8:9], s[50:51], s[8:9]
	v_pk_mov_b32 v[18:19], s[46:47], s[46:47] op_sel:[0,1]
	s_andn2_b64 exec, exec, s[8:9]
	s_cbranch_execz .LBB1321_165
.LBB1321_163:                           ; =>This Inner Loop Header: Depth=1
	s_or_b64 s[44:45], s[44:45], exec
	s_cmp_eq_u64 s[6:7], s[46:47]
	s_cbranch_scc0 .LBB1321_161
; %bb.164:                              ;   in Loop: Header=BB1321_163 Depth=1
                                        ; implicit-def: $vgpr12_vgpr13
                                        ; implicit-def: $vgpr16_vgpr17
	s_mov_b64 s[46:47], s[26:27]
	s_branch .LBB1321_162
.LBB1321_165:
	s_or_b64 exec, exec, s[8:9]
	v_cmp_gt_i64_e32 vcc, s[26:27], v[18:19]
	s_orn2_b64 s[44:45], vcc, exec
.LBB1321_166:
	s_or_b64 exec, exec, s[42:43]
.LBB1321_167:
	v_cndmask_b32_e64 v13, 0, 1, s[40:41]
	v_cndmask_b32_e64 v16, 0, 1, s[44:45]
	;; [unrolled: 1-line block ×3, first 2 shown]
	v_lshlrev_b16_e32 v16, 8, v16
	v_lshlrev_b16_e32 v13, 8, v13
	v_or_b32_e32 v16, 1, v16
	v_or_b32_sdwa v12, v12, v13 dst_sel:WORD_1 dst_unused:UNUSED_PAD src0_sel:DWORD src1_sel:DWORD
	v_or_b32_sdwa v12, v16, v12 dst_sel:DWORD dst_unused:UNUSED_PAD src0_sel:WORD_0 src1_sel:DWORD
	v_cndmask_b32_e64 v13, 0, 1, s[36:37]
	s_waitcnt lgkmcnt(0)
	s_barrier
	s_waitcnt lgkmcnt(0)
                                        ; implicit-def: $sgpr36_sgpr37
                                        ; implicit-def: $vgpr16
	s_and_saveexec_b64 s[6:7], s[2:3]
	s_xor_b64 s[8:9], exec, s[6:7]
	s_cbranch_execz .LBB1321_178
; %bb.168:
	s_mov_b32 s42, 0x3020104
	s_and_b64 vcc, exec, s[4:5]
	s_mov_b64 s[38:39], 0
	s_cbranch_vccnz .LBB1321_177
; %bb.169:
	v_add_u32_e32 v16, -8, v26
	ds_read_b64 v[16:17], v16
	v_mov_b32_e32 v19, s17
	v_lshlrev_b64 v[14:15], 1, v[14:15]
	s_mov_b64 s[38:39], -1
	s_waitcnt lgkmcnt(0)
	v_mul_lo_u32 v18, v17, s26
	v_mul_lo_u32 v20, v16, s27
	v_mad_u64_u32 v[16:17], s[4:5], v16, s26, 0
	v_add3_u32 v17, v17, v20, v18
	v_lshlrev_b64 v[16:17], 1, v[16:17]
	v_add_co_u32_e32 v18, vcc, s16, v16
	v_addc_co_u32_e64 v19, s[4:5], v19, v17, vcc
	v_mov_b32_e32 v16, s17
	v_add_co_u32_e64 v20, s[4:5], s16, v14
	v_addc_co_u32_e64 v21, s[6:7], v16, v15, s[4:5]
	global_load_ushort v14, v[18:19], off
	global_load_ushort v16, v[20:21], off
	s_waitcnt vmcnt(0)
	v_cmp_eq_f16_e64 s[6:7], v14, v16
	s_and_saveexec_b64 s[36:37], s[6:7]
	s_cbranch_execz .LBB1321_176
; %bb.170:
	v_mov_b32_e32 v14, s17
	v_addc_co_u32_e64 v15, s[4:5], v15, v14, s[4:5]
	v_add_co_u32_e64 v14, s[4:5], 2, v20
	v_mov_b32_e32 v16, s17
	v_addc_co_u32_e64 v15, s[4:5], 0, v15, s[4:5]
	v_addc_co_u32_e32 v17, vcc, v17, v16, vcc
	v_add_co_u32_e32 v16, vcc, 2, v18
	s_add_u32 s4, s26, -1
	v_addc_co_u32_e32 v17, vcc, 0, v17, vcc
	s_addc_u32 s5, s27, -1
	s_mov_b64 s[6:7], 0
	s_mov_b64 s[40:41], 0
                                        ; implicit-def: $sgpr38_sgpr39
	s_branch .LBB1321_173
.LBB1321_171:                           ;   in Loop: Header=BB1321_173 Depth=1
	global_load_ushort v18, v[16:17], off
	global_load_ushort v19, v[14:15], off
	v_add_co_u32_e32 v14, vcc, 2, v14
	v_addc_co_u32_e32 v15, vcc, 0, v15, vcc
	v_add_co_u32_e32 v16, vcc, 2, v16
	v_addc_co_u32_e32 v17, vcc, 0, v17, vcc
	s_add_u32 s40, s40, 1
	s_addc_u32 s41, s41, 0
	s_andn2_b64 s[38:39], s[38:39], exec
	s_waitcnt vmcnt(0)
	v_cmp_neq_f16_e32 vcc, v18, v19
	s_and_b64 s[44:45], vcc, exec
	s_or_b64 s[38:39], s[38:39], s[44:45]
.LBB1321_172:                           ;   in Loop: Header=BB1321_173 Depth=1
	s_and_b64 s[44:45], exec, s[38:39]
	s_or_b64 s[6:7], s[44:45], s[6:7]
	v_pk_mov_b32 v[18:19], s[40:41], s[40:41] op_sel:[0,1]
	s_andn2_b64 exec, exec, s[6:7]
	s_cbranch_execz .LBB1321_175
.LBB1321_173:                           ; =>This Inner Loop Header: Depth=1
	s_or_b64 s[38:39], s[38:39], exec
	s_cmp_eq_u64 s[4:5], s[40:41]
	s_cbranch_scc0 .LBB1321_171
; %bb.174:                              ;   in Loop: Header=BB1321_173 Depth=1
                                        ; implicit-def: $vgpr14_vgpr15
                                        ; implicit-def: $vgpr16_vgpr17
	s_mov_b64 s[40:41], s[26:27]
	s_branch .LBB1321_172
.LBB1321_175:
	s_or_b64 exec, exec, s[6:7]
	v_cmp_gt_i64_e32 vcc, s[26:27], v[18:19]
	s_orn2_b64 s[38:39], vcc, exec
.LBB1321_176:
	s_or_b64 exec, exec, s[36:37]
.LBB1321_177:
	v_perm_b32 v16, v12, v12, s42
	s_and_b64 s[36:37], s[38:39], exec
	s_or_b64 s[14:15], s[14:15], exec
.LBB1321_178:
	s_or_b64 exec, exec, s[8:9]
	s_branch .LBB1321_237
.LBB1321_179:
	v_cmp_gt_u32_e32 vcc, s48, v23
	s_mov_b64 s[36:37], 0
	s_mov_b64 s[8:9], 0
	s_and_saveexec_b64 s[38:39], vcc
	s_cbranch_execz .LBB1321_190
; %bb.180:
	s_andn2_b64 vcc, exec, s[10:11]
	s_mov_b64 s[40:41], 0
	s_cbranch_vccnz .LBB1321_189
; %bb.181:
	s_waitcnt vmcnt(0) lgkmcnt(1)
	v_mul_lo_u32 v14, v5, s26
	v_mul_lo_u32 v15, v4, s27
	v_mad_u64_u32 v[12:13], s[4:5], v4, s26, 0
	v_add3_u32 v13, v13, v15, v14
	v_mul_lo_u32 v14, v11, s26
	v_mul_lo_u32 v15, v10, s27
	v_mad_u64_u32 v[18:19], s[4:5], v10, s26, 0
	v_add3_u32 v19, v19, v15, v14
	v_lshlrev_b64 v[14:15], 1, v[12:13]
	v_mov_b32_e32 v12, s17
	v_add_co_u32_e32 v16, vcc, s16, v14
	v_addc_co_u32_e64 v17, s[4:5], v12, v15, vcc
	v_lshlrev_b64 v[12:13], 1, v[18:19]
	v_mov_b32_e32 v14, s17
	v_add_co_u32_e64 v18, s[4:5], s16, v12
	v_addc_co_u32_e64 v19, s[6:7], v14, v13, s[4:5]
	global_load_ushort v12, v[16:17], off
	global_load_ushort v14, v[18:19], off
	s_mov_b64 s[40:41], -1
	s_waitcnt vmcnt(0)
	v_cmp_eq_f16_e64 s[6:7], v12, v14
	s_and_saveexec_b64 s[8:9], s[6:7]
	s_cbranch_execz .LBB1321_188
; %bb.182:
	v_mov_b32_e32 v12, s17
	v_addc_co_u32_e64 v13, s[4:5], v13, v12, s[4:5]
	v_add_co_u32_e64 v12, s[4:5], 2, v18
	v_mov_b32_e32 v14, s17
	v_addc_co_u32_e64 v13, s[4:5], 0, v13, s[4:5]
	v_addc_co_u32_e32 v15, vcc, v15, v14, vcc
	v_add_co_u32_e32 v14, vcc, 2, v16
	s_add_u32 s4, s26, -1
	v_addc_co_u32_e32 v15, vcc, 0, v15, vcc
	s_addc_u32 s5, s27, -1
	s_mov_b64 s[6:7], 0
	s_mov_b64 s[42:43], 0
                                        ; implicit-def: $sgpr40_sgpr41
	s_branch .LBB1321_185
.LBB1321_183:                           ;   in Loop: Header=BB1321_185 Depth=1
	global_load_ushort v16, v[14:15], off
	global_load_ushort v17, v[12:13], off
	v_add_co_u32_e32 v12, vcc, 2, v12
	v_addc_co_u32_e32 v13, vcc, 0, v13, vcc
	v_add_co_u32_e32 v14, vcc, 2, v14
	v_addc_co_u32_e32 v15, vcc, 0, v15, vcc
	s_add_u32 s42, s42, 1
	s_addc_u32 s43, s43, 0
	s_andn2_b64 s[40:41], s[40:41], exec
	s_waitcnt vmcnt(0)
	v_cmp_neq_f16_e32 vcc, v16, v17
	s_and_b64 s[44:45], vcc, exec
	s_or_b64 s[40:41], s[40:41], s[44:45]
.LBB1321_184:                           ;   in Loop: Header=BB1321_185 Depth=1
	s_and_b64 s[44:45], exec, s[40:41]
	s_or_b64 s[6:7], s[44:45], s[6:7]
	v_pk_mov_b32 v[16:17], s[42:43], s[42:43] op_sel:[0,1]
	s_andn2_b64 exec, exec, s[6:7]
	s_cbranch_execz .LBB1321_187
.LBB1321_185:                           ; =>This Inner Loop Header: Depth=1
	s_or_b64 s[40:41], s[40:41], exec
	s_cmp_eq_u64 s[4:5], s[42:43]
	s_cbranch_scc0 .LBB1321_183
; %bb.186:                              ;   in Loop: Header=BB1321_185 Depth=1
                                        ; implicit-def: $vgpr12_vgpr13
                                        ; implicit-def: $vgpr14_vgpr15
	s_mov_b64 s[42:43], s[26:27]
	s_branch .LBB1321_184
.LBB1321_187:
	s_or_b64 exec, exec, s[6:7]
	v_cmp_gt_i64_e32 vcc, s[26:27], v[16:17]
	s_orn2_b64 s[40:41], vcc, exec
.LBB1321_188:
	s_or_b64 exec, exec, s[8:9]
.LBB1321_189:
	s_and_b64 s[8:9], s[40:41], exec
.LBB1321_190:
	s_or_b64 exec, exec, s[38:39]
	v_cmp_gt_u32_e32 vcc, s48, v25
	s_and_saveexec_b64 s[38:39], vcc
	s_cbranch_execz .LBB1321_201
; %bb.191:
	s_andn2_b64 vcc, exec, s[10:11]
	s_mov_b64 s[40:41], 0
	s_cbranch_vccnz .LBB1321_200
; %bb.192:
	s_waitcnt vmcnt(0) lgkmcnt(1)
	v_mul_lo_u32 v14, v3, s26
	v_mul_lo_u32 v15, v2, s27
	v_mad_u64_u32 v[12:13], s[4:5], v2, s26, 0
	v_add3_u32 v13, v13, v15, v14
	v_mul_lo_u32 v14, v5, s26
	v_mul_lo_u32 v15, v4, s27
	v_mad_u64_u32 v[18:19], s[4:5], v4, s26, 0
	v_add3_u32 v19, v19, v15, v14
	v_lshlrev_b64 v[14:15], 1, v[12:13]
	v_mov_b32_e32 v12, s17
	v_add_co_u32_e32 v16, vcc, s16, v14
	v_addc_co_u32_e64 v17, s[4:5], v12, v15, vcc
	v_lshlrev_b64 v[12:13], 1, v[18:19]
	v_mov_b32_e32 v14, s17
	v_add_co_u32_e64 v18, s[4:5], s16, v12
	v_addc_co_u32_e64 v19, s[6:7], v14, v13, s[4:5]
	global_load_ushort v12, v[16:17], off
	global_load_ushort v14, v[18:19], off
	s_mov_b64 s[40:41], -1
	s_waitcnt vmcnt(0)
	v_cmp_eq_f16_e64 s[6:7], v12, v14
	s_and_saveexec_b64 s[36:37], s[6:7]
	s_cbranch_execz .LBB1321_199
; %bb.193:
	v_mov_b32_e32 v12, s17
	v_addc_co_u32_e64 v13, s[4:5], v13, v12, s[4:5]
	v_add_co_u32_e64 v12, s[4:5], 2, v18
	v_mov_b32_e32 v14, s17
	v_addc_co_u32_e64 v13, s[4:5], 0, v13, s[4:5]
	v_addc_co_u32_e32 v15, vcc, v15, v14, vcc
	v_add_co_u32_e32 v14, vcc, 2, v16
	s_add_u32 s4, s26, -1
	v_addc_co_u32_e32 v15, vcc, 0, v15, vcc
	s_addc_u32 s5, s27, -1
	s_mov_b64 s[6:7], 0
	s_mov_b64 s[42:43], 0
                                        ; implicit-def: $sgpr40_sgpr41
	s_branch .LBB1321_196
.LBB1321_194:                           ;   in Loop: Header=BB1321_196 Depth=1
	global_load_ushort v16, v[14:15], off
	global_load_ushort v17, v[12:13], off
	v_add_co_u32_e32 v12, vcc, 2, v12
	v_addc_co_u32_e32 v13, vcc, 0, v13, vcc
	v_add_co_u32_e32 v14, vcc, 2, v14
	v_addc_co_u32_e32 v15, vcc, 0, v15, vcc
	s_add_u32 s42, s42, 1
	s_addc_u32 s43, s43, 0
	s_andn2_b64 s[40:41], s[40:41], exec
	s_waitcnt vmcnt(0)
	v_cmp_neq_f16_e32 vcc, v16, v17
	s_and_b64 s[44:45], vcc, exec
	s_or_b64 s[40:41], s[40:41], s[44:45]
.LBB1321_195:                           ;   in Loop: Header=BB1321_196 Depth=1
	s_and_b64 s[44:45], exec, s[40:41]
	s_or_b64 s[6:7], s[44:45], s[6:7]
	v_pk_mov_b32 v[16:17], s[42:43], s[42:43] op_sel:[0,1]
	s_andn2_b64 exec, exec, s[6:7]
	s_cbranch_execz .LBB1321_198
.LBB1321_196:                           ; =>This Inner Loop Header: Depth=1
	s_or_b64 s[40:41], s[40:41], exec
	s_cmp_eq_u64 s[4:5], s[42:43]
	s_cbranch_scc0 .LBB1321_194
; %bb.197:                              ;   in Loop: Header=BB1321_196 Depth=1
                                        ; implicit-def: $vgpr12_vgpr13
                                        ; implicit-def: $vgpr14_vgpr15
	s_mov_b64 s[42:43], s[26:27]
	s_branch .LBB1321_195
.LBB1321_198:
	s_or_b64 exec, exec, s[6:7]
	v_cmp_gt_i64_e32 vcc, s[26:27], v[16:17]
	s_orn2_b64 s[40:41], vcc, exec
.LBB1321_199:
	s_or_b64 exec, exec, s[36:37]
.LBB1321_200:
	s_and_b64 s[36:37], s[40:41], exec
.LBB1321_201:
	s_or_b64 exec, exec, s[38:39]
	v_cmp_gt_u32_e32 vcc, s48, v22
	s_mov_b64 s[38:39], 0
	s_mov_b64 s[40:41], 0
	s_and_saveexec_b64 s[42:43], vcc
	s_cbranch_execz .LBB1321_212
; %bb.202:
	s_andn2_b64 vcc, exec, s[10:11]
	s_mov_b64 s[44:45], 0
	s_cbranch_vccnz .LBB1321_211
; %bb.203:
	s_waitcnt vmcnt(0) lgkmcnt(1)
	v_mul_lo_u32 v14, v9, s26
	v_mul_lo_u32 v15, v8, s27
	v_mad_u64_u32 v[12:13], s[4:5], v8, s26, 0
	v_add3_u32 v13, v13, v15, v14
	v_mul_lo_u32 v14, v3, s26
	v_mul_lo_u32 v15, v2, s27
	v_mad_u64_u32 v[18:19], s[4:5], v2, s26, 0
	v_add3_u32 v19, v19, v15, v14
	v_lshlrev_b64 v[14:15], 1, v[12:13]
	v_mov_b32_e32 v12, s17
	v_add_co_u32_e32 v16, vcc, s16, v14
	v_addc_co_u32_e64 v17, s[4:5], v12, v15, vcc
	v_lshlrev_b64 v[12:13], 1, v[18:19]
	v_mov_b32_e32 v14, s17
	v_add_co_u32_e64 v18, s[4:5], s16, v12
	v_addc_co_u32_e64 v19, s[6:7], v14, v13, s[4:5]
	global_load_ushort v12, v[16:17], off
	global_load_ushort v14, v[18:19], off
	s_mov_b64 s[44:45], -1
	s_waitcnt vmcnt(0)
	v_cmp_eq_f16_e64 s[6:7], v12, v14
	s_and_saveexec_b64 s[40:41], s[6:7]
	s_cbranch_execz .LBB1321_210
; %bb.204:
	v_mov_b32_e32 v12, s17
	v_addc_co_u32_e64 v13, s[4:5], v13, v12, s[4:5]
	v_add_co_u32_e64 v12, s[4:5], 2, v18
	v_mov_b32_e32 v14, s17
	v_addc_co_u32_e64 v13, s[4:5], 0, v13, s[4:5]
	v_addc_co_u32_e32 v15, vcc, v15, v14, vcc
	v_add_co_u32_e32 v14, vcc, 2, v16
	s_add_u32 s4, s26, -1
	v_addc_co_u32_e32 v15, vcc, 0, v15, vcc
	s_addc_u32 s5, s27, -1
	s_mov_b64 s[6:7], 0
	s_mov_b64 s[46:47], 0
                                        ; implicit-def: $sgpr44_sgpr45
	s_branch .LBB1321_207
.LBB1321_205:                           ;   in Loop: Header=BB1321_207 Depth=1
	global_load_ushort v16, v[14:15], off
	global_load_ushort v17, v[12:13], off
	v_add_co_u32_e32 v12, vcc, 2, v12
	v_addc_co_u32_e32 v13, vcc, 0, v13, vcc
	v_add_co_u32_e32 v14, vcc, 2, v14
	v_addc_co_u32_e32 v15, vcc, 0, v15, vcc
	s_add_u32 s46, s46, 1
	s_addc_u32 s47, s47, 0
	s_andn2_b64 s[44:45], s[44:45], exec
	s_waitcnt vmcnt(0)
	v_cmp_neq_f16_e32 vcc, v16, v17
	s_and_b64 s[50:51], vcc, exec
	s_or_b64 s[44:45], s[44:45], s[50:51]
.LBB1321_206:                           ;   in Loop: Header=BB1321_207 Depth=1
	s_and_b64 s[50:51], exec, s[44:45]
	s_or_b64 s[6:7], s[50:51], s[6:7]
	v_pk_mov_b32 v[16:17], s[46:47], s[46:47] op_sel:[0,1]
	s_andn2_b64 exec, exec, s[6:7]
	s_cbranch_execz .LBB1321_209
.LBB1321_207:                           ; =>This Inner Loop Header: Depth=1
	s_or_b64 s[44:45], s[44:45], exec
	s_cmp_eq_u64 s[4:5], s[46:47]
	s_cbranch_scc0 .LBB1321_205
; %bb.208:                              ;   in Loop: Header=BB1321_207 Depth=1
                                        ; implicit-def: $vgpr12_vgpr13
                                        ; implicit-def: $vgpr14_vgpr15
	s_mov_b64 s[46:47], s[26:27]
	s_branch .LBB1321_206
.LBB1321_209:
	s_or_b64 exec, exec, s[6:7]
	v_cmp_gt_i64_e32 vcc, s[26:27], v[16:17]
	s_orn2_b64 s[44:45], vcc, exec
.LBB1321_210:
	s_or_b64 exec, exec, s[40:41]
.LBB1321_211:
	s_and_b64 s[40:41], s[44:45], exec
.LBB1321_212:
	s_or_b64 exec, exec, s[42:43]
	v_cmp_gt_u32_e32 vcc, s48, v24
	s_and_saveexec_b64 s[42:43], vcc
	s_cbranch_execz .LBB1321_223
; %bb.213:
	s_andn2_b64 vcc, exec, s[10:11]
	s_mov_b64 s[44:45], 0
	s_cbranch_vccnz .LBB1321_222
; %bb.214:
	s_waitcnt vmcnt(0) lgkmcnt(1)
	v_mul_lo_u32 v14, v7, s26
	v_mul_lo_u32 v15, v6, s27
	v_mad_u64_u32 v[12:13], s[4:5], v6, s26, 0
	v_add3_u32 v13, v13, v15, v14
	v_mul_lo_u32 v14, v9, s26
	v_mul_lo_u32 v15, v8, s27
	v_mad_u64_u32 v[18:19], s[4:5], v8, s26, 0
	v_add3_u32 v19, v19, v15, v14
	v_lshlrev_b64 v[14:15], 1, v[12:13]
	v_mov_b32_e32 v12, s17
	v_add_co_u32_e32 v16, vcc, s16, v14
	v_addc_co_u32_e64 v17, s[4:5], v12, v15, vcc
	v_lshlrev_b64 v[12:13], 1, v[18:19]
	v_mov_b32_e32 v14, s17
	v_add_co_u32_e64 v18, s[4:5], s16, v12
	v_addc_co_u32_e64 v19, s[6:7], v14, v13, s[4:5]
	global_load_ushort v12, v[16:17], off
	global_load_ushort v14, v[18:19], off
	s_mov_b64 s[44:45], -1
	s_waitcnt vmcnt(0)
	v_cmp_eq_f16_e64 s[6:7], v12, v14
	s_and_saveexec_b64 s[38:39], s[6:7]
	s_cbranch_execz .LBB1321_221
; %bb.215:
	v_mov_b32_e32 v12, s17
	v_addc_co_u32_e64 v13, s[4:5], v13, v12, s[4:5]
	v_add_co_u32_e64 v12, s[4:5], 2, v18
	v_mov_b32_e32 v14, s17
	v_addc_co_u32_e64 v13, s[4:5], 0, v13, s[4:5]
	v_addc_co_u32_e32 v15, vcc, v15, v14, vcc
	v_add_co_u32_e32 v14, vcc, 2, v16
	s_add_u32 s4, s26, -1
	v_addc_co_u32_e32 v15, vcc, 0, v15, vcc
	s_addc_u32 s5, s27, -1
	s_mov_b64 s[6:7], 0
	s_mov_b64 s[46:47], 0
                                        ; implicit-def: $sgpr44_sgpr45
	s_branch .LBB1321_218
.LBB1321_216:                           ;   in Loop: Header=BB1321_218 Depth=1
	global_load_ushort v16, v[14:15], off
	global_load_ushort v17, v[12:13], off
	v_add_co_u32_e32 v12, vcc, 2, v12
	v_addc_co_u32_e32 v13, vcc, 0, v13, vcc
	v_add_co_u32_e32 v14, vcc, 2, v14
	v_addc_co_u32_e32 v15, vcc, 0, v15, vcc
	s_add_u32 s46, s46, 1
	s_addc_u32 s47, s47, 0
	s_andn2_b64 s[44:45], s[44:45], exec
	s_waitcnt vmcnt(0)
	v_cmp_neq_f16_e32 vcc, v16, v17
	s_and_b64 s[50:51], vcc, exec
	s_or_b64 s[44:45], s[44:45], s[50:51]
.LBB1321_217:                           ;   in Loop: Header=BB1321_218 Depth=1
	s_and_b64 s[50:51], exec, s[44:45]
	s_or_b64 s[6:7], s[50:51], s[6:7]
	v_pk_mov_b32 v[16:17], s[46:47], s[46:47] op_sel:[0,1]
	s_andn2_b64 exec, exec, s[6:7]
	s_cbranch_execz .LBB1321_220
.LBB1321_218:                           ; =>This Inner Loop Header: Depth=1
	s_or_b64 s[44:45], s[44:45], exec
	s_cmp_eq_u64 s[4:5], s[46:47]
	s_cbranch_scc0 .LBB1321_216
; %bb.219:                              ;   in Loop: Header=BB1321_218 Depth=1
                                        ; implicit-def: $vgpr12_vgpr13
                                        ; implicit-def: $vgpr14_vgpr15
	s_mov_b64 s[46:47], s[26:27]
	s_branch .LBB1321_217
.LBB1321_220:
	s_or_b64 exec, exec, s[6:7]
	v_cmp_gt_i64_e32 vcc, s[26:27], v[16:17]
	s_orn2_b64 s[44:45], vcc, exec
.LBB1321_221:
	s_or_b64 exec, exec, s[38:39]
.LBB1321_222:
	s_and_b64 s[38:39], s[44:45], exec
.LBB1321_223:
	s_or_b64 exec, exec, s[42:43]
	v_cndmask_b32_e64 v13, 0, 1, s[36:37]
	s_waitcnt vmcnt(0) lgkmcnt(1)
	v_cndmask_b32_e64 v14, 0, 1, s[38:39]
	v_cndmask_b32_e64 v12, 0, 1, s[40:41]
	v_lshlrev_b16_e32 v14, 8, v14
	v_lshlrev_b16_e32 v13, 8, v13
	v_or_b32_e32 v14, 1, v14
	v_or_b32_sdwa v12, v12, v13 dst_sel:WORD_1 dst_unused:UNUSED_PAD src0_sel:DWORD src1_sel:DWORD
	v_or_b32_sdwa v12, v14, v12 dst_sel:DWORD dst_unused:UNUSED_PAD src0_sel:WORD_0 src1_sel:DWORD
	v_cndmask_b32_e64 v13, 0, 1, s[8:9]
	s_waitcnt lgkmcnt(0)
	s_barrier
	s_waitcnt lgkmcnt(0)
                                        ; implicit-def: $sgpr36_sgpr37
                                        ; implicit-def: $vgpr16
	s_and_saveexec_b64 s[6:7], s[2:3]
	s_cbranch_execz .LBB1321_236
; %bb.224:
	v_cmp_gt_u32_e32 vcc, s48, v1
	s_mov_b32 s38, 0x3020104
	s_mov_b64 s[2:3], 0
	s_and_saveexec_b64 s[8:9], vcc
	s_cbranch_execz .LBB1321_235
; %bb.225:
	s_andn2_b64 vcc, exec, s[10:11]
	s_mov_b64 s[36:37], 0
	s_cbranch_vccnz .LBB1321_234
; %bb.226:
	v_add_u32_e32 v14, -8, v26
	ds_read_b64 v[14:15], v14
	v_mul_lo_u32 v16, v7, s26
	v_mad_u64_u32 v[20:21], s[2:3], v6, s26, 0
	s_mov_b64 s[36:37], -1
	s_waitcnt lgkmcnt(0)
	v_mul_lo_u32 v17, v15, s26
	v_mul_lo_u32 v18, v14, s27
	v_mad_u64_u32 v[14:15], s[2:3], v14, s26, 0
	v_add3_u32 v15, v15, v18, v17
	v_mul_lo_u32 v17, v6, s27
	v_add3_u32 v21, v21, v17, v16
	v_lshlrev_b64 v[16:17], 1, v[14:15]
	v_mov_b32_e32 v14, s17
	v_add_co_u32_e32 v18, vcc, s16, v16
	v_addc_co_u32_e64 v19, s[2:3], v14, v17, vcc
	v_lshlrev_b64 v[14:15], 1, v[20:21]
	v_mov_b32_e32 v16, s17
	v_add_co_u32_e64 v20, s[2:3], s16, v14
	v_addc_co_u32_e64 v21, s[4:5], v16, v15, s[2:3]
	global_load_ushort v14, v[18:19], off
	global_load_ushort v16, v[20:21], off
	s_waitcnt vmcnt(0)
	v_cmp_eq_f16_e64 s[4:5], v14, v16
	s_and_saveexec_b64 s[10:11], s[4:5]
	s_cbranch_execz .LBB1321_233
; %bb.227:
	v_mov_b32_e32 v14, s17
	v_addc_co_u32_e64 v15, s[2:3], v15, v14, s[2:3]
	v_add_co_u32_e64 v14, s[2:3], 2, v20
	v_mov_b32_e32 v16, s17
	v_addc_co_u32_e64 v15, s[2:3], 0, v15, s[2:3]
	v_addc_co_u32_e32 v17, vcc, v17, v16, vcc
	v_add_co_u32_e32 v16, vcc, 2, v18
	s_add_u32 s2, s26, -1
	v_addc_co_u32_e32 v17, vcc, 0, v17, vcc
	s_addc_u32 s3, s27, -1
	s_mov_b64 s[4:5], 0
	s_mov_b64 s[36:37], 0
                                        ; implicit-def: $sgpr16_sgpr17
	s_branch .LBB1321_230
.LBB1321_228:                           ;   in Loop: Header=BB1321_230 Depth=1
	global_load_ushort v18, v[16:17], off
	global_load_ushort v19, v[14:15], off
	v_add_co_u32_e32 v14, vcc, 2, v14
	v_addc_co_u32_e32 v15, vcc, 0, v15, vcc
	v_add_co_u32_e32 v16, vcc, 2, v16
	v_addc_co_u32_e32 v17, vcc, 0, v17, vcc
	s_add_u32 s36, s36, 1
	s_addc_u32 s37, s37, 0
	s_andn2_b64 s[16:17], s[16:17], exec
	s_waitcnt vmcnt(0)
	v_cmp_neq_f16_e32 vcc, v18, v19
	s_and_b64 s[40:41], vcc, exec
	s_or_b64 s[16:17], s[16:17], s[40:41]
.LBB1321_229:                           ;   in Loop: Header=BB1321_230 Depth=1
	s_and_b64 s[40:41], exec, s[16:17]
	s_or_b64 s[4:5], s[40:41], s[4:5]
	v_pk_mov_b32 v[18:19], s[36:37], s[36:37] op_sel:[0,1]
	s_andn2_b64 exec, exec, s[4:5]
	s_cbranch_execz .LBB1321_232
.LBB1321_230:                           ; =>This Inner Loop Header: Depth=1
	s_or_b64 s[16:17], s[16:17], exec
	s_cmp_eq_u64 s[2:3], s[36:37]
	s_cbranch_scc0 .LBB1321_228
; %bb.231:                              ;   in Loop: Header=BB1321_230 Depth=1
                                        ; implicit-def: $vgpr14_vgpr15
                                        ; implicit-def: $vgpr16_vgpr17
	s_mov_b64 s[36:37], s[26:27]
	s_branch .LBB1321_229
.LBB1321_232:
	s_or_b64 exec, exec, s[4:5]
	v_cmp_gt_i64_e32 vcc, s[26:27], v[18:19]
	s_orn2_b64 s[36:37], vcc, exec
.LBB1321_233:
	s_or_b64 exec, exec, s[10:11]
.LBB1321_234:
	s_and_b64 s[2:3], s[36:37], exec
.LBB1321_235:
	s_or_b64 exec, exec, s[8:9]
	v_perm_b32 v16, v12, v12, s38
	s_and_b64 s[36:37], s[2:3], exec
	s_or_b64 s[14:15], s[14:15], exec
.LBB1321_236:
	s_or_b64 exec, exec, s[6:7]
.LBB1321_237:
	s_and_saveexec_b64 s[2:3], s[14:15]
	s_cbranch_execz .LBB1321_239
; %bb.238:
	s_waitcnt vmcnt(0) lgkmcnt(0)
	v_lshrrev_b32_e32 v14, 24, v16
	s_movk_i32 s4, 0xff
	v_lshlrev_b16_e32 v14, 8, v14
	v_and_b32_sdwa v15, v16, s4 dst_sel:DWORD dst_unused:UNUSED_PAD src0_sel:WORD_1 src1_sel:DWORD
	v_or_b32_sdwa v14, v15, v14 dst_sel:WORD_1 dst_unused:UNUSED_PAD src0_sel:DWORD src1_sel:DWORD
	v_mov_b32_e32 v15, 8
	v_cndmask_b32_e64 v12, 0, 1, s[36:37]
	v_lshrrev_b32_sdwa v15, v15, v16 dst_sel:BYTE_1 dst_unused:UNUSED_PAD src0_sel:DWORD src1_sel:DWORD
	v_or_b32_e32 v12, v12, v15
	s_mov_b32 s4, 0xffff
	v_or_b32_sdwa v12, v12, v14 dst_sel:DWORD dst_unused:UNUSED_PAD src0_sel:WORD_0 src1_sel:DWORD
	v_and_b32_sdwa v13, s4, v13 dst_sel:DWORD dst_unused:UNUSED_PAD src0_sel:DWORD src1_sel:BYTE_0
.LBB1321_239:
	s_or_b64 exec, exec, s[2:3]
	s_andn2_b64 vcc, exec, s[12:13]
	s_cbranch_vccnz .LBB1321_241
; %bb.240:
	v_cmp_gt_u32_e32 vcc, s48, v1
	v_cndmask_b32_e32 v1, 0, v12, vcc
	v_and_b32_e32 v1, 0xffff00ff, v1
	v_cmp_gt_u32_e64 s[2:3], s48, v24
	v_cndmask_b32_e64 v1, v1, v12, s[2:3]
	s_waitcnt vmcnt(0) lgkmcnt(0)
	v_lshrrev_b32_e32 v14, 24, v1
	s_mov_b32 s4, 0x40c0100
	v_perm_b32 v1, v14, v1, s4
	v_cmp_gt_u32_e64 s[4:5], s48, v22
	v_cmp_gt_u32_e64 s[6:7], s48, v25
	v_cndmask_b32_e64 v1, v1, v12, s[4:5]
	s_or_b64 s[4:5], s[6:7], s[4:5]
	s_or_b64 s[2:3], s[4:5], s[2:3]
	s_or_b64 vcc, s[2:3], vcc
	v_and_b32_e32 v1, 0xffffff, v1
	v_cndmask_b32_e32 v14, 0, v13, vcc
	v_cndmask_b32_e64 v1, v1, v12, s[6:7]
	v_and_b32_e32 v14, 0xffffff00, v14
	v_cmp_gt_u32_e32 vcc, s48, v23
	v_cndmask_b32_e32 v1, v1, v12, vcc
	v_cndmask_b32_e32 v12, v14, v13, vcc
	s_mov_b32 s2, 0x3020104
	v_and_b32_e32 v13, 0xff, v12
	v_perm_b32 v12, v1, v1, s2
.LBB1321_241:
	v_and_b32_e32 v1, 0xff, v12
	v_bfe_u32 v25, v12, 8, 8
	v_bfe_u32 v27, v12, 16, 8
	s_waitcnt vmcnt(0) lgkmcnt(0)
	v_alignbit_b32 v14, v13, v12, 24
	v_and_b32_e32 v28, 0xff, v14
	v_and_b32_e32 v14, 0xff, v13
	v_add3_u32 v15, v25, v1, v27
	v_add3_u32 v31, v15, v28, v14
	v_mbcnt_lo_u32_b32 v14, -1, 0
	v_mbcnt_hi_u32_b32 v29, -1, v14
	v_and_b32_e32 v14, 15, v29
	v_cmp_eq_u32_e64 s[14:15], 0, v14
	v_cmp_lt_u32_e64 s[12:13], 1, v14
	v_cmp_lt_u32_e64 s[10:11], 3, v14
	v_cmp_lt_u32_e64 s[8:9], 7, v14
	v_and_b32_e32 v14, 16, v29
	v_cmp_eq_u32_e64 s[6:7], 0, v14
	v_or_b32_e32 v14, 63, v0
	v_cmp_lt_u32_e64 s[2:3], 31, v29
	v_lshrrev_b32_e32 v30, 6, v0
	v_cmp_eq_u32_e64 s[4:5], v14, v0
	s_and_b64 vcc, exec, s[34:35]
	s_barrier
	s_cbranch_vccz .LBB1321_268
; %bb.242:
	v_mov_b32_dpp v14, v31 row_shr:1 row_mask:0xf bank_mask:0xf
	v_cndmask_b32_e64 v14, v14, 0, s[14:15]
	v_add_u32_e32 v14, v14, v31
	s_nop 1
	v_mov_b32_dpp v15, v14 row_shr:2 row_mask:0xf bank_mask:0xf
	v_cndmask_b32_e64 v15, 0, v15, s[12:13]
	v_add_u32_e32 v14, v14, v15
	s_nop 1
	;; [unrolled: 4-line block ×4, first 2 shown]
	v_mov_b32_dpp v15, v14 row_bcast:15 row_mask:0xf bank_mask:0xf
	v_cndmask_b32_e64 v15, v15, 0, s[6:7]
	v_add_u32_e32 v14, v14, v15
	s_nop 1
	v_mov_b32_dpp v15, v14 row_bcast:31 row_mask:0xf bank_mask:0xf
	v_cndmask_b32_e64 v15, 0, v15, s[2:3]
	v_add_u32_e32 v14, v14, v15
	s_and_saveexec_b64 s[16:17], s[4:5]
	s_cbranch_execz .LBB1321_244
; %bb.243:
	v_lshlrev_b32_e32 v15, 2, v30
	ds_write_b32 v15, v14
.LBB1321_244:
	s_or_b64 exec, exec, s[16:17]
	v_cmp_gt_u32_e32 vcc, 4, v0
	s_waitcnt lgkmcnt(0)
	s_barrier
	s_and_saveexec_b64 s[16:17], vcc
	s_cbranch_execz .LBB1321_246
; %bb.245:
	v_lshlrev_b32_e32 v15, 2, v0
	ds_read_b32 v16, v15
	v_and_b32_e32 v17, 3, v29
	v_cmp_ne_u32_e32 vcc, 0, v17
	s_waitcnt lgkmcnt(0)
	v_mov_b32_dpp v18, v16 row_shr:1 row_mask:0xf bank_mask:0xf
	v_cndmask_b32_e32 v18, 0, v18, vcc
	v_add_u32_e32 v16, v18, v16
	v_cmp_lt_u32_e32 vcc, 1, v17
	s_nop 0
	v_mov_b32_dpp v18, v16 row_shr:2 row_mask:0xf bank_mask:0xf
	v_cndmask_b32_e32 v17, 0, v18, vcc
	v_add_u32_e32 v16, v16, v17
	ds_write_b32 v15, v16
.LBB1321_246:
	s_or_b64 exec, exec, s[16:17]
	v_cmp_gt_u32_e32 vcc, 64, v0
	v_cmp_lt_u32_e64 s[16:17], 63, v0
	s_waitcnt lgkmcnt(0)
	s_barrier
	s_waitcnt lgkmcnt(0)
                                        ; implicit-def: $vgpr24
	s_and_saveexec_b64 s[26:27], s[16:17]
	s_cbranch_execz .LBB1321_248
; %bb.247:
	v_lshl_add_u32 v15, v30, 2, -4
	ds_read_b32 v24, v15
	s_waitcnt lgkmcnt(0)
	v_add_u32_e32 v14, v24, v14
.LBB1321_248:
	s_or_b64 exec, exec, s[26:27]
	v_add_u32_e32 v15, -1, v29
	v_and_b32_e32 v16, 64, v29
	v_cmp_lt_i32_e64 s[16:17], v15, v16
	v_cndmask_b32_e64 v15, v15, v29, s[16:17]
	v_lshlrev_b32_e32 v15, 2, v15
	ds_bpermute_b32 v26, v15, v14
	v_cmp_eq_u32_e64 s[16:17], 0, v29
	s_and_saveexec_b64 s[26:27], vcc
	s_cbranch_execz .LBB1321_267
; %bb.249:
	v_mov_b32_e32 v21, 0
	ds_read_b32 v14, v21 offset:12
	s_and_saveexec_b64 s[34:35], s[16:17]
	s_cbranch_execz .LBB1321_251
; %bb.250:
	s_add_i32 s36, s33, 64
	s_mov_b32 s37, 0
	s_lshl_b64 s[36:37], s[36:37], 3
	s_add_u32 s36, s18, s36
	v_mov_b32_e32 v15, 1
	s_addc_u32 s37, s19, s37
	s_waitcnt lgkmcnt(0)
	global_store_dwordx2 v21, v[14:15], s[36:37]
.LBB1321_251:
	s_or_b64 exec, exec, s[34:35]
	v_xad_u32 v16, v29, -1, s33
	v_add_u32_e32 v20, 64, v16
	v_lshlrev_b64 v[18:19], 3, v[20:21]
	v_mov_b32_e32 v15, s19
	v_add_co_u32_e32 v22, vcc, s18, v18
	v_addc_co_u32_e32 v23, vcc, v15, v19, vcc
	global_load_dwordx2 v[18:19], v[22:23], off glc
	s_waitcnt vmcnt(0)
	v_cmp_eq_u16_sdwa s[36:37], v19, v21 src0_sel:BYTE_0 src1_sel:DWORD
	s_and_saveexec_b64 s[34:35], s[36:37]
	s_cbranch_execz .LBB1321_255
; %bb.252:
	s_mov_b64 s[36:37], 0
	v_mov_b32_e32 v15, 0
.LBB1321_253:                           ; =>This Inner Loop Header: Depth=1
	global_load_dwordx2 v[18:19], v[22:23], off glc
	s_waitcnt vmcnt(0)
	v_cmp_ne_u16_sdwa s[38:39], v19, v15 src0_sel:BYTE_0 src1_sel:DWORD
	s_or_b64 s[36:37], s[38:39], s[36:37]
	s_andn2_b64 exec, exec, s[36:37]
	s_cbranch_execnz .LBB1321_253
; %bb.254:
	s_or_b64 exec, exec, s[36:37]
.LBB1321_255:
	s_or_b64 exec, exec, s[34:35]
	v_and_b32_e32 v32, 63, v29
	v_mov_b32_e32 v15, 2
	v_cmp_ne_u32_e32 vcc, 63, v32
	v_cmp_eq_u16_sdwa s[34:35], v19, v15 src0_sel:BYTE_0 src1_sel:DWORD
	v_lshlrev_b64 v[20:21], v29, -1
	v_addc_co_u32_e32 v23, vcc, 0, v29, vcc
	v_and_b32_e32 v17, s35, v21
	v_lshlrev_b32_e32 v33, 2, v23
	v_or_b32_e32 v17, 0x80000000, v17
	ds_bpermute_b32 v23, v33, v18
	v_and_b32_e32 v22, s34, v20
	v_ffbl_b32_e32 v17, v17
	v_add_u32_e32 v17, 32, v17
	v_ffbl_b32_e32 v22, v22
	v_min_u32_e32 v17, v22, v17
	v_cmp_lt_u32_e32 vcc, v32, v17
	s_waitcnt lgkmcnt(0)
	v_cndmask_b32_e32 v22, 0, v23, vcc
	v_cmp_gt_u32_e32 vcc, 62, v32
	v_add_u32_e32 v18, v22, v18
	v_cndmask_b32_e64 v22, 0, 1, vcc
	v_lshlrev_b32_e32 v22, 1, v22
	v_add_lshl_u32 v34, v22, v29, 2
	ds_bpermute_b32 v22, v34, v18
	v_add_u32_e32 v35, 2, v32
	v_cmp_le_u32_e32 vcc, v35, v17
	v_add_u32_e32 v37, 4, v32
	v_add_u32_e32 v39, 8, v32
	s_waitcnt lgkmcnt(0)
	v_cndmask_b32_e32 v22, 0, v22, vcc
	v_cmp_gt_u32_e32 vcc, 60, v32
	v_add_u32_e32 v18, v18, v22
	v_cndmask_b32_e64 v22, 0, 1, vcc
	v_lshlrev_b32_e32 v22, 2, v22
	v_add_lshl_u32 v36, v22, v29, 2
	ds_bpermute_b32 v22, v36, v18
	v_cmp_le_u32_e32 vcc, v37, v17
	v_add_u32_e32 v42, 16, v32
	v_add_u32_e32 v44, 32, v32
	s_waitcnt lgkmcnt(0)
	v_cndmask_b32_e32 v22, 0, v22, vcc
	v_cmp_gt_u32_e32 vcc, 56, v32
	v_add_u32_e32 v18, v18, v22
	v_cndmask_b32_e64 v22, 0, 1, vcc
	v_lshlrev_b32_e32 v22, 3, v22
	v_add_lshl_u32 v38, v22, v29, 2
	ds_bpermute_b32 v22, v38, v18
	v_cmp_le_u32_e32 vcc, v39, v17
	s_waitcnt lgkmcnt(0)
	v_cndmask_b32_e32 v22, 0, v22, vcc
	v_cmp_gt_u32_e32 vcc, 48, v32
	v_add_u32_e32 v18, v18, v22
	v_cndmask_b32_e64 v22, 0, 1, vcc
	v_lshlrev_b32_e32 v22, 4, v22
	v_add_lshl_u32 v41, v22, v29, 2
	ds_bpermute_b32 v22, v41, v18
	v_cmp_le_u32_e32 vcc, v42, v17
	;; [unrolled: 9-line block ×3, first 2 shown]
	s_waitcnt lgkmcnt(0)
	v_cndmask_b32_e32 v17, 0, v22, vcc
	v_add_u32_e32 v18, v18, v17
	v_mov_b32_e32 v17, 0
	s_branch .LBB1321_257
.LBB1321_256:                           ;   in Loop: Header=BB1321_257 Depth=1
	s_or_b64 exec, exec, s[34:35]
	v_cmp_eq_u16_sdwa s[34:35], v19, v15 src0_sel:BYTE_0 src1_sel:DWORD
	v_and_b32_e32 v22, s35, v21
	v_or_b32_e32 v22, 0x80000000, v22
	ds_bpermute_b32 v45, v33, v18
	v_and_b32_e32 v23, s34, v20
	v_ffbl_b32_e32 v22, v22
	v_add_u32_e32 v22, 32, v22
	v_ffbl_b32_e32 v23, v23
	v_min_u32_e32 v22, v23, v22
	v_cmp_lt_u32_e32 vcc, v32, v22
	s_waitcnt lgkmcnt(0)
	v_cndmask_b32_e32 v23, 0, v45, vcc
	v_add_u32_e32 v18, v23, v18
	ds_bpermute_b32 v23, v34, v18
	v_cmp_le_u32_e32 vcc, v35, v22
	v_subrev_u32_e32 v16, 64, v16
	s_waitcnt lgkmcnt(0)
	v_cndmask_b32_e32 v23, 0, v23, vcc
	v_add_u32_e32 v18, v18, v23
	ds_bpermute_b32 v23, v36, v18
	v_cmp_le_u32_e32 vcc, v37, v22
	s_waitcnt lgkmcnt(0)
	v_cndmask_b32_e32 v23, 0, v23, vcc
	v_add_u32_e32 v18, v18, v23
	ds_bpermute_b32 v23, v38, v18
	v_cmp_le_u32_e32 vcc, v39, v22
	;; [unrolled: 5-line block ×4, first 2 shown]
	s_waitcnt lgkmcnt(0)
	v_cndmask_b32_e32 v22, 0, v23, vcc
	v_add3_u32 v18, v22, v40, v18
.LBB1321_257:                           ; =>This Loop Header: Depth=1
                                        ;     Child Loop BB1321_260 Depth 2
	v_cmp_ne_u16_sdwa s[34:35], v19, v15 src0_sel:BYTE_0 src1_sel:DWORD
	v_cndmask_b32_e64 v19, 0, 1, s[34:35]
	;;#ASMSTART
	;;#ASMEND
	v_cmp_ne_u32_e32 vcc, 0, v19
	s_cmp_lg_u64 vcc, exec
	v_mov_b32_e32 v40, v18
	s_cbranch_scc1 .LBB1321_262
; %bb.258:                              ;   in Loop: Header=BB1321_257 Depth=1
	v_lshlrev_b64 v[18:19], 3, v[16:17]
	v_mov_b32_e32 v23, s19
	v_add_co_u32_e32 v22, vcc, s18, v18
	v_addc_co_u32_e32 v23, vcc, v23, v19, vcc
	global_load_dwordx2 v[18:19], v[22:23], off glc
	s_waitcnt vmcnt(0)
	v_cmp_eq_u16_sdwa s[36:37], v19, v17 src0_sel:BYTE_0 src1_sel:DWORD
	s_and_saveexec_b64 s[34:35], s[36:37]
	s_cbranch_execz .LBB1321_256
; %bb.259:                              ;   in Loop: Header=BB1321_257 Depth=1
	s_mov_b64 s[36:37], 0
.LBB1321_260:                           ;   Parent Loop BB1321_257 Depth=1
                                        ; =>  This Inner Loop Header: Depth=2
	global_load_dwordx2 v[18:19], v[22:23], off glc
	s_waitcnt vmcnt(0)
	v_cmp_ne_u16_sdwa s[38:39], v19, v17 src0_sel:BYTE_0 src1_sel:DWORD
	s_or_b64 s[36:37], s[38:39], s[36:37]
	s_andn2_b64 exec, exec, s[36:37]
	s_cbranch_execnz .LBB1321_260
; %bb.261:                              ;   in Loop: Header=BB1321_257 Depth=1
	s_or_b64 exec, exec, s[36:37]
	s_branch .LBB1321_256
.LBB1321_262:                           ;   in Loop: Header=BB1321_257 Depth=1
                                        ; implicit-def: $vgpr18
                                        ; implicit-def: $vgpr19
	s_cbranch_execz .LBB1321_257
; %bb.263:
	s_and_saveexec_b64 s[34:35], s[16:17]
	s_cbranch_execz .LBB1321_265
; %bb.264:
	s_add_i32 s36, s33, 64
	s_mov_b32 s37, 0
	s_lshl_b64 s[36:37], s[36:37], 3
	s_add_u32 s36, s18, s36
	v_add_u32_e32 v16, v40, v14
	v_mov_b32_e32 v17, 2
	s_addc_u32 s37, s19, s37
	v_mov_b32_e32 v15, 0
	s_movk_i32 s33, 0x2800
	global_store_dwordx2 v15, v[16:17], s[36:37]
	v_add_u32_e64 v15, s33, 0
	ds_write2_b32 v15, v14, v40 offset1:2
.LBB1321_265:
	s_or_b64 exec, exec, s[34:35]
	s_and_b64 exec, exec, s[0:1]
	s_cbranch_execz .LBB1321_267
; %bb.266:
	v_mov_b32_e32 v14, 0
	ds_write_b32 v14, v40 offset:12
.LBB1321_267:
	s_or_b64 exec, exec, s[26:27]
	v_mov_b32_e32 v14, 0
	s_waitcnt lgkmcnt(0)
	s_barrier
	ds_read_b32 v14, v14 offset:12
	v_cndmask_b32_e64 v15, v26, v24, s[16:17]
	v_cndmask_b32_e64 v15, v15, 0, s[0:1]
	s_movk_i32 s16, 0x2800
	s_waitcnt lgkmcnt(0)
	v_add_u32_e32 v26, v14, v15
	v_add_u32_e64 v14, s16, 0
	s_barrier
	ds_read2_b32 v[14:15], v14 offset1:2
	v_add_u32_e32 v24, v26, v1
	v_add_u32_e32 v22, v24, v25
	;; [unrolled: 1-line block ×4, first 2 shown]
	v_lshrrev_b64 v[16:17], 24, v[12:13]
	s_branch .LBB1321_278
.LBB1321_268:
                                        ; implicit-def: $vgpr18
                                        ; implicit-def: $vgpr20
                                        ; implicit-def: $vgpr22
                                        ; implicit-def: $vgpr24
                                        ; implicit-def: $vgpr26
                                        ; implicit-def: $vgpr15
	v_lshrrev_b64 v[16:17], 24, v[12:13]
	s_cbranch_execz .LBB1321_278
; %bb.269:
	s_waitcnt lgkmcnt(0)
	v_mov_b32_dpp v14, v31 row_shr:1 row_mask:0xf bank_mask:0xf
	v_cndmask_b32_e64 v14, v14, 0, s[14:15]
	v_add_u32_e32 v14, v14, v31
	s_nop 1
	v_mov_b32_dpp v15, v14 row_shr:2 row_mask:0xf bank_mask:0xf
	v_cndmask_b32_e64 v15, 0, v15, s[12:13]
	v_add_u32_e32 v14, v14, v15
	s_nop 1
	;; [unrolled: 4-line block ×4, first 2 shown]
	v_mov_b32_dpp v15, v14 row_bcast:15 row_mask:0xf bank_mask:0xf
	v_cndmask_b32_e64 v15, v15, 0, s[6:7]
	v_add_u32_e32 v14, v14, v15
	s_nop 1
	v_mov_b32_dpp v15, v14 row_bcast:31 row_mask:0xf bank_mask:0xf
	v_cndmask_b32_e64 v15, 0, v15, s[2:3]
	v_add_u32_e32 v14, v14, v15
	s_and_saveexec_b64 s[2:3], s[4:5]
	s_cbranch_execz .LBB1321_271
; %bb.270:
	v_lshlrev_b32_e32 v15, 2, v30
	ds_write_b32 v15, v14
.LBB1321_271:
	s_or_b64 exec, exec, s[2:3]
	v_cmp_gt_u32_e32 vcc, 4, v0
	s_waitcnt lgkmcnt(0)
	s_barrier
	s_and_saveexec_b64 s[2:3], vcc
	s_cbranch_execz .LBB1321_273
; %bb.272:
	v_lshlrev_b32_e32 v15, 2, v0
	ds_read_b32 v17, v15
	v_and_b32_e32 v18, 3, v29
	v_cmp_ne_u32_e32 vcc, 0, v18
	s_waitcnt lgkmcnt(0)
	v_mov_b32_dpp v19, v17 row_shr:1 row_mask:0xf bank_mask:0xf
	v_cndmask_b32_e32 v19, 0, v19, vcc
	v_add_u32_e32 v17, v19, v17
	v_cmp_lt_u32_e32 vcc, 1, v18
	s_nop 0
	v_mov_b32_dpp v19, v17 row_shr:2 row_mask:0xf bank_mask:0xf
	v_cndmask_b32_e32 v18, 0, v19, vcc
	v_add_u32_e32 v17, v17, v18
	ds_write_b32 v15, v17
.LBB1321_273:
	s_or_b64 exec, exec, s[2:3]
	v_cmp_lt_u32_e32 vcc, 63, v0
	v_mov_b32_e32 v15, 0
	v_mov_b32_e32 v17, 0
	s_waitcnt lgkmcnt(0)
	s_barrier
	s_and_saveexec_b64 s[2:3], vcc
	s_cbranch_execz .LBB1321_275
; %bb.274:
	v_lshl_add_u32 v17, v30, 2, -4
	ds_read_b32 v17, v17
.LBB1321_275:
	s_or_b64 exec, exec, s[2:3]
	v_add_u32_e32 v18, -1, v29
	v_and_b32_e32 v19, 64, v29
	v_cmp_lt_i32_e32 vcc, v18, v19
	v_cndmask_b32_e32 v18, v18, v29, vcc
	s_waitcnt lgkmcnt(0)
	v_add_u32_e32 v14, v17, v14
	v_lshlrev_b32_e32 v18, 2, v18
	ds_bpermute_b32 v18, v18, v14
	ds_read_b32 v14, v15 offset:12
	s_and_saveexec_b64 s[2:3], s[0:1]
	s_cbranch_execz .LBB1321_277
; %bb.276:
	v_mov_b32_e32 v19, 0
	v_mov_b32_e32 v15, 2
	s_waitcnt lgkmcnt(0)
	global_store_dwordx2 v19, v[14:15], s[18:19] offset:512
.LBB1321_277:
	s_or_b64 exec, exec, s[2:3]
	v_cmp_eq_u32_e32 vcc, 0, v29
	s_waitcnt lgkmcnt(1)
	v_cndmask_b32_e32 v17, v18, v17, vcc
	v_cndmask_b32_e64 v26, v17, 0, s[0:1]
	v_add_u32_e32 v24, v26, v1
	v_add_u32_e32 v22, v24, v25
	;; [unrolled: 1-line block ×3, first 2 shown]
	v_mov_b32_e32 v15, 0
	v_add_u32_e32 v18, v20, v28
	s_waitcnt lgkmcnt(0)
	s_barrier
.LBB1321_278:
	s_movk_i32 s2, 0x101
	s_waitcnt lgkmcnt(0)
	v_cmp_gt_u32_e32 vcc, s2, v14
	v_lshrrev_b32_e32 v1, 8, v12
	s_mov_b64 s[2:3], -1
	s_cbranch_vccnz .LBB1321_282
; %bb.279:
	s_and_b64 vcc, exec, s[2:3]
	s_cbranch_vccnz .LBB1321_298
.LBB1321_280:
	s_and_b64 s[0:1], s[0:1], s[24:25]
	s_and_saveexec_b64 s[2:3], s[0:1]
	s_cbranch_execnz .LBB1321_312
.LBB1321_281:
	s_endpgm
.LBB1321_282:
	v_add_u32_e32 v17, v15, v14
	v_cmp_lt_u32_e32 vcc, v26, v17
	s_or_b64 s[4:5], s[30:31], vcc
	s_and_saveexec_b64 s[2:3], s[4:5]
	s_cbranch_execz .LBB1321_285
; %bb.283:
	v_and_b32_e32 v19, 1, v12
	v_cmp_eq_u32_e32 vcc, 1, v19
	s_and_b64 exec, exec, vcc
	s_cbranch_execz .LBB1321_285
; %bb.284:
	s_lshl_b64 s[4:5], s[22:23], 3
	s_add_u32 s4, s28, s4
	v_mov_b32_e32 v27, 0
	s_addc_u32 s5, s29, s5
	v_lshlrev_b64 v[28:29], 3, v[26:27]
	v_mov_b32_e32 v19, s5
	v_add_co_u32_e32 v28, vcc, s4, v28
	v_addc_co_u32_e32 v29, vcc, v19, v29, vcc
	global_store_dwordx2 v[28:29], v[6:7], off
.LBB1321_285:
	s_or_b64 exec, exec, s[2:3]
	v_cmp_lt_u32_e32 vcc, v24, v17
	s_or_b64 s[4:5], s[30:31], vcc
	s_and_saveexec_b64 s[2:3], s[4:5]
	s_cbranch_execz .LBB1321_288
; %bb.286:
	v_and_b32_e32 v19, 1, v1
	v_cmp_eq_u32_e32 vcc, 1, v19
	s_and_b64 exec, exec, vcc
	s_cbranch_execz .LBB1321_288
; %bb.287:
	s_lshl_b64 s[4:5], s[22:23], 3
	s_add_u32 s4, s28, s4
	v_mov_b32_e32 v25, 0
	s_addc_u32 s5, s29, s5
	v_lshlrev_b64 v[28:29], 3, v[24:25]
	v_mov_b32_e32 v19, s5
	v_add_co_u32_e32 v28, vcc, s4, v28
	v_addc_co_u32_e32 v29, vcc, v19, v29, vcc
	global_store_dwordx2 v[28:29], v[8:9], off
.LBB1321_288:
	s_or_b64 exec, exec, s[2:3]
	v_cmp_lt_u32_e32 vcc, v22, v17
	s_or_b64 s[4:5], s[30:31], vcc
	s_and_saveexec_b64 s[2:3], s[4:5]
	s_cbranch_execz .LBB1321_291
; %bb.289:
	v_mov_b32_e32 v19, 1
	v_and_b32_sdwa v19, v19, v12 dst_sel:DWORD dst_unused:UNUSED_PAD src0_sel:DWORD src1_sel:WORD_1
	v_cmp_eq_u32_e32 vcc, 1, v19
	s_and_b64 exec, exec, vcc
	s_cbranch_execz .LBB1321_291
; %bb.290:
	s_lshl_b64 s[4:5], s[22:23], 3
	s_add_u32 s4, s28, s4
	v_mov_b32_e32 v23, 0
	s_addc_u32 s5, s29, s5
	v_lshlrev_b64 v[28:29], 3, v[22:23]
	v_mov_b32_e32 v19, s5
	v_add_co_u32_e32 v28, vcc, s4, v28
	v_addc_co_u32_e32 v29, vcc, v19, v29, vcc
	global_store_dwordx2 v[28:29], v[2:3], off
.LBB1321_291:
	s_or_b64 exec, exec, s[2:3]
	v_cmp_lt_u32_e32 vcc, v20, v17
	s_or_b64 s[4:5], s[30:31], vcc
	s_and_saveexec_b64 s[2:3], s[4:5]
	s_cbranch_execz .LBB1321_294
; %bb.292:
	v_and_b32_e32 v19, 1, v16
	v_cmp_eq_u32_e32 vcc, 1, v19
	s_and_b64 exec, exec, vcc
	s_cbranch_execz .LBB1321_294
; %bb.293:
	s_lshl_b64 s[4:5], s[22:23], 3
	s_add_u32 s4, s28, s4
	v_mov_b32_e32 v21, 0
	s_addc_u32 s5, s29, s5
	v_lshlrev_b64 v[28:29], 3, v[20:21]
	v_mov_b32_e32 v19, s5
	v_add_co_u32_e32 v28, vcc, s4, v28
	v_addc_co_u32_e32 v29, vcc, v19, v29, vcc
	global_store_dwordx2 v[28:29], v[4:5], off
.LBB1321_294:
	s_or_b64 exec, exec, s[2:3]
	v_cmp_lt_u32_e32 vcc, v18, v17
	s_or_b64 s[4:5], s[30:31], vcc
	s_and_saveexec_b64 s[2:3], s[4:5]
	s_cbranch_execz .LBB1321_297
; %bb.295:
	v_and_b32_e32 v17, 1, v13
	v_cmp_eq_u32_e32 vcc, 1, v17
	s_and_b64 exec, exec, vcc
	s_cbranch_execz .LBB1321_297
; %bb.296:
	s_lshl_b64 s[4:5], s[22:23], 3
	s_add_u32 s4, s28, s4
	v_mov_b32_e32 v19, 0
	s_addc_u32 s5, s29, s5
	v_lshlrev_b64 v[28:29], 3, v[18:19]
	v_mov_b32_e32 v17, s5
	v_add_co_u32_e32 v28, vcc, s4, v28
	v_addc_co_u32_e32 v29, vcc, v17, v29, vcc
	global_store_dwordx2 v[28:29], v[10:11], off
.LBB1321_297:
	s_or_b64 exec, exec, s[2:3]
	s_branch .LBB1321_280
.LBB1321_298:
	v_and_b32_e32 v17, 1, v12
	v_cmp_eq_u32_e32 vcc, 1, v17
	s_and_saveexec_b64 s[2:3], vcc
	s_cbranch_execz .LBB1321_300
; %bb.299:
	v_sub_u32_e32 v17, v26, v15
	v_lshlrev_b32_e32 v17, 3, v17
	ds_write_b64 v17, v[6:7]
.LBB1321_300:
	s_or_b64 exec, exec, s[2:3]
	v_and_b32_e32 v1, 1, v1
	v_cmp_eq_u32_e32 vcc, 1, v1
	s_and_saveexec_b64 s[2:3], vcc
	s_cbranch_execz .LBB1321_302
; %bb.301:
	v_sub_u32_e32 v1, v24, v15
	v_lshlrev_b32_e32 v1, 3, v1
	ds_write_b64 v1, v[8:9]
.LBB1321_302:
	s_or_b64 exec, exec, s[2:3]
	v_mov_b32_e32 v1, 1
	v_and_b32_sdwa v1, v1, v12 dst_sel:DWORD dst_unused:UNUSED_PAD src0_sel:DWORD src1_sel:WORD_1
	v_cmp_eq_u32_e32 vcc, 1, v1
	s_and_saveexec_b64 s[2:3], vcc
	s_cbranch_execz .LBB1321_304
; %bb.303:
	v_sub_u32_e32 v1, v22, v15
	v_lshlrev_b32_e32 v1, 3, v1
	ds_write_b64 v1, v[2:3]
.LBB1321_304:
	s_or_b64 exec, exec, s[2:3]
	v_and_b32_e32 v1, 1, v16
	v_cmp_eq_u32_e32 vcc, 1, v1
	s_and_saveexec_b64 s[2:3], vcc
	s_cbranch_execz .LBB1321_306
; %bb.305:
	v_sub_u32_e32 v1, v20, v15
	v_lshlrev_b32_e32 v1, 3, v1
	ds_write_b64 v1, v[4:5]
.LBB1321_306:
	s_or_b64 exec, exec, s[2:3]
	v_and_b32_e32 v1, 1, v13
	v_cmp_eq_u32_e32 vcc, 1, v1
	s_and_saveexec_b64 s[2:3], vcc
	s_cbranch_execz .LBB1321_308
; %bb.307:
	v_sub_u32_e32 v1, v18, v15
	v_lshlrev_b32_e32 v1, 3, v1
	ds_write_b64 v1, v[10:11]
.LBB1321_308:
	s_or_b64 exec, exec, s[2:3]
	v_cmp_lt_u32_e32 vcc, v0, v14
	s_waitcnt lgkmcnt(0)
	s_barrier
	s_and_saveexec_b64 s[2:3], vcc
	s_cbranch_execz .LBB1321_311
; %bb.309:
	v_mov_b32_e32 v1, 0
	v_mov_b32_e32 v2, v15
	;; [unrolled: 1-line block ×3, first 2 shown]
	v_lshlrev_b64 v[2:3], 3, v[2:3]
	v_mov_b32_e32 v4, s29
	v_add_co_u32_e32 v2, vcc, s28, v2
	v_addc_co_u32_e32 v3, vcc, v4, v3, vcc
	s_lshl_b64 s[4:5], s[22:23], 3
	v_mov_b32_e32 v4, s5
	v_add_co_u32_e32 v2, vcc, s4, v2
	v_addc_co_u32_e32 v3, vcc, v3, v4, vcc
	v_lshlrev_b32_e32 v4, 3, v0
	s_mov_b64 s[4:5], 0
.LBB1321_310:                           ; =>This Inner Loop Header: Depth=1
	ds_read_b64 v[6:7], v4
	v_lshlrev_b64 v[8:9], 3, v[0:1]
	v_add_co_u32_e32 v8, vcc, v2, v8
	v_add_u32_e32 v0, 0x100, v0
	v_addc_co_u32_e32 v9, vcc, v3, v9, vcc
	v_cmp_ge_u32_e32 vcc, v0, v14
	v_add_u32_e32 v4, 0x800, v4
	s_or_b64 s[4:5], vcc, s[4:5]
	s_waitcnt lgkmcnt(0)
	global_store_dwordx2 v[8:9], v[6:7], off
	s_andn2_b64 exec, exec, s[4:5]
	s_cbranch_execnz .LBB1321_310
.LBB1321_311:
	s_or_b64 exec, exec, s[2:3]
	s_and_b64 s[0:1], s[0:1], s[24:25]
	s_and_saveexec_b64 s[2:3], s[0:1]
	s_cbranch_execz .LBB1321_281
.LBB1321_312:
	v_mov_b32_e32 v0, s23
	v_add_co_u32_e32 v1, vcc, s22, v14
	v_addc_co_u32_e32 v3, vcc, 0, v0, vcc
	v_add_co_u32_e32 v0, vcc, v1, v15
	v_mov_b32_e32 v2, 0
	v_addc_co_u32_e32 v1, vcc, 0, v3, vcc
	global_store_dwordx2 v2, v[0:1], s[20:21]
	s_endpgm
	.section	.rodata,"a",@progbits
	.p2align	6, 0x0
	.amdhsa_kernel _ZN7rocprim17ROCPRIM_400000_NS6detail17trampoline_kernelINS0_14default_configENS1_25partition_config_selectorILNS1_17partition_subalgoE8ElNS0_10empty_typeEbEEZZNS1_14partition_implILS5_8ELb0ES3_jPlPS6_PKS6_NS0_5tupleIJS9_S6_EEENSD_IJSA_SA_EEENS0_18inequality_wrapperIZN2at6native12_GLOBAL__N_124unique_dim_cuda_templateIN3c104HalfEEESt5tupleIJNSH_6TensorESO_SO_EERKSO_lbbbEUlllE0_EEPmJS6_EEE10hipError_tPvRmT3_T4_T5_T6_T7_T9_mT8_P12ihipStream_tbDpT10_ENKUlT_T0_E_clISt17integral_constantIbLb0EES1D_IbLb1EEEEDaS19_S1A_EUlS19_E_NS1_11comp_targetILNS1_3genE4ELNS1_11target_archE910ELNS1_3gpuE8ELNS1_3repE0EEENS1_30default_config_static_selectorELNS0_4arch9wavefront6targetE1EEEvT1_
		.amdhsa_group_segment_fixed_size 10252
		.amdhsa_private_segment_fixed_size 0
		.amdhsa_kernarg_size 136
		.amdhsa_user_sgpr_count 6
		.amdhsa_user_sgpr_private_segment_buffer 1
		.amdhsa_user_sgpr_dispatch_ptr 0
		.amdhsa_user_sgpr_queue_ptr 0
		.amdhsa_user_sgpr_kernarg_segment_ptr 1
		.amdhsa_user_sgpr_dispatch_id 0
		.amdhsa_user_sgpr_flat_scratch_init 0
		.amdhsa_user_sgpr_kernarg_preload_length 0
		.amdhsa_user_sgpr_kernarg_preload_offset 0
		.amdhsa_user_sgpr_private_segment_size 0
		.amdhsa_uses_dynamic_stack 0
		.amdhsa_system_sgpr_private_segment_wavefront_offset 0
		.amdhsa_system_sgpr_workgroup_id_x 1
		.amdhsa_system_sgpr_workgroup_id_y 0
		.amdhsa_system_sgpr_workgroup_id_z 0
		.amdhsa_system_sgpr_workgroup_info 0
		.amdhsa_system_vgpr_workitem_id 0
		.amdhsa_next_free_vgpr 46
		.amdhsa_next_free_sgpr 52
		.amdhsa_accum_offset 48
		.amdhsa_reserve_vcc 1
		.amdhsa_reserve_flat_scratch 0
		.amdhsa_float_round_mode_32 0
		.amdhsa_float_round_mode_16_64 0
		.amdhsa_float_denorm_mode_32 3
		.amdhsa_float_denorm_mode_16_64 3
		.amdhsa_dx10_clamp 1
		.amdhsa_ieee_mode 1
		.amdhsa_fp16_overflow 0
		.amdhsa_tg_split 0
		.amdhsa_exception_fp_ieee_invalid_op 0
		.amdhsa_exception_fp_denorm_src 0
		.amdhsa_exception_fp_ieee_div_zero 0
		.amdhsa_exception_fp_ieee_overflow 0
		.amdhsa_exception_fp_ieee_underflow 0
		.amdhsa_exception_fp_ieee_inexact 0
		.amdhsa_exception_int_div_zero 0
	.end_amdhsa_kernel
	.section	.text._ZN7rocprim17ROCPRIM_400000_NS6detail17trampoline_kernelINS0_14default_configENS1_25partition_config_selectorILNS1_17partition_subalgoE8ElNS0_10empty_typeEbEEZZNS1_14partition_implILS5_8ELb0ES3_jPlPS6_PKS6_NS0_5tupleIJS9_S6_EEENSD_IJSA_SA_EEENS0_18inequality_wrapperIZN2at6native12_GLOBAL__N_124unique_dim_cuda_templateIN3c104HalfEEESt5tupleIJNSH_6TensorESO_SO_EERKSO_lbbbEUlllE0_EEPmJS6_EEE10hipError_tPvRmT3_T4_T5_T6_T7_T9_mT8_P12ihipStream_tbDpT10_ENKUlT_T0_E_clISt17integral_constantIbLb0EES1D_IbLb1EEEEDaS19_S1A_EUlS19_E_NS1_11comp_targetILNS1_3genE4ELNS1_11target_archE910ELNS1_3gpuE8ELNS1_3repE0EEENS1_30default_config_static_selectorELNS0_4arch9wavefront6targetE1EEEvT1_,"axG",@progbits,_ZN7rocprim17ROCPRIM_400000_NS6detail17trampoline_kernelINS0_14default_configENS1_25partition_config_selectorILNS1_17partition_subalgoE8ElNS0_10empty_typeEbEEZZNS1_14partition_implILS5_8ELb0ES3_jPlPS6_PKS6_NS0_5tupleIJS9_S6_EEENSD_IJSA_SA_EEENS0_18inequality_wrapperIZN2at6native12_GLOBAL__N_124unique_dim_cuda_templateIN3c104HalfEEESt5tupleIJNSH_6TensorESO_SO_EERKSO_lbbbEUlllE0_EEPmJS6_EEE10hipError_tPvRmT3_T4_T5_T6_T7_T9_mT8_P12ihipStream_tbDpT10_ENKUlT_T0_E_clISt17integral_constantIbLb0EES1D_IbLb1EEEEDaS19_S1A_EUlS19_E_NS1_11comp_targetILNS1_3genE4ELNS1_11target_archE910ELNS1_3gpuE8ELNS1_3repE0EEENS1_30default_config_static_selectorELNS0_4arch9wavefront6targetE1EEEvT1_,comdat
.Lfunc_end1321:
	.size	_ZN7rocprim17ROCPRIM_400000_NS6detail17trampoline_kernelINS0_14default_configENS1_25partition_config_selectorILNS1_17partition_subalgoE8ElNS0_10empty_typeEbEEZZNS1_14partition_implILS5_8ELb0ES3_jPlPS6_PKS6_NS0_5tupleIJS9_S6_EEENSD_IJSA_SA_EEENS0_18inequality_wrapperIZN2at6native12_GLOBAL__N_124unique_dim_cuda_templateIN3c104HalfEEESt5tupleIJNSH_6TensorESO_SO_EERKSO_lbbbEUlllE0_EEPmJS6_EEE10hipError_tPvRmT3_T4_T5_T6_T7_T9_mT8_P12ihipStream_tbDpT10_ENKUlT_T0_E_clISt17integral_constantIbLb0EES1D_IbLb1EEEEDaS19_S1A_EUlS19_E_NS1_11comp_targetILNS1_3genE4ELNS1_11target_archE910ELNS1_3gpuE8ELNS1_3repE0EEENS1_30default_config_static_selectorELNS0_4arch9wavefront6targetE1EEEvT1_, .Lfunc_end1321-_ZN7rocprim17ROCPRIM_400000_NS6detail17trampoline_kernelINS0_14default_configENS1_25partition_config_selectorILNS1_17partition_subalgoE8ElNS0_10empty_typeEbEEZZNS1_14partition_implILS5_8ELb0ES3_jPlPS6_PKS6_NS0_5tupleIJS9_S6_EEENSD_IJSA_SA_EEENS0_18inequality_wrapperIZN2at6native12_GLOBAL__N_124unique_dim_cuda_templateIN3c104HalfEEESt5tupleIJNSH_6TensorESO_SO_EERKSO_lbbbEUlllE0_EEPmJS6_EEE10hipError_tPvRmT3_T4_T5_T6_T7_T9_mT8_P12ihipStream_tbDpT10_ENKUlT_T0_E_clISt17integral_constantIbLb0EES1D_IbLb1EEEEDaS19_S1A_EUlS19_E_NS1_11comp_targetILNS1_3genE4ELNS1_11target_archE910ELNS1_3gpuE8ELNS1_3repE0EEENS1_30default_config_static_selectorELNS0_4arch9wavefront6targetE1EEEvT1_
                                        ; -- End function
	.section	.AMDGPU.csdata,"",@progbits
; Kernel info:
; codeLenInByte = 11572
; NumSgprs: 56
; NumVgprs: 46
; NumAgprs: 0
; TotalNumVgprs: 46
; ScratchSize: 0
; MemoryBound: 0
; FloatMode: 240
; IeeeMode: 1
; LDSByteSize: 10252 bytes/workgroup (compile time only)
; SGPRBlocks: 6
; VGPRBlocks: 5
; NumSGPRsForWavesPerEU: 56
; NumVGPRsForWavesPerEU: 46
; AccumOffset: 48
; Occupancy: 6
; WaveLimiterHint : 1
; COMPUTE_PGM_RSRC2:SCRATCH_EN: 0
; COMPUTE_PGM_RSRC2:USER_SGPR: 6
; COMPUTE_PGM_RSRC2:TRAP_HANDLER: 0
; COMPUTE_PGM_RSRC2:TGID_X_EN: 1
; COMPUTE_PGM_RSRC2:TGID_Y_EN: 0
; COMPUTE_PGM_RSRC2:TGID_Z_EN: 0
; COMPUTE_PGM_RSRC2:TIDIG_COMP_CNT: 0
; COMPUTE_PGM_RSRC3_GFX90A:ACCUM_OFFSET: 11
; COMPUTE_PGM_RSRC3_GFX90A:TG_SPLIT: 0
	.section	.text._ZN7rocprim17ROCPRIM_400000_NS6detail17trampoline_kernelINS0_14default_configENS1_25partition_config_selectorILNS1_17partition_subalgoE8ElNS0_10empty_typeEbEEZZNS1_14partition_implILS5_8ELb0ES3_jPlPS6_PKS6_NS0_5tupleIJS9_S6_EEENSD_IJSA_SA_EEENS0_18inequality_wrapperIZN2at6native12_GLOBAL__N_124unique_dim_cuda_templateIN3c104HalfEEESt5tupleIJNSH_6TensorESO_SO_EERKSO_lbbbEUlllE0_EEPmJS6_EEE10hipError_tPvRmT3_T4_T5_T6_T7_T9_mT8_P12ihipStream_tbDpT10_ENKUlT_T0_E_clISt17integral_constantIbLb0EES1D_IbLb1EEEEDaS19_S1A_EUlS19_E_NS1_11comp_targetILNS1_3genE3ELNS1_11target_archE908ELNS1_3gpuE7ELNS1_3repE0EEENS1_30default_config_static_selectorELNS0_4arch9wavefront6targetE1EEEvT1_,"axG",@progbits,_ZN7rocprim17ROCPRIM_400000_NS6detail17trampoline_kernelINS0_14default_configENS1_25partition_config_selectorILNS1_17partition_subalgoE8ElNS0_10empty_typeEbEEZZNS1_14partition_implILS5_8ELb0ES3_jPlPS6_PKS6_NS0_5tupleIJS9_S6_EEENSD_IJSA_SA_EEENS0_18inequality_wrapperIZN2at6native12_GLOBAL__N_124unique_dim_cuda_templateIN3c104HalfEEESt5tupleIJNSH_6TensorESO_SO_EERKSO_lbbbEUlllE0_EEPmJS6_EEE10hipError_tPvRmT3_T4_T5_T6_T7_T9_mT8_P12ihipStream_tbDpT10_ENKUlT_T0_E_clISt17integral_constantIbLb0EES1D_IbLb1EEEEDaS19_S1A_EUlS19_E_NS1_11comp_targetILNS1_3genE3ELNS1_11target_archE908ELNS1_3gpuE7ELNS1_3repE0EEENS1_30default_config_static_selectorELNS0_4arch9wavefront6targetE1EEEvT1_,comdat
	.globl	_ZN7rocprim17ROCPRIM_400000_NS6detail17trampoline_kernelINS0_14default_configENS1_25partition_config_selectorILNS1_17partition_subalgoE8ElNS0_10empty_typeEbEEZZNS1_14partition_implILS5_8ELb0ES3_jPlPS6_PKS6_NS0_5tupleIJS9_S6_EEENSD_IJSA_SA_EEENS0_18inequality_wrapperIZN2at6native12_GLOBAL__N_124unique_dim_cuda_templateIN3c104HalfEEESt5tupleIJNSH_6TensorESO_SO_EERKSO_lbbbEUlllE0_EEPmJS6_EEE10hipError_tPvRmT3_T4_T5_T6_T7_T9_mT8_P12ihipStream_tbDpT10_ENKUlT_T0_E_clISt17integral_constantIbLb0EES1D_IbLb1EEEEDaS19_S1A_EUlS19_E_NS1_11comp_targetILNS1_3genE3ELNS1_11target_archE908ELNS1_3gpuE7ELNS1_3repE0EEENS1_30default_config_static_selectorELNS0_4arch9wavefront6targetE1EEEvT1_ ; -- Begin function _ZN7rocprim17ROCPRIM_400000_NS6detail17trampoline_kernelINS0_14default_configENS1_25partition_config_selectorILNS1_17partition_subalgoE8ElNS0_10empty_typeEbEEZZNS1_14partition_implILS5_8ELb0ES3_jPlPS6_PKS6_NS0_5tupleIJS9_S6_EEENSD_IJSA_SA_EEENS0_18inequality_wrapperIZN2at6native12_GLOBAL__N_124unique_dim_cuda_templateIN3c104HalfEEESt5tupleIJNSH_6TensorESO_SO_EERKSO_lbbbEUlllE0_EEPmJS6_EEE10hipError_tPvRmT3_T4_T5_T6_T7_T9_mT8_P12ihipStream_tbDpT10_ENKUlT_T0_E_clISt17integral_constantIbLb0EES1D_IbLb1EEEEDaS19_S1A_EUlS19_E_NS1_11comp_targetILNS1_3genE3ELNS1_11target_archE908ELNS1_3gpuE7ELNS1_3repE0EEENS1_30default_config_static_selectorELNS0_4arch9wavefront6targetE1EEEvT1_
	.p2align	8
	.type	_ZN7rocprim17ROCPRIM_400000_NS6detail17trampoline_kernelINS0_14default_configENS1_25partition_config_selectorILNS1_17partition_subalgoE8ElNS0_10empty_typeEbEEZZNS1_14partition_implILS5_8ELb0ES3_jPlPS6_PKS6_NS0_5tupleIJS9_S6_EEENSD_IJSA_SA_EEENS0_18inequality_wrapperIZN2at6native12_GLOBAL__N_124unique_dim_cuda_templateIN3c104HalfEEESt5tupleIJNSH_6TensorESO_SO_EERKSO_lbbbEUlllE0_EEPmJS6_EEE10hipError_tPvRmT3_T4_T5_T6_T7_T9_mT8_P12ihipStream_tbDpT10_ENKUlT_T0_E_clISt17integral_constantIbLb0EES1D_IbLb1EEEEDaS19_S1A_EUlS19_E_NS1_11comp_targetILNS1_3genE3ELNS1_11target_archE908ELNS1_3gpuE7ELNS1_3repE0EEENS1_30default_config_static_selectorELNS0_4arch9wavefront6targetE1EEEvT1_,@function
_ZN7rocprim17ROCPRIM_400000_NS6detail17trampoline_kernelINS0_14default_configENS1_25partition_config_selectorILNS1_17partition_subalgoE8ElNS0_10empty_typeEbEEZZNS1_14partition_implILS5_8ELb0ES3_jPlPS6_PKS6_NS0_5tupleIJS9_S6_EEENSD_IJSA_SA_EEENS0_18inequality_wrapperIZN2at6native12_GLOBAL__N_124unique_dim_cuda_templateIN3c104HalfEEESt5tupleIJNSH_6TensorESO_SO_EERKSO_lbbbEUlllE0_EEPmJS6_EEE10hipError_tPvRmT3_T4_T5_T6_T7_T9_mT8_P12ihipStream_tbDpT10_ENKUlT_T0_E_clISt17integral_constantIbLb0EES1D_IbLb1EEEEDaS19_S1A_EUlS19_E_NS1_11comp_targetILNS1_3genE3ELNS1_11target_archE908ELNS1_3gpuE7ELNS1_3repE0EEENS1_30default_config_static_selectorELNS0_4arch9wavefront6targetE1EEEvT1_: ; @_ZN7rocprim17ROCPRIM_400000_NS6detail17trampoline_kernelINS0_14default_configENS1_25partition_config_selectorILNS1_17partition_subalgoE8ElNS0_10empty_typeEbEEZZNS1_14partition_implILS5_8ELb0ES3_jPlPS6_PKS6_NS0_5tupleIJS9_S6_EEENSD_IJSA_SA_EEENS0_18inequality_wrapperIZN2at6native12_GLOBAL__N_124unique_dim_cuda_templateIN3c104HalfEEESt5tupleIJNSH_6TensorESO_SO_EERKSO_lbbbEUlllE0_EEPmJS6_EEE10hipError_tPvRmT3_T4_T5_T6_T7_T9_mT8_P12ihipStream_tbDpT10_ENKUlT_T0_E_clISt17integral_constantIbLb0EES1D_IbLb1EEEEDaS19_S1A_EUlS19_E_NS1_11comp_targetILNS1_3genE3ELNS1_11target_archE908ELNS1_3gpuE7ELNS1_3repE0EEENS1_30default_config_static_selectorELNS0_4arch9wavefront6targetE1EEEvT1_
; %bb.0:
	.section	.rodata,"a",@progbits
	.p2align	6, 0x0
	.amdhsa_kernel _ZN7rocprim17ROCPRIM_400000_NS6detail17trampoline_kernelINS0_14default_configENS1_25partition_config_selectorILNS1_17partition_subalgoE8ElNS0_10empty_typeEbEEZZNS1_14partition_implILS5_8ELb0ES3_jPlPS6_PKS6_NS0_5tupleIJS9_S6_EEENSD_IJSA_SA_EEENS0_18inequality_wrapperIZN2at6native12_GLOBAL__N_124unique_dim_cuda_templateIN3c104HalfEEESt5tupleIJNSH_6TensorESO_SO_EERKSO_lbbbEUlllE0_EEPmJS6_EEE10hipError_tPvRmT3_T4_T5_T6_T7_T9_mT8_P12ihipStream_tbDpT10_ENKUlT_T0_E_clISt17integral_constantIbLb0EES1D_IbLb1EEEEDaS19_S1A_EUlS19_E_NS1_11comp_targetILNS1_3genE3ELNS1_11target_archE908ELNS1_3gpuE7ELNS1_3repE0EEENS1_30default_config_static_selectorELNS0_4arch9wavefront6targetE1EEEvT1_
		.amdhsa_group_segment_fixed_size 0
		.amdhsa_private_segment_fixed_size 0
		.amdhsa_kernarg_size 136
		.amdhsa_user_sgpr_count 6
		.amdhsa_user_sgpr_private_segment_buffer 1
		.amdhsa_user_sgpr_dispatch_ptr 0
		.amdhsa_user_sgpr_queue_ptr 0
		.amdhsa_user_sgpr_kernarg_segment_ptr 1
		.amdhsa_user_sgpr_dispatch_id 0
		.amdhsa_user_sgpr_flat_scratch_init 0
		.amdhsa_user_sgpr_kernarg_preload_length 0
		.amdhsa_user_sgpr_kernarg_preload_offset 0
		.amdhsa_user_sgpr_private_segment_size 0
		.amdhsa_uses_dynamic_stack 0
		.amdhsa_system_sgpr_private_segment_wavefront_offset 0
		.amdhsa_system_sgpr_workgroup_id_x 1
		.amdhsa_system_sgpr_workgroup_id_y 0
		.amdhsa_system_sgpr_workgroup_id_z 0
		.amdhsa_system_sgpr_workgroup_info 0
		.amdhsa_system_vgpr_workitem_id 0
		.amdhsa_next_free_vgpr 1
		.amdhsa_next_free_sgpr 0
		.amdhsa_accum_offset 4
		.amdhsa_reserve_vcc 0
		.amdhsa_reserve_flat_scratch 0
		.amdhsa_float_round_mode_32 0
		.amdhsa_float_round_mode_16_64 0
		.amdhsa_float_denorm_mode_32 3
		.amdhsa_float_denorm_mode_16_64 3
		.amdhsa_dx10_clamp 1
		.amdhsa_ieee_mode 1
		.amdhsa_fp16_overflow 0
		.amdhsa_tg_split 0
		.amdhsa_exception_fp_ieee_invalid_op 0
		.amdhsa_exception_fp_denorm_src 0
		.amdhsa_exception_fp_ieee_div_zero 0
		.amdhsa_exception_fp_ieee_overflow 0
		.amdhsa_exception_fp_ieee_underflow 0
		.amdhsa_exception_fp_ieee_inexact 0
		.amdhsa_exception_int_div_zero 0
	.end_amdhsa_kernel
	.section	.text._ZN7rocprim17ROCPRIM_400000_NS6detail17trampoline_kernelINS0_14default_configENS1_25partition_config_selectorILNS1_17partition_subalgoE8ElNS0_10empty_typeEbEEZZNS1_14partition_implILS5_8ELb0ES3_jPlPS6_PKS6_NS0_5tupleIJS9_S6_EEENSD_IJSA_SA_EEENS0_18inequality_wrapperIZN2at6native12_GLOBAL__N_124unique_dim_cuda_templateIN3c104HalfEEESt5tupleIJNSH_6TensorESO_SO_EERKSO_lbbbEUlllE0_EEPmJS6_EEE10hipError_tPvRmT3_T4_T5_T6_T7_T9_mT8_P12ihipStream_tbDpT10_ENKUlT_T0_E_clISt17integral_constantIbLb0EES1D_IbLb1EEEEDaS19_S1A_EUlS19_E_NS1_11comp_targetILNS1_3genE3ELNS1_11target_archE908ELNS1_3gpuE7ELNS1_3repE0EEENS1_30default_config_static_selectorELNS0_4arch9wavefront6targetE1EEEvT1_,"axG",@progbits,_ZN7rocprim17ROCPRIM_400000_NS6detail17trampoline_kernelINS0_14default_configENS1_25partition_config_selectorILNS1_17partition_subalgoE8ElNS0_10empty_typeEbEEZZNS1_14partition_implILS5_8ELb0ES3_jPlPS6_PKS6_NS0_5tupleIJS9_S6_EEENSD_IJSA_SA_EEENS0_18inequality_wrapperIZN2at6native12_GLOBAL__N_124unique_dim_cuda_templateIN3c104HalfEEESt5tupleIJNSH_6TensorESO_SO_EERKSO_lbbbEUlllE0_EEPmJS6_EEE10hipError_tPvRmT3_T4_T5_T6_T7_T9_mT8_P12ihipStream_tbDpT10_ENKUlT_T0_E_clISt17integral_constantIbLb0EES1D_IbLb1EEEEDaS19_S1A_EUlS19_E_NS1_11comp_targetILNS1_3genE3ELNS1_11target_archE908ELNS1_3gpuE7ELNS1_3repE0EEENS1_30default_config_static_selectorELNS0_4arch9wavefront6targetE1EEEvT1_,comdat
.Lfunc_end1322:
	.size	_ZN7rocprim17ROCPRIM_400000_NS6detail17trampoline_kernelINS0_14default_configENS1_25partition_config_selectorILNS1_17partition_subalgoE8ElNS0_10empty_typeEbEEZZNS1_14partition_implILS5_8ELb0ES3_jPlPS6_PKS6_NS0_5tupleIJS9_S6_EEENSD_IJSA_SA_EEENS0_18inequality_wrapperIZN2at6native12_GLOBAL__N_124unique_dim_cuda_templateIN3c104HalfEEESt5tupleIJNSH_6TensorESO_SO_EERKSO_lbbbEUlllE0_EEPmJS6_EEE10hipError_tPvRmT3_T4_T5_T6_T7_T9_mT8_P12ihipStream_tbDpT10_ENKUlT_T0_E_clISt17integral_constantIbLb0EES1D_IbLb1EEEEDaS19_S1A_EUlS19_E_NS1_11comp_targetILNS1_3genE3ELNS1_11target_archE908ELNS1_3gpuE7ELNS1_3repE0EEENS1_30default_config_static_selectorELNS0_4arch9wavefront6targetE1EEEvT1_, .Lfunc_end1322-_ZN7rocprim17ROCPRIM_400000_NS6detail17trampoline_kernelINS0_14default_configENS1_25partition_config_selectorILNS1_17partition_subalgoE8ElNS0_10empty_typeEbEEZZNS1_14partition_implILS5_8ELb0ES3_jPlPS6_PKS6_NS0_5tupleIJS9_S6_EEENSD_IJSA_SA_EEENS0_18inequality_wrapperIZN2at6native12_GLOBAL__N_124unique_dim_cuda_templateIN3c104HalfEEESt5tupleIJNSH_6TensorESO_SO_EERKSO_lbbbEUlllE0_EEPmJS6_EEE10hipError_tPvRmT3_T4_T5_T6_T7_T9_mT8_P12ihipStream_tbDpT10_ENKUlT_T0_E_clISt17integral_constantIbLb0EES1D_IbLb1EEEEDaS19_S1A_EUlS19_E_NS1_11comp_targetILNS1_3genE3ELNS1_11target_archE908ELNS1_3gpuE7ELNS1_3repE0EEENS1_30default_config_static_selectorELNS0_4arch9wavefront6targetE1EEEvT1_
                                        ; -- End function
	.section	.AMDGPU.csdata,"",@progbits
; Kernel info:
; codeLenInByte = 0
; NumSgprs: 4
; NumVgprs: 0
; NumAgprs: 0
; TotalNumVgprs: 0
; ScratchSize: 0
; MemoryBound: 0
; FloatMode: 240
; IeeeMode: 1
; LDSByteSize: 0 bytes/workgroup (compile time only)
; SGPRBlocks: 0
; VGPRBlocks: 0
; NumSGPRsForWavesPerEU: 4
; NumVGPRsForWavesPerEU: 1
; AccumOffset: 4
; Occupancy: 8
; WaveLimiterHint : 0
; COMPUTE_PGM_RSRC2:SCRATCH_EN: 0
; COMPUTE_PGM_RSRC2:USER_SGPR: 6
; COMPUTE_PGM_RSRC2:TRAP_HANDLER: 0
; COMPUTE_PGM_RSRC2:TGID_X_EN: 1
; COMPUTE_PGM_RSRC2:TGID_Y_EN: 0
; COMPUTE_PGM_RSRC2:TGID_Z_EN: 0
; COMPUTE_PGM_RSRC2:TIDIG_COMP_CNT: 0
; COMPUTE_PGM_RSRC3_GFX90A:ACCUM_OFFSET: 0
; COMPUTE_PGM_RSRC3_GFX90A:TG_SPLIT: 0
	.section	.text._ZN7rocprim17ROCPRIM_400000_NS6detail17trampoline_kernelINS0_14default_configENS1_25partition_config_selectorILNS1_17partition_subalgoE8ElNS0_10empty_typeEbEEZZNS1_14partition_implILS5_8ELb0ES3_jPlPS6_PKS6_NS0_5tupleIJS9_S6_EEENSD_IJSA_SA_EEENS0_18inequality_wrapperIZN2at6native12_GLOBAL__N_124unique_dim_cuda_templateIN3c104HalfEEESt5tupleIJNSH_6TensorESO_SO_EERKSO_lbbbEUlllE0_EEPmJS6_EEE10hipError_tPvRmT3_T4_T5_T6_T7_T9_mT8_P12ihipStream_tbDpT10_ENKUlT_T0_E_clISt17integral_constantIbLb0EES1D_IbLb1EEEEDaS19_S1A_EUlS19_E_NS1_11comp_targetILNS1_3genE2ELNS1_11target_archE906ELNS1_3gpuE6ELNS1_3repE0EEENS1_30default_config_static_selectorELNS0_4arch9wavefront6targetE1EEEvT1_,"axG",@progbits,_ZN7rocprim17ROCPRIM_400000_NS6detail17trampoline_kernelINS0_14default_configENS1_25partition_config_selectorILNS1_17partition_subalgoE8ElNS0_10empty_typeEbEEZZNS1_14partition_implILS5_8ELb0ES3_jPlPS6_PKS6_NS0_5tupleIJS9_S6_EEENSD_IJSA_SA_EEENS0_18inequality_wrapperIZN2at6native12_GLOBAL__N_124unique_dim_cuda_templateIN3c104HalfEEESt5tupleIJNSH_6TensorESO_SO_EERKSO_lbbbEUlllE0_EEPmJS6_EEE10hipError_tPvRmT3_T4_T5_T6_T7_T9_mT8_P12ihipStream_tbDpT10_ENKUlT_T0_E_clISt17integral_constantIbLb0EES1D_IbLb1EEEEDaS19_S1A_EUlS19_E_NS1_11comp_targetILNS1_3genE2ELNS1_11target_archE906ELNS1_3gpuE6ELNS1_3repE0EEENS1_30default_config_static_selectorELNS0_4arch9wavefront6targetE1EEEvT1_,comdat
	.globl	_ZN7rocprim17ROCPRIM_400000_NS6detail17trampoline_kernelINS0_14default_configENS1_25partition_config_selectorILNS1_17partition_subalgoE8ElNS0_10empty_typeEbEEZZNS1_14partition_implILS5_8ELb0ES3_jPlPS6_PKS6_NS0_5tupleIJS9_S6_EEENSD_IJSA_SA_EEENS0_18inequality_wrapperIZN2at6native12_GLOBAL__N_124unique_dim_cuda_templateIN3c104HalfEEESt5tupleIJNSH_6TensorESO_SO_EERKSO_lbbbEUlllE0_EEPmJS6_EEE10hipError_tPvRmT3_T4_T5_T6_T7_T9_mT8_P12ihipStream_tbDpT10_ENKUlT_T0_E_clISt17integral_constantIbLb0EES1D_IbLb1EEEEDaS19_S1A_EUlS19_E_NS1_11comp_targetILNS1_3genE2ELNS1_11target_archE906ELNS1_3gpuE6ELNS1_3repE0EEENS1_30default_config_static_selectorELNS0_4arch9wavefront6targetE1EEEvT1_ ; -- Begin function _ZN7rocprim17ROCPRIM_400000_NS6detail17trampoline_kernelINS0_14default_configENS1_25partition_config_selectorILNS1_17partition_subalgoE8ElNS0_10empty_typeEbEEZZNS1_14partition_implILS5_8ELb0ES3_jPlPS6_PKS6_NS0_5tupleIJS9_S6_EEENSD_IJSA_SA_EEENS0_18inequality_wrapperIZN2at6native12_GLOBAL__N_124unique_dim_cuda_templateIN3c104HalfEEESt5tupleIJNSH_6TensorESO_SO_EERKSO_lbbbEUlllE0_EEPmJS6_EEE10hipError_tPvRmT3_T4_T5_T6_T7_T9_mT8_P12ihipStream_tbDpT10_ENKUlT_T0_E_clISt17integral_constantIbLb0EES1D_IbLb1EEEEDaS19_S1A_EUlS19_E_NS1_11comp_targetILNS1_3genE2ELNS1_11target_archE906ELNS1_3gpuE6ELNS1_3repE0EEENS1_30default_config_static_selectorELNS0_4arch9wavefront6targetE1EEEvT1_
	.p2align	8
	.type	_ZN7rocprim17ROCPRIM_400000_NS6detail17trampoline_kernelINS0_14default_configENS1_25partition_config_selectorILNS1_17partition_subalgoE8ElNS0_10empty_typeEbEEZZNS1_14partition_implILS5_8ELb0ES3_jPlPS6_PKS6_NS0_5tupleIJS9_S6_EEENSD_IJSA_SA_EEENS0_18inequality_wrapperIZN2at6native12_GLOBAL__N_124unique_dim_cuda_templateIN3c104HalfEEESt5tupleIJNSH_6TensorESO_SO_EERKSO_lbbbEUlllE0_EEPmJS6_EEE10hipError_tPvRmT3_T4_T5_T6_T7_T9_mT8_P12ihipStream_tbDpT10_ENKUlT_T0_E_clISt17integral_constantIbLb0EES1D_IbLb1EEEEDaS19_S1A_EUlS19_E_NS1_11comp_targetILNS1_3genE2ELNS1_11target_archE906ELNS1_3gpuE6ELNS1_3repE0EEENS1_30default_config_static_selectorELNS0_4arch9wavefront6targetE1EEEvT1_,@function
_ZN7rocprim17ROCPRIM_400000_NS6detail17trampoline_kernelINS0_14default_configENS1_25partition_config_selectorILNS1_17partition_subalgoE8ElNS0_10empty_typeEbEEZZNS1_14partition_implILS5_8ELb0ES3_jPlPS6_PKS6_NS0_5tupleIJS9_S6_EEENSD_IJSA_SA_EEENS0_18inequality_wrapperIZN2at6native12_GLOBAL__N_124unique_dim_cuda_templateIN3c104HalfEEESt5tupleIJNSH_6TensorESO_SO_EERKSO_lbbbEUlllE0_EEPmJS6_EEE10hipError_tPvRmT3_T4_T5_T6_T7_T9_mT8_P12ihipStream_tbDpT10_ENKUlT_T0_E_clISt17integral_constantIbLb0EES1D_IbLb1EEEEDaS19_S1A_EUlS19_E_NS1_11comp_targetILNS1_3genE2ELNS1_11target_archE906ELNS1_3gpuE6ELNS1_3repE0EEENS1_30default_config_static_selectorELNS0_4arch9wavefront6targetE1EEEvT1_: ; @_ZN7rocprim17ROCPRIM_400000_NS6detail17trampoline_kernelINS0_14default_configENS1_25partition_config_selectorILNS1_17partition_subalgoE8ElNS0_10empty_typeEbEEZZNS1_14partition_implILS5_8ELb0ES3_jPlPS6_PKS6_NS0_5tupleIJS9_S6_EEENSD_IJSA_SA_EEENS0_18inequality_wrapperIZN2at6native12_GLOBAL__N_124unique_dim_cuda_templateIN3c104HalfEEESt5tupleIJNSH_6TensorESO_SO_EERKSO_lbbbEUlllE0_EEPmJS6_EEE10hipError_tPvRmT3_T4_T5_T6_T7_T9_mT8_P12ihipStream_tbDpT10_ENKUlT_T0_E_clISt17integral_constantIbLb0EES1D_IbLb1EEEEDaS19_S1A_EUlS19_E_NS1_11comp_targetILNS1_3genE2ELNS1_11target_archE906ELNS1_3gpuE6ELNS1_3repE0EEENS1_30default_config_static_selectorELNS0_4arch9wavefront6targetE1EEEvT1_
; %bb.0:
	.section	.rodata,"a",@progbits
	.p2align	6, 0x0
	.amdhsa_kernel _ZN7rocprim17ROCPRIM_400000_NS6detail17trampoline_kernelINS0_14default_configENS1_25partition_config_selectorILNS1_17partition_subalgoE8ElNS0_10empty_typeEbEEZZNS1_14partition_implILS5_8ELb0ES3_jPlPS6_PKS6_NS0_5tupleIJS9_S6_EEENSD_IJSA_SA_EEENS0_18inequality_wrapperIZN2at6native12_GLOBAL__N_124unique_dim_cuda_templateIN3c104HalfEEESt5tupleIJNSH_6TensorESO_SO_EERKSO_lbbbEUlllE0_EEPmJS6_EEE10hipError_tPvRmT3_T4_T5_T6_T7_T9_mT8_P12ihipStream_tbDpT10_ENKUlT_T0_E_clISt17integral_constantIbLb0EES1D_IbLb1EEEEDaS19_S1A_EUlS19_E_NS1_11comp_targetILNS1_3genE2ELNS1_11target_archE906ELNS1_3gpuE6ELNS1_3repE0EEENS1_30default_config_static_selectorELNS0_4arch9wavefront6targetE1EEEvT1_
		.amdhsa_group_segment_fixed_size 0
		.amdhsa_private_segment_fixed_size 0
		.amdhsa_kernarg_size 136
		.amdhsa_user_sgpr_count 6
		.amdhsa_user_sgpr_private_segment_buffer 1
		.amdhsa_user_sgpr_dispatch_ptr 0
		.amdhsa_user_sgpr_queue_ptr 0
		.amdhsa_user_sgpr_kernarg_segment_ptr 1
		.amdhsa_user_sgpr_dispatch_id 0
		.amdhsa_user_sgpr_flat_scratch_init 0
		.amdhsa_user_sgpr_kernarg_preload_length 0
		.amdhsa_user_sgpr_kernarg_preload_offset 0
		.amdhsa_user_sgpr_private_segment_size 0
		.amdhsa_uses_dynamic_stack 0
		.amdhsa_system_sgpr_private_segment_wavefront_offset 0
		.amdhsa_system_sgpr_workgroup_id_x 1
		.amdhsa_system_sgpr_workgroup_id_y 0
		.amdhsa_system_sgpr_workgroup_id_z 0
		.amdhsa_system_sgpr_workgroup_info 0
		.amdhsa_system_vgpr_workitem_id 0
		.amdhsa_next_free_vgpr 1
		.amdhsa_next_free_sgpr 0
		.amdhsa_accum_offset 4
		.amdhsa_reserve_vcc 0
		.amdhsa_reserve_flat_scratch 0
		.amdhsa_float_round_mode_32 0
		.amdhsa_float_round_mode_16_64 0
		.amdhsa_float_denorm_mode_32 3
		.amdhsa_float_denorm_mode_16_64 3
		.amdhsa_dx10_clamp 1
		.amdhsa_ieee_mode 1
		.amdhsa_fp16_overflow 0
		.amdhsa_tg_split 0
		.amdhsa_exception_fp_ieee_invalid_op 0
		.amdhsa_exception_fp_denorm_src 0
		.amdhsa_exception_fp_ieee_div_zero 0
		.amdhsa_exception_fp_ieee_overflow 0
		.amdhsa_exception_fp_ieee_underflow 0
		.amdhsa_exception_fp_ieee_inexact 0
		.amdhsa_exception_int_div_zero 0
	.end_amdhsa_kernel
	.section	.text._ZN7rocprim17ROCPRIM_400000_NS6detail17trampoline_kernelINS0_14default_configENS1_25partition_config_selectorILNS1_17partition_subalgoE8ElNS0_10empty_typeEbEEZZNS1_14partition_implILS5_8ELb0ES3_jPlPS6_PKS6_NS0_5tupleIJS9_S6_EEENSD_IJSA_SA_EEENS0_18inequality_wrapperIZN2at6native12_GLOBAL__N_124unique_dim_cuda_templateIN3c104HalfEEESt5tupleIJNSH_6TensorESO_SO_EERKSO_lbbbEUlllE0_EEPmJS6_EEE10hipError_tPvRmT3_T4_T5_T6_T7_T9_mT8_P12ihipStream_tbDpT10_ENKUlT_T0_E_clISt17integral_constantIbLb0EES1D_IbLb1EEEEDaS19_S1A_EUlS19_E_NS1_11comp_targetILNS1_3genE2ELNS1_11target_archE906ELNS1_3gpuE6ELNS1_3repE0EEENS1_30default_config_static_selectorELNS0_4arch9wavefront6targetE1EEEvT1_,"axG",@progbits,_ZN7rocprim17ROCPRIM_400000_NS6detail17trampoline_kernelINS0_14default_configENS1_25partition_config_selectorILNS1_17partition_subalgoE8ElNS0_10empty_typeEbEEZZNS1_14partition_implILS5_8ELb0ES3_jPlPS6_PKS6_NS0_5tupleIJS9_S6_EEENSD_IJSA_SA_EEENS0_18inequality_wrapperIZN2at6native12_GLOBAL__N_124unique_dim_cuda_templateIN3c104HalfEEESt5tupleIJNSH_6TensorESO_SO_EERKSO_lbbbEUlllE0_EEPmJS6_EEE10hipError_tPvRmT3_T4_T5_T6_T7_T9_mT8_P12ihipStream_tbDpT10_ENKUlT_T0_E_clISt17integral_constantIbLb0EES1D_IbLb1EEEEDaS19_S1A_EUlS19_E_NS1_11comp_targetILNS1_3genE2ELNS1_11target_archE906ELNS1_3gpuE6ELNS1_3repE0EEENS1_30default_config_static_selectorELNS0_4arch9wavefront6targetE1EEEvT1_,comdat
.Lfunc_end1323:
	.size	_ZN7rocprim17ROCPRIM_400000_NS6detail17trampoline_kernelINS0_14default_configENS1_25partition_config_selectorILNS1_17partition_subalgoE8ElNS0_10empty_typeEbEEZZNS1_14partition_implILS5_8ELb0ES3_jPlPS6_PKS6_NS0_5tupleIJS9_S6_EEENSD_IJSA_SA_EEENS0_18inequality_wrapperIZN2at6native12_GLOBAL__N_124unique_dim_cuda_templateIN3c104HalfEEESt5tupleIJNSH_6TensorESO_SO_EERKSO_lbbbEUlllE0_EEPmJS6_EEE10hipError_tPvRmT3_T4_T5_T6_T7_T9_mT8_P12ihipStream_tbDpT10_ENKUlT_T0_E_clISt17integral_constantIbLb0EES1D_IbLb1EEEEDaS19_S1A_EUlS19_E_NS1_11comp_targetILNS1_3genE2ELNS1_11target_archE906ELNS1_3gpuE6ELNS1_3repE0EEENS1_30default_config_static_selectorELNS0_4arch9wavefront6targetE1EEEvT1_, .Lfunc_end1323-_ZN7rocprim17ROCPRIM_400000_NS6detail17trampoline_kernelINS0_14default_configENS1_25partition_config_selectorILNS1_17partition_subalgoE8ElNS0_10empty_typeEbEEZZNS1_14partition_implILS5_8ELb0ES3_jPlPS6_PKS6_NS0_5tupleIJS9_S6_EEENSD_IJSA_SA_EEENS0_18inequality_wrapperIZN2at6native12_GLOBAL__N_124unique_dim_cuda_templateIN3c104HalfEEESt5tupleIJNSH_6TensorESO_SO_EERKSO_lbbbEUlllE0_EEPmJS6_EEE10hipError_tPvRmT3_T4_T5_T6_T7_T9_mT8_P12ihipStream_tbDpT10_ENKUlT_T0_E_clISt17integral_constantIbLb0EES1D_IbLb1EEEEDaS19_S1A_EUlS19_E_NS1_11comp_targetILNS1_3genE2ELNS1_11target_archE906ELNS1_3gpuE6ELNS1_3repE0EEENS1_30default_config_static_selectorELNS0_4arch9wavefront6targetE1EEEvT1_
                                        ; -- End function
	.section	.AMDGPU.csdata,"",@progbits
; Kernel info:
; codeLenInByte = 0
; NumSgprs: 4
; NumVgprs: 0
; NumAgprs: 0
; TotalNumVgprs: 0
; ScratchSize: 0
; MemoryBound: 0
; FloatMode: 240
; IeeeMode: 1
; LDSByteSize: 0 bytes/workgroup (compile time only)
; SGPRBlocks: 0
; VGPRBlocks: 0
; NumSGPRsForWavesPerEU: 4
; NumVGPRsForWavesPerEU: 1
; AccumOffset: 4
; Occupancy: 8
; WaveLimiterHint : 0
; COMPUTE_PGM_RSRC2:SCRATCH_EN: 0
; COMPUTE_PGM_RSRC2:USER_SGPR: 6
; COMPUTE_PGM_RSRC2:TRAP_HANDLER: 0
; COMPUTE_PGM_RSRC2:TGID_X_EN: 1
; COMPUTE_PGM_RSRC2:TGID_Y_EN: 0
; COMPUTE_PGM_RSRC2:TGID_Z_EN: 0
; COMPUTE_PGM_RSRC2:TIDIG_COMP_CNT: 0
; COMPUTE_PGM_RSRC3_GFX90A:ACCUM_OFFSET: 0
; COMPUTE_PGM_RSRC3_GFX90A:TG_SPLIT: 0
	.section	.text._ZN7rocprim17ROCPRIM_400000_NS6detail17trampoline_kernelINS0_14default_configENS1_25partition_config_selectorILNS1_17partition_subalgoE8ElNS0_10empty_typeEbEEZZNS1_14partition_implILS5_8ELb0ES3_jPlPS6_PKS6_NS0_5tupleIJS9_S6_EEENSD_IJSA_SA_EEENS0_18inequality_wrapperIZN2at6native12_GLOBAL__N_124unique_dim_cuda_templateIN3c104HalfEEESt5tupleIJNSH_6TensorESO_SO_EERKSO_lbbbEUlllE0_EEPmJS6_EEE10hipError_tPvRmT3_T4_T5_T6_T7_T9_mT8_P12ihipStream_tbDpT10_ENKUlT_T0_E_clISt17integral_constantIbLb0EES1D_IbLb1EEEEDaS19_S1A_EUlS19_E_NS1_11comp_targetILNS1_3genE10ELNS1_11target_archE1200ELNS1_3gpuE4ELNS1_3repE0EEENS1_30default_config_static_selectorELNS0_4arch9wavefront6targetE1EEEvT1_,"axG",@progbits,_ZN7rocprim17ROCPRIM_400000_NS6detail17trampoline_kernelINS0_14default_configENS1_25partition_config_selectorILNS1_17partition_subalgoE8ElNS0_10empty_typeEbEEZZNS1_14partition_implILS5_8ELb0ES3_jPlPS6_PKS6_NS0_5tupleIJS9_S6_EEENSD_IJSA_SA_EEENS0_18inequality_wrapperIZN2at6native12_GLOBAL__N_124unique_dim_cuda_templateIN3c104HalfEEESt5tupleIJNSH_6TensorESO_SO_EERKSO_lbbbEUlllE0_EEPmJS6_EEE10hipError_tPvRmT3_T4_T5_T6_T7_T9_mT8_P12ihipStream_tbDpT10_ENKUlT_T0_E_clISt17integral_constantIbLb0EES1D_IbLb1EEEEDaS19_S1A_EUlS19_E_NS1_11comp_targetILNS1_3genE10ELNS1_11target_archE1200ELNS1_3gpuE4ELNS1_3repE0EEENS1_30default_config_static_selectorELNS0_4arch9wavefront6targetE1EEEvT1_,comdat
	.globl	_ZN7rocprim17ROCPRIM_400000_NS6detail17trampoline_kernelINS0_14default_configENS1_25partition_config_selectorILNS1_17partition_subalgoE8ElNS0_10empty_typeEbEEZZNS1_14partition_implILS5_8ELb0ES3_jPlPS6_PKS6_NS0_5tupleIJS9_S6_EEENSD_IJSA_SA_EEENS0_18inequality_wrapperIZN2at6native12_GLOBAL__N_124unique_dim_cuda_templateIN3c104HalfEEESt5tupleIJNSH_6TensorESO_SO_EERKSO_lbbbEUlllE0_EEPmJS6_EEE10hipError_tPvRmT3_T4_T5_T6_T7_T9_mT8_P12ihipStream_tbDpT10_ENKUlT_T0_E_clISt17integral_constantIbLb0EES1D_IbLb1EEEEDaS19_S1A_EUlS19_E_NS1_11comp_targetILNS1_3genE10ELNS1_11target_archE1200ELNS1_3gpuE4ELNS1_3repE0EEENS1_30default_config_static_selectorELNS0_4arch9wavefront6targetE1EEEvT1_ ; -- Begin function _ZN7rocprim17ROCPRIM_400000_NS6detail17trampoline_kernelINS0_14default_configENS1_25partition_config_selectorILNS1_17partition_subalgoE8ElNS0_10empty_typeEbEEZZNS1_14partition_implILS5_8ELb0ES3_jPlPS6_PKS6_NS0_5tupleIJS9_S6_EEENSD_IJSA_SA_EEENS0_18inequality_wrapperIZN2at6native12_GLOBAL__N_124unique_dim_cuda_templateIN3c104HalfEEESt5tupleIJNSH_6TensorESO_SO_EERKSO_lbbbEUlllE0_EEPmJS6_EEE10hipError_tPvRmT3_T4_T5_T6_T7_T9_mT8_P12ihipStream_tbDpT10_ENKUlT_T0_E_clISt17integral_constantIbLb0EES1D_IbLb1EEEEDaS19_S1A_EUlS19_E_NS1_11comp_targetILNS1_3genE10ELNS1_11target_archE1200ELNS1_3gpuE4ELNS1_3repE0EEENS1_30default_config_static_selectorELNS0_4arch9wavefront6targetE1EEEvT1_
	.p2align	8
	.type	_ZN7rocprim17ROCPRIM_400000_NS6detail17trampoline_kernelINS0_14default_configENS1_25partition_config_selectorILNS1_17partition_subalgoE8ElNS0_10empty_typeEbEEZZNS1_14partition_implILS5_8ELb0ES3_jPlPS6_PKS6_NS0_5tupleIJS9_S6_EEENSD_IJSA_SA_EEENS0_18inequality_wrapperIZN2at6native12_GLOBAL__N_124unique_dim_cuda_templateIN3c104HalfEEESt5tupleIJNSH_6TensorESO_SO_EERKSO_lbbbEUlllE0_EEPmJS6_EEE10hipError_tPvRmT3_T4_T5_T6_T7_T9_mT8_P12ihipStream_tbDpT10_ENKUlT_T0_E_clISt17integral_constantIbLb0EES1D_IbLb1EEEEDaS19_S1A_EUlS19_E_NS1_11comp_targetILNS1_3genE10ELNS1_11target_archE1200ELNS1_3gpuE4ELNS1_3repE0EEENS1_30default_config_static_selectorELNS0_4arch9wavefront6targetE1EEEvT1_,@function
_ZN7rocprim17ROCPRIM_400000_NS6detail17trampoline_kernelINS0_14default_configENS1_25partition_config_selectorILNS1_17partition_subalgoE8ElNS0_10empty_typeEbEEZZNS1_14partition_implILS5_8ELb0ES3_jPlPS6_PKS6_NS0_5tupleIJS9_S6_EEENSD_IJSA_SA_EEENS0_18inequality_wrapperIZN2at6native12_GLOBAL__N_124unique_dim_cuda_templateIN3c104HalfEEESt5tupleIJNSH_6TensorESO_SO_EERKSO_lbbbEUlllE0_EEPmJS6_EEE10hipError_tPvRmT3_T4_T5_T6_T7_T9_mT8_P12ihipStream_tbDpT10_ENKUlT_T0_E_clISt17integral_constantIbLb0EES1D_IbLb1EEEEDaS19_S1A_EUlS19_E_NS1_11comp_targetILNS1_3genE10ELNS1_11target_archE1200ELNS1_3gpuE4ELNS1_3repE0EEENS1_30default_config_static_selectorELNS0_4arch9wavefront6targetE1EEEvT1_: ; @_ZN7rocprim17ROCPRIM_400000_NS6detail17trampoline_kernelINS0_14default_configENS1_25partition_config_selectorILNS1_17partition_subalgoE8ElNS0_10empty_typeEbEEZZNS1_14partition_implILS5_8ELb0ES3_jPlPS6_PKS6_NS0_5tupleIJS9_S6_EEENSD_IJSA_SA_EEENS0_18inequality_wrapperIZN2at6native12_GLOBAL__N_124unique_dim_cuda_templateIN3c104HalfEEESt5tupleIJNSH_6TensorESO_SO_EERKSO_lbbbEUlllE0_EEPmJS6_EEE10hipError_tPvRmT3_T4_T5_T6_T7_T9_mT8_P12ihipStream_tbDpT10_ENKUlT_T0_E_clISt17integral_constantIbLb0EES1D_IbLb1EEEEDaS19_S1A_EUlS19_E_NS1_11comp_targetILNS1_3genE10ELNS1_11target_archE1200ELNS1_3gpuE4ELNS1_3repE0EEENS1_30default_config_static_selectorELNS0_4arch9wavefront6targetE1EEEvT1_
; %bb.0:
	.section	.rodata,"a",@progbits
	.p2align	6, 0x0
	.amdhsa_kernel _ZN7rocprim17ROCPRIM_400000_NS6detail17trampoline_kernelINS0_14default_configENS1_25partition_config_selectorILNS1_17partition_subalgoE8ElNS0_10empty_typeEbEEZZNS1_14partition_implILS5_8ELb0ES3_jPlPS6_PKS6_NS0_5tupleIJS9_S6_EEENSD_IJSA_SA_EEENS0_18inequality_wrapperIZN2at6native12_GLOBAL__N_124unique_dim_cuda_templateIN3c104HalfEEESt5tupleIJNSH_6TensorESO_SO_EERKSO_lbbbEUlllE0_EEPmJS6_EEE10hipError_tPvRmT3_T4_T5_T6_T7_T9_mT8_P12ihipStream_tbDpT10_ENKUlT_T0_E_clISt17integral_constantIbLb0EES1D_IbLb1EEEEDaS19_S1A_EUlS19_E_NS1_11comp_targetILNS1_3genE10ELNS1_11target_archE1200ELNS1_3gpuE4ELNS1_3repE0EEENS1_30default_config_static_selectorELNS0_4arch9wavefront6targetE1EEEvT1_
		.amdhsa_group_segment_fixed_size 0
		.amdhsa_private_segment_fixed_size 0
		.amdhsa_kernarg_size 136
		.amdhsa_user_sgpr_count 6
		.amdhsa_user_sgpr_private_segment_buffer 1
		.amdhsa_user_sgpr_dispatch_ptr 0
		.amdhsa_user_sgpr_queue_ptr 0
		.amdhsa_user_sgpr_kernarg_segment_ptr 1
		.amdhsa_user_sgpr_dispatch_id 0
		.amdhsa_user_sgpr_flat_scratch_init 0
		.amdhsa_user_sgpr_kernarg_preload_length 0
		.amdhsa_user_sgpr_kernarg_preload_offset 0
		.amdhsa_user_sgpr_private_segment_size 0
		.amdhsa_uses_dynamic_stack 0
		.amdhsa_system_sgpr_private_segment_wavefront_offset 0
		.amdhsa_system_sgpr_workgroup_id_x 1
		.amdhsa_system_sgpr_workgroup_id_y 0
		.amdhsa_system_sgpr_workgroup_id_z 0
		.amdhsa_system_sgpr_workgroup_info 0
		.amdhsa_system_vgpr_workitem_id 0
		.amdhsa_next_free_vgpr 1
		.amdhsa_next_free_sgpr 0
		.amdhsa_accum_offset 4
		.amdhsa_reserve_vcc 0
		.amdhsa_reserve_flat_scratch 0
		.amdhsa_float_round_mode_32 0
		.amdhsa_float_round_mode_16_64 0
		.amdhsa_float_denorm_mode_32 3
		.amdhsa_float_denorm_mode_16_64 3
		.amdhsa_dx10_clamp 1
		.amdhsa_ieee_mode 1
		.amdhsa_fp16_overflow 0
		.amdhsa_tg_split 0
		.amdhsa_exception_fp_ieee_invalid_op 0
		.amdhsa_exception_fp_denorm_src 0
		.amdhsa_exception_fp_ieee_div_zero 0
		.amdhsa_exception_fp_ieee_overflow 0
		.amdhsa_exception_fp_ieee_underflow 0
		.amdhsa_exception_fp_ieee_inexact 0
		.amdhsa_exception_int_div_zero 0
	.end_amdhsa_kernel
	.section	.text._ZN7rocprim17ROCPRIM_400000_NS6detail17trampoline_kernelINS0_14default_configENS1_25partition_config_selectorILNS1_17partition_subalgoE8ElNS0_10empty_typeEbEEZZNS1_14partition_implILS5_8ELb0ES3_jPlPS6_PKS6_NS0_5tupleIJS9_S6_EEENSD_IJSA_SA_EEENS0_18inequality_wrapperIZN2at6native12_GLOBAL__N_124unique_dim_cuda_templateIN3c104HalfEEESt5tupleIJNSH_6TensorESO_SO_EERKSO_lbbbEUlllE0_EEPmJS6_EEE10hipError_tPvRmT3_T4_T5_T6_T7_T9_mT8_P12ihipStream_tbDpT10_ENKUlT_T0_E_clISt17integral_constantIbLb0EES1D_IbLb1EEEEDaS19_S1A_EUlS19_E_NS1_11comp_targetILNS1_3genE10ELNS1_11target_archE1200ELNS1_3gpuE4ELNS1_3repE0EEENS1_30default_config_static_selectorELNS0_4arch9wavefront6targetE1EEEvT1_,"axG",@progbits,_ZN7rocprim17ROCPRIM_400000_NS6detail17trampoline_kernelINS0_14default_configENS1_25partition_config_selectorILNS1_17partition_subalgoE8ElNS0_10empty_typeEbEEZZNS1_14partition_implILS5_8ELb0ES3_jPlPS6_PKS6_NS0_5tupleIJS9_S6_EEENSD_IJSA_SA_EEENS0_18inequality_wrapperIZN2at6native12_GLOBAL__N_124unique_dim_cuda_templateIN3c104HalfEEESt5tupleIJNSH_6TensorESO_SO_EERKSO_lbbbEUlllE0_EEPmJS6_EEE10hipError_tPvRmT3_T4_T5_T6_T7_T9_mT8_P12ihipStream_tbDpT10_ENKUlT_T0_E_clISt17integral_constantIbLb0EES1D_IbLb1EEEEDaS19_S1A_EUlS19_E_NS1_11comp_targetILNS1_3genE10ELNS1_11target_archE1200ELNS1_3gpuE4ELNS1_3repE0EEENS1_30default_config_static_selectorELNS0_4arch9wavefront6targetE1EEEvT1_,comdat
.Lfunc_end1324:
	.size	_ZN7rocprim17ROCPRIM_400000_NS6detail17trampoline_kernelINS0_14default_configENS1_25partition_config_selectorILNS1_17partition_subalgoE8ElNS0_10empty_typeEbEEZZNS1_14partition_implILS5_8ELb0ES3_jPlPS6_PKS6_NS0_5tupleIJS9_S6_EEENSD_IJSA_SA_EEENS0_18inequality_wrapperIZN2at6native12_GLOBAL__N_124unique_dim_cuda_templateIN3c104HalfEEESt5tupleIJNSH_6TensorESO_SO_EERKSO_lbbbEUlllE0_EEPmJS6_EEE10hipError_tPvRmT3_T4_T5_T6_T7_T9_mT8_P12ihipStream_tbDpT10_ENKUlT_T0_E_clISt17integral_constantIbLb0EES1D_IbLb1EEEEDaS19_S1A_EUlS19_E_NS1_11comp_targetILNS1_3genE10ELNS1_11target_archE1200ELNS1_3gpuE4ELNS1_3repE0EEENS1_30default_config_static_selectorELNS0_4arch9wavefront6targetE1EEEvT1_, .Lfunc_end1324-_ZN7rocprim17ROCPRIM_400000_NS6detail17trampoline_kernelINS0_14default_configENS1_25partition_config_selectorILNS1_17partition_subalgoE8ElNS0_10empty_typeEbEEZZNS1_14partition_implILS5_8ELb0ES3_jPlPS6_PKS6_NS0_5tupleIJS9_S6_EEENSD_IJSA_SA_EEENS0_18inequality_wrapperIZN2at6native12_GLOBAL__N_124unique_dim_cuda_templateIN3c104HalfEEESt5tupleIJNSH_6TensorESO_SO_EERKSO_lbbbEUlllE0_EEPmJS6_EEE10hipError_tPvRmT3_T4_T5_T6_T7_T9_mT8_P12ihipStream_tbDpT10_ENKUlT_T0_E_clISt17integral_constantIbLb0EES1D_IbLb1EEEEDaS19_S1A_EUlS19_E_NS1_11comp_targetILNS1_3genE10ELNS1_11target_archE1200ELNS1_3gpuE4ELNS1_3repE0EEENS1_30default_config_static_selectorELNS0_4arch9wavefront6targetE1EEEvT1_
                                        ; -- End function
	.section	.AMDGPU.csdata,"",@progbits
; Kernel info:
; codeLenInByte = 0
; NumSgprs: 4
; NumVgprs: 0
; NumAgprs: 0
; TotalNumVgprs: 0
; ScratchSize: 0
; MemoryBound: 0
; FloatMode: 240
; IeeeMode: 1
; LDSByteSize: 0 bytes/workgroup (compile time only)
; SGPRBlocks: 0
; VGPRBlocks: 0
; NumSGPRsForWavesPerEU: 4
; NumVGPRsForWavesPerEU: 1
; AccumOffset: 4
; Occupancy: 8
; WaveLimiterHint : 0
; COMPUTE_PGM_RSRC2:SCRATCH_EN: 0
; COMPUTE_PGM_RSRC2:USER_SGPR: 6
; COMPUTE_PGM_RSRC2:TRAP_HANDLER: 0
; COMPUTE_PGM_RSRC2:TGID_X_EN: 1
; COMPUTE_PGM_RSRC2:TGID_Y_EN: 0
; COMPUTE_PGM_RSRC2:TGID_Z_EN: 0
; COMPUTE_PGM_RSRC2:TIDIG_COMP_CNT: 0
; COMPUTE_PGM_RSRC3_GFX90A:ACCUM_OFFSET: 0
; COMPUTE_PGM_RSRC3_GFX90A:TG_SPLIT: 0
	.section	.text._ZN7rocprim17ROCPRIM_400000_NS6detail17trampoline_kernelINS0_14default_configENS1_25partition_config_selectorILNS1_17partition_subalgoE8ElNS0_10empty_typeEbEEZZNS1_14partition_implILS5_8ELb0ES3_jPlPS6_PKS6_NS0_5tupleIJS9_S6_EEENSD_IJSA_SA_EEENS0_18inequality_wrapperIZN2at6native12_GLOBAL__N_124unique_dim_cuda_templateIN3c104HalfEEESt5tupleIJNSH_6TensorESO_SO_EERKSO_lbbbEUlllE0_EEPmJS6_EEE10hipError_tPvRmT3_T4_T5_T6_T7_T9_mT8_P12ihipStream_tbDpT10_ENKUlT_T0_E_clISt17integral_constantIbLb0EES1D_IbLb1EEEEDaS19_S1A_EUlS19_E_NS1_11comp_targetILNS1_3genE9ELNS1_11target_archE1100ELNS1_3gpuE3ELNS1_3repE0EEENS1_30default_config_static_selectorELNS0_4arch9wavefront6targetE1EEEvT1_,"axG",@progbits,_ZN7rocprim17ROCPRIM_400000_NS6detail17trampoline_kernelINS0_14default_configENS1_25partition_config_selectorILNS1_17partition_subalgoE8ElNS0_10empty_typeEbEEZZNS1_14partition_implILS5_8ELb0ES3_jPlPS6_PKS6_NS0_5tupleIJS9_S6_EEENSD_IJSA_SA_EEENS0_18inequality_wrapperIZN2at6native12_GLOBAL__N_124unique_dim_cuda_templateIN3c104HalfEEESt5tupleIJNSH_6TensorESO_SO_EERKSO_lbbbEUlllE0_EEPmJS6_EEE10hipError_tPvRmT3_T4_T5_T6_T7_T9_mT8_P12ihipStream_tbDpT10_ENKUlT_T0_E_clISt17integral_constantIbLb0EES1D_IbLb1EEEEDaS19_S1A_EUlS19_E_NS1_11comp_targetILNS1_3genE9ELNS1_11target_archE1100ELNS1_3gpuE3ELNS1_3repE0EEENS1_30default_config_static_selectorELNS0_4arch9wavefront6targetE1EEEvT1_,comdat
	.globl	_ZN7rocprim17ROCPRIM_400000_NS6detail17trampoline_kernelINS0_14default_configENS1_25partition_config_selectorILNS1_17partition_subalgoE8ElNS0_10empty_typeEbEEZZNS1_14partition_implILS5_8ELb0ES3_jPlPS6_PKS6_NS0_5tupleIJS9_S6_EEENSD_IJSA_SA_EEENS0_18inequality_wrapperIZN2at6native12_GLOBAL__N_124unique_dim_cuda_templateIN3c104HalfEEESt5tupleIJNSH_6TensorESO_SO_EERKSO_lbbbEUlllE0_EEPmJS6_EEE10hipError_tPvRmT3_T4_T5_T6_T7_T9_mT8_P12ihipStream_tbDpT10_ENKUlT_T0_E_clISt17integral_constantIbLb0EES1D_IbLb1EEEEDaS19_S1A_EUlS19_E_NS1_11comp_targetILNS1_3genE9ELNS1_11target_archE1100ELNS1_3gpuE3ELNS1_3repE0EEENS1_30default_config_static_selectorELNS0_4arch9wavefront6targetE1EEEvT1_ ; -- Begin function _ZN7rocprim17ROCPRIM_400000_NS6detail17trampoline_kernelINS0_14default_configENS1_25partition_config_selectorILNS1_17partition_subalgoE8ElNS0_10empty_typeEbEEZZNS1_14partition_implILS5_8ELb0ES3_jPlPS6_PKS6_NS0_5tupleIJS9_S6_EEENSD_IJSA_SA_EEENS0_18inequality_wrapperIZN2at6native12_GLOBAL__N_124unique_dim_cuda_templateIN3c104HalfEEESt5tupleIJNSH_6TensorESO_SO_EERKSO_lbbbEUlllE0_EEPmJS6_EEE10hipError_tPvRmT3_T4_T5_T6_T7_T9_mT8_P12ihipStream_tbDpT10_ENKUlT_T0_E_clISt17integral_constantIbLb0EES1D_IbLb1EEEEDaS19_S1A_EUlS19_E_NS1_11comp_targetILNS1_3genE9ELNS1_11target_archE1100ELNS1_3gpuE3ELNS1_3repE0EEENS1_30default_config_static_selectorELNS0_4arch9wavefront6targetE1EEEvT1_
	.p2align	8
	.type	_ZN7rocprim17ROCPRIM_400000_NS6detail17trampoline_kernelINS0_14default_configENS1_25partition_config_selectorILNS1_17partition_subalgoE8ElNS0_10empty_typeEbEEZZNS1_14partition_implILS5_8ELb0ES3_jPlPS6_PKS6_NS0_5tupleIJS9_S6_EEENSD_IJSA_SA_EEENS0_18inequality_wrapperIZN2at6native12_GLOBAL__N_124unique_dim_cuda_templateIN3c104HalfEEESt5tupleIJNSH_6TensorESO_SO_EERKSO_lbbbEUlllE0_EEPmJS6_EEE10hipError_tPvRmT3_T4_T5_T6_T7_T9_mT8_P12ihipStream_tbDpT10_ENKUlT_T0_E_clISt17integral_constantIbLb0EES1D_IbLb1EEEEDaS19_S1A_EUlS19_E_NS1_11comp_targetILNS1_3genE9ELNS1_11target_archE1100ELNS1_3gpuE3ELNS1_3repE0EEENS1_30default_config_static_selectorELNS0_4arch9wavefront6targetE1EEEvT1_,@function
_ZN7rocprim17ROCPRIM_400000_NS6detail17trampoline_kernelINS0_14default_configENS1_25partition_config_selectorILNS1_17partition_subalgoE8ElNS0_10empty_typeEbEEZZNS1_14partition_implILS5_8ELb0ES3_jPlPS6_PKS6_NS0_5tupleIJS9_S6_EEENSD_IJSA_SA_EEENS0_18inequality_wrapperIZN2at6native12_GLOBAL__N_124unique_dim_cuda_templateIN3c104HalfEEESt5tupleIJNSH_6TensorESO_SO_EERKSO_lbbbEUlllE0_EEPmJS6_EEE10hipError_tPvRmT3_T4_T5_T6_T7_T9_mT8_P12ihipStream_tbDpT10_ENKUlT_T0_E_clISt17integral_constantIbLb0EES1D_IbLb1EEEEDaS19_S1A_EUlS19_E_NS1_11comp_targetILNS1_3genE9ELNS1_11target_archE1100ELNS1_3gpuE3ELNS1_3repE0EEENS1_30default_config_static_selectorELNS0_4arch9wavefront6targetE1EEEvT1_: ; @_ZN7rocprim17ROCPRIM_400000_NS6detail17trampoline_kernelINS0_14default_configENS1_25partition_config_selectorILNS1_17partition_subalgoE8ElNS0_10empty_typeEbEEZZNS1_14partition_implILS5_8ELb0ES3_jPlPS6_PKS6_NS0_5tupleIJS9_S6_EEENSD_IJSA_SA_EEENS0_18inequality_wrapperIZN2at6native12_GLOBAL__N_124unique_dim_cuda_templateIN3c104HalfEEESt5tupleIJNSH_6TensorESO_SO_EERKSO_lbbbEUlllE0_EEPmJS6_EEE10hipError_tPvRmT3_T4_T5_T6_T7_T9_mT8_P12ihipStream_tbDpT10_ENKUlT_T0_E_clISt17integral_constantIbLb0EES1D_IbLb1EEEEDaS19_S1A_EUlS19_E_NS1_11comp_targetILNS1_3genE9ELNS1_11target_archE1100ELNS1_3gpuE3ELNS1_3repE0EEENS1_30default_config_static_selectorELNS0_4arch9wavefront6targetE1EEEvT1_
; %bb.0:
	.section	.rodata,"a",@progbits
	.p2align	6, 0x0
	.amdhsa_kernel _ZN7rocprim17ROCPRIM_400000_NS6detail17trampoline_kernelINS0_14default_configENS1_25partition_config_selectorILNS1_17partition_subalgoE8ElNS0_10empty_typeEbEEZZNS1_14partition_implILS5_8ELb0ES3_jPlPS6_PKS6_NS0_5tupleIJS9_S6_EEENSD_IJSA_SA_EEENS0_18inequality_wrapperIZN2at6native12_GLOBAL__N_124unique_dim_cuda_templateIN3c104HalfEEESt5tupleIJNSH_6TensorESO_SO_EERKSO_lbbbEUlllE0_EEPmJS6_EEE10hipError_tPvRmT3_T4_T5_T6_T7_T9_mT8_P12ihipStream_tbDpT10_ENKUlT_T0_E_clISt17integral_constantIbLb0EES1D_IbLb1EEEEDaS19_S1A_EUlS19_E_NS1_11comp_targetILNS1_3genE9ELNS1_11target_archE1100ELNS1_3gpuE3ELNS1_3repE0EEENS1_30default_config_static_selectorELNS0_4arch9wavefront6targetE1EEEvT1_
		.amdhsa_group_segment_fixed_size 0
		.amdhsa_private_segment_fixed_size 0
		.amdhsa_kernarg_size 136
		.amdhsa_user_sgpr_count 6
		.amdhsa_user_sgpr_private_segment_buffer 1
		.amdhsa_user_sgpr_dispatch_ptr 0
		.amdhsa_user_sgpr_queue_ptr 0
		.amdhsa_user_sgpr_kernarg_segment_ptr 1
		.amdhsa_user_sgpr_dispatch_id 0
		.amdhsa_user_sgpr_flat_scratch_init 0
		.amdhsa_user_sgpr_kernarg_preload_length 0
		.amdhsa_user_sgpr_kernarg_preload_offset 0
		.amdhsa_user_sgpr_private_segment_size 0
		.amdhsa_uses_dynamic_stack 0
		.amdhsa_system_sgpr_private_segment_wavefront_offset 0
		.amdhsa_system_sgpr_workgroup_id_x 1
		.amdhsa_system_sgpr_workgroup_id_y 0
		.amdhsa_system_sgpr_workgroup_id_z 0
		.amdhsa_system_sgpr_workgroup_info 0
		.amdhsa_system_vgpr_workitem_id 0
		.amdhsa_next_free_vgpr 1
		.amdhsa_next_free_sgpr 0
		.amdhsa_accum_offset 4
		.amdhsa_reserve_vcc 0
		.amdhsa_reserve_flat_scratch 0
		.amdhsa_float_round_mode_32 0
		.amdhsa_float_round_mode_16_64 0
		.amdhsa_float_denorm_mode_32 3
		.amdhsa_float_denorm_mode_16_64 3
		.amdhsa_dx10_clamp 1
		.amdhsa_ieee_mode 1
		.amdhsa_fp16_overflow 0
		.amdhsa_tg_split 0
		.amdhsa_exception_fp_ieee_invalid_op 0
		.amdhsa_exception_fp_denorm_src 0
		.amdhsa_exception_fp_ieee_div_zero 0
		.amdhsa_exception_fp_ieee_overflow 0
		.amdhsa_exception_fp_ieee_underflow 0
		.amdhsa_exception_fp_ieee_inexact 0
		.amdhsa_exception_int_div_zero 0
	.end_amdhsa_kernel
	.section	.text._ZN7rocprim17ROCPRIM_400000_NS6detail17trampoline_kernelINS0_14default_configENS1_25partition_config_selectorILNS1_17partition_subalgoE8ElNS0_10empty_typeEbEEZZNS1_14partition_implILS5_8ELb0ES3_jPlPS6_PKS6_NS0_5tupleIJS9_S6_EEENSD_IJSA_SA_EEENS0_18inequality_wrapperIZN2at6native12_GLOBAL__N_124unique_dim_cuda_templateIN3c104HalfEEESt5tupleIJNSH_6TensorESO_SO_EERKSO_lbbbEUlllE0_EEPmJS6_EEE10hipError_tPvRmT3_T4_T5_T6_T7_T9_mT8_P12ihipStream_tbDpT10_ENKUlT_T0_E_clISt17integral_constantIbLb0EES1D_IbLb1EEEEDaS19_S1A_EUlS19_E_NS1_11comp_targetILNS1_3genE9ELNS1_11target_archE1100ELNS1_3gpuE3ELNS1_3repE0EEENS1_30default_config_static_selectorELNS0_4arch9wavefront6targetE1EEEvT1_,"axG",@progbits,_ZN7rocprim17ROCPRIM_400000_NS6detail17trampoline_kernelINS0_14default_configENS1_25partition_config_selectorILNS1_17partition_subalgoE8ElNS0_10empty_typeEbEEZZNS1_14partition_implILS5_8ELb0ES3_jPlPS6_PKS6_NS0_5tupleIJS9_S6_EEENSD_IJSA_SA_EEENS0_18inequality_wrapperIZN2at6native12_GLOBAL__N_124unique_dim_cuda_templateIN3c104HalfEEESt5tupleIJNSH_6TensorESO_SO_EERKSO_lbbbEUlllE0_EEPmJS6_EEE10hipError_tPvRmT3_T4_T5_T6_T7_T9_mT8_P12ihipStream_tbDpT10_ENKUlT_T0_E_clISt17integral_constantIbLb0EES1D_IbLb1EEEEDaS19_S1A_EUlS19_E_NS1_11comp_targetILNS1_3genE9ELNS1_11target_archE1100ELNS1_3gpuE3ELNS1_3repE0EEENS1_30default_config_static_selectorELNS0_4arch9wavefront6targetE1EEEvT1_,comdat
.Lfunc_end1325:
	.size	_ZN7rocprim17ROCPRIM_400000_NS6detail17trampoline_kernelINS0_14default_configENS1_25partition_config_selectorILNS1_17partition_subalgoE8ElNS0_10empty_typeEbEEZZNS1_14partition_implILS5_8ELb0ES3_jPlPS6_PKS6_NS0_5tupleIJS9_S6_EEENSD_IJSA_SA_EEENS0_18inequality_wrapperIZN2at6native12_GLOBAL__N_124unique_dim_cuda_templateIN3c104HalfEEESt5tupleIJNSH_6TensorESO_SO_EERKSO_lbbbEUlllE0_EEPmJS6_EEE10hipError_tPvRmT3_T4_T5_T6_T7_T9_mT8_P12ihipStream_tbDpT10_ENKUlT_T0_E_clISt17integral_constantIbLb0EES1D_IbLb1EEEEDaS19_S1A_EUlS19_E_NS1_11comp_targetILNS1_3genE9ELNS1_11target_archE1100ELNS1_3gpuE3ELNS1_3repE0EEENS1_30default_config_static_selectorELNS0_4arch9wavefront6targetE1EEEvT1_, .Lfunc_end1325-_ZN7rocprim17ROCPRIM_400000_NS6detail17trampoline_kernelINS0_14default_configENS1_25partition_config_selectorILNS1_17partition_subalgoE8ElNS0_10empty_typeEbEEZZNS1_14partition_implILS5_8ELb0ES3_jPlPS6_PKS6_NS0_5tupleIJS9_S6_EEENSD_IJSA_SA_EEENS0_18inequality_wrapperIZN2at6native12_GLOBAL__N_124unique_dim_cuda_templateIN3c104HalfEEESt5tupleIJNSH_6TensorESO_SO_EERKSO_lbbbEUlllE0_EEPmJS6_EEE10hipError_tPvRmT3_T4_T5_T6_T7_T9_mT8_P12ihipStream_tbDpT10_ENKUlT_T0_E_clISt17integral_constantIbLb0EES1D_IbLb1EEEEDaS19_S1A_EUlS19_E_NS1_11comp_targetILNS1_3genE9ELNS1_11target_archE1100ELNS1_3gpuE3ELNS1_3repE0EEENS1_30default_config_static_selectorELNS0_4arch9wavefront6targetE1EEEvT1_
                                        ; -- End function
	.section	.AMDGPU.csdata,"",@progbits
; Kernel info:
; codeLenInByte = 0
; NumSgprs: 4
; NumVgprs: 0
; NumAgprs: 0
; TotalNumVgprs: 0
; ScratchSize: 0
; MemoryBound: 0
; FloatMode: 240
; IeeeMode: 1
; LDSByteSize: 0 bytes/workgroup (compile time only)
; SGPRBlocks: 0
; VGPRBlocks: 0
; NumSGPRsForWavesPerEU: 4
; NumVGPRsForWavesPerEU: 1
; AccumOffset: 4
; Occupancy: 8
; WaveLimiterHint : 0
; COMPUTE_PGM_RSRC2:SCRATCH_EN: 0
; COMPUTE_PGM_RSRC2:USER_SGPR: 6
; COMPUTE_PGM_RSRC2:TRAP_HANDLER: 0
; COMPUTE_PGM_RSRC2:TGID_X_EN: 1
; COMPUTE_PGM_RSRC2:TGID_Y_EN: 0
; COMPUTE_PGM_RSRC2:TGID_Z_EN: 0
; COMPUTE_PGM_RSRC2:TIDIG_COMP_CNT: 0
; COMPUTE_PGM_RSRC3_GFX90A:ACCUM_OFFSET: 0
; COMPUTE_PGM_RSRC3_GFX90A:TG_SPLIT: 0
	.section	.text._ZN7rocprim17ROCPRIM_400000_NS6detail17trampoline_kernelINS0_14default_configENS1_25partition_config_selectorILNS1_17partition_subalgoE8ElNS0_10empty_typeEbEEZZNS1_14partition_implILS5_8ELb0ES3_jPlPS6_PKS6_NS0_5tupleIJS9_S6_EEENSD_IJSA_SA_EEENS0_18inequality_wrapperIZN2at6native12_GLOBAL__N_124unique_dim_cuda_templateIN3c104HalfEEESt5tupleIJNSH_6TensorESO_SO_EERKSO_lbbbEUlllE0_EEPmJS6_EEE10hipError_tPvRmT3_T4_T5_T6_T7_T9_mT8_P12ihipStream_tbDpT10_ENKUlT_T0_E_clISt17integral_constantIbLb0EES1D_IbLb1EEEEDaS19_S1A_EUlS19_E_NS1_11comp_targetILNS1_3genE8ELNS1_11target_archE1030ELNS1_3gpuE2ELNS1_3repE0EEENS1_30default_config_static_selectorELNS0_4arch9wavefront6targetE1EEEvT1_,"axG",@progbits,_ZN7rocprim17ROCPRIM_400000_NS6detail17trampoline_kernelINS0_14default_configENS1_25partition_config_selectorILNS1_17partition_subalgoE8ElNS0_10empty_typeEbEEZZNS1_14partition_implILS5_8ELb0ES3_jPlPS6_PKS6_NS0_5tupleIJS9_S6_EEENSD_IJSA_SA_EEENS0_18inequality_wrapperIZN2at6native12_GLOBAL__N_124unique_dim_cuda_templateIN3c104HalfEEESt5tupleIJNSH_6TensorESO_SO_EERKSO_lbbbEUlllE0_EEPmJS6_EEE10hipError_tPvRmT3_T4_T5_T6_T7_T9_mT8_P12ihipStream_tbDpT10_ENKUlT_T0_E_clISt17integral_constantIbLb0EES1D_IbLb1EEEEDaS19_S1A_EUlS19_E_NS1_11comp_targetILNS1_3genE8ELNS1_11target_archE1030ELNS1_3gpuE2ELNS1_3repE0EEENS1_30default_config_static_selectorELNS0_4arch9wavefront6targetE1EEEvT1_,comdat
	.globl	_ZN7rocprim17ROCPRIM_400000_NS6detail17trampoline_kernelINS0_14default_configENS1_25partition_config_selectorILNS1_17partition_subalgoE8ElNS0_10empty_typeEbEEZZNS1_14partition_implILS5_8ELb0ES3_jPlPS6_PKS6_NS0_5tupleIJS9_S6_EEENSD_IJSA_SA_EEENS0_18inequality_wrapperIZN2at6native12_GLOBAL__N_124unique_dim_cuda_templateIN3c104HalfEEESt5tupleIJNSH_6TensorESO_SO_EERKSO_lbbbEUlllE0_EEPmJS6_EEE10hipError_tPvRmT3_T4_T5_T6_T7_T9_mT8_P12ihipStream_tbDpT10_ENKUlT_T0_E_clISt17integral_constantIbLb0EES1D_IbLb1EEEEDaS19_S1A_EUlS19_E_NS1_11comp_targetILNS1_3genE8ELNS1_11target_archE1030ELNS1_3gpuE2ELNS1_3repE0EEENS1_30default_config_static_selectorELNS0_4arch9wavefront6targetE1EEEvT1_ ; -- Begin function _ZN7rocprim17ROCPRIM_400000_NS6detail17trampoline_kernelINS0_14default_configENS1_25partition_config_selectorILNS1_17partition_subalgoE8ElNS0_10empty_typeEbEEZZNS1_14partition_implILS5_8ELb0ES3_jPlPS6_PKS6_NS0_5tupleIJS9_S6_EEENSD_IJSA_SA_EEENS0_18inequality_wrapperIZN2at6native12_GLOBAL__N_124unique_dim_cuda_templateIN3c104HalfEEESt5tupleIJNSH_6TensorESO_SO_EERKSO_lbbbEUlllE0_EEPmJS6_EEE10hipError_tPvRmT3_T4_T5_T6_T7_T9_mT8_P12ihipStream_tbDpT10_ENKUlT_T0_E_clISt17integral_constantIbLb0EES1D_IbLb1EEEEDaS19_S1A_EUlS19_E_NS1_11comp_targetILNS1_3genE8ELNS1_11target_archE1030ELNS1_3gpuE2ELNS1_3repE0EEENS1_30default_config_static_selectorELNS0_4arch9wavefront6targetE1EEEvT1_
	.p2align	8
	.type	_ZN7rocprim17ROCPRIM_400000_NS6detail17trampoline_kernelINS0_14default_configENS1_25partition_config_selectorILNS1_17partition_subalgoE8ElNS0_10empty_typeEbEEZZNS1_14partition_implILS5_8ELb0ES3_jPlPS6_PKS6_NS0_5tupleIJS9_S6_EEENSD_IJSA_SA_EEENS0_18inequality_wrapperIZN2at6native12_GLOBAL__N_124unique_dim_cuda_templateIN3c104HalfEEESt5tupleIJNSH_6TensorESO_SO_EERKSO_lbbbEUlllE0_EEPmJS6_EEE10hipError_tPvRmT3_T4_T5_T6_T7_T9_mT8_P12ihipStream_tbDpT10_ENKUlT_T0_E_clISt17integral_constantIbLb0EES1D_IbLb1EEEEDaS19_S1A_EUlS19_E_NS1_11comp_targetILNS1_3genE8ELNS1_11target_archE1030ELNS1_3gpuE2ELNS1_3repE0EEENS1_30default_config_static_selectorELNS0_4arch9wavefront6targetE1EEEvT1_,@function
_ZN7rocprim17ROCPRIM_400000_NS6detail17trampoline_kernelINS0_14default_configENS1_25partition_config_selectorILNS1_17partition_subalgoE8ElNS0_10empty_typeEbEEZZNS1_14partition_implILS5_8ELb0ES3_jPlPS6_PKS6_NS0_5tupleIJS9_S6_EEENSD_IJSA_SA_EEENS0_18inequality_wrapperIZN2at6native12_GLOBAL__N_124unique_dim_cuda_templateIN3c104HalfEEESt5tupleIJNSH_6TensorESO_SO_EERKSO_lbbbEUlllE0_EEPmJS6_EEE10hipError_tPvRmT3_T4_T5_T6_T7_T9_mT8_P12ihipStream_tbDpT10_ENKUlT_T0_E_clISt17integral_constantIbLb0EES1D_IbLb1EEEEDaS19_S1A_EUlS19_E_NS1_11comp_targetILNS1_3genE8ELNS1_11target_archE1030ELNS1_3gpuE2ELNS1_3repE0EEENS1_30default_config_static_selectorELNS0_4arch9wavefront6targetE1EEEvT1_: ; @_ZN7rocprim17ROCPRIM_400000_NS6detail17trampoline_kernelINS0_14default_configENS1_25partition_config_selectorILNS1_17partition_subalgoE8ElNS0_10empty_typeEbEEZZNS1_14partition_implILS5_8ELb0ES3_jPlPS6_PKS6_NS0_5tupleIJS9_S6_EEENSD_IJSA_SA_EEENS0_18inequality_wrapperIZN2at6native12_GLOBAL__N_124unique_dim_cuda_templateIN3c104HalfEEESt5tupleIJNSH_6TensorESO_SO_EERKSO_lbbbEUlllE0_EEPmJS6_EEE10hipError_tPvRmT3_T4_T5_T6_T7_T9_mT8_P12ihipStream_tbDpT10_ENKUlT_T0_E_clISt17integral_constantIbLb0EES1D_IbLb1EEEEDaS19_S1A_EUlS19_E_NS1_11comp_targetILNS1_3genE8ELNS1_11target_archE1030ELNS1_3gpuE2ELNS1_3repE0EEENS1_30default_config_static_selectorELNS0_4arch9wavefront6targetE1EEEvT1_
; %bb.0:
	.section	.rodata,"a",@progbits
	.p2align	6, 0x0
	.amdhsa_kernel _ZN7rocprim17ROCPRIM_400000_NS6detail17trampoline_kernelINS0_14default_configENS1_25partition_config_selectorILNS1_17partition_subalgoE8ElNS0_10empty_typeEbEEZZNS1_14partition_implILS5_8ELb0ES3_jPlPS6_PKS6_NS0_5tupleIJS9_S6_EEENSD_IJSA_SA_EEENS0_18inequality_wrapperIZN2at6native12_GLOBAL__N_124unique_dim_cuda_templateIN3c104HalfEEESt5tupleIJNSH_6TensorESO_SO_EERKSO_lbbbEUlllE0_EEPmJS6_EEE10hipError_tPvRmT3_T4_T5_T6_T7_T9_mT8_P12ihipStream_tbDpT10_ENKUlT_T0_E_clISt17integral_constantIbLb0EES1D_IbLb1EEEEDaS19_S1A_EUlS19_E_NS1_11comp_targetILNS1_3genE8ELNS1_11target_archE1030ELNS1_3gpuE2ELNS1_3repE0EEENS1_30default_config_static_selectorELNS0_4arch9wavefront6targetE1EEEvT1_
		.amdhsa_group_segment_fixed_size 0
		.amdhsa_private_segment_fixed_size 0
		.amdhsa_kernarg_size 136
		.amdhsa_user_sgpr_count 6
		.amdhsa_user_sgpr_private_segment_buffer 1
		.amdhsa_user_sgpr_dispatch_ptr 0
		.amdhsa_user_sgpr_queue_ptr 0
		.amdhsa_user_sgpr_kernarg_segment_ptr 1
		.amdhsa_user_sgpr_dispatch_id 0
		.amdhsa_user_sgpr_flat_scratch_init 0
		.amdhsa_user_sgpr_kernarg_preload_length 0
		.amdhsa_user_sgpr_kernarg_preload_offset 0
		.amdhsa_user_sgpr_private_segment_size 0
		.amdhsa_uses_dynamic_stack 0
		.amdhsa_system_sgpr_private_segment_wavefront_offset 0
		.amdhsa_system_sgpr_workgroup_id_x 1
		.amdhsa_system_sgpr_workgroup_id_y 0
		.amdhsa_system_sgpr_workgroup_id_z 0
		.amdhsa_system_sgpr_workgroup_info 0
		.amdhsa_system_vgpr_workitem_id 0
		.amdhsa_next_free_vgpr 1
		.amdhsa_next_free_sgpr 0
		.amdhsa_accum_offset 4
		.amdhsa_reserve_vcc 0
		.amdhsa_reserve_flat_scratch 0
		.amdhsa_float_round_mode_32 0
		.amdhsa_float_round_mode_16_64 0
		.amdhsa_float_denorm_mode_32 3
		.amdhsa_float_denorm_mode_16_64 3
		.amdhsa_dx10_clamp 1
		.amdhsa_ieee_mode 1
		.amdhsa_fp16_overflow 0
		.amdhsa_tg_split 0
		.amdhsa_exception_fp_ieee_invalid_op 0
		.amdhsa_exception_fp_denorm_src 0
		.amdhsa_exception_fp_ieee_div_zero 0
		.amdhsa_exception_fp_ieee_overflow 0
		.amdhsa_exception_fp_ieee_underflow 0
		.amdhsa_exception_fp_ieee_inexact 0
		.amdhsa_exception_int_div_zero 0
	.end_amdhsa_kernel
	.section	.text._ZN7rocprim17ROCPRIM_400000_NS6detail17trampoline_kernelINS0_14default_configENS1_25partition_config_selectorILNS1_17partition_subalgoE8ElNS0_10empty_typeEbEEZZNS1_14partition_implILS5_8ELb0ES3_jPlPS6_PKS6_NS0_5tupleIJS9_S6_EEENSD_IJSA_SA_EEENS0_18inequality_wrapperIZN2at6native12_GLOBAL__N_124unique_dim_cuda_templateIN3c104HalfEEESt5tupleIJNSH_6TensorESO_SO_EERKSO_lbbbEUlllE0_EEPmJS6_EEE10hipError_tPvRmT3_T4_T5_T6_T7_T9_mT8_P12ihipStream_tbDpT10_ENKUlT_T0_E_clISt17integral_constantIbLb0EES1D_IbLb1EEEEDaS19_S1A_EUlS19_E_NS1_11comp_targetILNS1_3genE8ELNS1_11target_archE1030ELNS1_3gpuE2ELNS1_3repE0EEENS1_30default_config_static_selectorELNS0_4arch9wavefront6targetE1EEEvT1_,"axG",@progbits,_ZN7rocprim17ROCPRIM_400000_NS6detail17trampoline_kernelINS0_14default_configENS1_25partition_config_selectorILNS1_17partition_subalgoE8ElNS0_10empty_typeEbEEZZNS1_14partition_implILS5_8ELb0ES3_jPlPS6_PKS6_NS0_5tupleIJS9_S6_EEENSD_IJSA_SA_EEENS0_18inequality_wrapperIZN2at6native12_GLOBAL__N_124unique_dim_cuda_templateIN3c104HalfEEESt5tupleIJNSH_6TensorESO_SO_EERKSO_lbbbEUlllE0_EEPmJS6_EEE10hipError_tPvRmT3_T4_T5_T6_T7_T9_mT8_P12ihipStream_tbDpT10_ENKUlT_T0_E_clISt17integral_constantIbLb0EES1D_IbLb1EEEEDaS19_S1A_EUlS19_E_NS1_11comp_targetILNS1_3genE8ELNS1_11target_archE1030ELNS1_3gpuE2ELNS1_3repE0EEENS1_30default_config_static_selectorELNS0_4arch9wavefront6targetE1EEEvT1_,comdat
.Lfunc_end1326:
	.size	_ZN7rocprim17ROCPRIM_400000_NS6detail17trampoline_kernelINS0_14default_configENS1_25partition_config_selectorILNS1_17partition_subalgoE8ElNS0_10empty_typeEbEEZZNS1_14partition_implILS5_8ELb0ES3_jPlPS6_PKS6_NS0_5tupleIJS9_S6_EEENSD_IJSA_SA_EEENS0_18inequality_wrapperIZN2at6native12_GLOBAL__N_124unique_dim_cuda_templateIN3c104HalfEEESt5tupleIJNSH_6TensorESO_SO_EERKSO_lbbbEUlllE0_EEPmJS6_EEE10hipError_tPvRmT3_T4_T5_T6_T7_T9_mT8_P12ihipStream_tbDpT10_ENKUlT_T0_E_clISt17integral_constantIbLb0EES1D_IbLb1EEEEDaS19_S1A_EUlS19_E_NS1_11comp_targetILNS1_3genE8ELNS1_11target_archE1030ELNS1_3gpuE2ELNS1_3repE0EEENS1_30default_config_static_selectorELNS0_4arch9wavefront6targetE1EEEvT1_, .Lfunc_end1326-_ZN7rocprim17ROCPRIM_400000_NS6detail17trampoline_kernelINS0_14default_configENS1_25partition_config_selectorILNS1_17partition_subalgoE8ElNS0_10empty_typeEbEEZZNS1_14partition_implILS5_8ELb0ES3_jPlPS6_PKS6_NS0_5tupleIJS9_S6_EEENSD_IJSA_SA_EEENS0_18inequality_wrapperIZN2at6native12_GLOBAL__N_124unique_dim_cuda_templateIN3c104HalfEEESt5tupleIJNSH_6TensorESO_SO_EERKSO_lbbbEUlllE0_EEPmJS6_EEE10hipError_tPvRmT3_T4_T5_T6_T7_T9_mT8_P12ihipStream_tbDpT10_ENKUlT_T0_E_clISt17integral_constantIbLb0EES1D_IbLb1EEEEDaS19_S1A_EUlS19_E_NS1_11comp_targetILNS1_3genE8ELNS1_11target_archE1030ELNS1_3gpuE2ELNS1_3repE0EEENS1_30default_config_static_selectorELNS0_4arch9wavefront6targetE1EEEvT1_
                                        ; -- End function
	.section	.AMDGPU.csdata,"",@progbits
; Kernel info:
; codeLenInByte = 0
; NumSgprs: 4
; NumVgprs: 0
; NumAgprs: 0
; TotalNumVgprs: 0
; ScratchSize: 0
; MemoryBound: 0
; FloatMode: 240
; IeeeMode: 1
; LDSByteSize: 0 bytes/workgroup (compile time only)
; SGPRBlocks: 0
; VGPRBlocks: 0
; NumSGPRsForWavesPerEU: 4
; NumVGPRsForWavesPerEU: 1
; AccumOffset: 4
; Occupancy: 8
; WaveLimiterHint : 0
; COMPUTE_PGM_RSRC2:SCRATCH_EN: 0
; COMPUTE_PGM_RSRC2:USER_SGPR: 6
; COMPUTE_PGM_RSRC2:TRAP_HANDLER: 0
; COMPUTE_PGM_RSRC2:TGID_X_EN: 1
; COMPUTE_PGM_RSRC2:TGID_Y_EN: 0
; COMPUTE_PGM_RSRC2:TGID_Z_EN: 0
; COMPUTE_PGM_RSRC2:TIDIG_COMP_CNT: 0
; COMPUTE_PGM_RSRC3_GFX90A:ACCUM_OFFSET: 0
; COMPUTE_PGM_RSRC3_GFX90A:TG_SPLIT: 0
	.section	.text._ZN7rocprim17ROCPRIM_400000_NS6detail17trampoline_kernelINS0_14default_configENS1_25partition_config_selectorILNS1_17partition_subalgoE9EllbEEZZNS1_14partition_implILS5_9ELb0ES3_jPlS8_PNS0_10empty_typeENS0_5tupleIJS8_S9_EEENSB_IJS8_SA_EEENS0_18inequality_wrapperIZN2at6native12_GLOBAL__N_124unique_dim_cuda_templateIN3c104HalfEEESt5tupleIJNSF_6TensorESM_SM_EERKSM_lbbbEUlllE0_EEPmJS9_EEE10hipError_tPvRmT3_T4_T5_T6_T7_T9_mT8_P12ihipStream_tbDpT10_ENKUlT_T0_E_clISt17integral_constantIbLb0EES1C_EEDaS17_S18_EUlS17_E_NS1_11comp_targetILNS1_3genE0ELNS1_11target_archE4294967295ELNS1_3gpuE0ELNS1_3repE0EEENS1_30default_config_static_selectorELNS0_4arch9wavefront6targetE1EEEvT1_,"axG",@progbits,_ZN7rocprim17ROCPRIM_400000_NS6detail17trampoline_kernelINS0_14default_configENS1_25partition_config_selectorILNS1_17partition_subalgoE9EllbEEZZNS1_14partition_implILS5_9ELb0ES3_jPlS8_PNS0_10empty_typeENS0_5tupleIJS8_S9_EEENSB_IJS8_SA_EEENS0_18inequality_wrapperIZN2at6native12_GLOBAL__N_124unique_dim_cuda_templateIN3c104HalfEEESt5tupleIJNSF_6TensorESM_SM_EERKSM_lbbbEUlllE0_EEPmJS9_EEE10hipError_tPvRmT3_T4_T5_T6_T7_T9_mT8_P12ihipStream_tbDpT10_ENKUlT_T0_E_clISt17integral_constantIbLb0EES1C_EEDaS17_S18_EUlS17_E_NS1_11comp_targetILNS1_3genE0ELNS1_11target_archE4294967295ELNS1_3gpuE0ELNS1_3repE0EEENS1_30default_config_static_selectorELNS0_4arch9wavefront6targetE1EEEvT1_,comdat
	.globl	_ZN7rocprim17ROCPRIM_400000_NS6detail17trampoline_kernelINS0_14default_configENS1_25partition_config_selectorILNS1_17partition_subalgoE9EllbEEZZNS1_14partition_implILS5_9ELb0ES3_jPlS8_PNS0_10empty_typeENS0_5tupleIJS8_S9_EEENSB_IJS8_SA_EEENS0_18inequality_wrapperIZN2at6native12_GLOBAL__N_124unique_dim_cuda_templateIN3c104HalfEEESt5tupleIJNSF_6TensorESM_SM_EERKSM_lbbbEUlllE0_EEPmJS9_EEE10hipError_tPvRmT3_T4_T5_T6_T7_T9_mT8_P12ihipStream_tbDpT10_ENKUlT_T0_E_clISt17integral_constantIbLb0EES1C_EEDaS17_S18_EUlS17_E_NS1_11comp_targetILNS1_3genE0ELNS1_11target_archE4294967295ELNS1_3gpuE0ELNS1_3repE0EEENS1_30default_config_static_selectorELNS0_4arch9wavefront6targetE1EEEvT1_ ; -- Begin function _ZN7rocprim17ROCPRIM_400000_NS6detail17trampoline_kernelINS0_14default_configENS1_25partition_config_selectorILNS1_17partition_subalgoE9EllbEEZZNS1_14partition_implILS5_9ELb0ES3_jPlS8_PNS0_10empty_typeENS0_5tupleIJS8_S9_EEENSB_IJS8_SA_EEENS0_18inequality_wrapperIZN2at6native12_GLOBAL__N_124unique_dim_cuda_templateIN3c104HalfEEESt5tupleIJNSF_6TensorESM_SM_EERKSM_lbbbEUlllE0_EEPmJS9_EEE10hipError_tPvRmT3_T4_T5_T6_T7_T9_mT8_P12ihipStream_tbDpT10_ENKUlT_T0_E_clISt17integral_constantIbLb0EES1C_EEDaS17_S18_EUlS17_E_NS1_11comp_targetILNS1_3genE0ELNS1_11target_archE4294967295ELNS1_3gpuE0ELNS1_3repE0EEENS1_30default_config_static_selectorELNS0_4arch9wavefront6targetE1EEEvT1_
	.p2align	8
	.type	_ZN7rocprim17ROCPRIM_400000_NS6detail17trampoline_kernelINS0_14default_configENS1_25partition_config_selectorILNS1_17partition_subalgoE9EllbEEZZNS1_14partition_implILS5_9ELb0ES3_jPlS8_PNS0_10empty_typeENS0_5tupleIJS8_S9_EEENSB_IJS8_SA_EEENS0_18inequality_wrapperIZN2at6native12_GLOBAL__N_124unique_dim_cuda_templateIN3c104HalfEEESt5tupleIJNSF_6TensorESM_SM_EERKSM_lbbbEUlllE0_EEPmJS9_EEE10hipError_tPvRmT3_T4_T5_T6_T7_T9_mT8_P12ihipStream_tbDpT10_ENKUlT_T0_E_clISt17integral_constantIbLb0EES1C_EEDaS17_S18_EUlS17_E_NS1_11comp_targetILNS1_3genE0ELNS1_11target_archE4294967295ELNS1_3gpuE0ELNS1_3repE0EEENS1_30default_config_static_selectorELNS0_4arch9wavefront6targetE1EEEvT1_,@function
_ZN7rocprim17ROCPRIM_400000_NS6detail17trampoline_kernelINS0_14default_configENS1_25partition_config_selectorILNS1_17partition_subalgoE9EllbEEZZNS1_14partition_implILS5_9ELb0ES3_jPlS8_PNS0_10empty_typeENS0_5tupleIJS8_S9_EEENSB_IJS8_SA_EEENS0_18inequality_wrapperIZN2at6native12_GLOBAL__N_124unique_dim_cuda_templateIN3c104HalfEEESt5tupleIJNSF_6TensorESM_SM_EERKSM_lbbbEUlllE0_EEPmJS9_EEE10hipError_tPvRmT3_T4_T5_T6_T7_T9_mT8_P12ihipStream_tbDpT10_ENKUlT_T0_E_clISt17integral_constantIbLb0EES1C_EEDaS17_S18_EUlS17_E_NS1_11comp_targetILNS1_3genE0ELNS1_11target_archE4294967295ELNS1_3gpuE0ELNS1_3repE0EEENS1_30default_config_static_selectorELNS0_4arch9wavefront6targetE1EEEvT1_: ; @_ZN7rocprim17ROCPRIM_400000_NS6detail17trampoline_kernelINS0_14default_configENS1_25partition_config_selectorILNS1_17partition_subalgoE9EllbEEZZNS1_14partition_implILS5_9ELb0ES3_jPlS8_PNS0_10empty_typeENS0_5tupleIJS8_S9_EEENSB_IJS8_SA_EEENS0_18inequality_wrapperIZN2at6native12_GLOBAL__N_124unique_dim_cuda_templateIN3c104HalfEEESt5tupleIJNSF_6TensorESM_SM_EERKSM_lbbbEUlllE0_EEPmJS9_EEE10hipError_tPvRmT3_T4_T5_T6_T7_T9_mT8_P12ihipStream_tbDpT10_ENKUlT_T0_E_clISt17integral_constantIbLb0EES1C_EEDaS17_S18_EUlS17_E_NS1_11comp_targetILNS1_3genE0ELNS1_11target_archE4294967295ELNS1_3gpuE0ELNS1_3repE0EEENS1_30default_config_static_selectorELNS0_4arch9wavefront6targetE1EEEvT1_
; %bb.0:
	.section	.rodata,"a",@progbits
	.p2align	6, 0x0
	.amdhsa_kernel _ZN7rocprim17ROCPRIM_400000_NS6detail17trampoline_kernelINS0_14default_configENS1_25partition_config_selectorILNS1_17partition_subalgoE9EllbEEZZNS1_14partition_implILS5_9ELb0ES3_jPlS8_PNS0_10empty_typeENS0_5tupleIJS8_S9_EEENSB_IJS8_SA_EEENS0_18inequality_wrapperIZN2at6native12_GLOBAL__N_124unique_dim_cuda_templateIN3c104HalfEEESt5tupleIJNSF_6TensorESM_SM_EERKSM_lbbbEUlllE0_EEPmJS9_EEE10hipError_tPvRmT3_T4_T5_T6_T7_T9_mT8_P12ihipStream_tbDpT10_ENKUlT_T0_E_clISt17integral_constantIbLb0EES1C_EEDaS17_S18_EUlS17_E_NS1_11comp_targetILNS1_3genE0ELNS1_11target_archE4294967295ELNS1_3gpuE0ELNS1_3repE0EEENS1_30default_config_static_selectorELNS0_4arch9wavefront6targetE1EEEvT1_
		.amdhsa_group_segment_fixed_size 0
		.amdhsa_private_segment_fixed_size 0
		.amdhsa_kernarg_size 120
		.amdhsa_user_sgpr_count 6
		.amdhsa_user_sgpr_private_segment_buffer 1
		.amdhsa_user_sgpr_dispatch_ptr 0
		.amdhsa_user_sgpr_queue_ptr 0
		.amdhsa_user_sgpr_kernarg_segment_ptr 1
		.amdhsa_user_sgpr_dispatch_id 0
		.amdhsa_user_sgpr_flat_scratch_init 0
		.amdhsa_user_sgpr_kernarg_preload_length 0
		.amdhsa_user_sgpr_kernarg_preload_offset 0
		.amdhsa_user_sgpr_private_segment_size 0
		.amdhsa_uses_dynamic_stack 0
		.amdhsa_system_sgpr_private_segment_wavefront_offset 0
		.amdhsa_system_sgpr_workgroup_id_x 1
		.amdhsa_system_sgpr_workgroup_id_y 0
		.amdhsa_system_sgpr_workgroup_id_z 0
		.amdhsa_system_sgpr_workgroup_info 0
		.amdhsa_system_vgpr_workitem_id 0
		.amdhsa_next_free_vgpr 1
		.amdhsa_next_free_sgpr 0
		.amdhsa_accum_offset 4
		.amdhsa_reserve_vcc 0
		.amdhsa_reserve_flat_scratch 0
		.amdhsa_float_round_mode_32 0
		.amdhsa_float_round_mode_16_64 0
		.amdhsa_float_denorm_mode_32 3
		.amdhsa_float_denorm_mode_16_64 3
		.amdhsa_dx10_clamp 1
		.amdhsa_ieee_mode 1
		.amdhsa_fp16_overflow 0
		.amdhsa_tg_split 0
		.amdhsa_exception_fp_ieee_invalid_op 0
		.amdhsa_exception_fp_denorm_src 0
		.amdhsa_exception_fp_ieee_div_zero 0
		.amdhsa_exception_fp_ieee_overflow 0
		.amdhsa_exception_fp_ieee_underflow 0
		.amdhsa_exception_fp_ieee_inexact 0
		.amdhsa_exception_int_div_zero 0
	.end_amdhsa_kernel
	.section	.text._ZN7rocprim17ROCPRIM_400000_NS6detail17trampoline_kernelINS0_14default_configENS1_25partition_config_selectorILNS1_17partition_subalgoE9EllbEEZZNS1_14partition_implILS5_9ELb0ES3_jPlS8_PNS0_10empty_typeENS0_5tupleIJS8_S9_EEENSB_IJS8_SA_EEENS0_18inequality_wrapperIZN2at6native12_GLOBAL__N_124unique_dim_cuda_templateIN3c104HalfEEESt5tupleIJNSF_6TensorESM_SM_EERKSM_lbbbEUlllE0_EEPmJS9_EEE10hipError_tPvRmT3_T4_T5_T6_T7_T9_mT8_P12ihipStream_tbDpT10_ENKUlT_T0_E_clISt17integral_constantIbLb0EES1C_EEDaS17_S18_EUlS17_E_NS1_11comp_targetILNS1_3genE0ELNS1_11target_archE4294967295ELNS1_3gpuE0ELNS1_3repE0EEENS1_30default_config_static_selectorELNS0_4arch9wavefront6targetE1EEEvT1_,"axG",@progbits,_ZN7rocprim17ROCPRIM_400000_NS6detail17trampoline_kernelINS0_14default_configENS1_25partition_config_selectorILNS1_17partition_subalgoE9EllbEEZZNS1_14partition_implILS5_9ELb0ES3_jPlS8_PNS0_10empty_typeENS0_5tupleIJS8_S9_EEENSB_IJS8_SA_EEENS0_18inequality_wrapperIZN2at6native12_GLOBAL__N_124unique_dim_cuda_templateIN3c104HalfEEESt5tupleIJNSF_6TensorESM_SM_EERKSM_lbbbEUlllE0_EEPmJS9_EEE10hipError_tPvRmT3_T4_T5_T6_T7_T9_mT8_P12ihipStream_tbDpT10_ENKUlT_T0_E_clISt17integral_constantIbLb0EES1C_EEDaS17_S18_EUlS17_E_NS1_11comp_targetILNS1_3genE0ELNS1_11target_archE4294967295ELNS1_3gpuE0ELNS1_3repE0EEENS1_30default_config_static_selectorELNS0_4arch9wavefront6targetE1EEEvT1_,comdat
.Lfunc_end1327:
	.size	_ZN7rocprim17ROCPRIM_400000_NS6detail17trampoline_kernelINS0_14default_configENS1_25partition_config_selectorILNS1_17partition_subalgoE9EllbEEZZNS1_14partition_implILS5_9ELb0ES3_jPlS8_PNS0_10empty_typeENS0_5tupleIJS8_S9_EEENSB_IJS8_SA_EEENS0_18inequality_wrapperIZN2at6native12_GLOBAL__N_124unique_dim_cuda_templateIN3c104HalfEEESt5tupleIJNSF_6TensorESM_SM_EERKSM_lbbbEUlllE0_EEPmJS9_EEE10hipError_tPvRmT3_T4_T5_T6_T7_T9_mT8_P12ihipStream_tbDpT10_ENKUlT_T0_E_clISt17integral_constantIbLb0EES1C_EEDaS17_S18_EUlS17_E_NS1_11comp_targetILNS1_3genE0ELNS1_11target_archE4294967295ELNS1_3gpuE0ELNS1_3repE0EEENS1_30default_config_static_selectorELNS0_4arch9wavefront6targetE1EEEvT1_, .Lfunc_end1327-_ZN7rocprim17ROCPRIM_400000_NS6detail17trampoline_kernelINS0_14default_configENS1_25partition_config_selectorILNS1_17partition_subalgoE9EllbEEZZNS1_14partition_implILS5_9ELb0ES3_jPlS8_PNS0_10empty_typeENS0_5tupleIJS8_S9_EEENSB_IJS8_SA_EEENS0_18inequality_wrapperIZN2at6native12_GLOBAL__N_124unique_dim_cuda_templateIN3c104HalfEEESt5tupleIJNSF_6TensorESM_SM_EERKSM_lbbbEUlllE0_EEPmJS9_EEE10hipError_tPvRmT3_T4_T5_T6_T7_T9_mT8_P12ihipStream_tbDpT10_ENKUlT_T0_E_clISt17integral_constantIbLb0EES1C_EEDaS17_S18_EUlS17_E_NS1_11comp_targetILNS1_3genE0ELNS1_11target_archE4294967295ELNS1_3gpuE0ELNS1_3repE0EEENS1_30default_config_static_selectorELNS0_4arch9wavefront6targetE1EEEvT1_
                                        ; -- End function
	.section	.AMDGPU.csdata,"",@progbits
; Kernel info:
; codeLenInByte = 0
; NumSgprs: 4
; NumVgprs: 0
; NumAgprs: 0
; TotalNumVgprs: 0
; ScratchSize: 0
; MemoryBound: 0
; FloatMode: 240
; IeeeMode: 1
; LDSByteSize: 0 bytes/workgroup (compile time only)
; SGPRBlocks: 0
; VGPRBlocks: 0
; NumSGPRsForWavesPerEU: 4
; NumVGPRsForWavesPerEU: 1
; AccumOffset: 4
; Occupancy: 8
; WaveLimiterHint : 0
; COMPUTE_PGM_RSRC2:SCRATCH_EN: 0
; COMPUTE_PGM_RSRC2:USER_SGPR: 6
; COMPUTE_PGM_RSRC2:TRAP_HANDLER: 0
; COMPUTE_PGM_RSRC2:TGID_X_EN: 1
; COMPUTE_PGM_RSRC2:TGID_Y_EN: 0
; COMPUTE_PGM_RSRC2:TGID_Z_EN: 0
; COMPUTE_PGM_RSRC2:TIDIG_COMP_CNT: 0
; COMPUTE_PGM_RSRC3_GFX90A:ACCUM_OFFSET: 0
; COMPUTE_PGM_RSRC3_GFX90A:TG_SPLIT: 0
	.section	.text._ZN7rocprim17ROCPRIM_400000_NS6detail17trampoline_kernelINS0_14default_configENS1_25partition_config_selectorILNS1_17partition_subalgoE9EllbEEZZNS1_14partition_implILS5_9ELb0ES3_jPlS8_PNS0_10empty_typeENS0_5tupleIJS8_S9_EEENSB_IJS8_SA_EEENS0_18inequality_wrapperIZN2at6native12_GLOBAL__N_124unique_dim_cuda_templateIN3c104HalfEEESt5tupleIJNSF_6TensorESM_SM_EERKSM_lbbbEUlllE0_EEPmJS9_EEE10hipError_tPvRmT3_T4_T5_T6_T7_T9_mT8_P12ihipStream_tbDpT10_ENKUlT_T0_E_clISt17integral_constantIbLb0EES1C_EEDaS17_S18_EUlS17_E_NS1_11comp_targetILNS1_3genE5ELNS1_11target_archE942ELNS1_3gpuE9ELNS1_3repE0EEENS1_30default_config_static_selectorELNS0_4arch9wavefront6targetE1EEEvT1_,"axG",@progbits,_ZN7rocprim17ROCPRIM_400000_NS6detail17trampoline_kernelINS0_14default_configENS1_25partition_config_selectorILNS1_17partition_subalgoE9EllbEEZZNS1_14partition_implILS5_9ELb0ES3_jPlS8_PNS0_10empty_typeENS0_5tupleIJS8_S9_EEENSB_IJS8_SA_EEENS0_18inequality_wrapperIZN2at6native12_GLOBAL__N_124unique_dim_cuda_templateIN3c104HalfEEESt5tupleIJNSF_6TensorESM_SM_EERKSM_lbbbEUlllE0_EEPmJS9_EEE10hipError_tPvRmT3_T4_T5_T6_T7_T9_mT8_P12ihipStream_tbDpT10_ENKUlT_T0_E_clISt17integral_constantIbLb0EES1C_EEDaS17_S18_EUlS17_E_NS1_11comp_targetILNS1_3genE5ELNS1_11target_archE942ELNS1_3gpuE9ELNS1_3repE0EEENS1_30default_config_static_selectorELNS0_4arch9wavefront6targetE1EEEvT1_,comdat
	.globl	_ZN7rocprim17ROCPRIM_400000_NS6detail17trampoline_kernelINS0_14default_configENS1_25partition_config_selectorILNS1_17partition_subalgoE9EllbEEZZNS1_14partition_implILS5_9ELb0ES3_jPlS8_PNS0_10empty_typeENS0_5tupleIJS8_S9_EEENSB_IJS8_SA_EEENS0_18inequality_wrapperIZN2at6native12_GLOBAL__N_124unique_dim_cuda_templateIN3c104HalfEEESt5tupleIJNSF_6TensorESM_SM_EERKSM_lbbbEUlllE0_EEPmJS9_EEE10hipError_tPvRmT3_T4_T5_T6_T7_T9_mT8_P12ihipStream_tbDpT10_ENKUlT_T0_E_clISt17integral_constantIbLb0EES1C_EEDaS17_S18_EUlS17_E_NS1_11comp_targetILNS1_3genE5ELNS1_11target_archE942ELNS1_3gpuE9ELNS1_3repE0EEENS1_30default_config_static_selectorELNS0_4arch9wavefront6targetE1EEEvT1_ ; -- Begin function _ZN7rocprim17ROCPRIM_400000_NS6detail17trampoline_kernelINS0_14default_configENS1_25partition_config_selectorILNS1_17partition_subalgoE9EllbEEZZNS1_14partition_implILS5_9ELb0ES3_jPlS8_PNS0_10empty_typeENS0_5tupleIJS8_S9_EEENSB_IJS8_SA_EEENS0_18inequality_wrapperIZN2at6native12_GLOBAL__N_124unique_dim_cuda_templateIN3c104HalfEEESt5tupleIJNSF_6TensorESM_SM_EERKSM_lbbbEUlllE0_EEPmJS9_EEE10hipError_tPvRmT3_T4_T5_T6_T7_T9_mT8_P12ihipStream_tbDpT10_ENKUlT_T0_E_clISt17integral_constantIbLb0EES1C_EEDaS17_S18_EUlS17_E_NS1_11comp_targetILNS1_3genE5ELNS1_11target_archE942ELNS1_3gpuE9ELNS1_3repE0EEENS1_30default_config_static_selectorELNS0_4arch9wavefront6targetE1EEEvT1_
	.p2align	8
	.type	_ZN7rocprim17ROCPRIM_400000_NS6detail17trampoline_kernelINS0_14default_configENS1_25partition_config_selectorILNS1_17partition_subalgoE9EllbEEZZNS1_14partition_implILS5_9ELb0ES3_jPlS8_PNS0_10empty_typeENS0_5tupleIJS8_S9_EEENSB_IJS8_SA_EEENS0_18inequality_wrapperIZN2at6native12_GLOBAL__N_124unique_dim_cuda_templateIN3c104HalfEEESt5tupleIJNSF_6TensorESM_SM_EERKSM_lbbbEUlllE0_EEPmJS9_EEE10hipError_tPvRmT3_T4_T5_T6_T7_T9_mT8_P12ihipStream_tbDpT10_ENKUlT_T0_E_clISt17integral_constantIbLb0EES1C_EEDaS17_S18_EUlS17_E_NS1_11comp_targetILNS1_3genE5ELNS1_11target_archE942ELNS1_3gpuE9ELNS1_3repE0EEENS1_30default_config_static_selectorELNS0_4arch9wavefront6targetE1EEEvT1_,@function
_ZN7rocprim17ROCPRIM_400000_NS6detail17trampoline_kernelINS0_14default_configENS1_25partition_config_selectorILNS1_17partition_subalgoE9EllbEEZZNS1_14partition_implILS5_9ELb0ES3_jPlS8_PNS0_10empty_typeENS0_5tupleIJS8_S9_EEENSB_IJS8_SA_EEENS0_18inequality_wrapperIZN2at6native12_GLOBAL__N_124unique_dim_cuda_templateIN3c104HalfEEESt5tupleIJNSF_6TensorESM_SM_EERKSM_lbbbEUlllE0_EEPmJS9_EEE10hipError_tPvRmT3_T4_T5_T6_T7_T9_mT8_P12ihipStream_tbDpT10_ENKUlT_T0_E_clISt17integral_constantIbLb0EES1C_EEDaS17_S18_EUlS17_E_NS1_11comp_targetILNS1_3genE5ELNS1_11target_archE942ELNS1_3gpuE9ELNS1_3repE0EEENS1_30default_config_static_selectorELNS0_4arch9wavefront6targetE1EEEvT1_: ; @_ZN7rocprim17ROCPRIM_400000_NS6detail17trampoline_kernelINS0_14default_configENS1_25partition_config_selectorILNS1_17partition_subalgoE9EllbEEZZNS1_14partition_implILS5_9ELb0ES3_jPlS8_PNS0_10empty_typeENS0_5tupleIJS8_S9_EEENSB_IJS8_SA_EEENS0_18inequality_wrapperIZN2at6native12_GLOBAL__N_124unique_dim_cuda_templateIN3c104HalfEEESt5tupleIJNSF_6TensorESM_SM_EERKSM_lbbbEUlllE0_EEPmJS9_EEE10hipError_tPvRmT3_T4_T5_T6_T7_T9_mT8_P12ihipStream_tbDpT10_ENKUlT_T0_E_clISt17integral_constantIbLb0EES1C_EEDaS17_S18_EUlS17_E_NS1_11comp_targetILNS1_3genE5ELNS1_11target_archE942ELNS1_3gpuE9ELNS1_3repE0EEENS1_30default_config_static_selectorELNS0_4arch9wavefront6targetE1EEEvT1_
; %bb.0:
	.section	.rodata,"a",@progbits
	.p2align	6, 0x0
	.amdhsa_kernel _ZN7rocprim17ROCPRIM_400000_NS6detail17trampoline_kernelINS0_14default_configENS1_25partition_config_selectorILNS1_17partition_subalgoE9EllbEEZZNS1_14partition_implILS5_9ELb0ES3_jPlS8_PNS0_10empty_typeENS0_5tupleIJS8_S9_EEENSB_IJS8_SA_EEENS0_18inequality_wrapperIZN2at6native12_GLOBAL__N_124unique_dim_cuda_templateIN3c104HalfEEESt5tupleIJNSF_6TensorESM_SM_EERKSM_lbbbEUlllE0_EEPmJS9_EEE10hipError_tPvRmT3_T4_T5_T6_T7_T9_mT8_P12ihipStream_tbDpT10_ENKUlT_T0_E_clISt17integral_constantIbLb0EES1C_EEDaS17_S18_EUlS17_E_NS1_11comp_targetILNS1_3genE5ELNS1_11target_archE942ELNS1_3gpuE9ELNS1_3repE0EEENS1_30default_config_static_selectorELNS0_4arch9wavefront6targetE1EEEvT1_
		.amdhsa_group_segment_fixed_size 0
		.amdhsa_private_segment_fixed_size 0
		.amdhsa_kernarg_size 120
		.amdhsa_user_sgpr_count 6
		.amdhsa_user_sgpr_private_segment_buffer 1
		.amdhsa_user_sgpr_dispatch_ptr 0
		.amdhsa_user_sgpr_queue_ptr 0
		.amdhsa_user_sgpr_kernarg_segment_ptr 1
		.amdhsa_user_sgpr_dispatch_id 0
		.amdhsa_user_sgpr_flat_scratch_init 0
		.amdhsa_user_sgpr_kernarg_preload_length 0
		.amdhsa_user_sgpr_kernarg_preload_offset 0
		.amdhsa_user_sgpr_private_segment_size 0
		.amdhsa_uses_dynamic_stack 0
		.amdhsa_system_sgpr_private_segment_wavefront_offset 0
		.amdhsa_system_sgpr_workgroup_id_x 1
		.amdhsa_system_sgpr_workgroup_id_y 0
		.amdhsa_system_sgpr_workgroup_id_z 0
		.amdhsa_system_sgpr_workgroup_info 0
		.amdhsa_system_vgpr_workitem_id 0
		.amdhsa_next_free_vgpr 1
		.amdhsa_next_free_sgpr 0
		.amdhsa_accum_offset 4
		.amdhsa_reserve_vcc 0
		.amdhsa_reserve_flat_scratch 0
		.amdhsa_float_round_mode_32 0
		.amdhsa_float_round_mode_16_64 0
		.amdhsa_float_denorm_mode_32 3
		.amdhsa_float_denorm_mode_16_64 3
		.amdhsa_dx10_clamp 1
		.amdhsa_ieee_mode 1
		.amdhsa_fp16_overflow 0
		.amdhsa_tg_split 0
		.amdhsa_exception_fp_ieee_invalid_op 0
		.amdhsa_exception_fp_denorm_src 0
		.amdhsa_exception_fp_ieee_div_zero 0
		.amdhsa_exception_fp_ieee_overflow 0
		.amdhsa_exception_fp_ieee_underflow 0
		.amdhsa_exception_fp_ieee_inexact 0
		.amdhsa_exception_int_div_zero 0
	.end_amdhsa_kernel
	.section	.text._ZN7rocprim17ROCPRIM_400000_NS6detail17trampoline_kernelINS0_14default_configENS1_25partition_config_selectorILNS1_17partition_subalgoE9EllbEEZZNS1_14partition_implILS5_9ELb0ES3_jPlS8_PNS0_10empty_typeENS0_5tupleIJS8_S9_EEENSB_IJS8_SA_EEENS0_18inequality_wrapperIZN2at6native12_GLOBAL__N_124unique_dim_cuda_templateIN3c104HalfEEESt5tupleIJNSF_6TensorESM_SM_EERKSM_lbbbEUlllE0_EEPmJS9_EEE10hipError_tPvRmT3_T4_T5_T6_T7_T9_mT8_P12ihipStream_tbDpT10_ENKUlT_T0_E_clISt17integral_constantIbLb0EES1C_EEDaS17_S18_EUlS17_E_NS1_11comp_targetILNS1_3genE5ELNS1_11target_archE942ELNS1_3gpuE9ELNS1_3repE0EEENS1_30default_config_static_selectorELNS0_4arch9wavefront6targetE1EEEvT1_,"axG",@progbits,_ZN7rocprim17ROCPRIM_400000_NS6detail17trampoline_kernelINS0_14default_configENS1_25partition_config_selectorILNS1_17partition_subalgoE9EllbEEZZNS1_14partition_implILS5_9ELb0ES3_jPlS8_PNS0_10empty_typeENS0_5tupleIJS8_S9_EEENSB_IJS8_SA_EEENS0_18inequality_wrapperIZN2at6native12_GLOBAL__N_124unique_dim_cuda_templateIN3c104HalfEEESt5tupleIJNSF_6TensorESM_SM_EERKSM_lbbbEUlllE0_EEPmJS9_EEE10hipError_tPvRmT3_T4_T5_T6_T7_T9_mT8_P12ihipStream_tbDpT10_ENKUlT_T0_E_clISt17integral_constantIbLb0EES1C_EEDaS17_S18_EUlS17_E_NS1_11comp_targetILNS1_3genE5ELNS1_11target_archE942ELNS1_3gpuE9ELNS1_3repE0EEENS1_30default_config_static_selectorELNS0_4arch9wavefront6targetE1EEEvT1_,comdat
.Lfunc_end1328:
	.size	_ZN7rocprim17ROCPRIM_400000_NS6detail17trampoline_kernelINS0_14default_configENS1_25partition_config_selectorILNS1_17partition_subalgoE9EllbEEZZNS1_14partition_implILS5_9ELb0ES3_jPlS8_PNS0_10empty_typeENS0_5tupleIJS8_S9_EEENSB_IJS8_SA_EEENS0_18inequality_wrapperIZN2at6native12_GLOBAL__N_124unique_dim_cuda_templateIN3c104HalfEEESt5tupleIJNSF_6TensorESM_SM_EERKSM_lbbbEUlllE0_EEPmJS9_EEE10hipError_tPvRmT3_T4_T5_T6_T7_T9_mT8_P12ihipStream_tbDpT10_ENKUlT_T0_E_clISt17integral_constantIbLb0EES1C_EEDaS17_S18_EUlS17_E_NS1_11comp_targetILNS1_3genE5ELNS1_11target_archE942ELNS1_3gpuE9ELNS1_3repE0EEENS1_30default_config_static_selectorELNS0_4arch9wavefront6targetE1EEEvT1_, .Lfunc_end1328-_ZN7rocprim17ROCPRIM_400000_NS6detail17trampoline_kernelINS0_14default_configENS1_25partition_config_selectorILNS1_17partition_subalgoE9EllbEEZZNS1_14partition_implILS5_9ELb0ES3_jPlS8_PNS0_10empty_typeENS0_5tupleIJS8_S9_EEENSB_IJS8_SA_EEENS0_18inequality_wrapperIZN2at6native12_GLOBAL__N_124unique_dim_cuda_templateIN3c104HalfEEESt5tupleIJNSF_6TensorESM_SM_EERKSM_lbbbEUlllE0_EEPmJS9_EEE10hipError_tPvRmT3_T4_T5_T6_T7_T9_mT8_P12ihipStream_tbDpT10_ENKUlT_T0_E_clISt17integral_constantIbLb0EES1C_EEDaS17_S18_EUlS17_E_NS1_11comp_targetILNS1_3genE5ELNS1_11target_archE942ELNS1_3gpuE9ELNS1_3repE0EEENS1_30default_config_static_selectorELNS0_4arch9wavefront6targetE1EEEvT1_
                                        ; -- End function
	.section	.AMDGPU.csdata,"",@progbits
; Kernel info:
; codeLenInByte = 0
; NumSgprs: 4
; NumVgprs: 0
; NumAgprs: 0
; TotalNumVgprs: 0
; ScratchSize: 0
; MemoryBound: 0
; FloatMode: 240
; IeeeMode: 1
; LDSByteSize: 0 bytes/workgroup (compile time only)
; SGPRBlocks: 0
; VGPRBlocks: 0
; NumSGPRsForWavesPerEU: 4
; NumVGPRsForWavesPerEU: 1
; AccumOffset: 4
; Occupancy: 8
; WaveLimiterHint : 0
; COMPUTE_PGM_RSRC2:SCRATCH_EN: 0
; COMPUTE_PGM_RSRC2:USER_SGPR: 6
; COMPUTE_PGM_RSRC2:TRAP_HANDLER: 0
; COMPUTE_PGM_RSRC2:TGID_X_EN: 1
; COMPUTE_PGM_RSRC2:TGID_Y_EN: 0
; COMPUTE_PGM_RSRC2:TGID_Z_EN: 0
; COMPUTE_PGM_RSRC2:TIDIG_COMP_CNT: 0
; COMPUTE_PGM_RSRC3_GFX90A:ACCUM_OFFSET: 0
; COMPUTE_PGM_RSRC3_GFX90A:TG_SPLIT: 0
	.section	.text._ZN7rocprim17ROCPRIM_400000_NS6detail17trampoline_kernelINS0_14default_configENS1_25partition_config_selectorILNS1_17partition_subalgoE9EllbEEZZNS1_14partition_implILS5_9ELb0ES3_jPlS8_PNS0_10empty_typeENS0_5tupleIJS8_S9_EEENSB_IJS8_SA_EEENS0_18inequality_wrapperIZN2at6native12_GLOBAL__N_124unique_dim_cuda_templateIN3c104HalfEEESt5tupleIJNSF_6TensorESM_SM_EERKSM_lbbbEUlllE0_EEPmJS9_EEE10hipError_tPvRmT3_T4_T5_T6_T7_T9_mT8_P12ihipStream_tbDpT10_ENKUlT_T0_E_clISt17integral_constantIbLb0EES1C_EEDaS17_S18_EUlS17_E_NS1_11comp_targetILNS1_3genE4ELNS1_11target_archE910ELNS1_3gpuE8ELNS1_3repE0EEENS1_30default_config_static_selectorELNS0_4arch9wavefront6targetE1EEEvT1_,"axG",@progbits,_ZN7rocprim17ROCPRIM_400000_NS6detail17trampoline_kernelINS0_14default_configENS1_25partition_config_selectorILNS1_17partition_subalgoE9EllbEEZZNS1_14partition_implILS5_9ELb0ES3_jPlS8_PNS0_10empty_typeENS0_5tupleIJS8_S9_EEENSB_IJS8_SA_EEENS0_18inequality_wrapperIZN2at6native12_GLOBAL__N_124unique_dim_cuda_templateIN3c104HalfEEESt5tupleIJNSF_6TensorESM_SM_EERKSM_lbbbEUlllE0_EEPmJS9_EEE10hipError_tPvRmT3_T4_T5_T6_T7_T9_mT8_P12ihipStream_tbDpT10_ENKUlT_T0_E_clISt17integral_constantIbLb0EES1C_EEDaS17_S18_EUlS17_E_NS1_11comp_targetILNS1_3genE4ELNS1_11target_archE910ELNS1_3gpuE8ELNS1_3repE0EEENS1_30default_config_static_selectorELNS0_4arch9wavefront6targetE1EEEvT1_,comdat
	.globl	_ZN7rocprim17ROCPRIM_400000_NS6detail17trampoline_kernelINS0_14default_configENS1_25partition_config_selectorILNS1_17partition_subalgoE9EllbEEZZNS1_14partition_implILS5_9ELb0ES3_jPlS8_PNS0_10empty_typeENS0_5tupleIJS8_S9_EEENSB_IJS8_SA_EEENS0_18inequality_wrapperIZN2at6native12_GLOBAL__N_124unique_dim_cuda_templateIN3c104HalfEEESt5tupleIJNSF_6TensorESM_SM_EERKSM_lbbbEUlllE0_EEPmJS9_EEE10hipError_tPvRmT3_T4_T5_T6_T7_T9_mT8_P12ihipStream_tbDpT10_ENKUlT_T0_E_clISt17integral_constantIbLb0EES1C_EEDaS17_S18_EUlS17_E_NS1_11comp_targetILNS1_3genE4ELNS1_11target_archE910ELNS1_3gpuE8ELNS1_3repE0EEENS1_30default_config_static_selectorELNS0_4arch9wavefront6targetE1EEEvT1_ ; -- Begin function _ZN7rocprim17ROCPRIM_400000_NS6detail17trampoline_kernelINS0_14default_configENS1_25partition_config_selectorILNS1_17partition_subalgoE9EllbEEZZNS1_14partition_implILS5_9ELb0ES3_jPlS8_PNS0_10empty_typeENS0_5tupleIJS8_S9_EEENSB_IJS8_SA_EEENS0_18inequality_wrapperIZN2at6native12_GLOBAL__N_124unique_dim_cuda_templateIN3c104HalfEEESt5tupleIJNSF_6TensorESM_SM_EERKSM_lbbbEUlllE0_EEPmJS9_EEE10hipError_tPvRmT3_T4_T5_T6_T7_T9_mT8_P12ihipStream_tbDpT10_ENKUlT_T0_E_clISt17integral_constantIbLb0EES1C_EEDaS17_S18_EUlS17_E_NS1_11comp_targetILNS1_3genE4ELNS1_11target_archE910ELNS1_3gpuE8ELNS1_3repE0EEENS1_30default_config_static_selectorELNS0_4arch9wavefront6targetE1EEEvT1_
	.p2align	8
	.type	_ZN7rocprim17ROCPRIM_400000_NS6detail17trampoline_kernelINS0_14default_configENS1_25partition_config_selectorILNS1_17partition_subalgoE9EllbEEZZNS1_14partition_implILS5_9ELb0ES3_jPlS8_PNS0_10empty_typeENS0_5tupleIJS8_S9_EEENSB_IJS8_SA_EEENS0_18inequality_wrapperIZN2at6native12_GLOBAL__N_124unique_dim_cuda_templateIN3c104HalfEEESt5tupleIJNSF_6TensorESM_SM_EERKSM_lbbbEUlllE0_EEPmJS9_EEE10hipError_tPvRmT3_T4_T5_T6_T7_T9_mT8_P12ihipStream_tbDpT10_ENKUlT_T0_E_clISt17integral_constantIbLb0EES1C_EEDaS17_S18_EUlS17_E_NS1_11comp_targetILNS1_3genE4ELNS1_11target_archE910ELNS1_3gpuE8ELNS1_3repE0EEENS1_30default_config_static_selectorELNS0_4arch9wavefront6targetE1EEEvT1_,@function
_ZN7rocprim17ROCPRIM_400000_NS6detail17trampoline_kernelINS0_14default_configENS1_25partition_config_selectorILNS1_17partition_subalgoE9EllbEEZZNS1_14partition_implILS5_9ELb0ES3_jPlS8_PNS0_10empty_typeENS0_5tupleIJS8_S9_EEENSB_IJS8_SA_EEENS0_18inequality_wrapperIZN2at6native12_GLOBAL__N_124unique_dim_cuda_templateIN3c104HalfEEESt5tupleIJNSF_6TensorESM_SM_EERKSM_lbbbEUlllE0_EEPmJS9_EEE10hipError_tPvRmT3_T4_T5_T6_T7_T9_mT8_P12ihipStream_tbDpT10_ENKUlT_T0_E_clISt17integral_constantIbLb0EES1C_EEDaS17_S18_EUlS17_E_NS1_11comp_targetILNS1_3genE4ELNS1_11target_archE910ELNS1_3gpuE8ELNS1_3repE0EEENS1_30default_config_static_selectorELNS0_4arch9wavefront6targetE1EEEvT1_: ; @_ZN7rocprim17ROCPRIM_400000_NS6detail17trampoline_kernelINS0_14default_configENS1_25partition_config_selectorILNS1_17partition_subalgoE9EllbEEZZNS1_14partition_implILS5_9ELb0ES3_jPlS8_PNS0_10empty_typeENS0_5tupleIJS8_S9_EEENSB_IJS8_SA_EEENS0_18inequality_wrapperIZN2at6native12_GLOBAL__N_124unique_dim_cuda_templateIN3c104HalfEEESt5tupleIJNSF_6TensorESM_SM_EERKSM_lbbbEUlllE0_EEPmJS9_EEE10hipError_tPvRmT3_T4_T5_T6_T7_T9_mT8_P12ihipStream_tbDpT10_ENKUlT_T0_E_clISt17integral_constantIbLb0EES1C_EEDaS17_S18_EUlS17_E_NS1_11comp_targetILNS1_3genE4ELNS1_11target_archE910ELNS1_3gpuE8ELNS1_3repE0EEENS1_30default_config_static_selectorELNS0_4arch9wavefront6targetE1EEEvT1_
; %bb.0:
	s_load_dwordx8 s[20:27], s[4:5], 0x40
	s_load_dwordx4 s[0:3], s[4:5], 0x8
	s_load_dwordx2 s[12:13], s[4:5], 0x18
	s_load_dword s9, s[4:5], 0x70
	v_lshrrev_b32_e32 v18, 2, v0
	s_waitcnt lgkmcnt(0)
	v_mov_b32_e32 v2, s24
	s_lshl_b64 s[14:15], s[2:3], 3
	s_add_u32 s18, s0, s14
	s_addc_u32 s19, s1, s15
	s_add_i32 s10, s9, -1
	s_lshl_b32 s0, s10, 9
	s_add_i32 s0, s2, s0
	s_lshl_b32 s8, s6, 9
	s_sub_i32 s7, s24, s0
	s_lshl_b32 s0, s9, 9
	s_add_u32 s0, s2, s0
	s_addc_u32 s1, s3, 0
	v_mov_b32_e32 v3, s25
	s_cmp_eq_u32 s6, s10
	s_load_dwordx2 s[22:23], s[22:23], 0x0
	v_cmp_ge_u64_e32 vcc, s[0:1], v[2:3]
	s_cselect_b64 s[24:25], -1, 0
	s_mov_b32 s9, 0
	s_and_b64 s[10:11], s[24:25], vcc
	s_xor_b64 s[34:35], s[10:11], -1
	s_lshl_b64 s[16:17], s[8:9], 3
	s_add_u32 s8, s18, s16
	s_mov_b64 s[0:1], -1
	s_addc_u32 s9, s19, s17
	s_and_b64 vcc, exec, s[34:35]
	s_cbranch_vccz .LBB1329_2
; %bb.1:
	v_lshlrev_b32_e32 v1, 3, v0
	global_load_dwordx2 v[2:3], v1, s[8:9]
	global_load_dwordx2 v[4:5], v1, s[8:9] offset:1024
	global_load_dwordx2 v[6:7], v1, s[8:9] offset:2048
	;; [unrolled: 1-line block ×3, first 2 shown]
	v_or_b32_e32 v11, 0x80, v0
	v_or_b32_e32 v12, 0x100, v0
	;; [unrolled: 1-line block ×3, first 2 shown]
	v_and_b32_e32 v10, 24, v18
	v_lshrrev_b32_e32 v11, 2, v11
	v_lshrrev_b32_e32 v12, 2, v12
	;; [unrolled: 1-line block ×3, first 2 shown]
	v_add_u32_e32 v10, v10, v1
	v_and_b32_e32 v11, 56, v11
	v_and_b32_e32 v12, 0x58, v12
	;; [unrolled: 1-line block ×3, first 2 shown]
	v_add_u32_e32 v11, v11, v1
	v_add_u32_e32 v12, v12, v1
	;; [unrolled: 1-line block ×3, first 2 shown]
	s_mov_b64 s[0:1], 0
	s_waitcnt vmcnt(3)
	ds_write_b64 v10, v[2:3]
	s_waitcnt vmcnt(2)
	ds_write_b64 v11, v[4:5] offset:1024
	s_waitcnt vmcnt(1)
	ds_write_b64 v12, v[6:7] offset:2048
	;; [unrolled: 2-line block ×3, first 2 shown]
	s_waitcnt lgkmcnt(0)
	s_barrier
.LBB1329_2:
	s_load_dwordx4 s[28:31], s[4:5], 0x60
	s_andn2_b64 vcc, exec, s[0:1]
	v_cmp_gt_u32_e64 s[0:1], s7, v0
	s_cbranch_vccnz .LBB1329_12
; %bb.3:
                                        ; implicit-def: $vgpr2_vgpr3_vgpr4_vgpr5_vgpr6_vgpr7_vgpr8_vgpr9
	s_and_saveexec_b64 s[18:19], s[0:1]
	s_cbranch_execz .LBB1329_5
; %bb.4:
	v_lshlrev_b32_e32 v1, 3, v0
	global_load_dwordx2 v[2:3], v1, s[8:9]
.LBB1329_5:
	s_or_b64 exec, exec, s[18:19]
	v_or_b32_e32 v1, 0x80, v0
	v_cmp_gt_u32_e32 vcc, s7, v1
	s_and_saveexec_b64 s[0:1], vcc
	s_cbranch_execz .LBB1329_7
; %bb.6:
	v_lshlrev_b32_e32 v4, 3, v0
	global_load_dwordx2 v[4:5], v4, s[8:9] offset:1024
.LBB1329_7:
	s_or_b64 exec, exec, s[0:1]
	v_or_b32_e32 v10, 0x100, v0
	v_cmp_gt_u32_e32 vcc, s7, v10
	s_and_saveexec_b64 s[0:1], vcc
	s_cbranch_execz .LBB1329_9
; %bb.8:
	v_lshlrev_b32_e32 v6, 3, v0
	global_load_dwordx2 v[6:7], v6, s[8:9] offset:2048
.LBB1329_9:
	;; [unrolled: 9-line block ×3, first 2 shown]
	s_or_b64 exec, exec, s[0:1]
	v_lshrrev_b32_e32 v1, 2, v1
	v_lshlrev_b32_e32 v13, 3, v0
	v_and_b32_e32 v1, 56, v1
	v_add_u32_e32 v1, v1, v13
	s_waitcnt vmcnt(0)
	ds_write_b64 v1, v[4:5] offset:1024
	v_lshrrev_b32_e32 v1, 2, v10
	v_and_b32_e32 v1, 0x78, v1
	v_add_u32_e32 v1, v1, v13
	ds_write_b64 v1, v[6:7] offset:2048
	v_lshrrev_b32_e32 v1, 2, v11
	v_and_b32_e32 v12, 24, v18
	v_and_b32_e32 v1, 0x78, v1
	v_add_u32_e32 v12, v12, v13
	v_add_u32_e32 v1, v1, v13
	ds_write_b64 v12, v[2:3]
	ds_write_b64 v1, v[8:9] offset:3072
	s_waitcnt lgkmcnt(0)
	s_barrier
.LBB1329_12:
	v_lshlrev_b32_e32 v1, 2, v0
	v_lshrrev_b32_e32 v2, 3, v0
	v_add_lshl_u32 v19, v2, v1, 3
	s_waitcnt lgkmcnt(0)
	ds_read2_b64 v[14:17], v19 offset1:1
	ds_read2_b64 v[10:13], v19 offset0:2 offset1:3
	s_add_u32 s0, s12, s14
	s_addc_u32 s1, s13, s15
	s_add_u32 s0, s0, s16
	s_addc_u32 s1, s1, s17
	s_mov_b64 s[12:13], -1
	s_and_b64 vcc, exec, s[34:35]
	s_waitcnt lgkmcnt(0)
	s_barrier
	s_cbranch_vccz .LBB1329_14
; %bb.13:
	v_lshlrev_b32_e32 v20, 3, v0
	global_load_dwordx2 v[2:3], v20, s[0:1]
	global_load_dwordx2 v[4:5], v20, s[0:1] offset:1024
	global_load_dwordx2 v[6:7], v20, s[0:1] offset:2048
	;; [unrolled: 1-line block ×3, first 2 shown]
	v_or_b32_e32 v22, 0x80, v0
	v_or_b32_e32 v23, 0x100, v0
	;; [unrolled: 1-line block ×3, first 2 shown]
	v_and_b32_e32 v21, 24, v18
	v_lshrrev_b32_e32 v22, 2, v22
	v_lshrrev_b32_e32 v23, 2, v23
	;; [unrolled: 1-line block ×3, first 2 shown]
	v_add_u32_e32 v21, v21, v20
	v_and_b32_e32 v22, 56, v22
	v_and_b32_e32 v23, 0x58, v23
	;; [unrolled: 1-line block ×3, first 2 shown]
	v_add_u32_e32 v22, v22, v20
	v_add_u32_e32 v23, v23, v20
	;; [unrolled: 1-line block ×3, first 2 shown]
	s_mov_b64 s[12:13], 0
	s_waitcnt vmcnt(3)
	ds_write_b64 v21, v[2:3]
	s_waitcnt vmcnt(2)
	ds_write_b64 v22, v[4:5] offset:1024
	s_waitcnt vmcnt(1)
	ds_write_b64 v23, v[6:7] offset:2048
	;; [unrolled: 2-line block ×3, first 2 shown]
	s_waitcnt lgkmcnt(0)
	s_barrier
.LBB1329_14:
	s_andn2_b64 vcc, exec, s[12:13]
	s_cbranch_vccnz .LBB1329_24
; %bb.15:
	v_cmp_gt_u32_e32 vcc, s7, v0
                                        ; implicit-def: $vgpr2_vgpr3
	s_and_saveexec_b64 s[12:13], vcc
	s_cbranch_execz .LBB1329_17
; %bb.16:
	v_lshlrev_b32_e32 v2, 3, v0
	global_load_dwordx2 v[2:3], v2, s[0:1]
.LBB1329_17:
	s_or_b64 exec, exec, s[12:13]
	v_or_b32_e32 v20, 0x80, v0
	v_cmp_gt_u32_e32 vcc, s7, v20
                                        ; implicit-def: $vgpr4_vgpr5
	s_and_saveexec_b64 s[12:13], vcc
	s_cbranch_execz .LBB1329_19
; %bb.18:
	v_lshlrev_b32_e32 v4, 3, v0
	global_load_dwordx2 v[4:5], v4, s[0:1] offset:1024
.LBB1329_19:
	s_or_b64 exec, exec, s[12:13]
	v_or_b32_e32 v21, 0x100, v0
	v_cmp_gt_u32_e32 vcc, s7, v21
                                        ; implicit-def: $vgpr6_vgpr7
	s_and_saveexec_b64 s[12:13], vcc
	s_cbranch_execz .LBB1329_21
; %bb.20:
	v_lshlrev_b32_e32 v6, 3, v0
	global_load_dwordx2 v[6:7], v6, s[0:1] offset:2048
.LBB1329_21:
	s_or_b64 exec, exec, s[12:13]
	v_or_b32_e32 v22, 0x180, v0
	v_cmp_gt_u32_e32 vcc, s7, v22
                                        ; implicit-def: $vgpr8_vgpr9
	s_and_saveexec_b64 s[12:13], vcc
	s_cbranch_execz .LBB1329_23
; %bb.22:
	v_lshlrev_b32_e32 v8, 3, v0
	global_load_dwordx2 v[8:9], v8, s[0:1] offset:3072
.LBB1329_23:
	s_or_b64 exec, exec, s[12:13]
	v_and_b32_e32 v18, 24, v18
	v_lshlrev_b32_e32 v23, 3, v0
	v_add_u32_e32 v18, v18, v23
	s_waitcnt vmcnt(0)
	ds_write_b64 v18, v[2:3]
	v_lshrrev_b32_e32 v2, 2, v20
	v_and_b32_e32 v2, 56, v2
	v_add_u32_e32 v2, v2, v23
	ds_write_b64 v2, v[4:5] offset:1024
	v_lshrrev_b32_e32 v2, 2, v21
	v_and_b32_e32 v2, 0x78, v2
	v_add_u32_e32 v2, v2, v23
	ds_write_b64 v2, v[6:7] offset:2048
	;; [unrolled: 4-line block ×3, first 2 shown]
	s_waitcnt lgkmcnt(0)
	s_barrier
.LBB1329_24:
	ds_read2_b64 v[6:9], v19 offset1:1
	ds_read2_b64 v[2:5], v19 offset0:2 offset1:3
	s_cmp_lg_u32 s6, 0
	s_cselect_b64 s[16:17], -1, 0
	s_cmp_lg_u64 s[2:3], 0
	s_cselect_b64 s[0:1], -1, 0
	s_or_b64 s[0:1], s[16:17], s[0:1]
	s_mov_b64 s[12:13], 0
	s_and_b64 vcc, exec, s[0:1]
	v_cmp_gt_i64_e64 s[0:1], s[26:27], 0
	s_waitcnt lgkmcnt(0)
	s_barrier
	s_cbranch_vccz .LBB1329_33
; %bb.25:
	s_add_u32 s2, s8, -8
	s_addc_u32 s3, s9, -1
	s_load_dwordx2 s[12:13], s[2:3], 0x0
	v_cndmask_b32_e64 v18, 0, 1, s[0:1]
	v_lshlrev_b32_e32 v26, 3, v0
	s_mov_b64 s[14:15], 0
	s_and_b64 vcc, exec, s[34:35]
	v_cmp_ne_u32_e64 s[0:1], 1, v18
	ds_write_b64 v26, v[12:13]
	s_cbranch_vccz .LBB1329_34
; %bb.26:
	v_mul_lo_u32 v20, v11, s26
	v_mul_lo_u32 v21, v10, s27
	v_mad_u64_u32 v[18:19], s[2:3], v10, s26, 0
	v_add3_u32 v19, v19, v21, v20
	s_and_b64 vcc, exec, s[0:1]
	v_lshlrev_b64 v[18:19], 1, v[18:19]
	s_cbranch_vccnz .LBB1329_37
; %bb.27:
	v_mul_lo_u32 v22, v13, s26
	v_mul_lo_u32 v23, v12, s27
	v_mad_u64_u32 v[20:21], s[2:3], v12, s26, 0
	v_add3_u32 v21, v21, v23, v22
	v_mov_b32_e32 v23, s29
	v_add_co_u32_e32 v22, vcc, s28, v18
	v_addc_co_u32_e64 v23, s[2:3], v23, v19, vcc
	v_lshlrev_b64 v[20:21], 1, v[20:21]
	v_mov_b32_e32 v25, s29
	v_add_co_u32_e64 v24, s[2:3], s28, v20
	v_addc_co_u32_e64 v25, s[8:9], v25, v21, s[2:3]
	global_load_ushort v20, v[22:23], off
	global_load_ushort v27, v[24:25], off
	s_mov_b64 s[14:15], -1
	s_waitcnt vmcnt(0)
	v_cmp_eq_f16_e64 s[8:9], v20, v27
	s_and_saveexec_b64 s[18:19], s[8:9]
	s_cbranch_execz .LBB1329_36
; %bb.28:
	v_mov_b32_e32 v20, s29
	v_addc_co_u32_e64 v21, s[2:3], v21, v20, s[2:3]
	v_add_co_u32_e64 v20, s[2:3], 2, v24
	v_mov_b32_e32 v23, s29
	v_addc_co_u32_e64 v21, s[2:3], 0, v21, s[2:3]
	v_addc_co_u32_e32 v23, vcc, v19, v23, vcc
	v_add_co_u32_e32 v22, vcc, 2, v22
	s_add_u32 s2, s26, -1
	v_addc_co_u32_e32 v23, vcc, 0, v23, vcc
	s_addc_u32 s3, s27, -1
	s_mov_b64 s[8:9], 0
	s_mov_b64 s[36:37], 0
                                        ; implicit-def: $sgpr14_sgpr15
	s_branch .LBB1329_31
.LBB1329_29:                            ;   in Loop: Header=BB1329_31 Depth=1
	global_load_ushort v24, v[22:23], off
	global_load_ushort v25, v[20:21], off
	v_add_co_u32_e32 v20, vcc, 2, v20
	v_addc_co_u32_e32 v21, vcc, 0, v21, vcc
	v_add_co_u32_e32 v22, vcc, 2, v22
	v_addc_co_u32_e32 v23, vcc, 0, v23, vcc
	s_add_u32 s36, s36, 1
	s_addc_u32 s37, s37, 0
	s_andn2_b64 s[14:15], s[14:15], exec
	s_waitcnt vmcnt(0)
	v_cmp_neq_f16_e32 vcc, v24, v25
	s_and_b64 s[38:39], vcc, exec
	s_or_b64 s[14:15], s[14:15], s[38:39]
.LBB1329_30:                            ;   in Loop: Header=BB1329_31 Depth=1
	s_and_b64 s[38:39], exec, s[14:15]
	s_or_b64 s[8:9], s[38:39], s[8:9]
	v_pk_mov_b32 v[24:25], s[36:37], s[36:37] op_sel:[0,1]
	s_andn2_b64 exec, exec, s[8:9]
	s_cbranch_execz .LBB1329_35
.LBB1329_31:                            ; =>This Inner Loop Header: Depth=1
	s_or_b64 s[14:15], s[14:15], exec
	s_cmp_eq_u64 s[2:3], s[36:37]
	s_cbranch_scc0 .LBB1329_29
; %bb.32:                               ;   in Loop: Header=BB1329_31 Depth=1
                                        ; implicit-def: $vgpr20_vgpr21
                                        ; implicit-def: $vgpr22_vgpr23
	s_mov_b64 s[36:37], s[26:27]
	s_branch .LBB1329_30
.LBB1329_33:
                                        ; implicit-def: $sgpr18_sgpr19
                                        ; implicit-def: $vgpr28
	s_branch .LBB1329_115
.LBB1329_34:
                                        ; implicit-def: $sgpr18_sgpr19
                                        ; implicit-def: $vgpr28
	s_cbranch_execnz .LBB1329_67
	s_branch .LBB1329_114
.LBB1329_35:
	s_or_b64 exec, exec, s[8:9]
	v_cmp_gt_i64_e32 vcc, s[26:27], v[24:25]
	s_orn2_b64 s[14:15], vcc, exec
.LBB1329_36:
	s_or_b64 exec, exec, s[18:19]
.LBB1329_37:
	v_mul_lo_u32 v22, v17, s26
	v_mul_lo_u32 v23, v16, s27
	v_mad_u64_u32 v[20:21], s[2:3], v16, s26, 0
	v_add3_u32 v21, v21, v23, v22
	s_mov_b64 s[18:19], 0
	s_and_b64 vcc, exec, s[0:1]
	v_lshlrev_b64 v[20:21], 1, v[20:21]
	s_mov_b64 s[36:37], 0
	s_cbranch_vccnz .LBB1329_46
; %bb.38:
	v_mov_b32_e32 v23, s29
	v_add_co_u32_e32 v22, vcc, s28, v20
	v_addc_co_u32_e64 v23, s[2:3], v23, v21, vcc
	v_mov_b32_e32 v25, s29
	v_add_co_u32_e64 v24, s[2:3], s28, v18
	v_addc_co_u32_e64 v25, s[8:9], v25, v19, s[2:3]
	global_load_ushort v18, v[22:23], off
	global_load_ushort v27, v[24:25], off
	s_mov_b64 s[36:37], -1
	s_waitcnt vmcnt(0)
	v_cmp_eq_f16_e64 s[8:9], v18, v27
	s_and_saveexec_b64 s[38:39], s[8:9]
	s_cbranch_execz .LBB1329_45
; %bb.39:
	v_mov_b32_e32 v18, s29
	v_addc_co_u32_e64 v19, s[2:3], v19, v18, s[2:3]
	v_add_co_u32_e64 v18, s[2:3], 2, v24
	v_mov_b32_e32 v23, s29
	v_addc_co_u32_e64 v19, s[2:3], 0, v19, s[2:3]
	v_addc_co_u32_e32 v23, vcc, v21, v23, vcc
	v_add_co_u32_e32 v22, vcc, 2, v22
	s_add_u32 s2, s26, -1
	v_addc_co_u32_e32 v23, vcc, 0, v23, vcc
	s_addc_u32 s3, s27, -1
	s_mov_b64 s[8:9], 0
	s_mov_b64 s[40:41], 0
                                        ; implicit-def: $sgpr36_sgpr37
	s_branch .LBB1329_42
.LBB1329_40:                            ;   in Loop: Header=BB1329_42 Depth=1
	global_load_ushort v24, v[22:23], off
	global_load_ushort v25, v[18:19], off
	v_add_co_u32_e32 v18, vcc, 2, v18
	v_addc_co_u32_e32 v19, vcc, 0, v19, vcc
	v_add_co_u32_e32 v22, vcc, 2, v22
	v_addc_co_u32_e32 v23, vcc, 0, v23, vcc
	s_add_u32 s40, s40, 1
	s_addc_u32 s41, s41, 0
	s_andn2_b64 s[36:37], s[36:37], exec
	s_waitcnt vmcnt(0)
	v_cmp_neq_f16_e32 vcc, v24, v25
	s_and_b64 s[42:43], vcc, exec
	s_or_b64 s[36:37], s[36:37], s[42:43]
.LBB1329_41:                            ;   in Loop: Header=BB1329_42 Depth=1
	s_and_b64 s[42:43], exec, s[36:37]
	s_or_b64 s[8:9], s[42:43], s[8:9]
	v_pk_mov_b32 v[24:25], s[40:41], s[40:41] op_sel:[0,1]
	s_andn2_b64 exec, exec, s[8:9]
	s_cbranch_execz .LBB1329_44
.LBB1329_42:                            ; =>This Inner Loop Header: Depth=1
	s_or_b64 s[36:37], s[36:37], exec
	s_cmp_eq_u64 s[2:3], s[40:41]
	s_cbranch_scc0 .LBB1329_40
; %bb.43:                               ;   in Loop: Header=BB1329_42 Depth=1
                                        ; implicit-def: $vgpr18_vgpr19
                                        ; implicit-def: $vgpr22_vgpr23
	s_mov_b64 s[40:41], s[26:27]
	s_branch .LBB1329_41
.LBB1329_44:
	s_or_b64 exec, exec, s[8:9]
	v_cmp_gt_i64_e32 vcc, s[26:27], v[24:25]
	s_orn2_b64 s[36:37], vcc, exec
.LBB1329_45:
	s_or_b64 exec, exec, s[38:39]
.LBB1329_46:
	v_mul_lo_u32 v22, v15, s26
	v_mul_lo_u32 v23, v14, s27
	v_mad_u64_u32 v[18:19], s[2:3], v14, s26, 0
	v_add3_u32 v19, v19, v23, v22
	s_and_b64 vcc, exec, s[0:1]
	v_lshlrev_b64 v[18:19], 1, v[18:19]
	s_cbranch_vccnz .LBB1329_55
; %bb.47:
	v_mov_b32_e32 v23, s29
	v_add_co_u32_e32 v22, vcc, s28, v18
	v_addc_co_u32_e64 v23, s[2:3], v23, v19, vcc
	v_mov_b32_e32 v25, s29
	v_add_co_u32_e64 v24, s[2:3], s28, v20
	v_addc_co_u32_e64 v25, s[8:9], v25, v21, s[2:3]
	global_load_ushort v20, v[22:23], off
	global_load_ushort v27, v[24:25], off
	s_mov_b64 s[18:19], -1
	s_waitcnt vmcnt(0)
	v_cmp_eq_f16_e64 s[8:9], v20, v27
	s_and_saveexec_b64 s[38:39], s[8:9]
	s_cbranch_execz .LBB1329_54
; %bb.48:
	v_mov_b32_e32 v20, s29
	v_addc_co_u32_e64 v21, s[2:3], v21, v20, s[2:3]
	v_add_co_u32_e64 v20, s[2:3], 2, v24
	v_mov_b32_e32 v23, s29
	v_addc_co_u32_e64 v21, s[2:3], 0, v21, s[2:3]
	v_addc_co_u32_e32 v23, vcc, v19, v23, vcc
	v_add_co_u32_e32 v22, vcc, 2, v22
	s_add_u32 s2, s26, -1
	v_addc_co_u32_e32 v23, vcc, 0, v23, vcc
	s_addc_u32 s3, s27, -1
	s_mov_b64 s[8:9], 0
	s_mov_b64 s[40:41], 0
                                        ; implicit-def: $sgpr18_sgpr19
	s_branch .LBB1329_51
.LBB1329_49:                            ;   in Loop: Header=BB1329_51 Depth=1
	global_load_ushort v24, v[22:23], off
	global_load_ushort v25, v[20:21], off
	v_add_co_u32_e32 v20, vcc, 2, v20
	v_addc_co_u32_e32 v21, vcc, 0, v21, vcc
	v_add_co_u32_e32 v22, vcc, 2, v22
	v_addc_co_u32_e32 v23, vcc, 0, v23, vcc
	s_add_u32 s40, s40, 1
	s_addc_u32 s41, s41, 0
	s_andn2_b64 s[18:19], s[18:19], exec
	s_waitcnt vmcnt(0)
	v_cmp_neq_f16_e32 vcc, v24, v25
	s_and_b64 s[42:43], vcc, exec
	s_or_b64 s[18:19], s[18:19], s[42:43]
.LBB1329_50:                            ;   in Loop: Header=BB1329_51 Depth=1
	s_and_b64 s[42:43], exec, s[18:19]
	s_or_b64 s[8:9], s[42:43], s[8:9]
	v_pk_mov_b32 v[24:25], s[40:41], s[40:41] op_sel:[0,1]
	s_andn2_b64 exec, exec, s[8:9]
	s_cbranch_execz .LBB1329_53
.LBB1329_51:                            ; =>This Inner Loop Header: Depth=1
	s_or_b64 s[18:19], s[18:19], exec
	s_cmp_eq_u64 s[2:3], s[40:41]
	s_cbranch_scc0 .LBB1329_49
; %bb.52:                               ;   in Loop: Header=BB1329_51 Depth=1
                                        ; implicit-def: $vgpr20_vgpr21
                                        ; implicit-def: $vgpr22_vgpr23
	s_mov_b64 s[40:41], s[26:27]
	s_branch .LBB1329_50
.LBB1329_53:
	s_or_b64 exec, exec, s[8:9]
	v_cmp_gt_i64_e32 vcc, s[26:27], v[24:25]
	s_orn2_b64 s[18:19], vcc, exec
.LBB1329_54:
	s_or_b64 exec, exec, s[38:39]
.LBB1329_55:
	v_cmp_ne_u32_e32 vcc, 0, v0
	s_waitcnt lgkmcnt(0)
	v_pk_mov_b32 v[20:21], s[12:13], s[12:13] op_sel:[0,1]
	s_barrier
	s_and_saveexec_b64 s[2:3], vcc
	s_cbranch_execz .LBB1329_57
; %bb.56:
	v_add_u32_e32 v20, -8, v26
	ds_read_b64 v[20:21], v20
.LBB1329_57:
	s_or_b64 exec, exec, s[2:3]
	v_cndmask_b32_e64 v23, 0, 1, s[14:15]
	v_cndmask_b32_e64 v22, 0, 1, s[36:37]
	;; [unrolled: 1-line block ×3, first 2 shown]
	v_lshlrev_b16_e32 v23, 8, v23
	v_lshlrev_b16_e32 v27, 8, v24
	v_or_b32_sdwa v28, v22, v23 dst_sel:WORD_1 dst_unused:UNUSED_PAD src0_sel:DWORD src1_sel:DWORD
	s_mov_b64 s[14:15], 0
	s_and_b64 vcc, exec, s[0:1]
	s_mov_b64 s[18:19], 0
	s_cbranch_vccnz .LBB1329_66
; %bb.58:
	s_waitcnt lgkmcnt(0)
	v_mul_lo_u32 v22, v21, s26
	v_mul_lo_u32 v23, v20, s27
	v_mad_u64_u32 v[20:21], s[2:3], v20, s26, 0
	v_add3_u32 v21, v21, v23, v22
	v_lshlrev_b64 v[20:21], 1, v[20:21]
	v_mov_b32_e32 v23, s29
	v_add_co_u32_e32 v22, vcc, s28, v20
	v_addc_co_u32_e64 v23, s[2:3], v23, v21, vcc
	v_mov_b32_e32 v20, s29
	v_add_co_u32_e64 v24, s[2:3], s28, v18
	v_addc_co_u32_e64 v25, s[8:9], v20, v19, s[2:3]
	global_load_ushort v18, v[22:23], off
	global_load_ushort v20, v[24:25], off
	s_mov_b64 s[18:19], -1
	s_waitcnt vmcnt(0)
	v_cmp_eq_f16_e64 s[8:9], v18, v20
	s_and_saveexec_b64 s[36:37], s[8:9]
	s_cbranch_execz .LBB1329_65
; %bb.59:
	v_mov_b32_e32 v18, s29
	v_addc_co_u32_e64 v19, s[2:3], v19, v18, s[2:3]
	v_add_co_u32_e64 v18, s[2:3], 2, v24
	v_mov_b32_e32 v20, s29
	v_addc_co_u32_e64 v19, s[2:3], 0, v19, s[2:3]
	v_addc_co_u32_e32 v21, vcc, v21, v20, vcc
	v_add_co_u32_e32 v20, vcc, 2, v22
	s_add_u32 s2, s26, -1
	v_addc_co_u32_e32 v21, vcc, 0, v21, vcc
	s_addc_u32 s3, s27, -1
	s_mov_b64 s[8:9], 0
	s_mov_b64 s[38:39], 0
                                        ; implicit-def: $sgpr18_sgpr19
	s_branch .LBB1329_62
.LBB1329_60:                            ;   in Loop: Header=BB1329_62 Depth=1
	global_load_ushort v22, v[20:21], off
	global_load_ushort v23, v[18:19], off
	v_add_co_u32_e32 v18, vcc, 2, v18
	v_addc_co_u32_e32 v19, vcc, 0, v19, vcc
	v_add_co_u32_e32 v20, vcc, 2, v20
	v_addc_co_u32_e32 v21, vcc, 0, v21, vcc
	s_add_u32 s38, s38, 1
	s_addc_u32 s39, s39, 0
	s_andn2_b64 s[18:19], s[18:19], exec
	s_waitcnt vmcnt(0)
	v_cmp_neq_f16_e32 vcc, v22, v23
	s_and_b64 s[40:41], vcc, exec
	s_or_b64 s[18:19], s[18:19], s[40:41]
.LBB1329_61:                            ;   in Loop: Header=BB1329_62 Depth=1
	s_and_b64 s[40:41], exec, s[18:19]
	s_or_b64 s[8:9], s[40:41], s[8:9]
	v_pk_mov_b32 v[22:23], s[38:39], s[38:39] op_sel:[0,1]
	s_andn2_b64 exec, exec, s[8:9]
	s_cbranch_execz .LBB1329_64
.LBB1329_62:                            ; =>This Inner Loop Header: Depth=1
	s_or_b64 s[18:19], s[18:19], exec
	s_cmp_eq_u64 s[2:3], s[38:39]
	s_cbranch_scc0 .LBB1329_60
; %bb.63:                               ;   in Loop: Header=BB1329_62 Depth=1
                                        ; implicit-def: $vgpr18_vgpr19
                                        ; implicit-def: $vgpr20_vgpr21
	s_mov_b64 s[38:39], s[26:27]
	s_branch .LBB1329_61
.LBB1329_64:
	s_or_b64 exec, exec, s[8:9]
	v_cmp_gt_i64_e32 vcc, s[26:27], v[22:23]
	s_orn2_b64 s[18:19], vcc, exec
.LBB1329_65:
	s_or_b64 exec, exec, s[36:37]
.LBB1329_66:
	v_or_b32_e32 v28, v27, v28
	s_and_b64 vcc, exec, s[14:15]
	s_cbranch_vccz .LBB1329_114
.LBB1329_67:
	v_or_b32_e32 v18, 3, v1
	v_cmp_gt_u32_e32 vcc, s7, v18
	s_mov_b64 s[18:19], 0
	s_mov_b64 s[14:15], 0
	s_and_saveexec_b64 s[36:37], vcc
	s_cbranch_execz .LBB1329_78
; %bb.68:
	s_and_b64 vcc, exec, s[0:1]
	s_mov_b64 s[38:39], 0
	s_cbranch_vccnz .LBB1329_77
; %bb.69:
	s_waitcnt lgkmcnt(0)
	v_mul_lo_u32 v20, v11, s26
	v_mul_lo_u32 v21, v10, s27
	v_mad_u64_u32 v[18:19], s[2:3], v10, s26, 0
	v_add3_u32 v19, v19, v21, v20
	v_mul_lo_u32 v20, v13, s26
	v_mul_lo_u32 v21, v12, s27
	v_mad_u64_u32 v[24:25], s[2:3], v12, s26, 0
	v_add3_u32 v25, v25, v21, v20
	v_lshlrev_b64 v[20:21], 1, v[18:19]
	v_mov_b32_e32 v18, s29
	v_add_co_u32_e32 v22, vcc, s28, v20
	v_addc_co_u32_e64 v23, s[2:3], v18, v21, vcc
	v_lshlrev_b64 v[18:19], 1, v[24:25]
	v_mov_b32_e32 v20, s29
	v_add_co_u32_e64 v24, s[2:3], s28, v18
	v_addc_co_u32_e64 v25, s[8:9], v20, v19, s[2:3]
	global_load_ushort v18, v[22:23], off
	global_load_ushort v20, v[24:25], off
	s_mov_b64 s[38:39], -1
	s_waitcnt vmcnt(0)
	v_cmp_eq_f16_e64 s[8:9], v18, v20
	s_and_saveexec_b64 s[14:15], s[8:9]
	s_cbranch_execz .LBB1329_76
; %bb.70:
	v_mov_b32_e32 v18, s29
	v_addc_co_u32_e64 v19, s[2:3], v19, v18, s[2:3]
	v_add_co_u32_e64 v18, s[2:3], 2, v24
	v_mov_b32_e32 v20, s29
	v_addc_co_u32_e64 v19, s[2:3], 0, v19, s[2:3]
	v_addc_co_u32_e32 v21, vcc, v21, v20, vcc
	v_add_co_u32_e32 v20, vcc, 2, v22
	s_add_u32 s2, s26, -1
	v_addc_co_u32_e32 v21, vcc, 0, v21, vcc
	s_addc_u32 s3, s27, -1
	s_mov_b64 s[8:9], 0
	s_mov_b64 s[40:41], 0
                                        ; implicit-def: $sgpr38_sgpr39
	s_branch .LBB1329_73
.LBB1329_71:                            ;   in Loop: Header=BB1329_73 Depth=1
	global_load_ushort v22, v[20:21], off
	global_load_ushort v23, v[18:19], off
	v_add_co_u32_e32 v18, vcc, 2, v18
	v_addc_co_u32_e32 v19, vcc, 0, v19, vcc
	v_add_co_u32_e32 v20, vcc, 2, v20
	v_addc_co_u32_e32 v21, vcc, 0, v21, vcc
	s_add_u32 s40, s40, 1
	s_addc_u32 s41, s41, 0
	s_andn2_b64 s[38:39], s[38:39], exec
	s_waitcnt vmcnt(0)
	v_cmp_neq_f16_e32 vcc, v22, v23
	s_and_b64 s[42:43], vcc, exec
	s_or_b64 s[38:39], s[38:39], s[42:43]
.LBB1329_72:                            ;   in Loop: Header=BB1329_73 Depth=1
	s_and_b64 s[42:43], exec, s[38:39]
	s_or_b64 s[8:9], s[42:43], s[8:9]
	v_pk_mov_b32 v[22:23], s[40:41], s[40:41] op_sel:[0,1]
	s_andn2_b64 exec, exec, s[8:9]
	s_cbranch_execz .LBB1329_75
.LBB1329_73:                            ; =>This Inner Loop Header: Depth=1
	s_or_b64 s[38:39], s[38:39], exec
	s_cmp_eq_u64 s[2:3], s[40:41]
	s_cbranch_scc0 .LBB1329_71
; %bb.74:                               ;   in Loop: Header=BB1329_73 Depth=1
                                        ; implicit-def: $vgpr18_vgpr19
                                        ; implicit-def: $vgpr20_vgpr21
	s_mov_b64 s[40:41], s[26:27]
	s_branch .LBB1329_72
.LBB1329_75:
	s_or_b64 exec, exec, s[8:9]
	v_cmp_gt_i64_e32 vcc, s[26:27], v[22:23]
	s_orn2_b64 s[38:39], vcc, exec
.LBB1329_76:
	s_or_b64 exec, exec, s[14:15]
.LBB1329_77:
	s_and_b64 s[14:15], s[38:39], exec
.LBB1329_78:
	s_or_b64 exec, exec, s[36:37]
	v_or_b32_e32 v18, 2, v1
	v_cmp_gt_u32_e32 vcc, s7, v18
	s_and_saveexec_b64 s[36:37], vcc
	s_cbranch_execz .LBB1329_89
; %bb.79:
	s_and_b64 vcc, exec, s[0:1]
	s_mov_b64 s[38:39], 0
	s_cbranch_vccnz .LBB1329_88
; %bb.80:
	s_waitcnt lgkmcnt(0)
	v_mul_lo_u32 v20, v17, s26
	v_mul_lo_u32 v21, v16, s27
	v_mad_u64_u32 v[18:19], s[2:3], v16, s26, 0
	v_add3_u32 v19, v19, v21, v20
	v_mul_lo_u32 v20, v11, s26
	v_mul_lo_u32 v21, v10, s27
	v_mad_u64_u32 v[24:25], s[2:3], v10, s26, 0
	v_add3_u32 v25, v25, v21, v20
	v_lshlrev_b64 v[20:21], 1, v[18:19]
	v_mov_b32_e32 v18, s29
	v_add_co_u32_e32 v22, vcc, s28, v20
	v_addc_co_u32_e64 v23, s[2:3], v18, v21, vcc
	v_lshlrev_b64 v[18:19], 1, v[24:25]
	v_mov_b32_e32 v20, s29
	v_add_co_u32_e64 v24, s[2:3], s28, v18
	v_addc_co_u32_e64 v25, s[8:9], v20, v19, s[2:3]
	global_load_ushort v18, v[22:23], off
	global_load_ushort v20, v[24:25], off
	s_mov_b64 s[38:39], -1
	s_waitcnt vmcnt(0)
	v_cmp_eq_f16_e64 s[8:9], v18, v20
	s_and_saveexec_b64 s[18:19], s[8:9]
	s_cbranch_execz .LBB1329_87
; %bb.81:
	v_mov_b32_e32 v18, s29
	v_addc_co_u32_e64 v19, s[2:3], v19, v18, s[2:3]
	v_add_co_u32_e64 v18, s[2:3], 2, v24
	v_mov_b32_e32 v20, s29
	v_addc_co_u32_e64 v19, s[2:3], 0, v19, s[2:3]
	v_addc_co_u32_e32 v21, vcc, v21, v20, vcc
	v_add_co_u32_e32 v20, vcc, 2, v22
	s_add_u32 s2, s26, -1
	v_addc_co_u32_e32 v21, vcc, 0, v21, vcc
	s_addc_u32 s3, s27, -1
	s_mov_b64 s[8:9], 0
	s_mov_b64 s[40:41], 0
                                        ; implicit-def: $sgpr38_sgpr39
	s_branch .LBB1329_84
.LBB1329_82:                            ;   in Loop: Header=BB1329_84 Depth=1
	global_load_ushort v22, v[20:21], off
	global_load_ushort v23, v[18:19], off
	v_add_co_u32_e32 v18, vcc, 2, v18
	v_addc_co_u32_e32 v19, vcc, 0, v19, vcc
	v_add_co_u32_e32 v20, vcc, 2, v20
	v_addc_co_u32_e32 v21, vcc, 0, v21, vcc
	s_add_u32 s40, s40, 1
	s_addc_u32 s41, s41, 0
	s_andn2_b64 s[38:39], s[38:39], exec
	s_waitcnt vmcnt(0)
	v_cmp_neq_f16_e32 vcc, v22, v23
	s_and_b64 s[42:43], vcc, exec
	s_or_b64 s[38:39], s[38:39], s[42:43]
.LBB1329_83:                            ;   in Loop: Header=BB1329_84 Depth=1
	s_and_b64 s[42:43], exec, s[38:39]
	s_or_b64 s[8:9], s[42:43], s[8:9]
	v_pk_mov_b32 v[22:23], s[40:41], s[40:41] op_sel:[0,1]
	s_andn2_b64 exec, exec, s[8:9]
	s_cbranch_execz .LBB1329_86
.LBB1329_84:                            ; =>This Inner Loop Header: Depth=1
	s_or_b64 s[38:39], s[38:39], exec
	s_cmp_eq_u64 s[2:3], s[40:41]
	s_cbranch_scc0 .LBB1329_82
; %bb.85:                               ;   in Loop: Header=BB1329_84 Depth=1
                                        ; implicit-def: $vgpr18_vgpr19
                                        ; implicit-def: $vgpr20_vgpr21
	s_mov_b64 s[40:41], s[26:27]
	s_branch .LBB1329_83
.LBB1329_86:
	s_or_b64 exec, exec, s[8:9]
	v_cmp_gt_i64_e32 vcc, s[26:27], v[22:23]
	s_orn2_b64 s[38:39], vcc, exec
.LBB1329_87:
	s_or_b64 exec, exec, s[18:19]
.LBB1329_88:
	s_and_b64 s[18:19], s[38:39], exec
.LBB1329_89:
	s_or_b64 exec, exec, s[36:37]
	v_or_b32_e32 v18, 1, v1
	v_cmp_gt_u32_e32 vcc, s7, v18
	s_mov_b64 s[2:3], 0
	s_and_saveexec_b64 s[36:37], vcc
	s_cbranch_execz .LBB1329_100
; %bb.90:
	s_and_b64 vcc, exec, s[0:1]
	s_mov_b64 s[40:41], 0
	s_cbranch_vccnz .LBB1329_99
; %bb.91:
	s_waitcnt lgkmcnt(0)
	v_mul_lo_u32 v20, v15, s26
	v_mul_lo_u32 v21, v14, s27
	v_mad_u64_u32 v[18:19], s[2:3], v14, s26, 0
	v_add3_u32 v19, v19, v21, v20
	v_mul_lo_u32 v20, v17, s26
	v_mul_lo_u32 v21, v16, s27
	v_mad_u64_u32 v[24:25], s[2:3], v16, s26, 0
	v_add3_u32 v25, v25, v21, v20
	v_lshlrev_b64 v[20:21], 1, v[18:19]
	v_mov_b32_e32 v18, s29
	v_add_co_u32_e32 v22, vcc, s28, v20
	v_addc_co_u32_e64 v23, s[2:3], v18, v21, vcc
	v_lshlrev_b64 v[18:19], 1, v[24:25]
	v_mov_b32_e32 v20, s29
	v_add_co_u32_e64 v24, s[2:3], s28, v18
	v_addc_co_u32_e64 v25, s[8:9], v20, v19, s[2:3]
	global_load_ushort v18, v[22:23], off
	global_load_ushort v20, v[24:25], off
	s_mov_b64 s[40:41], -1
	s_waitcnt vmcnt(0)
	v_cmp_eq_f16_e64 s[8:9], v18, v20
	s_and_saveexec_b64 s[38:39], s[8:9]
	s_cbranch_execz .LBB1329_98
; %bb.92:
	v_mov_b32_e32 v18, s29
	v_addc_co_u32_e64 v19, s[2:3], v19, v18, s[2:3]
	v_add_co_u32_e64 v18, s[2:3], 2, v24
	v_mov_b32_e32 v20, s29
	v_addc_co_u32_e64 v19, s[2:3], 0, v19, s[2:3]
	v_addc_co_u32_e32 v21, vcc, v21, v20, vcc
	v_add_co_u32_e32 v20, vcc, 2, v22
	s_add_u32 s2, s26, -1
	v_addc_co_u32_e32 v21, vcc, 0, v21, vcc
	s_addc_u32 s3, s27, -1
	s_mov_b64 s[8:9], 0
	s_mov_b64 s[42:43], 0
                                        ; implicit-def: $sgpr40_sgpr41
	s_branch .LBB1329_95
.LBB1329_93:                            ;   in Loop: Header=BB1329_95 Depth=1
	global_load_ushort v22, v[20:21], off
	global_load_ushort v23, v[18:19], off
	v_add_co_u32_e32 v18, vcc, 2, v18
	v_addc_co_u32_e32 v19, vcc, 0, v19, vcc
	v_add_co_u32_e32 v20, vcc, 2, v20
	v_addc_co_u32_e32 v21, vcc, 0, v21, vcc
	s_add_u32 s42, s42, 1
	s_addc_u32 s43, s43, 0
	s_andn2_b64 s[40:41], s[40:41], exec
	s_waitcnt vmcnt(0)
	v_cmp_neq_f16_e32 vcc, v22, v23
	s_and_b64 s[44:45], vcc, exec
	s_or_b64 s[40:41], s[40:41], s[44:45]
.LBB1329_94:                            ;   in Loop: Header=BB1329_95 Depth=1
	s_and_b64 s[44:45], exec, s[40:41]
	s_or_b64 s[8:9], s[44:45], s[8:9]
	v_pk_mov_b32 v[22:23], s[42:43], s[42:43] op_sel:[0,1]
	s_andn2_b64 exec, exec, s[8:9]
	s_cbranch_execz .LBB1329_97
.LBB1329_95:                            ; =>This Inner Loop Header: Depth=1
	s_or_b64 s[40:41], s[40:41], exec
	s_cmp_eq_u64 s[2:3], s[42:43]
	s_cbranch_scc0 .LBB1329_93
; %bb.96:                               ;   in Loop: Header=BB1329_95 Depth=1
                                        ; implicit-def: $vgpr18_vgpr19
                                        ; implicit-def: $vgpr20_vgpr21
	s_mov_b64 s[42:43], s[26:27]
	s_branch .LBB1329_94
.LBB1329_97:
	s_or_b64 exec, exec, s[8:9]
	v_cmp_gt_i64_e32 vcc, s[26:27], v[22:23]
	s_orn2_b64 s[40:41], vcc, exec
.LBB1329_98:
	s_or_b64 exec, exec, s[38:39]
.LBB1329_99:
	s_and_b64 s[2:3], s[40:41], exec
.LBB1329_100:
	s_or_b64 exec, exec, s[36:37]
	v_cmp_ne_u32_e32 vcc, 0, v0
	s_waitcnt lgkmcnt(0)
	v_pk_mov_b32 v[18:19], s[12:13], s[12:13] op_sel:[0,1]
	s_barrier
	s_and_saveexec_b64 s[8:9], vcc
	s_cbranch_execz .LBB1329_102
; %bb.101:
	v_add_u32_e32 v18, -8, v26
	ds_read_b64 v[18:19], v18
.LBB1329_102:
	s_or_b64 exec, exec, s[8:9]
	v_cndmask_b32_e64 v21, 0, 1, s[14:15]
	v_cndmask_b32_e64 v20, 0, 1, s[18:19]
	;; [unrolled: 1-line block ×3, first 2 shown]
	v_lshlrev_b16_e32 v21, 8, v21
	v_lshlrev_b16_e32 v26, 8, v22
	v_or_b32_sdwa v27, v20, v21 dst_sel:WORD_1 dst_unused:UNUSED_PAD src0_sel:DWORD src1_sel:DWORD
	v_cmp_gt_u32_e32 vcc, s7, v1
	s_mov_b64 s[18:19], 0
	s_and_saveexec_b64 s[8:9], vcc
	s_cbranch_execz .LBB1329_113
; %bb.103:
	s_and_b64 vcc, exec, s[0:1]
	s_mov_b64 s[14:15], 0
	s_cbranch_vccnz .LBB1329_112
; %bb.104:
	s_waitcnt lgkmcnt(0)
	v_mul_lo_u32 v20, v19, s26
	v_mul_lo_u32 v21, v18, s27
	v_mad_u64_u32 v[18:19], s[0:1], v18, s26, 0
	v_add3_u32 v19, v19, v21, v20
	v_mul_lo_u32 v20, v15, s26
	v_mul_lo_u32 v21, v14, s27
	v_mad_u64_u32 v[24:25], s[0:1], v14, s26, 0
	v_add3_u32 v25, v25, v21, v20
	v_lshlrev_b64 v[20:21], 1, v[18:19]
	v_mov_b32_e32 v18, s29
	v_add_co_u32_e32 v22, vcc, s28, v20
	v_addc_co_u32_e64 v23, s[0:1], v18, v21, vcc
	v_lshlrev_b64 v[18:19], 1, v[24:25]
	v_mov_b32_e32 v20, s29
	v_add_co_u32_e64 v24, s[0:1], s28, v18
	v_addc_co_u32_e64 v25, s[2:3], v20, v19, s[0:1]
	global_load_ushort v18, v[22:23], off
	global_load_ushort v20, v[24:25], off
	s_mov_b64 s[14:15], -1
	s_waitcnt vmcnt(0)
	v_cmp_eq_f16_e64 s[2:3], v18, v20
	s_and_saveexec_b64 s[12:13], s[2:3]
	s_cbranch_execz .LBB1329_111
; %bb.105:
	v_mov_b32_e32 v18, s29
	v_addc_co_u32_e64 v19, s[0:1], v19, v18, s[0:1]
	v_add_co_u32_e64 v18, s[0:1], 2, v24
	v_mov_b32_e32 v20, s29
	v_addc_co_u32_e64 v19, s[0:1], 0, v19, s[0:1]
	v_addc_co_u32_e32 v21, vcc, v21, v20, vcc
	v_add_co_u32_e32 v20, vcc, 2, v22
	s_add_u32 s0, s26, -1
	v_addc_co_u32_e32 v21, vcc, 0, v21, vcc
	s_addc_u32 s1, s27, -1
	s_mov_b64 s[2:3], 0
                                        ; implicit-def: $sgpr14_sgpr15
	s_branch .LBB1329_108
.LBB1329_106:                           ;   in Loop: Header=BB1329_108 Depth=1
	global_load_ushort v22, v[20:21], off
	global_load_ushort v23, v[18:19], off
	v_add_co_u32_e32 v18, vcc, 2, v18
	v_addc_co_u32_e32 v19, vcc, 0, v19, vcc
	v_add_co_u32_e32 v20, vcc, 2, v20
	v_addc_co_u32_e32 v21, vcc, 0, v21, vcc
	s_add_u32 s18, s18, 1
	s_addc_u32 s19, s19, 0
	s_andn2_b64 s[14:15], s[14:15], exec
	s_waitcnt vmcnt(0)
	v_cmp_neq_f16_e32 vcc, v22, v23
	s_and_b64 s[36:37], vcc, exec
	s_or_b64 s[14:15], s[14:15], s[36:37]
.LBB1329_107:                           ;   in Loop: Header=BB1329_108 Depth=1
	s_and_b64 s[36:37], exec, s[14:15]
	s_or_b64 s[2:3], s[36:37], s[2:3]
	v_pk_mov_b32 v[22:23], s[18:19], s[18:19] op_sel:[0,1]
	s_andn2_b64 exec, exec, s[2:3]
	s_cbranch_execz .LBB1329_110
.LBB1329_108:                           ; =>This Inner Loop Header: Depth=1
	s_or_b64 s[14:15], s[14:15], exec
	s_cmp_eq_u64 s[0:1], s[18:19]
	s_cbranch_scc0 .LBB1329_106
; %bb.109:                              ;   in Loop: Header=BB1329_108 Depth=1
                                        ; implicit-def: $vgpr18_vgpr19
                                        ; implicit-def: $vgpr20_vgpr21
	s_mov_b64 s[18:19], s[26:27]
	s_branch .LBB1329_107
.LBB1329_110:
	s_or_b64 exec, exec, s[2:3]
	v_cmp_gt_i64_e32 vcc, s[26:27], v[22:23]
	s_orn2_b64 s[14:15], vcc, exec
.LBB1329_111:
	s_or_b64 exec, exec, s[12:13]
.LBB1329_112:
	s_and_b64 s[18:19], s[14:15], exec
.LBB1329_113:
	s_or_b64 exec, exec, s[8:9]
	v_or_b32_e32 v28, v26, v27
.LBB1329_114:
	s_waitcnt lgkmcnt(0)
	s_mov_b64 s[12:13], -1
	s_cbranch_execnz .LBB1329_203
.LBB1329_115:
	v_lshlrev_b32_e32 v29, 3, v0
	s_mov_b64 s[18:19], 0
	v_cmp_gt_i64_e64 s[14:15], s[26:27], 0
	s_and_b64 vcc, exec, s[34:35]
	ds_write_b64 v29, v[12:13]
	s_cbranch_vccz .LBB1329_123
; %bb.116:
	v_mul_lo_u32 v20, v11, s26
	v_mul_lo_u32 v21, v10, s27
	v_mad_u64_u32 v[18:19], s[0:1], v10, s26, 0
	v_add3_u32 v19, v19, v21, v20
	v_cndmask_b32_e64 v20, 0, 1, s[14:15]
	v_cmp_ne_u32_e64 s[0:1], 1, v20
	s_andn2_b64 vcc, exec, s[14:15]
	v_lshlrev_b64 v[18:19], 1, v[18:19]
	s_cbranch_vccnz .LBB1329_126
; %bb.117:
	v_mul_lo_u32 v22, v13, s26
	v_mul_lo_u32 v23, v12, s27
	v_mad_u64_u32 v[20:21], s[2:3], v12, s26, 0
	v_add3_u32 v21, v21, v23, v22
	v_mov_b32_e32 v23, s29
	v_add_co_u32_e32 v22, vcc, s28, v18
	v_addc_co_u32_e64 v23, s[2:3], v23, v19, vcc
	v_lshlrev_b64 v[20:21], 1, v[20:21]
	v_mov_b32_e32 v25, s29
	v_add_co_u32_e64 v24, s[2:3], s28, v20
	v_addc_co_u32_e64 v25, s[8:9], v25, v21, s[2:3]
	global_load_ushort v20, v[22:23], off
	global_load_ushort v26, v[24:25], off
	s_mov_b64 s[18:19], -1
	s_waitcnt vmcnt(0)
	v_cmp_eq_f16_e64 s[8:9], v20, v26
	s_and_saveexec_b64 s[36:37], s[8:9]
	s_cbranch_execz .LBB1329_125
; %bb.118:
	v_mov_b32_e32 v20, s29
	v_addc_co_u32_e64 v21, s[2:3], v21, v20, s[2:3]
	v_add_co_u32_e64 v20, s[2:3], 2, v24
	v_mov_b32_e32 v23, s29
	v_addc_co_u32_e64 v21, s[2:3], 0, v21, s[2:3]
	v_addc_co_u32_e32 v23, vcc, v19, v23, vcc
	v_add_co_u32_e32 v22, vcc, 2, v22
	s_add_u32 s2, s26, -1
	v_addc_co_u32_e32 v23, vcc, 0, v23, vcc
	s_addc_u32 s3, s27, -1
	s_mov_b64 s[8:9], 0
	s_mov_b64 s[38:39], 0
                                        ; implicit-def: $sgpr18_sgpr19
	s_branch .LBB1329_121
.LBB1329_119:                           ;   in Loop: Header=BB1329_121 Depth=1
	global_load_ushort v24, v[22:23], off
	global_load_ushort v25, v[20:21], off
	v_add_co_u32_e32 v20, vcc, 2, v20
	v_addc_co_u32_e32 v21, vcc, 0, v21, vcc
	v_add_co_u32_e32 v22, vcc, 2, v22
	v_addc_co_u32_e32 v23, vcc, 0, v23, vcc
	s_add_u32 s38, s38, 1
	s_addc_u32 s39, s39, 0
	s_andn2_b64 s[18:19], s[18:19], exec
	s_waitcnt vmcnt(0)
	v_cmp_neq_f16_e32 vcc, v24, v25
	s_and_b64 s[40:41], vcc, exec
	s_or_b64 s[18:19], s[18:19], s[40:41]
.LBB1329_120:                           ;   in Loop: Header=BB1329_121 Depth=1
	s_and_b64 s[40:41], exec, s[18:19]
	s_or_b64 s[8:9], s[40:41], s[8:9]
	v_pk_mov_b32 v[24:25], s[38:39], s[38:39] op_sel:[0,1]
	s_andn2_b64 exec, exec, s[8:9]
	s_cbranch_execz .LBB1329_124
.LBB1329_121:                           ; =>This Inner Loop Header: Depth=1
	s_or_b64 s[18:19], s[18:19], exec
	s_cmp_eq_u64 s[2:3], s[38:39]
	s_cbranch_scc0 .LBB1329_119
; %bb.122:                              ;   in Loop: Header=BB1329_121 Depth=1
                                        ; implicit-def: $vgpr20_vgpr21
                                        ; implicit-def: $vgpr22_vgpr23
	s_mov_b64 s[38:39], s[26:27]
	s_branch .LBB1329_120
.LBB1329_123:
                                        ; implicit-def: $sgpr18_sgpr19
                                        ; implicit-def: $vgpr28
	s_cbranch_execnz .LBB1329_156
	s_branch .LBB1329_203
.LBB1329_124:
	s_or_b64 exec, exec, s[8:9]
	v_cmp_gt_i64_e32 vcc, s[26:27], v[24:25]
	s_orn2_b64 s[18:19], vcc, exec
.LBB1329_125:
	s_or_b64 exec, exec, s[36:37]
.LBB1329_126:
	v_mul_lo_u32 v22, v17, s26
	v_mul_lo_u32 v23, v16, s27
	v_mad_u64_u32 v[20:21], s[2:3], v16, s26, 0
	v_add3_u32 v21, v21, v23, v22
	s_mov_b64 s[36:37], 0
	s_and_b64 vcc, exec, s[0:1]
	v_lshlrev_b64 v[20:21], 1, v[20:21]
	s_mov_b64 s[38:39], 0
	s_cbranch_vccnz .LBB1329_135
; %bb.127:
	v_mov_b32_e32 v23, s29
	v_add_co_u32_e32 v22, vcc, s28, v20
	v_addc_co_u32_e64 v23, s[2:3], v23, v21, vcc
	v_mov_b32_e32 v25, s29
	v_add_co_u32_e64 v24, s[2:3], s28, v18
	v_addc_co_u32_e64 v25, s[8:9], v25, v19, s[2:3]
	global_load_ushort v18, v[22:23], off
	global_load_ushort v26, v[24:25], off
	s_mov_b64 s[38:39], -1
	s_waitcnt vmcnt(0)
	v_cmp_eq_f16_e64 s[8:9], v18, v26
	s_and_saveexec_b64 s[40:41], s[8:9]
	s_cbranch_execz .LBB1329_134
; %bb.128:
	v_mov_b32_e32 v18, s29
	v_addc_co_u32_e64 v19, s[2:3], v19, v18, s[2:3]
	v_add_co_u32_e64 v18, s[2:3], 2, v24
	v_mov_b32_e32 v23, s29
	v_addc_co_u32_e64 v19, s[2:3], 0, v19, s[2:3]
	v_addc_co_u32_e32 v23, vcc, v21, v23, vcc
	v_add_co_u32_e32 v22, vcc, 2, v22
	s_add_u32 s2, s26, -1
	v_addc_co_u32_e32 v23, vcc, 0, v23, vcc
	s_addc_u32 s3, s27, -1
	s_mov_b64 s[8:9], 0
	s_mov_b64 s[42:43], 0
                                        ; implicit-def: $sgpr38_sgpr39
	s_branch .LBB1329_131
.LBB1329_129:                           ;   in Loop: Header=BB1329_131 Depth=1
	global_load_ushort v24, v[22:23], off
	global_load_ushort v25, v[18:19], off
	v_add_co_u32_e32 v18, vcc, 2, v18
	v_addc_co_u32_e32 v19, vcc, 0, v19, vcc
	v_add_co_u32_e32 v22, vcc, 2, v22
	v_addc_co_u32_e32 v23, vcc, 0, v23, vcc
	s_add_u32 s42, s42, 1
	s_addc_u32 s43, s43, 0
	s_andn2_b64 s[38:39], s[38:39], exec
	s_waitcnt vmcnt(0)
	v_cmp_neq_f16_e32 vcc, v24, v25
	s_and_b64 s[44:45], vcc, exec
	s_or_b64 s[38:39], s[38:39], s[44:45]
.LBB1329_130:                           ;   in Loop: Header=BB1329_131 Depth=1
	s_and_b64 s[44:45], exec, s[38:39]
	s_or_b64 s[8:9], s[44:45], s[8:9]
	v_pk_mov_b32 v[24:25], s[42:43], s[42:43] op_sel:[0,1]
	s_andn2_b64 exec, exec, s[8:9]
	s_cbranch_execz .LBB1329_133
.LBB1329_131:                           ; =>This Inner Loop Header: Depth=1
	s_or_b64 s[38:39], s[38:39], exec
	s_cmp_eq_u64 s[2:3], s[42:43]
	s_cbranch_scc0 .LBB1329_129
; %bb.132:                              ;   in Loop: Header=BB1329_131 Depth=1
                                        ; implicit-def: $vgpr18_vgpr19
                                        ; implicit-def: $vgpr22_vgpr23
	s_mov_b64 s[42:43], s[26:27]
	s_branch .LBB1329_130
.LBB1329_133:
	s_or_b64 exec, exec, s[8:9]
	v_cmp_gt_i64_e32 vcc, s[26:27], v[24:25]
	s_orn2_b64 s[38:39], vcc, exec
.LBB1329_134:
	s_or_b64 exec, exec, s[40:41]
.LBB1329_135:
	v_mul_lo_u32 v22, v15, s26
	v_mul_lo_u32 v23, v14, s27
	v_mad_u64_u32 v[18:19], s[2:3], v14, s26, 0
	s_and_b64 vcc, exec, s[0:1]
	v_add3_u32 v19, v19, v23, v22
	s_cbranch_vccnz .LBB1329_144
; %bb.136:
	v_lshlrev_b64 v[22:23], 1, v[18:19]
	v_mov_b32_e32 v25, s29
	v_add_co_u32_e32 v24, vcc, s28, v22
	v_addc_co_u32_e64 v25, s[2:3], v25, v23, vcc
	v_mov_b32_e32 v22, s29
	v_add_co_u32_e64 v26, s[2:3], s28, v20
	v_addc_co_u32_e64 v27, s[8:9], v22, v21, s[2:3]
	global_load_ushort v20, v[24:25], off
	global_load_ushort v22, v[26:27], off
	s_mov_b64 s[36:37], -1
	s_waitcnt vmcnt(0)
	v_cmp_eq_f16_e64 s[8:9], v20, v22
	s_and_saveexec_b64 s[40:41], s[8:9]
	s_cbranch_execz .LBB1329_143
; %bb.137:
	v_mov_b32_e32 v20, s29
	v_addc_co_u32_e64 v21, s[2:3], v21, v20, s[2:3]
	v_add_co_u32_e64 v20, s[2:3], 2, v26
	v_mov_b32_e32 v22, s29
	v_addc_co_u32_e64 v21, s[2:3], 0, v21, s[2:3]
	v_addc_co_u32_e32 v23, vcc, v23, v22, vcc
	v_add_co_u32_e32 v22, vcc, 2, v24
	s_add_u32 s2, s26, -1
	v_addc_co_u32_e32 v23, vcc, 0, v23, vcc
	s_addc_u32 s3, s27, -1
	s_mov_b64 s[8:9], 0
	s_mov_b64 s[42:43], 0
                                        ; implicit-def: $sgpr36_sgpr37
	s_branch .LBB1329_140
.LBB1329_138:                           ;   in Loop: Header=BB1329_140 Depth=1
	global_load_ushort v24, v[22:23], off
	global_load_ushort v25, v[20:21], off
	v_add_co_u32_e32 v20, vcc, 2, v20
	v_addc_co_u32_e32 v21, vcc, 0, v21, vcc
	v_add_co_u32_e32 v22, vcc, 2, v22
	v_addc_co_u32_e32 v23, vcc, 0, v23, vcc
	s_add_u32 s42, s42, 1
	s_addc_u32 s43, s43, 0
	s_andn2_b64 s[36:37], s[36:37], exec
	s_waitcnt vmcnt(0)
	v_cmp_neq_f16_e32 vcc, v24, v25
	s_and_b64 s[44:45], vcc, exec
	s_or_b64 s[36:37], s[36:37], s[44:45]
.LBB1329_139:                           ;   in Loop: Header=BB1329_140 Depth=1
	s_and_b64 s[44:45], exec, s[36:37]
	s_or_b64 s[8:9], s[44:45], s[8:9]
	v_pk_mov_b32 v[24:25], s[42:43], s[42:43] op_sel:[0,1]
	s_andn2_b64 exec, exec, s[8:9]
	s_cbranch_execz .LBB1329_142
.LBB1329_140:                           ; =>This Inner Loop Header: Depth=1
	s_or_b64 s[36:37], s[36:37], exec
	s_cmp_eq_u64 s[2:3], s[42:43]
	s_cbranch_scc0 .LBB1329_138
; %bb.141:                              ;   in Loop: Header=BB1329_140 Depth=1
                                        ; implicit-def: $vgpr20_vgpr21
                                        ; implicit-def: $vgpr22_vgpr23
	s_mov_b64 s[42:43], s[26:27]
	s_branch .LBB1329_139
.LBB1329_142:
	s_or_b64 exec, exec, s[8:9]
	v_cmp_gt_i64_e32 vcc, s[26:27], v[24:25]
	s_orn2_b64 s[36:37], vcc, exec
.LBB1329_143:
	s_or_b64 exec, exec, s[40:41]
.LBB1329_144:
	v_cndmask_b32_e64 v21, 0, 1, s[18:19]
	v_cndmask_b32_e64 v22, 0, 1, s[36:37]
	;; [unrolled: 1-line block ×3, first 2 shown]
	v_lshlrev_b16_e32 v22, 8, v22
	v_lshlrev_b16_e32 v21, 8, v21
	v_or_b32_e32 v22, 1, v22
	v_or_b32_sdwa v20, v20, v21 dst_sel:WORD_1 dst_unused:UNUSED_PAD src0_sel:DWORD src1_sel:DWORD
	v_or_b32_sdwa v28, v22, v20 dst_sel:DWORD dst_unused:UNUSED_PAD src0_sel:WORD_0 src1_sel:DWORD
	v_cmp_ne_u32_e32 vcc, 0, v0
	s_waitcnt lgkmcnt(0)
	s_barrier
	s_waitcnt lgkmcnt(0)
                                        ; implicit-def: $sgpr18_sgpr19
	s_and_saveexec_b64 s[2:3], vcc
	s_xor_b64 s[8:9], exec, s[2:3]
	s_cbranch_execz .LBB1329_155
; %bb.145:
	s_and_b64 vcc, exec, s[0:1]
	s_mov_b64 s[36:37], 0
	s_cbranch_vccnz .LBB1329_154
; %bb.146:
	v_add_u32_e32 v20, -8, v29
	ds_read_b64 v[20:21], v20
	v_mov_b32_e32 v23, s29
	v_lshlrev_b64 v[18:19], 1, v[18:19]
	s_mov_b64 s[36:37], -1
	s_waitcnt lgkmcnt(0)
	v_mul_lo_u32 v22, v21, s26
	v_mul_lo_u32 v24, v20, s27
	v_mad_u64_u32 v[20:21], s[0:1], v20, s26, 0
	v_add3_u32 v21, v21, v24, v22
	v_lshlrev_b64 v[20:21], 1, v[20:21]
	v_add_co_u32_e32 v22, vcc, s28, v20
	v_addc_co_u32_e64 v23, s[0:1], v23, v21, vcc
	v_mov_b32_e32 v20, s29
	v_add_co_u32_e64 v24, s[0:1], s28, v18
	v_addc_co_u32_e64 v25, s[2:3], v20, v19, s[0:1]
	global_load_ushort v18, v[22:23], off
	global_load_ushort v20, v[24:25], off
	s_waitcnt vmcnt(0)
	v_cmp_eq_f16_e64 s[2:3], v18, v20
	s_and_saveexec_b64 s[18:19], s[2:3]
	s_cbranch_execz .LBB1329_153
; %bb.147:
	v_mov_b32_e32 v18, s29
	v_addc_co_u32_e64 v19, s[0:1], v19, v18, s[0:1]
	v_add_co_u32_e64 v18, s[0:1], 2, v24
	v_mov_b32_e32 v20, s29
	v_addc_co_u32_e64 v19, s[0:1], 0, v19, s[0:1]
	v_addc_co_u32_e32 v21, vcc, v21, v20, vcc
	v_add_co_u32_e32 v20, vcc, 2, v22
	s_add_u32 s0, s26, -1
	v_addc_co_u32_e32 v21, vcc, 0, v21, vcc
	s_addc_u32 s1, s27, -1
	s_mov_b64 s[2:3], 0
	s_mov_b64 s[38:39], 0
                                        ; implicit-def: $sgpr36_sgpr37
	s_branch .LBB1329_150
.LBB1329_148:                           ;   in Loop: Header=BB1329_150 Depth=1
	global_load_ushort v22, v[20:21], off
	global_load_ushort v23, v[18:19], off
	v_add_co_u32_e32 v18, vcc, 2, v18
	v_addc_co_u32_e32 v19, vcc, 0, v19, vcc
	v_add_co_u32_e32 v20, vcc, 2, v20
	v_addc_co_u32_e32 v21, vcc, 0, v21, vcc
	s_add_u32 s38, s38, 1
	s_addc_u32 s39, s39, 0
	s_andn2_b64 s[36:37], s[36:37], exec
	s_waitcnt vmcnt(0)
	v_cmp_neq_f16_e32 vcc, v22, v23
	s_and_b64 s[40:41], vcc, exec
	s_or_b64 s[36:37], s[36:37], s[40:41]
.LBB1329_149:                           ;   in Loop: Header=BB1329_150 Depth=1
	s_and_b64 s[40:41], exec, s[36:37]
	s_or_b64 s[2:3], s[40:41], s[2:3]
	v_pk_mov_b32 v[22:23], s[38:39], s[38:39] op_sel:[0,1]
	s_andn2_b64 exec, exec, s[2:3]
	s_cbranch_execz .LBB1329_152
.LBB1329_150:                           ; =>This Inner Loop Header: Depth=1
	s_or_b64 s[36:37], s[36:37], exec
	s_cmp_eq_u64 s[0:1], s[38:39]
	s_cbranch_scc0 .LBB1329_148
; %bb.151:                              ;   in Loop: Header=BB1329_150 Depth=1
                                        ; implicit-def: $vgpr18_vgpr19
                                        ; implicit-def: $vgpr20_vgpr21
	s_mov_b64 s[38:39], s[26:27]
	s_branch .LBB1329_149
.LBB1329_152:
	s_or_b64 exec, exec, s[2:3]
	v_cmp_gt_i64_e32 vcc, s[26:27], v[22:23]
	s_orn2_b64 s[36:37], vcc, exec
.LBB1329_153:
	s_or_b64 exec, exec, s[18:19]
.LBB1329_154:
	s_and_b64 s[18:19], s[36:37], exec
	s_or_b64 s[12:13], s[12:13], exec
.LBB1329_155:
	s_or_b64 exec, exec, s[8:9]
	s_branch .LBB1329_203
.LBB1329_156:
	v_or_b32_e32 v18, 3, v1
	v_cmp_gt_u32_e32 vcc, s7, v18
	s_mov_b64 s[18:19], 0
	s_mov_b64 s[8:9], 0
	s_and_saveexec_b64 s[36:37], vcc
	s_cbranch_execz .LBB1329_167
; %bb.157:
	s_andn2_b64 vcc, exec, s[14:15]
	s_mov_b64 s[38:39], 0
	s_cbranch_vccnz .LBB1329_166
; %bb.158:
	v_mul_lo_u32 v20, v11, s26
	v_mul_lo_u32 v21, v10, s27
	v_mad_u64_u32 v[18:19], s[0:1], v10, s26, 0
	v_add3_u32 v19, v19, v21, v20
	v_mul_lo_u32 v20, v13, s26
	v_mul_lo_u32 v21, v12, s27
	v_mad_u64_u32 v[24:25], s[0:1], v12, s26, 0
	v_add3_u32 v25, v25, v21, v20
	v_lshlrev_b64 v[20:21], 1, v[18:19]
	v_mov_b32_e32 v18, s29
	v_add_co_u32_e32 v22, vcc, s28, v20
	v_addc_co_u32_e64 v23, s[0:1], v18, v21, vcc
	v_lshlrev_b64 v[18:19], 1, v[24:25]
	v_mov_b32_e32 v20, s29
	v_add_co_u32_e64 v24, s[0:1], s28, v18
	v_addc_co_u32_e64 v25, s[2:3], v20, v19, s[0:1]
	global_load_ushort v18, v[22:23], off
	global_load_ushort v20, v[24:25], off
	s_mov_b64 s[38:39], -1
	s_waitcnt vmcnt(0)
	v_cmp_eq_f16_e64 s[2:3], v18, v20
	s_and_saveexec_b64 s[8:9], s[2:3]
	s_cbranch_execz .LBB1329_165
; %bb.159:
	v_mov_b32_e32 v18, s29
	v_addc_co_u32_e64 v19, s[0:1], v19, v18, s[0:1]
	v_add_co_u32_e64 v18, s[0:1], 2, v24
	v_mov_b32_e32 v20, s29
	v_addc_co_u32_e64 v19, s[0:1], 0, v19, s[0:1]
	v_addc_co_u32_e32 v21, vcc, v21, v20, vcc
	v_add_co_u32_e32 v20, vcc, 2, v22
	s_add_u32 s0, s26, -1
	v_addc_co_u32_e32 v21, vcc, 0, v21, vcc
	s_addc_u32 s1, s27, -1
	s_mov_b64 s[2:3], 0
	s_mov_b64 s[40:41], 0
                                        ; implicit-def: $sgpr38_sgpr39
	s_branch .LBB1329_162
.LBB1329_160:                           ;   in Loop: Header=BB1329_162 Depth=1
	global_load_ushort v22, v[20:21], off
	global_load_ushort v23, v[18:19], off
	v_add_co_u32_e32 v18, vcc, 2, v18
	v_addc_co_u32_e32 v19, vcc, 0, v19, vcc
	v_add_co_u32_e32 v20, vcc, 2, v20
	v_addc_co_u32_e32 v21, vcc, 0, v21, vcc
	s_add_u32 s40, s40, 1
	s_addc_u32 s41, s41, 0
	s_andn2_b64 s[38:39], s[38:39], exec
	s_waitcnt vmcnt(0)
	v_cmp_neq_f16_e32 vcc, v22, v23
	s_and_b64 s[42:43], vcc, exec
	s_or_b64 s[38:39], s[38:39], s[42:43]
.LBB1329_161:                           ;   in Loop: Header=BB1329_162 Depth=1
	s_and_b64 s[42:43], exec, s[38:39]
	s_or_b64 s[2:3], s[42:43], s[2:3]
	v_pk_mov_b32 v[22:23], s[40:41], s[40:41] op_sel:[0,1]
	s_andn2_b64 exec, exec, s[2:3]
	s_cbranch_execz .LBB1329_164
.LBB1329_162:                           ; =>This Inner Loop Header: Depth=1
	s_or_b64 s[38:39], s[38:39], exec
	s_cmp_eq_u64 s[0:1], s[40:41]
	s_cbranch_scc0 .LBB1329_160
; %bb.163:                              ;   in Loop: Header=BB1329_162 Depth=1
                                        ; implicit-def: $vgpr18_vgpr19
                                        ; implicit-def: $vgpr20_vgpr21
	s_mov_b64 s[40:41], s[26:27]
	s_branch .LBB1329_161
.LBB1329_164:
	s_or_b64 exec, exec, s[2:3]
	v_cmp_gt_i64_e32 vcc, s[26:27], v[22:23]
	s_orn2_b64 s[38:39], vcc, exec
.LBB1329_165:
	s_or_b64 exec, exec, s[8:9]
.LBB1329_166:
	s_and_b64 s[8:9], s[38:39], exec
.LBB1329_167:
	s_or_b64 exec, exec, s[36:37]
	v_or_b32_e32 v18, 2, v1
	v_cmp_gt_u32_e32 vcc, s7, v18
	s_and_saveexec_b64 s[36:37], vcc
	s_cbranch_execz .LBB1329_178
; %bb.168:
	s_andn2_b64 vcc, exec, s[14:15]
	s_mov_b64 s[38:39], 0
	s_cbranch_vccnz .LBB1329_177
; %bb.169:
	v_mul_lo_u32 v20, v17, s26
	v_mul_lo_u32 v21, v16, s27
	v_mad_u64_u32 v[18:19], s[0:1], v16, s26, 0
	v_add3_u32 v19, v19, v21, v20
	v_mul_lo_u32 v20, v11, s26
	v_mul_lo_u32 v21, v10, s27
	v_mad_u64_u32 v[24:25], s[0:1], v10, s26, 0
	v_add3_u32 v25, v25, v21, v20
	v_lshlrev_b64 v[20:21], 1, v[18:19]
	v_mov_b32_e32 v18, s29
	v_add_co_u32_e32 v22, vcc, s28, v20
	v_addc_co_u32_e64 v23, s[0:1], v18, v21, vcc
	v_lshlrev_b64 v[18:19], 1, v[24:25]
	v_mov_b32_e32 v20, s29
	v_add_co_u32_e64 v24, s[0:1], s28, v18
	v_addc_co_u32_e64 v25, s[2:3], v20, v19, s[0:1]
	global_load_ushort v18, v[22:23], off
	global_load_ushort v20, v[24:25], off
	s_mov_b64 s[38:39], -1
	s_waitcnt vmcnt(0)
	v_cmp_eq_f16_e64 s[2:3], v18, v20
	s_and_saveexec_b64 s[18:19], s[2:3]
	s_cbranch_execz .LBB1329_176
; %bb.170:
	v_mov_b32_e32 v18, s29
	v_addc_co_u32_e64 v19, s[0:1], v19, v18, s[0:1]
	v_add_co_u32_e64 v18, s[0:1], 2, v24
	v_mov_b32_e32 v20, s29
	v_addc_co_u32_e64 v19, s[0:1], 0, v19, s[0:1]
	v_addc_co_u32_e32 v21, vcc, v21, v20, vcc
	v_add_co_u32_e32 v20, vcc, 2, v22
	s_add_u32 s0, s26, -1
	v_addc_co_u32_e32 v21, vcc, 0, v21, vcc
	s_addc_u32 s1, s27, -1
	s_mov_b64 s[2:3], 0
	s_mov_b64 s[40:41], 0
                                        ; implicit-def: $sgpr38_sgpr39
	s_branch .LBB1329_173
.LBB1329_171:                           ;   in Loop: Header=BB1329_173 Depth=1
	global_load_ushort v22, v[20:21], off
	global_load_ushort v23, v[18:19], off
	v_add_co_u32_e32 v18, vcc, 2, v18
	v_addc_co_u32_e32 v19, vcc, 0, v19, vcc
	v_add_co_u32_e32 v20, vcc, 2, v20
	v_addc_co_u32_e32 v21, vcc, 0, v21, vcc
	s_add_u32 s40, s40, 1
	s_addc_u32 s41, s41, 0
	s_andn2_b64 s[38:39], s[38:39], exec
	s_waitcnt vmcnt(0)
	v_cmp_neq_f16_e32 vcc, v22, v23
	s_and_b64 s[42:43], vcc, exec
	s_or_b64 s[38:39], s[38:39], s[42:43]
.LBB1329_172:                           ;   in Loop: Header=BB1329_173 Depth=1
	s_and_b64 s[42:43], exec, s[38:39]
	s_or_b64 s[2:3], s[42:43], s[2:3]
	v_pk_mov_b32 v[22:23], s[40:41], s[40:41] op_sel:[0,1]
	s_andn2_b64 exec, exec, s[2:3]
	s_cbranch_execz .LBB1329_175
.LBB1329_173:                           ; =>This Inner Loop Header: Depth=1
	s_or_b64 s[38:39], s[38:39], exec
	s_cmp_eq_u64 s[0:1], s[40:41]
	s_cbranch_scc0 .LBB1329_171
; %bb.174:                              ;   in Loop: Header=BB1329_173 Depth=1
                                        ; implicit-def: $vgpr18_vgpr19
                                        ; implicit-def: $vgpr20_vgpr21
	s_mov_b64 s[40:41], s[26:27]
	s_branch .LBB1329_172
.LBB1329_175:
	s_or_b64 exec, exec, s[2:3]
	v_cmp_gt_i64_e32 vcc, s[26:27], v[22:23]
	s_orn2_b64 s[38:39], vcc, exec
.LBB1329_176:
	s_or_b64 exec, exec, s[18:19]
.LBB1329_177:
	s_and_b64 s[18:19], s[38:39], exec
.LBB1329_178:
	s_or_b64 exec, exec, s[36:37]
	v_or_b32_e32 v18, 1, v1
	v_cmp_gt_u32_e32 vcc, s7, v18
	s_mov_b64 s[0:1], 0
	s_and_saveexec_b64 s[36:37], vcc
	s_cbranch_execz .LBB1329_189
; %bb.179:
	s_andn2_b64 vcc, exec, s[14:15]
	s_mov_b64 s[40:41], 0
	s_cbranch_vccnz .LBB1329_188
; %bb.180:
	v_mul_lo_u32 v20, v15, s26
	v_mul_lo_u32 v21, v14, s27
	v_mad_u64_u32 v[18:19], s[0:1], v14, s26, 0
	v_add3_u32 v19, v19, v21, v20
	v_mul_lo_u32 v20, v17, s26
	v_mul_lo_u32 v21, v16, s27
	v_mad_u64_u32 v[24:25], s[0:1], v16, s26, 0
	v_add3_u32 v25, v25, v21, v20
	v_lshlrev_b64 v[20:21], 1, v[18:19]
	v_mov_b32_e32 v18, s29
	v_add_co_u32_e32 v22, vcc, s28, v20
	v_addc_co_u32_e64 v23, s[0:1], v18, v21, vcc
	v_lshlrev_b64 v[18:19], 1, v[24:25]
	v_mov_b32_e32 v20, s29
	v_add_co_u32_e64 v24, s[0:1], s28, v18
	v_addc_co_u32_e64 v25, s[2:3], v20, v19, s[0:1]
	global_load_ushort v18, v[22:23], off
	global_load_ushort v20, v[24:25], off
	s_mov_b64 s[40:41], -1
	s_waitcnt vmcnt(0)
	v_cmp_eq_f16_e64 s[2:3], v18, v20
	s_and_saveexec_b64 s[38:39], s[2:3]
	s_cbranch_execz .LBB1329_187
; %bb.181:
	v_mov_b32_e32 v18, s29
	v_addc_co_u32_e64 v19, s[0:1], v19, v18, s[0:1]
	v_add_co_u32_e64 v18, s[0:1], 2, v24
	v_mov_b32_e32 v20, s29
	v_addc_co_u32_e64 v19, s[0:1], 0, v19, s[0:1]
	v_addc_co_u32_e32 v21, vcc, v21, v20, vcc
	v_add_co_u32_e32 v20, vcc, 2, v22
	s_add_u32 s0, s26, -1
	v_addc_co_u32_e32 v21, vcc, 0, v21, vcc
	s_addc_u32 s1, s27, -1
	s_mov_b64 s[2:3], 0
	s_mov_b64 s[42:43], 0
                                        ; implicit-def: $sgpr40_sgpr41
	s_branch .LBB1329_184
.LBB1329_182:                           ;   in Loop: Header=BB1329_184 Depth=1
	global_load_ushort v22, v[20:21], off
	global_load_ushort v23, v[18:19], off
	v_add_co_u32_e32 v18, vcc, 2, v18
	v_addc_co_u32_e32 v19, vcc, 0, v19, vcc
	v_add_co_u32_e32 v20, vcc, 2, v20
	v_addc_co_u32_e32 v21, vcc, 0, v21, vcc
	s_add_u32 s42, s42, 1
	s_addc_u32 s43, s43, 0
	s_andn2_b64 s[40:41], s[40:41], exec
	s_waitcnt vmcnt(0)
	v_cmp_neq_f16_e32 vcc, v22, v23
	s_and_b64 s[44:45], vcc, exec
	s_or_b64 s[40:41], s[40:41], s[44:45]
.LBB1329_183:                           ;   in Loop: Header=BB1329_184 Depth=1
	s_and_b64 s[44:45], exec, s[40:41]
	s_or_b64 s[2:3], s[44:45], s[2:3]
	v_pk_mov_b32 v[22:23], s[42:43], s[42:43] op_sel:[0,1]
	s_andn2_b64 exec, exec, s[2:3]
	s_cbranch_execz .LBB1329_186
.LBB1329_184:                           ; =>This Inner Loop Header: Depth=1
	s_or_b64 s[40:41], s[40:41], exec
	s_cmp_eq_u64 s[0:1], s[42:43]
	s_cbranch_scc0 .LBB1329_182
; %bb.185:                              ;   in Loop: Header=BB1329_184 Depth=1
                                        ; implicit-def: $vgpr18_vgpr19
                                        ; implicit-def: $vgpr20_vgpr21
	s_mov_b64 s[42:43], s[26:27]
	s_branch .LBB1329_183
.LBB1329_186:
	s_or_b64 exec, exec, s[2:3]
	v_cmp_gt_i64_e32 vcc, s[26:27], v[22:23]
	s_orn2_b64 s[40:41], vcc, exec
.LBB1329_187:
	s_or_b64 exec, exec, s[38:39]
.LBB1329_188:
	s_and_b64 s[0:1], s[40:41], exec
.LBB1329_189:
	s_or_b64 exec, exec, s[36:37]
	v_cndmask_b32_e64 v19, 0, 1, s[8:9]
	v_cndmask_b32_e64 v20, 0, 1, s[0:1]
	;; [unrolled: 1-line block ×3, first 2 shown]
	v_lshlrev_b16_e32 v20, 8, v20
	v_lshlrev_b16_e32 v19, 8, v19
	v_or_b32_e32 v20, 1, v20
	v_or_b32_sdwa v18, v18, v19 dst_sel:WORD_1 dst_unused:UNUSED_PAD src0_sel:DWORD src1_sel:DWORD
	v_or_b32_sdwa v28, v20, v18 dst_sel:DWORD dst_unused:UNUSED_PAD src0_sel:WORD_0 src1_sel:DWORD
	v_cmp_ne_u32_e32 vcc, 0, v0
	s_waitcnt lgkmcnt(0)
	s_barrier
	s_waitcnt lgkmcnt(0)
                                        ; implicit-def: $sgpr18_sgpr19
	s_and_saveexec_b64 s[8:9], vcc
	s_cbranch_execz .LBB1329_202
; %bb.190:
	v_cmp_gt_u32_e32 vcc, s7, v1
	s_mov_b64 s[0:1], 0
	s_and_saveexec_b64 s[18:19], vcc
	s_cbranch_execz .LBB1329_201
; %bb.191:
	s_andn2_b64 vcc, exec, s[14:15]
	s_mov_b64 s[36:37], 0
	s_cbranch_vccnz .LBB1329_200
; %bb.192:
	v_add_u32_e32 v18, -8, v29
	ds_read_b64 v[18:19], v18
	v_mul_lo_u32 v20, v15, s26
	v_mad_u64_u32 v[24:25], s[0:1], v14, s26, 0
	s_mov_b64 s[36:37], -1
	s_waitcnt lgkmcnt(0)
	v_mul_lo_u32 v21, v19, s26
	v_mul_lo_u32 v22, v18, s27
	v_mad_u64_u32 v[18:19], s[0:1], v18, s26, 0
	v_add3_u32 v19, v19, v22, v21
	v_mul_lo_u32 v21, v14, s27
	v_add3_u32 v25, v25, v21, v20
	v_lshlrev_b64 v[20:21], 1, v[18:19]
	v_mov_b32_e32 v18, s29
	v_add_co_u32_e32 v22, vcc, s28, v20
	v_addc_co_u32_e64 v23, s[0:1], v18, v21, vcc
	v_lshlrev_b64 v[18:19], 1, v[24:25]
	v_mov_b32_e32 v20, s29
	v_add_co_u32_e64 v24, s[0:1], s28, v18
	v_addc_co_u32_e64 v25, s[2:3], v20, v19, s[0:1]
	global_load_ushort v18, v[22:23], off
	global_load_ushort v20, v[24:25], off
	s_waitcnt vmcnt(0)
	v_cmp_eq_f16_e64 s[2:3], v18, v20
	s_and_saveexec_b64 s[14:15], s[2:3]
	s_cbranch_execz .LBB1329_199
; %bb.193:
	v_mov_b32_e32 v18, s29
	v_addc_co_u32_e64 v19, s[0:1], v19, v18, s[0:1]
	v_add_co_u32_e64 v18, s[0:1], 2, v24
	v_mov_b32_e32 v20, s29
	v_addc_co_u32_e64 v19, s[0:1], 0, v19, s[0:1]
	v_addc_co_u32_e32 v21, vcc, v21, v20, vcc
	v_add_co_u32_e32 v20, vcc, 2, v22
	s_add_u32 s0, s26, -1
	v_addc_co_u32_e32 v21, vcc, 0, v21, vcc
	s_addc_u32 s1, s27, -1
	s_mov_b64 s[2:3], 0
	s_mov_b64 s[36:37], 0
                                        ; implicit-def: $sgpr28_sgpr29
	s_branch .LBB1329_196
.LBB1329_194:                           ;   in Loop: Header=BB1329_196 Depth=1
	global_load_ushort v22, v[20:21], off
	global_load_ushort v23, v[18:19], off
	v_add_co_u32_e32 v18, vcc, 2, v18
	v_addc_co_u32_e32 v19, vcc, 0, v19, vcc
	v_add_co_u32_e32 v20, vcc, 2, v20
	v_addc_co_u32_e32 v21, vcc, 0, v21, vcc
	s_add_u32 s36, s36, 1
	s_addc_u32 s37, s37, 0
	s_andn2_b64 s[28:29], s[28:29], exec
	s_waitcnt vmcnt(0)
	v_cmp_neq_f16_e32 vcc, v22, v23
	s_and_b64 s[38:39], vcc, exec
	s_or_b64 s[28:29], s[28:29], s[38:39]
.LBB1329_195:                           ;   in Loop: Header=BB1329_196 Depth=1
	s_and_b64 s[38:39], exec, s[28:29]
	s_or_b64 s[2:3], s[38:39], s[2:3]
	v_pk_mov_b32 v[22:23], s[36:37], s[36:37] op_sel:[0,1]
	s_andn2_b64 exec, exec, s[2:3]
	s_cbranch_execz .LBB1329_198
.LBB1329_196:                           ; =>This Inner Loop Header: Depth=1
	s_or_b64 s[28:29], s[28:29], exec
	s_cmp_eq_u64 s[0:1], s[36:37]
	s_cbranch_scc0 .LBB1329_194
; %bb.197:                              ;   in Loop: Header=BB1329_196 Depth=1
                                        ; implicit-def: $vgpr18_vgpr19
                                        ; implicit-def: $vgpr20_vgpr21
	s_mov_b64 s[36:37], s[26:27]
	s_branch .LBB1329_195
.LBB1329_198:
	s_or_b64 exec, exec, s[2:3]
	v_cmp_gt_i64_e32 vcc, s[26:27], v[22:23]
	s_orn2_b64 s[36:37], vcc, exec
.LBB1329_199:
	s_or_b64 exec, exec, s[14:15]
.LBB1329_200:
	s_and_b64 s[0:1], s[36:37], exec
.LBB1329_201:
	s_or_b64 exec, exec, s[18:19]
	s_and_b64 s[18:19], s[0:1], exec
	s_or_b64 s[12:13], s[12:13], exec
.LBB1329_202:
	s_or_b64 exec, exec, s[8:9]
.LBB1329_203:
	s_and_saveexec_b64 s[0:1], s[12:13]
; %bb.204:
	v_and_b32_e32 v18, 0xffffff00, v28
	v_cndmask_b32_e64 v19, 0, 1, s[18:19]
	v_or_b32_e32 v18, v19, v18
	v_and_b32_e32 v18, 0xffff, v18
	s_mov_b32 s2, 0xffff0000
	v_and_or_b32 v28, v28, s2, v18
; %bb.205:
	s_or_b64 exec, exec, s[0:1]
	s_andn2_b64 vcc, exec, s[10:11]
	s_cbranch_vccnz .LBB1329_207
; %bb.206:
	v_cmp_gt_u32_e32 vcc, s7, v1
	v_cndmask_b32_e32 v18, 0, v28, vcc
	v_or_b32_e32 v19, 1, v1
	v_and_b32_e32 v18, 0xff, v18
	v_cmp_gt_u32_e32 vcc, s7, v19
	v_cndmask_b32_e32 v18, v18, v28, vcc
	v_or_b32_e32 v19, 2, v1
	v_and_b32_e32 v18, 0xffff, v18
	;; [unrolled: 4-line block ×3, first 2 shown]
	v_cmp_gt_u32_e32 vcc, s7, v19
	v_cndmask_b32_e32 v28, v18, v28, vcc
.LBB1329_207:
	v_bfe_u32 v30, v28, 16, 8
	v_lshrrev_b32_e32 v29, 24, v28
	v_add_u32_sdwa v18, v28, v28 dst_sel:DWORD dst_unused:UNUSED_PAD src0_sel:BYTE_1 src1_sel:BYTE_0
	v_add3_u32 v33, v18, v30, v29
	v_mbcnt_lo_u32_b32 v18, -1, 0
	v_mbcnt_hi_u32_b32 v31, -1, v18
	v_and_b32_e32 v18, 15, v31
	v_cmp_eq_u32_e64 s[14:15], 0, v18
	v_cmp_lt_u32_e64 s[12:13], 1, v18
	v_cmp_lt_u32_e64 s[10:11], 3, v18
	;; [unrolled: 1-line block ×3, first 2 shown]
	v_and_b32_e32 v18, 16, v31
	v_cmp_eq_u32_e64 s[18:19], 0, v18
	v_or_b32_e32 v18, 63, v0
	v_cmp_lt_u32_e64 s[0:1], 31, v31
	v_lshrrev_b32_e32 v32, 6, v0
	v_cmp_eq_u32_e64 s[2:3], v18, v0
	s_and_b64 vcc, exec, s[16:17]
	s_waitcnt lgkmcnt(0)
	s_barrier
	s_cbranch_vccz .LBB1329_234
; %bb.208:
	v_mov_b32_dpp v18, v33 row_shr:1 row_mask:0xf bank_mask:0xf
	v_cndmask_b32_e64 v18, v18, 0, s[14:15]
	v_add_u32_e32 v18, v18, v33
	s_nop 1
	v_mov_b32_dpp v19, v18 row_shr:2 row_mask:0xf bank_mask:0xf
	v_cndmask_b32_e64 v19, 0, v19, s[12:13]
	v_add_u32_e32 v18, v18, v19
	s_nop 1
	;; [unrolled: 4-line block ×4, first 2 shown]
	v_mov_b32_dpp v19, v18 row_bcast:15 row_mask:0xf bank_mask:0xf
	v_cndmask_b32_e64 v19, v19, 0, s[18:19]
	v_add_u32_e32 v18, v18, v19
	s_nop 1
	v_mov_b32_dpp v19, v18 row_bcast:31 row_mask:0xf bank_mask:0xf
	v_cndmask_b32_e64 v19, 0, v19, s[0:1]
	v_add_u32_e32 v18, v18, v19
	s_and_saveexec_b64 s[16:17], s[2:3]
	s_cbranch_execz .LBB1329_210
; %bb.209:
	v_lshlrev_b32_e32 v19, 2, v32
	ds_write_b32 v19, v18
.LBB1329_210:
	s_or_b64 exec, exec, s[16:17]
	v_cmp_gt_u32_e32 vcc, 2, v0
	s_waitcnt lgkmcnt(0)
	s_barrier
	s_and_saveexec_b64 s[16:17], vcc
	s_cbranch_execz .LBB1329_212
; %bb.211:
	ds_read_b32 v19, v1
	v_bfe_i32 v20, v31, 0, 1
	s_waitcnt lgkmcnt(0)
	v_mov_b32_dpp v21, v19 row_shr:1 row_mask:0xf bank_mask:0xf
	v_and_b32_e32 v20, v20, v21
	v_add_u32_e32 v19, v20, v19
	ds_write_b32 v1, v19
.LBB1329_212:
	s_or_b64 exec, exec, s[16:17]
	v_cmp_gt_u32_e32 vcc, 64, v0
	v_cmp_lt_u32_e64 s[16:17], 63, v0
	s_waitcnt lgkmcnt(0)
	s_barrier
	s_waitcnt lgkmcnt(0)
                                        ; implicit-def: $vgpr34
	s_and_saveexec_b64 s[26:27], s[16:17]
	s_cbranch_execz .LBB1329_214
; %bb.213:
	v_lshl_add_u32 v19, v32, 2, -4
	ds_read_b32 v34, v19
	s_waitcnt lgkmcnt(0)
	v_add_u32_e32 v18, v34, v18
.LBB1329_214:
	s_or_b64 exec, exec, s[26:27]
	v_add_u32_e32 v19, -1, v31
	v_and_b32_e32 v20, 64, v31
	v_cmp_lt_i32_e64 s[16:17], v19, v20
	v_cndmask_b32_e64 v19, v19, v31, s[16:17]
	v_lshlrev_b32_e32 v19, 2, v19
	ds_bpermute_b32 v35, v19, v18
	v_cmp_eq_u32_e64 s[16:17], 0, v31
	s_and_saveexec_b64 s[26:27], vcc
	s_cbranch_execz .LBB1329_233
; %bb.215:
	v_mov_b32_e32 v25, 0
	ds_read_b32 v18, v25 offset:4
	s_and_saveexec_b64 s[28:29], s[16:17]
	s_cbranch_execz .LBB1329_217
; %bb.216:
	s_add_i32 s36, s6, 64
	s_mov_b32 s37, 0
	s_lshl_b64 s[36:37], s[36:37], 3
	s_add_u32 s36, s30, s36
	v_mov_b32_e32 v19, 1
	s_addc_u32 s37, s31, s37
	s_waitcnt lgkmcnt(0)
	global_store_dwordx2 v25, v[18:19], s[36:37]
.LBB1329_217:
	s_or_b64 exec, exec, s[28:29]
	v_xad_u32 v20, v31, -1, s6
	v_add_u32_e32 v24, 64, v20
	v_lshlrev_b64 v[22:23], 3, v[24:25]
	v_mov_b32_e32 v19, s31
	v_add_co_u32_e32 v26, vcc, s30, v22
	v_addc_co_u32_e32 v27, vcc, v19, v23, vcc
	global_load_dwordx2 v[22:23], v[26:27], off glc
	s_waitcnt vmcnt(0)
	v_cmp_eq_u16_sdwa s[36:37], v23, v25 src0_sel:BYTE_0 src1_sel:DWORD
	s_and_saveexec_b64 s[28:29], s[36:37]
	s_cbranch_execz .LBB1329_221
; %bb.218:
	s_mov_b64 s[36:37], 0
	v_mov_b32_e32 v19, 0
.LBB1329_219:                           ; =>This Inner Loop Header: Depth=1
	global_load_dwordx2 v[22:23], v[26:27], off glc
	s_waitcnt vmcnt(0)
	v_cmp_ne_u16_sdwa s[38:39], v23, v19 src0_sel:BYTE_0 src1_sel:DWORD
	s_or_b64 s[36:37], s[38:39], s[36:37]
	s_andn2_b64 exec, exec, s[36:37]
	s_cbranch_execnz .LBB1329_219
; %bb.220:
	s_or_b64 exec, exec, s[36:37]
.LBB1329_221:
	s_or_b64 exec, exec, s[28:29]
	v_and_b32_e32 v36, 63, v31
	v_mov_b32_e32 v19, 2
	v_cmp_ne_u32_e32 vcc, 63, v36
	v_cmp_eq_u16_sdwa s[28:29], v23, v19 src0_sel:BYTE_0 src1_sel:DWORD
	v_lshlrev_b64 v[24:25], v31, -1
	v_addc_co_u32_e32 v27, vcc, 0, v31, vcc
	v_and_b32_e32 v21, s29, v25
	v_lshlrev_b32_e32 v37, 2, v27
	v_or_b32_e32 v21, 0x80000000, v21
	ds_bpermute_b32 v27, v37, v22
	v_and_b32_e32 v26, s28, v24
	v_ffbl_b32_e32 v21, v21
	v_add_u32_e32 v21, 32, v21
	v_ffbl_b32_e32 v26, v26
	v_min_u32_e32 v21, v26, v21
	v_cmp_lt_u32_e32 vcc, v36, v21
	s_waitcnt lgkmcnt(0)
	v_cndmask_b32_e32 v26, 0, v27, vcc
	v_cmp_gt_u32_e32 vcc, 62, v36
	v_add_u32_e32 v22, v26, v22
	v_cndmask_b32_e64 v26, 0, 1, vcc
	v_lshlrev_b32_e32 v26, 1, v26
	v_add_lshl_u32 v38, v26, v31, 2
	ds_bpermute_b32 v26, v38, v22
	v_add_u32_e32 v39, 2, v36
	v_cmp_le_u32_e32 vcc, v39, v21
	v_add_u32_e32 v41, 4, v36
	v_add_u32_e32 v43, 8, v36
	s_waitcnt lgkmcnt(0)
	v_cndmask_b32_e32 v26, 0, v26, vcc
	v_cmp_gt_u32_e32 vcc, 60, v36
	v_add_u32_e32 v22, v22, v26
	v_cndmask_b32_e64 v26, 0, 1, vcc
	v_lshlrev_b32_e32 v26, 2, v26
	v_add_lshl_u32 v40, v26, v31, 2
	ds_bpermute_b32 v26, v40, v22
	v_cmp_le_u32_e32 vcc, v41, v21
	v_add_u32_e32 v46, 16, v36
	v_add_u32_e32 v48, 32, v36
	s_waitcnt lgkmcnt(0)
	v_cndmask_b32_e32 v26, 0, v26, vcc
	v_cmp_gt_u32_e32 vcc, 56, v36
	v_add_u32_e32 v22, v22, v26
	v_cndmask_b32_e64 v26, 0, 1, vcc
	v_lshlrev_b32_e32 v26, 3, v26
	v_add_lshl_u32 v42, v26, v31, 2
	ds_bpermute_b32 v26, v42, v22
	v_cmp_le_u32_e32 vcc, v43, v21
	s_waitcnt lgkmcnt(0)
	v_cndmask_b32_e32 v26, 0, v26, vcc
	v_cmp_gt_u32_e32 vcc, 48, v36
	v_add_u32_e32 v22, v22, v26
	v_cndmask_b32_e64 v26, 0, 1, vcc
	v_lshlrev_b32_e32 v26, 4, v26
	v_add_lshl_u32 v45, v26, v31, 2
	ds_bpermute_b32 v26, v45, v22
	v_cmp_le_u32_e32 vcc, v46, v21
	;; [unrolled: 9-line block ×3, first 2 shown]
	s_waitcnt lgkmcnt(0)
	v_cndmask_b32_e32 v21, 0, v26, vcc
	v_add_u32_e32 v22, v22, v21
	v_mov_b32_e32 v21, 0
	s_branch .LBB1329_223
.LBB1329_222:                           ;   in Loop: Header=BB1329_223 Depth=1
	s_or_b64 exec, exec, s[28:29]
	v_cmp_eq_u16_sdwa s[28:29], v23, v19 src0_sel:BYTE_0 src1_sel:DWORD
	v_and_b32_e32 v26, s29, v25
	v_or_b32_e32 v26, 0x80000000, v26
	ds_bpermute_b32 v49, v37, v22
	v_and_b32_e32 v27, s28, v24
	v_ffbl_b32_e32 v26, v26
	v_add_u32_e32 v26, 32, v26
	v_ffbl_b32_e32 v27, v27
	v_min_u32_e32 v26, v27, v26
	v_cmp_lt_u32_e32 vcc, v36, v26
	s_waitcnt lgkmcnt(0)
	v_cndmask_b32_e32 v27, 0, v49, vcc
	v_add_u32_e32 v22, v27, v22
	ds_bpermute_b32 v27, v38, v22
	v_cmp_le_u32_e32 vcc, v39, v26
	v_subrev_u32_e32 v20, 64, v20
	s_waitcnt lgkmcnt(0)
	v_cndmask_b32_e32 v27, 0, v27, vcc
	v_add_u32_e32 v22, v22, v27
	ds_bpermute_b32 v27, v40, v22
	v_cmp_le_u32_e32 vcc, v41, v26
	s_waitcnt lgkmcnt(0)
	v_cndmask_b32_e32 v27, 0, v27, vcc
	v_add_u32_e32 v22, v22, v27
	ds_bpermute_b32 v27, v42, v22
	v_cmp_le_u32_e32 vcc, v43, v26
	;; [unrolled: 5-line block ×4, first 2 shown]
	s_waitcnt lgkmcnt(0)
	v_cndmask_b32_e32 v26, 0, v27, vcc
	v_add3_u32 v22, v26, v44, v22
.LBB1329_223:                           ; =>This Loop Header: Depth=1
                                        ;     Child Loop BB1329_226 Depth 2
	v_cmp_ne_u16_sdwa s[28:29], v23, v19 src0_sel:BYTE_0 src1_sel:DWORD
	v_cndmask_b32_e64 v23, 0, 1, s[28:29]
	;;#ASMSTART
	;;#ASMEND
	v_cmp_ne_u32_e32 vcc, 0, v23
	s_cmp_lg_u64 vcc, exec
	v_mov_b32_e32 v44, v22
	s_cbranch_scc1 .LBB1329_228
; %bb.224:                              ;   in Loop: Header=BB1329_223 Depth=1
	v_lshlrev_b64 v[22:23], 3, v[20:21]
	v_mov_b32_e32 v27, s31
	v_add_co_u32_e32 v26, vcc, s30, v22
	v_addc_co_u32_e32 v27, vcc, v27, v23, vcc
	global_load_dwordx2 v[22:23], v[26:27], off glc
	s_waitcnt vmcnt(0)
	v_cmp_eq_u16_sdwa s[36:37], v23, v21 src0_sel:BYTE_0 src1_sel:DWORD
	s_and_saveexec_b64 s[28:29], s[36:37]
	s_cbranch_execz .LBB1329_222
; %bb.225:                              ;   in Loop: Header=BB1329_223 Depth=1
	s_mov_b64 s[36:37], 0
.LBB1329_226:                           ;   Parent Loop BB1329_223 Depth=1
                                        ; =>  This Inner Loop Header: Depth=2
	global_load_dwordx2 v[22:23], v[26:27], off glc
	s_waitcnt vmcnt(0)
	v_cmp_ne_u16_sdwa s[38:39], v23, v21 src0_sel:BYTE_0 src1_sel:DWORD
	s_or_b64 s[36:37], s[38:39], s[36:37]
	s_andn2_b64 exec, exec, s[36:37]
	s_cbranch_execnz .LBB1329_226
; %bb.227:                              ;   in Loop: Header=BB1329_223 Depth=1
	s_or_b64 exec, exec, s[36:37]
	s_branch .LBB1329_222
.LBB1329_228:                           ;   in Loop: Header=BB1329_223 Depth=1
                                        ; implicit-def: $vgpr22
                                        ; implicit-def: $vgpr23
	s_cbranch_execz .LBB1329_223
; %bb.229:
	s_and_saveexec_b64 s[28:29], s[16:17]
	s_cbranch_execz .LBB1329_231
; %bb.230:
	s_add_i32 s6, s6, 64
	s_mov_b32 s7, 0
	s_lshl_b64 s[6:7], s[6:7], 3
	s_add_u32 s6, s30, s6
	v_add_u32_e32 v20, v44, v18
	v_mov_b32_e32 v21, 2
	s_addc_u32 s7, s31, s7
	v_mov_b32_e32 v19, 0
	global_store_dwordx2 v19, v[20:21], s[6:7]
	s_movk_i32 s6, 0x1000
	v_add_u32_e64 v19, s6, 0
	ds_write2_b32 v19, v18, v44 offset0:32 offset1:34
.LBB1329_231:
	s_or_b64 exec, exec, s[28:29]
	v_cmp_eq_u32_e32 vcc, 0, v0
	s_and_b64 exec, exec, vcc
	s_cbranch_execz .LBB1329_233
; %bb.232:
	v_mov_b32_e32 v18, 0
	ds_write_b32 v18, v44 offset:4
.LBB1329_233:
	s_or_b64 exec, exec, s[26:27]
	v_mov_b32_e32 v19, 0
	s_waitcnt lgkmcnt(0)
	s_barrier
	ds_read_b32 v19, v19 offset:4
	s_movk_i32 s6, 0x1000
	v_add_u32_e64 v20, s6, 0
	v_cndmask_b32_e64 v18, v35, v34, s[16:17]
	v_cmp_ne_u32_e32 vcc, 0, v0
	s_waitcnt lgkmcnt(0)
	s_barrier
	ds_read2_b32 v[26:27], v20 offset0:32 offset1:34
	v_cndmask_b32_e32 v18, 0, v18, vcc
	v_add_u32_e32 v24, v19, v18
	v_add_u32_sdwa v22, v24, v28 dst_sel:DWORD dst_unused:UNUSED_PAD src0_sel:DWORD src1_sel:BYTE_0
	v_add_u32_sdwa v20, v22, v28 dst_sel:DWORD dst_unused:UNUSED_PAD src0_sel:DWORD src1_sel:BYTE_1
	v_add_u32_e32 v18, v20, v30
	s_waitcnt lgkmcnt(0)
	v_readfirstlane_b32 s26, v26
	v_readfirstlane_b32 s16, v27
	s_branch .LBB1329_244
.LBB1329_234:
                                        ; implicit-def: $vgpr18
                                        ; implicit-def: $vgpr20
                                        ; implicit-def: $vgpr22
                                        ; implicit-def: $vgpr24
                                        ; implicit-def: $sgpr16
                                        ; implicit-def: $sgpr26
	s_cbranch_execz .LBB1329_244
; %bb.235:
	s_nop 0
	v_mov_b32_dpp v18, v33 row_shr:1 row_mask:0xf bank_mask:0xf
	v_cndmask_b32_e64 v18, v18, 0, s[14:15]
	v_add_u32_e32 v18, v18, v33
	s_nop 1
	v_mov_b32_dpp v19, v18 row_shr:2 row_mask:0xf bank_mask:0xf
	v_cndmask_b32_e64 v19, 0, v19, s[12:13]
	v_add_u32_e32 v18, v18, v19
	;; [unrolled: 4-line block ×4, first 2 shown]
	s_nop 1
	v_mov_b32_dpp v19, v18 row_bcast:15 row_mask:0xf bank_mask:0xf
	v_cndmask_b32_e64 v19, v19, 0, s[18:19]
	v_add_u32_e32 v18, v18, v19
	s_nop 1
	v_mov_b32_dpp v19, v18 row_bcast:31 row_mask:0xf bank_mask:0xf
	v_cndmask_b32_e64 v19, 0, v19, s[0:1]
	v_add_u32_e32 v18, v18, v19
	s_and_saveexec_b64 s[0:1], s[2:3]
	s_cbranch_execz .LBB1329_237
; %bb.236:
	v_lshlrev_b32_e32 v19, 2, v32
	ds_write_b32 v19, v18
.LBB1329_237:
	s_or_b64 exec, exec, s[0:1]
	v_cmp_gt_u32_e32 vcc, 2, v0
	s_waitcnt lgkmcnt(0)
	s_barrier
	s_and_saveexec_b64 s[0:1], vcc
	s_cbranch_execz .LBB1329_239
; %bb.238:
	ds_read_b32 v19, v1
	v_bfe_i32 v20, v31, 0, 1
	s_waitcnt lgkmcnt(0)
	v_mov_b32_dpp v21, v19 row_shr:1 row_mask:0xf bank_mask:0xf
	v_and_b32_e32 v20, v20, v21
	v_add_u32_e32 v19, v20, v19
	ds_write_b32 v1, v19
.LBB1329_239:
	s_or_b64 exec, exec, s[0:1]
	v_cmp_lt_u32_e32 vcc, 63, v0
	v_mov_b32_e32 v19, 0
	v_mov_b32_e32 v1, 0
	s_waitcnt lgkmcnt(0)
	s_barrier
	s_and_saveexec_b64 s[0:1], vcc
	s_cbranch_execz .LBB1329_241
; %bb.240:
	v_lshl_add_u32 v1, v32, 2, -4
	ds_read_b32 v1, v1
.LBB1329_241:
	s_or_b64 exec, exec, s[0:1]
	v_add_u32_e32 v20, -1, v31
	v_and_b32_e32 v21, 64, v31
	v_cmp_lt_i32_e32 vcc, v20, v21
	v_cndmask_b32_e32 v20, v20, v31, vcc
	s_waitcnt lgkmcnt(0)
	v_add_u32_e32 v18, v1, v18
	v_lshlrev_b32_e32 v20, 2, v20
	ds_read_b32 v19, v19 offset:4
	ds_bpermute_b32 v18, v20, v18
	s_mov_b32 s16, 0
	v_cmp_eq_u32_e32 vcc, 0, v0
	s_waitcnt lgkmcnt(1)
	v_readfirstlane_b32 s26, v19
	s_and_saveexec_b64 s[0:1], vcc
	s_cbranch_execz .LBB1329_243
; %bb.242:
	v_mov_b32_e32 v19, 0
	v_mov_b32_e32 v20, s26
	;; [unrolled: 1-line block ×3, first 2 shown]
	global_store_dwordx2 v19, v[20:21], s[30:31] offset:512
.LBB1329_243:
	s_or_b64 exec, exec, s[0:1]
	v_cmp_eq_u32_e64 s[0:1], 0, v31
	s_waitcnt lgkmcnt(0)
	v_cndmask_b32_e64 v1, v18, v1, s[0:1]
	v_cndmask_b32_e64 v24, v1, 0, vcc
	v_add_u32_sdwa v22, v24, v28 dst_sel:DWORD dst_unused:UNUSED_PAD src0_sel:DWORD src1_sel:BYTE_0
	v_add_u32_sdwa v20, v22, v28 dst_sel:DWORD dst_unused:UNUSED_PAD src0_sel:DWORD src1_sel:BYTE_1
	v_add_u32_e32 v18, v20, v30
	s_barrier
.LBB1329_244:
	s_load_dwordx4 s[4:7], s[4:5], 0x28
	s_cmpk_lt_u32 s26, 0x81
	s_cselect_b64 s[2:3], -1, 0
	v_lshrrev_b32_e32 v1, 8, v28
	s_mov_b64 s[0:1], -1
	s_and_b64 vcc, exec, s[2:3]
	s_cbranch_vccz .LBB1329_258
; %bb.245:
	s_add_i32 s8, s16, s26
	v_cmp_gt_u32_e32 vcc, s8, v24
	s_or_b64 s[10:11], s[34:35], vcc
	s_and_saveexec_b64 s[0:1], s[10:11]
	s_cbranch_execz .LBB1329_248
; %bb.246:
	v_and_b32_e32 v19, 1, v28
	v_cmp_eq_u32_e32 vcc, 1, v19
	s_and_b64 exec, exec, vcc
	s_cbranch_execz .LBB1329_248
; %bb.247:
	s_lshl_b64 s[10:11], s[22:23], 3
	s_waitcnt lgkmcnt(0)
	s_add_u32 s9, s4, s10
	v_mov_b32_e32 v25, 0
	s_addc_u32 s10, s5, s11
	v_lshlrev_b64 v[26:27], 3, v[24:25]
	v_mov_b32_e32 v19, s10
	v_add_co_u32_e32 v26, vcc, s9, v26
	v_addc_co_u32_e32 v27, vcc, v19, v27, vcc
	global_store_dwordx2 v[26:27], v[14:15], off
.LBB1329_248:
	s_or_b64 exec, exec, s[0:1]
	v_cmp_gt_u32_e32 vcc, s8, v22
	s_or_b64 s[10:11], s[34:35], vcc
	s_and_saveexec_b64 s[0:1], s[10:11]
	s_cbranch_execz .LBB1329_251
; %bb.249:
	v_and_b32_e32 v19, 1, v1
	v_cmp_eq_u32_e32 vcc, 1, v19
	s_and_b64 exec, exec, vcc
	s_cbranch_execz .LBB1329_251
; %bb.250:
	s_lshl_b64 s[10:11], s[22:23], 3
	s_waitcnt lgkmcnt(0)
	s_add_u32 s9, s4, s10
	v_mov_b32_e32 v23, 0
	s_addc_u32 s10, s5, s11
	v_lshlrev_b64 v[26:27], 3, v[22:23]
	v_mov_b32_e32 v19, s10
	v_add_co_u32_e32 v26, vcc, s9, v26
	v_addc_co_u32_e32 v27, vcc, v19, v27, vcc
	global_store_dwordx2 v[26:27], v[16:17], off
.LBB1329_251:
	s_or_b64 exec, exec, s[0:1]
	v_cmp_gt_u32_e32 vcc, s8, v20
	s_or_b64 s[10:11], s[34:35], vcc
	s_and_saveexec_b64 s[0:1], s[10:11]
	s_cbranch_execz .LBB1329_254
; %bb.252:
	v_mov_b32_e32 v19, 1
	v_and_b32_sdwa v19, v19, v28 dst_sel:DWORD dst_unused:UNUSED_PAD src0_sel:DWORD src1_sel:WORD_1
	v_cmp_eq_u32_e32 vcc, 1, v19
	s_and_b64 exec, exec, vcc
	s_cbranch_execz .LBB1329_254
; %bb.253:
	s_lshl_b64 s[10:11], s[22:23], 3
	s_waitcnt lgkmcnt(0)
	s_add_u32 s9, s4, s10
	v_mov_b32_e32 v21, 0
	s_addc_u32 s10, s5, s11
	v_lshlrev_b64 v[26:27], 3, v[20:21]
	v_mov_b32_e32 v19, s10
	v_add_co_u32_e32 v26, vcc, s9, v26
	v_addc_co_u32_e32 v27, vcc, v19, v27, vcc
	global_store_dwordx2 v[26:27], v[10:11], off
.LBB1329_254:
	s_or_b64 exec, exec, s[0:1]
	v_cmp_gt_u32_e32 vcc, s8, v18
	s_or_b64 s[8:9], s[34:35], vcc
	s_and_saveexec_b64 s[0:1], s[8:9]
	s_cbranch_execz .LBB1329_257
; %bb.255:
	v_and_b32_e32 v19, 1, v29
	v_cmp_eq_u32_e32 vcc, 1, v19
	s_and_b64 exec, exec, vcc
	s_cbranch_execz .LBB1329_257
; %bb.256:
	s_lshl_b64 s[8:9], s[22:23], 3
	s_waitcnt lgkmcnt(0)
	s_add_u32 s8, s4, s8
	v_mov_b32_e32 v19, 0
	s_addc_u32 s9, s5, s9
	v_lshlrev_b64 v[26:27], 3, v[18:19]
	v_mov_b32_e32 v19, s9
	v_add_co_u32_e32 v26, vcc, s8, v26
	v_addc_co_u32_e32 v27, vcc, v19, v27, vcc
	global_store_dwordx2 v[26:27], v[12:13], off
.LBB1329_257:
	s_or_b64 exec, exec, s[0:1]
	s_mov_b64 s[0:1], 0
.LBB1329_258:
	v_and_b32_e32 v26, 1, v28
	s_and_b64 vcc, exec, s[0:1]
	v_cmp_eq_u32_e64 s[0:1], 1, v26
	s_cbranch_vccz .LBB1329_271
; %bb.259:
	s_and_saveexec_b64 s[8:9], s[0:1]
	s_cbranch_execz .LBB1329_261
; %bb.260:
	v_subrev_u32_e32 v19, s16, v24
	v_lshlrev_b32_e32 v19, 3, v19
	ds_write_b64 v19, v[14:15]
.LBB1329_261:
	s_or_b64 exec, exec, s[8:9]
	v_and_b32_e32 v14, 1, v1
	v_cmp_eq_u32_e32 vcc, 1, v14
	s_and_saveexec_b64 s[0:1], vcc
	s_cbranch_execz .LBB1329_263
; %bb.262:
	v_subrev_u32_e32 v14, s16, v22
	v_lshlrev_b32_e32 v14, 3, v14
	ds_write_b64 v14, v[16:17]
.LBB1329_263:
	s_or_b64 exec, exec, s[0:1]
	v_mov_b32_e32 v14, 1
	v_and_b32_sdwa v14, v14, v28 dst_sel:DWORD dst_unused:UNUSED_PAD src0_sel:DWORD src1_sel:WORD_1
	v_cmp_eq_u32_e32 vcc, 1, v14
	s_and_saveexec_b64 s[0:1], vcc
	s_cbranch_execz .LBB1329_265
; %bb.264:
	v_subrev_u32_e32 v14, s16, v20
	v_lshlrev_b32_e32 v14, 3, v14
	ds_write_b64 v14, v[10:11]
.LBB1329_265:
	s_or_b64 exec, exec, s[0:1]
	v_and_b32_e32 v10, 1, v29
	v_cmp_eq_u32_e32 vcc, 1, v10
	s_and_saveexec_b64 s[0:1], vcc
	s_cbranch_execz .LBB1329_267
; %bb.266:
	v_subrev_u32_e32 v10, s16, v18
	v_lshlrev_b32_e32 v10, 3, v10
	ds_write_b64 v10, v[12:13]
.LBB1329_267:
	s_or_b64 exec, exec, s[0:1]
	v_cmp_gt_u32_e32 vcc, s26, v0
	s_waitcnt lgkmcnt(0)
	s_barrier
	s_and_saveexec_b64 s[0:1], vcc
	s_cbranch_execz .LBB1329_270
; %bb.268:
	s_mov_b32 s17, 0
	s_lshl_b64 s[8:9], s[16:17], 3
	s_add_u32 s8, s4, s8
	s_addc_u32 s9, s5, s9
	s_lshl_b64 s[4:5], s[22:23], 3
	s_add_u32 s8, s8, s4
	s_addc_u32 s9, s9, s5
	v_lshlrev_b32_e32 v12, 3, v0
	s_mov_b64 s[4:5], 0
	v_mov_b32_e32 v11, 0
	v_mov_b32_e32 v13, s9
	;; [unrolled: 1-line block ×3, first 2 shown]
.LBB1329_269:                           ; =>This Inner Loop Header: Depth=1
	ds_read_b64 v[14:15], v12
	v_lshlrev_b64 v[16:17], 3, v[10:11]
	v_add_co_u32_e32 v16, vcc, s8, v16
	v_add_u32_e32 v10, 0x80, v10
	v_addc_co_u32_e32 v17, vcc, v13, v17, vcc
	v_cmp_le_u32_e32 vcc, s26, v10
	v_add_u32_e32 v12, 0x400, v12
	s_or_b64 s[4:5], vcc, s[4:5]
	s_waitcnt lgkmcnt(0)
	global_store_dwordx2 v[16:17], v[14:15], off
	s_andn2_b64 exec, exec, s[4:5]
	s_cbranch_execnz .LBB1329_269
.LBB1329_270:
	s_or_b64 exec, exec, s[0:1]
.LBB1329_271:
	s_mov_b64 s[0:1], -1
	s_and_b64 vcc, exec, s[2:3]
	s_waitcnt lgkmcnt(0)
	s_barrier
	s_cbranch_vccnz .LBB1329_275
; %bb.272:
	s_and_b64 vcc, exec, s[0:1]
	s_cbranch_vccnz .LBB1329_288
.LBB1329_273:
	v_cmp_eq_u32_e32 vcc, 0, v0
	s_and_b64 s[0:1], vcc, s[24:25]
	s_and_saveexec_b64 s[2:3], s[0:1]
	s_cbranch_execnz .LBB1329_300
.LBB1329_274:
	s_endpgm
.LBB1329_275:
	s_add_i32 s2, s16, s26
	v_cmp_gt_u32_e32 vcc, s2, v24
	s_or_b64 s[4:5], s[34:35], vcc
	s_and_saveexec_b64 s[0:1], s[4:5]
	s_cbranch_execz .LBB1329_278
; %bb.276:
	v_cmp_eq_u32_e32 vcc, 1, v26
	s_and_b64 exec, exec, vcc
	s_cbranch_execz .LBB1329_278
; %bb.277:
	s_lshl_b64 s[4:5], s[22:23], 3
	s_add_u32 s3, s6, s4
	v_mov_b32_e32 v25, 0
	s_addc_u32 s4, s7, s5
	v_lshlrev_b64 v[10:11], 3, v[24:25]
	v_mov_b32_e32 v12, s4
	v_add_co_u32_e32 v10, vcc, s3, v10
	v_addc_co_u32_e32 v11, vcc, v12, v11, vcc
	global_store_dwordx2 v[10:11], v[6:7], off
.LBB1329_278:
	s_or_b64 exec, exec, s[0:1]
	v_cmp_gt_u32_e32 vcc, s2, v22
	s_or_b64 s[4:5], s[34:35], vcc
	s_and_saveexec_b64 s[0:1], s[4:5]
	s_cbranch_execz .LBB1329_281
; %bb.279:
	v_and_b32_e32 v10, 1, v1
	v_cmp_eq_u32_e32 vcc, 1, v10
	s_and_b64 exec, exec, vcc
	s_cbranch_execz .LBB1329_281
; %bb.280:
	s_lshl_b64 s[4:5], s[22:23], 3
	s_add_u32 s3, s6, s4
	v_mov_b32_e32 v23, 0
	s_addc_u32 s4, s7, s5
	v_lshlrev_b64 v[10:11], 3, v[22:23]
	v_mov_b32_e32 v12, s4
	v_add_co_u32_e32 v10, vcc, s3, v10
	v_addc_co_u32_e32 v11, vcc, v12, v11, vcc
	global_store_dwordx2 v[10:11], v[8:9], off
.LBB1329_281:
	s_or_b64 exec, exec, s[0:1]
	v_cmp_gt_u32_e32 vcc, s2, v20
	s_or_b64 s[4:5], s[34:35], vcc
	s_and_saveexec_b64 s[0:1], s[4:5]
	s_cbranch_execz .LBB1329_284
; %bb.282:
	v_mov_b32_e32 v10, 1
	v_and_b32_sdwa v10, v10, v28 dst_sel:DWORD dst_unused:UNUSED_PAD src0_sel:DWORD src1_sel:WORD_1
	v_cmp_eq_u32_e32 vcc, 1, v10
	s_and_b64 exec, exec, vcc
	s_cbranch_execz .LBB1329_284
; %bb.283:
	s_lshl_b64 s[4:5], s[22:23], 3
	s_add_u32 s3, s6, s4
	v_mov_b32_e32 v21, 0
	s_addc_u32 s4, s7, s5
	v_lshlrev_b64 v[10:11], 3, v[20:21]
	v_mov_b32_e32 v12, s4
	v_add_co_u32_e32 v10, vcc, s3, v10
	v_addc_co_u32_e32 v11, vcc, v12, v11, vcc
	global_store_dwordx2 v[10:11], v[2:3], off
.LBB1329_284:
	s_or_b64 exec, exec, s[0:1]
	v_cmp_gt_u32_e32 vcc, s2, v18
	s_or_b64 s[2:3], s[34:35], vcc
	s_and_saveexec_b64 s[0:1], s[2:3]
	s_cbranch_execz .LBB1329_287
; %bb.285:
	v_and_b32_e32 v10, 1, v29
	v_cmp_eq_u32_e32 vcc, 1, v10
	s_and_b64 exec, exec, vcc
	s_cbranch_execz .LBB1329_287
; %bb.286:
	s_lshl_b64 s[2:3], s[22:23], 3
	s_add_u32 s2, s6, s2
	v_mov_b32_e32 v19, 0
	s_addc_u32 s3, s7, s3
	v_lshlrev_b64 v[10:11], 3, v[18:19]
	v_mov_b32_e32 v12, s3
	v_add_co_u32_e32 v10, vcc, s2, v10
	v_addc_co_u32_e32 v11, vcc, v12, v11, vcc
	global_store_dwordx2 v[10:11], v[4:5], off
.LBB1329_287:
	s_or_b64 exec, exec, s[0:1]
	s_branch .LBB1329_273
.LBB1329_288:
	v_cmp_eq_u32_e32 vcc, 1, v26
	s_and_saveexec_b64 s[0:1], vcc
	s_cbranch_execz .LBB1329_290
; %bb.289:
	v_subrev_u32_e32 v10, s16, v24
	v_lshlrev_b32_e32 v10, 3, v10
	ds_write_b64 v10, v[6:7]
.LBB1329_290:
	s_or_b64 exec, exec, s[0:1]
	v_and_b32_e32 v1, 1, v1
	v_cmp_eq_u32_e32 vcc, 1, v1
	s_and_saveexec_b64 s[0:1], vcc
	s_cbranch_execz .LBB1329_292
; %bb.291:
	v_subrev_u32_e32 v1, s16, v22
	v_lshlrev_b32_e32 v1, 3, v1
	ds_write_b64 v1, v[8:9]
.LBB1329_292:
	s_or_b64 exec, exec, s[0:1]
	v_mov_b32_e32 v1, 1
	v_and_b32_sdwa v1, v1, v28 dst_sel:DWORD dst_unused:UNUSED_PAD src0_sel:DWORD src1_sel:WORD_1
	v_cmp_eq_u32_e32 vcc, 1, v1
	s_and_saveexec_b64 s[0:1], vcc
	s_cbranch_execz .LBB1329_294
; %bb.293:
	v_subrev_u32_e32 v1, s16, v20
	v_lshlrev_b32_e32 v1, 3, v1
	ds_write_b64 v1, v[2:3]
.LBB1329_294:
	s_or_b64 exec, exec, s[0:1]
	v_and_b32_e32 v1, 1, v29
	v_cmp_eq_u32_e32 vcc, 1, v1
	s_and_saveexec_b64 s[0:1], vcc
	s_cbranch_execz .LBB1329_296
; %bb.295:
	v_subrev_u32_e32 v1, s16, v18
	v_lshlrev_b32_e32 v1, 3, v1
	ds_write_b64 v1, v[4:5]
.LBB1329_296:
	s_or_b64 exec, exec, s[0:1]
	v_cmp_gt_u32_e32 vcc, s26, v0
	s_waitcnt lgkmcnt(0)
	s_barrier
	s_and_saveexec_b64 s[0:1], vcc
	s_cbranch_execz .LBB1329_299
; %bb.297:
	s_mov_b32 s17, 0
	s_lshl_b64 s[2:3], s[16:17], 3
	s_add_u32 s4, s6, s2
	s_addc_u32 s5, s7, s3
	s_lshl_b64 s[2:3], s[22:23], 3
	s_add_u32 s4, s4, s2
	s_addc_u32 s5, s5, s3
	v_lshlrev_b32_e32 v1, 3, v0
	s_mov_b64 s[2:3], 0
	v_mov_b32_e32 v3, 0
	v_mov_b32_e32 v4, s5
	v_mov_b32_e32 v2, v0
.LBB1329_298:                           ; =>This Inner Loop Header: Depth=1
	ds_read_b64 v[6:7], v1
	v_lshlrev_b64 v[8:9], 3, v[2:3]
	v_add_co_u32_e32 v8, vcc, s4, v8
	v_add_u32_e32 v2, 0x80, v2
	v_addc_co_u32_e32 v9, vcc, v4, v9, vcc
	v_cmp_le_u32_e32 vcc, s26, v2
	v_add_u32_e32 v1, 0x400, v1
	s_or_b64 s[2:3], vcc, s[2:3]
	s_waitcnt lgkmcnt(0)
	global_store_dwordx2 v[8:9], v[6:7], off
	s_andn2_b64 exec, exec, s[2:3]
	s_cbranch_execnz .LBB1329_298
.LBB1329_299:
	s_or_b64 exec, exec, s[0:1]
	v_cmp_eq_u32_e32 vcc, 0, v0
	s_and_b64 s[0:1], vcc, s[24:25]
	s_and_saveexec_b64 s[2:3], s[0:1]
	s_cbranch_execz .LBB1329_274
.LBB1329_300:
	s_add_u32 s0, s22, s26
	s_addc_u32 s1, s23, 0
	s_add_u32 s0, s0, s16
	s_addc_u32 s1, s1, 0
	v_mov_b32_e32 v2, 0
	v_pk_mov_b32 v[0:1], s[0:1], s[0:1] op_sel:[0,1]
	global_store_dwordx2 v2, v[0:1], s[20:21]
	s_endpgm
	.section	.rodata,"a",@progbits
	.p2align	6, 0x0
	.amdhsa_kernel _ZN7rocprim17ROCPRIM_400000_NS6detail17trampoline_kernelINS0_14default_configENS1_25partition_config_selectorILNS1_17partition_subalgoE9EllbEEZZNS1_14partition_implILS5_9ELb0ES3_jPlS8_PNS0_10empty_typeENS0_5tupleIJS8_S9_EEENSB_IJS8_SA_EEENS0_18inequality_wrapperIZN2at6native12_GLOBAL__N_124unique_dim_cuda_templateIN3c104HalfEEESt5tupleIJNSF_6TensorESM_SM_EERKSM_lbbbEUlllE0_EEPmJS9_EEE10hipError_tPvRmT3_T4_T5_T6_T7_T9_mT8_P12ihipStream_tbDpT10_ENKUlT_T0_E_clISt17integral_constantIbLb0EES1C_EEDaS17_S18_EUlS17_E_NS1_11comp_targetILNS1_3genE4ELNS1_11target_archE910ELNS1_3gpuE8ELNS1_3repE0EEENS1_30default_config_static_selectorELNS0_4arch9wavefront6targetE1EEEvT1_
		.amdhsa_group_segment_fixed_size 4236
		.amdhsa_private_segment_fixed_size 0
		.amdhsa_kernarg_size 120
		.amdhsa_user_sgpr_count 6
		.amdhsa_user_sgpr_private_segment_buffer 1
		.amdhsa_user_sgpr_dispatch_ptr 0
		.amdhsa_user_sgpr_queue_ptr 0
		.amdhsa_user_sgpr_kernarg_segment_ptr 1
		.amdhsa_user_sgpr_dispatch_id 0
		.amdhsa_user_sgpr_flat_scratch_init 0
		.amdhsa_user_sgpr_kernarg_preload_length 0
		.amdhsa_user_sgpr_kernarg_preload_offset 0
		.amdhsa_user_sgpr_private_segment_size 0
		.amdhsa_uses_dynamic_stack 0
		.amdhsa_system_sgpr_private_segment_wavefront_offset 0
		.amdhsa_system_sgpr_workgroup_id_x 1
		.amdhsa_system_sgpr_workgroup_id_y 0
		.amdhsa_system_sgpr_workgroup_id_z 0
		.amdhsa_system_sgpr_workgroup_info 0
		.amdhsa_system_vgpr_workitem_id 0
		.amdhsa_next_free_vgpr 50
		.amdhsa_next_free_sgpr 46
		.amdhsa_accum_offset 52
		.amdhsa_reserve_vcc 1
		.amdhsa_reserve_flat_scratch 0
		.amdhsa_float_round_mode_32 0
		.amdhsa_float_round_mode_16_64 0
		.amdhsa_float_denorm_mode_32 3
		.amdhsa_float_denorm_mode_16_64 3
		.amdhsa_dx10_clamp 1
		.amdhsa_ieee_mode 1
		.amdhsa_fp16_overflow 0
		.amdhsa_tg_split 0
		.amdhsa_exception_fp_ieee_invalid_op 0
		.amdhsa_exception_fp_denorm_src 0
		.amdhsa_exception_fp_ieee_div_zero 0
		.amdhsa_exception_fp_ieee_overflow 0
		.amdhsa_exception_fp_ieee_underflow 0
		.amdhsa_exception_fp_ieee_inexact 0
		.amdhsa_exception_int_div_zero 0
	.end_amdhsa_kernel
	.section	.text._ZN7rocprim17ROCPRIM_400000_NS6detail17trampoline_kernelINS0_14default_configENS1_25partition_config_selectorILNS1_17partition_subalgoE9EllbEEZZNS1_14partition_implILS5_9ELb0ES3_jPlS8_PNS0_10empty_typeENS0_5tupleIJS8_S9_EEENSB_IJS8_SA_EEENS0_18inequality_wrapperIZN2at6native12_GLOBAL__N_124unique_dim_cuda_templateIN3c104HalfEEESt5tupleIJNSF_6TensorESM_SM_EERKSM_lbbbEUlllE0_EEPmJS9_EEE10hipError_tPvRmT3_T4_T5_T6_T7_T9_mT8_P12ihipStream_tbDpT10_ENKUlT_T0_E_clISt17integral_constantIbLb0EES1C_EEDaS17_S18_EUlS17_E_NS1_11comp_targetILNS1_3genE4ELNS1_11target_archE910ELNS1_3gpuE8ELNS1_3repE0EEENS1_30default_config_static_selectorELNS0_4arch9wavefront6targetE1EEEvT1_,"axG",@progbits,_ZN7rocprim17ROCPRIM_400000_NS6detail17trampoline_kernelINS0_14default_configENS1_25partition_config_selectorILNS1_17partition_subalgoE9EllbEEZZNS1_14partition_implILS5_9ELb0ES3_jPlS8_PNS0_10empty_typeENS0_5tupleIJS8_S9_EEENSB_IJS8_SA_EEENS0_18inequality_wrapperIZN2at6native12_GLOBAL__N_124unique_dim_cuda_templateIN3c104HalfEEESt5tupleIJNSF_6TensorESM_SM_EERKSM_lbbbEUlllE0_EEPmJS9_EEE10hipError_tPvRmT3_T4_T5_T6_T7_T9_mT8_P12ihipStream_tbDpT10_ENKUlT_T0_E_clISt17integral_constantIbLb0EES1C_EEDaS17_S18_EUlS17_E_NS1_11comp_targetILNS1_3genE4ELNS1_11target_archE910ELNS1_3gpuE8ELNS1_3repE0EEENS1_30default_config_static_selectorELNS0_4arch9wavefront6targetE1EEEvT1_,comdat
.Lfunc_end1329:
	.size	_ZN7rocprim17ROCPRIM_400000_NS6detail17trampoline_kernelINS0_14default_configENS1_25partition_config_selectorILNS1_17partition_subalgoE9EllbEEZZNS1_14partition_implILS5_9ELb0ES3_jPlS8_PNS0_10empty_typeENS0_5tupleIJS8_S9_EEENSB_IJS8_SA_EEENS0_18inequality_wrapperIZN2at6native12_GLOBAL__N_124unique_dim_cuda_templateIN3c104HalfEEESt5tupleIJNSF_6TensorESM_SM_EERKSM_lbbbEUlllE0_EEPmJS9_EEE10hipError_tPvRmT3_T4_T5_T6_T7_T9_mT8_P12ihipStream_tbDpT10_ENKUlT_T0_E_clISt17integral_constantIbLb0EES1C_EEDaS17_S18_EUlS17_E_NS1_11comp_targetILNS1_3genE4ELNS1_11target_archE910ELNS1_3gpuE8ELNS1_3repE0EEENS1_30default_config_static_selectorELNS0_4arch9wavefront6targetE1EEEvT1_, .Lfunc_end1329-_ZN7rocprim17ROCPRIM_400000_NS6detail17trampoline_kernelINS0_14default_configENS1_25partition_config_selectorILNS1_17partition_subalgoE9EllbEEZZNS1_14partition_implILS5_9ELb0ES3_jPlS8_PNS0_10empty_typeENS0_5tupleIJS8_S9_EEENSB_IJS8_SA_EEENS0_18inequality_wrapperIZN2at6native12_GLOBAL__N_124unique_dim_cuda_templateIN3c104HalfEEESt5tupleIJNSF_6TensorESM_SM_EERKSM_lbbbEUlllE0_EEPmJS9_EEE10hipError_tPvRmT3_T4_T5_T6_T7_T9_mT8_P12ihipStream_tbDpT10_ENKUlT_T0_E_clISt17integral_constantIbLb0EES1C_EEDaS17_S18_EUlS17_E_NS1_11comp_targetILNS1_3genE4ELNS1_11target_archE910ELNS1_3gpuE8ELNS1_3repE0EEENS1_30default_config_static_selectorELNS0_4arch9wavefront6targetE1EEEvT1_
                                        ; -- End function
	.section	.AMDGPU.csdata,"",@progbits
; Kernel info:
; codeLenInByte = 10796
; NumSgprs: 50
; NumVgprs: 50
; NumAgprs: 0
; TotalNumVgprs: 50
; ScratchSize: 0
; MemoryBound: 0
; FloatMode: 240
; IeeeMode: 1
; LDSByteSize: 4236 bytes/workgroup (compile time only)
; SGPRBlocks: 6
; VGPRBlocks: 6
; NumSGPRsForWavesPerEU: 50
; NumVGPRsForWavesPerEU: 50
; AccumOffset: 52
; Occupancy: 8
; WaveLimiterHint : 1
; COMPUTE_PGM_RSRC2:SCRATCH_EN: 0
; COMPUTE_PGM_RSRC2:USER_SGPR: 6
; COMPUTE_PGM_RSRC2:TRAP_HANDLER: 0
; COMPUTE_PGM_RSRC2:TGID_X_EN: 1
; COMPUTE_PGM_RSRC2:TGID_Y_EN: 0
; COMPUTE_PGM_RSRC2:TGID_Z_EN: 0
; COMPUTE_PGM_RSRC2:TIDIG_COMP_CNT: 0
; COMPUTE_PGM_RSRC3_GFX90A:ACCUM_OFFSET: 12
; COMPUTE_PGM_RSRC3_GFX90A:TG_SPLIT: 0
	.section	.text._ZN7rocprim17ROCPRIM_400000_NS6detail17trampoline_kernelINS0_14default_configENS1_25partition_config_selectorILNS1_17partition_subalgoE9EllbEEZZNS1_14partition_implILS5_9ELb0ES3_jPlS8_PNS0_10empty_typeENS0_5tupleIJS8_S9_EEENSB_IJS8_SA_EEENS0_18inequality_wrapperIZN2at6native12_GLOBAL__N_124unique_dim_cuda_templateIN3c104HalfEEESt5tupleIJNSF_6TensorESM_SM_EERKSM_lbbbEUlllE0_EEPmJS9_EEE10hipError_tPvRmT3_T4_T5_T6_T7_T9_mT8_P12ihipStream_tbDpT10_ENKUlT_T0_E_clISt17integral_constantIbLb0EES1C_EEDaS17_S18_EUlS17_E_NS1_11comp_targetILNS1_3genE3ELNS1_11target_archE908ELNS1_3gpuE7ELNS1_3repE0EEENS1_30default_config_static_selectorELNS0_4arch9wavefront6targetE1EEEvT1_,"axG",@progbits,_ZN7rocprim17ROCPRIM_400000_NS6detail17trampoline_kernelINS0_14default_configENS1_25partition_config_selectorILNS1_17partition_subalgoE9EllbEEZZNS1_14partition_implILS5_9ELb0ES3_jPlS8_PNS0_10empty_typeENS0_5tupleIJS8_S9_EEENSB_IJS8_SA_EEENS0_18inequality_wrapperIZN2at6native12_GLOBAL__N_124unique_dim_cuda_templateIN3c104HalfEEESt5tupleIJNSF_6TensorESM_SM_EERKSM_lbbbEUlllE0_EEPmJS9_EEE10hipError_tPvRmT3_T4_T5_T6_T7_T9_mT8_P12ihipStream_tbDpT10_ENKUlT_T0_E_clISt17integral_constantIbLb0EES1C_EEDaS17_S18_EUlS17_E_NS1_11comp_targetILNS1_3genE3ELNS1_11target_archE908ELNS1_3gpuE7ELNS1_3repE0EEENS1_30default_config_static_selectorELNS0_4arch9wavefront6targetE1EEEvT1_,comdat
	.globl	_ZN7rocprim17ROCPRIM_400000_NS6detail17trampoline_kernelINS0_14default_configENS1_25partition_config_selectorILNS1_17partition_subalgoE9EllbEEZZNS1_14partition_implILS5_9ELb0ES3_jPlS8_PNS0_10empty_typeENS0_5tupleIJS8_S9_EEENSB_IJS8_SA_EEENS0_18inequality_wrapperIZN2at6native12_GLOBAL__N_124unique_dim_cuda_templateIN3c104HalfEEESt5tupleIJNSF_6TensorESM_SM_EERKSM_lbbbEUlllE0_EEPmJS9_EEE10hipError_tPvRmT3_T4_T5_T6_T7_T9_mT8_P12ihipStream_tbDpT10_ENKUlT_T0_E_clISt17integral_constantIbLb0EES1C_EEDaS17_S18_EUlS17_E_NS1_11comp_targetILNS1_3genE3ELNS1_11target_archE908ELNS1_3gpuE7ELNS1_3repE0EEENS1_30default_config_static_selectorELNS0_4arch9wavefront6targetE1EEEvT1_ ; -- Begin function _ZN7rocprim17ROCPRIM_400000_NS6detail17trampoline_kernelINS0_14default_configENS1_25partition_config_selectorILNS1_17partition_subalgoE9EllbEEZZNS1_14partition_implILS5_9ELb0ES3_jPlS8_PNS0_10empty_typeENS0_5tupleIJS8_S9_EEENSB_IJS8_SA_EEENS0_18inequality_wrapperIZN2at6native12_GLOBAL__N_124unique_dim_cuda_templateIN3c104HalfEEESt5tupleIJNSF_6TensorESM_SM_EERKSM_lbbbEUlllE0_EEPmJS9_EEE10hipError_tPvRmT3_T4_T5_T6_T7_T9_mT8_P12ihipStream_tbDpT10_ENKUlT_T0_E_clISt17integral_constantIbLb0EES1C_EEDaS17_S18_EUlS17_E_NS1_11comp_targetILNS1_3genE3ELNS1_11target_archE908ELNS1_3gpuE7ELNS1_3repE0EEENS1_30default_config_static_selectorELNS0_4arch9wavefront6targetE1EEEvT1_
	.p2align	8
	.type	_ZN7rocprim17ROCPRIM_400000_NS6detail17trampoline_kernelINS0_14default_configENS1_25partition_config_selectorILNS1_17partition_subalgoE9EllbEEZZNS1_14partition_implILS5_9ELb0ES3_jPlS8_PNS0_10empty_typeENS0_5tupleIJS8_S9_EEENSB_IJS8_SA_EEENS0_18inequality_wrapperIZN2at6native12_GLOBAL__N_124unique_dim_cuda_templateIN3c104HalfEEESt5tupleIJNSF_6TensorESM_SM_EERKSM_lbbbEUlllE0_EEPmJS9_EEE10hipError_tPvRmT3_T4_T5_T6_T7_T9_mT8_P12ihipStream_tbDpT10_ENKUlT_T0_E_clISt17integral_constantIbLb0EES1C_EEDaS17_S18_EUlS17_E_NS1_11comp_targetILNS1_3genE3ELNS1_11target_archE908ELNS1_3gpuE7ELNS1_3repE0EEENS1_30default_config_static_selectorELNS0_4arch9wavefront6targetE1EEEvT1_,@function
_ZN7rocprim17ROCPRIM_400000_NS6detail17trampoline_kernelINS0_14default_configENS1_25partition_config_selectorILNS1_17partition_subalgoE9EllbEEZZNS1_14partition_implILS5_9ELb0ES3_jPlS8_PNS0_10empty_typeENS0_5tupleIJS8_S9_EEENSB_IJS8_SA_EEENS0_18inequality_wrapperIZN2at6native12_GLOBAL__N_124unique_dim_cuda_templateIN3c104HalfEEESt5tupleIJNSF_6TensorESM_SM_EERKSM_lbbbEUlllE0_EEPmJS9_EEE10hipError_tPvRmT3_T4_T5_T6_T7_T9_mT8_P12ihipStream_tbDpT10_ENKUlT_T0_E_clISt17integral_constantIbLb0EES1C_EEDaS17_S18_EUlS17_E_NS1_11comp_targetILNS1_3genE3ELNS1_11target_archE908ELNS1_3gpuE7ELNS1_3repE0EEENS1_30default_config_static_selectorELNS0_4arch9wavefront6targetE1EEEvT1_: ; @_ZN7rocprim17ROCPRIM_400000_NS6detail17trampoline_kernelINS0_14default_configENS1_25partition_config_selectorILNS1_17partition_subalgoE9EllbEEZZNS1_14partition_implILS5_9ELb0ES3_jPlS8_PNS0_10empty_typeENS0_5tupleIJS8_S9_EEENSB_IJS8_SA_EEENS0_18inequality_wrapperIZN2at6native12_GLOBAL__N_124unique_dim_cuda_templateIN3c104HalfEEESt5tupleIJNSF_6TensorESM_SM_EERKSM_lbbbEUlllE0_EEPmJS9_EEE10hipError_tPvRmT3_T4_T5_T6_T7_T9_mT8_P12ihipStream_tbDpT10_ENKUlT_T0_E_clISt17integral_constantIbLb0EES1C_EEDaS17_S18_EUlS17_E_NS1_11comp_targetILNS1_3genE3ELNS1_11target_archE908ELNS1_3gpuE7ELNS1_3repE0EEENS1_30default_config_static_selectorELNS0_4arch9wavefront6targetE1EEEvT1_
; %bb.0:
	.section	.rodata,"a",@progbits
	.p2align	6, 0x0
	.amdhsa_kernel _ZN7rocprim17ROCPRIM_400000_NS6detail17trampoline_kernelINS0_14default_configENS1_25partition_config_selectorILNS1_17partition_subalgoE9EllbEEZZNS1_14partition_implILS5_9ELb0ES3_jPlS8_PNS0_10empty_typeENS0_5tupleIJS8_S9_EEENSB_IJS8_SA_EEENS0_18inequality_wrapperIZN2at6native12_GLOBAL__N_124unique_dim_cuda_templateIN3c104HalfEEESt5tupleIJNSF_6TensorESM_SM_EERKSM_lbbbEUlllE0_EEPmJS9_EEE10hipError_tPvRmT3_T4_T5_T6_T7_T9_mT8_P12ihipStream_tbDpT10_ENKUlT_T0_E_clISt17integral_constantIbLb0EES1C_EEDaS17_S18_EUlS17_E_NS1_11comp_targetILNS1_3genE3ELNS1_11target_archE908ELNS1_3gpuE7ELNS1_3repE0EEENS1_30default_config_static_selectorELNS0_4arch9wavefront6targetE1EEEvT1_
		.amdhsa_group_segment_fixed_size 0
		.amdhsa_private_segment_fixed_size 0
		.amdhsa_kernarg_size 120
		.amdhsa_user_sgpr_count 6
		.amdhsa_user_sgpr_private_segment_buffer 1
		.amdhsa_user_sgpr_dispatch_ptr 0
		.amdhsa_user_sgpr_queue_ptr 0
		.amdhsa_user_sgpr_kernarg_segment_ptr 1
		.amdhsa_user_sgpr_dispatch_id 0
		.amdhsa_user_sgpr_flat_scratch_init 0
		.amdhsa_user_sgpr_kernarg_preload_length 0
		.amdhsa_user_sgpr_kernarg_preload_offset 0
		.amdhsa_user_sgpr_private_segment_size 0
		.amdhsa_uses_dynamic_stack 0
		.amdhsa_system_sgpr_private_segment_wavefront_offset 0
		.amdhsa_system_sgpr_workgroup_id_x 1
		.amdhsa_system_sgpr_workgroup_id_y 0
		.amdhsa_system_sgpr_workgroup_id_z 0
		.amdhsa_system_sgpr_workgroup_info 0
		.amdhsa_system_vgpr_workitem_id 0
		.amdhsa_next_free_vgpr 1
		.amdhsa_next_free_sgpr 0
		.amdhsa_accum_offset 4
		.amdhsa_reserve_vcc 0
		.amdhsa_reserve_flat_scratch 0
		.amdhsa_float_round_mode_32 0
		.amdhsa_float_round_mode_16_64 0
		.amdhsa_float_denorm_mode_32 3
		.amdhsa_float_denorm_mode_16_64 3
		.amdhsa_dx10_clamp 1
		.amdhsa_ieee_mode 1
		.amdhsa_fp16_overflow 0
		.amdhsa_tg_split 0
		.amdhsa_exception_fp_ieee_invalid_op 0
		.amdhsa_exception_fp_denorm_src 0
		.amdhsa_exception_fp_ieee_div_zero 0
		.amdhsa_exception_fp_ieee_overflow 0
		.amdhsa_exception_fp_ieee_underflow 0
		.amdhsa_exception_fp_ieee_inexact 0
		.amdhsa_exception_int_div_zero 0
	.end_amdhsa_kernel
	.section	.text._ZN7rocprim17ROCPRIM_400000_NS6detail17trampoline_kernelINS0_14default_configENS1_25partition_config_selectorILNS1_17partition_subalgoE9EllbEEZZNS1_14partition_implILS5_9ELb0ES3_jPlS8_PNS0_10empty_typeENS0_5tupleIJS8_S9_EEENSB_IJS8_SA_EEENS0_18inequality_wrapperIZN2at6native12_GLOBAL__N_124unique_dim_cuda_templateIN3c104HalfEEESt5tupleIJNSF_6TensorESM_SM_EERKSM_lbbbEUlllE0_EEPmJS9_EEE10hipError_tPvRmT3_T4_T5_T6_T7_T9_mT8_P12ihipStream_tbDpT10_ENKUlT_T0_E_clISt17integral_constantIbLb0EES1C_EEDaS17_S18_EUlS17_E_NS1_11comp_targetILNS1_3genE3ELNS1_11target_archE908ELNS1_3gpuE7ELNS1_3repE0EEENS1_30default_config_static_selectorELNS0_4arch9wavefront6targetE1EEEvT1_,"axG",@progbits,_ZN7rocprim17ROCPRIM_400000_NS6detail17trampoline_kernelINS0_14default_configENS1_25partition_config_selectorILNS1_17partition_subalgoE9EllbEEZZNS1_14partition_implILS5_9ELb0ES3_jPlS8_PNS0_10empty_typeENS0_5tupleIJS8_S9_EEENSB_IJS8_SA_EEENS0_18inequality_wrapperIZN2at6native12_GLOBAL__N_124unique_dim_cuda_templateIN3c104HalfEEESt5tupleIJNSF_6TensorESM_SM_EERKSM_lbbbEUlllE0_EEPmJS9_EEE10hipError_tPvRmT3_T4_T5_T6_T7_T9_mT8_P12ihipStream_tbDpT10_ENKUlT_T0_E_clISt17integral_constantIbLb0EES1C_EEDaS17_S18_EUlS17_E_NS1_11comp_targetILNS1_3genE3ELNS1_11target_archE908ELNS1_3gpuE7ELNS1_3repE0EEENS1_30default_config_static_selectorELNS0_4arch9wavefront6targetE1EEEvT1_,comdat
.Lfunc_end1330:
	.size	_ZN7rocprim17ROCPRIM_400000_NS6detail17trampoline_kernelINS0_14default_configENS1_25partition_config_selectorILNS1_17partition_subalgoE9EllbEEZZNS1_14partition_implILS5_9ELb0ES3_jPlS8_PNS0_10empty_typeENS0_5tupleIJS8_S9_EEENSB_IJS8_SA_EEENS0_18inequality_wrapperIZN2at6native12_GLOBAL__N_124unique_dim_cuda_templateIN3c104HalfEEESt5tupleIJNSF_6TensorESM_SM_EERKSM_lbbbEUlllE0_EEPmJS9_EEE10hipError_tPvRmT3_T4_T5_T6_T7_T9_mT8_P12ihipStream_tbDpT10_ENKUlT_T0_E_clISt17integral_constantIbLb0EES1C_EEDaS17_S18_EUlS17_E_NS1_11comp_targetILNS1_3genE3ELNS1_11target_archE908ELNS1_3gpuE7ELNS1_3repE0EEENS1_30default_config_static_selectorELNS0_4arch9wavefront6targetE1EEEvT1_, .Lfunc_end1330-_ZN7rocprim17ROCPRIM_400000_NS6detail17trampoline_kernelINS0_14default_configENS1_25partition_config_selectorILNS1_17partition_subalgoE9EllbEEZZNS1_14partition_implILS5_9ELb0ES3_jPlS8_PNS0_10empty_typeENS0_5tupleIJS8_S9_EEENSB_IJS8_SA_EEENS0_18inequality_wrapperIZN2at6native12_GLOBAL__N_124unique_dim_cuda_templateIN3c104HalfEEESt5tupleIJNSF_6TensorESM_SM_EERKSM_lbbbEUlllE0_EEPmJS9_EEE10hipError_tPvRmT3_T4_T5_T6_T7_T9_mT8_P12ihipStream_tbDpT10_ENKUlT_T0_E_clISt17integral_constantIbLb0EES1C_EEDaS17_S18_EUlS17_E_NS1_11comp_targetILNS1_3genE3ELNS1_11target_archE908ELNS1_3gpuE7ELNS1_3repE0EEENS1_30default_config_static_selectorELNS0_4arch9wavefront6targetE1EEEvT1_
                                        ; -- End function
	.section	.AMDGPU.csdata,"",@progbits
; Kernel info:
; codeLenInByte = 0
; NumSgprs: 4
; NumVgprs: 0
; NumAgprs: 0
; TotalNumVgprs: 0
; ScratchSize: 0
; MemoryBound: 0
; FloatMode: 240
; IeeeMode: 1
; LDSByteSize: 0 bytes/workgroup (compile time only)
; SGPRBlocks: 0
; VGPRBlocks: 0
; NumSGPRsForWavesPerEU: 4
; NumVGPRsForWavesPerEU: 1
; AccumOffset: 4
; Occupancy: 8
; WaveLimiterHint : 0
; COMPUTE_PGM_RSRC2:SCRATCH_EN: 0
; COMPUTE_PGM_RSRC2:USER_SGPR: 6
; COMPUTE_PGM_RSRC2:TRAP_HANDLER: 0
; COMPUTE_PGM_RSRC2:TGID_X_EN: 1
; COMPUTE_PGM_RSRC2:TGID_Y_EN: 0
; COMPUTE_PGM_RSRC2:TGID_Z_EN: 0
; COMPUTE_PGM_RSRC2:TIDIG_COMP_CNT: 0
; COMPUTE_PGM_RSRC3_GFX90A:ACCUM_OFFSET: 0
; COMPUTE_PGM_RSRC3_GFX90A:TG_SPLIT: 0
	.section	.text._ZN7rocprim17ROCPRIM_400000_NS6detail17trampoline_kernelINS0_14default_configENS1_25partition_config_selectorILNS1_17partition_subalgoE9EllbEEZZNS1_14partition_implILS5_9ELb0ES3_jPlS8_PNS0_10empty_typeENS0_5tupleIJS8_S9_EEENSB_IJS8_SA_EEENS0_18inequality_wrapperIZN2at6native12_GLOBAL__N_124unique_dim_cuda_templateIN3c104HalfEEESt5tupleIJNSF_6TensorESM_SM_EERKSM_lbbbEUlllE0_EEPmJS9_EEE10hipError_tPvRmT3_T4_T5_T6_T7_T9_mT8_P12ihipStream_tbDpT10_ENKUlT_T0_E_clISt17integral_constantIbLb0EES1C_EEDaS17_S18_EUlS17_E_NS1_11comp_targetILNS1_3genE2ELNS1_11target_archE906ELNS1_3gpuE6ELNS1_3repE0EEENS1_30default_config_static_selectorELNS0_4arch9wavefront6targetE1EEEvT1_,"axG",@progbits,_ZN7rocprim17ROCPRIM_400000_NS6detail17trampoline_kernelINS0_14default_configENS1_25partition_config_selectorILNS1_17partition_subalgoE9EllbEEZZNS1_14partition_implILS5_9ELb0ES3_jPlS8_PNS0_10empty_typeENS0_5tupleIJS8_S9_EEENSB_IJS8_SA_EEENS0_18inequality_wrapperIZN2at6native12_GLOBAL__N_124unique_dim_cuda_templateIN3c104HalfEEESt5tupleIJNSF_6TensorESM_SM_EERKSM_lbbbEUlllE0_EEPmJS9_EEE10hipError_tPvRmT3_T4_T5_T6_T7_T9_mT8_P12ihipStream_tbDpT10_ENKUlT_T0_E_clISt17integral_constantIbLb0EES1C_EEDaS17_S18_EUlS17_E_NS1_11comp_targetILNS1_3genE2ELNS1_11target_archE906ELNS1_3gpuE6ELNS1_3repE0EEENS1_30default_config_static_selectorELNS0_4arch9wavefront6targetE1EEEvT1_,comdat
	.globl	_ZN7rocprim17ROCPRIM_400000_NS6detail17trampoline_kernelINS0_14default_configENS1_25partition_config_selectorILNS1_17partition_subalgoE9EllbEEZZNS1_14partition_implILS5_9ELb0ES3_jPlS8_PNS0_10empty_typeENS0_5tupleIJS8_S9_EEENSB_IJS8_SA_EEENS0_18inequality_wrapperIZN2at6native12_GLOBAL__N_124unique_dim_cuda_templateIN3c104HalfEEESt5tupleIJNSF_6TensorESM_SM_EERKSM_lbbbEUlllE0_EEPmJS9_EEE10hipError_tPvRmT3_T4_T5_T6_T7_T9_mT8_P12ihipStream_tbDpT10_ENKUlT_T0_E_clISt17integral_constantIbLb0EES1C_EEDaS17_S18_EUlS17_E_NS1_11comp_targetILNS1_3genE2ELNS1_11target_archE906ELNS1_3gpuE6ELNS1_3repE0EEENS1_30default_config_static_selectorELNS0_4arch9wavefront6targetE1EEEvT1_ ; -- Begin function _ZN7rocprim17ROCPRIM_400000_NS6detail17trampoline_kernelINS0_14default_configENS1_25partition_config_selectorILNS1_17partition_subalgoE9EllbEEZZNS1_14partition_implILS5_9ELb0ES3_jPlS8_PNS0_10empty_typeENS0_5tupleIJS8_S9_EEENSB_IJS8_SA_EEENS0_18inequality_wrapperIZN2at6native12_GLOBAL__N_124unique_dim_cuda_templateIN3c104HalfEEESt5tupleIJNSF_6TensorESM_SM_EERKSM_lbbbEUlllE0_EEPmJS9_EEE10hipError_tPvRmT3_T4_T5_T6_T7_T9_mT8_P12ihipStream_tbDpT10_ENKUlT_T0_E_clISt17integral_constantIbLb0EES1C_EEDaS17_S18_EUlS17_E_NS1_11comp_targetILNS1_3genE2ELNS1_11target_archE906ELNS1_3gpuE6ELNS1_3repE0EEENS1_30default_config_static_selectorELNS0_4arch9wavefront6targetE1EEEvT1_
	.p2align	8
	.type	_ZN7rocprim17ROCPRIM_400000_NS6detail17trampoline_kernelINS0_14default_configENS1_25partition_config_selectorILNS1_17partition_subalgoE9EllbEEZZNS1_14partition_implILS5_9ELb0ES3_jPlS8_PNS0_10empty_typeENS0_5tupleIJS8_S9_EEENSB_IJS8_SA_EEENS0_18inequality_wrapperIZN2at6native12_GLOBAL__N_124unique_dim_cuda_templateIN3c104HalfEEESt5tupleIJNSF_6TensorESM_SM_EERKSM_lbbbEUlllE0_EEPmJS9_EEE10hipError_tPvRmT3_T4_T5_T6_T7_T9_mT8_P12ihipStream_tbDpT10_ENKUlT_T0_E_clISt17integral_constantIbLb0EES1C_EEDaS17_S18_EUlS17_E_NS1_11comp_targetILNS1_3genE2ELNS1_11target_archE906ELNS1_3gpuE6ELNS1_3repE0EEENS1_30default_config_static_selectorELNS0_4arch9wavefront6targetE1EEEvT1_,@function
_ZN7rocprim17ROCPRIM_400000_NS6detail17trampoline_kernelINS0_14default_configENS1_25partition_config_selectorILNS1_17partition_subalgoE9EllbEEZZNS1_14partition_implILS5_9ELb0ES3_jPlS8_PNS0_10empty_typeENS0_5tupleIJS8_S9_EEENSB_IJS8_SA_EEENS0_18inequality_wrapperIZN2at6native12_GLOBAL__N_124unique_dim_cuda_templateIN3c104HalfEEESt5tupleIJNSF_6TensorESM_SM_EERKSM_lbbbEUlllE0_EEPmJS9_EEE10hipError_tPvRmT3_T4_T5_T6_T7_T9_mT8_P12ihipStream_tbDpT10_ENKUlT_T0_E_clISt17integral_constantIbLb0EES1C_EEDaS17_S18_EUlS17_E_NS1_11comp_targetILNS1_3genE2ELNS1_11target_archE906ELNS1_3gpuE6ELNS1_3repE0EEENS1_30default_config_static_selectorELNS0_4arch9wavefront6targetE1EEEvT1_: ; @_ZN7rocprim17ROCPRIM_400000_NS6detail17trampoline_kernelINS0_14default_configENS1_25partition_config_selectorILNS1_17partition_subalgoE9EllbEEZZNS1_14partition_implILS5_9ELb0ES3_jPlS8_PNS0_10empty_typeENS0_5tupleIJS8_S9_EEENSB_IJS8_SA_EEENS0_18inequality_wrapperIZN2at6native12_GLOBAL__N_124unique_dim_cuda_templateIN3c104HalfEEESt5tupleIJNSF_6TensorESM_SM_EERKSM_lbbbEUlllE0_EEPmJS9_EEE10hipError_tPvRmT3_T4_T5_T6_T7_T9_mT8_P12ihipStream_tbDpT10_ENKUlT_T0_E_clISt17integral_constantIbLb0EES1C_EEDaS17_S18_EUlS17_E_NS1_11comp_targetILNS1_3genE2ELNS1_11target_archE906ELNS1_3gpuE6ELNS1_3repE0EEENS1_30default_config_static_selectorELNS0_4arch9wavefront6targetE1EEEvT1_
; %bb.0:
	.section	.rodata,"a",@progbits
	.p2align	6, 0x0
	.amdhsa_kernel _ZN7rocprim17ROCPRIM_400000_NS6detail17trampoline_kernelINS0_14default_configENS1_25partition_config_selectorILNS1_17partition_subalgoE9EllbEEZZNS1_14partition_implILS5_9ELb0ES3_jPlS8_PNS0_10empty_typeENS0_5tupleIJS8_S9_EEENSB_IJS8_SA_EEENS0_18inequality_wrapperIZN2at6native12_GLOBAL__N_124unique_dim_cuda_templateIN3c104HalfEEESt5tupleIJNSF_6TensorESM_SM_EERKSM_lbbbEUlllE0_EEPmJS9_EEE10hipError_tPvRmT3_T4_T5_T6_T7_T9_mT8_P12ihipStream_tbDpT10_ENKUlT_T0_E_clISt17integral_constantIbLb0EES1C_EEDaS17_S18_EUlS17_E_NS1_11comp_targetILNS1_3genE2ELNS1_11target_archE906ELNS1_3gpuE6ELNS1_3repE0EEENS1_30default_config_static_selectorELNS0_4arch9wavefront6targetE1EEEvT1_
		.amdhsa_group_segment_fixed_size 0
		.amdhsa_private_segment_fixed_size 0
		.amdhsa_kernarg_size 120
		.amdhsa_user_sgpr_count 6
		.amdhsa_user_sgpr_private_segment_buffer 1
		.amdhsa_user_sgpr_dispatch_ptr 0
		.amdhsa_user_sgpr_queue_ptr 0
		.amdhsa_user_sgpr_kernarg_segment_ptr 1
		.amdhsa_user_sgpr_dispatch_id 0
		.amdhsa_user_sgpr_flat_scratch_init 0
		.amdhsa_user_sgpr_kernarg_preload_length 0
		.amdhsa_user_sgpr_kernarg_preload_offset 0
		.amdhsa_user_sgpr_private_segment_size 0
		.amdhsa_uses_dynamic_stack 0
		.amdhsa_system_sgpr_private_segment_wavefront_offset 0
		.amdhsa_system_sgpr_workgroup_id_x 1
		.amdhsa_system_sgpr_workgroup_id_y 0
		.amdhsa_system_sgpr_workgroup_id_z 0
		.amdhsa_system_sgpr_workgroup_info 0
		.amdhsa_system_vgpr_workitem_id 0
		.amdhsa_next_free_vgpr 1
		.amdhsa_next_free_sgpr 0
		.amdhsa_accum_offset 4
		.amdhsa_reserve_vcc 0
		.amdhsa_reserve_flat_scratch 0
		.amdhsa_float_round_mode_32 0
		.amdhsa_float_round_mode_16_64 0
		.amdhsa_float_denorm_mode_32 3
		.amdhsa_float_denorm_mode_16_64 3
		.amdhsa_dx10_clamp 1
		.amdhsa_ieee_mode 1
		.amdhsa_fp16_overflow 0
		.amdhsa_tg_split 0
		.amdhsa_exception_fp_ieee_invalid_op 0
		.amdhsa_exception_fp_denorm_src 0
		.amdhsa_exception_fp_ieee_div_zero 0
		.amdhsa_exception_fp_ieee_overflow 0
		.amdhsa_exception_fp_ieee_underflow 0
		.amdhsa_exception_fp_ieee_inexact 0
		.amdhsa_exception_int_div_zero 0
	.end_amdhsa_kernel
	.section	.text._ZN7rocprim17ROCPRIM_400000_NS6detail17trampoline_kernelINS0_14default_configENS1_25partition_config_selectorILNS1_17partition_subalgoE9EllbEEZZNS1_14partition_implILS5_9ELb0ES3_jPlS8_PNS0_10empty_typeENS0_5tupleIJS8_S9_EEENSB_IJS8_SA_EEENS0_18inequality_wrapperIZN2at6native12_GLOBAL__N_124unique_dim_cuda_templateIN3c104HalfEEESt5tupleIJNSF_6TensorESM_SM_EERKSM_lbbbEUlllE0_EEPmJS9_EEE10hipError_tPvRmT3_T4_T5_T6_T7_T9_mT8_P12ihipStream_tbDpT10_ENKUlT_T0_E_clISt17integral_constantIbLb0EES1C_EEDaS17_S18_EUlS17_E_NS1_11comp_targetILNS1_3genE2ELNS1_11target_archE906ELNS1_3gpuE6ELNS1_3repE0EEENS1_30default_config_static_selectorELNS0_4arch9wavefront6targetE1EEEvT1_,"axG",@progbits,_ZN7rocprim17ROCPRIM_400000_NS6detail17trampoline_kernelINS0_14default_configENS1_25partition_config_selectorILNS1_17partition_subalgoE9EllbEEZZNS1_14partition_implILS5_9ELb0ES3_jPlS8_PNS0_10empty_typeENS0_5tupleIJS8_S9_EEENSB_IJS8_SA_EEENS0_18inequality_wrapperIZN2at6native12_GLOBAL__N_124unique_dim_cuda_templateIN3c104HalfEEESt5tupleIJNSF_6TensorESM_SM_EERKSM_lbbbEUlllE0_EEPmJS9_EEE10hipError_tPvRmT3_T4_T5_T6_T7_T9_mT8_P12ihipStream_tbDpT10_ENKUlT_T0_E_clISt17integral_constantIbLb0EES1C_EEDaS17_S18_EUlS17_E_NS1_11comp_targetILNS1_3genE2ELNS1_11target_archE906ELNS1_3gpuE6ELNS1_3repE0EEENS1_30default_config_static_selectorELNS0_4arch9wavefront6targetE1EEEvT1_,comdat
.Lfunc_end1331:
	.size	_ZN7rocprim17ROCPRIM_400000_NS6detail17trampoline_kernelINS0_14default_configENS1_25partition_config_selectorILNS1_17partition_subalgoE9EllbEEZZNS1_14partition_implILS5_9ELb0ES3_jPlS8_PNS0_10empty_typeENS0_5tupleIJS8_S9_EEENSB_IJS8_SA_EEENS0_18inequality_wrapperIZN2at6native12_GLOBAL__N_124unique_dim_cuda_templateIN3c104HalfEEESt5tupleIJNSF_6TensorESM_SM_EERKSM_lbbbEUlllE0_EEPmJS9_EEE10hipError_tPvRmT3_T4_T5_T6_T7_T9_mT8_P12ihipStream_tbDpT10_ENKUlT_T0_E_clISt17integral_constantIbLb0EES1C_EEDaS17_S18_EUlS17_E_NS1_11comp_targetILNS1_3genE2ELNS1_11target_archE906ELNS1_3gpuE6ELNS1_3repE0EEENS1_30default_config_static_selectorELNS0_4arch9wavefront6targetE1EEEvT1_, .Lfunc_end1331-_ZN7rocprim17ROCPRIM_400000_NS6detail17trampoline_kernelINS0_14default_configENS1_25partition_config_selectorILNS1_17partition_subalgoE9EllbEEZZNS1_14partition_implILS5_9ELb0ES3_jPlS8_PNS0_10empty_typeENS0_5tupleIJS8_S9_EEENSB_IJS8_SA_EEENS0_18inequality_wrapperIZN2at6native12_GLOBAL__N_124unique_dim_cuda_templateIN3c104HalfEEESt5tupleIJNSF_6TensorESM_SM_EERKSM_lbbbEUlllE0_EEPmJS9_EEE10hipError_tPvRmT3_T4_T5_T6_T7_T9_mT8_P12ihipStream_tbDpT10_ENKUlT_T0_E_clISt17integral_constantIbLb0EES1C_EEDaS17_S18_EUlS17_E_NS1_11comp_targetILNS1_3genE2ELNS1_11target_archE906ELNS1_3gpuE6ELNS1_3repE0EEENS1_30default_config_static_selectorELNS0_4arch9wavefront6targetE1EEEvT1_
                                        ; -- End function
	.section	.AMDGPU.csdata,"",@progbits
; Kernel info:
; codeLenInByte = 0
; NumSgprs: 4
; NumVgprs: 0
; NumAgprs: 0
; TotalNumVgprs: 0
; ScratchSize: 0
; MemoryBound: 0
; FloatMode: 240
; IeeeMode: 1
; LDSByteSize: 0 bytes/workgroup (compile time only)
; SGPRBlocks: 0
; VGPRBlocks: 0
; NumSGPRsForWavesPerEU: 4
; NumVGPRsForWavesPerEU: 1
; AccumOffset: 4
; Occupancy: 8
; WaveLimiterHint : 0
; COMPUTE_PGM_RSRC2:SCRATCH_EN: 0
; COMPUTE_PGM_RSRC2:USER_SGPR: 6
; COMPUTE_PGM_RSRC2:TRAP_HANDLER: 0
; COMPUTE_PGM_RSRC2:TGID_X_EN: 1
; COMPUTE_PGM_RSRC2:TGID_Y_EN: 0
; COMPUTE_PGM_RSRC2:TGID_Z_EN: 0
; COMPUTE_PGM_RSRC2:TIDIG_COMP_CNT: 0
; COMPUTE_PGM_RSRC3_GFX90A:ACCUM_OFFSET: 0
; COMPUTE_PGM_RSRC3_GFX90A:TG_SPLIT: 0
	.section	.text._ZN7rocprim17ROCPRIM_400000_NS6detail17trampoline_kernelINS0_14default_configENS1_25partition_config_selectorILNS1_17partition_subalgoE9EllbEEZZNS1_14partition_implILS5_9ELb0ES3_jPlS8_PNS0_10empty_typeENS0_5tupleIJS8_S9_EEENSB_IJS8_SA_EEENS0_18inequality_wrapperIZN2at6native12_GLOBAL__N_124unique_dim_cuda_templateIN3c104HalfEEESt5tupleIJNSF_6TensorESM_SM_EERKSM_lbbbEUlllE0_EEPmJS9_EEE10hipError_tPvRmT3_T4_T5_T6_T7_T9_mT8_P12ihipStream_tbDpT10_ENKUlT_T0_E_clISt17integral_constantIbLb0EES1C_EEDaS17_S18_EUlS17_E_NS1_11comp_targetILNS1_3genE10ELNS1_11target_archE1200ELNS1_3gpuE4ELNS1_3repE0EEENS1_30default_config_static_selectorELNS0_4arch9wavefront6targetE1EEEvT1_,"axG",@progbits,_ZN7rocprim17ROCPRIM_400000_NS6detail17trampoline_kernelINS0_14default_configENS1_25partition_config_selectorILNS1_17partition_subalgoE9EllbEEZZNS1_14partition_implILS5_9ELb0ES3_jPlS8_PNS0_10empty_typeENS0_5tupleIJS8_S9_EEENSB_IJS8_SA_EEENS0_18inequality_wrapperIZN2at6native12_GLOBAL__N_124unique_dim_cuda_templateIN3c104HalfEEESt5tupleIJNSF_6TensorESM_SM_EERKSM_lbbbEUlllE0_EEPmJS9_EEE10hipError_tPvRmT3_T4_T5_T6_T7_T9_mT8_P12ihipStream_tbDpT10_ENKUlT_T0_E_clISt17integral_constantIbLb0EES1C_EEDaS17_S18_EUlS17_E_NS1_11comp_targetILNS1_3genE10ELNS1_11target_archE1200ELNS1_3gpuE4ELNS1_3repE0EEENS1_30default_config_static_selectorELNS0_4arch9wavefront6targetE1EEEvT1_,comdat
	.globl	_ZN7rocprim17ROCPRIM_400000_NS6detail17trampoline_kernelINS0_14default_configENS1_25partition_config_selectorILNS1_17partition_subalgoE9EllbEEZZNS1_14partition_implILS5_9ELb0ES3_jPlS8_PNS0_10empty_typeENS0_5tupleIJS8_S9_EEENSB_IJS8_SA_EEENS0_18inequality_wrapperIZN2at6native12_GLOBAL__N_124unique_dim_cuda_templateIN3c104HalfEEESt5tupleIJNSF_6TensorESM_SM_EERKSM_lbbbEUlllE0_EEPmJS9_EEE10hipError_tPvRmT3_T4_T5_T6_T7_T9_mT8_P12ihipStream_tbDpT10_ENKUlT_T0_E_clISt17integral_constantIbLb0EES1C_EEDaS17_S18_EUlS17_E_NS1_11comp_targetILNS1_3genE10ELNS1_11target_archE1200ELNS1_3gpuE4ELNS1_3repE0EEENS1_30default_config_static_selectorELNS0_4arch9wavefront6targetE1EEEvT1_ ; -- Begin function _ZN7rocprim17ROCPRIM_400000_NS6detail17trampoline_kernelINS0_14default_configENS1_25partition_config_selectorILNS1_17partition_subalgoE9EllbEEZZNS1_14partition_implILS5_9ELb0ES3_jPlS8_PNS0_10empty_typeENS0_5tupleIJS8_S9_EEENSB_IJS8_SA_EEENS0_18inequality_wrapperIZN2at6native12_GLOBAL__N_124unique_dim_cuda_templateIN3c104HalfEEESt5tupleIJNSF_6TensorESM_SM_EERKSM_lbbbEUlllE0_EEPmJS9_EEE10hipError_tPvRmT3_T4_T5_T6_T7_T9_mT8_P12ihipStream_tbDpT10_ENKUlT_T0_E_clISt17integral_constantIbLb0EES1C_EEDaS17_S18_EUlS17_E_NS1_11comp_targetILNS1_3genE10ELNS1_11target_archE1200ELNS1_3gpuE4ELNS1_3repE0EEENS1_30default_config_static_selectorELNS0_4arch9wavefront6targetE1EEEvT1_
	.p2align	8
	.type	_ZN7rocprim17ROCPRIM_400000_NS6detail17trampoline_kernelINS0_14default_configENS1_25partition_config_selectorILNS1_17partition_subalgoE9EllbEEZZNS1_14partition_implILS5_9ELb0ES3_jPlS8_PNS0_10empty_typeENS0_5tupleIJS8_S9_EEENSB_IJS8_SA_EEENS0_18inequality_wrapperIZN2at6native12_GLOBAL__N_124unique_dim_cuda_templateIN3c104HalfEEESt5tupleIJNSF_6TensorESM_SM_EERKSM_lbbbEUlllE0_EEPmJS9_EEE10hipError_tPvRmT3_T4_T5_T6_T7_T9_mT8_P12ihipStream_tbDpT10_ENKUlT_T0_E_clISt17integral_constantIbLb0EES1C_EEDaS17_S18_EUlS17_E_NS1_11comp_targetILNS1_3genE10ELNS1_11target_archE1200ELNS1_3gpuE4ELNS1_3repE0EEENS1_30default_config_static_selectorELNS0_4arch9wavefront6targetE1EEEvT1_,@function
_ZN7rocprim17ROCPRIM_400000_NS6detail17trampoline_kernelINS0_14default_configENS1_25partition_config_selectorILNS1_17partition_subalgoE9EllbEEZZNS1_14partition_implILS5_9ELb0ES3_jPlS8_PNS0_10empty_typeENS0_5tupleIJS8_S9_EEENSB_IJS8_SA_EEENS0_18inequality_wrapperIZN2at6native12_GLOBAL__N_124unique_dim_cuda_templateIN3c104HalfEEESt5tupleIJNSF_6TensorESM_SM_EERKSM_lbbbEUlllE0_EEPmJS9_EEE10hipError_tPvRmT3_T4_T5_T6_T7_T9_mT8_P12ihipStream_tbDpT10_ENKUlT_T0_E_clISt17integral_constantIbLb0EES1C_EEDaS17_S18_EUlS17_E_NS1_11comp_targetILNS1_3genE10ELNS1_11target_archE1200ELNS1_3gpuE4ELNS1_3repE0EEENS1_30default_config_static_selectorELNS0_4arch9wavefront6targetE1EEEvT1_: ; @_ZN7rocprim17ROCPRIM_400000_NS6detail17trampoline_kernelINS0_14default_configENS1_25partition_config_selectorILNS1_17partition_subalgoE9EllbEEZZNS1_14partition_implILS5_9ELb0ES3_jPlS8_PNS0_10empty_typeENS0_5tupleIJS8_S9_EEENSB_IJS8_SA_EEENS0_18inequality_wrapperIZN2at6native12_GLOBAL__N_124unique_dim_cuda_templateIN3c104HalfEEESt5tupleIJNSF_6TensorESM_SM_EERKSM_lbbbEUlllE0_EEPmJS9_EEE10hipError_tPvRmT3_T4_T5_T6_T7_T9_mT8_P12ihipStream_tbDpT10_ENKUlT_T0_E_clISt17integral_constantIbLb0EES1C_EEDaS17_S18_EUlS17_E_NS1_11comp_targetILNS1_3genE10ELNS1_11target_archE1200ELNS1_3gpuE4ELNS1_3repE0EEENS1_30default_config_static_selectorELNS0_4arch9wavefront6targetE1EEEvT1_
; %bb.0:
	.section	.rodata,"a",@progbits
	.p2align	6, 0x0
	.amdhsa_kernel _ZN7rocprim17ROCPRIM_400000_NS6detail17trampoline_kernelINS0_14default_configENS1_25partition_config_selectorILNS1_17partition_subalgoE9EllbEEZZNS1_14partition_implILS5_9ELb0ES3_jPlS8_PNS0_10empty_typeENS0_5tupleIJS8_S9_EEENSB_IJS8_SA_EEENS0_18inequality_wrapperIZN2at6native12_GLOBAL__N_124unique_dim_cuda_templateIN3c104HalfEEESt5tupleIJNSF_6TensorESM_SM_EERKSM_lbbbEUlllE0_EEPmJS9_EEE10hipError_tPvRmT3_T4_T5_T6_T7_T9_mT8_P12ihipStream_tbDpT10_ENKUlT_T0_E_clISt17integral_constantIbLb0EES1C_EEDaS17_S18_EUlS17_E_NS1_11comp_targetILNS1_3genE10ELNS1_11target_archE1200ELNS1_3gpuE4ELNS1_3repE0EEENS1_30default_config_static_selectorELNS0_4arch9wavefront6targetE1EEEvT1_
		.amdhsa_group_segment_fixed_size 0
		.amdhsa_private_segment_fixed_size 0
		.amdhsa_kernarg_size 120
		.amdhsa_user_sgpr_count 6
		.amdhsa_user_sgpr_private_segment_buffer 1
		.amdhsa_user_sgpr_dispatch_ptr 0
		.amdhsa_user_sgpr_queue_ptr 0
		.amdhsa_user_sgpr_kernarg_segment_ptr 1
		.amdhsa_user_sgpr_dispatch_id 0
		.amdhsa_user_sgpr_flat_scratch_init 0
		.amdhsa_user_sgpr_kernarg_preload_length 0
		.amdhsa_user_sgpr_kernarg_preload_offset 0
		.amdhsa_user_sgpr_private_segment_size 0
		.amdhsa_uses_dynamic_stack 0
		.amdhsa_system_sgpr_private_segment_wavefront_offset 0
		.amdhsa_system_sgpr_workgroup_id_x 1
		.amdhsa_system_sgpr_workgroup_id_y 0
		.amdhsa_system_sgpr_workgroup_id_z 0
		.amdhsa_system_sgpr_workgroup_info 0
		.amdhsa_system_vgpr_workitem_id 0
		.amdhsa_next_free_vgpr 1
		.amdhsa_next_free_sgpr 0
		.amdhsa_accum_offset 4
		.amdhsa_reserve_vcc 0
		.amdhsa_reserve_flat_scratch 0
		.amdhsa_float_round_mode_32 0
		.amdhsa_float_round_mode_16_64 0
		.amdhsa_float_denorm_mode_32 3
		.amdhsa_float_denorm_mode_16_64 3
		.amdhsa_dx10_clamp 1
		.amdhsa_ieee_mode 1
		.amdhsa_fp16_overflow 0
		.amdhsa_tg_split 0
		.amdhsa_exception_fp_ieee_invalid_op 0
		.amdhsa_exception_fp_denorm_src 0
		.amdhsa_exception_fp_ieee_div_zero 0
		.amdhsa_exception_fp_ieee_overflow 0
		.amdhsa_exception_fp_ieee_underflow 0
		.amdhsa_exception_fp_ieee_inexact 0
		.amdhsa_exception_int_div_zero 0
	.end_amdhsa_kernel
	.section	.text._ZN7rocprim17ROCPRIM_400000_NS6detail17trampoline_kernelINS0_14default_configENS1_25partition_config_selectorILNS1_17partition_subalgoE9EllbEEZZNS1_14partition_implILS5_9ELb0ES3_jPlS8_PNS0_10empty_typeENS0_5tupleIJS8_S9_EEENSB_IJS8_SA_EEENS0_18inequality_wrapperIZN2at6native12_GLOBAL__N_124unique_dim_cuda_templateIN3c104HalfEEESt5tupleIJNSF_6TensorESM_SM_EERKSM_lbbbEUlllE0_EEPmJS9_EEE10hipError_tPvRmT3_T4_T5_T6_T7_T9_mT8_P12ihipStream_tbDpT10_ENKUlT_T0_E_clISt17integral_constantIbLb0EES1C_EEDaS17_S18_EUlS17_E_NS1_11comp_targetILNS1_3genE10ELNS1_11target_archE1200ELNS1_3gpuE4ELNS1_3repE0EEENS1_30default_config_static_selectorELNS0_4arch9wavefront6targetE1EEEvT1_,"axG",@progbits,_ZN7rocprim17ROCPRIM_400000_NS6detail17trampoline_kernelINS0_14default_configENS1_25partition_config_selectorILNS1_17partition_subalgoE9EllbEEZZNS1_14partition_implILS5_9ELb0ES3_jPlS8_PNS0_10empty_typeENS0_5tupleIJS8_S9_EEENSB_IJS8_SA_EEENS0_18inequality_wrapperIZN2at6native12_GLOBAL__N_124unique_dim_cuda_templateIN3c104HalfEEESt5tupleIJNSF_6TensorESM_SM_EERKSM_lbbbEUlllE0_EEPmJS9_EEE10hipError_tPvRmT3_T4_T5_T6_T7_T9_mT8_P12ihipStream_tbDpT10_ENKUlT_T0_E_clISt17integral_constantIbLb0EES1C_EEDaS17_S18_EUlS17_E_NS1_11comp_targetILNS1_3genE10ELNS1_11target_archE1200ELNS1_3gpuE4ELNS1_3repE0EEENS1_30default_config_static_selectorELNS0_4arch9wavefront6targetE1EEEvT1_,comdat
.Lfunc_end1332:
	.size	_ZN7rocprim17ROCPRIM_400000_NS6detail17trampoline_kernelINS0_14default_configENS1_25partition_config_selectorILNS1_17partition_subalgoE9EllbEEZZNS1_14partition_implILS5_9ELb0ES3_jPlS8_PNS0_10empty_typeENS0_5tupleIJS8_S9_EEENSB_IJS8_SA_EEENS0_18inequality_wrapperIZN2at6native12_GLOBAL__N_124unique_dim_cuda_templateIN3c104HalfEEESt5tupleIJNSF_6TensorESM_SM_EERKSM_lbbbEUlllE0_EEPmJS9_EEE10hipError_tPvRmT3_T4_T5_T6_T7_T9_mT8_P12ihipStream_tbDpT10_ENKUlT_T0_E_clISt17integral_constantIbLb0EES1C_EEDaS17_S18_EUlS17_E_NS1_11comp_targetILNS1_3genE10ELNS1_11target_archE1200ELNS1_3gpuE4ELNS1_3repE0EEENS1_30default_config_static_selectorELNS0_4arch9wavefront6targetE1EEEvT1_, .Lfunc_end1332-_ZN7rocprim17ROCPRIM_400000_NS6detail17trampoline_kernelINS0_14default_configENS1_25partition_config_selectorILNS1_17partition_subalgoE9EllbEEZZNS1_14partition_implILS5_9ELb0ES3_jPlS8_PNS0_10empty_typeENS0_5tupleIJS8_S9_EEENSB_IJS8_SA_EEENS0_18inequality_wrapperIZN2at6native12_GLOBAL__N_124unique_dim_cuda_templateIN3c104HalfEEESt5tupleIJNSF_6TensorESM_SM_EERKSM_lbbbEUlllE0_EEPmJS9_EEE10hipError_tPvRmT3_T4_T5_T6_T7_T9_mT8_P12ihipStream_tbDpT10_ENKUlT_T0_E_clISt17integral_constantIbLb0EES1C_EEDaS17_S18_EUlS17_E_NS1_11comp_targetILNS1_3genE10ELNS1_11target_archE1200ELNS1_3gpuE4ELNS1_3repE0EEENS1_30default_config_static_selectorELNS0_4arch9wavefront6targetE1EEEvT1_
                                        ; -- End function
	.section	.AMDGPU.csdata,"",@progbits
; Kernel info:
; codeLenInByte = 0
; NumSgprs: 4
; NumVgprs: 0
; NumAgprs: 0
; TotalNumVgprs: 0
; ScratchSize: 0
; MemoryBound: 0
; FloatMode: 240
; IeeeMode: 1
; LDSByteSize: 0 bytes/workgroup (compile time only)
; SGPRBlocks: 0
; VGPRBlocks: 0
; NumSGPRsForWavesPerEU: 4
; NumVGPRsForWavesPerEU: 1
; AccumOffset: 4
; Occupancy: 8
; WaveLimiterHint : 0
; COMPUTE_PGM_RSRC2:SCRATCH_EN: 0
; COMPUTE_PGM_RSRC2:USER_SGPR: 6
; COMPUTE_PGM_RSRC2:TRAP_HANDLER: 0
; COMPUTE_PGM_RSRC2:TGID_X_EN: 1
; COMPUTE_PGM_RSRC2:TGID_Y_EN: 0
; COMPUTE_PGM_RSRC2:TGID_Z_EN: 0
; COMPUTE_PGM_RSRC2:TIDIG_COMP_CNT: 0
; COMPUTE_PGM_RSRC3_GFX90A:ACCUM_OFFSET: 0
; COMPUTE_PGM_RSRC3_GFX90A:TG_SPLIT: 0
	.section	.text._ZN7rocprim17ROCPRIM_400000_NS6detail17trampoline_kernelINS0_14default_configENS1_25partition_config_selectorILNS1_17partition_subalgoE9EllbEEZZNS1_14partition_implILS5_9ELb0ES3_jPlS8_PNS0_10empty_typeENS0_5tupleIJS8_S9_EEENSB_IJS8_SA_EEENS0_18inequality_wrapperIZN2at6native12_GLOBAL__N_124unique_dim_cuda_templateIN3c104HalfEEESt5tupleIJNSF_6TensorESM_SM_EERKSM_lbbbEUlllE0_EEPmJS9_EEE10hipError_tPvRmT3_T4_T5_T6_T7_T9_mT8_P12ihipStream_tbDpT10_ENKUlT_T0_E_clISt17integral_constantIbLb0EES1C_EEDaS17_S18_EUlS17_E_NS1_11comp_targetILNS1_3genE9ELNS1_11target_archE1100ELNS1_3gpuE3ELNS1_3repE0EEENS1_30default_config_static_selectorELNS0_4arch9wavefront6targetE1EEEvT1_,"axG",@progbits,_ZN7rocprim17ROCPRIM_400000_NS6detail17trampoline_kernelINS0_14default_configENS1_25partition_config_selectorILNS1_17partition_subalgoE9EllbEEZZNS1_14partition_implILS5_9ELb0ES3_jPlS8_PNS0_10empty_typeENS0_5tupleIJS8_S9_EEENSB_IJS8_SA_EEENS0_18inequality_wrapperIZN2at6native12_GLOBAL__N_124unique_dim_cuda_templateIN3c104HalfEEESt5tupleIJNSF_6TensorESM_SM_EERKSM_lbbbEUlllE0_EEPmJS9_EEE10hipError_tPvRmT3_T4_T5_T6_T7_T9_mT8_P12ihipStream_tbDpT10_ENKUlT_T0_E_clISt17integral_constantIbLb0EES1C_EEDaS17_S18_EUlS17_E_NS1_11comp_targetILNS1_3genE9ELNS1_11target_archE1100ELNS1_3gpuE3ELNS1_3repE0EEENS1_30default_config_static_selectorELNS0_4arch9wavefront6targetE1EEEvT1_,comdat
	.globl	_ZN7rocprim17ROCPRIM_400000_NS6detail17trampoline_kernelINS0_14default_configENS1_25partition_config_selectorILNS1_17partition_subalgoE9EllbEEZZNS1_14partition_implILS5_9ELb0ES3_jPlS8_PNS0_10empty_typeENS0_5tupleIJS8_S9_EEENSB_IJS8_SA_EEENS0_18inequality_wrapperIZN2at6native12_GLOBAL__N_124unique_dim_cuda_templateIN3c104HalfEEESt5tupleIJNSF_6TensorESM_SM_EERKSM_lbbbEUlllE0_EEPmJS9_EEE10hipError_tPvRmT3_T4_T5_T6_T7_T9_mT8_P12ihipStream_tbDpT10_ENKUlT_T0_E_clISt17integral_constantIbLb0EES1C_EEDaS17_S18_EUlS17_E_NS1_11comp_targetILNS1_3genE9ELNS1_11target_archE1100ELNS1_3gpuE3ELNS1_3repE0EEENS1_30default_config_static_selectorELNS0_4arch9wavefront6targetE1EEEvT1_ ; -- Begin function _ZN7rocprim17ROCPRIM_400000_NS6detail17trampoline_kernelINS0_14default_configENS1_25partition_config_selectorILNS1_17partition_subalgoE9EllbEEZZNS1_14partition_implILS5_9ELb0ES3_jPlS8_PNS0_10empty_typeENS0_5tupleIJS8_S9_EEENSB_IJS8_SA_EEENS0_18inequality_wrapperIZN2at6native12_GLOBAL__N_124unique_dim_cuda_templateIN3c104HalfEEESt5tupleIJNSF_6TensorESM_SM_EERKSM_lbbbEUlllE0_EEPmJS9_EEE10hipError_tPvRmT3_T4_T5_T6_T7_T9_mT8_P12ihipStream_tbDpT10_ENKUlT_T0_E_clISt17integral_constantIbLb0EES1C_EEDaS17_S18_EUlS17_E_NS1_11comp_targetILNS1_3genE9ELNS1_11target_archE1100ELNS1_3gpuE3ELNS1_3repE0EEENS1_30default_config_static_selectorELNS0_4arch9wavefront6targetE1EEEvT1_
	.p2align	8
	.type	_ZN7rocprim17ROCPRIM_400000_NS6detail17trampoline_kernelINS0_14default_configENS1_25partition_config_selectorILNS1_17partition_subalgoE9EllbEEZZNS1_14partition_implILS5_9ELb0ES3_jPlS8_PNS0_10empty_typeENS0_5tupleIJS8_S9_EEENSB_IJS8_SA_EEENS0_18inequality_wrapperIZN2at6native12_GLOBAL__N_124unique_dim_cuda_templateIN3c104HalfEEESt5tupleIJNSF_6TensorESM_SM_EERKSM_lbbbEUlllE0_EEPmJS9_EEE10hipError_tPvRmT3_T4_T5_T6_T7_T9_mT8_P12ihipStream_tbDpT10_ENKUlT_T0_E_clISt17integral_constantIbLb0EES1C_EEDaS17_S18_EUlS17_E_NS1_11comp_targetILNS1_3genE9ELNS1_11target_archE1100ELNS1_3gpuE3ELNS1_3repE0EEENS1_30default_config_static_selectorELNS0_4arch9wavefront6targetE1EEEvT1_,@function
_ZN7rocprim17ROCPRIM_400000_NS6detail17trampoline_kernelINS0_14default_configENS1_25partition_config_selectorILNS1_17partition_subalgoE9EllbEEZZNS1_14partition_implILS5_9ELb0ES3_jPlS8_PNS0_10empty_typeENS0_5tupleIJS8_S9_EEENSB_IJS8_SA_EEENS0_18inequality_wrapperIZN2at6native12_GLOBAL__N_124unique_dim_cuda_templateIN3c104HalfEEESt5tupleIJNSF_6TensorESM_SM_EERKSM_lbbbEUlllE0_EEPmJS9_EEE10hipError_tPvRmT3_T4_T5_T6_T7_T9_mT8_P12ihipStream_tbDpT10_ENKUlT_T0_E_clISt17integral_constantIbLb0EES1C_EEDaS17_S18_EUlS17_E_NS1_11comp_targetILNS1_3genE9ELNS1_11target_archE1100ELNS1_3gpuE3ELNS1_3repE0EEENS1_30default_config_static_selectorELNS0_4arch9wavefront6targetE1EEEvT1_: ; @_ZN7rocprim17ROCPRIM_400000_NS6detail17trampoline_kernelINS0_14default_configENS1_25partition_config_selectorILNS1_17partition_subalgoE9EllbEEZZNS1_14partition_implILS5_9ELb0ES3_jPlS8_PNS0_10empty_typeENS0_5tupleIJS8_S9_EEENSB_IJS8_SA_EEENS0_18inequality_wrapperIZN2at6native12_GLOBAL__N_124unique_dim_cuda_templateIN3c104HalfEEESt5tupleIJNSF_6TensorESM_SM_EERKSM_lbbbEUlllE0_EEPmJS9_EEE10hipError_tPvRmT3_T4_T5_T6_T7_T9_mT8_P12ihipStream_tbDpT10_ENKUlT_T0_E_clISt17integral_constantIbLb0EES1C_EEDaS17_S18_EUlS17_E_NS1_11comp_targetILNS1_3genE9ELNS1_11target_archE1100ELNS1_3gpuE3ELNS1_3repE0EEENS1_30default_config_static_selectorELNS0_4arch9wavefront6targetE1EEEvT1_
; %bb.0:
	.section	.rodata,"a",@progbits
	.p2align	6, 0x0
	.amdhsa_kernel _ZN7rocprim17ROCPRIM_400000_NS6detail17trampoline_kernelINS0_14default_configENS1_25partition_config_selectorILNS1_17partition_subalgoE9EllbEEZZNS1_14partition_implILS5_9ELb0ES3_jPlS8_PNS0_10empty_typeENS0_5tupleIJS8_S9_EEENSB_IJS8_SA_EEENS0_18inequality_wrapperIZN2at6native12_GLOBAL__N_124unique_dim_cuda_templateIN3c104HalfEEESt5tupleIJNSF_6TensorESM_SM_EERKSM_lbbbEUlllE0_EEPmJS9_EEE10hipError_tPvRmT3_T4_T5_T6_T7_T9_mT8_P12ihipStream_tbDpT10_ENKUlT_T0_E_clISt17integral_constantIbLb0EES1C_EEDaS17_S18_EUlS17_E_NS1_11comp_targetILNS1_3genE9ELNS1_11target_archE1100ELNS1_3gpuE3ELNS1_3repE0EEENS1_30default_config_static_selectorELNS0_4arch9wavefront6targetE1EEEvT1_
		.amdhsa_group_segment_fixed_size 0
		.amdhsa_private_segment_fixed_size 0
		.amdhsa_kernarg_size 120
		.amdhsa_user_sgpr_count 6
		.amdhsa_user_sgpr_private_segment_buffer 1
		.amdhsa_user_sgpr_dispatch_ptr 0
		.amdhsa_user_sgpr_queue_ptr 0
		.amdhsa_user_sgpr_kernarg_segment_ptr 1
		.amdhsa_user_sgpr_dispatch_id 0
		.amdhsa_user_sgpr_flat_scratch_init 0
		.amdhsa_user_sgpr_kernarg_preload_length 0
		.amdhsa_user_sgpr_kernarg_preload_offset 0
		.amdhsa_user_sgpr_private_segment_size 0
		.amdhsa_uses_dynamic_stack 0
		.amdhsa_system_sgpr_private_segment_wavefront_offset 0
		.amdhsa_system_sgpr_workgroup_id_x 1
		.amdhsa_system_sgpr_workgroup_id_y 0
		.amdhsa_system_sgpr_workgroup_id_z 0
		.amdhsa_system_sgpr_workgroup_info 0
		.amdhsa_system_vgpr_workitem_id 0
		.amdhsa_next_free_vgpr 1
		.amdhsa_next_free_sgpr 0
		.amdhsa_accum_offset 4
		.amdhsa_reserve_vcc 0
		.amdhsa_reserve_flat_scratch 0
		.amdhsa_float_round_mode_32 0
		.amdhsa_float_round_mode_16_64 0
		.amdhsa_float_denorm_mode_32 3
		.amdhsa_float_denorm_mode_16_64 3
		.amdhsa_dx10_clamp 1
		.amdhsa_ieee_mode 1
		.amdhsa_fp16_overflow 0
		.amdhsa_tg_split 0
		.amdhsa_exception_fp_ieee_invalid_op 0
		.amdhsa_exception_fp_denorm_src 0
		.amdhsa_exception_fp_ieee_div_zero 0
		.amdhsa_exception_fp_ieee_overflow 0
		.amdhsa_exception_fp_ieee_underflow 0
		.amdhsa_exception_fp_ieee_inexact 0
		.amdhsa_exception_int_div_zero 0
	.end_amdhsa_kernel
	.section	.text._ZN7rocprim17ROCPRIM_400000_NS6detail17trampoline_kernelINS0_14default_configENS1_25partition_config_selectorILNS1_17partition_subalgoE9EllbEEZZNS1_14partition_implILS5_9ELb0ES3_jPlS8_PNS0_10empty_typeENS0_5tupleIJS8_S9_EEENSB_IJS8_SA_EEENS0_18inequality_wrapperIZN2at6native12_GLOBAL__N_124unique_dim_cuda_templateIN3c104HalfEEESt5tupleIJNSF_6TensorESM_SM_EERKSM_lbbbEUlllE0_EEPmJS9_EEE10hipError_tPvRmT3_T4_T5_T6_T7_T9_mT8_P12ihipStream_tbDpT10_ENKUlT_T0_E_clISt17integral_constantIbLb0EES1C_EEDaS17_S18_EUlS17_E_NS1_11comp_targetILNS1_3genE9ELNS1_11target_archE1100ELNS1_3gpuE3ELNS1_3repE0EEENS1_30default_config_static_selectorELNS0_4arch9wavefront6targetE1EEEvT1_,"axG",@progbits,_ZN7rocprim17ROCPRIM_400000_NS6detail17trampoline_kernelINS0_14default_configENS1_25partition_config_selectorILNS1_17partition_subalgoE9EllbEEZZNS1_14partition_implILS5_9ELb0ES3_jPlS8_PNS0_10empty_typeENS0_5tupleIJS8_S9_EEENSB_IJS8_SA_EEENS0_18inequality_wrapperIZN2at6native12_GLOBAL__N_124unique_dim_cuda_templateIN3c104HalfEEESt5tupleIJNSF_6TensorESM_SM_EERKSM_lbbbEUlllE0_EEPmJS9_EEE10hipError_tPvRmT3_T4_T5_T6_T7_T9_mT8_P12ihipStream_tbDpT10_ENKUlT_T0_E_clISt17integral_constantIbLb0EES1C_EEDaS17_S18_EUlS17_E_NS1_11comp_targetILNS1_3genE9ELNS1_11target_archE1100ELNS1_3gpuE3ELNS1_3repE0EEENS1_30default_config_static_selectorELNS0_4arch9wavefront6targetE1EEEvT1_,comdat
.Lfunc_end1333:
	.size	_ZN7rocprim17ROCPRIM_400000_NS6detail17trampoline_kernelINS0_14default_configENS1_25partition_config_selectorILNS1_17partition_subalgoE9EllbEEZZNS1_14partition_implILS5_9ELb0ES3_jPlS8_PNS0_10empty_typeENS0_5tupleIJS8_S9_EEENSB_IJS8_SA_EEENS0_18inequality_wrapperIZN2at6native12_GLOBAL__N_124unique_dim_cuda_templateIN3c104HalfEEESt5tupleIJNSF_6TensorESM_SM_EERKSM_lbbbEUlllE0_EEPmJS9_EEE10hipError_tPvRmT3_T4_T5_T6_T7_T9_mT8_P12ihipStream_tbDpT10_ENKUlT_T0_E_clISt17integral_constantIbLb0EES1C_EEDaS17_S18_EUlS17_E_NS1_11comp_targetILNS1_3genE9ELNS1_11target_archE1100ELNS1_3gpuE3ELNS1_3repE0EEENS1_30default_config_static_selectorELNS0_4arch9wavefront6targetE1EEEvT1_, .Lfunc_end1333-_ZN7rocprim17ROCPRIM_400000_NS6detail17trampoline_kernelINS0_14default_configENS1_25partition_config_selectorILNS1_17partition_subalgoE9EllbEEZZNS1_14partition_implILS5_9ELb0ES3_jPlS8_PNS0_10empty_typeENS0_5tupleIJS8_S9_EEENSB_IJS8_SA_EEENS0_18inequality_wrapperIZN2at6native12_GLOBAL__N_124unique_dim_cuda_templateIN3c104HalfEEESt5tupleIJNSF_6TensorESM_SM_EERKSM_lbbbEUlllE0_EEPmJS9_EEE10hipError_tPvRmT3_T4_T5_T6_T7_T9_mT8_P12ihipStream_tbDpT10_ENKUlT_T0_E_clISt17integral_constantIbLb0EES1C_EEDaS17_S18_EUlS17_E_NS1_11comp_targetILNS1_3genE9ELNS1_11target_archE1100ELNS1_3gpuE3ELNS1_3repE0EEENS1_30default_config_static_selectorELNS0_4arch9wavefront6targetE1EEEvT1_
                                        ; -- End function
	.section	.AMDGPU.csdata,"",@progbits
; Kernel info:
; codeLenInByte = 0
; NumSgprs: 4
; NumVgprs: 0
; NumAgprs: 0
; TotalNumVgprs: 0
; ScratchSize: 0
; MemoryBound: 0
; FloatMode: 240
; IeeeMode: 1
; LDSByteSize: 0 bytes/workgroup (compile time only)
; SGPRBlocks: 0
; VGPRBlocks: 0
; NumSGPRsForWavesPerEU: 4
; NumVGPRsForWavesPerEU: 1
; AccumOffset: 4
; Occupancy: 8
; WaveLimiterHint : 0
; COMPUTE_PGM_RSRC2:SCRATCH_EN: 0
; COMPUTE_PGM_RSRC2:USER_SGPR: 6
; COMPUTE_PGM_RSRC2:TRAP_HANDLER: 0
; COMPUTE_PGM_RSRC2:TGID_X_EN: 1
; COMPUTE_PGM_RSRC2:TGID_Y_EN: 0
; COMPUTE_PGM_RSRC2:TGID_Z_EN: 0
; COMPUTE_PGM_RSRC2:TIDIG_COMP_CNT: 0
; COMPUTE_PGM_RSRC3_GFX90A:ACCUM_OFFSET: 0
; COMPUTE_PGM_RSRC3_GFX90A:TG_SPLIT: 0
	.section	.text._ZN7rocprim17ROCPRIM_400000_NS6detail17trampoline_kernelINS0_14default_configENS1_25partition_config_selectorILNS1_17partition_subalgoE9EllbEEZZNS1_14partition_implILS5_9ELb0ES3_jPlS8_PNS0_10empty_typeENS0_5tupleIJS8_S9_EEENSB_IJS8_SA_EEENS0_18inequality_wrapperIZN2at6native12_GLOBAL__N_124unique_dim_cuda_templateIN3c104HalfEEESt5tupleIJNSF_6TensorESM_SM_EERKSM_lbbbEUlllE0_EEPmJS9_EEE10hipError_tPvRmT3_T4_T5_T6_T7_T9_mT8_P12ihipStream_tbDpT10_ENKUlT_T0_E_clISt17integral_constantIbLb0EES1C_EEDaS17_S18_EUlS17_E_NS1_11comp_targetILNS1_3genE8ELNS1_11target_archE1030ELNS1_3gpuE2ELNS1_3repE0EEENS1_30default_config_static_selectorELNS0_4arch9wavefront6targetE1EEEvT1_,"axG",@progbits,_ZN7rocprim17ROCPRIM_400000_NS6detail17trampoline_kernelINS0_14default_configENS1_25partition_config_selectorILNS1_17partition_subalgoE9EllbEEZZNS1_14partition_implILS5_9ELb0ES3_jPlS8_PNS0_10empty_typeENS0_5tupleIJS8_S9_EEENSB_IJS8_SA_EEENS0_18inequality_wrapperIZN2at6native12_GLOBAL__N_124unique_dim_cuda_templateIN3c104HalfEEESt5tupleIJNSF_6TensorESM_SM_EERKSM_lbbbEUlllE0_EEPmJS9_EEE10hipError_tPvRmT3_T4_T5_T6_T7_T9_mT8_P12ihipStream_tbDpT10_ENKUlT_T0_E_clISt17integral_constantIbLb0EES1C_EEDaS17_S18_EUlS17_E_NS1_11comp_targetILNS1_3genE8ELNS1_11target_archE1030ELNS1_3gpuE2ELNS1_3repE0EEENS1_30default_config_static_selectorELNS0_4arch9wavefront6targetE1EEEvT1_,comdat
	.globl	_ZN7rocprim17ROCPRIM_400000_NS6detail17trampoline_kernelINS0_14default_configENS1_25partition_config_selectorILNS1_17partition_subalgoE9EllbEEZZNS1_14partition_implILS5_9ELb0ES3_jPlS8_PNS0_10empty_typeENS0_5tupleIJS8_S9_EEENSB_IJS8_SA_EEENS0_18inequality_wrapperIZN2at6native12_GLOBAL__N_124unique_dim_cuda_templateIN3c104HalfEEESt5tupleIJNSF_6TensorESM_SM_EERKSM_lbbbEUlllE0_EEPmJS9_EEE10hipError_tPvRmT3_T4_T5_T6_T7_T9_mT8_P12ihipStream_tbDpT10_ENKUlT_T0_E_clISt17integral_constantIbLb0EES1C_EEDaS17_S18_EUlS17_E_NS1_11comp_targetILNS1_3genE8ELNS1_11target_archE1030ELNS1_3gpuE2ELNS1_3repE0EEENS1_30default_config_static_selectorELNS0_4arch9wavefront6targetE1EEEvT1_ ; -- Begin function _ZN7rocprim17ROCPRIM_400000_NS6detail17trampoline_kernelINS0_14default_configENS1_25partition_config_selectorILNS1_17partition_subalgoE9EllbEEZZNS1_14partition_implILS5_9ELb0ES3_jPlS8_PNS0_10empty_typeENS0_5tupleIJS8_S9_EEENSB_IJS8_SA_EEENS0_18inequality_wrapperIZN2at6native12_GLOBAL__N_124unique_dim_cuda_templateIN3c104HalfEEESt5tupleIJNSF_6TensorESM_SM_EERKSM_lbbbEUlllE0_EEPmJS9_EEE10hipError_tPvRmT3_T4_T5_T6_T7_T9_mT8_P12ihipStream_tbDpT10_ENKUlT_T0_E_clISt17integral_constantIbLb0EES1C_EEDaS17_S18_EUlS17_E_NS1_11comp_targetILNS1_3genE8ELNS1_11target_archE1030ELNS1_3gpuE2ELNS1_3repE0EEENS1_30default_config_static_selectorELNS0_4arch9wavefront6targetE1EEEvT1_
	.p2align	8
	.type	_ZN7rocprim17ROCPRIM_400000_NS6detail17trampoline_kernelINS0_14default_configENS1_25partition_config_selectorILNS1_17partition_subalgoE9EllbEEZZNS1_14partition_implILS5_9ELb0ES3_jPlS8_PNS0_10empty_typeENS0_5tupleIJS8_S9_EEENSB_IJS8_SA_EEENS0_18inequality_wrapperIZN2at6native12_GLOBAL__N_124unique_dim_cuda_templateIN3c104HalfEEESt5tupleIJNSF_6TensorESM_SM_EERKSM_lbbbEUlllE0_EEPmJS9_EEE10hipError_tPvRmT3_T4_T5_T6_T7_T9_mT8_P12ihipStream_tbDpT10_ENKUlT_T0_E_clISt17integral_constantIbLb0EES1C_EEDaS17_S18_EUlS17_E_NS1_11comp_targetILNS1_3genE8ELNS1_11target_archE1030ELNS1_3gpuE2ELNS1_3repE0EEENS1_30default_config_static_selectorELNS0_4arch9wavefront6targetE1EEEvT1_,@function
_ZN7rocprim17ROCPRIM_400000_NS6detail17trampoline_kernelINS0_14default_configENS1_25partition_config_selectorILNS1_17partition_subalgoE9EllbEEZZNS1_14partition_implILS5_9ELb0ES3_jPlS8_PNS0_10empty_typeENS0_5tupleIJS8_S9_EEENSB_IJS8_SA_EEENS0_18inequality_wrapperIZN2at6native12_GLOBAL__N_124unique_dim_cuda_templateIN3c104HalfEEESt5tupleIJNSF_6TensorESM_SM_EERKSM_lbbbEUlllE0_EEPmJS9_EEE10hipError_tPvRmT3_T4_T5_T6_T7_T9_mT8_P12ihipStream_tbDpT10_ENKUlT_T0_E_clISt17integral_constantIbLb0EES1C_EEDaS17_S18_EUlS17_E_NS1_11comp_targetILNS1_3genE8ELNS1_11target_archE1030ELNS1_3gpuE2ELNS1_3repE0EEENS1_30default_config_static_selectorELNS0_4arch9wavefront6targetE1EEEvT1_: ; @_ZN7rocprim17ROCPRIM_400000_NS6detail17trampoline_kernelINS0_14default_configENS1_25partition_config_selectorILNS1_17partition_subalgoE9EllbEEZZNS1_14partition_implILS5_9ELb0ES3_jPlS8_PNS0_10empty_typeENS0_5tupleIJS8_S9_EEENSB_IJS8_SA_EEENS0_18inequality_wrapperIZN2at6native12_GLOBAL__N_124unique_dim_cuda_templateIN3c104HalfEEESt5tupleIJNSF_6TensorESM_SM_EERKSM_lbbbEUlllE0_EEPmJS9_EEE10hipError_tPvRmT3_T4_T5_T6_T7_T9_mT8_P12ihipStream_tbDpT10_ENKUlT_T0_E_clISt17integral_constantIbLb0EES1C_EEDaS17_S18_EUlS17_E_NS1_11comp_targetILNS1_3genE8ELNS1_11target_archE1030ELNS1_3gpuE2ELNS1_3repE0EEENS1_30default_config_static_selectorELNS0_4arch9wavefront6targetE1EEEvT1_
; %bb.0:
	.section	.rodata,"a",@progbits
	.p2align	6, 0x0
	.amdhsa_kernel _ZN7rocprim17ROCPRIM_400000_NS6detail17trampoline_kernelINS0_14default_configENS1_25partition_config_selectorILNS1_17partition_subalgoE9EllbEEZZNS1_14partition_implILS5_9ELb0ES3_jPlS8_PNS0_10empty_typeENS0_5tupleIJS8_S9_EEENSB_IJS8_SA_EEENS0_18inequality_wrapperIZN2at6native12_GLOBAL__N_124unique_dim_cuda_templateIN3c104HalfEEESt5tupleIJNSF_6TensorESM_SM_EERKSM_lbbbEUlllE0_EEPmJS9_EEE10hipError_tPvRmT3_T4_T5_T6_T7_T9_mT8_P12ihipStream_tbDpT10_ENKUlT_T0_E_clISt17integral_constantIbLb0EES1C_EEDaS17_S18_EUlS17_E_NS1_11comp_targetILNS1_3genE8ELNS1_11target_archE1030ELNS1_3gpuE2ELNS1_3repE0EEENS1_30default_config_static_selectorELNS0_4arch9wavefront6targetE1EEEvT1_
		.amdhsa_group_segment_fixed_size 0
		.amdhsa_private_segment_fixed_size 0
		.amdhsa_kernarg_size 120
		.amdhsa_user_sgpr_count 6
		.amdhsa_user_sgpr_private_segment_buffer 1
		.amdhsa_user_sgpr_dispatch_ptr 0
		.amdhsa_user_sgpr_queue_ptr 0
		.amdhsa_user_sgpr_kernarg_segment_ptr 1
		.amdhsa_user_sgpr_dispatch_id 0
		.amdhsa_user_sgpr_flat_scratch_init 0
		.amdhsa_user_sgpr_kernarg_preload_length 0
		.amdhsa_user_sgpr_kernarg_preload_offset 0
		.amdhsa_user_sgpr_private_segment_size 0
		.amdhsa_uses_dynamic_stack 0
		.amdhsa_system_sgpr_private_segment_wavefront_offset 0
		.amdhsa_system_sgpr_workgroup_id_x 1
		.amdhsa_system_sgpr_workgroup_id_y 0
		.amdhsa_system_sgpr_workgroup_id_z 0
		.amdhsa_system_sgpr_workgroup_info 0
		.amdhsa_system_vgpr_workitem_id 0
		.amdhsa_next_free_vgpr 1
		.amdhsa_next_free_sgpr 0
		.amdhsa_accum_offset 4
		.amdhsa_reserve_vcc 0
		.amdhsa_reserve_flat_scratch 0
		.amdhsa_float_round_mode_32 0
		.amdhsa_float_round_mode_16_64 0
		.amdhsa_float_denorm_mode_32 3
		.amdhsa_float_denorm_mode_16_64 3
		.amdhsa_dx10_clamp 1
		.amdhsa_ieee_mode 1
		.amdhsa_fp16_overflow 0
		.amdhsa_tg_split 0
		.amdhsa_exception_fp_ieee_invalid_op 0
		.amdhsa_exception_fp_denorm_src 0
		.amdhsa_exception_fp_ieee_div_zero 0
		.amdhsa_exception_fp_ieee_overflow 0
		.amdhsa_exception_fp_ieee_underflow 0
		.amdhsa_exception_fp_ieee_inexact 0
		.amdhsa_exception_int_div_zero 0
	.end_amdhsa_kernel
	.section	.text._ZN7rocprim17ROCPRIM_400000_NS6detail17trampoline_kernelINS0_14default_configENS1_25partition_config_selectorILNS1_17partition_subalgoE9EllbEEZZNS1_14partition_implILS5_9ELb0ES3_jPlS8_PNS0_10empty_typeENS0_5tupleIJS8_S9_EEENSB_IJS8_SA_EEENS0_18inequality_wrapperIZN2at6native12_GLOBAL__N_124unique_dim_cuda_templateIN3c104HalfEEESt5tupleIJNSF_6TensorESM_SM_EERKSM_lbbbEUlllE0_EEPmJS9_EEE10hipError_tPvRmT3_T4_T5_T6_T7_T9_mT8_P12ihipStream_tbDpT10_ENKUlT_T0_E_clISt17integral_constantIbLb0EES1C_EEDaS17_S18_EUlS17_E_NS1_11comp_targetILNS1_3genE8ELNS1_11target_archE1030ELNS1_3gpuE2ELNS1_3repE0EEENS1_30default_config_static_selectorELNS0_4arch9wavefront6targetE1EEEvT1_,"axG",@progbits,_ZN7rocprim17ROCPRIM_400000_NS6detail17trampoline_kernelINS0_14default_configENS1_25partition_config_selectorILNS1_17partition_subalgoE9EllbEEZZNS1_14partition_implILS5_9ELb0ES3_jPlS8_PNS0_10empty_typeENS0_5tupleIJS8_S9_EEENSB_IJS8_SA_EEENS0_18inequality_wrapperIZN2at6native12_GLOBAL__N_124unique_dim_cuda_templateIN3c104HalfEEESt5tupleIJNSF_6TensorESM_SM_EERKSM_lbbbEUlllE0_EEPmJS9_EEE10hipError_tPvRmT3_T4_T5_T6_T7_T9_mT8_P12ihipStream_tbDpT10_ENKUlT_T0_E_clISt17integral_constantIbLb0EES1C_EEDaS17_S18_EUlS17_E_NS1_11comp_targetILNS1_3genE8ELNS1_11target_archE1030ELNS1_3gpuE2ELNS1_3repE0EEENS1_30default_config_static_selectorELNS0_4arch9wavefront6targetE1EEEvT1_,comdat
.Lfunc_end1334:
	.size	_ZN7rocprim17ROCPRIM_400000_NS6detail17trampoline_kernelINS0_14default_configENS1_25partition_config_selectorILNS1_17partition_subalgoE9EllbEEZZNS1_14partition_implILS5_9ELb0ES3_jPlS8_PNS0_10empty_typeENS0_5tupleIJS8_S9_EEENSB_IJS8_SA_EEENS0_18inequality_wrapperIZN2at6native12_GLOBAL__N_124unique_dim_cuda_templateIN3c104HalfEEESt5tupleIJNSF_6TensorESM_SM_EERKSM_lbbbEUlllE0_EEPmJS9_EEE10hipError_tPvRmT3_T4_T5_T6_T7_T9_mT8_P12ihipStream_tbDpT10_ENKUlT_T0_E_clISt17integral_constantIbLb0EES1C_EEDaS17_S18_EUlS17_E_NS1_11comp_targetILNS1_3genE8ELNS1_11target_archE1030ELNS1_3gpuE2ELNS1_3repE0EEENS1_30default_config_static_selectorELNS0_4arch9wavefront6targetE1EEEvT1_, .Lfunc_end1334-_ZN7rocprim17ROCPRIM_400000_NS6detail17trampoline_kernelINS0_14default_configENS1_25partition_config_selectorILNS1_17partition_subalgoE9EllbEEZZNS1_14partition_implILS5_9ELb0ES3_jPlS8_PNS0_10empty_typeENS0_5tupleIJS8_S9_EEENSB_IJS8_SA_EEENS0_18inequality_wrapperIZN2at6native12_GLOBAL__N_124unique_dim_cuda_templateIN3c104HalfEEESt5tupleIJNSF_6TensorESM_SM_EERKSM_lbbbEUlllE0_EEPmJS9_EEE10hipError_tPvRmT3_T4_T5_T6_T7_T9_mT8_P12ihipStream_tbDpT10_ENKUlT_T0_E_clISt17integral_constantIbLb0EES1C_EEDaS17_S18_EUlS17_E_NS1_11comp_targetILNS1_3genE8ELNS1_11target_archE1030ELNS1_3gpuE2ELNS1_3repE0EEENS1_30default_config_static_selectorELNS0_4arch9wavefront6targetE1EEEvT1_
                                        ; -- End function
	.section	.AMDGPU.csdata,"",@progbits
; Kernel info:
; codeLenInByte = 0
; NumSgprs: 4
; NumVgprs: 0
; NumAgprs: 0
; TotalNumVgprs: 0
; ScratchSize: 0
; MemoryBound: 0
; FloatMode: 240
; IeeeMode: 1
; LDSByteSize: 0 bytes/workgroup (compile time only)
; SGPRBlocks: 0
; VGPRBlocks: 0
; NumSGPRsForWavesPerEU: 4
; NumVGPRsForWavesPerEU: 1
; AccumOffset: 4
; Occupancy: 8
; WaveLimiterHint : 0
; COMPUTE_PGM_RSRC2:SCRATCH_EN: 0
; COMPUTE_PGM_RSRC2:USER_SGPR: 6
; COMPUTE_PGM_RSRC2:TRAP_HANDLER: 0
; COMPUTE_PGM_RSRC2:TGID_X_EN: 1
; COMPUTE_PGM_RSRC2:TGID_Y_EN: 0
; COMPUTE_PGM_RSRC2:TGID_Z_EN: 0
; COMPUTE_PGM_RSRC2:TIDIG_COMP_CNT: 0
; COMPUTE_PGM_RSRC3_GFX90A:ACCUM_OFFSET: 0
; COMPUTE_PGM_RSRC3_GFX90A:TG_SPLIT: 0
	.section	.text._ZN7rocprim17ROCPRIM_400000_NS6detail17trampoline_kernelINS0_14default_configENS1_25partition_config_selectorILNS1_17partition_subalgoE9EllbEEZZNS1_14partition_implILS5_9ELb0ES3_jPlS8_PNS0_10empty_typeENS0_5tupleIJS8_S9_EEENSB_IJS8_SA_EEENS0_18inequality_wrapperIZN2at6native12_GLOBAL__N_124unique_dim_cuda_templateIN3c104HalfEEESt5tupleIJNSF_6TensorESM_SM_EERKSM_lbbbEUlllE0_EEPmJS9_EEE10hipError_tPvRmT3_T4_T5_T6_T7_T9_mT8_P12ihipStream_tbDpT10_ENKUlT_T0_E_clISt17integral_constantIbLb1EES1C_EEDaS17_S18_EUlS17_E_NS1_11comp_targetILNS1_3genE0ELNS1_11target_archE4294967295ELNS1_3gpuE0ELNS1_3repE0EEENS1_30default_config_static_selectorELNS0_4arch9wavefront6targetE1EEEvT1_,"axG",@progbits,_ZN7rocprim17ROCPRIM_400000_NS6detail17trampoline_kernelINS0_14default_configENS1_25partition_config_selectorILNS1_17partition_subalgoE9EllbEEZZNS1_14partition_implILS5_9ELb0ES3_jPlS8_PNS0_10empty_typeENS0_5tupleIJS8_S9_EEENSB_IJS8_SA_EEENS0_18inequality_wrapperIZN2at6native12_GLOBAL__N_124unique_dim_cuda_templateIN3c104HalfEEESt5tupleIJNSF_6TensorESM_SM_EERKSM_lbbbEUlllE0_EEPmJS9_EEE10hipError_tPvRmT3_T4_T5_T6_T7_T9_mT8_P12ihipStream_tbDpT10_ENKUlT_T0_E_clISt17integral_constantIbLb1EES1C_EEDaS17_S18_EUlS17_E_NS1_11comp_targetILNS1_3genE0ELNS1_11target_archE4294967295ELNS1_3gpuE0ELNS1_3repE0EEENS1_30default_config_static_selectorELNS0_4arch9wavefront6targetE1EEEvT1_,comdat
	.globl	_ZN7rocprim17ROCPRIM_400000_NS6detail17trampoline_kernelINS0_14default_configENS1_25partition_config_selectorILNS1_17partition_subalgoE9EllbEEZZNS1_14partition_implILS5_9ELb0ES3_jPlS8_PNS0_10empty_typeENS0_5tupleIJS8_S9_EEENSB_IJS8_SA_EEENS0_18inequality_wrapperIZN2at6native12_GLOBAL__N_124unique_dim_cuda_templateIN3c104HalfEEESt5tupleIJNSF_6TensorESM_SM_EERKSM_lbbbEUlllE0_EEPmJS9_EEE10hipError_tPvRmT3_T4_T5_T6_T7_T9_mT8_P12ihipStream_tbDpT10_ENKUlT_T0_E_clISt17integral_constantIbLb1EES1C_EEDaS17_S18_EUlS17_E_NS1_11comp_targetILNS1_3genE0ELNS1_11target_archE4294967295ELNS1_3gpuE0ELNS1_3repE0EEENS1_30default_config_static_selectorELNS0_4arch9wavefront6targetE1EEEvT1_ ; -- Begin function _ZN7rocprim17ROCPRIM_400000_NS6detail17trampoline_kernelINS0_14default_configENS1_25partition_config_selectorILNS1_17partition_subalgoE9EllbEEZZNS1_14partition_implILS5_9ELb0ES3_jPlS8_PNS0_10empty_typeENS0_5tupleIJS8_S9_EEENSB_IJS8_SA_EEENS0_18inequality_wrapperIZN2at6native12_GLOBAL__N_124unique_dim_cuda_templateIN3c104HalfEEESt5tupleIJNSF_6TensorESM_SM_EERKSM_lbbbEUlllE0_EEPmJS9_EEE10hipError_tPvRmT3_T4_T5_T6_T7_T9_mT8_P12ihipStream_tbDpT10_ENKUlT_T0_E_clISt17integral_constantIbLb1EES1C_EEDaS17_S18_EUlS17_E_NS1_11comp_targetILNS1_3genE0ELNS1_11target_archE4294967295ELNS1_3gpuE0ELNS1_3repE0EEENS1_30default_config_static_selectorELNS0_4arch9wavefront6targetE1EEEvT1_
	.p2align	8
	.type	_ZN7rocprim17ROCPRIM_400000_NS6detail17trampoline_kernelINS0_14default_configENS1_25partition_config_selectorILNS1_17partition_subalgoE9EllbEEZZNS1_14partition_implILS5_9ELb0ES3_jPlS8_PNS0_10empty_typeENS0_5tupleIJS8_S9_EEENSB_IJS8_SA_EEENS0_18inequality_wrapperIZN2at6native12_GLOBAL__N_124unique_dim_cuda_templateIN3c104HalfEEESt5tupleIJNSF_6TensorESM_SM_EERKSM_lbbbEUlllE0_EEPmJS9_EEE10hipError_tPvRmT3_T4_T5_T6_T7_T9_mT8_P12ihipStream_tbDpT10_ENKUlT_T0_E_clISt17integral_constantIbLb1EES1C_EEDaS17_S18_EUlS17_E_NS1_11comp_targetILNS1_3genE0ELNS1_11target_archE4294967295ELNS1_3gpuE0ELNS1_3repE0EEENS1_30default_config_static_selectorELNS0_4arch9wavefront6targetE1EEEvT1_,@function
_ZN7rocprim17ROCPRIM_400000_NS6detail17trampoline_kernelINS0_14default_configENS1_25partition_config_selectorILNS1_17partition_subalgoE9EllbEEZZNS1_14partition_implILS5_9ELb0ES3_jPlS8_PNS0_10empty_typeENS0_5tupleIJS8_S9_EEENSB_IJS8_SA_EEENS0_18inequality_wrapperIZN2at6native12_GLOBAL__N_124unique_dim_cuda_templateIN3c104HalfEEESt5tupleIJNSF_6TensorESM_SM_EERKSM_lbbbEUlllE0_EEPmJS9_EEE10hipError_tPvRmT3_T4_T5_T6_T7_T9_mT8_P12ihipStream_tbDpT10_ENKUlT_T0_E_clISt17integral_constantIbLb1EES1C_EEDaS17_S18_EUlS17_E_NS1_11comp_targetILNS1_3genE0ELNS1_11target_archE4294967295ELNS1_3gpuE0ELNS1_3repE0EEENS1_30default_config_static_selectorELNS0_4arch9wavefront6targetE1EEEvT1_: ; @_ZN7rocprim17ROCPRIM_400000_NS6detail17trampoline_kernelINS0_14default_configENS1_25partition_config_selectorILNS1_17partition_subalgoE9EllbEEZZNS1_14partition_implILS5_9ELb0ES3_jPlS8_PNS0_10empty_typeENS0_5tupleIJS8_S9_EEENSB_IJS8_SA_EEENS0_18inequality_wrapperIZN2at6native12_GLOBAL__N_124unique_dim_cuda_templateIN3c104HalfEEESt5tupleIJNSF_6TensorESM_SM_EERKSM_lbbbEUlllE0_EEPmJS9_EEE10hipError_tPvRmT3_T4_T5_T6_T7_T9_mT8_P12ihipStream_tbDpT10_ENKUlT_T0_E_clISt17integral_constantIbLb1EES1C_EEDaS17_S18_EUlS17_E_NS1_11comp_targetILNS1_3genE0ELNS1_11target_archE4294967295ELNS1_3gpuE0ELNS1_3repE0EEENS1_30default_config_static_selectorELNS0_4arch9wavefront6targetE1EEEvT1_
; %bb.0:
	.section	.rodata,"a",@progbits
	.p2align	6, 0x0
	.amdhsa_kernel _ZN7rocprim17ROCPRIM_400000_NS6detail17trampoline_kernelINS0_14default_configENS1_25partition_config_selectorILNS1_17partition_subalgoE9EllbEEZZNS1_14partition_implILS5_9ELb0ES3_jPlS8_PNS0_10empty_typeENS0_5tupleIJS8_S9_EEENSB_IJS8_SA_EEENS0_18inequality_wrapperIZN2at6native12_GLOBAL__N_124unique_dim_cuda_templateIN3c104HalfEEESt5tupleIJNSF_6TensorESM_SM_EERKSM_lbbbEUlllE0_EEPmJS9_EEE10hipError_tPvRmT3_T4_T5_T6_T7_T9_mT8_P12ihipStream_tbDpT10_ENKUlT_T0_E_clISt17integral_constantIbLb1EES1C_EEDaS17_S18_EUlS17_E_NS1_11comp_targetILNS1_3genE0ELNS1_11target_archE4294967295ELNS1_3gpuE0ELNS1_3repE0EEENS1_30default_config_static_selectorELNS0_4arch9wavefront6targetE1EEEvT1_
		.amdhsa_group_segment_fixed_size 0
		.amdhsa_private_segment_fixed_size 0
		.amdhsa_kernarg_size 136
		.amdhsa_user_sgpr_count 6
		.amdhsa_user_sgpr_private_segment_buffer 1
		.amdhsa_user_sgpr_dispatch_ptr 0
		.amdhsa_user_sgpr_queue_ptr 0
		.amdhsa_user_sgpr_kernarg_segment_ptr 1
		.amdhsa_user_sgpr_dispatch_id 0
		.amdhsa_user_sgpr_flat_scratch_init 0
		.amdhsa_user_sgpr_kernarg_preload_length 0
		.amdhsa_user_sgpr_kernarg_preload_offset 0
		.amdhsa_user_sgpr_private_segment_size 0
		.amdhsa_uses_dynamic_stack 0
		.amdhsa_system_sgpr_private_segment_wavefront_offset 0
		.amdhsa_system_sgpr_workgroup_id_x 1
		.amdhsa_system_sgpr_workgroup_id_y 0
		.amdhsa_system_sgpr_workgroup_id_z 0
		.amdhsa_system_sgpr_workgroup_info 0
		.amdhsa_system_vgpr_workitem_id 0
		.amdhsa_next_free_vgpr 1
		.amdhsa_next_free_sgpr 0
		.amdhsa_accum_offset 4
		.amdhsa_reserve_vcc 0
		.amdhsa_reserve_flat_scratch 0
		.amdhsa_float_round_mode_32 0
		.amdhsa_float_round_mode_16_64 0
		.amdhsa_float_denorm_mode_32 3
		.amdhsa_float_denorm_mode_16_64 3
		.amdhsa_dx10_clamp 1
		.amdhsa_ieee_mode 1
		.amdhsa_fp16_overflow 0
		.amdhsa_tg_split 0
		.amdhsa_exception_fp_ieee_invalid_op 0
		.amdhsa_exception_fp_denorm_src 0
		.amdhsa_exception_fp_ieee_div_zero 0
		.amdhsa_exception_fp_ieee_overflow 0
		.amdhsa_exception_fp_ieee_underflow 0
		.amdhsa_exception_fp_ieee_inexact 0
		.amdhsa_exception_int_div_zero 0
	.end_amdhsa_kernel
	.section	.text._ZN7rocprim17ROCPRIM_400000_NS6detail17trampoline_kernelINS0_14default_configENS1_25partition_config_selectorILNS1_17partition_subalgoE9EllbEEZZNS1_14partition_implILS5_9ELb0ES3_jPlS8_PNS0_10empty_typeENS0_5tupleIJS8_S9_EEENSB_IJS8_SA_EEENS0_18inequality_wrapperIZN2at6native12_GLOBAL__N_124unique_dim_cuda_templateIN3c104HalfEEESt5tupleIJNSF_6TensorESM_SM_EERKSM_lbbbEUlllE0_EEPmJS9_EEE10hipError_tPvRmT3_T4_T5_T6_T7_T9_mT8_P12ihipStream_tbDpT10_ENKUlT_T0_E_clISt17integral_constantIbLb1EES1C_EEDaS17_S18_EUlS17_E_NS1_11comp_targetILNS1_3genE0ELNS1_11target_archE4294967295ELNS1_3gpuE0ELNS1_3repE0EEENS1_30default_config_static_selectorELNS0_4arch9wavefront6targetE1EEEvT1_,"axG",@progbits,_ZN7rocprim17ROCPRIM_400000_NS6detail17trampoline_kernelINS0_14default_configENS1_25partition_config_selectorILNS1_17partition_subalgoE9EllbEEZZNS1_14partition_implILS5_9ELb0ES3_jPlS8_PNS0_10empty_typeENS0_5tupleIJS8_S9_EEENSB_IJS8_SA_EEENS0_18inequality_wrapperIZN2at6native12_GLOBAL__N_124unique_dim_cuda_templateIN3c104HalfEEESt5tupleIJNSF_6TensorESM_SM_EERKSM_lbbbEUlllE0_EEPmJS9_EEE10hipError_tPvRmT3_T4_T5_T6_T7_T9_mT8_P12ihipStream_tbDpT10_ENKUlT_T0_E_clISt17integral_constantIbLb1EES1C_EEDaS17_S18_EUlS17_E_NS1_11comp_targetILNS1_3genE0ELNS1_11target_archE4294967295ELNS1_3gpuE0ELNS1_3repE0EEENS1_30default_config_static_selectorELNS0_4arch9wavefront6targetE1EEEvT1_,comdat
.Lfunc_end1335:
	.size	_ZN7rocprim17ROCPRIM_400000_NS6detail17trampoline_kernelINS0_14default_configENS1_25partition_config_selectorILNS1_17partition_subalgoE9EllbEEZZNS1_14partition_implILS5_9ELb0ES3_jPlS8_PNS0_10empty_typeENS0_5tupleIJS8_S9_EEENSB_IJS8_SA_EEENS0_18inequality_wrapperIZN2at6native12_GLOBAL__N_124unique_dim_cuda_templateIN3c104HalfEEESt5tupleIJNSF_6TensorESM_SM_EERKSM_lbbbEUlllE0_EEPmJS9_EEE10hipError_tPvRmT3_T4_T5_T6_T7_T9_mT8_P12ihipStream_tbDpT10_ENKUlT_T0_E_clISt17integral_constantIbLb1EES1C_EEDaS17_S18_EUlS17_E_NS1_11comp_targetILNS1_3genE0ELNS1_11target_archE4294967295ELNS1_3gpuE0ELNS1_3repE0EEENS1_30default_config_static_selectorELNS0_4arch9wavefront6targetE1EEEvT1_, .Lfunc_end1335-_ZN7rocprim17ROCPRIM_400000_NS6detail17trampoline_kernelINS0_14default_configENS1_25partition_config_selectorILNS1_17partition_subalgoE9EllbEEZZNS1_14partition_implILS5_9ELb0ES3_jPlS8_PNS0_10empty_typeENS0_5tupleIJS8_S9_EEENSB_IJS8_SA_EEENS0_18inequality_wrapperIZN2at6native12_GLOBAL__N_124unique_dim_cuda_templateIN3c104HalfEEESt5tupleIJNSF_6TensorESM_SM_EERKSM_lbbbEUlllE0_EEPmJS9_EEE10hipError_tPvRmT3_T4_T5_T6_T7_T9_mT8_P12ihipStream_tbDpT10_ENKUlT_T0_E_clISt17integral_constantIbLb1EES1C_EEDaS17_S18_EUlS17_E_NS1_11comp_targetILNS1_3genE0ELNS1_11target_archE4294967295ELNS1_3gpuE0ELNS1_3repE0EEENS1_30default_config_static_selectorELNS0_4arch9wavefront6targetE1EEEvT1_
                                        ; -- End function
	.section	.AMDGPU.csdata,"",@progbits
; Kernel info:
; codeLenInByte = 0
; NumSgprs: 4
; NumVgprs: 0
; NumAgprs: 0
; TotalNumVgprs: 0
; ScratchSize: 0
; MemoryBound: 0
; FloatMode: 240
; IeeeMode: 1
; LDSByteSize: 0 bytes/workgroup (compile time only)
; SGPRBlocks: 0
; VGPRBlocks: 0
; NumSGPRsForWavesPerEU: 4
; NumVGPRsForWavesPerEU: 1
; AccumOffset: 4
; Occupancy: 8
; WaveLimiterHint : 0
; COMPUTE_PGM_RSRC2:SCRATCH_EN: 0
; COMPUTE_PGM_RSRC2:USER_SGPR: 6
; COMPUTE_PGM_RSRC2:TRAP_HANDLER: 0
; COMPUTE_PGM_RSRC2:TGID_X_EN: 1
; COMPUTE_PGM_RSRC2:TGID_Y_EN: 0
; COMPUTE_PGM_RSRC2:TGID_Z_EN: 0
; COMPUTE_PGM_RSRC2:TIDIG_COMP_CNT: 0
; COMPUTE_PGM_RSRC3_GFX90A:ACCUM_OFFSET: 0
; COMPUTE_PGM_RSRC3_GFX90A:TG_SPLIT: 0
	.section	.text._ZN7rocprim17ROCPRIM_400000_NS6detail17trampoline_kernelINS0_14default_configENS1_25partition_config_selectorILNS1_17partition_subalgoE9EllbEEZZNS1_14partition_implILS5_9ELb0ES3_jPlS8_PNS0_10empty_typeENS0_5tupleIJS8_S9_EEENSB_IJS8_SA_EEENS0_18inequality_wrapperIZN2at6native12_GLOBAL__N_124unique_dim_cuda_templateIN3c104HalfEEESt5tupleIJNSF_6TensorESM_SM_EERKSM_lbbbEUlllE0_EEPmJS9_EEE10hipError_tPvRmT3_T4_T5_T6_T7_T9_mT8_P12ihipStream_tbDpT10_ENKUlT_T0_E_clISt17integral_constantIbLb1EES1C_EEDaS17_S18_EUlS17_E_NS1_11comp_targetILNS1_3genE5ELNS1_11target_archE942ELNS1_3gpuE9ELNS1_3repE0EEENS1_30default_config_static_selectorELNS0_4arch9wavefront6targetE1EEEvT1_,"axG",@progbits,_ZN7rocprim17ROCPRIM_400000_NS6detail17trampoline_kernelINS0_14default_configENS1_25partition_config_selectorILNS1_17partition_subalgoE9EllbEEZZNS1_14partition_implILS5_9ELb0ES3_jPlS8_PNS0_10empty_typeENS0_5tupleIJS8_S9_EEENSB_IJS8_SA_EEENS0_18inequality_wrapperIZN2at6native12_GLOBAL__N_124unique_dim_cuda_templateIN3c104HalfEEESt5tupleIJNSF_6TensorESM_SM_EERKSM_lbbbEUlllE0_EEPmJS9_EEE10hipError_tPvRmT3_T4_T5_T6_T7_T9_mT8_P12ihipStream_tbDpT10_ENKUlT_T0_E_clISt17integral_constantIbLb1EES1C_EEDaS17_S18_EUlS17_E_NS1_11comp_targetILNS1_3genE5ELNS1_11target_archE942ELNS1_3gpuE9ELNS1_3repE0EEENS1_30default_config_static_selectorELNS0_4arch9wavefront6targetE1EEEvT1_,comdat
	.globl	_ZN7rocprim17ROCPRIM_400000_NS6detail17trampoline_kernelINS0_14default_configENS1_25partition_config_selectorILNS1_17partition_subalgoE9EllbEEZZNS1_14partition_implILS5_9ELb0ES3_jPlS8_PNS0_10empty_typeENS0_5tupleIJS8_S9_EEENSB_IJS8_SA_EEENS0_18inequality_wrapperIZN2at6native12_GLOBAL__N_124unique_dim_cuda_templateIN3c104HalfEEESt5tupleIJNSF_6TensorESM_SM_EERKSM_lbbbEUlllE0_EEPmJS9_EEE10hipError_tPvRmT3_T4_T5_T6_T7_T9_mT8_P12ihipStream_tbDpT10_ENKUlT_T0_E_clISt17integral_constantIbLb1EES1C_EEDaS17_S18_EUlS17_E_NS1_11comp_targetILNS1_3genE5ELNS1_11target_archE942ELNS1_3gpuE9ELNS1_3repE0EEENS1_30default_config_static_selectorELNS0_4arch9wavefront6targetE1EEEvT1_ ; -- Begin function _ZN7rocprim17ROCPRIM_400000_NS6detail17trampoline_kernelINS0_14default_configENS1_25partition_config_selectorILNS1_17partition_subalgoE9EllbEEZZNS1_14partition_implILS5_9ELb0ES3_jPlS8_PNS0_10empty_typeENS0_5tupleIJS8_S9_EEENSB_IJS8_SA_EEENS0_18inequality_wrapperIZN2at6native12_GLOBAL__N_124unique_dim_cuda_templateIN3c104HalfEEESt5tupleIJNSF_6TensorESM_SM_EERKSM_lbbbEUlllE0_EEPmJS9_EEE10hipError_tPvRmT3_T4_T5_T6_T7_T9_mT8_P12ihipStream_tbDpT10_ENKUlT_T0_E_clISt17integral_constantIbLb1EES1C_EEDaS17_S18_EUlS17_E_NS1_11comp_targetILNS1_3genE5ELNS1_11target_archE942ELNS1_3gpuE9ELNS1_3repE0EEENS1_30default_config_static_selectorELNS0_4arch9wavefront6targetE1EEEvT1_
	.p2align	8
	.type	_ZN7rocprim17ROCPRIM_400000_NS6detail17trampoline_kernelINS0_14default_configENS1_25partition_config_selectorILNS1_17partition_subalgoE9EllbEEZZNS1_14partition_implILS5_9ELb0ES3_jPlS8_PNS0_10empty_typeENS0_5tupleIJS8_S9_EEENSB_IJS8_SA_EEENS0_18inequality_wrapperIZN2at6native12_GLOBAL__N_124unique_dim_cuda_templateIN3c104HalfEEESt5tupleIJNSF_6TensorESM_SM_EERKSM_lbbbEUlllE0_EEPmJS9_EEE10hipError_tPvRmT3_T4_T5_T6_T7_T9_mT8_P12ihipStream_tbDpT10_ENKUlT_T0_E_clISt17integral_constantIbLb1EES1C_EEDaS17_S18_EUlS17_E_NS1_11comp_targetILNS1_3genE5ELNS1_11target_archE942ELNS1_3gpuE9ELNS1_3repE0EEENS1_30default_config_static_selectorELNS0_4arch9wavefront6targetE1EEEvT1_,@function
_ZN7rocprim17ROCPRIM_400000_NS6detail17trampoline_kernelINS0_14default_configENS1_25partition_config_selectorILNS1_17partition_subalgoE9EllbEEZZNS1_14partition_implILS5_9ELb0ES3_jPlS8_PNS0_10empty_typeENS0_5tupleIJS8_S9_EEENSB_IJS8_SA_EEENS0_18inequality_wrapperIZN2at6native12_GLOBAL__N_124unique_dim_cuda_templateIN3c104HalfEEESt5tupleIJNSF_6TensorESM_SM_EERKSM_lbbbEUlllE0_EEPmJS9_EEE10hipError_tPvRmT3_T4_T5_T6_T7_T9_mT8_P12ihipStream_tbDpT10_ENKUlT_T0_E_clISt17integral_constantIbLb1EES1C_EEDaS17_S18_EUlS17_E_NS1_11comp_targetILNS1_3genE5ELNS1_11target_archE942ELNS1_3gpuE9ELNS1_3repE0EEENS1_30default_config_static_selectorELNS0_4arch9wavefront6targetE1EEEvT1_: ; @_ZN7rocprim17ROCPRIM_400000_NS6detail17trampoline_kernelINS0_14default_configENS1_25partition_config_selectorILNS1_17partition_subalgoE9EllbEEZZNS1_14partition_implILS5_9ELb0ES3_jPlS8_PNS0_10empty_typeENS0_5tupleIJS8_S9_EEENSB_IJS8_SA_EEENS0_18inequality_wrapperIZN2at6native12_GLOBAL__N_124unique_dim_cuda_templateIN3c104HalfEEESt5tupleIJNSF_6TensorESM_SM_EERKSM_lbbbEUlllE0_EEPmJS9_EEE10hipError_tPvRmT3_T4_T5_T6_T7_T9_mT8_P12ihipStream_tbDpT10_ENKUlT_T0_E_clISt17integral_constantIbLb1EES1C_EEDaS17_S18_EUlS17_E_NS1_11comp_targetILNS1_3genE5ELNS1_11target_archE942ELNS1_3gpuE9ELNS1_3repE0EEENS1_30default_config_static_selectorELNS0_4arch9wavefront6targetE1EEEvT1_
; %bb.0:
	.section	.rodata,"a",@progbits
	.p2align	6, 0x0
	.amdhsa_kernel _ZN7rocprim17ROCPRIM_400000_NS6detail17trampoline_kernelINS0_14default_configENS1_25partition_config_selectorILNS1_17partition_subalgoE9EllbEEZZNS1_14partition_implILS5_9ELb0ES3_jPlS8_PNS0_10empty_typeENS0_5tupleIJS8_S9_EEENSB_IJS8_SA_EEENS0_18inequality_wrapperIZN2at6native12_GLOBAL__N_124unique_dim_cuda_templateIN3c104HalfEEESt5tupleIJNSF_6TensorESM_SM_EERKSM_lbbbEUlllE0_EEPmJS9_EEE10hipError_tPvRmT3_T4_T5_T6_T7_T9_mT8_P12ihipStream_tbDpT10_ENKUlT_T0_E_clISt17integral_constantIbLb1EES1C_EEDaS17_S18_EUlS17_E_NS1_11comp_targetILNS1_3genE5ELNS1_11target_archE942ELNS1_3gpuE9ELNS1_3repE0EEENS1_30default_config_static_selectorELNS0_4arch9wavefront6targetE1EEEvT1_
		.amdhsa_group_segment_fixed_size 0
		.amdhsa_private_segment_fixed_size 0
		.amdhsa_kernarg_size 136
		.amdhsa_user_sgpr_count 6
		.amdhsa_user_sgpr_private_segment_buffer 1
		.amdhsa_user_sgpr_dispatch_ptr 0
		.amdhsa_user_sgpr_queue_ptr 0
		.amdhsa_user_sgpr_kernarg_segment_ptr 1
		.amdhsa_user_sgpr_dispatch_id 0
		.amdhsa_user_sgpr_flat_scratch_init 0
		.amdhsa_user_sgpr_kernarg_preload_length 0
		.amdhsa_user_sgpr_kernarg_preload_offset 0
		.amdhsa_user_sgpr_private_segment_size 0
		.amdhsa_uses_dynamic_stack 0
		.amdhsa_system_sgpr_private_segment_wavefront_offset 0
		.amdhsa_system_sgpr_workgroup_id_x 1
		.amdhsa_system_sgpr_workgroup_id_y 0
		.amdhsa_system_sgpr_workgroup_id_z 0
		.amdhsa_system_sgpr_workgroup_info 0
		.amdhsa_system_vgpr_workitem_id 0
		.amdhsa_next_free_vgpr 1
		.amdhsa_next_free_sgpr 0
		.amdhsa_accum_offset 4
		.amdhsa_reserve_vcc 0
		.amdhsa_reserve_flat_scratch 0
		.amdhsa_float_round_mode_32 0
		.amdhsa_float_round_mode_16_64 0
		.amdhsa_float_denorm_mode_32 3
		.amdhsa_float_denorm_mode_16_64 3
		.amdhsa_dx10_clamp 1
		.amdhsa_ieee_mode 1
		.amdhsa_fp16_overflow 0
		.amdhsa_tg_split 0
		.amdhsa_exception_fp_ieee_invalid_op 0
		.amdhsa_exception_fp_denorm_src 0
		.amdhsa_exception_fp_ieee_div_zero 0
		.amdhsa_exception_fp_ieee_overflow 0
		.amdhsa_exception_fp_ieee_underflow 0
		.amdhsa_exception_fp_ieee_inexact 0
		.amdhsa_exception_int_div_zero 0
	.end_amdhsa_kernel
	.section	.text._ZN7rocprim17ROCPRIM_400000_NS6detail17trampoline_kernelINS0_14default_configENS1_25partition_config_selectorILNS1_17partition_subalgoE9EllbEEZZNS1_14partition_implILS5_9ELb0ES3_jPlS8_PNS0_10empty_typeENS0_5tupleIJS8_S9_EEENSB_IJS8_SA_EEENS0_18inequality_wrapperIZN2at6native12_GLOBAL__N_124unique_dim_cuda_templateIN3c104HalfEEESt5tupleIJNSF_6TensorESM_SM_EERKSM_lbbbEUlllE0_EEPmJS9_EEE10hipError_tPvRmT3_T4_T5_T6_T7_T9_mT8_P12ihipStream_tbDpT10_ENKUlT_T0_E_clISt17integral_constantIbLb1EES1C_EEDaS17_S18_EUlS17_E_NS1_11comp_targetILNS1_3genE5ELNS1_11target_archE942ELNS1_3gpuE9ELNS1_3repE0EEENS1_30default_config_static_selectorELNS0_4arch9wavefront6targetE1EEEvT1_,"axG",@progbits,_ZN7rocprim17ROCPRIM_400000_NS6detail17trampoline_kernelINS0_14default_configENS1_25partition_config_selectorILNS1_17partition_subalgoE9EllbEEZZNS1_14partition_implILS5_9ELb0ES3_jPlS8_PNS0_10empty_typeENS0_5tupleIJS8_S9_EEENSB_IJS8_SA_EEENS0_18inequality_wrapperIZN2at6native12_GLOBAL__N_124unique_dim_cuda_templateIN3c104HalfEEESt5tupleIJNSF_6TensorESM_SM_EERKSM_lbbbEUlllE0_EEPmJS9_EEE10hipError_tPvRmT3_T4_T5_T6_T7_T9_mT8_P12ihipStream_tbDpT10_ENKUlT_T0_E_clISt17integral_constantIbLb1EES1C_EEDaS17_S18_EUlS17_E_NS1_11comp_targetILNS1_3genE5ELNS1_11target_archE942ELNS1_3gpuE9ELNS1_3repE0EEENS1_30default_config_static_selectorELNS0_4arch9wavefront6targetE1EEEvT1_,comdat
.Lfunc_end1336:
	.size	_ZN7rocprim17ROCPRIM_400000_NS6detail17trampoline_kernelINS0_14default_configENS1_25partition_config_selectorILNS1_17partition_subalgoE9EllbEEZZNS1_14partition_implILS5_9ELb0ES3_jPlS8_PNS0_10empty_typeENS0_5tupleIJS8_S9_EEENSB_IJS8_SA_EEENS0_18inequality_wrapperIZN2at6native12_GLOBAL__N_124unique_dim_cuda_templateIN3c104HalfEEESt5tupleIJNSF_6TensorESM_SM_EERKSM_lbbbEUlllE0_EEPmJS9_EEE10hipError_tPvRmT3_T4_T5_T6_T7_T9_mT8_P12ihipStream_tbDpT10_ENKUlT_T0_E_clISt17integral_constantIbLb1EES1C_EEDaS17_S18_EUlS17_E_NS1_11comp_targetILNS1_3genE5ELNS1_11target_archE942ELNS1_3gpuE9ELNS1_3repE0EEENS1_30default_config_static_selectorELNS0_4arch9wavefront6targetE1EEEvT1_, .Lfunc_end1336-_ZN7rocprim17ROCPRIM_400000_NS6detail17trampoline_kernelINS0_14default_configENS1_25partition_config_selectorILNS1_17partition_subalgoE9EllbEEZZNS1_14partition_implILS5_9ELb0ES3_jPlS8_PNS0_10empty_typeENS0_5tupleIJS8_S9_EEENSB_IJS8_SA_EEENS0_18inequality_wrapperIZN2at6native12_GLOBAL__N_124unique_dim_cuda_templateIN3c104HalfEEESt5tupleIJNSF_6TensorESM_SM_EERKSM_lbbbEUlllE0_EEPmJS9_EEE10hipError_tPvRmT3_T4_T5_T6_T7_T9_mT8_P12ihipStream_tbDpT10_ENKUlT_T0_E_clISt17integral_constantIbLb1EES1C_EEDaS17_S18_EUlS17_E_NS1_11comp_targetILNS1_3genE5ELNS1_11target_archE942ELNS1_3gpuE9ELNS1_3repE0EEENS1_30default_config_static_selectorELNS0_4arch9wavefront6targetE1EEEvT1_
                                        ; -- End function
	.section	.AMDGPU.csdata,"",@progbits
; Kernel info:
; codeLenInByte = 0
; NumSgprs: 4
; NumVgprs: 0
; NumAgprs: 0
; TotalNumVgprs: 0
; ScratchSize: 0
; MemoryBound: 0
; FloatMode: 240
; IeeeMode: 1
; LDSByteSize: 0 bytes/workgroup (compile time only)
; SGPRBlocks: 0
; VGPRBlocks: 0
; NumSGPRsForWavesPerEU: 4
; NumVGPRsForWavesPerEU: 1
; AccumOffset: 4
; Occupancy: 8
; WaveLimiterHint : 0
; COMPUTE_PGM_RSRC2:SCRATCH_EN: 0
; COMPUTE_PGM_RSRC2:USER_SGPR: 6
; COMPUTE_PGM_RSRC2:TRAP_HANDLER: 0
; COMPUTE_PGM_RSRC2:TGID_X_EN: 1
; COMPUTE_PGM_RSRC2:TGID_Y_EN: 0
; COMPUTE_PGM_RSRC2:TGID_Z_EN: 0
; COMPUTE_PGM_RSRC2:TIDIG_COMP_CNT: 0
; COMPUTE_PGM_RSRC3_GFX90A:ACCUM_OFFSET: 0
; COMPUTE_PGM_RSRC3_GFX90A:TG_SPLIT: 0
	.section	.text._ZN7rocprim17ROCPRIM_400000_NS6detail17trampoline_kernelINS0_14default_configENS1_25partition_config_selectorILNS1_17partition_subalgoE9EllbEEZZNS1_14partition_implILS5_9ELb0ES3_jPlS8_PNS0_10empty_typeENS0_5tupleIJS8_S9_EEENSB_IJS8_SA_EEENS0_18inequality_wrapperIZN2at6native12_GLOBAL__N_124unique_dim_cuda_templateIN3c104HalfEEESt5tupleIJNSF_6TensorESM_SM_EERKSM_lbbbEUlllE0_EEPmJS9_EEE10hipError_tPvRmT3_T4_T5_T6_T7_T9_mT8_P12ihipStream_tbDpT10_ENKUlT_T0_E_clISt17integral_constantIbLb1EES1C_EEDaS17_S18_EUlS17_E_NS1_11comp_targetILNS1_3genE4ELNS1_11target_archE910ELNS1_3gpuE8ELNS1_3repE0EEENS1_30default_config_static_selectorELNS0_4arch9wavefront6targetE1EEEvT1_,"axG",@progbits,_ZN7rocprim17ROCPRIM_400000_NS6detail17trampoline_kernelINS0_14default_configENS1_25partition_config_selectorILNS1_17partition_subalgoE9EllbEEZZNS1_14partition_implILS5_9ELb0ES3_jPlS8_PNS0_10empty_typeENS0_5tupleIJS8_S9_EEENSB_IJS8_SA_EEENS0_18inequality_wrapperIZN2at6native12_GLOBAL__N_124unique_dim_cuda_templateIN3c104HalfEEESt5tupleIJNSF_6TensorESM_SM_EERKSM_lbbbEUlllE0_EEPmJS9_EEE10hipError_tPvRmT3_T4_T5_T6_T7_T9_mT8_P12ihipStream_tbDpT10_ENKUlT_T0_E_clISt17integral_constantIbLb1EES1C_EEDaS17_S18_EUlS17_E_NS1_11comp_targetILNS1_3genE4ELNS1_11target_archE910ELNS1_3gpuE8ELNS1_3repE0EEENS1_30default_config_static_selectorELNS0_4arch9wavefront6targetE1EEEvT1_,comdat
	.globl	_ZN7rocprim17ROCPRIM_400000_NS6detail17trampoline_kernelINS0_14default_configENS1_25partition_config_selectorILNS1_17partition_subalgoE9EllbEEZZNS1_14partition_implILS5_9ELb0ES3_jPlS8_PNS0_10empty_typeENS0_5tupleIJS8_S9_EEENSB_IJS8_SA_EEENS0_18inequality_wrapperIZN2at6native12_GLOBAL__N_124unique_dim_cuda_templateIN3c104HalfEEESt5tupleIJNSF_6TensorESM_SM_EERKSM_lbbbEUlllE0_EEPmJS9_EEE10hipError_tPvRmT3_T4_T5_T6_T7_T9_mT8_P12ihipStream_tbDpT10_ENKUlT_T0_E_clISt17integral_constantIbLb1EES1C_EEDaS17_S18_EUlS17_E_NS1_11comp_targetILNS1_3genE4ELNS1_11target_archE910ELNS1_3gpuE8ELNS1_3repE0EEENS1_30default_config_static_selectorELNS0_4arch9wavefront6targetE1EEEvT1_ ; -- Begin function _ZN7rocprim17ROCPRIM_400000_NS6detail17trampoline_kernelINS0_14default_configENS1_25partition_config_selectorILNS1_17partition_subalgoE9EllbEEZZNS1_14partition_implILS5_9ELb0ES3_jPlS8_PNS0_10empty_typeENS0_5tupleIJS8_S9_EEENSB_IJS8_SA_EEENS0_18inequality_wrapperIZN2at6native12_GLOBAL__N_124unique_dim_cuda_templateIN3c104HalfEEESt5tupleIJNSF_6TensorESM_SM_EERKSM_lbbbEUlllE0_EEPmJS9_EEE10hipError_tPvRmT3_T4_T5_T6_T7_T9_mT8_P12ihipStream_tbDpT10_ENKUlT_T0_E_clISt17integral_constantIbLb1EES1C_EEDaS17_S18_EUlS17_E_NS1_11comp_targetILNS1_3genE4ELNS1_11target_archE910ELNS1_3gpuE8ELNS1_3repE0EEENS1_30default_config_static_selectorELNS0_4arch9wavefront6targetE1EEEvT1_
	.p2align	8
	.type	_ZN7rocprim17ROCPRIM_400000_NS6detail17trampoline_kernelINS0_14default_configENS1_25partition_config_selectorILNS1_17partition_subalgoE9EllbEEZZNS1_14partition_implILS5_9ELb0ES3_jPlS8_PNS0_10empty_typeENS0_5tupleIJS8_S9_EEENSB_IJS8_SA_EEENS0_18inequality_wrapperIZN2at6native12_GLOBAL__N_124unique_dim_cuda_templateIN3c104HalfEEESt5tupleIJNSF_6TensorESM_SM_EERKSM_lbbbEUlllE0_EEPmJS9_EEE10hipError_tPvRmT3_T4_T5_T6_T7_T9_mT8_P12ihipStream_tbDpT10_ENKUlT_T0_E_clISt17integral_constantIbLb1EES1C_EEDaS17_S18_EUlS17_E_NS1_11comp_targetILNS1_3genE4ELNS1_11target_archE910ELNS1_3gpuE8ELNS1_3repE0EEENS1_30default_config_static_selectorELNS0_4arch9wavefront6targetE1EEEvT1_,@function
_ZN7rocprim17ROCPRIM_400000_NS6detail17trampoline_kernelINS0_14default_configENS1_25partition_config_selectorILNS1_17partition_subalgoE9EllbEEZZNS1_14partition_implILS5_9ELb0ES3_jPlS8_PNS0_10empty_typeENS0_5tupleIJS8_S9_EEENSB_IJS8_SA_EEENS0_18inequality_wrapperIZN2at6native12_GLOBAL__N_124unique_dim_cuda_templateIN3c104HalfEEESt5tupleIJNSF_6TensorESM_SM_EERKSM_lbbbEUlllE0_EEPmJS9_EEE10hipError_tPvRmT3_T4_T5_T6_T7_T9_mT8_P12ihipStream_tbDpT10_ENKUlT_T0_E_clISt17integral_constantIbLb1EES1C_EEDaS17_S18_EUlS17_E_NS1_11comp_targetILNS1_3genE4ELNS1_11target_archE910ELNS1_3gpuE8ELNS1_3repE0EEENS1_30default_config_static_selectorELNS0_4arch9wavefront6targetE1EEEvT1_: ; @_ZN7rocprim17ROCPRIM_400000_NS6detail17trampoline_kernelINS0_14default_configENS1_25partition_config_selectorILNS1_17partition_subalgoE9EllbEEZZNS1_14partition_implILS5_9ELb0ES3_jPlS8_PNS0_10empty_typeENS0_5tupleIJS8_S9_EEENSB_IJS8_SA_EEENS0_18inequality_wrapperIZN2at6native12_GLOBAL__N_124unique_dim_cuda_templateIN3c104HalfEEESt5tupleIJNSF_6TensorESM_SM_EERKSM_lbbbEUlllE0_EEPmJS9_EEE10hipError_tPvRmT3_T4_T5_T6_T7_T9_mT8_P12ihipStream_tbDpT10_ENKUlT_T0_E_clISt17integral_constantIbLb1EES1C_EEDaS17_S18_EUlS17_E_NS1_11comp_targetILNS1_3genE4ELNS1_11target_archE910ELNS1_3gpuE8ELNS1_3repE0EEENS1_30default_config_static_selectorELNS0_4arch9wavefront6targetE1EEEvT1_
; %bb.0:
	s_load_dwordx4 s[8:11], s[4:5], 0x8
	s_load_dwordx2 s[14:15], s[4:5], 0x18
	s_load_dwordx8 s[20:27], s[4:5], 0x40
	s_load_dwordx4 s[16:19], s[4:5], 0x60
	v_cmp_ne_u32_e64 s[2:3], 0, v0
	v_cmp_eq_u32_e64 s[0:1], 0, v0
	s_and_saveexec_b64 s[6:7], s[0:1]
	s_cbranch_execz .LBB1337_4
; %bb.1:
	s_mov_b64 s[28:29], exec
	v_mbcnt_lo_u32_b32 v1, s28, 0
	v_mbcnt_hi_u32_b32 v1, s29, v1
	v_cmp_eq_u32_e32 vcc, 0, v1
                                        ; implicit-def: $vgpr2
	s_and_saveexec_b64 s[12:13], vcc
	s_cbranch_execz .LBB1337_3
; %bb.2:
	s_load_dwordx2 s[30:31], s[4:5], 0x78
	s_bcnt1_i32_b64 s28, s[28:29]
	v_mov_b32_e32 v2, 0
	v_mov_b32_e32 v3, s28
	s_waitcnt lgkmcnt(0)
	global_atomic_add v2, v2, v3, s[30:31] glc
.LBB1337_3:
	s_or_b64 exec, exec, s[12:13]
	s_waitcnt vmcnt(0)
	v_readfirstlane_b32 s12, v2
	v_add_u32_e32 v1, s12, v1
	v_mov_b32_e32 v2, 0
	ds_write_b32 v2, v1
.LBB1337_4:
	s_or_b64 exec, exec, s[6:7]
	v_mov_b32_e32 v1, 0
	s_load_dwordx4 s[28:31], s[4:5], 0x28
	s_load_dword s6, s[4:5], 0x70
	s_waitcnt lgkmcnt(0)
	s_barrier
	ds_read_b32 v6, v1
	s_waitcnt lgkmcnt(0)
	s_barrier
	global_load_dwordx2 v[2:3], v1, s[22:23]
	s_lshl_b64 s[36:37], s[10:11], 3
	s_add_u32 s22, s8, s36
	s_addc_u32 s23, s9, s37
	s_add_i32 s12, s6, -1
	s_lshl_b32 s8, s6, 9
	s_lshl_b32 s6, s12, 9
	s_add_i32 s6, s10, s6
	v_readfirstlane_b32 s33, v6
	s_sub_i32 s48, s24, s6
	s_lshl_b32 s6, s33, 9
	s_add_u32 s8, s10, s8
	s_addc_u32 s9, s11, 0
	v_mov_b32_e32 v4, s24
	v_mov_b32_e32 v5, s25
	s_cmp_eq_u32 s33, s12
	v_cmp_ge_u64_e32 vcc, s[8:9], v[4:5]
	s_cselect_b64 s[24:25], -1, 0
	s_mov_b32 s7, 0
	s_and_b64 s[12:13], vcc, s[24:25]
	s_lshl_b64 s[8:9], s[6:7], 3
	s_xor_b64 s[34:35], s[12:13], -1
	s_add_u32 s6, s22, s8
	s_mov_b64 s[4:5], -1
	v_lshrrev_b32_e32 v18, 2, v0
	s_addc_u32 s7, s23, s9
	s_and_b64 vcc, exec, s[34:35]
	s_waitcnt vmcnt(0)
	v_readfirstlane_b32 s22, v2
	v_readfirstlane_b32 s23, v3
	s_cbranch_vccz .LBB1337_6
; %bb.5:
	v_lshlrev_b32_e32 v1, 3, v0
	global_load_dwordx2 v[2:3], v1, s[6:7]
	global_load_dwordx2 v[4:5], v1, s[6:7] offset:1024
	global_load_dwordx2 v[6:7], v1, s[6:7] offset:2048
	;; [unrolled: 1-line block ×3, first 2 shown]
	v_or_b32_e32 v11, 0x80, v0
	v_or_b32_e32 v12, 0x100, v0
	;; [unrolled: 1-line block ×3, first 2 shown]
	v_and_b32_e32 v10, 24, v18
	v_lshrrev_b32_e32 v11, 2, v11
	v_lshrrev_b32_e32 v12, 2, v12
	;; [unrolled: 1-line block ×3, first 2 shown]
	v_add_u32_e32 v10, v10, v1
	v_and_b32_e32 v11, 56, v11
	v_and_b32_e32 v12, 0x58, v12
	;; [unrolled: 1-line block ×3, first 2 shown]
	v_add_u32_e32 v11, v11, v1
	v_add_u32_e32 v12, v12, v1
	;; [unrolled: 1-line block ×3, first 2 shown]
	s_mov_b64 s[4:5], 0
	s_waitcnt vmcnt(3)
	ds_write_b64 v10, v[2:3]
	s_waitcnt vmcnt(2)
	ds_write_b64 v11, v[4:5] offset:1024
	s_waitcnt vmcnt(1)
	ds_write_b64 v12, v[6:7] offset:2048
	;; [unrolled: 2-line block ×3, first 2 shown]
	s_waitcnt lgkmcnt(0)
	s_barrier
.LBB1337_6:
	s_andn2_b64 vcc, exec, s[4:5]
	v_cmp_gt_u32_e64 s[4:5], s48, v0
	s_cbranch_vccnz .LBB1337_16
; %bb.7:
                                        ; implicit-def: $vgpr2_vgpr3_vgpr4_vgpr5_vgpr6_vgpr7_vgpr8_vgpr9
	s_and_saveexec_b64 s[38:39], s[4:5]
	s_cbranch_execz .LBB1337_9
; %bb.8:
	v_lshlrev_b32_e32 v1, 3, v0
	global_load_dwordx2 v[2:3], v1, s[6:7]
.LBB1337_9:
	s_or_b64 exec, exec, s[38:39]
	v_or_b32_e32 v1, 0x80, v0
	v_cmp_gt_u32_e32 vcc, s48, v1
	s_and_saveexec_b64 s[4:5], vcc
	s_cbranch_execz .LBB1337_11
; %bb.10:
	v_lshlrev_b32_e32 v4, 3, v0
	global_load_dwordx2 v[4:5], v4, s[6:7] offset:1024
.LBB1337_11:
	s_or_b64 exec, exec, s[4:5]
	v_or_b32_e32 v10, 0x100, v0
	v_cmp_gt_u32_e32 vcc, s48, v10
	s_and_saveexec_b64 s[4:5], vcc
	s_cbranch_execz .LBB1337_13
; %bb.12:
	v_lshlrev_b32_e32 v6, 3, v0
	global_load_dwordx2 v[6:7], v6, s[6:7] offset:2048
.LBB1337_13:
	;; [unrolled: 9-line block ×3, first 2 shown]
	s_or_b64 exec, exec, s[4:5]
	v_lshrrev_b32_e32 v1, 2, v1
	v_lshlrev_b32_e32 v13, 3, v0
	v_and_b32_e32 v1, 56, v1
	v_add_u32_e32 v1, v1, v13
	s_waitcnt vmcnt(0)
	ds_write_b64 v1, v[4:5] offset:1024
	v_lshrrev_b32_e32 v1, 2, v10
	v_and_b32_e32 v1, 0x78, v1
	v_add_u32_e32 v1, v1, v13
	ds_write_b64 v1, v[6:7] offset:2048
	v_lshrrev_b32_e32 v1, 2, v11
	v_and_b32_e32 v12, 24, v18
	v_and_b32_e32 v1, 0x78, v1
	v_add_u32_e32 v12, v12, v13
	v_add_u32_e32 v1, v1, v13
	ds_write_b64 v12, v[2:3]
	ds_write_b64 v1, v[8:9] offset:3072
	s_waitcnt lgkmcnt(0)
	s_barrier
.LBB1337_16:
	v_lshlrev_b32_e32 v1, 2, v0
	v_lshrrev_b32_e32 v2, 3, v0
	v_add_lshl_u32 v19, v2, v1, 3
	ds_read2_b64 v[14:17], v19 offset1:1
	ds_read2_b64 v[10:13], v19 offset0:2 offset1:3
	s_add_u32 s4, s14, s36
	s_addc_u32 s5, s15, s37
	s_add_u32 s4, s4, s8
	s_addc_u32 s5, s5, s9
	s_mov_b64 s[8:9], -1
	s_and_b64 vcc, exec, s[34:35]
	s_waitcnt lgkmcnt(0)
	s_barrier
	s_cbranch_vccz .LBB1337_18
; %bb.17:
	v_lshlrev_b32_e32 v20, 3, v0
	global_load_dwordx2 v[2:3], v20, s[4:5]
	global_load_dwordx2 v[4:5], v20, s[4:5] offset:1024
	global_load_dwordx2 v[6:7], v20, s[4:5] offset:2048
	;; [unrolled: 1-line block ×3, first 2 shown]
	v_or_b32_e32 v22, 0x80, v0
	v_or_b32_e32 v23, 0x100, v0
	;; [unrolled: 1-line block ×3, first 2 shown]
	v_and_b32_e32 v21, 24, v18
	v_lshrrev_b32_e32 v22, 2, v22
	v_lshrrev_b32_e32 v23, 2, v23
	;; [unrolled: 1-line block ×3, first 2 shown]
	v_add_u32_e32 v21, v21, v20
	v_and_b32_e32 v22, 56, v22
	v_and_b32_e32 v23, 0x58, v23
	;; [unrolled: 1-line block ×3, first 2 shown]
	v_add_u32_e32 v22, v22, v20
	v_add_u32_e32 v23, v23, v20
	;; [unrolled: 1-line block ×3, first 2 shown]
	s_mov_b64 s[8:9], 0
	s_waitcnt vmcnt(3)
	ds_write_b64 v21, v[2:3]
	s_waitcnt vmcnt(2)
	ds_write_b64 v22, v[4:5] offset:1024
	s_waitcnt vmcnt(1)
	ds_write_b64 v23, v[6:7] offset:2048
	;; [unrolled: 2-line block ×3, first 2 shown]
	s_waitcnt lgkmcnt(0)
	s_barrier
.LBB1337_18:
	s_andn2_b64 vcc, exec, s[8:9]
	s_cbranch_vccnz .LBB1337_28
; %bb.19:
	v_cmp_gt_u32_e32 vcc, s48, v0
                                        ; implicit-def: $vgpr2_vgpr3
	s_and_saveexec_b64 s[8:9], vcc
	s_cbranch_execz .LBB1337_21
; %bb.20:
	v_lshlrev_b32_e32 v2, 3, v0
	global_load_dwordx2 v[2:3], v2, s[4:5]
.LBB1337_21:
	s_or_b64 exec, exec, s[8:9]
	v_or_b32_e32 v20, 0x80, v0
	v_cmp_gt_u32_e32 vcc, s48, v20
                                        ; implicit-def: $vgpr4_vgpr5
	s_and_saveexec_b64 s[8:9], vcc
	s_cbranch_execz .LBB1337_23
; %bb.22:
	v_lshlrev_b32_e32 v4, 3, v0
	global_load_dwordx2 v[4:5], v4, s[4:5] offset:1024
.LBB1337_23:
	s_or_b64 exec, exec, s[8:9]
	v_or_b32_e32 v21, 0x100, v0
	v_cmp_gt_u32_e32 vcc, s48, v21
                                        ; implicit-def: $vgpr6_vgpr7
	s_and_saveexec_b64 s[8:9], vcc
	s_cbranch_execz .LBB1337_25
; %bb.24:
	v_lshlrev_b32_e32 v6, 3, v0
	global_load_dwordx2 v[6:7], v6, s[4:5] offset:2048
.LBB1337_25:
	s_or_b64 exec, exec, s[8:9]
	v_or_b32_e32 v22, 0x180, v0
	v_cmp_gt_u32_e32 vcc, s48, v22
                                        ; implicit-def: $vgpr8_vgpr9
	s_and_saveexec_b64 s[8:9], vcc
	s_cbranch_execz .LBB1337_27
; %bb.26:
	v_lshlrev_b32_e32 v8, 3, v0
	global_load_dwordx2 v[8:9], v8, s[4:5] offset:3072
.LBB1337_27:
	s_or_b64 exec, exec, s[8:9]
	v_and_b32_e32 v18, 24, v18
	v_lshlrev_b32_e32 v23, 3, v0
	v_add_u32_e32 v18, v18, v23
	s_waitcnt vmcnt(0)
	ds_write_b64 v18, v[2:3]
	v_lshrrev_b32_e32 v2, 2, v20
	v_and_b32_e32 v2, 56, v2
	v_add_u32_e32 v2, v2, v23
	ds_write_b64 v2, v[4:5] offset:1024
	v_lshrrev_b32_e32 v2, 2, v21
	v_and_b32_e32 v2, 0x78, v2
	v_add_u32_e32 v2, v2, v23
	ds_write_b64 v2, v[6:7] offset:2048
	;; [unrolled: 4-line block ×3, first 2 shown]
	s_waitcnt lgkmcnt(0)
	s_barrier
.LBB1337_28:
	ds_read2_b64 v[6:9], v19 offset1:1
	ds_read2_b64 v[2:5], v19 offset0:2 offset1:3
	s_cmp_lg_u32 s33, 0
	s_cselect_b64 s[36:37], -1, 0
	s_cmp_lg_u64 s[10:11], 0
	s_cselect_b64 s[4:5], -1, 0
	s_or_b64 s[4:5], s[4:5], s[36:37]
	s_mov_b64 s[14:15], 0
	s_and_b64 vcc, exec, s[4:5]
	v_cmp_gt_i64_e64 s[4:5], s[26:27], 0
	s_waitcnt lgkmcnt(0)
	s_barrier
	s_cbranch_vccz .LBB1337_37
; %bb.29:
	v_mov_b32_e32 v18, 0
	global_load_dwordx2 v[18:19], v18, s[6:7] offset:-8
	v_cndmask_b32_e64 v20, 0, 1, s[4:5]
	v_lshlrev_b32_e32 v29, 3, v0
	s_mov_b64 s[10:11], 0
	s_and_b64 vcc, exec, s[34:35]
	v_cmp_ne_u32_e64 s[4:5], 1, v20
	ds_write_b64 v29, v[12:13]
	s_cbranch_vccz .LBB1337_38
; %bb.30:
	v_mul_lo_u32 v22, v11, s26
	v_mul_lo_u32 v23, v10, s27
	v_mad_u64_u32 v[20:21], s[6:7], v10, s26, 0
	v_add3_u32 v21, v21, v23, v22
	s_and_b64 vcc, exec, s[4:5]
	v_lshlrev_b64 v[20:21], 1, v[20:21]
	s_cbranch_vccnz .LBB1337_41
; %bb.31:
	v_mul_lo_u32 v24, v13, s26
	v_mul_lo_u32 v25, v12, s27
	v_mad_u64_u32 v[22:23], s[6:7], v12, s26, 0
	v_add3_u32 v23, v23, v25, v24
	v_mov_b32_e32 v25, s17
	v_add_co_u32_e32 v24, vcc, s16, v20
	v_addc_co_u32_e64 v25, s[6:7], v25, v21, vcc
	v_lshlrev_b64 v[22:23], 1, v[22:23]
	v_mov_b32_e32 v27, s17
	v_add_co_u32_e64 v26, s[6:7], s16, v22
	v_addc_co_u32_e64 v27, s[8:9], v27, v23, s[6:7]
	global_load_ushort v22, v[24:25], off
	global_load_ushort v28, v[26:27], off
	s_mov_b64 s[10:11], -1
	s_waitcnt vmcnt(0)
	v_cmp_eq_f16_e64 s[8:9], v22, v28
	s_and_saveexec_b64 s[14:15], s[8:9]
	s_cbranch_execz .LBB1337_40
; %bb.32:
	v_mov_b32_e32 v22, s17
	v_addc_co_u32_e64 v23, s[6:7], v23, v22, s[6:7]
	v_add_co_u32_e64 v22, s[6:7], 2, v26
	v_mov_b32_e32 v25, s17
	v_addc_co_u32_e64 v23, s[6:7], 0, v23, s[6:7]
	v_addc_co_u32_e32 v25, vcc, v21, v25, vcc
	v_add_co_u32_e32 v24, vcc, 2, v24
	s_add_u32 s6, s26, -1
	v_addc_co_u32_e32 v25, vcc, 0, v25, vcc
	s_addc_u32 s7, s27, -1
	s_mov_b64 s[8:9], 0
	s_mov_b64 s[38:39], 0
                                        ; implicit-def: $sgpr10_sgpr11
	s_branch .LBB1337_35
.LBB1337_33:                            ;   in Loop: Header=BB1337_35 Depth=1
	global_load_ushort v26, v[24:25], off
	global_load_ushort v27, v[22:23], off
	v_add_co_u32_e32 v22, vcc, 2, v22
	v_addc_co_u32_e32 v23, vcc, 0, v23, vcc
	v_add_co_u32_e32 v24, vcc, 2, v24
	v_addc_co_u32_e32 v25, vcc, 0, v25, vcc
	s_add_u32 s38, s38, 1
	s_addc_u32 s39, s39, 0
	s_andn2_b64 s[10:11], s[10:11], exec
	s_waitcnt vmcnt(0)
	v_cmp_neq_f16_e32 vcc, v26, v27
	s_and_b64 s[40:41], vcc, exec
	s_or_b64 s[10:11], s[10:11], s[40:41]
.LBB1337_34:                            ;   in Loop: Header=BB1337_35 Depth=1
	s_and_b64 s[40:41], exec, s[10:11]
	s_or_b64 s[8:9], s[40:41], s[8:9]
	v_pk_mov_b32 v[26:27], s[38:39], s[38:39] op_sel:[0,1]
	s_andn2_b64 exec, exec, s[8:9]
	s_cbranch_execz .LBB1337_39
.LBB1337_35:                            ; =>This Inner Loop Header: Depth=1
	s_or_b64 s[10:11], s[10:11], exec
	s_cmp_eq_u64 s[6:7], s[38:39]
	s_cbranch_scc0 .LBB1337_33
; %bb.36:                               ;   in Loop: Header=BB1337_35 Depth=1
                                        ; implicit-def: $vgpr22_vgpr23
                                        ; implicit-def: $vgpr24_vgpr25
	s_mov_b64 s[38:39], s[26:27]
	s_branch .LBB1337_34
.LBB1337_37:
                                        ; implicit-def: $sgpr38_sgpr39
                                        ; implicit-def: $vgpr28
	s_branch .LBB1337_119
.LBB1337_38:
                                        ; implicit-def: $sgpr38_sgpr39
                                        ; implicit-def: $vgpr28
	s_cbranch_execnz .LBB1337_71
	s_branch .LBB1337_118
.LBB1337_39:
	s_or_b64 exec, exec, s[8:9]
	v_cmp_gt_i64_e32 vcc, s[26:27], v[26:27]
	s_orn2_b64 s[10:11], vcc, exec
.LBB1337_40:
	s_or_b64 exec, exec, s[14:15]
.LBB1337_41:
	v_mul_lo_u32 v24, v17, s26
	v_mul_lo_u32 v25, v16, s27
	v_mad_u64_u32 v[22:23], s[6:7], v16, s26, 0
	v_add3_u32 v23, v23, v25, v24
	s_mov_b64 s[14:15], 0
	s_and_b64 vcc, exec, s[4:5]
	v_lshlrev_b64 v[22:23], 1, v[22:23]
	s_mov_b64 s[38:39], 0
	s_cbranch_vccnz .LBB1337_50
; %bb.42:
	v_mov_b32_e32 v25, s17
	v_add_co_u32_e32 v24, vcc, s16, v22
	v_addc_co_u32_e64 v25, s[6:7], v25, v23, vcc
	v_mov_b32_e32 v27, s17
	v_add_co_u32_e64 v26, s[6:7], s16, v20
	v_addc_co_u32_e64 v27, s[8:9], v27, v21, s[6:7]
	global_load_ushort v20, v[24:25], off
	global_load_ushort v28, v[26:27], off
	s_mov_b64 s[38:39], -1
	s_waitcnt vmcnt(0)
	v_cmp_eq_f16_e64 s[8:9], v20, v28
	s_and_saveexec_b64 s[40:41], s[8:9]
	s_cbranch_execz .LBB1337_49
; %bb.43:
	v_mov_b32_e32 v20, s17
	v_addc_co_u32_e64 v21, s[6:7], v21, v20, s[6:7]
	v_add_co_u32_e64 v20, s[6:7], 2, v26
	v_mov_b32_e32 v25, s17
	v_addc_co_u32_e64 v21, s[6:7], 0, v21, s[6:7]
	v_addc_co_u32_e32 v25, vcc, v23, v25, vcc
	v_add_co_u32_e32 v24, vcc, 2, v24
	s_add_u32 s6, s26, -1
	v_addc_co_u32_e32 v25, vcc, 0, v25, vcc
	s_addc_u32 s7, s27, -1
	s_mov_b64 s[8:9], 0
	s_mov_b64 s[42:43], 0
                                        ; implicit-def: $sgpr38_sgpr39
	s_branch .LBB1337_46
.LBB1337_44:                            ;   in Loop: Header=BB1337_46 Depth=1
	global_load_ushort v26, v[24:25], off
	global_load_ushort v27, v[20:21], off
	v_add_co_u32_e32 v20, vcc, 2, v20
	v_addc_co_u32_e32 v21, vcc, 0, v21, vcc
	v_add_co_u32_e32 v24, vcc, 2, v24
	v_addc_co_u32_e32 v25, vcc, 0, v25, vcc
	s_add_u32 s42, s42, 1
	s_addc_u32 s43, s43, 0
	s_andn2_b64 s[38:39], s[38:39], exec
	s_waitcnt vmcnt(0)
	v_cmp_neq_f16_e32 vcc, v26, v27
	s_and_b64 s[44:45], vcc, exec
	s_or_b64 s[38:39], s[38:39], s[44:45]
.LBB1337_45:                            ;   in Loop: Header=BB1337_46 Depth=1
	s_and_b64 s[44:45], exec, s[38:39]
	s_or_b64 s[8:9], s[44:45], s[8:9]
	v_pk_mov_b32 v[26:27], s[42:43], s[42:43] op_sel:[0,1]
	s_andn2_b64 exec, exec, s[8:9]
	s_cbranch_execz .LBB1337_48
.LBB1337_46:                            ; =>This Inner Loop Header: Depth=1
	s_or_b64 s[38:39], s[38:39], exec
	s_cmp_eq_u64 s[6:7], s[42:43]
	s_cbranch_scc0 .LBB1337_44
; %bb.47:                               ;   in Loop: Header=BB1337_46 Depth=1
                                        ; implicit-def: $vgpr20_vgpr21
                                        ; implicit-def: $vgpr24_vgpr25
	s_mov_b64 s[42:43], s[26:27]
	s_branch .LBB1337_45
.LBB1337_48:
	s_or_b64 exec, exec, s[8:9]
	v_cmp_gt_i64_e32 vcc, s[26:27], v[26:27]
	s_orn2_b64 s[38:39], vcc, exec
.LBB1337_49:
	s_or_b64 exec, exec, s[40:41]
.LBB1337_50:
	v_mul_lo_u32 v24, v15, s26
	v_mul_lo_u32 v25, v14, s27
	v_mad_u64_u32 v[20:21], s[6:7], v14, s26, 0
	v_add3_u32 v21, v21, v25, v24
	s_and_b64 vcc, exec, s[4:5]
	v_lshlrev_b64 v[20:21], 1, v[20:21]
	s_cbranch_vccnz .LBB1337_59
; %bb.51:
	v_mov_b32_e32 v25, s17
	v_add_co_u32_e32 v24, vcc, s16, v20
	v_addc_co_u32_e64 v25, s[6:7], v25, v21, vcc
	v_mov_b32_e32 v27, s17
	v_add_co_u32_e64 v26, s[6:7], s16, v22
	v_addc_co_u32_e64 v27, s[8:9], v27, v23, s[6:7]
	global_load_ushort v22, v[24:25], off
	global_load_ushort v28, v[26:27], off
	s_mov_b64 s[14:15], -1
	s_waitcnt vmcnt(0)
	v_cmp_eq_f16_e64 s[8:9], v22, v28
	s_and_saveexec_b64 s[40:41], s[8:9]
	s_cbranch_execz .LBB1337_58
; %bb.52:
	v_mov_b32_e32 v22, s17
	v_addc_co_u32_e64 v23, s[6:7], v23, v22, s[6:7]
	v_add_co_u32_e64 v22, s[6:7], 2, v26
	v_mov_b32_e32 v25, s17
	v_addc_co_u32_e64 v23, s[6:7], 0, v23, s[6:7]
	v_addc_co_u32_e32 v25, vcc, v21, v25, vcc
	v_add_co_u32_e32 v24, vcc, 2, v24
	s_add_u32 s6, s26, -1
	v_addc_co_u32_e32 v25, vcc, 0, v25, vcc
	s_addc_u32 s7, s27, -1
	s_mov_b64 s[8:9], 0
	s_mov_b64 s[42:43], 0
                                        ; implicit-def: $sgpr14_sgpr15
	s_branch .LBB1337_55
.LBB1337_53:                            ;   in Loop: Header=BB1337_55 Depth=1
	global_load_ushort v26, v[24:25], off
	global_load_ushort v27, v[22:23], off
	v_add_co_u32_e32 v22, vcc, 2, v22
	v_addc_co_u32_e32 v23, vcc, 0, v23, vcc
	v_add_co_u32_e32 v24, vcc, 2, v24
	v_addc_co_u32_e32 v25, vcc, 0, v25, vcc
	s_add_u32 s42, s42, 1
	s_addc_u32 s43, s43, 0
	s_andn2_b64 s[14:15], s[14:15], exec
	s_waitcnt vmcnt(0)
	v_cmp_neq_f16_e32 vcc, v26, v27
	s_and_b64 s[44:45], vcc, exec
	s_or_b64 s[14:15], s[14:15], s[44:45]
.LBB1337_54:                            ;   in Loop: Header=BB1337_55 Depth=1
	s_and_b64 s[44:45], exec, s[14:15]
	s_or_b64 s[8:9], s[44:45], s[8:9]
	v_pk_mov_b32 v[26:27], s[42:43], s[42:43] op_sel:[0,1]
	s_andn2_b64 exec, exec, s[8:9]
	s_cbranch_execz .LBB1337_57
.LBB1337_55:                            ; =>This Inner Loop Header: Depth=1
	s_or_b64 s[14:15], s[14:15], exec
	s_cmp_eq_u64 s[6:7], s[42:43]
	s_cbranch_scc0 .LBB1337_53
; %bb.56:                               ;   in Loop: Header=BB1337_55 Depth=1
                                        ; implicit-def: $vgpr22_vgpr23
                                        ; implicit-def: $vgpr24_vgpr25
	s_mov_b64 s[42:43], s[26:27]
	s_branch .LBB1337_54
.LBB1337_57:
	s_or_b64 exec, exec, s[8:9]
	v_cmp_gt_i64_e32 vcc, s[26:27], v[26:27]
	s_orn2_b64 s[14:15], vcc, exec
.LBB1337_58:
	s_or_b64 exec, exec, s[40:41]
.LBB1337_59:
	s_waitcnt vmcnt(0)
	v_pk_mov_b32 v[22:23], v[18:19], v[18:19] op_sel:[0,1]
	s_waitcnt lgkmcnt(0)
	s_barrier
	s_and_saveexec_b64 s[6:7], s[2:3]
	s_cbranch_execz .LBB1337_61
; %bb.60:
	v_add_u32_e32 v22, -8, v29
	ds_read_b64 v[22:23], v22
.LBB1337_61:
	s_or_b64 exec, exec, s[6:7]
	v_cndmask_b32_e64 v25, 0, 1, s[10:11]
	v_cndmask_b32_e64 v24, 0, 1, s[38:39]
	;; [unrolled: 1-line block ×3, first 2 shown]
	v_lshlrev_b16_e32 v25, 8, v25
	v_lshlrev_b16_e32 v28, 8, v26
	v_or_b32_sdwa v30, v24, v25 dst_sel:WORD_1 dst_unused:UNUSED_PAD src0_sel:DWORD src1_sel:DWORD
	s_mov_b64 s[10:11], 0
	s_and_b64 vcc, exec, s[4:5]
	s_mov_b64 s[38:39], 0
	s_cbranch_vccnz .LBB1337_70
; %bb.62:
	s_waitcnt lgkmcnt(0)
	v_mul_lo_u32 v24, v23, s26
	v_mul_lo_u32 v25, v22, s27
	v_mad_u64_u32 v[22:23], s[6:7], v22, s26, 0
	v_add3_u32 v23, v23, v25, v24
	v_lshlrev_b64 v[22:23], 1, v[22:23]
	v_mov_b32_e32 v25, s17
	v_add_co_u32_e32 v24, vcc, s16, v22
	v_addc_co_u32_e64 v25, s[6:7], v25, v23, vcc
	v_mov_b32_e32 v22, s17
	v_add_co_u32_e64 v26, s[6:7], s16, v20
	v_addc_co_u32_e64 v27, s[8:9], v22, v21, s[6:7]
	global_load_ushort v20, v[24:25], off
	global_load_ushort v22, v[26:27], off
	s_mov_b64 s[38:39], -1
	s_waitcnt vmcnt(0)
	v_cmp_eq_f16_e64 s[8:9], v20, v22
	s_and_saveexec_b64 s[14:15], s[8:9]
	s_cbranch_execz .LBB1337_69
; %bb.63:
	v_mov_b32_e32 v20, s17
	v_addc_co_u32_e64 v21, s[6:7], v21, v20, s[6:7]
	v_add_co_u32_e64 v20, s[6:7], 2, v26
	v_mov_b32_e32 v22, s17
	v_addc_co_u32_e64 v21, s[6:7], 0, v21, s[6:7]
	v_addc_co_u32_e32 v23, vcc, v23, v22, vcc
	v_add_co_u32_e32 v22, vcc, 2, v24
	s_add_u32 s6, s26, -1
	v_addc_co_u32_e32 v23, vcc, 0, v23, vcc
	s_addc_u32 s7, s27, -1
	s_mov_b64 s[8:9], 0
	s_mov_b64 s[40:41], 0
                                        ; implicit-def: $sgpr38_sgpr39
	s_branch .LBB1337_66
.LBB1337_64:                            ;   in Loop: Header=BB1337_66 Depth=1
	global_load_ushort v24, v[22:23], off
	global_load_ushort v25, v[20:21], off
	v_add_co_u32_e32 v20, vcc, 2, v20
	v_addc_co_u32_e32 v21, vcc, 0, v21, vcc
	v_add_co_u32_e32 v22, vcc, 2, v22
	v_addc_co_u32_e32 v23, vcc, 0, v23, vcc
	s_add_u32 s40, s40, 1
	s_addc_u32 s41, s41, 0
	s_andn2_b64 s[38:39], s[38:39], exec
	s_waitcnt vmcnt(0)
	v_cmp_neq_f16_e32 vcc, v24, v25
	s_and_b64 s[42:43], vcc, exec
	s_or_b64 s[38:39], s[38:39], s[42:43]
.LBB1337_65:                            ;   in Loop: Header=BB1337_66 Depth=1
	s_and_b64 s[42:43], exec, s[38:39]
	s_or_b64 s[8:9], s[42:43], s[8:9]
	v_pk_mov_b32 v[24:25], s[40:41], s[40:41] op_sel:[0,1]
	s_andn2_b64 exec, exec, s[8:9]
	s_cbranch_execz .LBB1337_68
.LBB1337_66:                            ; =>This Inner Loop Header: Depth=1
	s_or_b64 s[38:39], s[38:39], exec
	s_cmp_eq_u64 s[6:7], s[40:41]
	s_cbranch_scc0 .LBB1337_64
; %bb.67:                               ;   in Loop: Header=BB1337_66 Depth=1
                                        ; implicit-def: $vgpr20_vgpr21
                                        ; implicit-def: $vgpr22_vgpr23
	s_mov_b64 s[40:41], s[26:27]
	s_branch .LBB1337_65
.LBB1337_68:
	s_or_b64 exec, exec, s[8:9]
	v_cmp_gt_i64_e32 vcc, s[26:27], v[24:25]
	s_orn2_b64 s[38:39], vcc, exec
.LBB1337_69:
	s_or_b64 exec, exec, s[14:15]
.LBB1337_70:
	v_or_b32_e32 v28, v28, v30
	s_and_b64 vcc, exec, s[10:11]
	s_cbranch_vccz .LBB1337_118
.LBB1337_71:
	v_or_b32_e32 v20, 3, v1
	v_cmp_gt_u32_e32 vcc, s48, v20
	s_mov_b64 s[14:15], 0
	s_mov_b64 s[10:11], 0
	s_and_saveexec_b64 s[38:39], vcc
	s_cbranch_execz .LBB1337_82
; %bb.72:
	s_and_b64 vcc, exec, s[4:5]
	s_mov_b64 s[40:41], 0
	s_cbranch_vccnz .LBB1337_81
; %bb.73:
	s_waitcnt lgkmcnt(0)
	v_mul_lo_u32 v22, v11, s26
	v_mul_lo_u32 v23, v10, s27
	v_mad_u64_u32 v[20:21], s[6:7], v10, s26, 0
	v_add3_u32 v21, v21, v23, v22
	v_mul_lo_u32 v22, v13, s26
	v_mul_lo_u32 v23, v12, s27
	v_mad_u64_u32 v[26:27], s[6:7], v12, s26, 0
	v_add3_u32 v27, v27, v23, v22
	v_lshlrev_b64 v[22:23], 1, v[20:21]
	v_mov_b32_e32 v20, s17
	v_add_co_u32_e32 v24, vcc, s16, v22
	v_addc_co_u32_e64 v25, s[6:7], v20, v23, vcc
	v_lshlrev_b64 v[20:21], 1, v[26:27]
	v_mov_b32_e32 v22, s17
	v_add_co_u32_e64 v26, s[6:7], s16, v20
	v_addc_co_u32_e64 v27, s[8:9], v22, v21, s[6:7]
	global_load_ushort v20, v[24:25], off
	global_load_ushort v22, v[26:27], off
	s_mov_b64 s[40:41], -1
	s_waitcnt vmcnt(0)
	v_cmp_eq_f16_e64 s[8:9], v20, v22
	s_and_saveexec_b64 s[10:11], s[8:9]
	s_cbranch_execz .LBB1337_80
; %bb.74:
	v_mov_b32_e32 v20, s17
	v_addc_co_u32_e64 v21, s[6:7], v21, v20, s[6:7]
	v_add_co_u32_e64 v20, s[6:7], 2, v26
	v_mov_b32_e32 v22, s17
	v_addc_co_u32_e64 v21, s[6:7], 0, v21, s[6:7]
	v_addc_co_u32_e32 v23, vcc, v23, v22, vcc
	v_add_co_u32_e32 v22, vcc, 2, v24
	s_add_u32 s6, s26, -1
	v_addc_co_u32_e32 v23, vcc, 0, v23, vcc
	s_addc_u32 s7, s27, -1
	s_mov_b64 s[8:9], 0
	s_mov_b64 s[42:43], 0
                                        ; implicit-def: $sgpr40_sgpr41
	s_branch .LBB1337_77
.LBB1337_75:                            ;   in Loop: Header=BB1337_77 Depth=1
	global_load_ushort v24, v[22:23], off
	global_load_ushort v25, v[20:21], off
	v_add_co_u32_e32 v20, vcc, 2, v20
	v_addc_co_u32_e32 v21, vcc, 0, v21, vcc
	v_add_co_u32_e32 v22, vcc, 2, v22
	v_addc_co_u32_e32 v23, vcc, 0, v23, vcc
	s_add_u32 s42, s42, 1
	s_addc_u32 s43, s43, 0
	s_andn2_b64 s[40:41], s[40:41], exec
	s_waitcnt vmcnt(0)
	v_cmp_neq_f16_e32 vcc, v24, v25
	s_and_b64 s[44:45], vcc, exec
	s_or_b64 s[40:41], s[40:41], s[44:45]
.LBB1337_76:                            ;   in Loop: Header=BB1337_77 Depth=1
	s_and_b64 s[44:45], exec, s[40:41]
	s_or_b64 s[8:9], s[44:45], s[8:9]
	v_pk_mov_b32 v[24:25], s[42:43], s[42:43] op_sel:[0,1]
	s_andn2_b64 exec, exec, s[8:9]
	s_cbranch_execz .LBB1337_79
.LBB1337_77:                            ; =>This Inner Loop Header: Depth=1
	s_or_b64 s[40:41], s[40:41], exec
	s_cmp_eq_u64 s[6:7], s[42:43]
	s_cbranch_scc0 .LBB1337_75
; %bb.78:                               ;   in Loop: Header=BB1337_77 Depth=1
                                        ; implicit-def: $vgpr20_vgpr21
                                        ; implicit-def: $vgpr22_vgpr23
	s_mov_b64 s[42:43], s[26:27]
	s_branch .LBB1337_76
.LBB1337_79:
	s_or_b64 exec, exec, s[8:9]
	v_cmp_gt_i64_e32 vcc, s[26:27], v[24:25]
	s_orn2_b64 s[40:41], vcc, exec
.LBB1337_80:
	s_or_b64 exec, exec, s[10:11]
.LBB1337_81:
	s_and_b64 s[10:11], s[40:41], exec
.LBB1337_82:
	s_or_b64 exec, exec, s[38:39]
	v_or_b32_e32 v20, 2, v1
	v_cmp_gt_u32_e32 vcc, s48, v20
	s_and_saveexec_b64 s[38:39], vcc
	s_cbranch_execz .LBB1337_93
; %bb.83:
	s_and_b64 vcc, exec, s[4:5]
	s_mov_b64 s[40:41], 0
	s_cbranch_vccnz .LBB1337_92
; %bb.84:
	s_waitcnt lgkmcnt(0)
	v_mul_lo_u32 v22, v17, s26
	v_mul_lo_u32 v23, v16, s27
	v_mad_u64_u32 v[20:21], s[6:7], v16, s26, 0
	v_add3_u32 v21, v21, v23, v22
	v_mul_lo_u32 v22, v11, s26
	v_mul_lo_u32 v23, v10, s27
	v_mad_u64_u32 v[26:27], s[6:7], v10, s26, 0
	v_add3_u32 v27, v27, v23, v22
	v_lshlrev_b64 v[22:23], 1, v[20:21]
	v_mov_b32_e32 v20, s17
	v_add_co_u32_e32 v24, vcc, s16, v22
	v_addc_co_u32_e64 v25, s[6:7], v20, v23, vcc
	v_lshlrev_b64 v[20:21], 1, v[26:27]
	v_mov_b32_e32 v22, s17
	v_add_co_u32_e64 v26, s[6:7], s16, v20
	v_addc_co_u32_e64 v27, s[8:9], v22, v21, s[6:7]
	global_load_ushort v20, v[24:25], off
	global_load_ushort v22, v[26:27], off
	s_mov_b64 s[40:41], -1
	s_waitcnt vmcnt(0)
	v_cmp_eq_f16_e64 s[8:9], v20, v22
	s_and_saveexec_b64 s[14:15], s[8:9]
	s_cbranch_execz .LBB1337_91
; %bb.85:
	v_mov_b32_e32 v20, s17
	v_addc_co_u32_e64 v21, s[6:7], v21, v20, s[6:7]
	v_add_co_u32_e64 v20, s[6:7], 2, v26
	v_mov_b32_e32 v22, s17
	v_addc_co_u32_e64 v21, s[6:7], 0, v21, s[6:7]
	v_addc_co_u32_e32 v23, vcc, v23, v22, vcc
	v_add_co_u32_e32 v22, vcc, 2, v24
	s_add_u32 s6, s26, -1
	v_addc_co_u32_e32 v23, vcc, 0, v23, vcc
	s_addc_u32 s7, s27, -1
	s_mov_b64 s[8:9], 0
	s_mov_b64 s[42:43], 0
                                        ; implicit-def: $sgpr40_sgpr41
	s_branch .LBB1337_88
.LBB1337_86:                            ;   in Loop: Header=BB1337_88 Depth=1
	global_load_ushort v24, v[22:23], off
	global_load_ushort v25, v[20:21], off
	v_add_co_u32_e32 v20, vcc, 2, v20
	v_addc_co_u32_e32 v21, vcc, 0, v21, vcc
	v_add_co_u32_e32 v22, vcc, 2, v22
	v_addc_co_u32_e32 v23, vcc, 0, v23, vcc
	s_add_u32 s42, s42, 1
	s_addc_u32 s43, s43, 0
	s_andn2_b64 s[40:41], s[40:41], exec
	s_waitcnt vmcnt(0)
	v_cmp_neq_f16_e32 vcc, v24, v25
	s_and_b64 s[44:45], vcc, exec
	s_or_b64 s[40:41], s[40:41], s[44:45]
.LBB1337_87:                            ;   in Loop: Header=BB1337_88 Depth=1
	s_and_b64 s[44:45], exec, s[40:41]
	s_or_b64 s[8:9], s[44:45], s[8:9]
	v_pk_mov_b32 v[24:25], s[42:43], s[42:43] op_sel:[0,1]
	s_andn2_b64 exec, exec, s[8:9]
	s_cbranch_execz .LBB1337_90
.LBB1337_88:                            ; =>This Inner Loop Header: Depth=1
	s_or_b64 s[40:41], s[40:41], exec
	s_cmp_eq_u64 s[6:7], s[42:43]
	s_cbranch_scc0 .LBB1337_86
; %bb.89:                               ;   in Loop: Header=BB1337_88 Depth=1
                                        ; implicit-def: $vgpr20_vgpr21
                                        ; implicit-def: $vgpr22_vgpr23
	s_mov_b64 s[42:43], s[26:27]
	s_branch .LBB1337_87
.LBB1337_90:
	s_or_b64 exec, exec, s[8:9]
	v_cmp_gt_i64_e32 vcc, s[26:27], v[24:25]
	s_orn2_b64 s[40:41], vcc, exec
.LBB1337_91:
	s_or_b64 exec, exec, s[14:15]
.LBB1337_92:
	s_and_b64 s[14:15], s[40:41], exec
.LBB1337_93:
	s_or_b64 exec, exec, s[38:39]
	v_or_b32_e32 v20, 1, v1
	v_cmp_gt_u32_e32 vcc, s48, v20
	s_mov_b64 s[6:7], 0
	s_and_saveexec_b64 s[38:39], vcc
	s_cbranch_execz .LBB1337_104
; %bb.94:
	s_and_b64 vcc, exec, s[4:5]
	s_mov_b64 s[42:43], 0
	s_cbranch_vccnz .LBB1337_103
; %bb.95:
	s_waitcnt lgkmcnt(0)
	v_mul_lo_u32 v22, v15, s26
	v_mul_lo_u32 v23, v14, s27
	v_mad_u64_u32 v[20:21], s[6:7], v14, s26, 0
	v_add3_u32 v21, v21, v23, v22
	v_mul_lo_u32 v22, v17, s26
	v_mul_lo_u32 v23, v16, s27
	v_mad_u64_u32 v[26:27], s[6:7], v16, s26, 0
	v_add3_u32 v27, v27, v23, v22
	v_lshlrev_b64 v[22:23], 1, v[20:21]
	v_mov_b32_e32 v20, s17
	v_add_co_u32_e32 v24, vcc, s16, v22
	v_addc_co_u32_e64 v25, s[6:7], v20, v23, vcc
	v_lshlrev_b64 v[20:21], 1, v[26:27]
	v_mov_b32_e32 v22, s17
	v_add_co_u32_e64 v26, s[6:7], s16, v20
	v_addc_co_u32_e64 v27, s[8:9], v22, v21, s[6:7]
	global_load_ushort v20, v[24:25], off
	global_load_ushort v22, v[26:27], off
	s_mov_b64 s[42:43], -1
	s_waitcnt vmcnt(0)
	v_cmp_eq_f16_e64 s[8:9], v20, v22
	s_and_saveexec_b64 s[40:41], s[8:9]
	s_cbranch_execz .LBB1337_102
; %bb.96:
	v_mov_b32_e32 v20, s17
	v_addc_co_u32_e64 v21, s[6:7], v21, v20, s[6:7]
	v_add_co_u32_e64 v20, s[6:7], 2, v26
	v_mov_b32_e32 v22, s17
	v_addc_co_u32_e64 v21, s[6:7], 0, v21, s[6:7]
	v_addc_co_u32_e32 v23, vcc, v23, v22, vcc
	v_add_co_u32_e32 v22, vcc, 2, v24
	s_add_u32 s6, s26, -1
	v_addc_co_u32_e32 v23, vcc, 0, v23, vcc
	s_addc_u32 s7, s27, -1
	s_mov_b64 s[8:9], 0
	s_mov_b64 s[44:45], 0
                                        ; implicit-def: $sgpr42_sgpr43
	s_branch .LBB1337_99
.LBB1337_97:                            ;   in Loop: Header=BB1337_99 Depth=1
	global_load_ushort v24, v[22:23], off
	global_load_ushort v25, v[20:21], off
	v_add_co_u32_e32 v20, vcc, 2, v20
	v_addc_co_u32_e32 v21, vcc, 0, v21, vcc
	v_add_co_u32_e32 v22, vcc, 2, v22
	v_addc_co_u32_e32 v23, vcc, 0, v23, vcc
	s_add_u32 s44, s44, 1
	s_addc_u32 s45, s45, 0
	s_andn2_b64 s[42:43], s[42:43], exec
	s_waitcnt vmcnt(0)
	v_cmp_neq_f16_e32 vcc, v24, v25
	s_and_b64 s[46:47], vcc, exec
	s_or_b64 s[42:43], s[42:43], s[46:47]
.LBB1337_98:                            ;   in Loop: Header=BB1337_99 Depth=1
	s_and_b64 s[46:47], exec, s[42:43]
	s_or_b64 s[8:9], s[46:47], s[8:9]
	v_pk_mov_b32 v[24:25], s[44:45], s[44:45] op_sel:[0,1]
	s_andn2_b64 exec, exec, s[8:9]
	s_cbranch_execz .LBB1337_101
.LBB1337_99:                            ; =>This Inner Loop Header: Depth=1
	s_or_b64 s[42:43], s[42:43], exec
	s_cmp_eq_u64 s[6:7], s[44:45]
	s_cbranch_scc0 .LBB1337_97
; %bb.100:                              ;   in Loop: Header=BB1337_99 Depth=1
                                        ; implicit-def: $vgpr20_vgpr21
                                        ; implicit-def: $vgpr22_vgpr23
	s_mov_b64 s[44:45], s[26:27]
	s_branch .LBB1337_98
.LBB1337_101:
	s_or_b64 exec, exec, s[8:9]
	v_cmp_gt_i64_e32 vcc, s[26:27], v[24:25]
	s_orn2_b64 s[42:43], vcc, exec
.LBB1337_102:
	s_or_b64 exec, exec, s[40:41]
.LBB1337_103:
	s_and_b64 s[6:7], s[42:43], exec
.LBB1337_104:
	s_or_b64 exec, exec, s[38:39]
	s_waitcnt lgkmcnt(0)
	s_barrier
	s_and_saveexec_b64 s[8:9], s[2:3]
	s_cbranch_execz .LBB1337_106
; %bb.105:
	s_waitcnt vmcnt(0)
	v_add_u32_e32 v18, -8, v29
	ds_read_b64 v[18:19], v18
.LBB1337_106:
	s_or_b64 exec, exec, s[8:9]
	v_cndmask_b32_e64 v21, 0, 1, s[10:11]
	v_cndmask_b32_e64 v20, 0, 1, s[14:15]
	;; [unrolled: 1-line block ×3, first 2 shown]
	v_lshlrev_b16_e32 v21, 8, v21
	v_lshlrev_b16_e32 v26, 8, v22
	v_or_b32_sdwa v27, v20, v21 dst_sel:WORD_1 dst_unused:UNUSED_PAD src0_sel:DWORD src1_sel:DWORD
	v_cmp_gt_u32_e32 vcc, s48, v1
	s_mov_b64 s[38:39], 0
	s_and_saveexec_b64 s[8:9], vcc
	s_cbranch_execz .LBB1337_117
; %bb.107:
	s_and_b64 vcc, exec, s[4:5]
	s_mov_b64 s[14:15], 0
	s_cbranch_vccnz .LBB1337_116
; %bb.108:
	s_waitcnt vmcnt(0) lgkmcnt(0)
	v_mul_lo_u32 v20, v19, s26
	v_mul_lo_u32 v21, v18, s27
	v_mad_u64_u32 v[18:19], s[4:5], v18, s26, 0
	v_add3_u32 v19, v19, v21, v20
	v_mul_lo_u32 v20, v15, s26
	v_mul_lo_u32 v21, v14, s27
	v_mad_u64_u32 v[24:25], s[4:5], v14, s26, 0
	v_add3_u32 v25, v25, v21, v20
	v_lshlrev_b64 v[20:21], 1, v[18:19]
	v_mov_b32_e32 v18, s17
	v_add_co_u32_e32 v22, vcc, s16, v20
	v_addc_co_u32_e64 v23, s[4:5], v18, v21, vcc
	v_lshlrev_b64 v[18:19], 1, v[24:25]
	v_mov_b32_e32 v20, s17
	v_add_co_u32_e64 v24, s[4:5], s16, v18
	v_addc_co_u32_e64 v25, s[6:7], v20, v19, s[4:5]
	global_load_ushort v18, v[22:23], off
	global_load_ushort v20, v[24:25], off
	s_mov_b64 s[14:15], -1
	s_waitcnt vmcnt(0)
	v_cmp_eq_f16_e64 s[6:7], v18, v20
	s_and_saveexec_b64 s[10:11], s[6:7]
	s_cbranch_execz .LBB1337_115
; %bb.109:
	v_mov_b32_e32 v18, s17
	v_addc_co_u32_e64 v19, s[4:5], v19, v18, s[4:5]
	v_add_co_u32_e64 v18, s[4:5], 2, v24
	v_mov_b32_e32 v20, s17
	v_addc_co_u32_e64 v19, s[4:5], 0, v19, s[4:5]
	v_addc_co_u32_e32 v21, vcc, v21, v20, vcc
	v_add_co_u32_e32 v20, vcc, 2, v22
	s_add_u32 s4, s26, -1
	v_addc_co_u32_e32 v21, vcc, 0, v21, vcc
	s_addc_u32 s5, s27, -1
	s_mov_b64 s[6:7], 0
                                        ; implicit-def: $sgpr14_sgpr15
	s_branch .LBB1337_112
.LBB1337_110:                           ;   in Loop: Header=BB1337_112 Depth=1
	global_load_ushort v22, v[20:21], off
	global_load_ushort v23, v[18:19], off
	v_add_co_u32_e32 v18, vcc, 2, v18
	v_addc_co_u32_e32 v19, vcc, 0, v19, vcc
	v_add_co_u32_e32 v20, vcc, 2, v20
	v_addc_co_u32_e32 v21, vcc, 0, v21, vcc
	s_add_u32 s38, s38, 1
	s_addc_u32 s39, s39, 0
	s_andn2_b64 s[14:15], s[14:15], exec
	s_waitcnt vmcnt(0)
	v_cmp_neq_f16_e32 vcc, v22, v23
	s_and_b64 s[40:41], vcc, exec
	s_or_b64 s[14:15], s[14:15], s[40:41]
.LBB1337_111:                           ;   in Loop: Header=BB1337_112 Depth=1
	s_and_b64 s[40:41], exec, s[14:15]
	s_or_b64 s[6:7], s[40:41], s[6:7]
	v_pk_mov_b32 v[22:23], s[38:39], s[38:39] op_sel:[0,1]
	s_andn2_b64 exec, exec, s[6:7]
	s_cbranch_execz .LBB1337_114
.LBB1337_112:                           ; =>This Inner Loop Header: Depth=1
	s_or_b64 s[14:15], s[14:15], exec
	s_cmp_eq_u64 s[4:5], s[38:39]
	s_cbranch_scc0 .LBB1337_110
; %bb.113:                              ;   in Loop: Header=BB1337_112 Depth=1
                                        ; implicit-def: $vgpr18_vgpr19
                                        ; implicit-def: $vgpr20_vgpr21
	s_mov_b64 s[38:39], s[26:27]
	s_branch .LBB1337_111
.LBB1337_114:
	s_or_b64 exec, exec, s[6:7]
	v_cmp_gt_i64_e32 vcc, s[26:27], v[22:23]
	s_orn2_b64 s[14:15], vcc, exec
.LBB1337_115:
	s_or_b64 exec, exec, s[10:11]
.LBB1337_116:
	s_and_b64 s[38:39], s[14:15], exec
.LBB1337_117:
	s_or_b64 exec, exec, s[8:9]
	v_or_b32_e32 v28, v26, v27
.LBB1337_118:
	s_mov_b64 s[14:15], -1
	s_cbranch_execnz .LBB1337_207
.LBB1337_119:
	v_lshlrev_b32_e32 v29, 3, v0
	s_mov_b64 s[38:39], 0
	v_cmp_gt_i64_e64 s[10:11], s[26:27], 0
	s_and_b64 vcc, exec, s[34:35]
	ds_write_b64 v29, v[12:13]
	s_cbranch_vccz .LBB1337_127
; %bb.120:
	v_mul_lo_u32 v20, v11, s26
	v_mul_lo_u32 v21, v10, s27
	s_waitcnt vmcnt(0) lgkmcnt(1)
	v_mad_u64_u32 v[18:19], s[4:5], v10, s26, 0
	v_add3_u32 v19, v19, v21, v20
	v_cndmask_b32_e64 v20, 0, 1, s[10:11]
	v_cmp_ne_u32_e64 s[4:5], 1, v20
	s_andn2_b64 vcc, exec, s[10:11]
	v_lshlrev_b64 v[18:19], 1, v[18:19]
	s_cbranch_vccnz .LBB1337_130
; %bb.121:
	v_mul_lo_u32 v22, v13, s26
	v_mul_lo_u32 v23, v12, s27
	v_mad_u64_u32 v[20:21], s[6:7], v12, s26, 0
	v_add3_u32 v21, v21, v23, v22
	v_mov_b32_e32 v23, s17
	v_add_co_u32_e32 v22, vcc, s16, v18
	v_addc_co_u32_e64 v23, s[6:7], v23, v19, vcc
	v_lshlrev_b64 v[20:21], 1, v[20:21]
	v_mov_b32_e32 v25, s17
	v_add_co_u32_e64 v24, s[6:7], s16, v20
	v_addc_co_u32_e64 v25, s[8:9], v25, v21, s[6:7]
	global_load_ushort v20, v[22:23], off
	global_load_ushort v26, v[24:25], off
	s_mov_b64 s[38:39], -1
	s_waitcnt vmcnt(0)
	v_cmp_eq_f16_e64 s[8:9], v20, v26
	s_and_saveexec_b64 s[40:41], s[8:9]
	s_cbranch_execz .LBB1337_129
; %bb.122:
	v_mov_b32_e32 v20, s17
	v_addc_co_u32_e64 v21, s[6:7], v21, v20, s[6:7]
	v_add_co_u32_e64 v20, s[6:7], 2, v24
	v_mov_b32_e32 v23, s17
	v_addc_co_u32_e64 v21, s[6:7], 0, v21, s[6:7]
	v_addc_co_u32_e32 v23, vcc, v19, v23, vcc
	v_add_co_u32_e32 v22, vcc, 2, v22
	s_add_u32 s6, s26, -1
	v_addc_co_u32_e32 v23, vcc, 0, v23, vcc
	s_addc_u32 s7, s27, -1
	s_mov_b64 s[8:9], 0
	s_mov_b64 s[42:43], 0
                                        ; implicit-def: $sgpr38_sgpr39
	s_branch .LBB1337_125
.LBB1337_123:                           ;   in Loop: Header=BB1337_125 Depth=1
	global_load_ushort v24, v[22:23], off
	global_load_ushort v25, v[20:21], off
	v_add_co_u32_e32 v20, vcc, 2, v20
	v_addc_co_u32_e32 v21, vcc, 0, v21, vcc
	v_add_co_u32_e32 v22, vcc, 2, v22
	v_addc_co_u32_e32 v23, vcc, 0, v23, vcc
	s_add_u32 s42, s42, 1
	s_addc_u32 s43, s43, 0
	s_andn2_b64 s[38:39], s[38:39], exec
	s_waitcnt vmcnt(0)
	v_cmp_neq_f16_e32 vcc, v24, v25
	s_and_b64 s[44:45], vcc, exec
	s_or_b64 s[38:39], s[38:39], s[44:45]
.LBB1337_124:                           ;   in Loop: Header=BB1337_125 Depth=1
	s_and_b64 s[44:45], exec, s[38:39]
	s_or_b64 s[8:9], s[44:45], s[8:9]
	v_pk_mov_b32 v[24:25], s[42:43], s[42:43] op_sel:[0,1]
	s_andn2_b64 exec, exec, s[8:9]
	s_cbranch_execz .LBB1337_128
.LBB1337_125:                           ; =>This Inner Loop Header: Depth=1
	s_or_b64 s[38:39], s[38:39], exec
	s_cmp_eq_u64 s[6:7], s[42:43]
	s_cbranch_scc0 .LBB1337_123
; %bb.126:                              ;   in Loop: Header=BB1337_125 Depth=1
                                        ; implicit-def: $vgpr20_vgpr21
                                        ; implicit-def: $vgpr22_vgpr23
	s_mov_b64 s[42:43], s[26:27]
	s_branch .LBB1337_124
.LBB1337_127:
                                        ; implicit-def: $sgpr38_sgpr39
                                        ; implicit-def: $vgpr28
	s_cbranch_execnz .LBB1337_160
	s_branch .LBB1337_207
.LBB1337_128:
	s_or_b64 exec, exec, s[8:9]
	v_cmp_gt_i64_e32 vcc, s[26:27], v[24:25]
	s_orn2_b64 s[38:39], vcc, exec
.LBB1337_129:
	s_or_b64 exec, exec, s[40:41]
.LBB1337_130:
	v_mul_lo_u32 v22, v17, s26
	v_mul_lo_u32 v23, v16, s27
	v_mad_u64_u32 v[20:21], s[6:7], v16, s26, 0
	v_add3_u32 v21, v21, v23, v22
	s_mov_b64 s[40:41], 0
	s_and_b64 vcc, exec, s[4:5]
	v_lshlrev_b64 v[20:21], 1, v[20:21]
	s_mov_b64 s[42:43], 0
	s_cbranch_vccnz .LBB1337_139
; %bb.131:
	v_mov_b32_e32 v23, s17
	v_add_co_u32_e32 v22, vcc, s16, v20
	v_addc_co_u32_e64 v23, s[6:7], v23, v21, vcc
	v_mov_b32_e32 v25, s17
	v_add_co_u32_e64 v24, s[6:7], s16, v18
	v_addc_co_u32_e64 v25, s[8:9], v25, v19, s[6:7]
	global_load_ushort v18, v[22:23], off
	global_load_ushort v26, v[24:25], off
	s_mov_b64 s[42:43], -1
	s_waitcnt vmcnt(0)
	v_cmp_eq_f16_e64 s[8:9], v18, v26
	s_and_saveexec_b64 s[44:45], s[8:9]
	s_cbranch_execz .LBB1337_138
; %bb.132:
	v_mov_b32_e32 v18, s17
	v_addc_co_u32_e64 v19, s[6:7], v19, v18, s[6:7]
	v_add_co_u32_e64 v18, s[6:7], 2, v24
	v_mov_b32_e32 v23, s17
	v_addc_co_u32_e64 v19, s[6:7], 0, v19, s[6:7]
	v_addc_co_u32_e32 v23, vcc, v21, v23, vcc
	v_add_co_u32_e32 v22, vcc, 2, v22
	s_add_u32 s6, s26, -1
	v_addc_co_u32_e32 v23, vcc, 0, v23, vcc
	s_addc_u32 s7, s27, -1
	s_mov_b64 s[8:9], 0
	s_mov_b64 s[46:47], 0
                                        ; implicit-def: $sgpr42_sgpr43
	s_branch .LBB1337_135
.LBB1337_133:                           ;   in Loop: Header=BB1337_135 Depth=1
	global_load_ushort v24, v[22:23], off
	global_load_ushort v25, v[18:19], off
	v_add_co_u32_e32 v18, vcc, 2, v18
	v_addc_co_u32_e32 v19, vcc, 0, v19, vcc
	v_add_co_u32_e32 v22, vcc, 2, v22
	v_addc_co_u32_e32 v23, vcc, 0, v23, vcc
	s_add_u32 s46, s46, 1
	s_addc_u32 s47, s47, 0
	s_andn2_b64 s[42:43], s[42:43], exec
	s_waitcnt vmcnt(0)
	v_cmp_neq_f16_e32 vcc, v24, v25
	s_and_b64 s[50:51], vcc, exec
	s_or_b64 s[42:43], s[42:43], s[50:51]
.LBB1337_134:                           ;   in Loop: Header=BB1337_135 Depth=1
	s_and_b64 s[50:51], exec, s[42:43]
	s_or_b64 s[8:9], s[50:51], s[8:9]
	v_pk_mov_b32 v[24:25], s[46:47], s[46:47] op_sel:[0,1]
	s_andn2_b64 exec, exec, s[8:9]
	s_cbranch_execz .LBB1337_137
.LBB1337_135:                           ; =>This Inner Loop Header: Depth=1
	s_or_b64 s[42:43], s[42:43], exec
	s_cmp_eq_u64 s[6:7], s[46:47]
	s_cbranch_scc0 .LBB1337_133
; %bb.136:                              ;   in Loop: Header=BB1337_135 Depth=1
                                        ; implicit-def: $vgpr18_vgpr19
                                        ; implicit-def: $vgpr22_vgpr23
	s_mov_b64 s[46:47], s[26:27]
	s_branch .LBB1337_134
.LBB1337_137:
	s_or_b64 exec, exec, s[8:9]
	v_cmp_gt_i64_e32 vcc, s[26:27], v[24:25]
	s_orn2_b64 s[42:43], vcc, exec
.LBB1337_138:
	s_or_b64 exec, exec, s[44:45]
.LBB1337_139:
	v_mul_lo_u32 v22, v15, s26
	v_mul_lo_u32 v23, v14, s27
	v_mad_u64_u32 v[18:19], s[6:7], v14, s26, 0
	s_and_b64 vcc, exec, s[4:5]
	v_add3_u32 v19, v19, v23, v22
	s_cbranch_vccnz .LBB1337_148
; %bb.140:
	v_lshlrev_b64 v[22:23], 1, v[18:19]
	v_mov_b32_e32 v25, s17
	v_add_co_u32_e32 v24, vcc, s16, v22
	v_addc_co_u32_e64 v25, s[6:7], v25, v23, vcc
	v_mov_b32_e32 v22, s17
	v_add_co_u32_e64 v26, s[6:7], s16, v20
	v_addc_co_u32_e64 v27, s[8:9], v22, v21, s[6:7]
	global_load_ushort v20, v[24:25], off
	global_load_ushort v22, v[26:27], off
	s_mov_b64 s[40:41], -1
	s_waitcnt vmcnt(0)
	v_cmp_eq_f16_e64 s[8:9], v20, v22
	s_and_saveexec_b64 s[44:45], s[8:9]
	s_cbranch_execz .LBB1337_147
; %bb.141:
	v_mov_b32_e32 v20, s17
	v_addc_co_u32_e64 v21, s[6:7], v21, v20, s[6:7]
	v_add_co_u32_e64 v20, s[6:7], 2, v26
	v_mov_b32_e32 v22, s17
	v_addc_co_u32_e64 v21, s[6:7], 0, v21, s[6:7]
	v_addc_co_u32_e32 v23, vcc, v23, v22, vcc
	v_add_co_u32_e32 v22, vcc, 2, v24
	s_add_u32 s6, s26, -1
	v_addc_co_u32_e32 v23, vcc, 0, v23, vcc
	s_addc_u32 s7, s27, -1
	s_mov_b64 s[8:9], 0
	s_mov_b64 s[46:47], 0
                                        ; implicit-def: $sgpr40_sgpr41
	s_branch .LBB1337_144
.LBB1337_142:                           ;   in Loop: Header=BB1337_144 Depth=1
	global_load_ushort v24, v[22:23], off
	global_load_ushort v25, v[20:21], off
	v_add_co_u32_e32 v20, vcc, 2, v20
	v_addc_co_u32_e32 v21, vcc, 0, v21, vcc
	v_add_co_u32_e32 v22, vcc, 2, v22
	v_addc_co_u32_e32 v23, vcc, 0, v23, vcc
	s_add_u32 s46, s46, 1
	s_addc_u32 s47, s47, 0
	s_andn2_b64 s[40:41], s[40:41], exec
	s_waitcnt vmcnt(0)
	v_cmp_neq_f16_e32 vcc, v24, v25
	s_and_b64 s[50:51], vcc, exec
	s_or_b64 s[40:41], s[40:41], s[50:51]
.LBB1337_143:                           ;   in Loop: Header=BB1337_144 Depth=1
	s_and_b64 s[50:51], exec, s[40:41]
	s_or_b64 s[8:9], s[50:51], s[8:9]
	v_pk_mov_b32 v[24:25], s[46:47], s[46:47] op_sel:[0,1]
	s_andn2_b64 exec, exec, s[8:9]
	s_cbranch_execz .LBB1337_146
.LBB1337_144:                           ; =>This Inner Loop Header: Depth=1
	s_or_b64 s[40:41], s[40:41], exec
	s_cmp_eq_u64 s[6:7], s[46:47]
	s_cbranch_scc0 .LBB1337_142
; %bb.145:                              ;   in Loop: Header=BB1337_144 Depth=1
                                        ; implicit-def: $vgpr20_vgpr21
                                        ; implicit-def: $vgpr22_vgpr23
	s_mov_b64 s[46:47], s[26:27]
	s_branch .LBB1337_143
.LBB1337_146:
	s_or_b64 exec, exec, s[8:9]
	v_cmp_gt_i64_e32 vcc, s[26:27], v[24:25]
	s_orn2_b64 s[40:41], vcc, exec
.LBB1337_147:
	s_or_b64 exec, exec, s[44:45]
.LBB1337_148:
	v_cndmask_b32_e64 v21, 0, 1, s[38:39]
	v_cndmask_b32_e64 v22, 0, 1, s[40:41]
	;; [unrolled: 1-line block ×3, first 2 shown]
	v_lshlrev_b16_e32 v22, 8, v22
	v_lshlrev_b16_e32 v21, 8, v21
	v_or_b32_e32 v22, 1, v22
	v_or_b32_sdwa v20, v20, v21 dst_sel:WORD_1 dst_unused:UNUSED_PAD src0_sel:DWORD src1_sel:DWORD
	v_or_b32_sdwa v28, v22, v20 dst_sel:DWORD dst_unused:UNUSED_PAD src0_sel:WORD_0 src1_sel:DWORD
	s_waitcnt lgkmcnt(0)
	s_barrier
	s_waitcnt lgkmcnt(0)
                                        ; implicit-def: $sgpr38_sgpr39
	s_and_saveexec_b64 s[6:7], s[2:3]
	s_xor_b64 s[8:9], exec, s[6:7]
	s_cbranch_execz .LBB1337_159
; %bb.149:
	s_and_b64 vcc, exec, s[4:5]
	s_mov_b64 s[40:41], 0
	s_cbranch_vccnz .LBB1337_158
; %bb.150:
	v_add_u32_e32 v20, -8, v29
	ds_read_b64 v[20:21], v20
	v_mov_b32_e32 v23, s17
	v_lshlrev_b64 v[18:19], 1, v[18:19]
	s_mov_b64 s[40:41], -1
	s_waitcnt lgkmcnt(0)
	v_mul_lo_u32 v22, v21, s26
	v_mul_lo_u32 v24, v20, s27
	v_mad_u64_u32 v[20:21], s[4:5], v20, s26, 0
	v_add3_u32 v21, v21, v24, v22
	v_lshlrev_b64 v[20:21], 1, v[20:21]
	v_add_co_u32_e32 v22, vcc, s16, v20
	v_addc_co_u32_e64 v23, s[4:5], v23, v21, vcc
	v_mov_b32_e32 v20, s17
	v_add_co_u32_e64 v24, s[4:5], s16, v18
	v_addc_co_u32_e64 v25, s[6:7], v20, v19, s[4:5]
	global_load_ushort v18, v[22:23], off
	global_load_ushort v20, v[24:25], off
	s_waitcnt vmcnt(0)
	v_cmp_eq_f16_e64 s[6:7], v18, v20
	s_and_saveexec_b64 s[38:39], s[6:7]
	s_cbranch_execz .LBB1337_157
; %bb.151:
	v_mov_b32_e32 v18, s17
	v_addc_co_u32_e64 v19, s[4:5], v19, v18, s[4:5]
	v_add_co_u32_e64 v18, s[4:5], 2, v24
	v_mov_b32_e32 v20, s17
	v_addc_co_u32_e64 v19, s[4:5], 0, v19, s[4:5]
	v_addc_co_u32_e32 v21, vcc, v21, v20, vcc
	v_add_co_u32_e32 v20, vcc, 2, v22
	s_add_u32 s4, s26, -1
	v_addc_co_u32_e32 v21, vcc, 0, v21, vcc
	s_addc_u32 s5, s27, -1
	s_mov_b64 s[6:7], 0
	s_mov_b64 s[42:43], 0
                                        ; implicit-def: $sgpr40_sgpr41
	s_branch .LBB1337_154
.LBB1337_152:                           ;   in Loop: Header=BB1337_154 Depth=1
	global_load_ushort v22, v[20:21], off
	global_load_ushort v23, v[18:19], off
	v_add_co_u32_e32 v18, vcc, 2, v18
	v_addc_co_u32_e32 v19, vcc, 0, v19, vcc
	v_add_co_u32_e32 v20, vcc, 2, v20
	v_addc_co_u32_e32 v21, vcc, 0, v21, vcc
	s_add_u32 s42, s42, 1
	s_addc_u32 s43, s43, 0
	s_andn2_b64 s[40:41], s[40:41], exec
	s_waitcnt vmcnt(0)
	v_cmp_neq_f16_e32 vcc, v22, v23
	s_and_b64 s[44:45], vcc, exec
	s_or_b64 s[40:41], s[40:41], s[44:45]
.LBB1337_153:                           ;   in Loop: Header=BB1337_154 Depth=1
	s_and_b64 s[44:45], exec, s[40:41]
	s_or_b64 s[6:7], s[44:45], s[6:7]
	v_pk_mov_b32 v[22:23], s[42:43], s[42:43] op_sel:[0,1]
	s_andn2_b64 exec, exec, s[6:7]
	s_cbranch_execz .LBB1337_156
.LBB1337_154:                           ; =>This Inner Loop Header: Depth=1
	s_or_b64 s[40:41], s[40:41], exec
	s_cmp_eq_u64 s[4:5], s[42:43]
	s_cbranch_scc0 .LBB1337_152
; %bb.155:                              ;   in Loop: Header=BB1337_154 Depth=1
                                        ; implicit-def: $vgpr18_vgpr19
                                        ; implicit-def: $vgpr20_vgpr21
	s_mov_b64 s[42:43], s[26:27]
	s_branch .LBB1337_153
.LBB1337_156:
	s_or_b64 exec, exec, s[6:7]
	v_cmp_gt_i64_e32 vcc, s[26:27], v[22:23]
	s_orn2_b64 s[40:41], vcc, exec
.LBB1337_157:
	s_or_b64 exec, exec, s[38:39]
.LBB1337_158:
	s_and_b64 s[38:39], s[40:41], exec
	s_or_b64 s[14:15], s[14:15], exec
.LBB1337_159:
	s_or_b64 exec, exec, s[8:9]
	s_branch .LBB1337_207
.LBB1337_160:
	s_waitcnt vmcnt(0) lgkmcnt(1)
	v_or_b32_e32 v18, 3, v1
	v_cmp_gt_u32_e32 vcc, s48, v18
	s_mov_b64 s[38:39], 0
	s_mov_b64 s[8:9], 0
	s_and_saveexec_b64 s[40:41], vcc
	s_cbranch_execz .LBB1337_171
; %bb.161:
	s_andn2_b64 vcc, exec, s[10:11]
	s_mov_b64 s[42:43], 0
	s_cbranch_vccnz .LBB1337_170
; %bb.162:
	v_mul_lo_u32 v20, v11, s26
	v_mul_lo_u32 v21, v10, s27
	v_mad_u64_u32 v[18:19], s[4:5], v10, s26, 0
	v_add3_u32 v19, v19, v21, v20
	v_mul_lo_u32 v20, v13, s26
	v_mul_lo_u32 v21, v12, s27
	v_mad_u64_u32 v[24:25], s[4:5], v12, s26, 0
	v_add3_u32 v25, v25, v21, v20
	v_lshlrev_b64 v[20:21], 1, v[18:19]
	v_mov_b32_e32 v18, s17
	v_add_co_u32_e32 v22, vcc, s16, v20
	v_addc_co_u32_e64 v23, s[4:5], v18, v21, vcc
	v_lshlrev_b64 v[18:19], 1, v[24:25]
	v_mov_b32_e32 v20, s17
	v_add_co_u32_e64 v24, s[4:5], s16, v18
	v_addc_co_u32_e64 v25, s[6:7], v20, v19, s[4:5]
	global_load_ushort v18, v[22:23], off
	global_load_ushort v20, v[24:25], off
	s_mov_b64 s[42:43], -1
	s_waitcnt vmcnt(0)
	v_cmp_eq_f16_e64 s[6:7], v18, v20
	s_and_saveexec_b64 s[8:9], s[6:7]
	s_cbranch_execz .LBB1337_169
; %bb.163:
	v_mov_b32_e32 v18, s17
	v_addc_co_u32_e64 v19, s[4:5], v19, v18, s[4:5]
	v_add_co_u32_e64 v18, s[4:5], 2, v24
	v_mov_b32_e32 v20, s17
	v_addc_co_u32_e64 v19, s[4:5], 0, v19, s[4:5]
	v_addc_co_u32_e32 v21, vcc, v21, v20, vcc
	v_add_co_u32_e32 v20, vcc, 2, v22
	s_add_u32 s4, s26, -1
	v_addc_co_u32_e32 v21, vcc, 0, v21, vcc
	s_addc_u32 s5, s27, -1
	s_mov_b64 s[6:7], 0
	s_mov_b64 s[44:45], 0
                                        ; implicit-def: $sgpr42_sgpr43
	s_branch .LBB1337_166
.LBB1337_164:                           ;   in Loop: Header=BB1337_166 Depth=1
	global_load_ushort v22, v[20:21], off
	global_load_ushort v23, v[18:19], off
	v_add_co_u32_e32 v18, vcc, 2, v18
	v_addc_co_u32_e32 v19, vcc, 0, v19, vcc
	v_add_co_u32_e32 v20, vcc, 2, v20
	v_addc_co_u32_e32 v21, vcc, 0, v21, vcc
	s_add_u32 s44, s44, 1
	s_addc_u32 s45, s45, 0
	s_andn2_b64 s[42:43], s[42:43], exec
	s_waitcnt vmcnt(0)
	v_cmp_neq_f16_e32 vcc, v22, v23
	s_and_b64 s[46:47], vcc, exec
	s_or_b64 s[42:43], s[42:43], s[46:47]
.LBB1337_165:                           ;   in Loop: Header=BB1337_166 Depth=1
	s_and_b64 s[46:47], exec, s[42:43]
	s_or_b64 s[6:7], s[46:47], s[6:7]
	v_pk_mov_b32 v[22:23], s[44:45], s[44:45] op_sel:[0,1]
	s_andn2_b64 exec, exec, s[6:7]
	s_cbranch_execz .LBB1337_168
.LBB1337_166:                           ; =>This Inner Loop Header: Depth=1
	s_or_b64 s[42:43], s[42:43], exec
	s_cmp_eq_u64 s[4:5], s[44:45]
	s_cbranch_scc0 .LBB1337_164
; %bb.167:                              ;   in Loop: Header=BB1337_166 Depth=1
                                        ; implicit-def: $vgpr18_vgpr19
                                        ; implicit-def: $vgpr20_vgpr21
	s_mov_b64 s[44:45], s[26:27]
	s_branch .LBB1337_165
.LBB1337_168:
	s_or_b64 exec, exec, s[6:7]
	v_cmp_gt_i64_e32 vcc, s[26:27], v[22:23]
	s_orn2_b64 s[42:43], vcc, exec
.LBB1337_169:
	s_or_b64 exec, exec, s[8:9]
.LBB1337_170:
	s_and_b64 s[8:9], s[42:43], exec
.LBB1337_171:
	s_or_b64 exec, exec, s[40:41]
	v_or_b32_e32 v18, 2, v1
	v_cmp_gt_u32_e32 vcc, s48, v18
	s_and_saveexec_b64 s[40:41], vcc
	s_cbranch_execz .LBB1337_182
; %bb.172:
	s_andn2_b64 vcc, exec, s[10:11]
	s_mov_b64 s[42:43], 0
	s_cbranch_vccnz .LBB1337_181
; %bb.173:
	v_mul_lo_u32 v20, v17, s26
	v_mul_lo_u32 v21, v16, s27
	v_mad_u64_u32 v[18:19], s[4:5], v16, s26, 0
	v_add3_u32 v19, v19, v21, v20
	v_mul_lo_u32 v20, v11, s26
	v_mul_lo_u32 v21, v10, s27
	v_mad_u64_u32 v[24:25], s[4:5], v10, s26, 0
	v_add3_u32 v25, v25, v21, v20
	v_lshlrev_b64 v[20:21], 1, v[18:19]
	v_mov_b32_e32 v18, s17
	v_add_co_u32_e32 v22, vcc, s16, v20
	v_addc_co_u32_e64 v23, s[4:5], v18, v21, vcc
	v_lshlrev_b64 v[18:19], 1, v[24:25]
	v_mov_b32_e32 v20, s17
	v_add_co_u32_e64 v24, s[4:5], s16, v18
	v_addc_co_u32_e64 v25, s[6:7], v20, v19, s[4:5]
	global_load_ushort v18, v[22:23], off
	global_load_ushort v20, v[24:25], off
	s_mov_b64 s[42:43], -1
	s_waitcnt vmcnt(0)
	v_cmp_eq_f16_e64 s[6:7], v18, v20
	s_and_saveexec_b64 s[38:39], s[6:7]
	s_cbranch_execz .LBB1337_180
; %bb.174:
	v_mov_b32_e32 v18, s17
	v_addc_co_u32_e64 v19, s[4:5], v19, v18, s[4:5]
	v_add_co_u32_e64 v18, s[4:5], 2, v24
	v_mov_b32_e32 v20, s17
	v_addc_co_u32_e64 v19, s[4:5], 0, v19, s[4:5]
	v_addc_co_u32_e32 v21, vcc, v21, v20, vcc
	v_add_co_u32_e32 v20, vcc, 2, v22
	s_add_u32 s4, s26, -1
	v_addc_co_u32_e32 v21, vcc, 0, v21, vcc
	s_addc_u32 s5, s27, -1
	s_mov_b64 s[6:7], 0
	s_mov_b64 s[44:45], 0
                                        ; implicit-def: $sgpr42_sgpr43
	s_branch .LBB1337_177
.LBB1337_175:                           ;   in Loop: Header=BB1337_177 Depth=1
	global_load_ushort v22, v[20:21], off
	global_load_ushort v23, v[18:19], off
	v_add_co_u32_e32 v18, vcc, 2, v18
	v_addc_co_u32_e32 v19, vcc, 0, v19, vcc
	v_add_co_u32_e32 v20, vcc, 2, v20
	v_addc_co_u32_e32 v21, vcc, 0, v21, vcc
	s_add_u32 s44, s44, 1
	s_addc_u32 s45, s45, 0
	s_andn2_b64 s[42:43], s[42:43], exec
	s_waitcnt vmcnt(0)
	v_cmp_neq_f16_e32 vcc, v22, v23
	s_and_b64 s[46:47], vcc, exec
	s_or_b64 s[42:43], s[42:43], s[46:47]
.LBB1337_176:                           ;   in Loop: Header=BB1337_177 Depth=1
	s_and_b64 s[46:47], exec, s[42:43]
	s_or_b64 s[6:7], s[46:47], s[6:7]
	v_pk_mov_b32 v[22:23], s[44:45], s[44:45] op_sel:[0,1]
	s_andn2_b64 exec, exec, s[6:7]
	s_cbranch_execz .LBB1337_179
.LBB1337_177:                           ; =>This Inner Loop Header: Depth=1
	s_or_b64 s[42:43], s[42:43], exec
	s_cmp_eq_u64 s[4:5], s[44:45]
	s_cbranch_scc0 .LBB1337_175
; %bb.178:                              ;   in Loop: Header=BB1337_177 Depth=1
                                        ; implicit-def: $vgpr18_vgpr19
                                        ; implicit-def: $vgpr20_vgpr21
	s_mov_b64 s[44:45], s[26:27]
	s_branch .LBB1337_176
.LBB1337_179:
	s_or_b64 exec, exec, s[6:7]
	v_cmp_gt_i64_e32 vcc, s[26:27], v[22:23]
	s_orn2_b64 s[42:43], vcc, exec
.LBB1337_180:
	s_or_b64 exec, exec, s[38:39]
.LBB1337_181:
	s_and_b64 s[38:39], s[42:43], exec
.LBB1337_182:
	s_or_b64 exec, exec, s[40:41]
	v_or_b32_e32 v18, 1, v1
	v_cmp_gt_u32_e32 vcc, s48, v18
	s_mov_b64 s[4:5], 0
	s_and_saveexec_b64 s[40:41], vcc
	s_cbranch_execz .LBB1337_193
; %bb.183:
	s_andn2_b64 vcc, exec, s[10:11]
	s_mov_b64 s[44:45], 0
	s_cbranch_vccnz .LBB1337_192
; %bb.184:
	v_mul_lo_u32 v20, v15, s26
	v_mul_lo_u32 v21, v14, s27
	v_mad_u64_u32 v[18:19], s[4:5], v14, s26, 0
	v_add3_u32 v19, v19, v21, v20
	v_mul_lo_u32 v20, v17, s26
	v_mul_lo_u32 v21, v16, s27
	v_mad_u64_u32 v[24:25], s[4:5], v16, s26, 0
	v_add3_u32 v25, v25, v21, v20
	v_lshlrev_b64 v[20:21], 1, v[18:19]
	v_mov_b32_e32 v18, s17
	v_add_co_u32_e32 v22, vcc, s16, v20
	v_addc_co_u32_e64 v23, s[4:5], v18, v21, vcc
	v_lshlrev_b64 v[18:19], 1, v[24:25]
	v_mov_b32_e32 v20, s17
	v_add_co_u32_e64 v24, s[4:5], s16, v18
	v_addc_co_u32_e64 v25, s[6:7], v20, v19, s[4:5]
	global_load_ushort v18, v[22:23], off
	global_load_ushort v20, v[24:25], off
	s_mov_b64 s[44:45], -1
	s_waitcnt vmcnt(0)
	v_cmp_eq_f16_e64 s[6:7], v18, v20
	s_and_saveexec_b64 s[42:43], s[6:7]
	s_cbranch_execz .LBB1337_191
; %bb.185:
	v_mov_b32_e32 v18, s17
	v_addc_co_u32_e64 v19, s[4:5], v19, v18, s[4:5]
	v_add_co_u32_e64 v18, s[4:5], 2, v24
	v_mov_b32_e32 v20, s17
	v_addc_co_u32_e64 v19, s[4:5], 0, v19, s[4:5]
	v_addc_co_u32_e32 v21, vcc, v21, v20, vcc
	v_add_co_u32_e32 v20, vcc, 2, v22
	s_add_u32 s4, s26, -1
	v_addc_co_u32_e32 v21, vcc, 0, v21, vcc
	s_addc_u32 s5, s27, -1
	s_mov_b64 s[6:7], 0
	s_mov_b64 s[46:47], 0
                                        ; implicit-def: $sgpr44_sgpr45
	s_branch .LBB1337_188
.LBB1337_186:                           ;   in Loop: Header=BB1337_188 Depth=1
	global_load_ushort v22, v[20:21], off
	global_load_ushort v23, v[18:19], off
	v_add_co_u32_e32 v18, vcc, 2, v18
	v_addc_co_u32_e32 v19, vcc, 0, v19, vcc
	v_add_co_u32_e32 v20, vcc, 2, v20
	v_addc_co_u32_e32 v21, vcc, 0, v21, vcc
	s_add_u32 s46, s46, 1
	s_addc_u32 s47, s47, 0
	s_andn2_b64 s[44:45], s[44:45], exec
	s_waitcnt vmcnt(0)
	v_cmp_neq_f16_e32 vcc, v22, v23
	s_and_b64 s[50:51], vcc, exec
	s_or_b64 s[44:45], s[44:45], s[50:51]
.LBB1337_187:                           ;   in Loop: Header=BB1337_188 Depth=1
	s_and_b64 s[50:51], exec, s[44:45]
	s_or_b64 s[6:7], s[50:51], s[6:7]
	v_pk_mov_b32 v[22:23], s[46:47], s[46:47] op_sel:[0,1]
	s_andn2_b64 exec, exec, s[6:7]
	s_cbranch_execz .LBB1337_190
.LBB1337_188:                           ; =>This Inner Loop Header: Depth=1
	s_or_b64 s[44:45], s[44:45], exec
	s_cmp_eq_u64 s[4:5], s[46:47]
	s_cbranch_scc0 .LBB1337_186
; %bb.189:                              ;   in Loop: Header=BB1337_188 Depth=1
                                        ; implicit-def: $vgpr18_vgpr19
                                        ; implicit-def: $vgpr20_vgpr21
	s_mov_b64 s[46:47], s[26:27]
	s_branch .LBB1337_187
.LBB1337_190:
	s_or_b64 exec, exec, s[6:7]
	v_cmp_gt_i64_e32 vcc, s[26:27], v[22:23]
	s_orn2_b64 s[44:45], vcc, exec
.LBB1337_191:
	s_or_b64 exec, exec, s[42:43]
.LBB1337_192:
	s_and_b64 s[4:5], s[44:45], exec
.LBB1337_193:
	s_or_b64 exec, exec, s[40:41]
	v_cndmask_b32_e64 v19, 0, 1, s[8:9]
	v_cndmask_b32_e64 v20, 0, 1, s[4:5]
	;; [unrolled: 1-line block ×3, first 2 shown]
	v_lshlrev_b16_e32 v20, 8, v20
	v_lshlrev_b16_e32 v19, 8, v19
	v_or_b32_e32 v20, 1, v20
	v_or_b32_sdwa v18, v18, v19 dst_sel:WORD_1 dst_unused:UNUSED_PAD src0_sel:DWORD src1_sel:DWORD
	v_or_b32_sdwa v28, v20, v18 dst_sel:DWORD dst_unused:UNUSED_PAD src0_sel:WORD_0 src1_sel:DWORD
	s_waitcnt lgkmcnt(0)
	s_barrier
	s_waitcnt lgkmcnt(0)
                                        ; implicit-def: $sgpr38_sgpr39
	s_and_saveexec_b64 s[6:7], s[2:3]
	s_cbranch_execz .LBB1337_206
; %bb.194:
	v_cmp_gt_u32_e32 vcc, s48, v1
	s_mov_b64 s[2:3], 0
	s_and_saveexec_b64 s[8:9], vcc
	s_cbranch_execz .LBB1337_205
; %bb.195:
	s_andn2_b64 vcc, exec, s[10:11]
	s_mov_b64 s[38:39], 0
	s_cbranch_vccnz .LBB1337_204
; %bb.196:
	v_add_u32_e32 v18, -8, v29
	ds_read_b64 v[18:19], v18
	v_mul_lo_u32 v20, v15, s26
	v_mad_u64_u32 v[24:25], s[2:3], v14, s26, 0
	s_mov_b64 s[38:39], -1
	s_waitcnt lgkmcnt(0)
	v_mul_lo_u32 v21, v19, s26
	v_mul_lo_u32 v22, v18, s27
	v_mad_u64_u32 v[18:19], s[2:3], v18, s26, 0
	v_add3_u32 v19, v19, v22, v21
	v_mul_lo_u32 v21, v14, s27
	v_add3_u32 v25, v25, v21, v20
	v_lshlrev_b64 v[20:21], 1, v[18:19]
	v_mov_b32_e32 v18, s17
	v_add_co_u32_e32 v22, vcc, s16, v20
	v_addc_co_u32_e64 v23, s[2:3], v18, v21, vcc
	v_lshlrev_b64 v[18:19], 1, v[24:25]
	v_mov_b32_e32 v20, s17
	v_add_co_u32_e64 v24, s[2:3], s16, v18
	v_addc_co_u32_e64 v25, s[4:5], v20, v19, s[2:3]
	global_load_ushort v18, v[22:23], off
	global_load_ushort v20, v[24:25], off
	s_waitcnt vmcnt(0)
	v_cmp_eq_f16_e64 s[4:5], v18, v20
	s_and_saveexec_b64 s[10:11], s[4:5]
	s_cbranch_execz .LBB1337_203
; %bb.197:
	v_mov_b32_e32 v18, s17
	v_addc_co_u32_e64 v19, s[2:3], v19, v18, s[2:3]
	v_add_co_u32_e64 v18, s[2:3], 2, v24
	v_mov_b32_e32 v20, s17
	v_addc_co_u32_e64 v19, s[2:3], 0, v19, s[2:3]
	v_addc_co_u32_e32 v21, vcc, v21, v20, vcc
	v_add_co_u32_e32 v20, vcc, 2, v22
	s_add_u32 s2, s26, -1
	v_addc_co_u32_e32 v21, vcc, 0, v21, vcc
	s_addc_u32 s3, s27, -1
	s_mov_b64 s[4:5], 0
	s_mov_b64 s[38:39], 0
                                        ; implicit-def: $sgpr16_sgpr17
	s_branch .LBB1337_200
.LBB1337_198:                           ;   in Loop: Header=BB1337_200 Depth=1
	global_load_ushort v22, v[20:21], off
	global_load_ushort v23, v[18:19], off
	v_add_co_u32_e32 v18, vcc, 2, v18
	v_addc_co_u32_e32 v19, vcc, 0, v19, vcc
	v_add_co_u32_e32 v20, vcc, 2, v20
	v_addc_co_u32_e32 v21, vcc, 0, v21, vcc
	s_add_u32 s38, s38, 1
	s_addc_u32 s39, s39, 0
	s_andn2_b64 s[16:17], s[16:17], exec
	s_waitcnt vmcnt(0)
	v_cmp_neq_f16_e32 vcc, v22, v23
	s_and_b64 s[40:41], vcc, exec
	s_or_b64 s[16:17], s[16:17], s[40:41]
.LBB1337_199:                           ;   in Loop: Header=BB1337_200 Depth=1
	s_and_b64 s[40:41], exec, s[16:17]
	s_or_b64 s[4:5], s[40:41], s[4:5]
	v_pk_mov_b32 v[22:23], s[38:39], s[38:39] op_sel:[0,1]
	s_andn2_b64 exec, exec, s[4:5]
	s_cbranch_execz .LBB1337_202
.LBB1337_200:                           ; =>This Inner Loop Header: Depth=1
	s_or_b64 s[16:17], s[16:17], exec
	s_cmp_eq_u64 s[2:3], s[38:39]
	s_cbranch_scc0 .LBB1337_198
; %bb.201:                              ;   in Loop: Header=BB1337_200 Depth=1
                                        ; implicit-def: $vgpr18_vgpr19
                                        ; implicit-def: $vgpr20_vgpr21
	s_mov_b64 s[38:39], s[26:27]
	s_branch .LBB1337_199
.LBB1337_202:
	s_or_b64 exec, exec, s[4:5]
	v_cmp_gt_i64_e32 vcc, s[26:27], v[22:23]
	s_orn2_b64 s[38:39], vcc, exec
.LBB1337_203:
	s_or_b64 exec, exec, s[10:11]
.LBB1337_204:
	s_and_b64 s[2:3], s[38:39], exec
.LBB1337_205:
	s_or_b64 exec, exec, s[8:9]
	s_and_b64 s[38:39], s[2:3], exec
	s_or_b64 s[14:15], s[14:15], exec
.LBB1337_206:
	s_or_b64 exec, exec, s[6:7]
.LBB1337_207:
	s_and_saveexec_b64 s[2:3], s[14:15]
	s_cbranch_execz .LBB1337_209
; %bb.208:
	s_waitcnt vmcnt(0) lgkmcnt(0)
	v_and_b32_e32 v18, 0xffffff00, v28
	v_cndmask_b32_e64 v19, 0, 1, s[38:39]
	v_or_b32_e32 v18, v19, v18
	v_and_b32_e32 v18, 0xffff, v18
	s_mov_b32 s4, 0xffff0000
	v_and_or_b32 v28, v28, s4, v18
.LBB1337_209:
	s_or_b64 exec, exec, s[2:3]
	s_andn2_b64 vcc, exec, s[12:13]
	s_cbranch_vccnz .LBB1337_211
; %bb.210:
	v_cmp_gt_u32_e32 vcc, s48, v1
	s_waitcnt vmcnt(0) lgkmcnt(0)
	v_cndmask_b32_e32 v18, 0, v28, vcc
	v_or_b32_e32 v19, 1, v1
	v_and_b32_e32 v18, 0xff, v18
	v_cmp_gt_u32_e32 vcc, s48, v19
	v_cndmask_b32_e32 v18, v18, v28, vcc
	v_or_b32_e32 v19, 2, v1
	v_and_b32_e32 v18, 0xffff, v18
	v_cmp_gt_u32_e32 vcc, s48, v19
	;; [unrolled: 4-line block ×3, first 2 shown]
	v_cndmask_b32_e32 v28, v18, v28, vcc
.LBB1337_211:
	v_bfe_u32 v30, v28, 16, 8
	v_lshrrev_b32_e32 v29, 24, v28
	s_waitcnt vmcnt(0) lgkmcnt(0)
	v_add_u32_sdwa v18, v28, v28 dst_sel:DWORD dst_unused:UNUSED_PAD src0_sel:BYTE_1 src1_sel:BYTE_0
	v_add3_u32 v33, v18, v30, v29
	v_mbcnt_lo_u32_b32 v18, -1, 0
	v_mbcnt_hi_u32_b32 v31, -1, v18
	v_and_b32_e32 v18, 15, v31
	v_cmp_eq_u32_e64 s[14:15], 0, v18
	v_cmp_lt_u32_e64 s[12:13], 1, v18
	v_cmp_lt_u32_e64 s[10:11], 3, v18
	;; [unrolled: 1-line block ×3, first 2 shown]
	v_and_b32_e32 v18, 16, v31
	v_cmp_eq_u32_e64 s[6:7], 0, v18
	v_or_b32_e32 v18, 63, v0
	v_cmp_lt_u32_e64 s[2:3], 31, v31
	v_lshrrev_b32_e32 v32, 6, v0
	v_cmp_eq_u32_e64 s[4:5], v18, v0
	s_and_b64 vcc, exec, s[36:37]
	s_barrier
	s_cbranch_vccz .LBB1337_242
; %bb.212:
	v_mov_b32_dpp v18, v33 row_shr:1 row_mask:0xf bank_mask:0xf
	v_cndmask_b32_e64 v18, v18, 0, s[14:15]
	v_add_u32_e32 v18, v18, v33
	s_nop 1
	v_mov_b32_dpp v19, v18 row_shr:2 row_mask:0xf bank_mask:0xf
	v_cndmask_b32_e64 v19, 0, v19, s[12:13]
	v_add_u32_e32 v18, v18, v19
	s_nop 1
	;; [unrolled: 4-line block ×4, first 2 shown]
	v_mov_b32_dpp v19, v18 row_bcast:15 row_mask:0xf bank_mask:0xf
	v_cndmask_b32_e64 v19, v19, 0, s[6:7]
	v_add_u32_e32 v18, v18, v19
	s_nop 1
	v_mov_b32_dpp v19, v18 row_bcast:31 row_mask:0xf bank_mask:0xf
	v_cndmask_b32_e64 v19, 0, v19, s[2:3]
	v_add_u32_e32 v18, v18, v19
	s_and_saveexec_b64 s[16:17], s[4:5]
	s_cbranch_execz .LBB1337_214
; %bb.213:
	v_lshlrev_b32_e32 v19, 2, v32
	ds_write_b32 v19, v18
.LBB1337_214:
	s_or_b64 exec, exec, s[16:17]
	v_cmp_gt_u32_e32 vcc, 2, v0
	s_waitcnt lgkmcnt(0)
	s_barrier
	s_and_saveexec_b64 s[16:17], vcc
	s_cbranch_execz .LBB1337_216
; %bb.215:
	ds_read_b32 v19, v1
	v_bfe_i32 v20, v31, 0, 1
	s_waitcnt lgkmcnt(0)
	v_mov_b32_dpp v21, v19 row_shr:1 row_mask:0xf bank_mask:0xf
	v_and_b32_e32 v20, v20, v21
	v_add_u32_e32 v19, v20, v19
	ds_write_b32 v1, v19
.LBB1337_216:
	s_or_b64 exec, exec, s[16:17]
	v_cmp_gt_u32_e32 vcc, 64, v0
	v_cmp_lt_u32_e64 s[16:17], 63, v0
	s_waitcnt lgkmcnt(0)
	s_barrier
	s_waitcnt lgkmcnt(0)
                                        ; implicit-def: $vgpr34
	s_and_saveexec_b64 s[26:27], s[16:17]
	s_cbranch_execz .LBB1337_218
; %bb.217:
	v_lshl_add_u32 v19, v32, 2, -4
	ds_read_b32 v34, v19
	s_waitcnt lgkmcnt(0)
	v_add_u32_e32 v18, v34, v18
.LBB1337_218:
	s_or_b64 exec, exec, s[26:27]
	v_add_u32_e32 v19, -1, v31
	v_and_b32_e32 v20, 64, v31
	v_cmp_lt_i32_e64 s[16:17], v19, v20
	v_cndmask_b32_e64 v19, v19, v31, s[16:17]
	v_lshlrev_b32_e32 v19, 2, v19
	ds_bpermute_b32 v35, v19, v18
	v_cmp_eq_u32_e64 s[16:17], 0, v31
	s_and_saveexec_b64 s[26:27], vcc
	s_cbranch_execz .LBB1337_241
; %bb.219:
	v_mov_b32_e32 v27, 0
	ds_read_b32 v18, v27 offset:4
	s_and_saveexec_b64 s[36:37], s[16:17]
	s_cbranch_execz .LBB1337_221
; %bb.220:
	s_add_i32 s38, s33, 64
	s_mov_b32 s39, 0
	s_lshl_b64 s[38:39], s[38:39], 3
	s_add_u32 s38, s18, s38
	v_mov_b32_e32 v19, 1
	s_addc_u32 s39, s19, s39
	s_waitcnt lgkmcnt(0)
	global_store_dwordx2 v27, v[18:19], s[38:39]
.LBB1337_221:
	s_or_b64 exec, exec, s[36:37]
	v_xad_u32 v20, v31, -1, s33
	v_add_u32_e32 v26, 64, v20
	v_lshlrev_b64 v[22:23], 3, v[26:27]
	v_mov_b32_e32 v19, s19
	v_add_co_u32_e32 v22, vcc, s18, v22
	v_addc_co_u32_e32 v23, vcc, v19, v23, vcc
	global_load_dwordx2 v[24:25], v[22:23], off glc
	s_waitcnt vmcnt(0)
	v_cmp_eq_u16_sdwa s[38:39], v25, v27 src0_sel:BYTE_0 src1_sel:DWORD
	s_and_saveexec_b64 s[36:37], s[38:39]
	s_cbranch_execz .LBB1337_227
; %bb.222:
	s_mov_b32 s40, 1
	s_mov_b64 s[38:39], 0
	v_mov_b32_e32 v19, 0
.LBB1337_223:                           ; =>This Loop Header: Depth=1
                                        ;     Child Loop BB1337_224 Depth 2
	s_max_u32 s41, s40, 1
.LBB1337_224:                           ;   Parent Loop BB1337_223 Depth=1
                                        ; =>  This Inner Loop Header: Depth=2
	s_add_i32 s41, s41, -1
	s_cmp_eq_u32 s41, 0
	s_sleep 1
	s_cbranch_scc0 .LBB1337_224
; %bb.225:                              ;   in Loop: Header=BB1337_223 Depth=1
	global_load_dwordx2 v[24:25], v[22:23], off glc
	s_cmp_lt_u32 s40, 32
	s_cselect_b64 s[42:43], -1, 0
	s_cmp_lg_u64 s[42:43], 0
	s_addc_u32 s40, s40, 0
	s_waitcnt vmcnt(0)
	v_cmp_ne_u16_sdwa s[42:43], v25, v19 src0_sel:BYTE_0 src1_sel:DWORD
	s_or_b64 s[38:39], s[42:43], s[38:39]
	s_andn2_b64 exec, exec, s[38:39]
	s_cbranch_execnz .LBB1337_223
; %bb.226:
	s_or_b64 exec, exec, s[38:39]
.LBB1337_227:
	s_or_b64 exec, exec, s[36:37]
	v_and_b32_e32 v36, 63, v31
	v_mov_b32_e32 v19, 2
	v_cmp_ne_u32_e32 vcc, 63, v36
	v_cmp_eq_u16_sdwa s[36:37], v25, v19 src0_sel:BYTE_0 src1_sel:DWORD
	v_lshlrev_b64 v[22:23], v31, -1
	v_addc_co_u32_e32 v27, vcc, 0, v31, vcc
	v_and_b32_e32 v21, s37, v23
	v_lshlrev_b32_e32 v37, 2, v27
	v_or_b32_e32 v21, 0x80000000, v21
	ds_bpermute_b32 v27, v37, v24
	v_and_b32_e32 v26, s36, v22
	v_ffbl_b32_e32 v21, v21
	v_add_u32_e32 v21, 32, v21
	v_ffbl_b32_e32 v26, v26
	v_min_u32_e32 v21, v26, v21
	v_cmp_lt_u32_e32 vcc, v36, v21
	s_waitcnt lgkmcnt(0)
	v_cndmask_b32_e32 v26, 0, v27, vcc
	v_cmp_gt_u32_e32 vcc, 62, v36
	v_add_u32_e32 v24, v26, v24
	v_cndmask_b32_e64 v26, 0, 1, vcc
	v_lshlrev_b32_e32 v26, 1, v26
	v_add_lshl_u32 v38, v26, v31, 2
	ds_bpermute_b32 v26, v38, v24
	v_add_u32_e32 v39, 2, v36
	v_cmp_le_u32_e32 vcc, v39, v21
	v_add_u32_e32 v41, 4, v36
	v_add_u32_e32 v43, 8, v36
	s_waitcnt lgkmcnt(0)
	v_cndmask_b32_e32 v26, 0, v26, vcc
	v_cmp_gt_u32_e32 vcc, 60, v36
	v_add_u32_e32 v24, v24, v26
	v_cndmask_b32_e64 v26, 0, 1, vcc
	v_lshlrev_b32_e32 v26, 2, v26
	v_add_lshl_u32 v40, v26, v31, 2
	ds_bpermute_b32 v26, v40, v24
	v_cmp_le_u32_e32 vcc, v41, v21
	v_add_u32_e32 v46, 16, v36
	v_add_u32_e32 v48, 32, v36
	s_waitcnt lgkmcnt(0)
	v_cndmask_b32_e32 v26, 0, v26, vcc
	v_cmp_gt_u32_e32 vcc, 56, v36
	v_add_u32_e32 v24, v24, v26
	v_cndmask_b32_e64 v26, 0, 1, vcc
	v_lshlrev_b32_e32 v26, 3, v26
	v_add_lshl_u32 v42, v26, v31, 2
	ds_bpermute_b32 v26, v42, v24
	v_cmp_le_u32_e32 vcc, v43, v21
	s_waitcnt lgkmcnt(0)
	v_cndmask_b32_e32 v26, 0, v26, vcc
	v_cmp_gt_u32_e32 vcc, 48, v36
	v_add_u32_e32 v24, v24, v26
	v_cndmask_b32_e64 v26, 0, 1, vcc
	v_lshlrev_b32_e32 v26, 4, v26
	v_add_lshl_u32 v45, v26, v31, 2
	ds_bpermute_b32 v26, v45, v24
	v_cmp_le_u32_e32 vcc, v46, v21
	;; [unrolled: 9-line block ×3, first 2 shown]
	s_waitcnt lgkmcnt(0)
	v_cndmask_b32_e32 v21, 0, v26, vcc
	v_add_u32_e32 v24, v24, v21
	v_mov_b32_e32 v21, 0
	s_branch .LBB1337_229
.LBB1337_228:                           ;   in Loop: Header=BB1337_229 Depth=1
	s_or_b64 exec, exec, s[36:37]
	v_cmp_eq_u16_sdwa s[36:37], v25, v19 src0_sel:BYTE_0 src1_sel:DWORD
	v_and_b32_e32 v26, s37, v23
	v_or_b32_e32 v26, 0x80000000, v26
	ds_bpermute_b32 v49, v37, v24
	v_and_b32_e32 v27, s36, v22
	v_ffbl_b32_e32 v26, v26
	v_add_u32_e32 v26, 32, v26
	v_ffbl_b32_e32 v27, v27
	v_min_u32_e32 v26, v27, v26
	v_cmp_lt_u32_e32 vcc, v36, v26
	s_waitcnt lgkmcnt(0)
	v_cndmask_b32_e32 v27, 0, v49, vcc
	v_add_u32_e32 v24, v27, v24
	ds_bpermute_b32 v27, v38, v24
	v_cmp_le_u32_e32 vcc, v39, v26
	v_subrev_u32_e32 v20, 64, v20
	s_waitcnt lgkmcnt(0)
	v_cndmask_b32_e32 v27, 0, v27, vcc
	v_add_u32_e32 v24, v24, v27
	ds_bpermute_b32 v27, v40, v24
	v_cmp_le_u32_e32 vcc, v41, v26
	s_waitcnt lgkmcnt(0)
	v_cndmask_b32_e32 v27, 0, v27, vcc
	v_add_u32_e32 v24, v24, v27
	ds_bpermute_b32 v27, v42, v24
	v_cmp_le_u32_e32 vcc, v43, v26
	;; [unrolled: 5-line block ×4, first 2 shown]
	s_waitcnt lgkmcnt(0)
	v_cndmask_b32_e32 v26, 0, v27, vcc
	v_add3_u32 v24, v26, v44, v24
.LBB1337_229:                           ; =>This Loop Header: Depth=1
                                        ;     Child Loop BB1337_232 Depth 2
                                        ;       Child Loop BB1337_233 Depth 3
	v_cmp_ne_u16_sdwa s[36:37], v25, v19 src0_sel:BYTE_0 src1_sel:DWORD
	v_cndmask_b32_e64 v25, 0, 1, s[36:37]
	;;#ASMSTART
	;;#ASMEND
	v_cmp_ne_u32_e32 vcc, 0, v25
	s_cmp_lg_u64 vcc, exec
	v_mov_b32_e32 v44, v24
	s_cbranch_scc1 .LBB1337_236
; %bb.230:                              ;   in Loop: Header=BB1337_229 Depth=1
	v_lshlrev_b64 v[24:25], 3, v[20:21]
	v_mov_b32_e32 v27, s19
	v_add_co_u32_e32 v26, vcc, s18, v24
	v_addc_co_u32_e32 v27, vcc, v27, v25, vcc
	global_load_dwordx2 v[24:25], v[26:27], off glc
	s_waitcnt vmcnt(0)
	v_cmp_eq_u16_sdwa s[38:39], v25, v21 src0_sel:BYTE_0 src1_sel:DWORD
	s_and_saveexec_b64 s[36:37], s[38:39]
	s_cbranch_execz .LBB1337_228
; %bb.231:                              ;   in Loop: Header=BB1337_229 Depth=1
	s_mov_b32 s40, 1
	s_mov_b64 s[38:39], 0
.LBB1337_232:                           ;   Parent Loop BB1337_229 Depth=1
                                        ; =>  This Loop Header: Depth=2
                                        ;       Child Loop BB1337_233 Depth 3
	s_max_u32 s41, s40, 1
.LBB1337_233:                           ;   Parent Loop BB1337_229 Depth=1
                                        ;     Parent Loop BB1337_232 Depth=2
                                        ; =>    This Inner Loop Header: Depth=3
	s_add_i32 s41, s41, -1
	s_cmp_eq_u32 s41, 0
	s_sleep 1
	s_cbranch_scc0 .LBB1337_233
; %bb.234:                              ;   in Loop: Header=BB1337_232 Depth=2
	global_load_dwordx2 v[24:25], v[26:27], off glc
	s_cmp_lt_u32 s40, 32
	s_cselect_b64 s[42:43], -1, 0
	s_cmp_lg_u64 s[42:43], 0
	s_addc_u32 s40, s40, 0
	s_waitcnt vmcnt(0)
	v_cmp_ne_u16_sdwa s[42:43], v25, v21 src0_sel:BYTE_0 src1_sel:DWORD
	s_or_b64 s[38:39], s[42:43], s[38:39]
	s_andn2_b64 exec, exec, s[38:39]
	s_cbranch_execnz .LBB1337_232
; %bb.235:                              ;   in Loop: Header=BB1337_229 Depth=1
	s_or_b64 exec, exec, s[38:39]
	s_branch .LBB1337_228
.LBB1337_236:                           ;   in Loop: Header=BB1337_229 Depth=1
                                        ; implicit-def: $vgpr24
                                        ; implicit-def: $vgpr25
	s_cbranch_execz .LBB1337_229
; %bb.237:
	s_and_saveexec_b64 s[36:37], s[16:17]
	s_cbranch_execz .LBB1337_239
; %bb.238:
	s_add_i32 s38, s33, 64
	s_mov_b32 s39, 0
	s_lshl_b64 s[38:39], s[38:39], 3
	s_add_u32 s38, s18, s38
	v_add_u32_e32 v20, v44, v18
	v_mov_b32_e32 v21, 2
	s_addc_u32 s39, s19, s39
	v_mov_b32_e32 v19, 0
	s_movk_i32 s33, 0x1000
	global_store_dwordx2 v19, v[20:21], s[38:39]
	v_add_u32_e64 v19, s33, 0
	ds_write2_b32 v19, v18, v44 offset0:32 offset1:34
.LBB1337_239:
	s_or_b64 exec, exec, s[36:37]
	s_and_b64 exec, exec, s[0:1]
	s_cbranch_execz .LBB1337_241
; %bb.240:
	v_mov_b32_e32 v18, 0
	ds_write_b32 v18, v44 offset:4
.LBB1337_241:
	s_or_b64 exec, exec, s[26:27]
	v_mov_b32_e32 v19, 0
	s_waitcnt lgkmcnt(0)
	s_barrier
	ds_read_b32 v19, v19 offset:4
	v_cndmask_b32_e64 v18, v35, v34, s[16:17]
	s_movk_i32 s16, 0x1000
	v_add_u32_e64 v20, s16, 0
	s_waitcnt lgkmcnt(0)
	s_barrier
	ds_read2_b32 v[26:27], v20 offset0:32 offset1:34
	v_cndmask_b32_e64 v18, v18, 0, s[0:1]
	v_add_u32_e32 v24, v19, v18
	v_add_u32_sdwa v22, v24, v28 dst_sel:DWORD dst_unused:UNUSED_PAD src0_sel:DWORD src1_sel:BYTE_0
	v_add_u32_sdwa v20, v22, v28 dst_sel:DWORD dst_unused:UNUSED_PAD src0_sel:DWORD src1_sel:BYTE_1
	v_add_u32_e32 v18, v20, v30
	s_waitcnt lgkmcnt(0)
	v_readfirstlane_b32 s33, v26
	v_readfirstlane_b32 s16, v27
	s_branch .LBB1337_252
.LBB1337_242:
                                        ; implicit-def: $vgpr18
                                        ; implicit-def: $vgpr20
                                        ; implicit-def: $vgpr22
                                        ; implicit-def: $vgpr24
                                        ; implicit-def: $sgpr16
                                        ; implicit-def: $sgpr33
	s_cbranch_execz .LBB1337_252
; %bb.243:
	s_nop 0
	v_mov_b32_dpp v18, v33 row_shr:1 row_mask:0xf bank_mask:0xf
	v_cndmask_b32_e64 v18, v18, 0, s[14:15]
	v_add_u32_e32 v18, v18, v33
	s_nop 1
	v_mov_b32_dpp v19, v18 row_shr:2 row_mask:0xf bank_mask:0xf
	v_cndmask_b32_e64 v19, 0, v19, s[12:13]
	v_add_u32_e32 v18, v18, v19
	;; [unrolled: 4-line block ×4, first 2 shown]
	s_nop 1
	v_mov_b32_dpp v19, v18 row_bcast:15 row_mask:0xf bank_mask:0xf
	v_cndmask_b32_e64 v19, v19, 0, s[6:7]
	v_add_u32_e32 v18, v18, v19
	s_nop 1
	v_mov_b32_dpp v19, v18 row_bcast:31 row_mask:0xf bank_mask:0xf
	v_cndmask_b32_e64 v19, 0, v19, s[2:3]
	v_add_u32_e32 v18, v18, v19
	s_and_saveexec_b64 s[2:3], s[4:5]
	s_cbranch_execz .LBB1337_245
; %bb.244:
	v_lshlrev_b32_e32 v19, 2, v32
	ds_write_b32 v19, v18
.LBB1337_245:
	s_or_b64 exec, exec, s[2:3]
	v_cmp_gt_u32_e32 vcc, 2, v0
	s_waitcnt lgkmcnt(0)
	s_barrier
	s_and_saveexec_b64 s[2:3], vcc
	s_cbranch_execz .LBB1337_247
; %bb.246:
	ds_read_b32 v19, v1
	v_bfe_i32 v20, v31, 0, 1
	s_waitcnt lgkmcnt(0)
	v_mov_b32_dpp v21, v19 row_shr:1 row_mask:0xf bank_mask:0xf
	v_and_b32_e32 v20, v20, v21
	v_add_u32_e32 v19, v20, v19
	ds_write_b32 v1, v19
.LBB1337_247:
	s_or_b64 exec, exec, s[2:3]
	v_cmp_lt_u32_e32 vcc, 63, v0
	v_mov_b32_e32 v19, 0
	v_mov_b32_e32 v1, 0
	s_waitcnt lgkmcnt(0)
	s_barrier
	s_and_saveexec_b64 s[2:3], vcc
	s_cbranch_execz .LBB1337_249
; %bb.248:
	v_lshl_add_u32 v1, v32, 2, -4
	ds_read_b32 v1, v1
.LBB1337_249:
	s_or_b64 exec, exec, s[2:3]
	v_add_u32_e32 v20, -1, v31
	v_and_b32_e32 v21, 64, v31
	v_cmp_lt_i32_e32 vcc, v20, v21
	v_cndmask_b32_e32 v20, v20, v31, vcc
	s_waitcnt lgkmcnt(0)
	v_add_u32_e32 v18, v1, v18
	v_lshlrev_b32_e32 v20, 2, v20
	ds_read_b32 v19, v19 offset:4
	ds_bpermute_b32 v18, v20, v18
	s_waitcnt lgkmcnt(1)
	v_readfirstlane_b32 s33, v19
	s_and_saveexec_b64 s[2:3], s[0:1]
	s_cbranch_execz .LBB1337_251
; %bb.250:
	v_mov_b32_e32 v19, 0
	v_mov_b32_e32 v20, s33
	;; [unrolled: 1-line block ×3, first 2 shown]
	global_store_dwordx2 v19, v[20:21], s[18:19] offset:512
.LBB1337_251:
	s_or_b64 exec, exec, s[2:3]
	v_cmp_eq_u32_e32 vcc, 0, v31
	s_waitcnt lgkmcnt(0)
	v_cndmask_b32_e32 v1, v18, v1, vcc
	v_cndmask_b32_e64 v24, v1, 0, s[0:1]
	v_add_u32_sdwa v22, v24, v28 dst_sel:DWORD dst_unused:UNUSED_PAD src0_sel:DWORD src1_sel:BYTE_0
	v_add_u32_sdwa v20, v22, v28 dst_sel:DWORD dst_unused:UNUSED_PAD src0_sel:DWORD src1_sel:BYTE_1
	s_mov_b32 s16, 0
	v_add_u32_e32 v18, v20, v30
	s_barrier
.LBB1337_252:
	s_cmpk_lt_u32 s33, 0x81
	s_cselect_b64 s[4:5], -1, 0
	v_lshrrev_b32_e32 v1, 8, v28
	s_mov_b64 s[2:3], -1
	s_and_b64 vcc, exec, s[4:5]
	s_cbranch_vccz .LBB1337_266
; %bb.253:
	s_add_i32 s6, s16, s33
	v_cmp_gt_u32_e32 vcc, s6, v24
	s_or_b64 s[8:9], s[34:35], vcc
	s_and_saveexec_b64 s[2:3], s[8:9]
	s_cbranch_execz .LBB1337_256
; %bb.254:
	v_and_b32_e32 v19, 1, v28
	v_cmp_eq_u32_e32 vcc, 1, v19
	s_and_b64 exec, exec, vcc
	s_cbranch_execz .LBB1337_256
; %bb.255:
	s_lshl_b64 s[8:9], s[22:23], 3
	s_add_u32 s7, s28, s8
	v_mov_b32_e32 v25, 0
	s_addc_u32 s8, s29, s9
	v_lshlrev_b64 v[26:27], 3, v[24:25]
	v_mov_b32_e32 v19, s8
	v_add_co_u32_e32 v26, vcc, s7, v26
	v_addc_co_u32_e32 v27, vcc, v19, v27, vcc
	global_store_dwordx2 v[26:27], v[14:15], off
.LBB1337_256:
	s_or_b64 exec, exec, s[2:3]
	v_cmp_gt_u32_e32 vcc, s6, v22
	s_or_b64 s[8:9], s[34:35], vcc
	s_and_saveexec_b64 s[2:3], s[8:9]
	s_cbranch_execz .LBB1337_259
; %bb.257:
	v_and_b32_e32 v19, 1, v1
	v_cmp_eq_u32_e32 vcc, 1, v19
	s_and_b64 exec, exec, vcc
	s_cbranch_execz .LBB1337_259
; %bb.258:
	s_lshl_b64 s[8:9], s[22:23], 3
	s_add_u32 s7, s28, s8
	v_mov_b32_e32 v23, 0
	s_addc_u32 s8, s29, s9
	v_lshlrev_b64 v[26:27], 3, v[22:23]
	v_mov_b32_e32 v19, s8
	v_add_co_u32_e32 v26, vcc, s7, v26
	v_addc_co_u32_e32 v27, vcc, v19, v27, vcc
	global_store_dwordx2 v[26:27], v[16:17], off
.LBB1337_259:
	s_or_b64 exec, exec, s[2:3]
	v_cmp_gt_u32_e32 vcc, s6, v20
	s_or_b64 s[8:9], s[34:35], vcc
	s_and_saveexec_b64 s[2:3], s[8:9]
	s_cbranch_execz .LBB1337_262
; %bb.260:
	v_mov_b32_e32 v19, 1
	v_and_b32_sdwa v19, v19, v28 dst_sel:DWORD dst_unused:UNUSED_PAD src0_sel:DWORD src1_sel:WORD_1
	v_cmp_eq_u32_e32 vcc, 1, v19
	s_and_b64 exec, exec, vcc
	s_cbranch_execz .LBB1337_262
; %bb.261:
	s_lshl_b64 s[8:9], s[22:23], 3
	s_add_u32 s7, s28, s8
	v_mov_b32_e32 v21, 0
	s_addc_u32 s8, s29, s9
	v_lshlrev_b64 v[26:27], 3, v[20:21]
	v_mov_b32_e32 v19, s8
	v_add_co_u32_e32 v26, vcc, s7, v26
	v_addc_co_u32_e32 v27, vcc, v19, v27, vcc
	global_store_dwordx2 v[26:27], v[10:11], off
.LBB1337_262:
	s_or_b64 exec, exec, s[2:3]
	v_cmp_gt_u32_e32 vcc, s6, v18
	s_or_b64 s[6:7], s[34:35], vcc
	s_and_saveexec_b64 s[2:3], s[6:7]
	s_cbranch_execz .LBB1337_265
; %bb.263:
	v_and_b32_e32 v19, 1, v29
	v_cmp_eq_u32_e32 vcc, 1, v19
	s_and_b64 exec, exec, vcc
	s_cbranch_execz .LBB1337_265
; %bb.264:
	s_lshl_b64 s[6:7], s[22:23], 3
	s_add_u32 s6, s28, s6
	v_mov_b32_e32 v19, 0
	s_addc_u32 s7, s29, s7
	v_lshlrev_b64 v[26:27], 3, v[18:19]
	v_mov_b32_e32 v19, s7
	v_add_co_u32_e32 v26, vcc, s6, v26
	v_addc_co_u32_e32 v27, vcc, v19, v27, vcc
	global_store_dwordx2 v[26:27], v[12:13], off
.LBB1337_265:
	s_or_b64 exec, exec, s[2:3]
	s_mov_b64 s[2:3], 0
.LBB1337_266:
	v_and_b32_e32 v26, 1, v28
	s_and_b64 vcc, exec, s[2:3]
	v_cmp_eq_u32_e64 s[2:3], 1, v26
	s_cbranch_vccz .LBB1337_279
; %bb.267:
	s_and_saveexec_b64 s[6:7], s[2:3]
	s_cbranch_execz .LBB1337_269
; %bb.268:
	v_subrev_u32_e32 v19, s16, v24
	v_lshlrev_b32_e32 v19, 3, v19
	ds_write_b64 v19, v[14:15]
.LBB1337_269:
	s_or_b64 exec, exec, s[6:7]
	v_and_b32_e32 v14, 1, v1
	v_cmp_eq_u32_e32 vcc, 1, v14
	s_and_saveexec_b64 s[2:3], vcc
	s_cbranch_execz .LBB1337_271
; %bb.270:
	v_subrev_u32_e32 v14, s16, v22
	v_lshlrev_b32_e32 v14, 3, v14
	ds_write_b64 v14, v[16:17]
.LBB1337_271:
	s_or_b64 exec, exec, s[2:3]
	v_mov_b32_e32 v14, 1
	v_and_b32_sdwa v14, v14, v28 dst_sel:DWORD dst_unused:UNUSED_PAD src0_sel:DWORD src1_sel:WORD_1
	v_cmp_eq_u32_e32 vcc, 1, v14
	s_and_saveexec_b64 s[2:3], vcc
	s_cbranch_execz .LBB1337_273
; %bb.272:
	v_subrev_u32_e32 v14, s16, v20
	v_lshlrev_b32_e32 v14, 3, v14
	ds_write_b64 v14, v[10:11]
.LBB1337_273:
	s_or_b64 exec, exec, s[2:3]
	v_and_b32_e32 v10, 1, v29
	v_cmp_eq_u32_e32 vcc, 1, v10
	s_and_saveexec_b64 s[2:3], vcc
	s_cbranch_execz .LBB1337_275
; %bb.274:
	v_subrev_u32_e32 v10, s16, v18
	v_lshlrev_b32_e32 v10, 3, v10
	ds_write_b64 v10, v[12:13]
.LBB1337_275:
	s_or_b64 exec, exec, s[2:3]
	v_cmp_gt_u32_e32 vcc, s33, v0
	s_waitcnt lgkmcnt(0)
	s_barrier
	s_and_saveexec_b64 s[2:3], vcc
	s_cbranch_execz .LBB1337_278
; %bb.276:
	s_mov_b32 s17, 0
	s_lshl_b64 s[6:7], s[16:17], 3
	s_add_u32 s8, s28, s6
	s_addc_u32 s9, s29, s7
	s_lshl_b64 s[6:7], s[22:23], 3
	s_add_u32 s8, s8, s6
	s_addc_u32 s9, s9, s7
	v_lshlrev_b32_e32 v12, 3, v0
	s_mov_b64 s[6:7], 0
	v_mov_b32_e32 v11, 0
	v_mov_b32_e32 v13, s9
	v_mov_b32_e32 v10, v0
.LBB1337_277:                           ; =>This Inner Loop Header: Depth=1
	ds_read_b64 v[14:15], v12
	v_lshlrev_b64 v[16:17], 3, v[10:11]
	v_add_co_u32_e32 v16, vcc, s8, v16
	v_add_u32_e32 v10, 0x80, v10
	v_addc_co_u32_e32 v17, vcc, v13, v17, vcc
	v_cmp_le_u32_e32 vcc, s33, v10
	v_add_u32_e32 v12, 0x400, v12
	s_or_b64 s[6:7], vcc, s[6:7]
	s_waitcnt lgkmcnt(0)
	global_store_dwordx2 v[16:17], v[14:15], off
	s_andn2_b64 exec, exec, s[6:7]
	s_cbranch_execnz .LBB1337_277
.LBB1337_278:
	s_or_b64 exec, exec, s[2:3]
.LBB1337_279:
	s_mov_b64 s[2:3], -1
	s_and_b64 vcc, exec, s[4:5]
	s_barrier
	s_cbranch_vccnz .LBB1337_283
; %bb.280:
	s_and_b64 vcc, exec, s[2:3]
	s_cbranch_vccnz .LBB1337_296
.LBB1337_281:
	s_and_b64 s[0:1], s[0:1], s[24:25]
	s_and_saveexec_b64 s[2:3], s[0:1]
	s_cbranch_execnz .LBB1337_308
.LBB1337_282:
	s_endpgm
.LBB1337_283:
	s_add_i32 s4, s16, s33
	v_cmp_gt_u32_e32 vcc, s4, v24
	s_or_b64 s[6:7], s[34:35], vcc
	s_and_saveexec_b64 s[2:3], s[6:7]
	s_cbranch_execz .LBB1337_286
; %bb.284:
	v_cmp_eq_u32_e32 vcc, 1, v26
	s_and_b64 exec, exec, vcc
	s_cbranch_execz .LBB1337_286
; %bb.285:
	s_lshl_b64 s[6:7], s[22:23], 3
	s_add_u32 s5, s30, s6
	v_mov_b32_e32 v25, 0
	s_addc_u32 s6, s31, s7
	v_lshlrev_b64 v[10:11], 3, v[24:25]
	v_mov_b32_e32 v12, s6
	v_add_co_u32_e32 v10, vcc, s5, v10
	v_addc_co_u32_e32 v11, vcc, v12, v11, vcc
	global_store_dwordx2 v[10:11], v[6:7], off
.LBB1337_286:
	s_or_b64 exec, exec, s[2:3]
	v_cmp_gt_u32_e32 vcc, s4, v22
	s_or_b64 s[6:7], s[34:35], vcc
	s_and_saveexec_b64 s[2:3], s[6:7]
	s_cbranch_execz .LBB1337_289
; %bb.287:
	v_and_b32_e32 v10, 1, v1
	v_cmp_eq_u32_e32 vcc, 1, v10
	s_and_b64 exec, exec, vcc
	s_cbranch_execz .LBB1337_289
; %bb.288:
	s_lshl_b64 s[6:7], s[22:23], 3
	s_add_u32 s5, s30, s6
	v_mov_b32_e32 v23, 0
	s_addc_u32 s6, s31, s7
	v_lshlrev_b64 v[10:11], 3, v[22:23]
	v_mov_b32_e32 v12, s6
	v_add_co_u32_e32 v10, vcc, s5, v10
	v_addc_co_u32_e32 v11, vcc, v12, v11, vcc
	global_store_dwordx2 v[10:11], v[8:9], off
.LBB1337_289:
	s_or_b64 exec, exec, s[2:3]
	v_cmp_gt_u32_e32 vcc, s4, v20
	s_or_b64 s[6:7], s[34:35], vcc
	s_and_saveexec_b64 s[2:3], s[6:7]
	s_cbranch_execz .LBB1337_292
; %bb.290:
	v_mov_b32_e32 v10, 1
	v_and_b32_sdwa v10, v10, v28 dst_sel:DWORD dst_unused:UNUSED_PAD src0_sel:DWORD src1_sel:WORD_1
	v_cmp_eq_u32_e32 vcc, 1, v10
	s_and_b64 exec, exec, vcc
	s_cbranch_execz .LBB1337_292
; %bb.291:
	s_lshl_b64 s[6:7], s[22:23], 3
	s_add_u32 s5, s30, s6
	v_mov_b32_e32 v21, 0
	s_addc_u32 s6, s31, s7
	v_lshlrev_b64 v[10:11], 3, v[20:21]
	v_mov_b32_e32 v12, s6
	v_add_co_u32_e32 v10, vcc, s5, v10
	v_addc_co_u32_e32 v11, vcc, v12, v11, vcc
	global_store_dwordx2 v[10:11], v[2:3], off
.LBB1337_292:
	s_or_b64 exec, exec, s[2:3]
	v_cmp_gt_u32_e32 vcc, s4, v18
	s_or_b64 s[4:5], s[34:35], vcc
	s_and_saveexec_b64 s[2:3], s[4:5]
	s_cbranch_execz .LBB1337_295
; %bb.293:
	v_and_b32_e32 v10, 1, v29
	v_cmp_eq_u32_e32 vcc, 1, v10
	s_and_b64 exec, exec, vcc
	s_cbranch_execz .LBB1337_295
; %bb.294:
	s_lshl_b64 s[4:5], s[22:23], 3
	s_add_u32 s4, s30, s4
	v_mov_b32_e32 v19, 0
	s_addc_u32 s5, s31, s5
	v_lshlrev_b64 v[10:11], 3, v[18:19]
	v_mov_b32_e32 v12, s5
	v_add_co_u32_e32 v10, vcc, s4, v10
	v_addc_co_u32_e32 v11, vcc, v12, v11, vcc
	global_store_dwordx2 v[10:11], v[4:5], off
.LBB1337_295:
	s_or_b64 exec, exec, s[2:3]
	s_branch .LBB1337_281
.LBB1337_296:
	v_cmp_eq_u32_e32 vcc, 1, v26
	s_and_saveexec_b64 s[2:3], vcc
	s_cbranch_execz .LBB1337_298
; %bb.297:
	v_subrev_u32_e32 v10, s16, v24
	v_lshlrev_b32_e32 v10, 3, v10
	ds_write_b64 v10, v[6:7]
.LBB1337_298:
	s_or_b64 exec, exec, s[2:3]
	v_and_b32_e32 v1, 1, v1
	v_cmp_eq_u32_e32 vcc, 1, v1
	s_and_saveexec_b64 s[2:3], vcc
	s_cbranch_execz .LBB1337_300
; %bb.299:
	v_subrev_u32_e32 v1, s16, v22
	v_lshlrev_b32_e32 v1, 3, v1
	ds_write_b64 v1, v[8:9]
.LBB1337_300:
	s_or_b64 exec, exec, s[2:3]
	v_mov_b32_e32 v1, 1
	v_and_b32_sdwa v1, v1, v28 dst_sel:DWORD dst_unused:UNUSED_PAD src0_sel:DWORD src1_sel:WORD_1
	v_cmp_eq_u32_e32 vcc, 1, v1
	s_and_saveexec_b64 s[2:3], vcc
	s_cbranch_execz .LBB1337_302
; %bb.301:
	v_subrev_u32_e32 v1, s16, v20
	v_lshlrev_b32_e32 v1, 3, v1
	ds_write_b64 v1, v[2:3]
.LBB1337_302:
	s_or_b64 exec, exec, s[2:3]
	v_and_b32_e32 v1, 1, v29
	v_cmp_eq_u32_e32 vcc, 1, v1
	s_and_saveexec_b64 s[2:3], vcc
	s_cbranch_execz .LBB1337_304
; %bb.303:
	v_subrev_u32_e32 v1, s16, v18
	v_lshlrev_b32_e32 v1, 3, v1
	ds_write_b64 v1, v[4:5]
.LBB1337_304:
	s_or_b64 exec, exec, s[2:3]
	v_cmp_gt_u32_e32 vcc, s33, v0
	s_waitcnt lgkmcnt(0)
	s_barrier
	s_and_saveexec_b64 s[2:3], vcc
	s_cbranch_execz .LBB1337_307
; %bb.305:
	s_mov_b32 s17, 0
	s_lshl_b64 s[4:5], s[16:17], 3
	s_add_u32 s6, s30, s4
	s_addc_u32 s7, s31, s5
	s_lshl_b64 s[4:5], s[22:23], 3
	s_add_u32 s6, s6, s4
	s_addc_u32 s7, s7, s5
	v_lshlrev_b32_e32 v2, 3, v0
	s_mov_b64 s[4:5], 0
	v_mov_b32_e32 v1, 0
	v_mov_b32_e32 v3, s7
.LBB1337_306:                           ; =>This Inner Loop Header: Depth=1
	ds_read_b64 v[4:5], v2
	v_lshlrev_b64 v[6:7], 3, v[0:1]
	v_add_co_u32_e32 v6, vcc, s6, v6
	v_add_u32_e32 v0, 0x80, v0
	v_addc_co_u32_e32 v7, vcc, v3, v7, vcc
	v_cmp_le_u32_e32 vcc, s33, v0
	v_add_u32_e32 v2, 0x400, v2
	s_or_b64 s[4:5], vcc, s[4:5]
	s_waitcnt lgkmcnt(0)
	global_store_dwordx2 v[6:7], v[4:5], off
	s_andn2_b64 exec, exec, s[4:5]
	s_cbranch_execnz .LBB1337_306
.LBB1337_307:
	s_or_b64 exec, exec, s[2:3]
	s_and_b64 s[0:1], s[0:1], s[24:25]
	s_and_saveexec_b64 s[2:3], s[0:1]
	s_cbranch_execz .LBB1337_282
.LBB1337_308:
	s_add_u32 s0, s22, s33
	s_addc_u32 s1, s23, 0
	s_add_u32 s0, s0, s16
	s_addc_u32 s1, s1, 0
	v_mov_b32_e32 v2, 0
	v_pk_mov_b32 v[0:1], s[0:1], s[0:1] op_sel:[0,1]
	global_store_dwordx2 v2, v[0:1], s[20:21]
	s_endpgm
	.section	.rodata,"a",@progbits
	.p2align	6, 0x0
	.amdhsa_kernel _ZN7rocprim17ROCPRIM_400000_NS6detail17trampoline_kernelINS0_14default_configENS1_25partition_config_selectorILNS1_17partition_subalgoE9EllbEEZZNS1_14partition_implILS5_9ELb0ES3_jPlS8_PNS0_10empty_typeENS0_5tupleIJS8_S9_EEENSB_IJS8_SA_EEENS0_18inequality_wrapperIZN2at6native12_GLOBAL__N_124unique_dim_cuda_templateIN3c104HalfEEESt5tupleIJNSF_6TensorESM_SM_EERKSM_lbbbEUlllE0_EEPmJS9_EEE10hipError_tPvRmT3_T4_T5_T6_T7_T9_mT8_P12ihipStream_tbDpT10_ENKUlT_T0_E_clISt17integral_constantIbLb1EES1C_EEDaS17_S18_EUlS17_E_NS1_11comp_targetILNS1_3genE4ELNS1_11target_archE910ELNS1_3gpuE8ELNS1_3repE0EEENS1_30default_config_static_selectorELNS0_4arch9wavefront6targetE1EEEvT1_
		.amdhsa_group_segment_fixed_size 4236
		.amdhsa_private_segment_fixed_size 0
		.amdhsa_kernarg_size 136
		.amdhsa_user_sgpr_count 6
		.amdhsa_user_sgpr_private_segment_buffer 1
		.amdhsa_user_sgpr_dispatch_ptr 0
		.amdhsa_user_sgpr_queue_ptr 0
		.amdhsa_user_sgpr_kernarg_segment_ptr 1
		.amdhsa_user_sgpr_dispatch_id 0
		.amdhsa_user_sgpr_flat_scratch_init 0
		.amdhsa_user_sgpr_kernarg_preload_length 0
		.amdhsa_user_sgpr_kernarg_preload_offset 0
		.amdhsa_user_sgpr_private_segment_size 0
		.amdhsa_uses_dynamic_stack 0
		.amdhsa_system_sgpr_private_segment_wavefront_offset 0
		.amdhsa_system_sgpr_workgroup_id_x 1
		.amdhsa_system_sgpr_workgroup_id_y 0
		.amdhsa_system_sgpr_workgroup_id_z 0
		.amdhsa_system_sgpr_workgroup_info 0
		.amdhsa_system_vgpr_workitem_id 0
		.amdhsa_next_free_vgpr 50
		.amdhsa_next_free_sgpr 52
		.amdhsa_accum_offset 52
		.amdhsa_reserve_vcc 1
		.amdhsa_reserve_flat_scratch 0
		.amdhsa_float_round_mode_32 0
		.amdhsa_float_round_mode_16_64 0
		.amdhsa_float_denorm_mode_32 3
		.amdhsa_float_denorm_mode_16_64 3
		.amdhsa_dx10_clamp 1
		.amdhsa_ieee_mode 1
		.amdhsa_fp16_overflow 0
		.amdhsa_tg_split 0
		.amdhsa_exception_fp_ieee_invalid_op 0
		.amdhsa_exception_fp_denorm_src 0
		.amdhsa_exception_fp_ieee_div_zero 0
		.amdhsa_exception_fp_ieee_overflow 0
		.amdhsa_exception_fp_ieee_underflow 0
		.amdhsa_exception_fp_ieee_inexact 0
		.amdhsa_exception_int_div_zero 0
	.end_amdhsa_kernel
	.section	.text._ZN7rocprim17ROCPRIM_400000_NS6detail17trampoline_kernelINS0_14default_configENS1_25partition_config_selectorILNS1_17partition_subalgoE9EllbEEZZNS1_14partition_implILS5_9ELb0ES3_jPlS8_PNS0_10empty_typeENS0_5tupleIJS8_S9_EEENSB_IJS8_SA_EEENS0_18inequality_wrapperIZN2at6native12_GLOBAL__N_124unique_dim_cuda_templateIN3c104HalfEEESt5tupleIJNSF_6TensorESM_SM_EERKSM_lbbbEUlllE0_EEPmJS9_EEE10hipError_tPvRmT3_T4_T5_T6_T7_T9_mT8_P12ihipStream_tbDpT10_ENKUlT_T0_E_clISt17integral_constantIbLb1EES1C_EEDaS17_S18_EUlS17_E_NS1_11comp_targetILNS1_3genE4ELNS1_11target_archE910ELNS1_3gpuE8ELNS1_3repE0EEENS1_30default_config_static_selectorELNS0_4arch9wavefront6targetE1EEEvT1_,"axG",@progbits,_ZN7rocprim17ROCPRIM_400000_NS6detail17trampoline_kernelINS0_14default_configENS1_25partition_config_selectorILNS1_17partition_subalgoE9EllbEEZZNS1_14partition_implILS5_9ELb0ES3_jPlS8_PNS0_10empty_typeENS0_5tupleIJS8_S9_EEENSB_IJS8_SA_EEENS0_18inequality_wrapperIZN2at6native12_GLOBAL__N_124unique_dim_cuda_templateIN3c104HalfEEESt5tupleIJNSF_6TensorESM_SM_EERKSM_lbbbEUlllE0_EEPmJS9_EEE10hipError_tPvRmT3_T4_T5_T6_T7_T9_mT8_P12ihipStream_tbDpT10_ENKUlT_T0_E_clISt17integral_constantIbLb1EES1C_EEDaS17_S18_EUlS17_E_NS1_11comp_targetILNS1_3genE4ELNS1_11target_archE910ELNS1_3gpuE8ELNS1_3repE0EEENS1_30default_config_static_selectorELNS0_4arch9wavefront6targetE1EEEvT1_,comdat
.Lfunc_end1337:
	.size	_ZN7rocprim17ROCPRIM_400000_NS6detail17trampoline_kernelINS0_14default_configENS1_25partition_config_selectorILNS1_17partition_subalgoE9EllbEEZZNS1_14partition_implILS5_9ELb0ES3_jPlS8_PNS0_10empty_typeENS0_5tupleIJS8_S9_EEENSB_IJS8_SA_EEENS0_18inequality_wrapperIZN2at6native12_GLOBAL__N_124unique_dim_cuda_templateIN3c104HalfEEESt5tupleIJNSF_6TensorESM_SM_EERKSM_lbbbEUlllE0_EEPmJS9_EEE10hipError_tPvRmT3_T4_T5_T6_T7_T9_mT8_P12ihipStream_tbDpT10_ENKUlT_T0_E_clISt17integral_constantIbLb1EES1C_EEDaS17_S18_EUlS17_E_NS1_11comp_targetILNS1_3genE4ELNS1_11target_archE910ELNS1_3gpuE8ELNS1_3repE0EEENS1_30default_config_static_selectorELNS0_4arch9wavefront6targetE1EEEvT1_, .Lfunc_end1337-_ZN7rocprim17ROCPRIM_400000_NS6detail17trampoline_kernelINS0_14default_configENS1_25partition_config_selectorILNS1_17partition_subalgoE9EllbEEZZNS1_14partition_implILS5_9ELb0ES3_jPlS8_PNS0_10empty_typeENS0_5tupleIJS8_S9_EEENSB_IJS8_SA_EEENS0_18inequality_wrapperIZN2at6native12_GLOBAL__N_124unique_dim_cuda_templateIN3c104HalfEEESt5tupleIJNSF_6TensorESM_SM_EERKSM_lbbbEUlllE0_EEPmJS9_EEE10hipError_tPvRmT3_T4_T5_T6_T7_T9_mT8_P12ihipStream_tbDpT10_ENKUlT_T0_E_clISt17integral_constantIbLb1EES1C_EEDaS17_S18_EUlS17_E_NS1_11comp_targetILNS1_3genE4ELNS1_11target_archE910ELNS1_3gpuE8ELNS1_3repE0EEENS1_30default_config_static_selectorELNS0_4arch9wavefront6targetE1EEEvT1_
                                        ; -- End function
	.section	.AMDGPU.csdata,"",@progbits
; Kernel info:
; codeLenInByte = 10980
; NumSgprs: 56
; NumVgprs: 50
; NumAgprs: 0
; TotalNumVgprs: 50
; ScratchSize: 0
; MemoryBound: 0
; FloatMode: 240
; IeeeMode: 1
; LDSByteSize: 4236 bytes/workgroup (compile time only)
; SGPRBlocks: 6
; VGPRBlocks: 6
; NumSGPRsForWavesPerEU: 56
; NumVGPRsForWavesPerEU: 50
; AccumOffset: 52
; Occupancy: 8
; WaveLimiterHint : 1
; COMPUTE_PGM_RSRC2:SCRATCH_EN: 0
; COMPUTE_PGM_RSRC2:USER_SGPR: 6
; COMPUTE_PGM_RSRC2:TRAP_HANDLER: 0
; COMPUTE_PGM_RSRC2:TGID_X_EN: 1
; COMPUTE_PGM_RSRC2:TGID_Y_EN: 0
; COMPUTE_PGM_RSRC2:TGID_Z_EN: 0
; COMPUTE_PGM_RSRC2:TIDIG_COMP_CNT: 0
; COMPUTE_PGM_RSRC3_GFX90A:ACCUM_OFFSET: 12
; COMPUTE_PGM_RSRC3_GFX90A:TG_SPLIT: 0
	.section	.text._ZN7rocprim17ROCPRIM_400000_NS6detail17trampoline_kernelINS0_14default_configENS1_25partition_config_selectorILNS1_17partition_subalgoE9EllbEEZZNS1_14partition_implILS5_9ELb0ES3_jPlS8_PNS0_10empty_typeENS0_5tupleIJS8_S9_EEENSB_IJS8_SA_EEENS0_18inequality_wrapperIZN2at6native12_GLOBAL__N_124unique_dim_cuda_templateIN3c104HalfEEESt5tupleIJNSF_6TensorESM_SM_EERKSM_lbbbEUlllE0_EEPmJS9_EEE10hipError_tPvRmT3_T4_T5_T6_T7_T9_mT8_P12ihipStream_tbDpT10_ENKUlT_T0_E_clISt17integral_constantIbLb1EES1C_EEDaS17_S18_EUlS17_E_NS1_11comp_targetILNS1_3genE3ELNS1_11target_archE908ELNS1_3gpuE7ELNS1_3repE0EEENS1_30default_config_static_selectorELNS0_4arch9wavefront6targetE1EEEvT1_,"axG",@progbits,_ZN7rocprim17ROCPRIM_400000_NS6detail17trampoline_kernelINS0_14default_configENS1_25partition_config_selectorILNS1_17partition_subalgoE9EllbEEZZNS1_14partition_implILS5_9ELb0ES3_jPlS8_PNS0_10empty_typeENS0_5tupleIJS8_S9_EEENSB_IJS8_SA_EEENS0_18inequality_wrapperIZN2at6native12_GLOBAL__N_124unique_dim_cuda_templateIN3c104HalfEEESt5tupleIJNSF_6TensorESM_SM_EERKSM_lbbbEUlllE0_EEPmJS9_EEE10hipError_tPvRmT3_T4_T5_T6_T7_T9_mT8_P12ihipStream_tbDpT10_ENKUlT_T0_E_clISt17integral_constantIbLb1EES1C_EEDaS17_S18_EUlS17_E_NS1_11comp_targetILNS1_3genE3ELNS1_11target_archE908ELNS1_3gpuE7ELNS1_3repE0EEENS1_30default_config_static_selectorELNS0_4arch9wavefront6targetE1EEEvT1_,comdat
	.globl	_ZN7rocprim17ROCPRIM_400000_NS6detail17trampoline_kernelINS0_14default_configENS1_25partition_config_selectorILNS1_17partition_subalgoE9EllbEEZZNS1_14partition_implILS5_9ELb0ES3_jPlS8_PNS0_10empty_typeENS0_5tupleIJS8_S9_EEENSB_IJS8_SA_EEENS0_18inequality_wrapperIZN2at6native12_GLOBAL__N_124unique_dim_cuda_templateIN3c104HalfEEESt5tupleIJNSF_6TensorESM_SM_EERKSM_lbbbEUlllE0_EEPmJS9_EEE10hipError_tPvRmT3_T4_T5_T6_T7_T9_mT8_P12ihipStream_tbDpT10_ENKUlT_T0_E_clISt17integral_constantIbLb1EES1C_EEDaS17_S18_EUlS17_E_NS1_11comp_targetILNS1_3genE3ELNS1_11target_archE908ELNS1_3gpuE7ELNS1_3repE0EEENS1_30default_config_static_selectorELNS0_4arch9wavefront6targetE1EEEvT1_ ; -- Begin function _ZN7rocprim17ROCPRIM_400000_NS6detail17trampoline_kernelINS0_14default_configENS1_25partition_config_selectorILNS1_17partition_subalgoE9EllbEEZZNS1_14partition_implILS5_9ELb0ES3_jPlS8_PNS0_10empty_typeENS0_5tupleIJS8_S9_EEENSB_IJS8_SA_EEENS0_18inequality_wrapperIZN2at6native12_GLOBAL__N_124unique_dim_cuda_templateIN3c104HalfEEESt5tupleIJNSF_6TensorESM_SM_EERKSM_lbbbEUlllE0_EEPmJS9_EEE10hipError_tPvRmT3_T4_T5_T6_T7_T9_mT8_P12ihipStream_tbDpT10_ENKUlT_T0_E_clISt17integral_constantIbLb1EES1C_EEDaS17_S18_EUlS17_E_NS1_11comp_targetILNS1_3genE3ELNS1_11target_archE908ELNS1_3gpuE7ELNS1_3repE0EEENS1_30default_config_static_selectorELNS0_4arch9wavefront6targetE1EEEvT1_
	.p2align	8
	.type	_ZN7rocprim17ROCPRIM_400000_NS6detail17trampoline_kernelINS0_14default_configENS1_25partition_config_selectorILNS1_17partition_subalgoE9EllbEEZZNS1_14partition_implILS5_9ELb0ES3_jPlS8_PNS0_10empty_typeENS0_5tupleIJS8_S9_EEENSB_IJS8_SA_EEENS0_18inequality_wrapperIZN2at6native12_GLOBAL__N_124unique_dim_cuda_templateIN3c104HalfEEESt5tupleIJNSF_6TensorESM_SM_EERKSM_lbbbEUlllE0_EEPmJS9_EEE10hipError_tPvRmT3_T4_T5_T6_T7_T9_mT8_P12ihipStream_tbDpT10_ENKUlT_T0_E_clISt17integral_constantIbLb1EES1C_EEDaS17_S18_EUlS17_E_NS1_11comp_targetILNS1_3genE3ELNS1_11target_archE908ELNS1_3gpuE7ELNS1_3repE0EEENS1_30default_config_static_selectorELNS0_4arch9wavefront6targetE1EEEvT1_,@function
_ZN7rocprim17ROCPRIM_400000_NS6detail17trampoline_kernelINS0_14default_configENS1_25partition_config_selectorILNS1_17partition_subalgoE9EllbEEZZNS1_14partition_implILS5_9ELb0ES3_jPlS8_PNS0_10empty_typeENS0_5tupleIJS8_S9_EEENSB_IJS8_SA_EEENS0_18inequality_wrapperIZN2at6native12_GLOBAL__N_124unique_dim_cuda_templateIN3c104HalfEEESt5tupleIJNSF_6TensorESM_SM_EERKSM_lbbbEUlllE0_EEPmJS9_EEE10hipError_tPvRmT3_T4_T5_T6_T7_T9_mT8_P12ihipStream_tbDpT10_ENKUlT_T0_E_clISt17integral_constantIbLb1EES1C_EEDaS17_S18_EUlS17_E_NS1_11comp_targetILNS1_3genE3ELNS1_11target_archE908ELNS1_3gpuE7ELNS1_3repE0EEENS1_30default_config_static_selectorELNS0_4arch9wavefront6targetE1EEEvT1_: ; @_ZN7rocprim17ROCPRIM_400000_NS6detail17trampoline_kernelINS0_14default_configENS1_25partition_config_selectorILNS1_17partition_subalgoE9EllbEEZZNS1_14partition_implILS5_9ELb0ES3_jPlS8_PNS0_10empty_typeENS0_5tupleIJS8_S9_EEENSB_IJS8_SA_EEENS0_18inequality_wrapperIZN2at6native12_GLOBAL__N_124unique_dim_cuda_templateIN3c104HalfEEESt5tupleIJNSF_6TensorESM_SM_EERKSM_lbbbEUlllE0_EEPmJS9_EEE10hipError_tPvRmT3_T4_T5_T6_T7_T9_mT8_P12ihipStream_tbDpT10_ENKUlT_T0_E_clISt17integral_constantIbLb1EES1C_EEDaS17_S18_EUlS17_E_NS1_11comp_targetILNS1_3genE3ELNS1_11target_archE908ELNS1_3gpuE7ELNS1_3repE0EEENS1_30default_config_static_selectorELNS0_4arch9wavefront6targetE1EEEvT1_
; %bb.0:
	.section	.rodata,"a",@progbits
	.p2align	6, 0x0
	.amdhsa_kernel _ZN7rocprim17ROCPRIM_400000_NS6detail17trampoline_kernelINS0_14default_configENS1_25partition_config_selectorILNS1_17partition_subalgoE9EllbEEZZNS1_14partition_implILS5_9ELb0ES3_jPlS8_PNS0_10empty_typeENS0_5tupleIJS8_S9_EEENSB_IJS8_SA_EEENS0_18inequality_wrapperIZN2at6native12_GLOBAL__N_124unique_dim_cuda_templateIN3c104HalfEEESt5tupleIJNSF_6TensorESM_SM_EERKSM_lbbbEUlllE0_EEPmJS9_EEE10hipError_tPvRmT3_T4_T5_T6_T7_T9_mT8_P12ihipStream_tbDpT10_ENKUlT_T0_E_clISt17integral_constantIbLb1EES1C_EEDaS17_S18_EUlS17_E_NS1_11comp_targetILNS1_3genE3ELNS1_11target_archE908ELNS1_3gpuE7ELNS1_3repE0EEENS1_30default_config_static_selectorELNS0_4arch9wavefront6targetE1EEEvT1_
		.amdhsa_group_segment_fixed_size 0
		.amdhsa_private_segment_fixed_size 0
		.amdhsa_kernarg_size 136
		.amdhsa_user_sgpr_count 6
		.amdhsa_user_sgpr_private_segment_buffer 1
		.amdhsa_user_sgpr_dispatch_ptr 0
		.amdhsa_user_sgpr_queue_ptr 0
		.amdhsa_user_sgpr_kernarg_segment_ptr 1
		.amdhsa_user_sgpr_dispatch_id 0
		.amdhsa_user_sgpr_flat_scratch_init 0
		.amdhsa_user_sgpr_kernarg_preload_length 0
		.amdhsa_user_sgpr_kernarg_preload_offset 0
		.amdhsa_user_sgpr_private_segment_size 0
		.amdhsa_uses_dynamic_stack 0
		.amdhsa_system_sgpr_private_segment_wavefront_offset 0
		.amdhsa_system_sgpr_workgroup_id_x 1
		.amdhsa_system_sgpr_workgroup_id_y 0
		.amdhsa_system_sgpr_workgroup_id_z 0
		.amdhsa_system_sgpr_workgroup_info 0
		.amdhsa_system_vgpr_workitem_id 0
		.amdhsa_next_free_vgpr 1
		.amdhsa_next_free_sgpr 0
		.amdhsa_accum_offset 4
		.amdhsa_reserve_vcc 0
		.amdhsa_reserve_flat_scratch 0
		.amdhsa_float_round_mode_32 0
		.amdhsa_float_round_mode_16_64 0
		.amdhsa_float_denorm_mode_32 3
		.amdhsa_float_denorm_mode_16_64 3
		.amdhsa_dx10_clamp 1
		.amdhsa_ieee_mode 1
		.amdhsa_fp16_overflow 0
		.amdhsa_tg_split 0
		.amdhsa_exception_fp_ieee_invalid_op 0
		.amdhsa_exception_fp_denorm_src 0
		.amdhsa_exception_fp_ieee_div_zero 0
		.amdhsa_exception_fp_ieee_overflow 0
		.amdhsa_exception_fp_ieee_underflow 0
		.amdhsa_exception_fp_ieee_inexact 0
		.amdhsa_exception_int_div_zero 0
	.end_amdhsa_kernel
	.section	.text._ZN7rocprim17ROCPRIM_400000_NS6detail17trampoline_kernelINS0_14default_configENS1_25partition_config_selectorILNS1_17partition_subalgoE9EllbEEZZNS1_14partition_implILS5_9ELb0ES3_jPlS8_PNS0_10empty_typeENS0_5tupleIJS8_S9_EEENSB_IJS8_SA_EEENS0_18inequality_wrapperIZN2at6native12_GLOBAL__N_124unique_dim_cuda_templateIN3c104HalfEEESt5tupleIJNSF_6TensorESM_SM_EERKSM_lbbbEUlllE0_EEPmJS9_EEE10hipError_tPvRmT3_T4_T5_T6_T7_T9_mT8_P12ihipStream_tbDpT10_ENKUlT_T0_E_clISt17integral_constantIbLb1EES1C_EEDaS17_S18_EUlS17_E_NS1_11comp_targetILNS1_3genE3ELNS1_11target_archE908ELNS1_3gpuE7ELNS1_3repE0EEENS1_30default_config_static_selectorELNS0_4arch9wavefront6targetE1EEEvT1_,"axG",@progbits,_ZN7rocprim17ROCPRIM_400000_NS6detail17trampoline_kernelINS0_14default_configENS1_25partition_config_selectorILNS1_17partition_subalgoE9EllbEEZZNS1_14partition_implILS5_9ELb0ES3_jPlS8_PNS0_10empty_typeENS0_5tupleIJS8_S9_EEENSB_IJS8_SA_EEENS0_18inequality_wrapperIZN2at6native12_GLOBAL__N_124unique_dim_cuda_templateIN3c104HalfEEESt5tupleIJNSF_6TensorESM_SM_EERKSM_lbbbEUlllE0_EEPmJS9_EEE10hipError_tPvRmT3_T4_T5_T6_T7_T9_mT8_P12ihipStream_tbDpT10_ENKUlT_T0_E_clISt17integral_constantIbLb1EES1C_EEDaS17_S18_EUlS17_E_NS1_11comp_targetILNS1_3genE3ELNS1_11target_archE908ELNS1_3gpuE7ELNS1_3repE0EEENS1_30default_config_static_selectorELNS0_4arch9wavefront6targetE1EEEvT1_,comdat
.Lfunc_end1338:
	.size	_ZN7rocprim17ROCPRIM_400000_NS6detail17trampoline_kernelINS0_14default_configENS1_25partition_config_selectorILNS1_17partition_subalgoE9EllbEEZZNS1_14partition_implILS5_9ELb0ES3_jPlS8_PNS0_10empty_typeENS0_5tupleIJS8_S9_EEENSB_IJS8_SA_EEENS0_18inequality_wrapperIZN2at6native12_GLOBAL__N_124unique_dim_cuda_templateIN3c104HalfEEESt5tupleIJNSF_6TensorESM_SM_EERKSM_lbbbEUlllE0_EEPmJS9_EEE10hipError_tPvRmT3_T4_T5_T6_T7_T9_mT8_P12ihipStream_tbDpT10_ENKUlT_T0_E_clISt17integral_constantIbLb1EES1C_EEDaS17_S18_EUlS17_E_NS1_11comp_targetILNS1_3genE3ELNS1_11target_archE908ELNS1_3gpuE7ELNS1_3repE0EEENS1_30default_config_static_selectorELNS0_4arch9wavefront6targetE1EEEvT1_, .Lfunc_end1338-_ZN7rocprim17ROCPRIM_400000_NS6detail17trampoline_kernelINS0_14default_configENS1_25partition_config_selectorILNS1_17partition_subalgoE9EllbEEZZNS1_14partition_implILS5_9ELb0ES3_jPlS8_PNS0_10empty_typeENS0_5tupleIJS8_S9_EEENSB_IJS8_SA_EEENS0_18inequality_wrapperIZN2at6native12_GLOBAL__N_124unique_dim_cuda_templateIN3c104HalfEEESt5tupleIJNSF_6TensorESM_SM_EERKSM_lbbbEUlllE0_EEPmJS9_EEE10hipError_tPvRmT3_T4_T5_T6_T7_T9_mT8_P12ihipStream_tbDpT10_ENKUlT_T0_E_clISt17integral_constantIbLb1EES1C_EEDaS17_S18_EUlS17_E_NS1_11comp_targetILNS1_3genE3ELNS1_11target_archE908ELNS1_3gpuE7ELNS1_3repE0EEENS1_30default_config_static_selectorELNS0_4arch9wavefront6targetE1EEEvT1_
                                        ; -- End function
	.section	.AMDGPU.csdata,"",@progbits
; Kernel info:
; codeLenInByte = 0
; NumSgprs: 4
; NumVgprs: 0
; NumAgprs: 0
; TotalNumVgprs: 0
; ScratchSize: 0
; MemoryBound: 0
; FloatMode: 240
; IeeeMode: 1
; LDSByteSize: 0 bytes/workgroup (compile time only)
; SGPRBlocks: 0
; VGPRBlocks: 0
; NumSGPRsForWavesPerEU: 4
; NumVGPRsForWavesPerEU: 1
; AccumOffset: 4
; Occupancy: 8
; WaveLimiterHint : 0
; COMPUTE_PGM_RSRC2:SCRATCH_EN: 0
; COMPUTE_PGM_RSRC2:USER_SGPR: 6
; COMPUTE_PGM_RSRC2:TRAP_HANDLER: 0
; COMPUTE_PGM_RSRC2:TGID_X_EN: 1
; COMPUTE_PGM_RSRC2:TGID_Y_EN: 0
; COMPUTE_PGM_RSRC2:TGID_Z_EN: 0
; COMPUTE_PGM_RSRC2:TIDIG_COMP_CNT: 0
; COMPUTE_PGM_RSRC3_GFX90A:ACCUM_OFFSET: 0
; COMPUTE_PGM_RSRC3_GFX90A:TG_SPLIT: 0
	.section	.text._ZN7rocprim17ROCPRIM_400000_NS6detail17trampoline_kernelINS0_14default_configENS1_25partition_config_selectorILNS1_17partition_subalgoE9EllbEEZZNS1_14partition_implILS5_9ELb0ES3_jPlS8_PNS0_10empty_typeENS0_5tupleIJS8_S9_EEENSB_IJS8_SA_EEENS0_18inequality_wrapperIZN2at6native12_GLOBAL__N_124unique_dim_cuda_templateIN3c104HalfEEESt5tupleIJNSF_6TensorESM_SM_EERKSM_lbbbEUlllE0_EEPmJS9_EEE10hipError_tPvRmT3_T4_T5_T6_T7_T9_mT8_P12ihipStream_tbDpT10_ENKUlT_T0_E_clISt17integral_constantIbLb1EES1C_EEDaS17_S18_EUlS17_E_NS1_11comp_targetILNS1_3genE2ELNS1_11target_archE906ELNS1_3gpuE6ELNS1_3repE0EEENS1_30default_config_static_selectorELNS0_4arch9wavefront6targetE1EEEvT1_,"axG",@progbits,_ZN7rocprim17ROCPRIM_400000_NS6detail17trampoline_kernelINS0_14default_configENS1_25partition_config_selectorILNS1_17partition_subalgoE9EllbEEZZNS1_14partition_implILS5_9ELb0ES3_jPlS8_PNS0_10empty_typeENS0_5tupleIJS8_S9_EEENSB_IJS8_SA_EEENS0_18inequality_wrapperIZN2at6native12_GLOBAL__N_124unique_dim_cuda_templateIN3c104HalfEEESt5tupleIJNSF_6TensorESM_SM_EERKSM_lbbbEUlllE0_EEPmJS9_EEE10hipError_tPvRmT3_T4_T5_T6_T7_T9_mT8_P12ihipStream_tbDpT10_ENKUlT_T0_E_clISt17integral_constantIbLb1EES1C_EEDaS17_S18_EUlS17_E_NS1_11comp_targetILNS1_3genE2ELNS1_11target_archE906ELNS1_3gpuE6ELNS1_3repE0EEENS1_30default_config_static_selectorELNS0_4arch9wavefront6targetE1EEEvT1_,comdat
	.globl	_ZN7rocprim17ROCPRIM_400000_NS6detail17trampoline_kernelINS0_14default_configENS1_25partition_config_selectorILNS1_17partition_subalgoE9EllbEEZZNS1_14partition_implILS5_9ELb0ES3_jPlS8_PNS0_10empty_typeENS0_5tupleIJS8_S9_EEENSB_IJS8_SA_EEENS0_18inequality_wrapperIZN2at6native12_GLOBAL__N_124unique_dim_cuda_templateIN3c104HalfEEESt5tupleIJNSF_6TensorESM_SM_EERKSM_lbbbEUlllE0_EEPmJS9_EEE10hipError_tPvRmT3_T4_T5_T6_T7_T9_mT8_P12ihipStream_tbDpT10_ENKUlT_T0_E_clISt17integral_constantIbLb1EES1C_EEDaS17_S18_EUlS17_E_NS1_11comp_targetILNS1_3genE2ELNS1_11target_archE906ELNS1_3gpuE6ELNS1_3repE0EEENS1_30default_config_static_selectorELNS0_4arch9wavefront6targetE1EEEvT1_ ; -- Begin function _ZN7rocprim17ROCPRIM_400000_NS6detail17trampoline_kernelINS0_14default_configENS1_25partition_config_selectorILNS1_17partition_subalgoE9EllbEEZZNS1_14partition_implILS5_9ELb0ES3_jPlS8_PNS0_10empty_typeENS0_5tupleIJS8_S9_EEENSB_IJS8_SA_EEENS0_18inequality_wrapperIZN2at6native12_GLOBAL__N_124unique_dim_cuda_templateIN3c104HalfEEESt5tupleIJNSF_6TensorESM_SM_EERKSM_lbbbEUlllE0_EEPmJS9_EEE10hipError_tPvRmT3_T4_T5_T6_T7_T9_mT8_P12ihipStream_tbDpT10_ENKUlT_T0_E_clISt17integral_constantIbLb1EES1C_EEDaS17_S18_EUlS17_E_NS1_11comp_targetILNS1_3genE2ELNS1_11target_archE906ELNS1_3gpuE6ELNS1_3repE0EEENS1_30default_config_static_selectorELNS0_4arch9wavefront6targetE1EEEvT1_
	.p2align	8
	.type	_ZN7rocprim17ROCPRIM_400000_NS6detail17trampoline_kernelINS0_14default_configENS1_25partition_config_selectorILNS1_17partition_subalgoE9EllbEEZZNS1_14partition_implILS5_9ELb0ES3_jPlS8_PNS0_10empty_typeENS0_5tupleIJS8_S9_EEENSB_IJS8_SA_EEENS0_18inequality_wrapperIZN2at6native12_GLOBAL__N_124unique_dim_cuda_templateIN3c104HalfEEESt5tupleIJNSF_6TensorESM_SM_EERKSM_lbbbEUlllE0_EEPmJS9_EEE10hipError_tPvRmT3_T4_T5_T6_T7_T9_mT8_P12ihipStream_tbDpT10_ENKUlT_T0_E_clISt17integral_constantIbLb1EES1C_EEDaS17_S18_EUlS17_E_NS1_11comp_targetILNS1_3genE2ELNS1_11target_archE906ELNS1_3gpuE6ELNS1_3repE0EEENS1_30default_config_static_selectorELNS0_4arch9wavefront6targetE1EEEvT1_,@function
_ZN7rocprim17ROCPRIM_400000_NS6detail17trampoline_kernelINS0_14default_configENS1_25partition_config_selectorILNS1_17partition_subalgoE9EllbEEZZNS1_14partition_implILS5_9ELb0ES3_jPlS8_PNS0_10empty_typeENS0_5tupleIJS8_S9_EEENSB_IJS8_SA_EEENS0_18inequality_wrapperIZN2at6native12_GLOBAL__N_124unique_dim_cuda_templateIN3c104HalfEEESt5tupleIJNSF_6TensorESM_SM_EERKSM_lbbbEUlllE0_EEPmJS9_EEE10hipError_tPvRmT3_T4_T5_T6_T7_T9_mT8_P12ihipStream_tbDpT10_ENKUlT_T0_E_clISt17integral_constantIbLb1EES1C_EEDaS17_S18_EUlS17_E_NS1_11comp_targetILNS1_3genE2ELNS1_11target_archE906ELNS1_3gpuE6ELNS1_3repE0EEENS1_30default_config_static_selectorELNS0_4arch9wavefront6targetE1EEEvT1_: ; @_ZN7rocprim17ROCPRIM_400000_NS6detail17trampoline_kernelINS0_14default_configENS1_25partition_config_selectorILNS1_17partition_subalgoE9EllbEEZZNS1_14partition_implILS5_9ELb0ES3_jPlS8_PNS0_10empty_typeENS0_5tupleIJS8_S9_EEENSB_IJS8_SA_EEENS0_18inequality_wrapperIZN2at6native12_GLOBAL__N_124unique_dim_cuda_templateIN3c104HalfEEESt5tupleIJNSF_6TensorESM_SM_EERKSM_lbbbEUlllE0_EEPmJS9_EEE10hipError_tPvRmT3_T4_T5_T6_T7_T9_mT8_P12ihipStream_tbDpT10_ENKUlT_T0_E_clISt17integral_constantIbLb1EES1C_EEDaS17_S18_EUlS17_E_NS1_11comp_targetILNS1_3genE2ELNS1_11target_archE906ELNS1_3gpuE6ELNS1_3repE0EEENS1_30default_config_static_selectorELNS0_4arch9wavefront6targetE1EEEvT1_
; %bb.0:
	.section	.rodata,"a",@progbits
	.p2align	6, 0x0
	.amdhsa_kernel _ZN7rocprim17ROCPRIM_400000_NS6detail17trampoline_kernelINS0_14default_configENS1_25partition_config_selectorILNS1_17partition_subalgoE9EllbEEZZNS1_14partition_implILS5_9ELb0ES3_jPlS8_PNS0_10empty_typeENS0_5tupleIJS8_S9_EEENSB_IJS8_SA_EEENS0_18inequality_wrapperIZN2at6native12_GLOBAL__N_124unique_dim_cuda_templateIN3c104HalfEEESt5tupleIJNSF_6TensorESM_SM_EERKSM_lbbbEUlllE0_EEPmJS9_EEE10hipError_tPvRmT3_T4_T5_T6_T7_T9_mT8_P12ihipStream_tbDpT10_ENKUlT_T0_E_clISt17integral_constantIbLb1EES1C_EEDaS17_S18_EUlS17_E_NS1_11comp_targetILNS1_3genE2ELNS1_11target_archE906ELNS1_3gpuE6ELNS1_3repE0EEENS1_30default_config_static_selectorELNS0_4arch9wavefront6targetE1EEEvT1_
		.amdhsa_group_segment_fixed_size 0
		.amdhsa_private_segment_fixed_size 0
		.amdhsa_kernarg_size 136
		.amdhsa_user_sgpr_count 6
		.amdhsa_user_sgpr_private_segment_buffer 1
		.amdhsa_user_sgpr_dispatch_ptr 0
		.amdhsa_user_sgpr_queue_ptr 0
		.amdhsa_user_sgpr_kernarg_segment_ptr 1
		.amdhsa_user_sgpr_dispatch_id 0
		.amdhsa_user_sgpr_flat_scratch_init 0
		.amdhsa_user_sgpr_kernarg_preload_length 0
		.amdhsa_user_sgpr_kernarg_preload_offset 0
		.amdhsa_user_sgpr_private_segment_size 0
		.amdhsa_uses_dynamic_stack 0
		.amdhsa_system_sgpr_private_segment_wavefront_offset 0
		.amdhsa_system_sgpr_workgroup_id_x 1
		.amdhsa_system_sgpr_workgroup_id_y 0
		.amdhsa_system_sgpr_workgroup_id_z 0
		.amdhsa_system_sgpr_workgroup_info 0
		.amdhsa_system_vgpr_workitem_id 0
		.amdhsa_next_free_vgpr 1
		.amdhsa_next_free_sgpr 0
		.amdhsa_accum_offset 4
		.amdhsa_reserve_vcc 0
		.amdhsa_reserve_flat_scratch 0
		.amdhsa_float_round_mode_32 0
		.amdhsa_float_round_mode_16_64 0
		.amdhsa_float_denorm_mode_32 3
		.amdhsa_float_denorm_mode_16_64 3
		.amdhsa_dx10_clamp 1
		.amdhsa_ieee_mode 1
		.amdhsa_fp16_overflow 0
		.amdhsa_tg_split 0
		.amdhsa_exception_fp_ieee_invalid_op 0
		.amdhsa_exception_fp_denorm_src 0
		.amdhsa_exception_fp_ieee_div_zero 0
		.amdhsa_exception_fp_ieee_overflow 0
		.amdhsa_exception_fp_ieee_underflow 0
		.amdhsa_exception_fp_ieee_inexact 0
		.amdhsa_exception_int_div_zero 0
	.end_amdhsa_kernel
	.section	.text._ZN7rocprim17ROCPRIM_400000_NS6detail17trampoline_kernelINS0_14default_configENS1_25partition_config_selectorILNS1_17partition_subalgoE9EllbEEZZNS1_14partition_implILS5_9ELb0ES3_jPlS8_PNS0_10empty_typeENS0_5tupleIJS8_S9_EEENSB_IJS8_SA_EEENS0_18inequality_wrapperIZN2at6native12_GLOBAL__N_124unique_dim_cuda_templateIN3c104HalfEEESt5tupleIJNSF_6TensorESM_SM_EERKSM_lbbbEUlllE0_EEPmJS9_EEE10hipError_tPvRmT3_T4_T5_T6_T7_T9_mT8_P12ihipStream_tbDpT10_ENKUlT_T0_E_clISt17integral_constantIbLb1EES1C_EEDaS17_S18_EUlS17_E_NS1_11comp_targetILNS1_3genE2ELNS1_11target_archE906ELNS1_3gpuE6ELNS1_3repE0EEENS1_30default_config_static_selectorELNS0_4arch9wavefront6targetE1EEEvT1_,"axG",@progbits,_ZN7rocprim17ROCPRIM_400000_NS6detail17trampoline_kernelINS0_14default_configENS1_25partition_config_selectorILNS1_17partition_subalgoE9EllbEEZZNS1_14partition_implILS5_9ELb0ES3_jPlS8_PNS0_10empty_typeENS0_5tupleIJS8_S9_EEENSB_IJS8_SA_EEENS0_18inequality_wrapperIZN2at6native12_GLOBAL__N_124unique_dim_cuda_templateIN3c104HalfEEESt5tupleIJNSF_6TensorESM_SM_EERKSM_lbbbEUlllE0_EEPmJS9_EEE10hipError_tPvRmT3_T4_T5_T6_T7_T9_mT8_P12ihipStream_tbDpT10_ENKUlT_T0_E_clISt17integral_constantIbLb1EES1C_EEDaS17_S18_EUlS17_E_NS1_11comp_targetILNS1_3genE2ELNS1_11target_archE906ELNS1_3gpuE6ELNS1_3repE0EEENS1_30default_config_static_selectorELNS0_4arch9wavefront6targetE1EEEvT1_,comdat
.Lfunc_end1339:
	.size	_ZN7rocprim17ROCPRIM_400000_NS6detail17trampoline_kernelINS0_14default_configENS1_25partition_config_selectorILNS1_17partition_subalgoE9EllbEEZZNS1_14partition_implILS5_9ELb0ES3_jPlS8_PNS0_10empty_typeENS0_5tupleIJS8_S9_EEENSB_IJS8_SA_EEENS0_18inequality_wrapperIZN2at6native12_GLOBAL__N_124unique_dim_cuda_templateIN3c104HalfEEESt5tupleIJNSF_6TensorESM_SM_EERKSM_lbbbEUlllE0_EEPmJS9_EEE10hipError_tPvRmT3_T4_T5_T6_T7_T9_mT8_P12ihipStream_tbDpT10_ENKUlT_T0_E_clISt17integral_constantIbLb1EES1C_EEDaS17_S18_EUlS17_E_NS1_11comp_targetILNS1_3genE2ELNS1_11target_archE906ELNS1_3gpuE6ELNS1_3repE0EEENS1_30default_config_static_selectorELNS0_4arch9wavefront6targetE1EEEvT1_, .Lfunc_end1339-_ZN7rocprim17ROCPRIM_400000_NS6detail17trampoline_kernelINS0_14default_configENS1_25partition_config_selectorILNS1_17partition_subalgoE9EllbEEZZNS1_14partition_implILS5_9ELb0ES3_jPlS8_PNS0_10empty_typeENS0_5tupleIJS8_S9_EEENSB_IJS8_SA_EEENS0_18inequality_wrapperIZN2at6native12_GLOBAL__N_124unique_dim_cuda_templateIN3c104HalfEEESt5tupleIJNSF_6TensorESM_SM_EERKSM_lbbbEUlllE0_EEPmJS9_EEE10hipError_tPvRmT3_T4_T5_T6_T7_T9_mT8_P12ihipStream_tbDpT10_ENKUlT_T0_E_clISt17integral_constantIbLb1EES1C_EEDaS17_S18_EUlS17_E_NS1_11comp_targetILNS1_3genE2ELNS1_11target_archE906ELNS1_3gpuE6ELNS1_3repE0EEENS1_30default_config_static_selectorELNS0_4arch9wavefront6targetE1EEEvT1_
                                        ; -- End function
	.section	.AMDGPU.csdata,"",@progbits
; Kernel info:
; codeLenInByte = 0
; NumSgprs: 4
; NumVgprs: 0
; NumAgprs: 0
; TotalNumVgprs: 0
; ScratchSize: 0
; MemoryBound: 0
; FloatMode: 240
; IeeeMode: 1
; LDSByteSize: 0 bytes/workgroup (compile time only)
; SGPRBlocks: 0
; VGPRBlocks: 0
; NumSGPRsForWavesPerEU: 4
; NumVGPRsForWavesPerEU: 1
; AccumOffset: 4
; Occupancy: 8
; WaveLimiterHint : 0
; COMPUTE_PGM_RSRC2:SCRATCH_EN: 0
; COMPUTE_PGM_RSRC2:USER_SGPR: 6
; COMPUTE_PGM_RSRC2:TRAP_HANDLER: 0
; COMPUTE_PGM_RSRC2:TGID_X_EN: 1
; COMPUTE_PGM_RSRC2:TGID_Y_EN: 0
; COMPUTE_PGM_RSRC2:TGID_Z_EN: 0
; COMPUTE_PGM_RSRC2:TIDIG_COMP_CNT: 0
; COMPUTE_PGM_RSRC3_GFX90A:ACCUM_OFFSET: 0
; COMPUTE_PGM_RSRC3_GFX90A:TG_SPLIT: 0
	.section	.text._ZN7rocprim17ROCPRIM_400000_NS6detail17trampoline_kernelINS0_14default_configENS1_25partition_config_selectorILNS1_17partition_subalgoE9EllbEEZZNS1_14partition_implILS5_9ELb0ES3_jPlS8_PNS0_10empty_typeENS0_5tupleIJS8_S9_EEENSB_IJS8_SA_EEENS0_18inequality_wrapperIZN2at6native12_GLOBAL__N_124unique_dim_cuda_templateIN3c104HalfEEESt5tupleIJNSF_6TensorESM_SM_EERKSM_lbbbEUlllE0_EEPmJS9_EEE10hipError_tPvRmT3_T4_T5_T6_T7_T9_mT8_P12ihipStream_tbDpT10_ENKUlT_T0_E_clISt17integral_constantIbLb1EES1C_EEDaS17_S18_EUlS17_E_NS1_11comp_targetILNS1_3genE10ELNS1_11target_archE1200ELNS1_3gpuE4ELNS1_3repE0EEENS1_30default_config_static_selectorELNS0_4arch9wavefront6targetE1EEEvT1_,"axG",@progbits,_ZN7rocprim17ROCPRIM_400000_NS6detail17trampoline_kernelINS0_14default_configENS1_25partition_config_selectorILNS1_17partition_subalgoE9EllbEEZZNS1_14partition_implILS5_9ELb0ES3_jPlS8_PNS0_10empty_typeENS0_5tupleIJS8_S9_EEENSB_IJS8_SA_EEENS0_18inequality_wrapperIZN2at6native12_GLOBAL__N_124unique_dim_cuda_templateIN3c104HalfEEESt5tupleIJNSF_6TensorESM_SM_EERKSM_lbbbEUlllE0_EEPmJS9_EEE10hipError_tPvRmT3_T4_T5_T6_T7_T9_mT8_P12ihipStream_tbDpT10_ENKUlT_T0_E_clISt17integral_constantIbLb1EES1C_EEDaS17_S18_EUlS17_E_NS1_11comp_targetILNS1_3genE10ELNS1_11target_archE1200ELNS1_3gpuE4ELNS1_3repE0EEENS1_30default_config_static_selectorELNS0_4arch9wavefront6targetE1EEEvT1_,comdat
	.globl	_ZN7rocprim17ROCPRIM_400000_NS6detail17trampoline_kernelINS0_14default_configENS1_25partition_config_selectorILNS1_17partition_subalgoE9EllbEEZZNS1_14partition_implILS5_9ELb0ES3_jPlS8_PNS0_10empty_typeENS0_5tupleIJS8_S9_EEENSB_IJS8_SA_EEENS0_18inequality_wrapperIZN2at6native12_GLOBAL__N_124unique_dim_cuda_templateIN3c104HalfEEESt5tupleIJNSF_6TensorESM_SM_EERKSM_lbbbEUlllE0_EEPmJS9_EEE10hipError_tPvRmT3_T4_T5_T6_T7_T9_mT8_P12ihipStream_tbDpT10_ENKUlT_T0_E_clISt17integral_constantIbLb1EES1C_EEDaS17_S18_EUlS17_E_NS1_11comp_targetILNS1_3genE10ELNS1_11target_archE1200ELNS1_3gpuE4ELNS1_3repE0EEENS1_30default_config_static_selectorELNS0_4arch9wavefront6targetE1EEEvT1_ ; -- Begin function _ZN7rocprim17ROCPRIM_400000_NS6detail17trampoline_kernelINS0_14default_configENS1_25partition_config_selectorILNS1_17partition_subalgoE9EllbEEZZNS1_14partition_implILS5_9ELb0ES3_jPlS8_PNS0_10empty_typeENS0_5tupleIJS8_S9_EEENSB_IJS8_SA_EEENS0_18inequality_wrapperIZN2at6native12_GLOBAL__N_124unique_dim_cuda_templateIN3c104HalfEEESt5tupleIJNSF_6TensorESM_SM_EERKSM_lbbbEUlllE0_EEPmJS9_EEE10hipError_tPvRmT3_T4_T5_T6_T7_T9_mT8_P12ihipStream_tbDpT10_ENKUlT_T0_E_clISt17integral_constantIbLb1EES1C_EEDaS17_S18_EUlS17_E_NS1_11comp_targetILNS1_3genE10ELNS1_11target_archE1200ELNS1_3gpuE4ELNS1_3repE0EEENS1_30default_config_static_selectorELNS0_4arch9wavefront6targetE1EEEvT1_
	.p2align	8
	.type	_ZN7rocprim17ROCPRIM_400000_NS6detail17trampoline_kernelINS0_14default_configENS1_25partition_config_selectorILNS1_17partition_subalgoE9EllbEEZZNS1_14partition_implILS5_9ELb0ES3_jPlS8_PNS0_10empty_typeENS0_5tupleIJS8_S9_EEENSB_IJS8_SA_EEENS0_18inequality_wrapperIZN2at6native12_GLOBAL__N_124unique_dim_cuda_templateIN3c104HalfEEESt5tupleIJNSF_6TensorESM_SM_EERKSM_lbbbEUlllE0_EEPmJS9_EEE10hipError_tPvRmT3_T4_T5_T6_T7_T9_mT8_P12ihipStream_tbDpT10_ENKUlT_T0_E_clISt17integral_constantIbLb1EES1C_EEDaS17_S18_EUlS17_E_NS1_11comp_targetILNS1_3genE10ELNS1_11target_archE1200ELNS1_3gpuE4ELNS1_3repE0EEENS1_30default_config_static_selectorELNS0_4arch9wavefront6targetE1EEEvT1_,@function
_ZN7rocprim17ROCPRIM_400000_NS6detail17trampoline_kernelINS0_14default_configENS1_25partition_config_selectorILNS1_17partition_subalgoE9EllbEEZZNS1_14partition_implILS5_9ELb0ES3_jPlS8_PNS0_10empty_typeENS0_5tupleIJS8_S9_EEENSB_IJS8_SA_EEENS0_18inequality_wrapperIZN2at6native12_GLOBAL__N_124unique_dim_cuda_templateIN3c104HalfEEESt5tupleIJNSF_6TensorESM_SM_EERKSM_lbbbEUlllE0_EEPmJS9_EEE10hipError_tPvRmT3_T4_T5_T6_T7_T9_mT8_P12ihipStream_tbDpT10_ENKUlT_T0_E_clISt17integral_constantIbLb1EES1C_EEDaS17_S18_EUlS17_E_NS1_11comp_targetILNS1_3genE10ELNS1_11target_archE1200ELNS1_3gpuE4ELNS1_3repE0EEENS1_30default_config_static_selectorELNS0_4arch9wavefront6targetE1EEEvT1_: ; @_ZN7rocprim17ROCPRIM_400000_NS6detail17trampoline_kernelINS0_14default_configENS1_25partition_config_selectorILNS1_17partition_subalgoE9EllbEEZZNS1_14partition_implILS5_9ELb0ES3_jPlS8_PNS0_10empty_typeENS0_5tupleIJS8_S9_EEENSB_IJS8_SA_EEENS0_18inequality_wrapperIZN2at6native12_GLOBAL__N_124unique_dim_cuda_templateIN3c104HalfEEESt5tupleIJNSF_6TensorESM_SM_EERKSM_lbbbEUlllE0_EEPmJS9_EEE10hipError_tPvRmT3_T4_T5_T6_T7_T9_mT8_P12ihipStream_tbDpT10_ENKUlT_T0_E_clISt17integral_constantIbLb1EES1C_EEDaS17_S18_EUlS17_E_NS1_11comp_targetILNS1_3genE10ELNS1_11target_archE1200ELNS1_3gpuE4ELNS1_3repE0EEENS1_30default_config_static_selectorELNS0_4arch9wavefront6targetE1EEEvT1_
; %bb.0:
	.section	.rodata,"a",@progbits
	.p2align	6, 0x0
	.amdhsa_kernel _ZN7rocprim17ROCPRIM_400000_NS6detail17trampoline_kernelINS0_14default_configENS1_25partition_config_selectorILNS1_17partition_subalgoE9EllbEEZZNS1_14partition_implILS5_9ELb0ES3_jPlS8_PNS0_10empty_typeENS0_5tupleIJS8_S9_EEENSB_IJS8_SA_EEENS0_18inequality_wrapperIZN2at6native12_GLOBAL__N_124unique_dim_cuda_templateIN3c104HalfEEESt5tupleIJNSF_6TensorESM_SM_EERKSM_lbbbEUlllE0_EEPmJS9_EEE10hipError_tPvRmT3_T4_T5_T6_T7_T9_mT8_P12ihipStream_tbDpT10_ENKUlT_T0_E_clISt17integral_constantIbLb1EES1C_EEDaS17_S18_EUlS17_E_NS1_11comp_targetILNS1_3genE10ELNS1_11target_archE1200ELNS1_3gpuE4ELNS1_3repE0EEENS1_30default_config_static_selectorELNS0_4arch9wavefront6targetE1EEEvT1_
		.amdhsa_group_segment_fixed_size 0
		.amdhsa_private_segment_fixed_size 0
		.amdhsa_kernarg_size 136
		.amdhsa_user_sgpr_count 6
		.amdhsa_user_sgpr_private_segment_buffer 1
		.amdhsa_user_sgpr_dispatch_ptr 0
		.amdhsa_user_sgpr_queue_ptr 0
		.amdhsa_user_sgpr_kernarg_segment_ptr 1
		.amdhsa_user_sgpr_dispatch_id 0
		.amdhsa_user_sgpr_flat_scratch_init 0
		.amdhsa_user_sgpr_kernarg_preload_length 0
		.amdhsa_user_sgpr_kernarg_preload_offset 0
		.amdhsa_user_sgpr_private_segment_size 0
		.amdhsa_uses_dynamic_stack 0
		.amdhsa_system_sgpr_private_segment_wavefront_offset 0
		.amdhsa_system_sgpr_workgroup_id_x 1
		.amdhsa_system_sgpr_workgroup_id_y 0
		.amdhsa_system_sgpr_workgroup_id_z 0
		.amdhsa_system_sgpr_workgroup_info 0
		.amdhsa_system_vgpr_workitem_id 0
		.amdhsa_next_free_vgpr 1
		.amdhsa_next_free_sgpr 0
		.amdhsa_accum_offset 4
		.amdhsa_reserve_vcc 0
		.amdhsa_reserve_flat_scratch 0
		.amdhsa_float_round_mode_32 0
		.amdhsa_float_round_mode_16_64 0
		.amdhsa_float_denorm_mode_32 3
		.amdhsa_float_denorm_mode_16_64 3
		.amdhsa_dx10_clamp 1
		.amdhsa_ieee_mode 1
		.amdhsa_fp16_overflow 0
		.amdhsa_tg_split 0
		.amdhsa_exception_fp_ieee_invalid_op 0
		.amdhsa_exception_fp_denorm_src 0
		.amdhsa_exception_fp_ieee_div_zero 0
		.amdhsa_exception_fp_ieee_overflow 0
		.amdhsa_exception_fp_ieee_underflow 0
		.amdhsa_exception_fp_ieee_inexact 0
		.amdhsa_exception_int_div_zero 0
	.end_amdhsa_kernel
	.section	.text._ZN7rocprim17ROCPRIM_400000_NS6detail17trampoline_kernelINS0_14default_configENS1_25partition_config_selectorILNS1_17partition_subalgoE9EllbEEZZNS1_14partition_implILS5_9ELb0ES3_jPlS8_PNS0_10empty_typeENS0_5tupleIJS8_S9_EEENSB_IJS8_SA_EEENS0_18inequality_wrapperIZN2at6native12_GLOBAL__N_124unique_dim_cuda_templateIN3c104HalfEEESt5tupleIJNSF_6TensorESM_SM_EERKSM_lbbbEUlllE0_EEPmJS9_EEE10hipError_tPvRmT3_T4_T5_T6_T7_T9_mT8_P12ihipStream_tbDpT10_ENKUlT_T0_E_clISt17integral_constantIbLb1EES1C_EEDaS17_S18_EUlS17_E_NS1_11comp_targetILNS1_3genE10ELNS1_11target_archE1200ELNS1_3gpuE4ELNS1_3repE0EEENS1_30default_config_static_selectorELNS0_4arch9wavefront6targetE1EEEvT1_,"axG",@progbits,_ZN7rocprim17ROCPRIM_400000_NS6detail17trampoline_kernelINS0_14default_configENS1_25partition_config_selectorILNS1_17partition_subalgoE9EllbEEZZNS1_14partition_implILS5_9ELb0ES3_jPlS8_PNS0_10empty_typeENS0_5tupleIJS8_S9_EEENSB_IJS8_SA_EEENS0_18inequality_wrapperIZN2at6native12_GLOBAL__N_124unique_dim_cuda_templateIN3c104HalfEEESt5tupleIJNSF_6TensorESM_SM_EERKSM_lbbbEUlllE0_EEPmJS9_EEE10hipError_tPvRmT3_T4_T5_T6_T7_T9_mT8_P12ihipStream_tbDpT10_ENKUlT_T0_E_clISt17integral_constantIbLb1EES1C_EEDaS17_S18_EUlS17_E_NS1_11comp_targetILNS1_3genE10ELNS1_11target_archE1200ELNS1_3gpuE4ELNS1_3repE0EEENS1_30default_config_static_selectorELNS0_4arch9wavefront6targetE1EEEvT1_,comdat
.Lfunc_end1340:
	.size	_ZN7rocprim17ROCPRIM_400000_NS6detail17trampoline_kernelINS0_14default_configENS1_25partition_config_selectorILNS1_17partition_subalgoE9EllbEEZZNS1_14partition_implILS5_9ELb0ES3_jPlS8_PNS0_10empty_typeENS0_5tupleIJS8_S9_EEENSB_IJS8_SA_EEENS0_18inequality_wrapperIZN2at6native12_GLOBAL__N_124unique_dim_cuda_templateIN3c104HalfEEESt5tupleIJNSF_6TensorESM_SM_EERKSM_lbbbEUlllE0_EEPmJS9_EEE10hipError_tPvRmT3_T4_T5_T6_T7_T9_mT8_P12ihipStream_tbDpT10_ENKUlT_T0_E_clISt17integral_constantIbLb1EES1C_EEDaS17_S18_EUlS17_E_NS1_11comp_targetILNS1_3genE10ELNS1_11target_archE1200ELNS1_3gpuE4ELNS1_3repE0EEENS1_30default_config_static_selectorELNS0_4arch9wavefront6targetE1EEEvT1_, .Lfunc_end1340-_ZN7rocprim17ROCPRIM_400000_NS6detail17trampoline_kernelINS0_14default_configENS1_25partition_config_selectorILNS1_17partition_subalgoE9EllbEEZZNS1_14partition_implILS5_9ELb0ES3_jPlS8_PNS0_10empty_typeENS0_5tupleIJS8_S9_EEENSB_IJS8_SA_EEENS0_18inequality_wrapperIZN2at6native12_GLOBAL__N_124unique_dim_cuda_templateIN3c104HalfEEESt5tupleIJNSF_6TensorESM_SM_EERKSM_lbbbEUlllE0_EEPmJS9_EEE10hipError_tPvRmT3_T4_T5_T6_T7_T9_mT8_P12ihipStream_tbDpT10_ENKUlT_T0_E_clISt17integral_constantIbLb1EES1C_EEDaS17_S18_EUlS17_E_NS1_11comp_targetILNS1_3genE10ELNS1_11target_archE1200ELNS1_3gpuE4ELNS1_3repE0EEENS1_30default_config_static_selectorELNS0_4arch9wavefront6targetE1EEEvT1_
                                        ; -- End function
	.section	.AMDGPU.csdata,"",@progbits
; Kernel info:
; codeLenInByte = 0
; NumSgprs: 4
; NumVgprs: 0
; NumAgprs: 0
; TotalNumVgprs: 0
; ScratchSize: 0
; MemoryBound: 0
; FloatMode: 240
; IeeeMode: 1
; LDSByteSize: 0 bytes/workgroup (compile time only)
; SGPRBlocks: 0
; VGPRBlocks: 0
; NumSGPRsForWavesPerEU: 4
; NumVGPRsForWavesPerEU: 1
; AccumOffset: 4
; Occupancy: 8
; WaveLimiterHint : 0
; COMPUTE_PGM_RSRC2:SCRATCH_EN: 0
; COMPUTE_PGM_RSRC2:USER_SGPR: 6
; COMPUTE_PGM_RSRC2:TRAP_HANDLER: 0
; COMPUTE_PGM_RSRC2:TGID_X_EN: 1
; COMPUTE_PGM_RSRC2:TGID_Y_EN: 0
; COMPUTE_PGM_RSRC2:TGID_Z_EN: 0
; COMPUTE_PGM_RSRC2:TIDIG_COMP_CNT: 0
; COMPUTE_PGM_RSRC3_GFX90A:ACCUM_OFFSET: 0
; COMPUTE_PGM_RSRC3_GFX90A:TG_SPLIT: 0
	.section	.text._ZN7rocprim17ROCPRIM_400000_NS6detail17trampoline_kernelINS0_14default_configENS1_25partition_config_selectorILNS1_17partition_subalgoE9EllbEEZZNS1_14partition_implILS5_9ELb0ES3_jPlS8_PNS0_10empty_typeENS0_5tupleIJS8_S9_EEENSB_IJS8_SA_EEENS0_18inequality_wrapperIZN2at6native12_GLOBAL__N_124unique_dim_cuda_templateIN3c104HalfEEESt5tupleIJNSF_6TensorESM_SM_EERKSM_lbbbEUlllE0_EEPmJS9_EEE10hipError_tPvRmT3_T4_T5_T6_T7_T9_mT8_P12ihipStream_tbDpT10_ENKUlT_T0_E_clISt17integral_constantIbLb1EES1C_EEDaS17_S18_EUlS17_E_NS1_11comp_targetILNS1_3genE9ELNS1_11target_archE1100ELNS1_3gpuE3ELNS1_3repE0EEENS1_30default_config_static_selectorELNS0_4arch9wavefront6targetE1EEEvT1_,"axG",@progbits,_ZN7rocprim17ROCPRIM_400000_NS6detail17trampoline_kernelINS0_14default_configENS1_25partition_config_selectorILNS1_17partition_subalgoE9EllbEEZZNS1_14partition_implILS5_9ELb0ES3_jPlS8_PNS0_10empty_typeENS0_5tupleIJS8_S9_EEENSB_IJS8_SA_EEENS0_18inequality_wrapperIZN2at6native12_GLOBAL__N_124unique_dim_cuda_templateIN3c104HalfEEESt5tupleIJNSF_6TensorESM_SM_EERKSM_lbbbEUlllE0_EEPmJS9_EEE10hipError_tPvRmT3_T4_T5_T6_T7_T9_mT8_P12ihipStream_tbDpT10_ENKUlT_T0_E_clISt17integral_constantIbLb1EES1C_EEDaS17_S18_EUlS17_E_NS1_11comp_targetILNS1_3genE9ELNS1_11target_archE1100ELNS1_3gpuE3ELNS1_3repE0EEENS1_30default_config_static_selectorELNS0_4arch9wavefront6targetE1EEEvT1_,comdat
	.globl	_ZN7rocprim17ROCPRIM_400000_NS6detail17trampoline_kernelINS0_14default_configENS1_25partition_config_selectorILNS1_17partition_subalgoE9EllbEEZZNS1_14partition_implILS5_9ELb0ES3_jPlS8_PNS0_10empty_typeENS0_5tupleIJS8_S9_EEENSB_IJS8_SA_EEENS0_18inequality_wrapperIZN2at6native12_GLOBAL__N_124unique_dim_cuda_templateIN3c104HalfEEESt5tupleIJNSF_6TensorESM_SM_EERKSM_lbbbEUlllE0_EEPmJS9_EEE10hipError_tPvRmT3_T4_T5_T6_T7_T9_mT8_P12ihipStream_tbDpT10_ENKUlT_T0_E_clISt17integral_constantIbLb1EES1C_EEDaS17_S18_EUlS17_E_NS1_11comp_targetILNS1_3genE9ELNS1_11target_archE1100ELNS1_3gpuE3ELNS1_3repE0EEENS1_30default_config_static_selectorELNS0_4arch9wavefront6targetE1EEEvT1_ ; -- Begin function _ZN7rocprim17ROCPRIM_400000_NS6detail17trampoline_kernelINS0_14default_configENS1_25partition_config_selectorILNS1_17partition_subalgoE9EllbEEZZNS1_14partition_implILS5_9ELb0ES3_jPlS8_PNS0_10empty_typeENS0_5tupleIJS8_S9_EEENSB_IJS8_SA_EEENS0_18inequality_wrapperIZN2at6native12_GLOBAL__N_124unique_dim_cuda_templateIN3c104HalfEEESt5tupleIJNSF_6TensorESM_SM_EERKSM_lbbbEUlllE0_EEPmJS9_EEE10hipError_tPvRmT3_T4_T5_T6_T7_T9_mT8_P12ihipStream_tbDpT10_ENKUlT_T0_E_clISt17integral_constantIbLb1EES1C_EEDaS17_S18_EUlS17_E_NS1_11comp_targetILNS1_3genE9ELNS1_11target_archE1100ELNS1_3gpuE3ELNS1_3repE0EEENS1_30default_config_static_selectorELNS0_4arch9wavefront6targetE1EEEvT1_
	.p2align	8
	.type	_ZN7rocprim17ROCPRIM_400000_NS6detail17trampoline_kernelINS0_14default_configENS1_25partition_config_selectorILNS1_17partition_subalgoE9EllbEEZZNS1_14partition_implILS5_9ELb0ES3_jPlS8_PNS0_10empty_typeENS0_5tupleIJS8_S9_EEENSB_IJS8_SA_EEENS0_18inequality_wrapperIZN2at6native12_GLOBAL__N_124unique_dim_cuda_templateIN3c104HalfEEESt5tupleIJNSF_6TensorESM_SM_EERKSM_lbbbEUlllE0_EEPmJS9_EEE10hipError_tPvRmT3_T4_T5_T6_T7_T9_mT8_P12ihipStream_tbDpT10_ENKUlT_T0_E_clISt17integral_constantIbLb1EES1C_EEDaS17_S18_EUlS17_E_NS1_11comp_targetILNS1_3genE9ELNS1_11target_archE1100ELNS1_3gpuE3ELNS1_3repE0EEENS1_30default_config_static_selectorELNS0_4arch9wavefront6targetE1EEEvT1_,@function
_ZN7rocprim17ROCPRIM_400000_NS6detail17trampoline_kernelINS0_14default_configENS1_25partition_config_selectorILNS1_17partition_subalgoE9EllbEEZZNS1_14partition_implILS5_9ELb0ES3_jPlS8_PNS0_10empty_typeENS0_5tupleIJS8_S9_EEENSB_IJS8_SA_EEENS0_18inequality_wrapperIZN2at6native12_GLOBAL__N_124unique_dim_cuda_templateIN3c104HalfEEESt5tupleIJNSF_6TensorESM_SM_EERKSM_lbbbEUlllE0_EEPmJS9_EEE10hipError_tPvRmT3_T4_T5_T6_T7_T9_mT8_P12ihipStream_tbDpT10_ENKUlT_T0_E_clISt17integral_constantIbLb1EES1C_EEDaS17_S18_EUlS17_E_NS1_11comp_targetILNS1_3genE9ELNS1_11target_archE1100ELNS1_3gpuE3ELNS1_3repE0EEENS1_30default_config_static_selectorELNS0_4arch9wavefront6targetE1EEEvT1_: ; @_ZN7rocprim17ROCPRIM_400000_NS6detail17trampoline_kernelINS0_14default_configENS1_25partition_config_selectorILNS1_17partition_subalgoE9EllbEEZZNS1_14partition_implILS5_9ELb0ES3_jPlS8_PNS0_10empty_typeENS0_5tupleIJS8_S9_EEENSB_IJS8_SA_EEENS0_18inequality_wrapperIZN2at6native12_GLOBAL__N_124unique_dim_cuda_templateIN3c104HalfEEESt5tupleIJNSF_6TensorESM_SM_EERKSM_lbbbEUlllE0_EEPmJS9_EEE10hipError_tPvRmT3_T4_T5_T6_T7_T9_mT8_P12ihipStream_tbDpT10_ENKUlT_T0_E_clISt17integral_constantIbLb1EES1C_EEDaS17_S18_EUlS17_E_NS1_11comp_targetILNS1_3genE9ELNS1_11target_archE1100ELNS1_3gpuE3ELNS1_3repE0EEENS1_30default_config_static_selectorELNS0_4arch9wavefront6targetE1EEEvT1_
; %bb.0:
	.section	.rodata,"a",@progbits
	.p2align	6, 0x0
	.amdhsa_kernel _ZN7rocprim17ROCPRIM_400000_NS6detail17trampoline_kernelINS0_14default_configENS1_25partition_config_selectorILNS1_17partition_subalgoE9EllbEEZZNS1_14partition_implILS5_9ELb0ES3_jPlS8_PNS0_10empty_typeENS0_5tupleIJS8_S9_EEENSB_IJS8_SA_EEENS0_18inequality_wrapperIZN2at6native12_GLOBAL__N_124unique_dim_cuda_templateIN3c104HalfEEESt5tupleIJNSF_6TensorESM_SM_EERKSM_lbbbEUlllE0_EEPmJS9_EEE10hipError_tPvRmT3_T4_T5_T6_T7_T9_mT8_P12ihipStream_tbDpT10_ENKUlT_T0_E_clISt17integral_constantIbLb1EES1C_EEDaS17_S18_EUlS17_E_NS1_11comp_targetILNS1_3genE9ELNS1_11target_archE1100ELNS1_3gpuE3ELNS1_3repE0EEENS1_30default_config_static_selectorELNS0_4arch9wavefront6targetE1EEEvT1_
		.amdhsa_group_segment_fixed_size 0
		.amdhsa_private_segment_fixed_size 0
		.amdhsa_kernarg_size 136
		.amdhsa_user_sgpr_count 6
		.amdhsa_user_sgpr_private_segment_buffer 1
		.amdhsa_user_sgpr_dispatch_ptr 0
		.amdhsa_user_sgpr_queue_ptr 0
		.amdhsa_user_sgpr_kernarg_segment_ptr 1
		.amdhsa_user_sgpr_dispatch_id 0
		.amdhsa_user_sgpr_flat_scratch_init 0
		.amdhsa_user_sgpr_kernarg_preload_length 0
		.amdhsa_user_sgpr_kernarg_preload_offset 0
		.amdhsa_user_sgpr_private_segment_size 0
		.amdhsa_uses_dynamic_stack 0
		.amdhsa_system_sgpr_private_segment_wavefront_offset 0
		.amdhsa_system_sgpr_workgroup_id_x 1
		.amdhsa_system_sgpr_workgroup_id_y 0
		.amdhsa_system_sgpr_workgroup_id_z 0
		.amdhsa_system_sgpr_workgroup_info 0
		.amdhsa_system_vgpr_workitem_id 0
		.amdhsa_next_free_vgpr 1
		.amdhsa_next_free_sgpr 0
		.amdhsa_accum_offset 4
		.amdhsa_reserve_vcc 0
		.amdhsa_reserve_flat_scratch 0
		.amdhsa_float_round_mode_32 0
		.amdhsa_float_round_mode_16_64 0
		.amdhsa_float_denorm_mode_32 3
		.amdhsa_float_denorm_mode_16_64 3
		.amdhsa_dx10_clamp 1
		.amdhsa_ieee_mode 1
		.amdhsa_fp16_overflow 0
		.amdhsa_tg_split 0
		.amdhsa_exception_fp_ieee_invalid_op 0
		.amdhsa_exception_fp_denorm_src 0
		.amdhsa_exception_fp_ieee_div_zero 0
		.amdhsa_exception_fp_ieee_overflow 0
		.amdhsa_exception_fp_ieee_underflow 0
		.amdhsa_exception_fp_ieee_inexact 0
		.amdhsa_exception_int_div_zero 0
	.end_amdhsa_kernel
	.section	.text._ZN7rocprim17ROCPRIM_400000_NS6detail17trampoline_kernelINS0_14default_configENS1_25partition_config_selectorILNS1_17partition_subalgoE9EllbEEZZNS1_14partition_implILS5_9ELb0ES3_jPlS8_PNS0_10empty_typeENS0_5tupleIJS8_S9_EEENSB_IJS8_SA_EEENS0_18inequality_wrapperIZN2at6native12_GLOBAL__N_124unique_dim_cuda_templateIN3c104HalfEEESt5tupleIJNSF_6TensorESM_SM_EERKSM_lbbbEUlllE0_EEPmJS9_EEE10hipError_tPvRmT3_T4_T5_T6_T7_T9_mT8_P12ihipStream_tbDpT10_ENKUlT_T0_E_clISt17integral_constantIbLb1EES1C_EEDaS17_S18_EUlS17_E_NS1_11comp_targetILNS1_3genE9ELNS1_11target_archE1100ELNS1_3gpuE3ELNS1_3repE0EEENS1_30default_config_static_selectorELNS0_4arch9wavefront6targetE1EEEvT1_,"axG",@progbits,_ZN7rocprim17ROCPRIM_400000_NS6detail17trampoline_kernelINS0_14default_configENS1_25partition_config_selectorILNS1_17partition_subalgoE9EllbEEZZNS1_14partition_implILS5_9ELb0ES3_jPlS8_PNS0_10empty_typeENS0_5tupleIJS8_S9_EEENSB_IJS8_SA_EEENS0_18inequality_wrapperIZN2at6native12_GLOBAL__N_124unique_dim_cuda_templateIN3c104HalfEEESt5tupleIJNSF_6TensorESM_SM_EERKSM_lbbbEUlllE0_EEPmJS9_EEE10hipError_tPvRmT3_T4_T5_T6_T7_T9_mT8_P12ihipStream_tbDpT10_ENKUlT_T0_E_clISt17integral_constantIbLb1EES1C_EEDaS17_S18_EUlS17_E_NS1_11comp_targetILNS1_3genE9ELNS1_11target_archE1100ELNS1_3gpuE3ELNS1_3repE0EEENS1_30default_config_static_selectorELNS0_4arch9wavefront6targetE1EEEvT1_,comdat
.Lfunc_end1341:
	.size	_ZN7rocprim17ROCPRIM_400000_NS6detail17trampoline_kernelINS0_14default_configENS1_25partition_config_selectorILNS1_17partition_subalgoE9EllbEEZZNS1_14partition_implILS5_9ELb0ES3_jPlS8_PNS0_10empty_typeENS0_5tupleIJS8_S9_EEENSB_IJS8_SA_EEENS0_18inequality_wrapperIZN2at6native12_GLOBAL__N_124unique_dim_cuda_templateIN3c104HalfEEESt5tupleIJNSF_6TensorESM_SM_EERKSM_lbbbEUlllE0_EEPmJS9_EEE10hipError_tPvRmT3_T4_T5_T6_T7_T9_mT8_P12ihipStream_tbDpT10_ENKUlT_T0_E_clISt17integral_constantIbLb1EES1C_EEDaS17_S18_EUlS17_E_NS1_11comp_targetILNS1_3genE9ELNS1_11target_archE1100ELNS1_3gpuE3ELNS1_3repE0EEENS1_30default_config_static_selectorELNS0_4arch9wavefront6targetE1EEEvT1_, .Lfunc_end1341-_ZN7rocprim17ROCPRIM_400000_NS6detail17trampoline_kernelINS0_14default_configENS1_25partition_config_selectorILNS1_17partition_subalgoE9EllbEEZZNS1_14partition_implILS5_9ELb0ES3_jPlS8_PNS0_10empty_typeENS0_5tupleIJS8_S9_EEENSB_IJS8_SA_EEENS0_18inequality_wrapperIZN2at6native12_GLOBAL__N_124unique_dim_cuda_templateIN3c104HalfEEESt5tupleIJNSF_6TensorESM_SM_EERKSM_lbbbEUlllE0_EEPmJS9_EEE10hipError_tPvRmT3_T4_T5_T6_T7_T9_mT8_P12ihipStream_tbDpT10_ENKUlT_T0_E_clISt17integral_constantIbLb1EES1C_EEDaS17_S18_EUlS17_E_NS1_11comp_targetILNS1_3genE9ELNS1_11target_archE1100ELNS1_3gpuE3ELNS1_3repE0EEENS1_30default_config_static_selectorELNS0_4arch9wavefront6targetE1EEEvT1_
                                        ; -- End function
	.section	.AMDGPU.csdata,"",@progbits
; Kernel info:
; codeLenInByte = 0
; NumSgprs: 4
; NumVgprs: 0
; NumAgprs: 0
; TotalNumVgprs: 0
; ScratchSize: 0
; MemoryBound: 0
; FloatMode: 240
; IeeeMode: 1
; LDSByteSize: 0 bytes/workgroup (compile time only)
; SGPRBlocks: 0
; VGPRBlocks: 0
; NumSGPRsForWavesPerEU: 4
; NumVGPRsForWavesPerEU: 1
; AccumOffset: 4
; Occupancy: 8
; WaveLimiterHint : 0
; COMPUTE_PGM_RSRC2:SCRATCH_EN: 0
; COMPUTE_PGM_RSRC2:USER_SGPR: 6
; COMPUTE_PGM_RSRC2:TRAP_HANDLER: 0
; COMPUTE_PGM_RSRC2:TGID_X_EN: 1
; COMPUTE_PGM_RSRC2:TGID_Y_EN: 0
; COMPUTE_PGM_RSRC2:TGID_Z_EN: 0
; COMPUTE_PGM_RSRC2:TIDIG_COMP_CNT: 0
; COMPUTE_PGM_RSRC3_GFX90A:ACCUM_OFFSET: 0
; COMPUTE_PGM_RSRC3_GFX90A:TG_SPLIT: 0
	.section	.text._ZN7rocprim17ROCPRIM_400000_NS6detail17trampoline_kernelINS0_14default_configENS1_25partition_config_selectorILNS1_17partition_subalgoE9EllbEEZZNS1_14partition_implILS5_9ELb0ES3_jPlS8_PNS0_10empty_typeENS0_5tupleIJS8_S9_EEENSB_IJS8_SA_EEENS0_18inequality_wrapperIZN2at6native12_GLOBAL__N_124unique_dim_cuda_templateIN3c104HalfEEESt5tupleIJNSF_6TensorESM_SM_EERKSM_lbbbEUlllE0_EEPmJS9_EEE10hipError_tPvRmT3_T4_T5_T6_T7_T9_mT8_P12ihipStream_tbDpT10_ENKUlT_T0_E_clISt17integral_constantIbLb1EES1C_EEDaS17_S18_EUlS17_E_NS1_11comp_targetILNS1_3genE8ELNS1_11target_archE1030ELNS1_3gpuE2ELNS1_3repE0EEENS1_30default_config_static_selectorELNS0_4arch9wavefront6targetE1EEEvT1_,"axG",@progbits,_ZN7rocprim17ROCPRIM_400000_NS6detail17trampoline_kernelINS0_14default_configENS1_25partition_config_selectorILNS1_17partition_subalgoE9EllbEEZZNS1_14partition_implILS5_9ELb0ES3_jPlS8_PNS0_10empty_typeENS0_5tupleIJS8_S9_EEENSB_IJS8_SA_EEENS0_18inequality_wrapperIZN2at6native12_GLOBAL__N_124unique_dim_cuda_templateIN3c104HalfEEESt5tupleIJNSF_6TensorESM_SM_EERKSM_lbbbEUlllE0_EEPmJS9_EEE10hipError_tPvRmT3_T4_T5_T6_T7_T9_mT8_P12ihipStream_tbDpT10_ENKUlT_T0_E_clISt17integral_constantIbLb1EES1C_EEDaS17_S18_EUlS17_E_NS1_11comp_targetILNS1_3genE8ELNS1_11target_archE1030ELNS1_3gpuE2ELNS1_3repE0EEENS1_30default_config_static_selectorELNS0_4arch9wavefront6targetE1EEEvT1_,comdat
	.globl	_ZN7rocprim17ROCPRIM_400000_NS6detail17trampoline_kernelINS0_14default_configENS1_25partition_config_selectorILNS1_17partition_subalgoE9EllbEEZZNS1_14partition_implILS5_9ELb0ES3_jPlS8_PNS0_10empty_typeENS0_5tupleIJS8_S9_EEENSB_IJS8_SA_EEENS0_18inequality_wrapperIZN2at6native12_GLOBAL__N_124unique_dim_cuda_templateIN3c104HalfEEESt5tupleIJNSF_6TensorESM_SM_EERKSM_lbbbEUlllE0_EEPmJS9_EEE10hipError_tPvRmT3_T4_T5_T6_T7_T9_mT8_P12ihipStream_tbDpT10_ENKUlT_T0_E_clISt17integral_constantIbLb1EES1C_EEDaS17_S18_EUlS17_E_NS1_11comp_targetILNS1_3genE8ELNS1_11target_archE1030ELNS1_3gpuE2ELNS1_3repE0EEENS1_30default_config_static_selectorELNS0_4arch9wavefront6targetE1EEEvT1_ ; -- Begin function _ZN7rocprim17ROCPRIM_400000_NS6detail17trampoline_kernelINS0_14default_configENS1_25partition_config_selectorILNS1_17partition_subalgoE9EllbEEZZNS1_14partition_implILS5_9ELb0ES3_jPlS8_PNS0_10empty_typeENS0_5tupleIJS8_S9_EEENSB_IJS8_SA_EEENS0_18inequality_wrapperIZN2at6native12_GLOBAL__N_124unique_dim_cuda_templateIN3c104HalfEEESt5tupleIJNSF_6TensorESM_SM_EERKSM_lbbbEUlllE0_EEPmJS9_EEE10hipError_tPvRmT3_T4_T5_T6_T7_T9_mT8_P12ihipStream_tbDpT10_ENKUlT_T0_E_clISt17integral_constantIbLb1EES1C_EEDaS17_S18_EUlS17_E_NS1_11comp_targetILNS1_3genE8ELNS1_11target_archE1030ELNS1_3gpuE2ELNS1_3repE0EEENS1_30default_config_static_selectorELNS0_4arch9wavefront6targetE1EEEvT1_
	.p2align	8
	.type	_ZN7rocprim17ROCPRIM_400000_NS6detail17trampoline_kernelINS0_14default_configENS1_25partition_config_selectorILNS1_17partition_subalgoE9EllbEEZZNS1_14partition_implILS5_9ELb0ES3_jPlS8_PNS0_10empty_typeENS0_5tupleIJS8_S9_EEENSB_IJS8_SA_EEENS0_18inequality_wrapperIZN2at6native12_GLOBAL__N_124unique_dim_cuda_templateIN3c104HalfEEESt5tupleIJNSF_6TensorESM_SM_EERKSM_lbbbEUlllE0_EEPmJS9_EEE10hipError_tPvRmT3_T4_T5_T6_T7_T9_mT8_P12ihipStream_tbDpT10_ENKUlT_T0_E_clISt17integral_constantIbLb1EES1C_EEDaS17_S18_EUlS17_E_NS1_11comp_targetILNS1_3genE8ELNS1_11target_archE1030ELNS1_3gpuE2ELNS1_3repE0EEENS1_30default_config_static_selectorELNS0_4arch9wavefront6targetE1EEEvT1_,@function
_ZN7rocprim17ROCPRIM_400000_NS6detail17trampoline_kernelINS0_14default_configENS1_25partition_config_selectorILNS1_17partition_subalgoE9EllbEEZZNS1_14partition_implILS5_9ELb0ES3_jPlS8_PNS0_10empty_typeENS0_5tupleIJS8_S9_EEENSB_IJS8_SA_EEENS0_18inequality_wrapperIZN2at6native12_GLOBAL__N_124unique_dim_cuda_templateIN3c104HalfEEESt5tupleIJNSF_6TensorESM_SM_EERKSM_lbbbEUlllE0_EEPmJS9_EEE10hipError_tPvRmT3_T4_T5_T6_T7_T9_mT8_P12ihipStream_tbDpT10_ENKUlT_T0_E_clISt17integral_constantIbLb1EES1C_EEDaS17_S18_EUlS17_E_NS1_11comp_targetILNS1_3genE8ELNS1_11target_archE1030ELNS1_3gpuE2ELNS1_3repE0EEENS1_30default_config_static_selectorELNS0_4arch9wavefront6targetE1EEEvT1_: ; @_ZN7rocprim17ROCPRIM_400000_NS6detail17trampoline_kernelINS0_14default_configENS1_25partition_config_selectorILNS1_17partition_subalgoE9EllbEEZZNS1_14partition_implILS5_9ELb0ES3_jPlS8_PNS0_10empty_typeENS0_5tupleIJS8_S9_EEENSB_IJS8_SA_EEENS0_18inequality_wrapperIZN2at6native12_GLOBAL__N_124unique_dim_cuda_templateIN3c104HalfEEESt5tupleIJNSF_6TensorESM_SM_EERKSM_lbbbEUlllE0_EEPmJS9_EEE10hipError_tPvRmT3_T4_T5_T6_T7_T9_mT8_P12ihipStream_tbDpT10_ENKUlT_T0_E_clISt17integral_constantIbLb1EES1C_EEDaS17_S18_EUlS17_E_NS1_11comp_targetILNS1_3genE8ELNS1_11target_archE1030ELNS1_3gpuE2ELNS1_3repE0EEENS1_30default_config_static_selectorELNS0_4arch9wavefront6targetE1EEEvT1_
; %bb.0:
	.section	.rodata,"a",@progbits
	.p2align	6, 0x0
	.amdhsa_kernel _ZN7rocprim17ROCPRIM_400000_NS6detail17trampoline_kernelINS0_14default_configENS1_25partition_config_selectorILNS1_17partition_subalgoE9EllbEEZZNS1_14partition_implILS5_9ELb0ES3_jPlS8_PNS0_10empty_typeENS0_5tupleIJS8_S9_EEENSB_IJS8_SA_EEENS0_18inequality_wrapperIZN2at6native12_GLOBAL__N_124unique_dim_cuda_templateIN3c104HalfEEESt5tupleIJNSF_6TensorESM_SM_EERKSM_lbbbEUlllE0_EEPmJS9_EEE10hipError_tPvRmT3_T4_T5_T6_T7_T9_mT8_P12ihipStream_tbDpT10_ENKUlT_T0_E_clISt17integral_constantIbLb1EES1C_EEDaS17_S18_EUlS17_E_NS1_11comp_targetILNS1_3genE8ELNS1_11target_archE1030ELNS1_3gpuE2ELNS1_3repE0EEENS1_30default_config_static_selectorELNS0_4arch9wavefront6targetE1EEEvT1_
		.amdhsa_group_segment_fixed_size 0
		.amdhsa_private_segment_fixed_size 0
		.amdhsa_kernarg_size 136
		.amdhsa_user_sgpr_count 6
		.amdhsa_user_sgpr_private_segment_buffer 1
		.amdhsa_user_sgpr_dispatch_ptr 0
		.amdhsa_user_sgpr_queue_ptr 0
		.amdhsa_user_sgpr_kernarg_segment_ptr 1
		.amdhsa_user_sgpr_dispatch_id 0
		.amdhsa_user_sgpr_flat_scratch_init 0
		.amdhsa_user_sgpr_kernarg_preload_length 0
		.amdhsa_user_sgpr_kernarg_preload_offset 0
		.amdhsa_user_sgpr_private_segment_size 0
		.amdhsa_uses_dynamic_stack 0
		.amdhsa_system_sgpr_private_segment_wavefront_offset 0
		.amdhsa_system_sgpr_workgroup_id_x 1
		.amdhsa_system_sgpr_workgroup_id_y 0
		.amdhsa_system_sgpr_workgroup_id_z 0
		.amdhsa_system_sgpr_workgroup_info 0
		.amdhsa_system_vgpr_workitem_id 0
		.amdhsa_next_free_vgpr 1
		.amdhsa_next_free_sgpr 0
		.amdhsa_accum_offset 4
		.amdhsa_reserve_vcc 0
		.amdhsa_reserve_flat_scratch 0
		.amdhsa_float_round_mode_32 0
		.amdhsa_float_round_mode_16_64 0
		.amdhsa_float_denorm_mode_32 3
		.amdhsa_float_denorm_mode_16_64 3
		.amdhsa_dx10_clamp 1
		.amdhsa_ieee_mode 1
		.amdhsa_fp16_overflow 0
		.amdhsa_tg_split 0
		.amdhsa_exception_fp_ieee_invalid_op 0
		.amdhsa_exception_fp_denorm_src 0
		.amdhsa_exception_fp_ieee_div_zero 0
		.amdhsa_exception_fp_ieee_overflow 0
		.amdhsa_exception_fp_ieee_underflow 0
		.amdhsa_exception_fp_ieee_inexact 0
		.amdhsa_exception_int_div_zero 0
	.end_amdhsa_kernel
	.section	.text._ZN7rocprim17ROCPRIM_400000_NS6detail17trampoline_kernelINS0_14default_configENS1_25partition_config_selectorILNS1_17partition_subalgoE9EllbEEZZNS1_14partition_implILS5_9ELb0ES3_jPlS8_PNS0_10empty_typeENS0_5tupleIJS8_S9_EEENSB_IJS8_SA_EEENS0_18inequality_wrapperIZN2at6native12_GLOBAL__N_124unique_dim_cuda_templateIN3c104HalfEEESt5tupleIJNSF_6TensorESM_SM_EERKSM_lbbbEUlllE0_EEPmJS9_EEE10hipError_tPvRmT3_T4_T5_T6_T7_T9_mT8_P12ihipStream_tbDpT10_ENKUlT_T0_E_clISt17integral_constantIbLb1EES1C_EEDaS17_S18_EUlS17_E_NS1_11comp_targetILNS1_3genE8ELNS1_11target_archE1030ELNS1_3gpuE2ELNS1_3repE0EEENS1_30default_config_static_selectorELNS0_4arch9wavefront6targetE1EEEvT1_,"axG",@progbits,_ZN7rocprim17ROCPRIM_400000_NS6detail17trampoline_kernelINS0_14default_configENS1_25partition_config_selectorILNS1_17partition_subalgoE9EllbEEZZNS1_14partition_implILS5_9ELb0ES3_jPlS8_PNS0_10empty_typeENS0_5tupleIJS8_S9_EEENSB_IJS8_SA_EEENS0_18inequality_wrapperIZN2at6native12_GLOBAL__N_124unique_dim_cuda_templateIN3c104HalfEEESt5tupleIJNSF_6TensorESM_SM_EERKSM_lbbbEUlllE0_EEPmJS9_EEE10hipError_tPvRmT3_T4_T5_T6_T7_T9_mT8_P12ihipStream_tbDpT10_ENKUlT_T0_E_clISt17integral_constantIbLb1EES1C_EEDaS17_S18_EUlS17_E_NS1_11comp_targetILNS1_3genE8ELNS1_11target_archE1030ELNS1_3gpuE2ELNS1_3repE0EEENS1_30default_config_static_selectorELNS0_4arch9wavefront6targetE1EEEvT1_,comdat
.Lfunc_end1342:
	.size	_ZN7rocprim17ROCPRIM_400000_NS6detail17trampoline_kernelINS0_14default_configENS1_25partition_config_selectorILNS1_17partition_subalgoE9EllbEEZZNS1_14partition_implILS5_9ELb0ES3_jPlS8_PNS0_10empty_typeENS0_5tupleIJS8_S9_EEENSB_IJS8_SA_EEENS0_18inequality_wrapperIZN2at6native12_GLOBAL__N_124unique_dim_cuda_templateIN3c104HalfEEESt5tupleIJNSF_6TensorESM_SM_EERKSM_lbbbEUlllE0_EEPmJS9_EEE10hipError_tPvRmT3_T4_T5_T6_T7_T9_mT8_P12ihipStream_tbDpT10_ENKUlT_T0_E_clISt17integral_constantIbLb1EES1C_EEDaS17_S18_EUlS17_E_NS1_11comp_targetILNS1_3genE8ELNS1_11target_archE1030ELNS1_3gpuE2ELNS1_3repE0EEENS1_30default_config_static_selectorELNS0_4arch9wavefront6targetE1EEEvT1_, .Lfunc_end1342-_ZN7rocprim17ROCPRIM_400000_NS6detail17trampoline_kernelINS0_14default_configENS1_25partition_config_selectorILNS1_17partition_subalgoE9EllbEEZZNS1_14partition_implILS5_9ELb0ES3_jPlS8_PNS0_10empty_typeENS0_5tupleIJS8_S9_EEENSB_IJS8_SA_EEENS0_18inequality_wrapperIZN2at6native12_GLOBAL__N_124unique_dim_cuda_templateIN3c104HalfEEESt5tupleIJNSF_6TensorESM_SM_EERKSM_lbbbEUlllE0_EEPmJS9_EEE10hipError_tPvRmT3_T4_T5_T6_T7_T9_mT8_P12ihipStream_tbDpT10_ENKUlT_T0_E_clISt17integral_constantIbLb1EES1C_EEDaS17_S18_EUlS17_E_NS1_11comp_targetILNS1_3genE8ELNS1_11target_archE1030ELNS1_3gpuE2ELNS1_3repE0EEENS1_30default_config_static_selectorELNS0_4arch9wavefront6targetE1EEEvT1_
                                        ; -- End function
	.section	.AMDGPU.csdata,"",@progbits
; Kernel info:
; codeLenInByte = 0
; NumSgprs: 4
; NumVgprs: 0
; NumAgprs: 0
; TotalNumVgprs: 0
; ScratchSize: 0
; MemoryBound: 0
; FloatMode: 240
; IeeeMode: 1
; LDSByteSize: 0 bytes/workgroup (compile time only)
; SGPRBlocks: 0
; VGPRBlocks: 0
; NumSGPRsForWavesPerEU: 4
; NumVGPRsForWavesPerEU: 1
; AccumOffset: 4
; Occupancy: 8
; WaveLimiterHint : 0
; COMPUTE_PGM_RSRC2:SCRATCH_EN: 0
; COMPUTE_PGM_RSRC2:USER_SGPR: 6
; COMPUTE_PGM_RSRC2:TRAP_HANDLER: 0
; COMPUTE_PGM_RSRC2:TGID_X_EN: 1
; COMPUTE_PGM_RSRC2:TGID_Y_EN: 0
; COMPUTE_PGM_RSRC2:TGID_Z_EN: 0
; COMPUTE_PGM_RSRC2:TIDIG_COMP_CNT: 0
; COMPUTE_PGM_RSRC3_GFX90A:ACCUM_OFFSET: 0
; COMPUTE_PGM_RSRC3_GFX90A:TG_SPLIT: 0
	.section	.text._ZN7rocprim17ROCPRIM_400000_NS6detail17trampoline_kernelINS0_14default_configENS1_25partition_config_selectorILNS1_17partition_subalgoE9EllbEEZZNS1_14partition_implILS5_9ELb0ES3_jPlS8_PNS0_10empty_typeENS0_5tupleIJS8_S9_EEENSB_IJS8_SA_EEENS0_18inequality_wrapperIZN2at6native12_GLOBAL__N_124unique_dim_cuda_templateIN3c104HalfEEESt5tupleIJNSF_6TensorESM_SM_EERKSM_lbbbEUlllE0_EEPmJS9_EEE10hipError_tPvRmT3_T4_T5_T6_T7_T9_mT8_P12ihipStream_tbDpT10_ENKUlT_T0_E_clISt17integral_constantIbLb1EES1B_IbLb0EEEEDaS17_S18_EUlS17_E_NS1_11comp_targetILNS1_3genE0ELNS1_11target_archE4294967295ELNS1_3gpuE0ELNS1_3repE0EEENS1_30default_config_static_selectorELNS0_4arch9wavefront6targetE1EEEvT1_,"axG",@progbits,_ZN7rocprim17ROCPRIM_400000_NS6detail17trampoline_kernelINS0_14default_configENS1_25partition_config_selectorILNS1_17partition_subalgoE9EllbEEZZNS1_14partition_implILS5_9ELb0ES3_jPlS8_PNS0_10empty_typeENS0_5tupleIJS8_S9_EEENSB_IJS8_SA_EEENS0_18inequality_wrapperIZN2at6native12_GLOBAL__N_124unique_dim_cuda_templateIN3c104HalfEEESt5tupleIJNSF_6TensorESM_SM_EERKSM_lbbbEUlllE0_EEPmJS9_EEE10hipError_tPvRmT3_T4_T5_T6_T7_T9_mT8_P12ihipStream_tbDpT10_ENKUlT_T0_E_clISt17integral_constantIbLb1EES1B_IbLb0EEEEDaS17_S18_EUlS17_E_NS1_11comp_targetILNS1_3genE0ELNS1_11target_archE4294967295ELNS1_3gpuE0ELNS1_3repE0EEENS1_30default_config_static_selectorELNS0_4arch9wavefront6targetE1EEEvT1_,comdat
	.globl	_ZN7rocprim17ROCPRIM_400000_NS6detail17trampoline_kernelINS0_14default_configENS1_25partition_config_selectorILNS1_17partition_subalgoE9EllbEEZZNS1_14partition_implILS5_9ELb0ES3_jPlS8_PNS0_10empty_typeENS0_5tupleIJS8_S9_EEENSB_IJS8_SA_EEENS0_18inequality_wrapperIZN2at6native12_GLOBAL__N_124unique_dim_cuda_templateIN3c104HalfEEESt5tupleIJNSF_6TensorESM_SM_EERKSM_lbbbEUlllE0_EEPmJS9_EEE10hipError_tPvRmT3_T4_T5_T6_T7_T9_mT8_P12ihipStream_tbDpT10_ENKUlT_T0_E_clISt17integral_constantIbLb1EES1B_IbLb0EEEEDaS17_S18_EUlS17_E_NS1_11comp_targetILNS1_3genE0ELNS1_11target_archE4294967295ELNS1_3gpuE0ELNS1_3repE0EEENS1_30default_config_static_selectorELNS0_4arch9wavefront6targetE1EEEvT1_ ; -- Begin function _ZN7rocprim17ROCPRIM_400000_NS6detail17trampoline_kernelINS0_14default_configENS1_25partition_config_selectorILNS1_17partition_subalgoE9EllbEEZZNS1_14partition_implILS5_9ELb0ES3_jPlS8_PNS0_10empty_typeENS0_5tupleIJS8_S9_EEENSB_IJS8_SA_EEENS0_18inequality_wrapperIZN2at6native12_GLOBAL__N_124unique_dim_cuda_templateIN3c104HalfEEESt5tupleIJNSF_6TensorESM_SM_EERKSM_lbbbEUlllE0_EEPmJS9_EEE10hipError_tPvRmT3_T4_T5_T6_T7_T9_mT8_P12ihipStream_tbDpT10_ENKUlT_T0_E_clISt17integral_constantIbLb1EES1B_IbLb0EEEEDaS17_S18_EUlS17_E_NS1_11comp_targetILNS1_3genE0ELNS1_11target_archE4294967295ELNS1_3gpuE0ELNS1_3repE0EEENS1_30default_config_static_selectorELNS0_4arch9wavefront6targetE1EEEvT1_
	.p2align	8
	.type	_ZN7rocprim17ROCPRIM_400000_NS6detail17trampoline_kernelINS0_14default_configENS1_25partition_config_selectorILNS1_17partition_subalgoE9EllbEEZZNS1_14partition_implILS5_9ELb0ES3_jPlS8_PNS0_10empty_typeENS0_5tupleIJS8_S9_EEENSB_IJS8_SA_EEENS0_18inequality_wrapperIZN2at6native12_GLOBAL__N_124unique_dim_cuda_templateIN3c104HalfEEESt5tupleIJNSF_6TensorESM_SM_EERKSM_lbbbEUlllE0_EEPmJS9_EEE10hipError_tPvRmT3_T4_T5_T6_T7_T9_mT8_P12ihipStream_tbDpT10_ENKUlT_T0_E_clISt17integral_constantIbLb1EES1B_IbLb0EEEEDaS17_S18_EUlS17_E_NS1_11comp_targetILNS1_3genE0ELNS1_11target_archE4294967295ELNS1_3gpuE0ELNS1_3repE0EEENS1_30default_config_static_selectorELNS0_4arch9wavefront6targetE1EEEvT1_,@function
_ZN7rocprim17ROCPRIM_400000_NS6detail17trampoline_kernelINS0_14default_configENS1_25partition_config_selectorILNS1_17partition_subalgoE9EllbEEZZNS1_14partition_implILS5_9ELb0ES3_jPlS8_PNS0_10empty_typeENS0_5tupleIJS8_S9_EEENSB_IJS8_SA_EEENS0_18inequality_wrapperIZN2at6native12_GLOBAL__N_124unique_dim_cuda_templateIN3c104HalfEEESt5tupleIJNSF_6TensorESM_SM_EERKSM_lbbbEUlllE0_EEPmJS9_EEE10hipError_tPvRmT3_T4_T5_T6_T7_T9_mT8_P12ihipStream_tbDpT10_ENKUlT_T0_E_clISt17integral_constantIbLb1EES1B_IbLb0EEEEDaS17_S18_EUlS17_E_NS1_11comp_targetILNS1_3genE0ELNS1_11target_archE4294967295ELNS1_3gpuE0ELNS1_3repE0EEENS1_30default_config_static_selectorELNS0_4arch9wavefront6targetE1EEEvT1_: ; @_ZN7rocprim17ROCPRIM_400000_NS6detail17trampoline_kernelINS0_14default_configENS1_25partition_config_selectorILNS1_17partition_subalgoE9EllbEEZZNS1_14partition_implILS5_9ELb0ES3_jPlS8_PNS0_10empty_typeENS0_5tupleIJS8_S9_EEENSB_IJS8_SA_EEENS0_18inequality_wrapperIZN2at6native12_GLOBAL__N_124unique_dim_cuda_templateIN3c104HalfEEESt5tupleIJNSF_6TensorESM_SM_EERKSM_lbbbEUlllE0_EEPmJS9_EEE10hipError_tPvRmT3_T4_T5_T6_T7_T9_mT8_P12ihipStream_tbDpT10_ENKUlT_T0_E_clISt17integral_constantIbLb1EES1B_IbLb0EEEEDaS17_S18_EUlS17_E_NS1_11comp_targetILNS1_3genE0ELNS1_11target_archE4294967295ELNS1_3gpuE0ELNS1_3repE0EEENS1_30default_config_static_selectorELNS0_4arch9wavefront6targetE1EEEvT1_
; %bb.0:
	.section	.rodata,"a",@progbits
	.p2align	6, 0x0
	.amdhsa_kernel _ZN7rocprim17ROCPRIM_400000_NS6detail17trampoline_kernelINS0_14default_configENS1_25partition_config_selectorILNS1_17partition_subalgoE9EllbEEZZNS1_14partition_implILS5_9ELb0ES3_jPlS8_PNS0_10empty_typeENS0_5tupleIJS8_S9_EEENSB_IJS8_SA_EEENS0_18inequality_wrapperIZN2at6native12_GLOBAL__N_124unique_dim_cuda_templateIN3c104HalfEEESt5tupleIJNSF_6TensorESM_SM_EERKSM_lbbbEUlllE0_EEPmJS9_EEE10hipError_tPvRmT3_T4_T5_T6_T7_T9_mT8_P12ihipStream_tbDpT10_ENKUlT_T0_E_clISt17integral_constantIbLb1EES1B_IbLb0EEEEDaS17_S18_EUlS17_E_NS1_11comp_targetILNS1_3genE0ELNS1_11target_archE4294967295ELNS1_3gpuE0ELNS1_3repE0EEENS1_30default_config_static_selectorELNS0_4arch9wavefront6targetE1EEEvT1_
		.amdhsa_group_segment_fixed_size 0
		.amdhsa_private_segment_fixed_size 0
		.amdhsa_kernarg_size 120
		.amdhsa_user_sgpr_count 6
		.amdhsa_user_sgpr_private_segment_buffer 1
		.amdhsa_user_sgpr_dispatch_ptr 0
		.amdhsa_user_sgpr_queue_ptr 0
		.amdhsa_user_sgpr_kernarg_segment_ptr 1
		.amdhsa_user_sgpr_dispatch_id 0
		.amdhsa_user_sgpr_flat_scratch_init 0
		.amdhsa_user_sgpr_kernarg_preload_length 0
		.amdhsa_user_sgpr_kernarg_preload_offset 0
		.amdhsa_user_sgpr_private_segment_size 0
		.amdhsa_uses_dynamic_stack 0
		.amdhsa_system_sgpr_private_segment_wavefront_offset 0
		.amdhsa_system_sgpr_workgroup_id_x 1
		.amdhsa_system_sgpr_workgroup_id_y 0
		.amdhsa_system_sgpr_workgroup_id_z 0
		.amdhsa_system_sgpr_workgroup_info 0
		.amdhsa_system_vgpr_workitem_id 0
		.amdhsa_next_free_vgpr 1
		.amdhsa_next_free_sgpr 0
		.amdhsa_accum_offset 4
		.amdhsa_reserve_vcc 0
		.amdhsa_reserve_flat_scratch 0
		.amdhsa_float_round_mode_32 0
		.amdhsa_float_round_mode_16_64 0
		.amdhsa_float_denorm_mode_32 3
		.amdhsa_float_denorm_mode_16_64 3
		.amdhsa_dx10_clamp 1
		.amdhsa_ieee_mode 1
		.amdhsa_fp16_overflow 0
		.amdhsa_tg_split 0
		.amdhsa_exception_fp_ieee_invalid_op 0
		.amdhsa_exception_fp_denorm_src 0
		.amdhsa_exception_fp_ieee_div_zero 0
		.amdhsa_exception_fp_ieee_overflow 0
		.amdhsa_exception_fp_ieee_underflow 0
		.amdhsa_exception_fp_ieee_inexact 0
		.amdhsa_exception_int_div_zero 0
	.end_amdhsa_kernel
	.section	.text._ZN7rocprim17ROCPRIM_400000_NS6detail17trampoline_kernelINS0_14default_configENS1_25partition_config_selectorILNS1_17partition_subalgoE9EllbEEZZNS1_14partition_implILS5_9ELb0ES3_jPlS8_PNS0_10empty_typeENS0_5tupleIJS8_S9_EEENSB_IJS8_SA_EEENS0_18inequality_wrapperIZN2at6native12_GLOBAL__N_124unique_dim_cuda_templateIN3c104HalfEEESt5tupleIJNSF_6TensorESM_SM_EERKSM_lbbbEUlllE0_EEPmJS9_EEE10hipError_tPvRmT3_T4_T5_T6_T7_T9_mT8_P12ihipStream_tbDpT10_ENKUlT_T0_E_clISt17integral_constantIbLb1EES1B_IbLb0EEEEDaS17_S18_EUlS17_E_NS1_11comp_targetILNS1_3genE0ELNS1_11target_archE4294967295ELNS1_3gpuE0ELNS1_3repE0EEENS1_30default_config_static_selectorELNS0_4arch9wavefront6targetE1EEEvT1_,"axG",@progbits,_ZN7rocprim17ROCPRIM_400000_NS6detail17trampoline_kernelINS0_14default_configENS1_25partition_config_selectorILNS1_17partition_subalgoE9EllbEEZZNS1_14partition_implILS5_9ELb0ES3_jPlS8_PNS0_10empty_typeENS0_5tupleIJS8_S9_EEENSB_IJS8_SA_EEENS0_18inequality_wrapperIZN2at6native12_GLOBAL__N_124unique_dim_cuda_templateIN3c104HalfEEESt5tupleIJNSF_6TensorESM_SM_EERKSM_lbbbEUlllE0_EEPmJS9_EEE10hipError_tPvRmT3_T4_T5_T6_T7_T9_mT8_P12ihipStream_tbDpT10_ENKUlT_T0_E_clISt17integral_constantIbLb1EES1B_IbLb0EEEEDaS17_S18_EUlS17_E_NS1_11comp_targetILNS1_3genE0ELNS1_11target_archE4294967295ELNS1_3gpuE0ELNS1_3repE0EEENS1_30default_config_static_selectorELNS0_4arch9wavefront6targetE1EEEvT1_,comdat
.Lfunc_end1343:
	.size	_ZN7rocprim17ROCPRIM_400000_NS6detail17trampoline_kernelINS0_14default_configENS1_25partition_config_selectorILNS1_17partition_subalgoE9EllbEEZZNS1_14partition_implILS5_9ELb0ES3_jPlS8_PNS0_10empty_typeENS0_5tupleIJS8_S9_EEENSB_IJS8_SA_EEENS0_18inequality_wrapperIZN2at6native12_GLOBAL__N_124unique_dim_cuda_templateIN3c104HalfEEESt5tupleIJNSF_6TensorESM_SM_EERKSM_lbbbEUlllE0_EEPmJS9_EEE10hipError_tPvRmT3_T4_T5_T6_T7_T9_mT8_P12ihipStream_tbDpT10_ENKUlT_T0_E_clISt17integral_constantIbLb1EES1B_IbLb0EEEEDaS17_S18_EUlS17_E_NS1_11comp_targetILNS1_3genE0ELNS1_11target_archE4294967295ELNS1_3gpuE0ELNS1_3repE0EEENS1_30default_config_static_selectorELNS0_4arch9wavefront6targetE1EEEvT1_, .Lfunc_end1343-_ZN7rocprim17ROCPRIM_400000_NS6detail17trampoline_kernelINS0_14default_configENS1_25partition_config_selectorILNS1_17partition_subalgoE9EllbEEZZNS1_14partition_implILS5_9ELb0ES3_jPlS8_PNS0_10empty_typeENS0_5tupleIJS8_S9_EEENSB_IJS8_SA_EEENS0_18inequality_wrapperIZN2at6native12_GLOBAL__N_124unique_dim_cuda_templateIN3c104HalfEEESt5tupleIJNSF_6TensorESM_SM_EERKSM_lbbbEUlllE0_EEPmJS9_EEE10hipError_tPvRmT3_T4_T5_T6_T7_T9_mT8_P12ihipStream_tbDpT10_ENKUlT_T0_E_clISt17integral_constantIbLb1EES1B_IbLb0EEEEDaS17_S18_EUlS17_E_NS1_11comp_targetILNS1_3genE0ELNS1_11target_archE4294967295ELNS1_3gpuE0ELNS1_3repE0EEENS1_30default_config_static_selectorELNS0_4arch9wavefront6targetE1EEEvT1_
                                        ; -- End function
	.section	.AMDGPU.csdata,"",@progbits
; Kernel info:
; codeLenInByte = 0
; NumSgprs: 4
; NumVgprs: 0
; NumAgprs: 0
; TotalNumVgprs: 0
; ScratchSize: 0
; MemoryBound: 0
; FloatMode: 240
; IeeeMode: 1
; LDSByteSize: 0 bytes/workgroup (compile time only)
; SGPRBlocks: 0
; VGPRBlocks: 0
; NumSGPRsForWavesPerEU: 4
; NumVGPRsForWavesPerEU: 1
; AccumOffset: 4
; Occupancy: 8
; WaveLimiterHint : 0
; COMPUTE_PGM_RSRC2:SCRATCH_EN: 0
; COMPUTE_PGM_RSRC2:USER_SGPR: 6
; COMPUTE_PGM_RSRC2:TRAP_HANDLER: 0
; COMPUTE_PGM_RSRC2:TGID_X_EN: 1
; COMPUTE_PGM_RSRC2:TGID_Y_EN: 0
; COMPUTE_PGM_RSRC2:TGID_Z_EN: 0
; COMPUTE_PGM_RSRC2:TIDIG_COMP_CNT: 0
; COMPUTE_PGM_RSRC3_GFX90A:ACCUM_OFFSET: 0
; COMPUTE_PGM_RSRC3_GFX90A:TG_SPLIT: 0
	.section	.text._ZN7rocprim17ROCPRIM_400000_NS6detail17trampoline_kernelINS0_14default_configENS1_25partition_config_selectorILNS1_17partition_subalgoE9EllbEEZZNS1_14partition_implILS5_9ELb0ES3_jPlS8_PNS0_10empty_typeENS0_5tupleIJS8_S9_EEENSB_IJS8_SA_EEENS0_18inequality_wrapperIZN2at6native12_GLOBAL__N_124unique_dim_cuda_templateIN3c104HalfEEESt5tupleIJNSF_6TensorESM_SM_EERKSM_lbbbEUlllE0_EEPmJS9_EEE10hipError_tPvRmT3_T4_T5_T6_T7_T9_mT8_P12ihipStream_tbDpT10_ENKUlT_T0_E_clISt17integral_constantIbLb1EES1B_IbLb0EEEEDaS17_S18_EUlS17_E_NS1_11comp_targetILNS1_3genE5ELNS1_11target_archE942ELNS1_3gpuE9ELNS1_3repE0EEENS1_30default_config_static_selectorELNS0_4arch9wavefront6targetE1EEEvT1_,"axG",@progbits,_ZN7rocprim17ROCPRIM_400000_NS6detail17trampoline_kernelINS0_14default_configENS1_25partition_config_selectorILNS1_17partition_subalgoE9EllbEEZZNS1_14partition_implILS5_9ELb0ES3_jPlS8_PNS0_10empty_typeENS0_5tupleIJS8_S9_EEENSB_IJS8_SA_EEENS0_18inequality_wrapperIZN2at6native12_GLOBAL__N_124unique_dim_cuda_templateIN3c104HalfEEESt5tupleIJNSF_6TensorESM_SM_EERKSM_lbbbEUlllE0_EEPmJS9_EEE10hipError_tPvRmT3_T4_T5_T6_T7_T9_mT8_P12ihipStream_tbDpT10_ENKUlT_T0_E_clISt17integral_constantIbLb1EES1B_IbLb0EEEEDaS17_S18_EUlS17_E_NS1_11comp_targetILNS1_3genE5ELNS1_11target_archE942ELNS1_3gpuE9ELNS1_3repE0EEENS1_30default_config_static_selectorELNS0_4arch9wavefront6targetE1EEEvT1_,comdat
	.globl	_ZN7rocprim17ROCPRIM_400000_NS6detail17trampoline_kernelINS0_14default_configENS1_25partition_config_selectorILNS1_17partition_subalgoE9EllbEEZZNS1_14partition_implILS5_9ELb0ES3_jPlS8_PNS0_10empty_typeENS0_5tupleIJS8_S9_EEENSB_IJS8_SA_EEENS0_18inequality_wrapperIZN2at6native12_GLOBAL__N_124unique_dim_cuda_templateIN3c104HalfEEESt5tupleIJNSF_6TensorESM_SM_EERKSM_lbbbEUlllE0_EEPmJS9_EEE10hipError_tPvRmT3_T4_T5_T6_T7_T9_mT8_P12ihipStream_tbDpT10_ENKUlT_T0_E_clISt17integral_constantIbLb1EES1B_IbLb0EEEEDaS17_S18_EUlS17_E_NS1_11comp_targetILNS1_3genE5ELNS1_11target_archE942ELNS1_3gpuE9ELNS1_3repE0EEENS1_30default_config_static_selectorELNS0_4arch9wavefront6targetE1EEEvT1_ ; -- Begin function _ZN7rocprim17ROCPRIM_400000_NS6detail17trampoline_kernelINS0_14default_configENS1_25partition_config_selectorILNS1_17partition_subalgoE9EllbEEZZNS1_14partition_implILS5_9ELb0ES3_jPlS8_PNS0_10empty_typeENS0_5tupleIJS8_S9_EEENSB_IJS8_SA_EEENS0_18inequality_wrapperIZN2at6native12_GLOBAL__N_124unique_dim_cuda_templateIN3c104HalfEEESt5tupleIJNSF_6TensorESM_SM_EERKSM_lbbbEUlllE0_EEPmJS9_EEE10hipError_tPvRmT3_T4_T5_T6_T7_T9_mT8_P12ihipStream_tbDpT10_ENKUlT_T0_E_clISt17integral_constantIbLb1EES1B_IbLb0EEEEDaS17_S18_EUlS17_E_NS1_11comp_targetILNS1_3genE5ELNS1_11target_archE942ELNS1_3gpuE9ELNS1_3repE0EEENS1_30default_config_static_selectorELNS0_4arch9wavefront6targetE1EEEvT1_
	.p2align	8
	.type	_ZN7rocprim17ROCPRIM_400000_NS6detail17trampoline_kernelINS0_14default_configENS1_25partition_config_selectorILNS1_17partition_subalgoE9EllbEEZZNS1_14partition_implILS5_9ELb0ES3_jPlS8_PNS0_10empty_typeENS0_5tupleIJS8_S9_EEENSB_IJS8_SA_EEENS0_18inequality_wrapperIZN2at6native12_GLOBAL__N_124unique_dim_cuda_templateIN3c104HalfEEESt5tupleIJNSF_6TensorESM_SM_EERKSM_lbbbEUlllE0_EEPmJS9_EEE10hipError_tPvRmT3_T4_T5_T6_T7_T9_mT8_P12ihipStream_tbDpT10_ENKUlT_T0_E_clISt17integral_constantIbLb1EES1B_IbLb0EEEEDaS17_S18_EUlS17_E_NS1_11comp_targetILNS1_3genE5ELNS1_11target_archE942ELNS1_3gpuE9ELNS1_3repE0EEENS1_30default_config_static_selectorELNS0_4arch9wavefront6targetE1EEEvT1_,@function
_ZN7rocprim17ROCPRIM_400000_NS6detail17trampoline_kernelINS0_14default_configENS1_25partition_config_selectorILNS1_17partition_subalgoE9EllbEEZZNS1_14partition_implILS5_9ELb0ES3_jPlS8_PNS0_10empty_typeENS0_5tupleIJS8_S9_EEENSB_IJS8_SA_EEENS0_18inequality_wrapperIZN2at6native12_GLOBAL__N_124unique_dim_cuda_templateIN3c104HalfEEESt5tupleIJNSF_6TensorESM_SM_EERKSM_lbbbEUlllE0_EEPmJS9_EEE10hipError_tPvRmT3_T4_T5_T6_T7_T9_mT8_P12ihipStream_tbDpT10_ENKUlT_T0_E_clISt17integral_constantIbLb1EES1B_IbLb0EEEEDaS17_S18_EUlS17_E_NS1_11comp_targetILNS1_3genE5ELNS1_11target_archE942ELNS1_3gpuE9ELNS1_3repE0EEENS1_30default_config_static_selectorELNS0_4arch9wavefront6targetE1EEEvT1_: ; @_ZN7rocprim17ROCPRIM_400000_NS6detail17trampoline_kernelINS0_14default_configENS1_25partition_config_selectorILNS1_17partition_subalgoE9EllbEEZZNS1_14partition_implILS5_9ELb0ES3_jPlS8_PNS0_10empty_typeENS0_5tupleIJS8_S9_EEENSB_IJS8_SA_EEENS0_18inequality_wrapperIZN2at6native12_GLOBAL__N_124unique_dim_cuda_templateIN3c104HalfEEESt5tupleIJNSF_6TensorESM_SM_EERKSM_lbbbEUlllE0_EEPmJS9_EEE10hipError_tPvRmT3_T4_T5_T6_T7_T9_mT8_P12ihipStream_tbDpT10_ENKUlT_T0_E_clISt17integral_constantIbLb1EES1B_IbLb0EEEEDaS17_S18_EUlS17_E_NS1_11comp_targetILNS1_3genE5ELNS1_11target_archE942ELNS1_3gpuE9ELNS1_3repE0EEENS1_30default_config_static_selectorELNS0_4arch9wavefront6targetE1EEEvT1_
; %bb.0:
	.section	.rodata,"a",@progbits
	.p2align	6, 0x0
	.amdhsa_kernel _ZN7rocprim17ROCPRIM_400000_NS6detail17trampoline_kernelINS0_14default_configENS1_25partition_config_selectorILNS1_17partition_subalgoE9EllbEEZZNS1_14partition_implILS5_9ELb0ES3_jPlS8_PNS0_10empty_typeENS0_5tupleIJS8_S9_EEENSB_IJS8_SA_EEENS0_18inequality_wrapperIZN2at6native12_GLOBAL__N_124unique_dim_cuda_templateIN3c104HalfEEESt5tupleIJNSF_6TensorESM_SM_EERKSM_lbbbEUlllE0_EEPmJS9_EEE10hipError_tPvRmT3_T4_T5_T6_T7_T9_mT8_P12ihipStream_tbDpT10_ENKUlT_T0_E_clISt17integral_constantIbLb1EES1B_IbLb0EEEEDaS17_S18_EUlS17_E_NS1_11comp_targetILNS1_3genE5ELNS1_11target_archE942ELNS1_3gpuE9ELNS1_3repE0EEENS1_30default_config_static_selectorELNS0_4arch9wavefront6targetE1EEEvT1_
		.amdhsa_group_segment_fixed_size 0
		.amdhsa_private_segment_fixed_size 0
		.amdhsa_kernarg_size 120
		.amdhsa_user_sgpr_count 6
		.amdhsa_user_sgpr_private_segment_buffer 1
		.amdhsa_user_sgpr_dispatch_ptr 0
		.amdhsa_user_sgpr_queue_ptr 0
		.amdhsa_user_sgpr_kernarg_segment_ptr 1
		.amdhsa_user_sgpr_dispatch_id 0
		.amdhsa_user_sgpr_flat_scratch_init 0
		.amdhsa_user_sgpr_kernarg_preload_length 0
		.amdhsa_user_sgpr_kernarg_preload_offset 0
		.amdhsa_user_sgpr_private_segment_size 0
		.amdhsa_uses_dynamic_stack 0
		.amdhsa_system_sgpr_private_segment_wavefront_offset 0
		.amdhsa_system_sgpr_workgroup_id_x 1
		.amdhsa_system_sgpr_workgroup_id_y 0
		.amdhsa_system_sgpr_workgroup_id_z 0
		.amdhsa_system_sgpr_workgroup_info 0
		.amdhsa_system_vgpr_workitem_id 0
		.amdhsa_next_free_vgpr 1
		.amdhsa_next_free_sgpr 0
		.amdhsa_accum_offset 4
		.amdhsa_reserve_vcc 0
		.amdhsa_reserve_flat_scratch 0
		.amdhsa_float_round_mode_32 0
		.amdhsa_float_round_mode_16_64 0
		.amdhsa_float_denorm_mode_32 3
		.amdhsa_float_denorm_mode_16_64 3
		.amdhsa_dx10_clamp 1
		.amdhsa_ieee_mode 1
		.amdhsa_fp16_overflow 0
		.amdhsa_tg_split 0
		.amdhsa_exception_fp_ieee_invalid_op 0
		.amdhsa_exception_fp_denorm_src 0
		.amdhsa_exception_fp_ieee_div_zero 0
		.amdhsa_exception_fp_ieee_overflow 0
		.amdhsa_exception_fp_ieee_underflow 0
		.amdhsa_exception_fp_ieee_inexact 0
		.amdhsa_exception_int_div_zero 0
	.end_amdhsa_kernel
	.section	.text._ZN7rocprim17ROCPRIM_400000_NS6detail17trampoline_kernelINS0_14default_configENS1_25partition_config_selectorILNS1_17partition_subalgoE9EllbEEZZNS1_14partition_implILS5_9ELb0ES3_jPlS8_PNS0_10empty_typeENS0_5tupleIJS8_S9_EEENSB_IJS8_SA_EEENS0_18inequality_wrapperIZN2at6native12_GLOBAL__N_124unique_dim_cuda_templateIN3c104HalfEEESt5tupleIJNSF_6TensorESM_SM_EERKSM_lbbbEUlllE0_EEPmJS9_EEE10hipError_tPvRmT3_T4_T5_T6_T7_T9_mT8_P12ihipStream_tbDpT10_ENKUlT_T0_E_clISt17integral_constantIbLb1EES1B_IbLb0EEEEDaS17_S18_EUlS17_E_NS1_11comp_targetILNS1_3genE5ELNS1_11target_archE942ELNS1_3gpuE9ELNS1_3repE0EEENS1_30default_config_static_selectorELNS0_4arch9wavefront6targetE1EEEvT1_,"axG",@progbits,_ZN7rocprim17ROCPRIM_400000_NS6detail17trampoline_kernelINS0_14default_configENS1_25partition_config_selectorILNS1_17partition_subalgoE9EllbEEZZNS1_14partition_implILS5_9ELb0ES3_jPlS8_PNS0_10empty_typeENS0_5tupleIJS8_S9_EEENSB_IJS8_SA_EEENS0_18inequality_wrapperIZN2at6native12_GLOBAL__N_124unique_dim_cuda_templateIN3c104HalfEEESt5tupleIJNSF_6TensorESM_SM_EERKSM_lbbbEUlllE0_EEPmJS9_EEE10hipError_tPvRmT3_T4_T5_T6_T7_T9_mT8_P12ihipStream_tbDpT10_ENKUlT_T0_E_clISt17integral_constantIbLb1EES1B_IbLb0EEEEDaS17_S18_EUlS17_E_NS1_11comp_targetILNS1_3genE5ELNS1_11target_archE942ELNS1_3gpuE9ELNS1_3repE0EEENS1_30default_config_static_selectorELNS0_4arch9wavefront6targetE1EEEvT1_,comdat
.Lfunc_end1344:
	.size	_ZN7rocprim17ROCPRIM_400000_NS6detail17trampoline_kernelINS0_14default_configENS1_25partition_config_selectorILNS1_17partition_subalgoE9EllbEEZZNS1_14partition_implILS5_9ELb0ES3_jPlS8_PNS0_10empty_typeENS0_5tupleIJS8_S9_EEENSB_IJS8_SA_EEENS0_18inequality_wrapperIZN2at6native12_GLOBAL__N_124unique_dim_cuda_templateIN3c104HalfEEESt5tupleIJNSF_6TensorESM_SM_EERKSM_lbbbEUlllE0_EEPmJS9_EEE10hipError_tPvRmT3_T4_T5_T6_T7_T9_mT8_P12ihipStream_tbDpT10_ENKUlT_T0_E_clISt17integral_constantIbLb1EES1B_IbLb0EEEEDaS17_S18_EUlS17_E_NS1_11comp_targetILNS1_3genE5ELNS1_11target_archE942ELNS1_3gpuE9ELNS1_3repE0EEENS1_30default_config_static_selectorELNS0_4arch9wavefront6targetE1EEEvT1_, .Lfunc_end1344-_ZN7rocprim17ROCPRIM_400000_NS6detail17trampoline_kernelINS0_14default_configENS1_25partition_config_selectorILNS1_17partition_subalgoE9EllbEEZZNS1_14partition_implILS5_9ELb0ES3_jPlS8_PNS0_10empty_typeENS0_5tupleIJS8_S9_EEENSB_IJS8_SA_EEENS0_18inequality_wrapperIZN2at6native12_GLOBAL__N_124unique_dim_cuda_templateIN3c104HalfEEESt5tupleIJNSF_6TensorESM_SM_EERKSM_lbbbEUlllE0_EEPmJS9_EEE10hipError_tPvRmT3_T4_T5_T6_T7_T9_mT8_P12ihipStream_tbDpT10_ENKUlT_T0_E_clISt17integral_constantIbLb1EES1B_IbLb0EEEEDaS17_S18_EUlS17_E_NS1_11comp_targetILNS1_3genE5ELNS1_11target_archE942ELNS1_3gpuE9ELNS1_3repE0EEENS1_30default_config_static_selectorELNS0_4arch9wavefront6targetE1EEEvT1_
                                        ; -- End function
	.section	.AMDGPU.csdata,"",@progbits
; Kernel info:
; codeLenInByte = 0
; NumSgprs: 4
; NumVgprs: 0
; NumAgprs: 0
; TotalNumVgprs: 0
; ScratchSize: 0
; MemoryBound: 0
; FloatMode: 240
; IeeeMode: 1
; LDSByteSize: 0 bytes/workgroup (compile time only)
; SGPRBlocks: 0
; VGPRBlocks: 0
; NumSGPRsForWavesPerEU: 4
; NumVGPRsForWavesPerEU: 1
; AccumOffset: 4
; Occupancy: 8
; WaveLimiterHint : 0
; COMPUTE_PGM_RSRC2:SCRATCH_EN: 0
; COMPUTE_PGM_RSRC2:USER_SGPR: 6
; COMPUTE_PGM_RSRC2:TRAP_HANDLER: 0
; COMPUTE_PGM_RSRC2:TGID_X_EN: 1
; COMPUTE_PGM_RSRC2:TGID_Y_EN: 0
; COMPUTE_PGM_RSRC2:TGID_Z_EN: 0
; COMPUTE_PGM_RSRC2:TIDIG_COMP_CNT: 0
; COMPUTE_PGM_RSRC3_GFX90A:ACCUM_OFFSET: 0
; COMPUTE_PGM_RSRC3_GFX90A:TG_SPLIT: 0
	.section	.text._ZN7rocprim17ROCPRIM_400000_NS6detail17trampoline_kernelINS0_14default_configENS1_25partition_config_selectorILNS1_17partition_subalgoE9EllbEEZZNS1_14partition_implILS5_9ELb0ES3_jPlS8_PNS0_10empty_typeENS0_5tupleIJS8_S9_EEENSB_IJS8_SA_EEENS0_18inequality_wrapperIZN2at6native12_GLOBAL__N_124unique_dim_cuda_templateIN3c104HalfEEESt5tupleIJNSF_6TensorESM_SM_EERKSM_lbbbEUlllE0_EEPmJS9_EEE10hipError_tPvRmT3_T4_T5_T6_T7_T9_mT8_P12ihipStream_tbDpT10_ENKUlT_T0_E_clISt17integral_constantIbLb1EES1B_IbLb0EEEEDaS17_S18_EUlS17_E_NS1_11comp_targetILNS1_3genE4ELNS1_11target_archE910ELNS1_3gpuE8ELNS1_3repE0EEENS1_30default_config_static_selectorELNS0_4arch9wavefront6targetE1EEEvT1_,"axG",@progbits,_ZN7rocprim17ROCPRIM_400000_NS6detail17trampoline_kernelINS0_14default_configENS1_25partition_config_selectorILNS1_17partition_subalgoE9EllbEEZZNS1_14partition_implILS5_9ELb0ES3_jPlS8_PNS0_10empty_typeENS0_5tupleIJS8_S9_EEENSB_IJS8_SA_EEENS0_18inequality_wrapperIZN2at6native12_GLOBAL__N_124unique_dim_cuda_templateIN3c104HalfEEESt5tupleIJNSF_6TensorESM_SM_EERKSM_lbbbEUlllE0_EEPmJS9_EEE10hipError_tPvRmT3_T4_T5_T6_T7_T9_mT8_P12ihipStream_tbDpT10_ENKUlT_T0_E_clISt17integral_constantIbLb1EES1B_IbLb0EEEEDaS17_S18_EUlS17_E_NS1_11comp_targetILNS1_3genE4ELNS1_11target_archE910ELNS1_3gpuE8ELNS1_3repE0EEENS1_30default_config_static_selectorELNS0_4arch9wavefront6targetE1EEEvT1_,comdat
	.globl	_ZN7rocprim17ROCPRIM_400000_NS6detail17trampoline_kernelINS0_14default_configENS1_25partition_config_selectorILNS1_17partition_subalgoE9EllbEEZZNS1_14partition_implILS5_9ELb0ES3_jPlS8_PNS0_10empty_typeENS0_5tupleIJS8_S9_EEENSB_IJS8_SA_EEENS0_18inequality_wrapperIZN2at6native12_GLOBAL__N_124unique_dim_cuda_templateIN3c104HalfEEESt5tupleIJNSF_6TensorESM_SM_EERKSM_lbbbEUlllE0_EEPmJS9_EEE10hipError_tPvRmT3_T4_T5_T6_T7_T9_mT8_P12ihipStream_tbDpT10_ENKUlT_T0_E_clISt17integral_constantIbLb1EES1B_IbLb0EEEEDaS17_S18_EUlS17_E_NS1_11comp_targetILNS1_3genE4ELNS1_11target_archE910ELNS1_3gpuE8ELNS1_3repE0EEENS1_30default_config_static_selectorELNS0_4arch9wavefront6targetE1EEEvT1_ ; -- Begin function _ZN7rocprim17ROCPRIM_400000_NS6detail17trampoline_kernelINS0_14default_configENS1_25partition_config_selectorILNS1_17partition_subalgoE9EllbEEZZNS1_14partition_implILS5_9ELb0ES3_jPlS8_PNS0_10empty_typeENS0_5tupleIJS8_S9_EEENSB_IJS8_SA_EEENS0_18inequality_wrapperIZN2at6native12_GLOBAL__N_124unique_dim_cuda_templateIN3c104HalfEEESt5tupleIJNSF_6TensorESM_SM_EERKSM_lbbbEUlllE0_EEPmJS9_EEE10hipError_tPvRmT3_T4_T5_T6_T7_T9_mT8_P12ihipStream_tbDpT10_ENKUlT_T0_E_clISt17integral_constantIbLb1EES1B_IbLb0EEEEDaS17_S18_EUlS17_E_NS1_11comp_targetILNS1_3genE4ELNS1_11target_archE910ELNS1_3gpuE8ELNS1_3repE0EEENS1_30default_config_static_selectorELNS0_4arch9wavefront6targetE1EEEvT1_
	.p2align	8
	.type	_ZN7rocprim17ROCPRIM_400000_NS6detail17trampoline_kernelINS0_14default_configENS1_25partition_config_selectorILNS1_17partition_subalgoE9EllbEEZZNS1_14partition_implILS5_9ELb0ES3_jPlS8_PNS0_10empty_typeENS0_5tupleIJS8_S9_EEENSB_IJS8_SA_EEENS0_18inequality_wrapperIZN2at6native12_GLOBAL__N_124unique_dim_cuda_templateIN3c104HalfEEESt5tupleIJNSF_6TensorESM_SM_EERKSM_lbbbEUlllE0_EEPmJS9_EEE10hipError_tPvRmT3_T4_T5_T6_T7_T9_mT8_P12ihipStream_tbDpT10_ENKUlT_T0_E_clISt17integral_constantIbLb1EES1B_IbLb0EEEEDaS17_S18_EUlS17_E_NS1_11comp_targetILNS1_3genE4ELNS1_11target_archE910ELNS1_3gpuE8ELNS1_3repE0EEENS1_30default_config_static_selectorELNS0_4arch9wavefront6targetE1EEEvT1_,@function
_ZN7rocprim17ROCPRIM_400000_NS6detail17trampoline_kernelINS0_14default_configENS1_25partition_config_selectorILNS1_17partition_subalgoE9EllbEEZZNS1_14partition_implILS5_9ELb0ES3_jPlS8_PNS0_10empty_typeENS0_5tupleIJS8_S9_EEENSB_IJS8_SA_EEENS0_18inequality_wrapperIZN2at6native12_GLOBAL__N_124unique_dim_cuda_templateIN3c104HalfEEESt5tupleIJNSF_6TensorESM_SM_EERKSM_lbbbEUlllE0_EEPmJS9_EEE10hipError_tPvRmT3_T4_T5_T6_T7_T9_mT8_P12ihipStream_tbDpT10_ENKUlT_T0_E_clISt17integral_constantIbLb1EES1B_IbLb0EEEEDaS17_S18_EUlS17_E_NS1_11comp_targetILNS1_3genE4ELNS1_11target_archE910ELNS1_3gpuE8ELNS1_3repE0EEENS1_30default_config_static_selectorELNS0_4arch9wavefront6targetE1EEEvT1_: ; @_ZN7rocprim17ROCPRIM_400000_NS6detail17trampoline_kernelINS0_14default_configENS1_25partition_config_selectorILNS1_17partition_subalgoE9EllbEEZZNS1_14partition_implILS5_9ELb0ES3_jPlS8_PNS0_10empty_typeENS0_5tupleIJS8_S9_EEENSB_IJS8_SA_EEENS0_18inequality_wrapperIZN2at6native12_GLOBAL__N_124unique_dim_cuda_templateIN3c104HalfEEESt5tupleIJNSF_6TensorESM_SM_EERKSM_lbbbEUlllE0_EEPmJS9_EEE10hipError_tPvRmT3_T4_T5_T6_T7_T9_mT8_P12ihipStream_tbDpT10_ENKUlT_T0_E_clISt17integral_constantIbLb1EES1B_IbLb0EEEEDaS17_S18_EUlS17_E_NS1_11comp_targetILNS1_3genE4ELNS1_11target_archE910ELNS1_3gpuE8ELNS1_3repE0EEENS1_30default_config_static_selectorELNS0_4arch9wavefront6targetE1EEEvT1_
; %bb.0:
	s_load_dwordx8 s[20:27], s[4:5], 0x40
	s_load_dwordx4 s[0:3], s[4:5], 0x8
	s_load_dwordx2 s[12:13], s[4:5], 0x18
	s_load_dword s9, s[4:5], 0x70
	v_lshrrev_b32_e32 v18, 2, v0
	s_waitcnt lgkmcnt(0)
	v_mov_b32_e32 v2, s24
	s_lshl_b64 s[14:15], s[2:3], 3
	s_add_u32 s18, s0, s14
	s_addc_u32 s19, s1, s15
	s_add_i32 s10, s9, -1
	s_lshl_b32 s0, s10, 9
	s_add_i32 s0, s2, s0
	s_lshl_b32 s8, s6, 9
	s_sub_i32 s7, s24, s0
	s_lshl_b32 s0, s9, 9
	s_add_u32 s0, s2, s0
	s_addc_u32 s1, s3, 0
	v_mov_b32_e32 v3, s25
	s_cmp_eq_u32 s6, s10
	s_load_dwordx2 s[22:23], s[22:23], 0x0
	v_cmp_ge_u64_e32 vcc, s[0:1], v[2:3]
	s_cselect_b64 s[24:25], -1, 0
	s_mov_b32 s9, 0
	s_and_b64 s[10:11], s[24:25], vcc
	s_xor_b64 s[34:35], s[10:11], -1
	s_lshl_b64 s[16:17], s[8:9], 3
	s_add_u32 s8, s18, s16
	s_mov_b64 s[0:1], -1
	s_addc_u32 s9, s19, s17
	s_and_b64 vcc, exec, s[34:35]
	s_cbranch_vccz .LBB1345_2
; %bb.1:
	v_lshlrev_b32_e32 v1, 3, v0
	global_load_dwordx2 v[2:3], v1, s[8:9]
	global_load_dwordx2 v[4:5], v1, s[8:9] offset:1024
	global_load_dwordx2 v[6:7], v1, s[8:9] offset:2048
	global_load_dwordx2 v[8:9], v1, s[8:9] offset:3072
	v_or_b32_e32 v11, 0x80, v0
	v_or_b32_e32 v12, 0x100, v0
	;; [unrolled: 1-line block ×3, first 2 shown]
	v_and_b32_e32 v10, 24, v18
	v_lshrrev_b32_e32 v11, 2, v11
	v_lshrrev_b32_e32 v12, 2, v12
	;; [unrolled: 1-line block ×3, first 2 shown]
	v_add_u32_e32 v10, v10, v1
	v_and_b32_e32 v11, 56, v11
	v_and_b32_e32 v12, 0x58, v12
	;; [unrolled: 1-line block ×3, first 2 shown]
	v_add_u32_e32 v11, v11, v1
	v_add_u32_e32 v12, v12, v1
	;; [unrolled: 1-line block ×3, first 2 shown]
	s_mov_b64 s[0:1], 0
	s_waitcnt vmcnt(3)
	ds_write_b64 v10, v[2:3]
	s_waitcnt vmcnt(2)
	ds_write_b64 v11, v[4:5] offset:1024
	s_waitcnt vmcnt(1)
	ds_write_b64 v12, v[6:7] offset:2048
	;; [unrolled: 2-line block ×3, first 2 shown]
	s_waitcnt lgkmcnt(0)
	s_barrier
.LBB1345_2:
	s_load_dwordx4 s[28:31], s[4:5], 0x60
	s_andn2_b64 vcc, exec, s[0:1]
	v_cmp_gt_u32_e64 s[0:1], s7, v0
	s_cbranch_vccnz .LBB1345_12
; %bb.3:
                                        ; implicit-def: $vgpr2_vgpr3_vgpr4_vgpr5_vgpr6_vgpr7_vgpr8_vgpr9
	s_and_saveexec_b64 s[18:19], s[0:1]
	s_cbranch_execz .LBB1345_5
; %bb.4:
	v_lshlrev_b32_e32 v1, 3, v0
	global_load_dwordx2 v[2:3], v1, s[8:9]
.LBB1345_5:
	s_or_b64 exec, exec, s[18:19]
	v_or_b32_e32 v1, 0x80, v0
	v_cmp_gt_u32_e32 vcc, s7, v1
	s_and_saveexec_b64 s[0:1], vcc
	s_cbranch_execz .LBB1345_7
; %bb.6:
	v_lshlrev_b32_e32 v4, 3, v0
	global_load_dwordx2 v[4:5], v4, s[8:9] offset:1024
.LBB1345_7:
	s_or_b64 exec, exec, s[0:1]
	v_or_b32_e32 v10, 0x100, v0
	v_cmp_gt_u32_e32 vcc, s7, v10
	s_and_saveexec_b64 s[0:1], vcc
	s_cbranch_execz .LBB1345_9
; %bb.8:
	v_lshlrev_b32_e32 v6, 3, v0
	global_load_dwordx2 v[6:7], v6, s[8:9] offset:2048
.LBB1345_9:
	;; [unrolled: 9-line block ×3, first 2 shown]
	s_or_b64 exec, exec, s[0:1]
	v_lshrrev_b32_e32 v1, 2, v1
	v_lshlrev_b32_e32 v13, 3, v0
	v_and_b32_e32 v1, 56, v1
	v_add_u32_e32 v1, v1, v13
	s_waitcnt vmcnt(0)
	ds_write_b64 v1, v[4:5] offset:1024
	v_lshrrev_b32_e32 v1, 2, v10
	v_and_b32_e32 v1, 0x78, v1
	v_add_u32_e32 v1, v1, v13
	ds_write_b64 v1, v[6:7] offset:2048
	v_lshrrev_b32_e32 v1, 2, v11
	v_and_b32_e32 v12, 24, v18
	v_and_b32_e32 v1, 0x78, v1
	v_add_u32_e32 v12, v12, v13
	v_add_u32_e32 v1, v1, v13
	ds_write_b64 v12, v[2:3]
	ds_write_b64 v1, v[8:9] offset:3072
	s_waitcnt lgkmcnt(0)
	s_barrier
.LBB1345_12:
	v_lshlrev_b32_e32 v1, 2, v0
	v_lshrrev_b32_e32 v2, 3, v0
	v_add_lshl_u32 v19, v2, v1, 3
	s_waitcnt lgkmcnt(0)
	ds_read2_b64 v[14:17], v19 offset1:1
	ds_read2_b64 v[10:13], v19 offset0:2 offset1:3
	s_add_u32 s0, s12, s14
	s_addc_u32 s1, s13, s15
	s_add_u32 s0, s0, s16
	s_addc_u32 s1, s1, s17
	s_mov_b64 s[12:13], -1
	s_and_b64 vcc, exec, s[34:35]
	s_waitcnt lgkmcnt(0)
	s_barrier
	s_cbranch_vccz .LBB1345_14
; %bb.13:
	v_lshlrev_b32_e32 v20, 3, v0
	global_load_dwordx2 v[2:3], v20, s[0:1]
	global_load_dwordx2 v[4:5], v20, s[0:1] offset:1024
	global_load_dwordx2 v[6:7], v20, s[0:1] offset:2048
	global_load_dwordx2 v[8:9], v20, s[0:1] offset:3072
	v_or_b32_e32 v22, 0x80, v0
	v_or_b32_e32 v23, 0x100, v0
	;; [unrolled: 1-line block ×3, first 2 shown]
	v_and_b32_e32 v21, 24, v18
	v_lshrrev_b32_e32 v22, 2, v22
	v_lshrrev_b32_e32 v23, 2, v23
	;; [unrolled: 1-line block ×3, first 2 shown]
	v_add_u32_e32 v21, v21, v20
	v_and_b32_e32 v22, 56, v22
	v_and_b32_e32 v23, 0x58, v23
	;; [unrolled: 1-line block ×3, first 2 shown]
	v_add_u32_e32 v22, v22, v20
	v_add_u32_e32 v23, v23, v20
	;; [unrolled: 1-line block ×3, first 2 shown]
	s_mov_b64 s[12:13], 0
	s_waitcnt vmcnt(3)
	ds_write_b64 v21, v[2:3]
	s_waitcnt vmcnt(2)
	ds_write_b64 v22, v[4:5] offset:1024
	s_waitcnt vmcnt(1)
	ds_write_b64 v23, v[6:7] offset:2048
	;; [unrolled: 2-line block ×3, first 2 shown]
	s_waitcnt lgkmcnt(0)
	s_barrier
.LBB1345_14:
	s_andn2_b64 vcc, exec, s[12:13]
	s_cbranch_vccnz .LBB1345_24
; %bb.15:
	v_cmp_gt_u32_e32 vcc, s7, v0
                                        ; implicit-def: $vgpr2_vgpr3
	s_and_saveexec_b64 s[12:13], vcc
	s_cbranch_execz .LBB1345_17
; %bb.16:
	v_lshlrev_b32_e32 v2, 3, v0
	global_load_dwordx2 v[2:3], v2, s[0:1]
.LBB1345_17:
	s_or_b64 exec, exec, s[12:13]
	v_or_b32_e32 v20, 0x80, v0
	v_cmp_gt_u32_e32 vcc, s7, v20
                                        ; implicit-def: $vgpr4_vgpr5
	s_and_saveexec_b64 s[12:13], vcc
	s_cbranch_execz .LBB1345_19
; %bb.18:
	v_lshlrev_b32_e32 v4, 3, v0
	global_load_dwordx2 v[4:5], v4, s[0:1] offset:1024
.LBB1345_19:
	s_or_b64 exec, exec, s[12:13]
	v_or_b32_e32 v21, 0x100, v0
	v_cmp_gt_u32_e32 vcc, s7, v21
                                        ; implicit-def: $vgpr6_vgpr7
	s_and_saveexec_b64 s[12:13], vcc
	s_cbranch_execz .LBB1345_21
; %bb.20:
	v_lshlrev_b32_e32 v6, 3, v0
	global_load_dwordx2 v[6:7], v6, s[0:1] offset:2048
.LBB1345_21:
	s_or_b64 exec, exec, s[12:13]
	v_or_b32_e32 v22, 0x180, v0
	v_cmp_gt_u32_e32 vcc, s7, v22
                                        ; implicit-def: $vgpr8_vgpr9
	s_and_saveexec_b64 s[12:13], vcc
	s_cbranch_execz .LBB1345_23
; %bb.22:
	v_lshlrev_b32_e32 v8, 3, v0
	global_load_dwordx2 v[8:9], v8, s[0:1] offset:3072
.LBB1345_23:
	s_or_b64 exec, exec, s[12:13]
	v_and_b32_e32 v18, 24, v18
	v_lshlrev_b32_e32 v23, 3, v0
	v_add_u32_e32 v18, v18, v23
	s_waitcnt vmcnt(0)
	ds_write_b64 v18, v[2:3]
	v_lshrrev_b32_e32 v2, 2, v20
	v_and_b32_e32 v2, 56, v2
	v_add_u32_e32 v2, v2, v23
	ds_write_b64 v2, v[4:5] offset:1024
	v_lshrrev_b32_e32 v2, 2, v21
	v_and_b32_e32 v2, 0x78, v2
	v_add_u32_e32 v2, v2, v23
	ds_write_b64 v2, v[6:7] offset:2048
	;; [unrolled: 4-line block ×3, first 2 shown]
	s_waitcnt lgkmcnt(0)
	s_barrier
.LBB1345_24:
	ds_read2_b64 v[6:9], v19 offset1:1
	ds_read2_b64 v[2:5], v19 offset0:2 offset1:3
	s_cmp_lg_u32 s6, 0
	s_cselect_b64 s[16:17], -1, 0
	s_cmp_lg_u64 s[2:3], 0
	s_cselect_b64 s[0:1], -1, 0
	s_or_b64 s[0:1], s[16:17], s[0:1]
	s_mov_b64 s[12:13], 0
	s_and_b64 vcc, exec, s[0:1]
	v_cmp_gt_i64_e64 s[0:1], s[26:27], 0
	s_waitcnt lgkmcnt(0)
	s_barrier
	s_cbranch_vccz .LBB1345_33
; %bb.25:
	s_add_u32 s2, s8, -8
	s_addc_u32 s3, s9, -1
	s_load_dwordx2 s[12:13], s[2:3], 0x0
	v_cndmask_b32_e64 v18, 0, 1, s[0:1]
	v_lshlrev_b32_e32 v26, 3, v0
	s_mov_b64 s[14:15], 0
	s_and_b64 vcc, exec, s[34:35]
	v_cmp_ne_u32_e64 s[0:1], 1, v18
	ds_write_b64 v26, v[12:13]
	s_cbranch_vccz .LBB1345_34
; %bb.26:
	v_mul_lo_u32 v20, v11, s26
	v_mul_lo_u32 v21, v10, s27
	v_mad_u64_u32 v[18:19], s[2:3], v10, s26, 0
	v_add3_u32 v19, v19, v21, v20
	s_and_b64 vcc, exec, s[0:1]
	v_lshlrev_b64 v[18:19], 1, v[18:19]
	s_cbranch_vccnz .LBB1345_37
; %bb.27:
	v_mul_lo_u32 v22, v13, s26
	v_mul_lo_u32 v23, v12, s27
	v_mad_u64_u32 v[20:21], s[2:3], v12, s26, 0
	v_add3_u32 v21, v21, v23, v22
	v_mov_b32_e32 v23, s29
	v_add_co_u32_e32 v22, vcc, s28, v18
	v_addc_co_u32_e64 v23, s[2:3], v23, v19, vcc
	v_lshlrev_b64 v[20:21], 1, v[20:21]
	v_mov_b32_e32 v25, s29
	v_add_co_u32_e64 v24, s[2:3], s28, v20
	v_addc_co_u32_e64 v25, s[8:9], v25, v21, s[2:3]
	global_load_ushort v20, v[22:23], off
	global_load_ushort v27, v[24:25], off
	s_mov_b64 s[14:15], -1
	s_waitcnt vmcnt(0)
	v_cmp_eq_f16_e64 s[8:9], v20, v27
	s_and_saveexec_b64 s[18:19], s[8:9]
	s_cbranch_execz .LBB1345_36
; %bb.28:
	v_mov_b32_e32 v20, s29
	v_addc_co_u32_e64 v21, s[2:3], v21, v20, s[2:3]
	v_add_co_u32_e64 v20, s[2:3], 2, v24
	v_mov_b32_e32 v23, s29
	v_addc_co_u32_e64 v21, s[2:3], 0, v21, s[2:3]
	v_addc_co_u32_e32 v23, vcc, v19, v23, vcc
	v_add_co_u32_e32 v22, vcc, 2, v22
	s_add_u32 s2, s26, -1
	v_addc_co_u32_e32 v23, vcc, 0, v23, vcc
	s_addc_u32 s3, s27, -1
	s_mov_b64 s[8:9], 0
	s_mov_b64 s[36:37], 0
                                        ; implicit-def: $sgpr14_sgpr15
	s_branch .LBB1345_31
.LBB1345_29:                            ;   in Loop: Header=BB1345_31 Depth=1
	global_load_ushort v24, v[22:23], off
	global_load_ushort v25, v[20:21], off
	v_add_co_u32_e32 v20, vcc, 2, v20
	v_addc_co_u32_e32 v21, vcc, 0, v21, vcc
	v_add_co_u32_e32 v22, vcc, 2, v22
	v_addc_co_u32_e32 v23, vcc, 0, v23, vcc
	s_add_u32 s36, s36, 1
	s_addc_u32 s37, s37, 0
	s_andn2_b64 s[14:15], s[14:15], exec
	s_waitcnt vmcnt(0)
	v_cmp_neq_f16_e32 vcc, v24, v25
	s_and_b64 s[38:39], vcc, exec
	s_or_b64 s[14:15], s[14:15], s[38:39]
.LBB1345_30:                            ;   in Loop: Header=BB1345_31 Depth=1
	s_and_b64 s[38:39], exec, s[14:15]
	s_or_b64 s[8:9], s[38:39], s[8:9]
	v_pk_mov_b32 v[24:25], s[36:37], s[36:37] op_sel:[0,1]
	s_andn2_b64 exec, exec, s[8:9]
	s_cbranch_execz .LBB1345_35
.LBB1345_31:                            ; =>This Inner Loop Header: Depth=1
	s_or_b64 s[14:15], s[14:15], exec
	s_cmp_eq_u64 s[2:3], s[36:37]
	s_cbranch_scc0 .LBB1345_29
; %bb.32:                               ;   in Loop: Header=BB1345_31 Depth=1
                                        ; implicit-def: $vgpr20_vgpr21
                                        ; implicit-def: $vgpr22_vgpr23
	s_mov_b64 s[36:37], s[26:27]
	s_branch .LBB1345_30
.LBB1345_33:
                                        ; implicit-def: $sgpr18_sgpr19
                                        ; implicit-def: $vgpr28
	s_branch .LBB1345_115
.LBB1345_34:
                                        ; implicit-def: $sgpr18_sgpr19
                                        ; implicit-def: $vgpr28
	s_cbranch_execnz .LBB1345_67
	s_branch .LBB1345_114
.LBB1345_35:
	s_or_b64 exec, exec, s[8:9]
	v_cmp_gt_i64_e32 vcc, s[26:27], v[24:25]
	s_orn2_b64 s[14:15], vcc, exec
.LBB1345_36:
	s_or_b64 exec, exec, s[18:19]
.LBB1345_37:
	v_mul_lo_u32 v22, v17, s26
	v_mul_lo_u32 v23, v16, s27
	v_mad_u64_u32 v[20:21], s[2:3], v16, s26, 0
	v_add3_u32 v21, v21, v23, v22
	s_mov_b64 s[18:19], 0
	s_and_b64 vcc, exec, s[0:1]
	v_lshlrev_b64 v[20:21], 1, v[20:21]
	s_mov_b64 s[36:37], 0
	s_cbranch_vccnz .LBB1345_46
; %bb.38:
	v_mov_b32_e32 v23, s29
	v_add_co_u32_e32 v22, vcc, s28, v20
	v_addc_co_u32_e64 v23, s[2:3], v23, v21, vcc
	v_mov_b32_e32 v25, s29
	v_add_co_u32_e64 v24, s[2:3], s28, v18
	v_addc_co_u32_e64 v25, s[8:9], v25, v19, s[2:3]
	global_load_ushort v18, v[22:23], off
	global_load_ushort v27, v[24:25], off
	s_mov_b64 s[36:37], -1
	s_waitcnt vmcnt(0)
	v_cmp_eq_f16_e64 s[8:9], v18, v27
	s_and_saveexec_b64 s[38:39], s[8:9]
	s_cbranch_execz .LBB1345_45
; %bb.39:
	v_mov_b32_e32 v18, s29
	v_addc_co_u32_e64 v19, s[2:3], v19, v18, s[2:3]
	v_add_co_u32_e64 v18, s[2:3], 2, v24
	v_mov_b32_e32 v23, s29
	v_addc_co_u32_e64 v19, s[2:3], 0, v19, s[2:3]
	v_addc_co_u32_e32 v23, vcc, v21, v23, vcc
	v_add_co_u32_e32 v22, vcc, 2, v22
	s_add_u32 s2, s26, -1
	v_addc_co_u32_e32 v23, vcc, 0, v23, vcc
	s_addc_u32 s3, s27, -1
	s_mov_b64 s[8:9], 0
	s_mov_b64 s[40:41], 0
                                        ; implicit-def: $sgpr36_sgpr37
	s_branch .LBB1345_42
.LBB1345_40:                            ;   in Loop: Header=BB1345_42 Depth=1
	global_load_ushort v24, v[22:23], off
	global_load_ushort v25, v[18:19], off
	v_add_co_u32_e32 v18, vcc, 2, v18
	v_addc_co_u32_e32 v19, vcc, 0, v19, vcc
	v_add_co_u32_e32 v22, vcc, 2, v22
	v_addc_co_u32_e32 v23, vcc, 0, v23, vcc
	s_add_u32 s40, s40, 1
	s_addc_u32 s41, s41, 0
	s_andn2_b64 s[36:37], s[36:37], exec
	s_waitcnt vmcnt(0)
	v_cmp_neq_f16_e32 vcc, v24, v25
	s_and_b64 s[42:43], vcc, exec
	s_or_b64 s[36:37], s[36:37], s[42:43]
.LBB1345_41:                            ;   in Loop: Header=BB1345_42 Depth=1
	s_and_b64 s[42:43], exec, s[36:37]
	s_or_b64 s[8:9], s[42:43], s[8:9]
	v_pk_mov_b32 v[24:25], s[40:41], s[40:41] op_sel:[0,1]
	s_andn2_b64 exec, exec, s[8:9]
	s_cbranch_execz .LBB1345_44
.LBB1345_42:                            ; =>This Inner Loop Header: Depth=1
	s_or_b64 s[36:37], s[36:37], exec
	s_cmp_eq_u64 s[2:3], s[40:41]
	s_cbranch_scc0 .LBB1345_40
; %bb.43:                               ;   in Loop: Header=BB1345_42 Depth=1
                                        ; implicit-def: $vgpr18_vgpr19
                                        ; implicit-def: $vgpr22_vgpr23
	s_mov_b64 s[40:41], s[26:27]
	s_branch .LBB1345_41
.LBB1345_44:
	s_or_b64 exec, exec, s[8:9]
	v_cmp_gt_i64_e32 vcc, s[26:27], v[24:25]
	s_orn2_b64 s[36:37], vcc, exec
.LBB1345_45:
	s_or_b64 exec, exec, s[38:39]
.LBB1345_46:
	v_mul_lo_u32 v22, v15, s26
	v_mul_lo_u32 v23, v14, s27
	v_mad_u64_u32 v[18:19], s[2:3], v14, s26, 0
	v_add3_u32 v19, v19, v23, v22
	s_and_b64 vcc, exec, s[0:1]
	v_lshlrev_b64 v[18:19], 1, v[18:19]
	s_cbranch_vccnz .LBB1345_55
; %bb.47:
	v_mov_b32_e32 v23, s29
	v_add_co_u32_e32 v22, vcc, s28, v18
	v_addc_co_u32_e64 v23, s[2:3], v23, v19, vcc
	v_mov_b32_e32 v25, s29
	v_add_co_u32_e64 v24, s[2:3], s28, v20
	v_addc_co_u32_e64 v25, s[8:9], v25, v21, s[2:3]
	global_load_ushort v20, v[22:23], off
	global_load_ushort v27, v[24:25], off
	s_mov_b64 s[18:19], -1
	s_waitcnt vmcnt(0)
	v_cmp_eq_f16_e64 s[8:9], v20, v27
	s_and_saveexec_b64 s[38:39], s[8:9]
	s_cbranch_execz .LBB1345_54
; %bb.48:
	v_mov_b32_e32 v20, s29
	v_addc_co_u32_e64 v21, s[2:3], v21, v20, s[2:3]
	v_add_co_u32_e64 v20, s[2:3], 2, v24
	v_mov_b32_e32 v23, s29
	v_addc_co_u32_e64 v21, s[2:3], 0, v21, s[2:3]
	v_addc_co_u32_e32 v23, vcc, v19, v23, vcc
	v_add_co_u32_e32 v22, vcc, 2, v22
	s_add_u32 s2, s26, -1
	v_addc_co_u32_e32 v23, vcc, 0, v23, vcc
	s_addc_u32 s3, s27, -1
	s_mov_b64 s[8:9], 0
	s_mov_b64 s[40:41], 0
                                        ; implicit-def: $sgpr18_sgpr19
	s_branch .LBB1345_51
.LBB1345_49:                            ;   in Loop: Header=BB1345_51 Depth=1
	global_load_ushort v24, v[22:23], off
	global_load_ushort v25, v[20:21], off
	v_add_co_u32_e32 v20, vcc, 2, v20
	v_addc_co_u32_e32 v21, vcc, 0, v21, vcc
	v_add_co_u32_e32 v22, vcc, 2, v22
	v_addc_co_u32_e32 v23, vcc, 0, v23, vcc
	s_add_u32 s40, s40, 1
	s_addc_u32 s41, s41, 0
	s_andn2_b64 s[18:19], s[18:19], exec
	s_waitcnt vmcnt(0)
	v_cmp_neq_f16_e32 vcc, v24, v25
	s_and_b64 s[42:43], vcc, exec
	s_or_b64 s[18:19], s[18:19], s[42:43]
.LBB1345_50:                            ;   in Loop: Header=BB1345_51 Depth=1
	s_and_b64 s[42:43], exec, s[18:19]
	s_or_b64 s[8:9], s[42:43], s[8:9]
	v_pk_mov_b32 v[24:25], s[40:41], s[40:41] op_sel:[0,1]
	s_andn2_b64 exec, exec, s[8:9]
	s_cbranch_execz .LBB1345_53
.LBB1345_51:                            ; =>This Inner Loop Header: Depth=1
	s_or_b64 s[18:19], s[18:19], exec
	s_cmp_eq_u64 s[2:3], s[40:41]
	s_cbranch_scc0 .LBB1345_49
; %bb.52:                               ;   in Loop: Header=BB1345_51 Depth=1
                                        ; implicit-def: $vgpr20_vgpr21
                                        ; implicit-def: $vgpr22_vgpr23
	s_mov_b64 s[40:41], s[26:27]
	s_branch .LBB1345_50
.LBB1345_53:
	s_or_b64 exec, exec, s[8:9]
	v_cmp_gt_i64_e32 vcc, s[26:27], v[24:25]
	s_orn2_b64 s[18:19], vcc, exec
.LBB1345_54:
	s_or_b64 exec, exec, s[38:39]
.LBB1345_55:
	v_cmp_ne_u32_e32 vcc, 0, v0
	s_waitcnt lgkmcnt(0)
	v_pk_mov_b32 v[20:21], s[12:13], s[12:13] op_sel:[0,1]
	s_barrier
	s_and_saveexec_b64 s[2:3], vcc
	s_cbranch_execz .LBB1345_57
; %bb.56:
	v_add_u32_e32 v20, -8, v26
	ds_read_b64 v[20:21], v20
.LBB1345_57:
	s_or_b64 exec, exec, s[2:3]
	v_cndmask_b32_e64 v23, 0, 1, s[14:15]
	v_cndmask_b32_e64 v22, 0, 1, s[36:37]
	;; [unrolled: 1-line block ×3, first 2 shown]
	v_lshlrev_b16_e32 v23, 8, v23
	v_lshlrev_b16_e32 v27, 8, v24
	v_or_b32_sdwa v28, v22, v23 dst_sel:WORD_1 dst_unused:UNUSED_PAD src0_sel:DWORD src1_sel:DWORD
	s_mov_b64 s[14:15], 0
	s_and_b64 vcc, exec, s[0:1]
	s_mov_b64 s[18:19], 0
	s_cbranch_vccnz .LBB1345_66
; %bb.58:
	s_waitcnt lgkmcnt(0)
	v_mul_lo_u32 v22, v21, s26
	v_mul_lo_u32 v23, v20, s27
	v_mad_u64_u32 v[20:21], s[2:3], v20, s26, 0
	v_add3_u32 v21, v21, v23, v22
	v_lshlrev_b64 v[20:21], 1, v[20:21]
	v_mov_b32_e32 v23, s29
	v_add_co_u32_e32 v22, vcc, s28, v20
	v_addc_co_u32_e64 v23, s[2:3], v23, v21, vcc
	v_mov_b32_e32 v20, s29
	v_add_co_u32_e64 v24, s[2:3], s28, v18
	v_addc_co_u32_e64 v25, s[8:9], v20, v19, s[2:3]
	global_load_ushort v18, v[22:23], off
	global_load_ushort v20, v[24:25], off
	s_mov_b64 s[18:19], -1
	s_waitcnt vmcnt(0)
	v_cmp_eq_f16_e64 s[8:9], v18, v20
	s_and_saveexec_b64 s[36:37], s[8:9]
	s_cbranch_execz .LBB1345_65
; %bb.59:
	v_mov_b32_e32 v18, s29
	v_addc_co_u32_e64 v19, s[2:3], v19, v18, s[2:3]
	v_add_co_u32_e64 v18, s[2:3], 2, v24
	v_mov_b32_e32 v20, s29
	v_addc_co_u32_e64 v19, s[2:3], 0, v19, s[2:3]
	v_addc_co_u32_e32 v21, vcc, v21, v20, vcc
	v_add_co_u32_e32 v20, vcc, 2, v22
	s_add_u32 s2, s26, -1
	v_addc_co_u32_e32 v21, vcc, 0, v21, vcc
	s_addc_u32 s3, s27, -1
	s_mov_b64 s[8:9], 0
	s_mov_b64 s[38:39], 0
                                        ; implicit-def: $sgpr18_sgpr19
	s_branch .LBB1345_62
.LBB1345_60:                            ;   in Loop: Header=BB1345_62 Depth=1
	global_load_ushort v22, v[20:21], off
	global_load_ushort v23, v[18:19], off
	v_add_co_u32_e32 v18, vcc, 2, v18
	v_addc_co_u32_e32 v19, vcc, 0, v19, vcc
	v_add_co_u32_e32 v20, vcc, 2, v20
	v_addc_co_u32_e32 v21, vcc, 0, v21, vcc
	s_add_u32 s38, s38, 1
	s_addc_u32 s39, s39, 0
	s_andn2_b64 s[18:19], s[18:19], exec
	s_waitcnt vmcnt(0)
	v_cmp_neq_f16_e32 vcc, v22, v23
	s_and_b64 s[40:41], vcc, exec
	s_or_b64 s[18:19], s[18:19], s[40:41]
.LBB1345_61:                            ;   in Loop: Header=BB1345_62 Depth=1
	s_and_b64 s[40:41], exec, s[18:19]
	s_or_b64 s[8:9], s[40:41], s[8:9]
	v_pk_mov_b32 v[22:23], s[38:39], s[38:39] op_sel:[0,1]
	s_andn2_b64 exec, exec, s[8:9]
	s_cbranch_execz .LBB1345_64
.LBB1345_62:                            ; =>This Inner Loop Header: Depth=1
	s_or_b64 s[18:19], s[18:19], exec
	s_cmp_eq_u64 s[2:3], s[38:39]
	s_cbranch_scc0 .LBB1345_60
; %bb.63:                               ;   in Loop: Header=BB1345_62 Depth=1
                                        ; implicit-def: $vgpr18_vgpr19
                                        ; implicit-def: $vgpr20_vgpr21
	s_mov_b64 s[38:39], s[26:27]
	s_branch .LBB1345_61
.LBB1345_64:
	s_or_b64 exec, exec, s[8:9]
	v_cmp_gt_i64_e32 vcc, s[26:27], v[22:23]
	s_orn2_b64 s[18:19], vcc, exec
.LBB1345_65:
	s_or_b64 exec, exec, s[36:37]
.LBB1345_66:
	v_or_b32_e32 v28, v27, v28
	s_and_b64 vcc, exec, s[14:15]
	s_cbranch_vccz .LBB1345_114
.LBB1345_67:
	v_or_b32_e32 v18, 3, v1
	v_cmp_gt_u32_e32 vcc, s7, v18
	s_mov_b64 s[18:19], 0
	s_mov_b64 s[14:15], 0
	s_and_saveexec_b64 s[36:37], vcc
	s_cbranch_execz .LBB1345_78
; %bb.68:
	s_and_b64 vcc, exec, s[0:1]
	s_mov_b64 s[38:39], 0
	s_cbranch_vccnz .LBB1345_77
; %bb.69:
	s_waitcnt lgkmcnt(0)
	v_mul_lo_u32 v20, v11, s26
	v_mul_lo_u32 v21, v10, s27
	v_mad_u64_u32 v[18:19], s[2:3], v10, s26, 0
	v_add3_u32 v19, v19, v21, v20
	v_mul_lo_u32 v20, v13, s26
	v_mul_lo_u32 v21, v12, s27
	v_mad_u64_u32 v[24:25], s[2:3], v12, s26, 0
	v_add3_u32 v25, v25, v21, v20
	v_lshlrev_b64 v[20:21], 1, v[18:19]
	v_mov_b32_e32 v18, s29
	v_add_co_u32_e32 v22, vcc, s28, v20
	v_addc_co_u32_e64 v23, s[2:3], v18, v21, vcc
	v_lshlrev_b64 v[18:19], 1, v[24:25]
	v_mov_b32_e32 v20, s29
	v_add_co_u32_e64 v24, s[2:3], s28, v18
	v_addc_co_u32_e64 v25, s[8:9], v20, v19, s[2:3]
	global_load_ushort v18, v[22:23], off
	global_load_ushort v20, v[24:25], off
	s_mov_b64 s[38:39], -1
	s_waitcnt vmcnt(0)
	v_cmp_eq_f16_e64 s[8:9], v18, v20
	s_and_saveexec_b64 s[14:15], s[8:9]
	s_cbranch_execz .LBB1345_76
; %bb.70:
	v_mov_b32_e32 v18, s29
	v_addc_co_u32_e64 v19, s[2:3], v19, v18, s[2:3]
	v_add_co_u32_e64 v18, s[2:3], 2, v24
	v_mov_b32_e32 v20, s29
	v_addc_co_u32_e64 v19, s[2:3], 0, v19, s[2:3]
	v_addc_co_u32_e32 v21, vcc, v21, v20, vcc
	v_add_co_u32_e32 v20, vcc, 2, v22
	s_add_u32 s2, s26, -1
	v_addc_co_u32_e32 v21, vcc, 0, v21, vcc
	s_addc_u32 s3, s27, -1
	s_mov_b64 s[8:9], 0
	s_mov_b64 s[40:41], 0
                                        ; implicit-def: $sgpr38_sgpr39
	s_branch .LBB1345_73
.LBB1345_71:                            ;   in Loop: Header=BB1345_73 Depth=1
	global_load_ushort v22, v[20:21], off
	global_load_ushort v23, v[18:19], off
	v_add_co_u32_e32 v18, vcc, 2, v18
	v_addc_co_u32_e32 v19, vcc, 0, v19, vcc
	v_add_co_u32_e32 v20, vcc, 2, v20
	v_addc_co_u32_e32 v21, vcc, 0, v21, vcc
	s_add_u32 s40, s40, 1
	s_addc_u32 s41, s41, 0
	s_andn2_b64 s[38:39], s[38:39], exec
	s_waitcnt vmcnt(0)
	v_cmp_neq_f16_e32 vcc, v22, v23
	s_and_b64 s[42:43], vcc, exec
	s_or_b64 s[38:39], s[38:39], s[42:43]
.LBB1345_72:                            ;   in Loop: Header=BB1345_73 Depth=1
	s_and_b64 s[42:43], exec, s[38:39]
	s_or_b64 s[8:9], s[42:43], s[8:9]
	v_pk_mov_b32 v[22:23], s[40:41], s[40:41] op_sel:[0,1]
	s_andn2_b64 exec, exec, s[8:9]
	s_cbranch_execz .LBB1345_75
.LBB1345_73:                            ; =>This Inner Loop Header: Depth=1
	s_or_b64 s[38:39], s[38:39], exec
	s_cmp_eq_u64 s[2:3], s[40:41]
	s_cbranch_scc0 .LBB1345_71
; %bb.74:                               ;   in Loop: Header=BB1345_73 Depth=1
                                        ; implicit-def: $vgpr18_vgpr19
                                        ; implicit-def: $vgpr20_vgpr21
	s_mov_b64 s[40:41], s[26:27]
	s_branch .LBB1345_72
.LBB1345_75:
	s_or_b64 exec, exec, s[8:9]
	v_cmp_gt_i64_e32 vcc, s[26:27], v[22:23]
	s_orn2_b64 s[38:39], vcc, exec
.LBB1345_76:
	s_or_b64 exec, exec, s[14:15]
.LBB1345_77:
	s_and_b64 s[14:15], s[38:39], exec
.LBB1345_78:
	s_or_b64 exec, exec, s[36:37]
	v_or_b32_e32 v18, 2, v1
	v_cmp_gt_u32_e32 vcc, s7, v18
	s_and_saveexec_b64 s[36:37], vcc
	s_cbranch_execz .LBB1345_89
; %bb.79:
	s_and_b64 vcc, exec, s[0:1]
	s_mov_b64 s[38:39], 0
	s_cbranch_vccnz .LBB1345_88
; %bb.80:
	s_waitcnt lgkmcnt(0)
	v_mul_lo_u32 v20, v17, s26
	v_mul_lo_u32 v21, v16, s27
	v_mad_u64_u32 v[18:19], s[2:3], v16, s26, 0
	v_add3_u32 v19, v19, v21, v20
	v_mul_lo_u32 v20, v11, s26
	v_mul_lo_u32 v21, v10, s27
	v_mad_u64_u32 v[24:25], s[2:3], v10, s26, 0
	v_add3_u32 v25, v25, v21, v20
	v_lshlrev_b64 v[20:21], 1, v[18:19]
	v_mov_b32_e32 v18, s29
	v_add_co_u32_e32 v22, vcc, s28, v20
	v_addc_co_u32_e64 v23, s[2:3], v18, v21, vcc
	v_lshlrev_b64 v[18:19], 1, v[24:25]
	v_mov_b32_e32 v20, s29
	v_add_co_u32_e64 v24, s[2:3], s28, v18
	v_addc_co_u32_e64 v25, s[8:9], v20, v19, s[2:3]
	global_load_ushort v18, v[22:23], off
	global_load_ushort v20, v[24:25], off
	s_mov_b64 s[38:39], -1
	s_waitcnt vmcnt(0)
	v_cmp_eq_f16_e64 s[8:9], v18, v20
	s_and_saveexec_b64 s[18:19], s[8:9]
	s_cbranch_execz .LBB1345_87
; %bb.81:
	v_mov_b32_e32 v18, s29
	v_addc_co_u32_e64 v19, s[2:3], v19, v18, s[2:3]
	v_add_co_u32_e64 v18, s[2:3], 2, v24
	v_mov_b32_e32 v20, s29
	v_addc_co_u32_e64 v19, s[2:3], 0, v19, s[2:3]
	v_addc_co_u32_e32 v21, vcc, v21, v20, vcc
	v_add_co_u32_e32 v20, vcc, 2, v22
	s_add_u32 s2, s26, -1
	v_addc_co_u32_e32 v21, vcc, 0, v21, vcc
	s_addc_u32 s3, s27, -1
	s_mov_b64 s[8:9], 0
	s_mov_b64 s[40:41], 0
                                        ; implicit-def: $sgpr38_sgpr39
	s_branch .LBB1345_84
.LBB1345_82:                            ;   in Loop: Header=BB1345_84 Depth=1
	global_load_ushort v22, v[20:21], off
	global_load_ushort v23, v[18:19], off
	v_add_co_u32_e32 v18, vcc, 2, v18
	v_addc_co_u32_e32 v19, vcc, 0, v19, vcc
	v_add_co_u32_e32 v20, vcc, 2, v20
	v_addc_co_u32_e32 v21, vcc, 0, v21, vcc
	s_add_u32 s40, s40, 1
	s_addc_u32 s41, s41, 0
	s_andn2_b64 s[38:39], s[38:39], exec
	s_waitcnt vmcnt(0)
	v_cmp_neq_f16_e32 vcc, v22, v23
	s_and_b64 s[42:43], vcc, exec
	s_or_b64 s[38:39], s[38:39], s[42:43]
.LBB1345_83:                            ;   in Loop: Header=BB1345_84 Depth=1
	s_and_b64 s[42:43], exec, s[38:39]
	s_or_b64 s[8:9], s[42:43], s[8:9]
	v_pk_mov_b32 v[22:23], s[40:41], s[40:41] op_sel:[0,1]
	s_andn2_b64 exec, exec, s[8:9]
	s_cbranch_execz .LBB1345_86
.LBB1345_84:                            ; =>This Inner Loop Header: Depth=1
	s_or_b64 s[38:39], s[38:39], exec
	s_cmp_eq_u64 s[2:3], s[40:41]
	s_cbranch_scc0 .LBB1345_82
; %bb.85:                               ;   in Loop: Header=BB1345_84 Depth=1
                                        ; implicit-def: $vgpr18_vgpr19
                                        ; implicit-def: $vgpr20_vgpr21
	s_mov_b64 s[40:41], s[26:27]
	s_branch .LBB1345_83
.LBB1345_86:
	s_or_b64 exec, exec, s[8:9]
	v_cmp_gt_i64_e32 vcc, s[26:27], v[22:23]
	s_orn2_b64 s[38:39], vcc, exec
.LBB1345_87:
	s_or_b64 exec, exec, s[18:19]
.LBB1345_88:
	s_and_b64 s[18:19], s[38:39], exec
.LBB1345_89:
	s_or_b64 exec, exec, s[36:37]
	v_or_b32_e32 v18, 1, v1
	v_cmp_gt_u32_e32 vcc, s7, v18
	s_mov_b64 s[2:3], 0
	s_and_saveexec_b64 s[36:37], vcc
	s_cbranch_execz .LBB1345_100
; %bb.90:
	s_and_b64 vcc, exec, s[0:1]
	s_mov_b64 s[40:41], 0
	s_cbranch_vccnz .LBB1345_99
; %bb.91:
	s_waitcnt lgkmcnt(0)
	v_mul_lo_u32 v20, v15, s26
	v_mul_lo_u32 v21, v14, s27
	v_mad_u64_u32 v[18:19], s[2:3], v14, s26, 0
	v_add3_u32 v19, v19, v21, v20
	v_mul_lo_u32 v20, v17, s26
	v_mul_lo_u32 v21, v16, s27
	v_mad_u64_u32 v[24:25], s[2:3], v16, s26, 0
	v_add3_u32 v25, v25, v21, v20
	v_lshlrev_b64 v[20:21], 1, v[18:19]
	v_mov_b32_e32 v18, s29
	v_add_co_u32_e32 v22, vcc, s28, v20
	v_addc_co_u32_e64 v23, s[2:3], v18, v21, vcc
	v_lshlrev_b64 v[18:19], 1, v[24:25]
	v_mov_b32_e32 v20, s29
	v_add_co_u32_e64 v24, s[2:3], s28, v18
	v_addc_co_u32_e64 v25, s[8:9], v20, v19, s[2:3]
	global_load_ushort v18, v[22:23], off
	global_load_ushort v20, v[24:25], off
	s_mov_b64 s[40:41], -1
	s_waitcnt vmcnt(0)
	v_cmp_eq_f16_e64 s[8:9], v18, v20
	s_and_saveexec_b64 s[38:39], s[8:9]
	s_cbranch_execz .LBB1345_98
; %bb.92:
	v_mov_b32_e32 v18, s29
	v_addc_co_u32_e64 v19, s[2:3], v19, v18, s[2:3]
	v_add_co_u32_e64 v18, s[2:3], 2, v24
	v_mov_b32_e32 v20, s29
	v_addc_co_u32_e64 v19, s[2:3], 0, v19, s[2:3]
	v_addc_co_u32_e32 v21, vcc, v21, v20, vcc
	v_add_co_u32_e32 v20, vcc, 2, v22
	s_add_u32 s2, s26, -1
	v_addc_co_u32_e32 v21, vcc, 0, v21, vcc
	s_addc_u32 s3, s27, -1
	s_mov_b64 s[8:9], 0
	s_mov_b64 s[42:43], 0
                                        ; implicit-def: $sgpr40_sgpr41
	s_branch .LBB1345_95
.LBB1345_93:                            ;   in Loop: Header=BB1345_95 Depth=1
	global_load_ushort v22, v[20:21], off
	global_load_ushort v23, v[18:19], off
	v_add_co_u32_e32 v18, vcc, 2, v18
	v_addc_co_u32_e32 v19, vcc, 0, v19, vcc
	v_add_co_u32_e32 v20, vcc, 2, v20
	v_addc_co_u32_e32 v21, vcc, 0, v21, vcc
	s_add_u32 s42, s42, 1
	s_addc_u32 s43, s43, 0
	s_andn2_b64 s[40:41], s[40:41], exec
	s_waitcnt vmcnt(0)
	v_cmp_neq_f16_e32 vcc, v22, v23
	s_and_b64 s[44:45], vcc, exec
	s_or_b64 s[40:41], s[40:41], s[44:45]
.LBB1345_94:                            ;   in Loop: Header=BB1345_95 Depth=1
	s_and_b64 s[44:45], exec, s[40:41]
	s_or_b64 s[8:9], s[44:45], s[8:9]
	v_pk_mov_b32 v[22:23], s[42:43], s[42:43] op_sel:[0,1]
	s_andn2_b64 exec, exec, s[8:9]
	s_cbranch_execz .LBB1345_97
.LBB1345_95:                            ; =>This Inner Loop Header: Depth=1
	s_or_b64 s[40:41], s[40:41], exec
	s_cmp_eq_u64 s[2:3], s[42:43]
	s_cbranch_scc0 .LBB1345_93
; %bb.96:                               ;   in Loop: Header=BB1345_95 Depth=1
                                        ; implicit-def: $vgpr18_vgpr19
                                        ; implicit-def: $vgpr20_vgpr21
	s_mov_b64 s[42:43], s[26:27]
	s_branch .LBB1345_94
.LBB1345_97:
	s_or_b64 exec, exec, s[8:9]
	v_cmp_gt_i64_e32 vcc, s[26:27], v[22:23]
	s_orn2_b64 s[40:41], vcc, exec
.LBB1345_98:
	s_or_b64 exec, exec, s[38:39]
.LBB1345_99:
	s_and_b64 s[2:3], s[40:41], exec
.LBB1345_100:
	s_or_b64 exec, exec, s[36:37]
	v_cmp_ne_u32_e32 vcc, 0, v0
	s_waitcnt lgkmcnt(0)
	v_pk_mov_b32 v[18:19], s[12:13], s[12:13] op_sel:[0,1]
	s_barrier
	s_and_saveexec_b64 s[8:9], vcc
	s_cbranch_execz .LBB1345_102
; %bb.101:
	v_add_u32_e32 v18, -8, v26
	ds_read_b64 v[18:19], v18
.LBB1345_102:
	s_or_b64 exec, exec, s[8:9]
	v_cndmask_b32_e64 v21, 0, 1, s[14:15]
	v_cndmask_b32_e64 v20, 0, 1, s[18:19]
	;; [unrolled: 1-line block ×3, first 2 shown]
	v_lshlrev_b16_e32 v21, 8, v21
	v_lshlrev_b16_e32 v26, 8, v22
	v_or_b32_sdwa v27, v20, v21 dst_sel:WORD_1 dst_unused:UNUSED_PAD src0_sel:DWORD src1_sel:DWORD
	v_cmp_gt_u32_e32 vcc, s7, v1
	s_mov_b64 s[18:19], 0
	s_and_saveexec_b64 s[8:9], vcc
	s_cbranch_execz .LBB1345_113
; %bb.103:
	s_and_b64 vcc, exec, s[0:1]
	s_mov_b64 s[14:15], 0
	s_cbranch_vccnz .LBB1345_112
; %bb.104:
	s_waitcnt lgkmcnt(0)
	v_mul_lo_u32 v20, v19, s26
	v_mul_lo_u32 v21, v18, s27
	v_mad_u64_u32 v[18:19], s[0:1], v18, s26, 0
	v_add3_u32 v19, v19, v21, v20
	v_mul_lo_u32 v20, v15, s26
	v_mul_lo_u32 v21, v14, s27
	v_mad_u64_u32 v[24:25], s[0:1], v14, s26, 0
	v_add3_u32 v25, v25, v21, v20
	v_lshlrev_b64 v[20:21], 1, v[18:19]
	v_mov_b32_e32 v18, s29
	v_add_co_u32_e32 v22, vcc, s28, v20
	v_addc_co_u32_e64 v23, s[0:1], v18, v21, vcc
	v_lshlrev_b64 v[18:19], 1, v[24:25]
	v_mov_b32_e32 v20, s29
	v_add_co_u32_e64 v24, s[0:1], s28, v18
	v_addc_co_u32_e64 v25, s[2:3], v20, v19, s[0:1]
	global_load_ushort v18, v[22:23], off
	global_load_ushort v20, v[24:25], off
	s_mov_b64 s[14:15], -1
	s_waitcnt vmcnt(0)
	v_cmp_eq_f16_e64 s[2:3], v18, v20
	s_and_saveexec_b64 s[12:13], s[2:3]
	s_cbranch_execz .LBB1345_111
; %bb.105:
	v_mov_b32_e32 v18, s29
	v_addc_co_u32_e64 v19, s[0:1], v19, v18, s[0:1]
	v_add_co_u32_e64 v18, s[0:1], 2, v24
	v_mov_b32_e32 v20, s29
	v_addc_co_u32_e64 v19, s[0:1], 0, v19, s[0:1]
	v_addc_co_u32_e32 v21, vcc, v21, v20, vcc
	v_add_co_u32_e32 v20, vcc, 2, v22
	s_add_u32 s0, s26, -1
	v_addc_co_u32_e32 v21, vcc, 0, v21, vcc
	s_addc_u32 s1, s27, -1
	s_mov_b64 s[2:3], 0
                                        ; implicit-def: $sgpr14_sgpr15
	s_branch .LBB1345_108
.LBB1345_106:                           ;   in Loop: Header=BB1345_108 Depth=1
	global_load_ushort v22, v[20:21], off
	global_load_ushort v23, v[18:19], off
	v_add_co_u32_e32 v18, vcc, 2, v18
	v_addc_co_u32_e32 v19, vcc, 0, v19, vcc
	v_add_co_u32_e32 v20, vcc, 2, v20
	v_addc_co_u32_e32 v21, vcc, 0, v21, vcc
	s_add_u32 s18, s18, 1
	s_addc_u32 s19, s19, 0
	s_andn2_b64 s[14:15], s[14:15], exec
	s_waitcnt vmcnt(0)
	v_cmp_neq_f16_e32 vcc, v22, v23
	s_and_b64 s[36:37], vcc, exec
	s_or_b64 s[14:15], s[14:15], s[36:37]
.LBB1345_107:                           ;   in Loop: Header=BB1345_108 Depth=1
	s_and_b64 s[36:37], exec, s[14:15]
	s_or_b64 s[2:3], s[36:37], s[2:3]
	v_pk_mov_b32 v[22:23], s[18:19], s[18:19] op_sel:[0,1]
	s_andn2_b64 exec, exec, s[2:3]
	s_cbranch_execz .LBB1345_110
.LBB1345_108:                           ; =>This Inner Loop Header: Depth=1
	s_or_b64 s[14:15], s[14:15], exec
	s_cmp_eq_u64 s[0:1], s[18:19]
	s_cbranch_scc0 .LBB1345_106
; %bb.109:                              ;   in Loop: Header=BB1345_108 Depth=1
                                        ; implicit-def: $vgpr18_vgpr19
                                        ; implicit-def: $vgpr20_vgpr21
	s_mov_b64 s[18:19], s[26:27]
	s_branch .LBB1345_107
.LBB1345_110:
	s_or_b64 exec, exec, s[2:3]
	v_cmp_gt_i64_e32 vcc, s[26:27], v[22:23]
	s_orn2_b64 s[14:15], vcc, exec
.LBB1345_111:
	s_or_b64 exec, exec, s[12:13]
.LBB1345_112:
	s_and_b64 s[18:19], s[14:15], exec
.LBB1345_113:
	s_or_b64 exec, exec, s[8:9]
	v_or_b32_e32 v28, v26, v27
.LBB1345_114:
	s_waitcnt lgkmcnt(0)
	s_mov_b64 s[12:13], -1
	s_cbranch_execnz .LBB1345_203
.LBB1345_115:
	v_lshlrev_b32_e32 v29, 3, v0
	s_mov_b64 s[18:19], 0
	v_cmp_gt_i64_e64 s[14:15], s[26:27], 0
	s_and_b64 vcc, exec, s[34:35]
	ds_write_b64 v29, v[12:13]
	s_cbranch_vccz .LBB1345_123
; %bb.116:
	v_mul_lo_u32 v20, v11, s26
	v_mul_lo_u32 v21, v10, s27
	v_mad_u64_u32 v[18:19], s[0:1], v10, s26, 0
	v_add3_u32 v19, v19, v21, v20
	v_cndmask_b32_e64 v20, 0, 1, s[14:15]
	v_cmp_ne_u32_e64 s[0:1], 1, v20
	s_andn2_b64 vcc, exec, s[14:15]
	v_lshlrev_b64 v[18:19], 1, v[18:19]
	s_cbranch_vccnz .LBB1345_126
; %bb.117:
	v_mul_lo_u32 v22, v13, s26
	v_mul_lo_u32 v23, v12, s27
	v_mad_u64_u32 v[20:21], s[2:3], v12, s26, 0
	v_add3_u32 v21, v21, v23, v22
	v_mov_b32_e32 v23, s29
	v_add_co_u32_e32 v22, vcc, s28, v18
	v_addc_co_u32_e64 v23, s[2:3], v23, v19, vcc
	v_lshlrev_b64 v[20:21], 1, v[20:21]
	v_mov_b32_e32 v25, s29
	v_add_co_u32_e64 v24, s[2:3], s28, v20
	v_addc_co_u32_e64 v25, s[8:9], v25, v21, s[2:3]
	global_load_ushort v20, v[22:23], off
	global_load_ushort v26, v[24:25], off
	s_mov_b64 s[18:19], -1
	s_waitcnt vmcnt(0)
	v_cmp_eq_f16_e64 s[8:9], v20, v26
	s_and_saveexec_b64 s[36:37], s[8:9]
	s_cbranch_execz .LBB1345_125
; %bb.118:
	v_mov_b32_e32 v20, s29
	v_addc_co_u32_e64 v21, s[2:3], v21, v20, s[2:3]
	v_add_co_u32_e64 v20, s[2:3], 2, v24
	v_mov_b32_e32 v23, s29
	v_addc_co_u32_e64 v21, s[2:3], 0, v21, s[2:3]
	v_addc_co_u32_e32 v23, vcc, v19, v23, vcc
	v_add_co_u32_e32 v22, vcc, 2, v22
	s_add_u32 s2, s26, -1
	v_addc_co_u32_e32 v23, vcc, 0, v23, vcc
	s_addc_u32 s3, s27, -1
	s_mov_b64 s[8:9], 0
	s_mov_b64 s[38:39], 0
                                        ; implicit-def: $sgpr18_sgpr19
	s_branch .LBB1345_121
.LBB1345_119:                           ;   in Loop: Header=BB1345_121 Depth=1
	global_load_ushort v24, v[22:23], off
	global_load_ushort v25, v[20:21], off
	v_add_co_u32_e32 v20, vcc, 2, v20
	v_addc_co_u32_e32 v21, vcc, 0, v21, vcc
	v_add_co_u32_e32 v22, vcc, 2, v22
	v_addc_co_u32_e32 v23, vcc, 0, v23, vcc
	s_add_u32 s38, s38, 1
	s_addc_u32 s39, s39, 0
	s_andn2_b64 s[18:19], s[18:19], exec
	s_waitcnt vmcnt(0)
	v_cmp_neq_f16_e32 vcc, v24, v25
	s_and_b64 s[40:41], vcc, exec
	s_or_b64 s[18:19], s[18:19], s[40:41]
.LBB1345_120:                           ;   in Loop: Header=BB1345_121 Depth=1
	s_and_b64 s[40:41], exec, s[18:19]
	s_or_b64 s[8:9], s[40:41], s[8:9]
	v_pk_mov_b32 v[24:25], s[38:39], s[38:39] op_sel:[0,1]
	s_andn2_b64 exec, exec, s[8:9]
	s_cbranch_execz .LBB1345_124
.LBB1345_121:                           ; =>This Inner Loop Header: Depth=1
	s_or_b64 s[18:19], s[18:19], exec
	s_cmp_eq_u64 s[2:3], s[38:39]
	s_cbranch_scc0 .LBB1345_119
; %bb.122:                              ;   in Loop: Header=BB1345_121 Depth=1
                                        ; implicit-def: $vgpr20_vgpr21
                                        ; implicit-def: $vgpr22_vgpr23
	s_mov_b64 s[38:39], s[26:27]
	s_branch .LBB1345_120
.LBB1345_123:
                                        ; implicit-def: $sgpr18_sgpr19
                                        ; implicit-def: $vgpr28
	s_cbranch_execnz .LBB1345_156
	s_branch .LBB1345_203
.LBB1345_124:
	s_or_b64 exec, exec, s[8:9]
	v_cmp_gt_i64_e32 vcc, s[26:27], v[24:25]
	s_orn2_b64 s[18:19], vcc, exec
.LBB1345_125:
	s_or_b64 exec, exec, s[36:37]
.LBB1345_126:
	v_mul_lo_u32 v22, v17, s26
	v_mul_lo_u32 v23, v16, s27
	v_mad_u64_u32 v[20:21], s[2:3], v16, s26, 0
	v_add3_u32 v21, v21, v23, v22
	s_mov_b64 s[36:37], 0
	s_and_b64 vcc, exec, s[0:1]
	v_lshlrev_b64 v[20:21], 1, v[20:21]
	s_mov_b64 s[38:39], 0
	s_cbranch_vccnz .LBB1345_135
; %bb.127:
	v_mov_b32_e32 v23, s29
	v_add_co_u32_e32 v22, vcc, s28, v20
	v_addc_co_u32_e64 v23, s[2:3], v23, v21, vcc
	v_mov_b32_e32 v25, s29
	v_add_co_u32_e64 v24, s[2:3], s28, v18
	v_addc_co_u32_e64 v25, s[8:9], v25, v19, s[2:3]
	global_load_ushort v18, v[22:23], off
	global_load_ushort v26, v[24:25], off
	s_mov_b64 s[38:39], -1
	s_waitcnt vmcnt(0)
	v_cmp_eq_f16_e64 s[8:9], v18, v26
	s_and_saveexec_b64 s[40:41], s[8:9]
	s_cbranch_execz .LBB1345_134
; %bb.128:
	v_mov_b32_e32 v18, s29
	v_addc_co_u32_e64 v19, s[2:3], v19, v18, s[2:3]
	v_add_co_u32_e64 v18, s[2:3], 2, v24
	v_mov_b32_e32 v23, s29
	v_addc_co_u32_e64 v19, s[2:3], 0, v19, s[2:3]
	v_addc_co_u32_e32 v23, vcc, v21, v23, vcc
	v_add_co_u32_e32 v22, vcc, 2, v22
	s_add_u32 s2, s26, -1
	v_addc_co_u32_e32 v23, vcc, 0, v23, vcc
	s_addc_u32 s3, s27, -1
	s_mov_b64 s[8:9], 0
	s_mov_b64 s[42:43], 0
                                        ; implicit-def: $sgpr38_sgpr39
	s_branch .LBB1345_131
.LBB1345_129:                           ;   in Loop: Header=BB1345_131 Depth=1
	global_load_ushort v24, v[22:23], off
	global_load_ushort v25, v[18:19], off
	v_add_co_u32_e32 v18, vcc, 2, v18
	v_addc_co_u32_e32 v19, vcc, 0, v19, vcc
	v_add_co_u32_e32 v22, vcc, 2, v22
	v_addc_co_u32_e32 v23, vcc, 0, v23, vcc
	s_add_u32 s42, s42, 1
	s_addc_u32 s43, s43, 0
	s_andn2_b64 s[38:39], s[38:39], exec
	s_waitcnt vmcnt(0)
	v_cmp_neq_f16_e32 vcc, v24, v25
	s_and_b64 s[44:45], vcc, exec
	s_or_b64 s[38:39], s[38:39], s[44:45]
.LBB1345_130:                           ;   in Loop: Header=BB1345_131 Depth=1
	s_and_b64 s[44:45], exec, s[38:39]
	s_or_b64 s[8:9], s[44:45], s[8:9]
	v_pk_mov_b32 v[24:25], s[42:43], s[42:43] op_sel:[0,1]
	s_andn2_b64 exec, exec, s[8:9]
	s_cbranch_execz .LBB1345_133
.LBB1345_131:                           ; =>This Inner Loop Header: Depth=1
	s_or_b64 s[38:39], s[38:39], exec
	s_cmp_eq_u64 s[2:3], s[42:43]
	s_cbranch_scc0 .LBB1345_129
; %bb.132:                              ;   in Loop: Header=BB1345_131 Depth=1
                                        ; implicit-def: $vgpr18_vgpr19
                                        ; implicit-def: $vgpr22_vgpr23
	s_mov_b64 s[42:43], s[26:27]
	s_branch .LBB1345_130
.LBB1345_133:
	s_or_b64 exec, exec, s[8:9]
	v_cmp_gt_i64_e32 vcc, s[26:27], v[24:25]
	s_orn2_b64 s[38:39], vcc, exec
.LBB1345_134:
	s_or_b64 exec, exec, s[40:41]
.LBB1345_135:
	v_mul_lo_u32 v22, v15, s26
	v_mul_lo_u32 v23, v14, s27
	v_mad_u64_u32 v[18:19], s[2:3], v14, s26, 0
	s_and_b64 vcc, exec, s[0:1]
	v_add3_u32 v19, v19, v23, v22
	s_cbranch_vccnz .LBB1345_144
; %bb.136:
	v_lshlrev_b64 v[22:23], 1, v[18:19]
	v_mov_b32_e32 v25, s29
	v_add_co_u32_e32 v24, vcc, s28, v22
	v_addc_co_u32_e64 v25, s[2:3], v25, v23, vcc
	v_mov_b32_e32 v22, s29
	v_add_co_u32_e64 v26, s[2:3], s28, v20
	v_addc_co_u32_e64 v27, s[8:9], v22, v21, s[2:3]
	global_load_ushort v20, v[24:25], off
	global_load_ushort v22, v[26:27], off
	s_mov_b64 s[36:37], -1
	s_waitcnt vmcnt(0)
	v_cmp_eq_f16_e64 s[8:9], v20, v22
	s_and_saveexec_b64 s[40:41], s[8:9]
	s_cbranch_execz .LBB1345_143
; %bb.137:
	v_mov_b32_e32 v20, s29
	v_addc_co_u32_e64 v21, s[2:3], v21, v20, s[2:3]
	v_add_co_u32_e64 v20, s[2:3], 2, v26
	v_mov_b32_e32 v22, s29
	v_addc_co_u32_e64 v21, s[2:3], 0, v21, s[2:3]
	v_addc_co_u32_e32 v23, vcc, v23, v22, vcc
	v_add_co_u32_e32 v22, vcc, 2, v24
	s_add_u32 s2, s26, -1
	v_addc_co_u32_e32 v23, vcc, 0, v23, vcc
	s_addc_u32 s3, s27, -1
	s_mov_b64 s[8:9], 0
	s_mov_b64 s[42:43], 0
                                        ; implicit-def: $sgpr36_sgpr37
	s_branch .LBB1345_140
.LBB1345_138:                           ;   in Loop: Header=BB1345_140 Depth=1
	global_load_ushort v24, v[22:23], off
	global_load_ushort v25, v[20:21], off
	v_add_co_u32_e32 v20, vcc, 2, v20
	v_addc_co_u32_e32 v21, vcc, 0, v21, vcc
	v_add_co_u32_e32 v22, vcc, 2, v22
	v_addc_co_u32_e32 v23, vcc, 0, v23, vcc
	s_add_u32 s42, s42, 1
	s_addc_u32 s43, s43, 0
	s_andn2_b64 s[36:37], s[36:37], exec
	s_waitcnt vmcnt(0)
	v_cmp_neq_f16_e32 vcc, v24, v25
	s_and_b64 s[44:45], vcc, exec
	s_or_b64 s[36:37], s[36:37], s[44:45]
.LBB1345_139:                           ;   in Loop: Header=BB1345_140 Depth=1
	s_and_b64 s[44:45], exec, s[36:37]
	s_or_b64 s[8:9], s[44:45], s[8:9]
	v_pk_mov_b32 v[24:25], s[42:43], s[42:43] op_sel:[0,1]
	s_andn2_b64 exec, exec, s[8:9]
	s_cbranch_execz .LBB1345_142
.LBB1345_140:                           ; =>This Inner Loop Header: Depth=1
	s_or_b64 s[36:37], s[36:37], exec
	s_cmp_eq_u64 s[2:3], s[42:43]
	s_cbranch_scc0 .LBB1345_138
; %bb.141:                              ;   in Loop: Header=BB1345_140 Depth=1
                                        ; implicit-def: $vgpr20_vgpr21
                                        ; implicit-def: $vgpr22_vgpr23
	s_mov_b64 s[42:43], s[26:27]
	s_branch .LBB1345_139
.LBB1345_142:
	s_or_b64 exec, exec, s[8:9]
	v_cmp_gt_i64_e32 vcc, s[26:27], v[24:25]
	s_orn2_b64 s[36:37], vcc, exec
.LBB1345_143:
	s_or_b64 exec, exec, s[40:41]
.LBB1345_144:
	v_cndmask_b32_e64 v21, 0, 1, s[18:19]
	v_cndmask_b32_e64 v22, 0, 1, s[36:37]
	;; [unrolled: 1-line block ×3, first 2 shown]
	v_lshlrev_b16_e32 v22, 8, v22
	v_lshlrev_b16_e32 v21, 8, v21
	v_or_b32_e32 v22, 1, v22
	v_or_b32_sdwa v20, v20, v21 dst_sel:WORD_1 dst_unused:UNUSED_PAD src0_sel:DWORD src1_sel:DWORD
	v_or_b32_sdwa v28, v22, v20 dst_sel:DWORD dst_unused:UNUSED_PAD src0_sel:WORD_0 src1_sel:DWORD
	v_cmp_ne_u32_e32 vcc, 0, v0
	s_waitcnt lgkmcnt(0)
	s_barrier
	s_waitcnt lgkmcnt(0)
                                        ; implicit-def: $sgpr18_sgpr19
	s_and_saveexec_b64 s[2:3], vcc
	s_xor_b64 s[8:9], exec, s[2:3]
	s_cbranch_execz .LBB1345_155
; %bb.145:
	s_and_b64 vcc, exec, s[0:1]
	s_mov_b64 s[36:37], 0
	s_cbranch_vccnz .LBB1345_154
; %bb.146:
	v_add_u32_e32 v20, -8, v29
	ds_read_b64 v[20:21], v20
	v_mov_b32_e32 v23, s29
	v_lshlrev_b64 v[18:19], 1, v[18:19]
	s_mov_b64 s[36:37], -1
	s_waitcnt lgkmcnt(0)
	v_mul_lo_u32 v22, v21, s26
	v_mul_lo_u32 v24, v20, s27
	v_mad_u64_u32 v[20:21], s[0:1], v20, s26, 0
	v_add3_u32 v21, v21, v24, v22
	v_lshlrev_b64 v[20:21], 1, v[20:21]
	v_add_co_u32_e32 v22, vcc, s28, v20
	v_addc_co_u32_e64 v23, s[0:1], v23, v21, vcc
	v_mov_b32_e32 v20, s29
	v_add_co_u32_e64 v24, s[0:1], s28, v18
	v_addc_co_u32_e64 v25, s[2:3], v20, v19, s[0:1]
	global_load_ushort v18, v[22:23], off
	global_load_ushort v20, v[24:25], off
	s_waitcnt vmcnt(0)
	v_cmp_eq_f16_e64 s[2:3], v18, v20
	s_and_saveexec_b64 s[18:19], s[2:3]
	s_cbranch_execz .LBB1345_153
; %bb.147:
	v_mov_b32_e32 v18, s29
	v_addc_co_u32_e64 v19, s[0:1], v19, v18, s[0:1]
	v_add_co_u32_e64 v18, s[0:1], 2, v24
	v_mov_b32_e32 v20, s29
	v_addc_co_u32_e64 v19, s[0:1], 0, v19, s[0:1]
	v_addc_co_u32_e32 v21, vcc, v21, v20, vcc
	v_add_co_u32_e32 v20, vcc, 2, v22
	s_add_u32 s0, s26, -1
	v_addc_co_u32_e32 v21, vcc, 0, v21, vcc
	s_addc_u32 s1, s27, -1
	s_mov_b64 s[2:3], 0
	s_mov_b64 s[38:39], 0
                                        ; implicit-def: $sgpr36_sgpr37
	s_branch .LBB1345_150
.LBB1345_148:                           ;   in Loop: Header=BB1345_150 Depth=1
	global_load_ushort v22, v[20:21], off
	global_load_ushort v23, v[18:19], off
	v_add_co_u32_e32 v18, vcc, 2, v18
	v_addc_co_u32_e32 v19, vcc, 0, v19, vcc
	v_add_co_u32_e32 v20, vcc, 2, v20
	v_addc_co_u32_e32 v21, vcc, 0, v21, vcc
	s_add_u32 s38, s38, 1
	s_addc_u32 s39, s39, 0
	s_andn2_b64 s[36:37], s[36:37], exec
	s_waitcnt vmcnt(0)
	v_cmp_neq_f16_e32 vcc, v22, v23
	s_and_b64 s[40:41], vcc, exec
	s_or_b64 s[36:37], s[36:37], s[40:41]
.LBB1345_149:                           ;   in Loop: Header=BB1345_150 Depth=1
	s_and_b64 s[40:41], exec, s[36:37]
	s_or_b64 s[2:3], s[40:41], s[2:3]
	v_pk_mov_b32 v[22:23], s[38:39], s[38:39] op_sel:[0,1]
	s_andn2_b64 exec, exec, s[2:3]
	s_cbranch_execz .LBB1345_152
.LBB1345_150:                           ; =>This Inner Loop Header: Depth=1
	s_or_b64 s[36:37], s[36:37], exec
	s_cmp_eq_u64 s[0:1], s[38:39]
	s_cbranch_scc0 .LBB1345_148
; %bb.151:                              ;   in Loop: Header=BB1345_150 Depth=1
                                        ; implicit-def: $vgpr18_vgpr19
                                        ; implicit-def: $vgpr20_vgpr21
	s_mov_b64 s[38:39], s[26:27]
	s_branch .LBB1345_149
.LBB1345_152:
	s_or_b64 exec, exec, s[2:3]
	v_cmp_gt_i64_e32 vcc, s[26:27], v[22:23]
	s_orn2_b64 s[36:37], vcc, exec
.LBB1345_153:
	s_or_b64 exec, exec, s[18:19]
.LBB1345_154:
	s_and_b64 s[18:19], s[36:37], exec
	s_or_b64 s[12:13], s[12:13], exec
.LBB1345_155:
	s_or_b64 exec, exec, s[8:9]
	s_branch .LBB1345_203
.LBB1345_156:
	v_or_b32_e32 v18, 3, v1
	v_cmp_gt_u32_e32 vcc, s7, v18
	s_mov_b64 s[18:19], 0
	s_mov_b64 s[8:9], 0
	s_and_saveexec_b64 s[36:37], vcc
	s_cbranch_execz .LBB1345_167
; %bb.157:
	s_andn2_b64 vcc, exec, s[14:15]
	s_mov_b64 s[38:39], 0
	s_cbranch_vccnz .LBB1345_166
; %bb.158:
	v_mul_lo_u32 v20, v11, s26
	v_mul_lo_u32 v21, v10, s27
	v_mad_u64_u32 v[18:19], s[0:1], v10, s26, 0
	v_add3_u32 v19, v19, v21, v20
	v_mul_lo_u32 v20, v13, s26
	v_mul_lo_u32 v21, v12, s27
	v_mad_u64_u32 v[24:25], s[0:1], v12, s26, 0
	v_add3_u32 v25, v25, v21, v20
	v_lshlrev_b64 v[20:21], 1, v[18:19]
	v_mov_b32_e32 v18, s29
	v_add_co_u32_e32 v22, vcc, s28, v20
	v_addc_co_u32_e64 v23, s[0:1], v18, v21, vcc
	v_lshlrev_b64 v[18:19], 1, v[24:25]
	v_mov_b32_e32 v20, s29
	v_add_co_u32_e64 v24, s[0:1], s28, v18
	v_addc_co_u32_e64 v25, s[2:3], v20, v19, s[0:1]
	global_load_ushort v18, v[22:23], off
	global_load_ushort v20, v[24:25], off
	s_mov_b64 s[38:39], -1
	s_waitcnt vmcnt(0)
	v_cmp_eq_f16_e64 s[2:3], v18, v20
	s_and_saveexec_b64 s[8:9], s[2:3]
	s_cbranch_execz .LBB1345_165
; %bb.159:
	v_mov_b32_e32 v18, s29
	v_addc_co_u32_e64 v19, s[0:1], v19, v18, s[0:1]
	v_add_co_u32_e64 v18, s[0:1], 2, v24
	v_mov_b32_e32 v20, s29
	v_addc_co_u32_e64 v19, s[0:1], 0, v19, s[0:1]
	v_addc_co_u32_e32 v21, vcc, v21, v20, vcc
	v_add_co_u32_e32 v20, vcc, 2, v22
	s_add_u32 s0, s26, -1
	v_addc_co_u32_e32 v21, vcc, 0, v21, vcc
	s_addc_u32 s1, s27, -1
	s_mov_b64 s[2:3], 0
	s_mov_b64 s[40:41], 0
                                        ; implicit-def: $sgpr38_sgpr39
	s_branch .LBB1345_162
.LBB1345_160:                           ;   in Loop: Header=BB1345_162 Depth=1
	global_load_ushort v22, v[20:21], off
	global_load_ushort v23, v[18:19], off
	v_add_co_u32_e32 v18, vcc, 2, v18
	v_addc_co_u32_e32 v19, vcc, 0, v19, vcc
	v_add_co_u32_e32 v20, vcc, 2, v20
	v_addc_co_u32_e32 v21, vcc, 0, v21, vcc
	s_add_u32 s40, s40, 1
	s_addc_u32 s41, s41, 0
	s_andn2_b64 s[38:39], s[38:39], exec
	s_waitcnt vmcnt(0)
	v_cmp_neq_f16_e32 vcc, v22, v23
	s_and_b64 s[42:43], vcc, exec
	s_or_b64 s[38:39], s[38:39], s[42:43]
.LBB1345_161:                           ;   in Loop: Header=BB1345_162 Depth=1
	s_and_b64 s[42:43], exec, s[38:39]
	s_or_b64 s[2:3], s[42:43], s[2:3]
	v_pk_mov_b32 v[22:23], s[40:41], s[40:41] op_sel:[0,1]
	s_andn2_b64 exec, exec, s[2:3]
	s_cbranch_execz .LBB1345_164
.LBB1345_162:                           ; =>This Inner Loop Header: Depth=1
	s_or_b64 s[38:39], s[38:39], exec
	s_cmp_eq_u64 s[0:1], s[40:41]
	s_cbranch_scc0 .LBB1345_160
; %bb.163:                              ;   in Loop: Header=BB1345_162 Depth=1
                                        ; implicit-def: $vgpr18_vgpr19
                                        ; implicit-def: $vgpr20_vgpr21
	s_mov_b64 s[40:41], s[26:27]
	s_branch .LBB1345_161
.LBB1345_164:
	s_or_b64 exec, exec, s[2:3]
	v_cmp_gt_i64_e32 vcc, s[26:27], v[22:23]
	s_orn2_b64 s[38:39], vcc, exec
.LBB1345_165:
	s_or_b64 exec, exec, s[8:9]
.LBB1345_166:
	s_and_b64 s[8:9], s[38:39], exec
.LBB1345_167:
	s_or_b64 exec, exec, s[36:37]
	v_or_b32_e32 v18, 2, v1
	v_cmp_gt_u32_e32 vcc, s7, v18
	s_and_saveexec_b64 s[36:37], vcc
	s_cbranch_execz .LBB1345_178
; %bb.168:
	s_andn2_b64 vcc, exec, s[14:15]
	s_mov_b64 s[38:39], 0
	s_cbranch_vccnz .LBB1345_177
; %bb.169:
	v_mul_lo_u32 v20, v17, s26
	v_mul_lo_u32 v21, v16, s27
	v_mad_u64_u32 v[18:19], s[0:1], v16, s26, 0
	v_add3_u32 v19, v19, v21, v20
	v_mul_lo_u32 v20, v11, s26
	v_mul_lo_u32 v21, v10, s27
	v_mad_u64_u32 v[24:25], s[0:1], v10, s26, 0
	v_add3_u32 v25, v25, v21, v20
	v_lshlrev_b64 v[20:21], 1, v[18:19]
	v_mov_b32_e32 v18, s29
	v_add_co_u32_e32 v22, vcc, s28, v20
	v_addc_co_u32_e64 v23, s[0:1], v18, v21, vcc
	v_lshlrev_b64 v[18:19], 1, v[24:25]
	v_mov_b32_e32 v20, s29
	v_add_co_u32_e64 v24, s[0:1], s28, v18
	v_addc_co_u32_e64 v25, s[2:3], v20, v19, s[0:1]
	global_load_ushort v18, v[22:23], off
	global_load_ushort v20, v[24:25], off
	s_mov_b64 s[38:39], -1
	s_waitcnt vmcnt(0)
	v_cmp_eq_f16_e64 s[2:3], v18, v20
	s_and_saveexec_b64 s[18:19], s[2:3]
	s_cbranch_execz .LBB1345_176
; %bb.170:
	v_mov_b32_e32 v18, s29
	v_addc_co_u32_e64 v19, s[0:1], v19, v18, s[0:1]
	v_add_co_u32_e64 v18, s[0:1], 2, v24
	v_mov_b32_e32 v20, s29
	v_addc_co_u32_e64 v19, s[0:1], 0, v19, s[0:1]
	v_addc_co_u32_e32 v21, vcc, v21, v20, vcc
	v_add_co_u32_e32 v20, vcc, 2, v22
	s_add_u32 s0, s26, -1
	v_addc_co_u32_e32 v21, vcc, 0, v21, vcc
	s_addc_u32 s1, s27, -1
	s_mov_b64 s[2:3], 0
	s_mov_b64 s[40:41], 0
                                        ; implicit-def: $sgpr38_sgpr39
	s_branch .LBB1345_173
.LBB1345_171:                           ;   in Loop: Header=BB1345_173 Depth=1
	global_load_ushort v22, v[20:21], off
	global_load_ushort v23, v[18:19], off
	v_add_co_u32_e32 v18, vcc, 2, v18
	v_addc_co_u32_e32 v19, vcc, 0, v19, vcc
	v_add_co_u32_e32 v20, vcc, 2, v20
	v_addc_co_u32_e32 v21, vcc, 0, v21, vcc
	s_add_u32 s40, s40, 1
	s_addc_u32 s41, s41, 0
	s_andn2_b64 s[38:39], s[38:39], exec
	s_waitcnt vmcnt(0)
	v_cmp_neq_f16_e32 vcc, v22, v23
	s_and_b64 s[42:43], vcc, exec
	s_or_b64 s[38:39], s[38:39], s[42:43]
.LBB1345_172:                           ;   in Loop: Header=BB1345_173 Depth=1
	s_and_b64 s[42:43], exec, s[38:39]
	s_or_b64 s[2:3], s[42:43], s[2:3]
	v_pk_mov_b32 v[22:23], s[40:41], s[40:41] op_sel:[0,1]
	s_andn2_b64 exec, exec, s[2:3]
	s_cbranch_execz .LBB1345_175
.LBB1345_173:                           ; =>This Inner Loop Header: Depth=1
	s_or_b64 s[38:39], s[38:39], exec
	s_cmp_eq_u64 s[0:1], s[40:41]
	s_cbranch_scc0 .LBB1345_171
; %bb.174:                              ;   in Loop: Header=BB1345_173 Depth=1
                                        ; implicit-def: $vgpr18_vgpr19
                                        ; implicit-def: $vgpr20_vgpr21
	s_mov_b64 s[40:41], s[26:27]
	s_branch .LBB1345_172
.LBB1345_175:
	s_or_b64 exec, exec, s[2:3]
	v_cmp_gt_i64_e32 vcc, s[26:27], v[22:23]
	s_orn2_b64 s[38:39], vcc, exec
.LBB1345_176:
	s_or_b64 exec, exec, s[18:19]
.LBB1345_177:
	s_and_b64 s[18:19], s[38:39], exec
.LBB1345_178:
	s_or_b64 exec, exec, s[36:37]
	v_or_b32_e32 v18, 1, v1
	v_cmp_gt_u32_e32 vcc, s7, v18
	s_mov_b64 s[0:1], 0
	s_and_saveexec_b64 s[36:37], vcc
	s_cbranch_execz .LBB1345_189
; %bb.179:
	s_andn2_b64 vcc, exec, s[14:15]
	s_mov_b64 s[40:41], 0
	s_cbranch_vccnz .LBB1345_188
; %bb.180:
	v_mul_lo_u32 v20, v15, s26
	v_mul_lo_u32 v21, v14, s27
	v_mad_u64_u32 v[18:19], s[0:1], v14, s26, 0
	v_add3_u32 v19, v19, v21, v20
	v_mul_lo_u32 v20, v17, s26
	v_mul_lo_u32 v21, v16, s27
	v_mad_u64_u32 v[24:25], s[0:1], v16, s26, 0
	v_add3_u32 v25, v25, v21, v20
	v_lshlrev_b64 v[20:21], 1, v[18:19]
	v_mov_b32_e32 v18, s29
	v_add_co_u32_e32 v22, vcc, s28, v20
	v_addc_co_u32_e64 v23, s[0:1], v18, v21, vcc
	v_lshlrev_b64 v[18:19], 1, v[24:25]
	v_mov_b32_e32 v20, s29
	v_add_co_u32_e64 v24, s[0:1], s28, v18
	v_addc_co_u32_e64 v25, s[2:3], v20, v19, s[0:1]
	global_load_ushort v18, v[22:23], off
	global_load_ushort v20, v[24:25], off
	s_mov_b64 s[40:41], -1
	s_waitcnt vmcnt(0)
	v_cmp_eq_f16_e64 s[2:3], v18, v20
	s_and_saveexec_b64 s[38:39], s[2:3]
	s_cbranch_execz .LBB1345_187
; %bb.181:
	v_mov_b32_e32 v18, s29
	v_addc_co_u32_e64 v19, s[0:1], v19, v18, s[0:1]
	v_add_co_u32_e64 v18, s[0:1], 2, v24
	v_mov_b32_e32 v20, s29
	v_addc_co_u32_e64 v19, s[0:1], 0, v19, s[0:1]
	v_addc_co_u32_e32 v21, vcc, v21, v20, vcc
	v_add_co_u32_e32 v20, vcc, 2, v22
	s_add_u32 s0, s26, -1
	v_addc_co_u32_e32 v21, vcc, 0, v21, vcc
	s_addc_u32 s1, s27, -1
	s_mov_b64 s[2:3], 0
	s_mov_b64 s[42:43], 0
                                        ; implicit-def: $sgpr40_sgpr41
	s_branch .LBB1345_184
.LBB1345_182:                           ;   in Loop: Header=BB1345_184 Depth=1
	global_load_ushort v22, v[20:21], off
	global_load_ushort v23, v[18:19], off
	v_add_co_u32_e32 v18, vcc, 2, v18
	v_addc_co_u32_e32 v19, vcc, 0, v19, vcc
	v_add_co_u32_e32 v20, vcc, 2, v20
	v_addc_co_u32_e32 v21, vcc, 0, v21, vcc
	s_add_u32 s42, s42, 1
	s_addc_u32 s43, s43, 0
	s_andn2_b64 s[40:41], s[40:41], exec
	s_waitcnt vmcnt(0)
	v_cmp_neq_f16_e32 vcc, v22, v23
	s_and_b64 s[44:45], vcc, exec
	s_or_b64 s[40:41], s[40:41], s[44:45]
.LBB1345_183:                           ;   in Loop: Header=BB1345_184 Depth=1
	s_and_b64 s[44:45], exec, s[40:41]
	s_or_b64 s[2:3], s[44:45], s[2:3]
	v_pk_mov_b32 v[22:23], s[42:43], s[42:43] op_sel:[0,1]
	s_andn2_b64 exec, exec, s[2:3]
	s_cbranch_execz .LBB1345_186
.LBB1345_184:                           ; =>This Inner Loop Header: Depth=1
	s_or_b64 s[40:41], s[40:41], exec
	s_cmp_eq_u64 s[0:1], s[42:43]
	s_cbranch_scc0 .LBB1345_182
; %bb.185:                              ;   in Loop: Header=BB1345_184 Depth=1
                                        ; implicit-def: $vgpr18_vgpr19
                                        ; implicit-def: $vgpr20_vgpr21
	s_mov_b64 s[42:43], s[26:27]
	s_branch .LBB1345_183
.LBB1345_186:
	s_or_b64 exec, exec, s[2:3]
	v_cmp_gt_i64_e32 vcc, s[26:27], v[22:23]
	s_orn2_b64 s[40:41], vcc, exec
.LBB1345_187:
	s_or_b64 exec, exec, s[38:39]
.LBB1345_188:
	s_and_b64 s[0:1], s[40:41], exec
.LBB1345_189:
	s_or_b64 exec, exec, s[36:37]
	v_cndmask_b32_e64 v19, 0, 1, s[8:9]
	v_cndmask_b32_e64 v20, 0, 1, s[0:1]
	;; [unrolled: 1-line block ×3, first 2 shown]
	v_lshlrev_b16_e32 v20, 8, v20
	v_lshlrev_b16_e32 v19, 8, v19
	v_or_b32_e32 v20, 1, v20
	v_or_b32_sdwa v18, v18, v19 dst_sel:WORD_1 dst_unused:UNUSED_PAD src0_sel:DWORD src1_sel:DWORD
	v_or_b32_sdwa v28, v20, v18 dst_sel:DWORD dst_unused:UNUSED_PAD src0_sel:WORD_0 src1_sel:DWORD
	v_cmp_ne_u32_e32 vcc, 0, v0
	s_waitcnt lgkmcnt(0)
	s_barrier
	s_waitcnt lgkmcnt(0)
                                        ; implicit-def: $sgpr18_sgpr19
	s_and_saveexec_b64 s[8:9], vcc
	s_cbranch_execz .LBB1345_202
; %bb.190:
	v_cmp_gt_u32_e32 vcc, s7, v1
	s_mov_b64 s[0:1], 0
	s_and_saveexec_b64 s[18:19], vcc
	s_cbranch_execz .LBB1345_201
; %bb.191:
	s_andn2_b64 vcc, exec, s[14:15]
	s_mov_b64 s[36:37], 0
	s_cbranch_vccnz .LBB1345_200
; %bb.192:
	v_add_u32_e32 v18, -8, v29
	ds_read_b64 v[18:19], v18
	v_mul_lo_u32 v20, v15, s26
	v_mad_u64_u32 v[24:25], s[0:1], v14, s26, 0
	s_mov_b64 s[36:37], -1
	s_waitcnt lgkmcnt(0)
	v_mul_lo_u32 v21, v19, s26
	v_mul_lo_u32 v22, v18, s27
	v_mad_u64_u32 v[18:19], s[0:1], v18, s26, 0
	v_add3_u32 v19, v19, v22, v21
	v_mul_lo_u32 v21, v14, s27
	v_add3_u32 v25, v25, v21, v20
	v_lshlrev_b64 v[20:21], 1, v[18:19]
	v_mov_b32_e32 v18, s29
	v_add_co_u32_e32 v22, vcc, s28, v20
	v_addc_co_u32_e64 v23, s[0:1], v18, v21, vcc
	v_lshlrev_b64 v[18:19], 1, v[24:25]
	v_mov_b32_e32 v20, s29
	v_add_co_u32_e64 v24, s[0:1], s28, v18
	v_addc_co_u32_e64 v25, s[2:3], v20, v19, s[0:1]
	global_load_ushort v18, v[22:23], off
	global_load_ushort v20, v[24:25], off
	s_waitcnt vmcnt(0)
	v_cmp_eq_f16_e64 s[2:3], v18, v20
	s_and_saveexec_b64 s[14:15], s[2:3]
	s_cbranch_execz .LBB1345_199
; %bb.193:
	v_mov_b32_e32 v18, s29
	v_addc_co_u32_e64 v19, s[0:1], v19, v18, s[0:1]
	v_add_co_u32_e64 v18, s[0:1], 2, v24
	v_mov_b32_e32 v20, s29
	v_addc_co_u32_e64 v19, s[0:1], 0, v19, s[0:1]
	v_addc_co_u32_e32 v21, vcc, v21, v20, vcc
	v_add_co_u32_e32 v20, vcc, 2, v22
	s_add_u32 s0, s26, -1
	v_addc_co_u32_e32 v21, vcc, 0, v21, vcc
	s_addc_u32 s1, s27, -1
	s_mov_b64 s[2:3], 0
	s_mov_b64 s[36:37], 0
                                        ; implicit-def: $sgpr28_sgpr29
	s_branch .LBB1345_196
.LBB1345_194:                           ;   in Loop: Header=BB1345_196 Depth=1
	global_load_ushort v22, v[20:21], off
	global_load_ushort v23, v[18:19], off
	v_add_co_u32_e32 v18, vcc, 2, v18
	v_addc_co_u32_e32 v19, vcc, 0, v19, vcc
	v_add_co_u32_e32 v20, vcc, 2, v20
	v_addc_co_u32_e32 v21, vcc, 0, v21, vcc
	s_add_u32 s36, s36, 1
	s_addc_u32 s37, s37, 0
	s_andn2_b64 s[28:29], s[28:29], exec
	s_waitcnt vmcnt(0)
	v_cmp_neq_f16_e32 vcc, v22, v23
	s_and_b64 s[38:39], vcc, exec
	s_or_b64 s[28:29], s[28:29], s[38:39]
.LBB1345_195:                           ;   in Loop: Header=BB1345_196 Depth=1
	s_and_b64 s[38:39], exec, s[28:29]
	s_or_b64 s[2:3], s[38:39], s[2:3]
	v_pk_mov_b32 v[22:23], s[36:37], s[36:37] op_sel:[0,1]
	s_andn2_b64 exec, exec, s[2:3]
	s_cbranch_execz .LBB1345_198
.LBB1345_196:                           ; =>This Inner Loop Header: Depth=1
	s_or_b64 s[28:29], s[28:29], exec
	s_cmp_eq_u64 s[0:1], s[36:37]
	s_cbranch_scc0 .LBB1345_194
; %bb.197:                              ;   in Loop: Header=BB1345_196 Depth=1
                                        ; implicit-def: $vgpr18_vgpr19
                                        ; implicit-def: $vgpr20_vgpr21
	s_mov_b64 s[36:37], s[26:27]
	s_branch .LBB1345_195
.LBB1345_198:
	s_or_b64 exec, exec, s[2:3]
	v_cmp_gt_i64_e32 vcc, s[26:27], v[22:23]
	s_orn2_b64 s[36:37], vcc, exec
.LBB1345_199:
	s_or_b64 exec, exec, s[14:15]
.LBB1345_200:
	s_and_b64 s[0:1], s[36:37], exec
.LBB1345_201:
	s_or_b64 exec, exec, s[18:19]
	s_and_b64 s[18:19], s[0:1], exec
	s_or_b64 s[12:13], s[12:13], exec
.LBB1345_202:
	s_or_b64 exec, exec, s[8:9]
.LBB1345_203:
	s_and_saveexec_b64 s[0:1], s[12:13]
; %bb.204:
	v_and_b32_e32 v18, 0xffffff00, v28
	v_cndmask_b32_e64 v19, 0, 1, s[18:19]
	v_or_b32_e32 v18, v19, v18
	v_and_b32_e32 v18, 0xffff, v18
	s_mov_b32 s2, 0xffff0000
	v_and_or_b32 v28, v28, s2, v18
; %bb.205:
	s_or_b64 exec, exec, s[0:1]
	s_andn2_b64 vcc, exec, s[10:11]
	s_cbranch_vccnz .LBB1345_207
; %bb.206:
	v_cmp_gt_u32_e32 vcc, s7, v1
	v_cndmask_b32_e32 v18, 0, v28, vcc
	v_or_b32_e32 v19, 1, v1
	v_and_b32_e32 v18, 0xff, v18
	v_cmp_gt_u32_e32 vcc, s7, v19
	v_cndmask_b32_e32 v18, v18, v28, vcc
	v_or_b32_e32 v19, 2, v1
	v_and_b32_e32 v18, 0xffff, v18
	;; [unrolled: 4-line block ×3, first 2 shown]
	v_cmp_gt_u32_e32 vcc, s7, v19
	v_cndmask_b32_e32 v28, v18, v28, vcc
.LBB1345_207:
	v_bfe_u32 v30, v28, 16, 8
	v_lshrrev_b32_e32 v29, 24, v28
	v_add_u32_sdwa v18, v28, v28 dst_sel:DWORD dst_unused:UNUSED_PAD src0_sel:BYTE_1 src1_sel:BYTE_0
	v_add3_u32 v33, v18, v30, v29
	v_mbcnt_lo_u32_b32 v18, -1, 0
	v_mbcnt_hi_u32_b32 v31, -1, v18
	v_and_b32_e32 v18, 15, v31
	v_cmp_eq_u32_e64 s[14:15], 0, v18
	v_cmp_lt_u32_e64 s[12:13], 1, v18
	v_cmp_lt_u32_e64 s[10:11], 3, v18
	;; [unrolled: 1-line block ×3, first 2 shown]
	v_and_b32_e32 v18, 16, v31
	v_cmp_eq_u32_e64 s[18:19], 0, v18
	v_or_b32_e32 v18, 63, v0
	v_cmp_lt_u32_e64 s[0:1], 31, v31
	v_lshrrev_b32_e32 v32, 6, v0
	v_cmp_eq_u32_e64 s[2:3], v18, v0
	s_and_b64 vcc, exec, s[16:17]
	s_waitcnt lgkmcnt(0)
	s_barrier
	s_cbranch_vccz .LBB1345_238
; %bb.208:
	v_mov_b32_dpp v18, v33 row_shr:1 row_mask:0xf bank_mask:0xf
	v_cndmask_b32_e64 v18, v18, 0, s[14:15]
	v_add_u32_e32 v18, v18, v33
	s_nop 1
	v_mov_b32_dpp v19, v18 row_shr:2 row_mask:0xf bank_mask:0xf
	v_cndmask_b32_e64 v19, 0, v19, s[12:13]
	v_add_u32_e32 v18, v18, v19
	s_nop 1
	;; [unrolled: 4-line block ×4, first 2 shown]
	v_mov_b32_dpp v19, v18 row_bcast:15 row_mask:0xf bank_mask:0xf
	v_cndmask_b32_e64 v19, v19, 0, s[18:19]
	v_add_u32_e32 v18, v18, v19
	s_nop 1
	v_mov_b32_dpp v19, v18 row_bcast:31 row_mask:0xf bank_mask:0xf
	v_cndmask_b32_e64 v19, 0, v19, s[0:1]
	v_add_u32_e32 v18, v18, v19
	s_and_saveexec_b64 s[16:17], s[2:3]
	s_cbranch_execz .LBB1345_210
; %bb.209:
	v_lshlrev_b32_e32 v19, 2, v32
	ds_write_b32 v19, v18
.LBB1345_210:
	s_or_b64 exec, exec, s[16:17]
	v_cmp_gt_u32_e32 vcc, 2, v0
	s_waitcnt lgkmcnt(0)
	s_barrier
	s_and_saveexec_b64 s[16:17], vcc
	s_cbranch_execz .LBB1345_212
; %bb.211:
	ds_read_b32 v19, v1
	v_bfe_i32 v20, v31, 0, 1
	s_waitcnt lgkmcnt(0)
	v_mov_b32_dpp v21, v19 row_shr:1 row_mask:0xf bank_mask:0xf
	v_and_b32_e32 v20, v20, v21
	v_add_u32_e32 v19, v20, v19
	ds_write_b32 v1, v19
.LBB1345_212:
	s_or_b64 exec, exec, s[16:17]
	v_cmp_gt_u32_e32 vcc, 64, v0
	v_cmp_lt_u32_e64 s[16:17], 63, v0
	s_waitcnt lgkmcnt(0)
	s_barrier
	s_waitcnt lgkmcnt(0)
                                        ; implicit-def: $vgpr34
	s_and_saveexec_b64 s[26:27], s[16:17]
	s_cbranch_execz .LBB1345_214
; %bb.213:
	v_lshl_add_u32 v19, v32, 2, -4
	ds_read_b32 v34, v19
	s_waitcnt lgkmcnt(0)
	v_add_u32_e32 v18, v34, v18
.LBB1345_214:
	s_or_b64 exec, exec, s[26:27]
	v_add_u32_e32 v19, -1, v31
	v_and_b32_e32 v20, 64, v31
	v_cmp_lt_i32_e64 s[16:17], v19, v20
	v_cndmask_b32_e64 v19, v19, v31, s[16:17]
	v_lshlrev_b32_e32 v19, 2, v19
	ds_bpermute_b32 v35, v19, v18
	v_cmp_eq_u32_e64 s[16:17], 0, v31
	s_and_saveexec_b64 s[26:27], vcc
	s_cbranch_execz .LBB1345_237
; %bb.215:
	v_mov_b32_e32 v27, 0
	ds_read_b32 v18, v27 offset:4
	s_and_saveexec_b64 s[28:29], s[16:17]
	s_cbranch_execz .LBB1345_217
; %bb.216:
	s_add_i32 s36, s6, 64
	s_mov_b32 s37, 0
	s_lshl_b64 s[36:37], s[36:37], 3
	s_add_u32 s36, s30, s36
	v_mov_b32_e32 v19, 1
	s_addc_u32 s37, s31, s37
	s_waitcnt lgkmcnt(0)
	global_store_dwordx2 v27, v[18:19], s[36:37]
.LBB1345_217:
	s_or_b64 exec, exec, s[28:29]
	v_xad_u32 v20, v31, -1, s6
	v_add_u32_e32 v26, 64, v20
	v_lshlrev_b64 v[22:23], 3, v[26:27]
	v_mov_b32_e32 v19, s31
	v_add_co_u32_e32 v22, vcc, s30, v22
	v_addc_co_u32_e32 v23, vcc, v19, v23, vcc
	global_load_dwordx2 v[24:25], v[22:23], off glc
	s_waitcnt vmcnt(0)
	v_cmp_eq_u16_sdwa s[36:37], v25, v27 src0_sel:BYTE_0 src1_sel:DWORD
	s_and_saveexec_b64 s[28:29], s[36:37]
	s_cbranch_execz .LBB1345_223
; %bb.218:
	s_mov_b32 s7, 1
	s_mov_b64 s[36:37], 0
	v_mov_b32_e32 v19, 0
.LBB1345_219:                           ; =>This Loop Header: Depth=1
                                        ;     Child Loop BB1345_220 Depth 2
	s_max_u32 s33, s7, 1
.LBB1345_220:                           ;   Parent Loop BB1345_219 Depth=1
                                        ; =>  This Inner Loop Header: Depth=2
	s_add_i32 s33, s33, -1
	s_cmp_eq_u32 s33, 0
	s_sleep 1
	s_cbranch_scc0 .LBB1345_220
; %bb.221:                              ;   in Loop: Header=BB1345_219 Depth=1
	global_load_dwordx2 v[24:25], v[22:23], off glc
	s_cmp_lt_u32 s7, 32
	s_cselect_b64 s[38:39], -1, 0
	s_cmp_lg_u64 s[38:39], 0
	s_addc_u32 s7, s7, 0
	s_waitcnt vmcnt(0)
	v_cmp_ne_u16_sdwa s[38:39], v25, v19 src0_sel:BYTE_0 src1_sel:DWORD
	s_or_b64 s[36:37], s[38:39], s[36:37]
	s_andn2_b64 exec, exec, s[36:37]
	s_cbranch_execnz .LBB1345_219
; %bb.222:
	s_or_b64 exec, exec, s[36:37]
.LBB1345_223:
	s_or_b64 exec, exec, s[28:29]
	v_and_b32_e32 v36, 63, v31
	v_mov_b32_e32 v19, 2
	v_cmp_ne_u32_e32 vcc, 63, v36
	v_cmp_eq_u16_sdwa s[28:29], v25, v19 src0_sel:BYTE_0 src1_sel:DWORD
	v_lshlrev_b64 v[22:23], v31, -1
	v_addc_co_u32_e32 v27, vcc, 0, v31, vcc
	v_and_b32_e32 v21, s29, v23
	v_lshlrev_b32_e32 v37, 2, v27
	v_or_b32_e32 v21, 0x80000000, v21
	ds_bpermute_b32 v27, v37, v24
	v_and_b32_e32 v26, s28, v22
	v_ffbl_b32_e32 v21, v21
	v_add_u32_e32 v21, 32, v21
	v_ffbl_b32_e32 v26, v26
	v_min_u32_e32 v21, v26, v21
	v_cmp_lt_u32_e32 vcc, v36, v21
	s_waitcnt lgkmcnt(0)
	v_cndmask_b32_e32 v26, 0, v27, vcc
	v_cmp_gt_u32_e32 vcc, 62, v36
	v_add_u32_e32 v24, v26, v24
	v_cndmask_b32_e64 v26, 0, 1, vcc
	v_lshlrev_b32_e32 v26, 1, v26
	v_add_lshl_u32 v38, v26, v31, 2
	ds_bpermute_b32 v26, v38, v24
	v_add_u32_e32 v39, 2, v36
	v_cmp_le_u32_e32 vcc, v39, v21
	v_add_u32_e32 v41, 4, v36
	v_add_u32_e32 v43, 8, v36
	s_waitcnt lgkmcnt(0)
	v_cndmask_b32_e32 v26, 0, v26, vcc
	v_cmp_gt_u32_e32 vcc, 60, v36
	v_add_u32_e32 v24, v24, v26
	v_cndmask_b32_e64 v26, 0, 1, vcc
	v_lshlrev_b32_e32 v26, 2, v26
	v_add_lshl_u32 v40, v26, v31, 2
	ds_bpermute_b32 v26, v40, v24
	v_cmp_le_u32_e32 vcc, v41, v21
	v_add_u32_e32 v46, 16, v36
	v_add_u32_e32 v48, 32, v36
	s_waitcnt lgkmcnt(0)
	v_cndmask_b32_e32 v26, 0, v26, vcc
	v_cmp_gt_u32_e32 vcc, 56, v36
	v_add_u32_e32 v24, v24, v26
	v_cndmask_b32_e64 v26, 0, 1, vcc
	v_lshlrev_b32_e32 v26, 3, v26
	v_add_lshl_u32 v42, v26, v31, 2
	ds_bpermute_b32 v26, v42, v24
	v_cmp_le_u32_e32 vcc, v43, v21
	s_waitcnt lgkmcnt(0)
	v_cndmask_b32_e32 v26, 0, v26, vcc
	v_cmp_gt_u32_e32 vcc, 48, v36
	v_add_u32_e32 v24, v24, v26
	v_cndmask_b32_e64 v26, 0, 1, vcc
	v_lshlrev_b32_e32 v26, 4, v26
	v_add_lshl_u32 v45, v26, v31, 2
	ds_bpermute_b32 v26, v45, v24
	v_cmp_le_u32_e32 vcc, v46, v21
	;; [unrolled: 9-line block ×3, first 2 shown]
	s_waitcnt lgkmcnt(0)
	v_cndmask_b32_e32 v21, 0, v26, vcc
	v_add_u32_e32 v24, v24, v21
	v_mov_b32_e32 v21, 0
	s_branch .LBB1345_225
.LBB1345_224:                           ;   in Loop: Header=BB1345_225 Depth=1
	s_or_b64 exec, exec, s[28:29]
	v_cmp_eq_u16_sdwa s[28:29], v25, v19 src0_sel:BYTE_0 src1_sel:DWORD
	v_and_b32_e32 v26, s29, v23
	v_or_b32_e32 v26, 0x80000000, v26
	ds_bpermute_b32 v49, v37, v24
	v_and_b32_e32 v27, s28, v22
	v_ffbl_b32_e32 v26, v26
	v_add_u32_e32 v26, 32, v26
	v_ffbl_b32_e32 v27, v27
	v_min_u32_e32 v26, v27, v26
	v_cmp_lt_u32_e32 vcc, v36, v26
	s_waitcnt lgkmcnt(0)
	v_cndmask_b32_e32 v27, 0, v49, vcc
	v_add_u32_e32 v24, v27, v24
	ds_bpermute_b32 v27, v38, v24
	v_cmp_le_u32_e32 vcc, v39, v26
	v_subrev_u32_e32 v20, 64, v20
	s_waitcnt lgkmcnt(0)
	v_cndmask_b32_e32 v27, 0, v27, vcc
	v_add_u32_e32 v24, v24, v27
	ds_bpermute_b32 v27, v40, v24
	v_cmp_le_u32_e32 vcc, v41, v26
	s_waitcnt lgkmcnt(0)
	v_cndmask_b32_e32 v27, 0, v27, vcc
	v_add_u32_e32 v24, v24, v27
	ds_bpermute_b32 v27, v42, v24
	v_cmp_le_u32_e32 vcc, v43, v26
	;; [unrolled: 5-line block ×4, first 2 shown]
	s_waitcnt lgkmcnt(0)
	v_cndmask_b32_e32 v26, 0, v27, vcc
	v_add3_u32 v24, v26, v44, v24
.LBB1345_225:                           ; =>This Loop Header: Depth=1
                                        ;     Child Loop BB1345_228 Depth 2
                                        ;       Child Loop BB1345_229 Depth 3
	v_cmp_ne_u16_sdwa s[28:29], v25, v19 src0_sel:BYTE_0 src1_sel:DWORD
	v_cndmask_b32_e64 v25, 0, 1, s[28:29]
	;;#ASMSTART
	;;#ASMEND
	v_cmp_ne_u32_e32 vcc, 0, v25
	s_cmp_lg_u64 vcc, exec
	v_mov_b32_e32 v44, v24
	s_cbranch_scc1 .LBB1345_232
; %bb.226:                              ;   in Loop: Header=BB1345_225 Depth=1
	v_lshlrev_b64 v[24:25], 3, v[20:21]
	v_mov_b32_e32 v27, s31
	v_add_co_u32_e32 v26, vcc, s30, v24
	v_addc_co_u32_e32 v27, vcc, v27, v25, vcc
	global_load_dwordx2 v[24:25], v[26:27], off glc
	s_waitcnt vmcnt(0)
	v_cmp_eq_u16_sdwa s[36:37], v25, v21 src0_sel:BYTE_0 src1_sel:DWORD
	s_and_saveexec_b64 s[28:29], s[36:37]
	s_cbranch_execz .LBB1345_224
; %bb.227:                              ;   in Loop: Header=BB1345_225 Depth=1
	s_mov_b32 s7, 1
	s_mov_b64 s[36:37], 0
.LBB1345_228:                           ;   Parent Loop BB1345_225 Depth=1
                                        ; =>  This Loop Header: Depth=2
                                        ;       Child Loop BB1345_229 Depth 3
	s_max_u32 s33, s7, 1
.LBB1345_229:                           ;   Parent Loop BB1345_225 Depth=1
                                        ;     Parent Loop BB1345_228 Depth=2
                                        ; =>    This Inner Loop Header: Depth=3
	s_add_i32 s33, s33, -1
	s_cmp_eq_u32 s33, 0
	s_sleep 1
	s_cbranch_scc0 .LBB1345_229
; %bb.230:                              ;   in Loop: Header=BB1345_228 Depth=2
	global_load_dwordx2 v[24:25], v[26:27], off glc
	s_cmp_lt_u32 s7, 32
	s_cselect_b64 s[38:39], -1, 0
	s_cmp_lg_u64 s[38:39], 0
	s_addc_u32 s7, s7, 0
	s_waitcnt vmcnt(0)
	v_cmp_ne_u16_sdwa s[38:39], v25, v21 src0_sel:BYTE_0 src1_sel:DWORD
	s_or_b64 s[36:37], s[38:39], s[36:37]
	s_andn2_b64 exec, exec, s[36:37]
	s_cbranch_execnz .LBB1345_228
; %bb.231:                              ;   in Loop: Header=BB1345_225 Depth=1
	s_or_b64 exec, exec, s[36:37]
	s_branch .LBB1345_224
.LBB1345_232:                           ;   in Loop: Header=BB1345_225 Depth=1
                                        ; implicit-def: $vgpr24
                                        ; implicit-def: $vgpr25
	s_cbranch_execz .LBB1345_225
; %bb.233:
	s_and_saveexec_b64 s[28:29], s[16:17]
	s_cbranch_execz .LBB1345_235
; %bb.234:
	s_add_i32 s6, s6, 64
	s_mov_b32 s7, 0
	s_lshl_b64 s[6:7], s[6:7], 3
	s_add_u32 s6, s30, s6
	v_add_u32_e32 v20, v44, v18
	v_mov_b32_e32 v21, 2
	s_addc_u32 s7, s31, s7
	v_mov_b32_e32 v19, 0
	global_store_dwordx2 v19, v[20:21], s[6:7]
	s_movk_i32 s6, 0x1000
	v_add_u32_e64 v19, s6, 0
	ds_write2_b32 v19, v18, v44 offset0:32 offset1:34
.LBB1345_235:
	s_or_b64 exec, exec, s[28:29]
	v_cmp_eq_u32_e32 vcc, 0, v0
	s_and_b64 exec, exec, vcc
	s_cbranch_execz .LBB1345_237
; %bb.236:
	v_mov_b32_e32 v18, 0
	ds_write_b32 v18, v44 offset:4
.LBB1345_237:
	s_or_b64 exec, exec, s[26:27]
	v_mov_b32_e32 v19, 0
	s_waitcnt lgkmcnt(0)
	s_barrier
	ds_read_b32 v19, v19 offset:4
	s_movk_i32 s6, 0x1000
	v_add_u32_e64 v20, s6, 0
	v_cndmask_b32_e64 v18, v35, v34, s[16:17]
	v_cmp_ne_u32_e32 vcc, 0, v0
	s_waitcnt lgkmcnt(0)
	s_barrier
	ds_read2_b32 v[26:27], v20 offset0:32 offset1:34
	v_cndmask_b32_e32 v18, 0, v18, vcc
	v_add_u32_e32 v24, v19, v18
	v_add_u32_sdwa v22, v24, v28 dst_sel:DWORD dst_unused:UNUSED_PAD src0_sel:DWORD src1_sel:BYTE_0
	v_add_u32_sdwa v20, v22, v28 dst_sel:DWORD dst_unused:UNUSED_PAD src0_sel:DWORD src1_sel:BYTE_1
	v_add_u32_e32 v18, v20, v30
	s_waitcnt lgkmcnt(0)
	v_readfirstlane_b32 s26, v26
	v_readfirstlane_b32 s16, v27
	s_branch .LBB1345_248
.LBB1345_238:
                                        ; implicit-def: $vgpr18
                                        ; implicit-def: $vgpr20
                                        ; implicit-def: $vgpr22
                                        ; implicit-def: $vgpr24
                                        ; implicit-def: $sgpr16
                                        ; implicit-def: $sgpr26
	s_cbranch_execz .LBB1345_248
; %bb.239:
	s_nop 0
	v_mov_b32_dpp v18, v33 row_shr:1 row_mask:0xf bank_mask:0xf
	v_cndmask_b32_e64 v18, v18, 0, s[14:15]
	v_add_u32_e32 v18, v18, v33
	s_nop 1
	v_mov_b32_dpp v19, v18 row_shr:2 row_mask:0xf bank_mask:0xf
	v_cndmask_b32_e64 v19, 0, v19, s[12:13]
	v_add_u32_e32 v18, v18, v19
	;; [unrolled: 4-line block ×4, first 2 shown]
	s_nop 1
	v_mov_b32_dpp v19, v18 row_bcast:15 row_mask:0xf bank_mask:0xf
	v_cndmask_b32_e64 v19, v19, 0, s[18:19]
	v_add_u32_e32 v18, v18, v19
	s_nop 1
	v_mov_b32_dpp v19, v18 row_bcast:31 row_mask:0xf bank_mask:0xf
	v_cndmask_b32_e64 v19, 0, v19, s[0:1]
	v_add_u32_e32 v18, v18, v19
	s_and_saveexec_b64 s[0:1], s[2:3]
	s_cbranch_execz .LBB1345_241
; %bb.240:
	v_lshlrev_b32_e32 v19, 2, v32
	ds_write_b32 v19, v18
.LBB1345_241:
	s_or_b64 exec, exec, s[0:1]
	v_cmp_gt_u32_e32 vcc, 2, v0
	s_waitcnt lgkmcnt(0)
	s_barrier
	s_and_saveexec_b64 s[0:1], vcc
	s_cbranch_execz .LBB1345_243
; %bb.242:
	ds_read_b32 v19, v1
	v_bfe_i32 v20, v31, 0, 1
	s_waitcnt lgkmcnt(0)
	v_mov_b32_dpp v21, v19 row_shr:1 row_mask:0xf bank_mask:0xf
	v_and_b32_e32 v20, v20, v21
	v_add_u32_e32 v19, v20, v19
	ds_write_b32 v1, v19
.LBB1345_243:
	s_or_b64 exec, exec, s[0:1]
	v_cmp_lt_u32_e32 vcc, 63, v0
	v_mov_b32_e32 v19, 0
	v_mov_b32_e32 v1, 0
	s_waitcnt lgkmcnt(0)
	s_barrier
	s_and_saveexec_b64 s[0:1], vcc
	s_cbranch_execz .LBB1345_245
; %bb.244:
	v_lshl_add_u32 v1, v32, 2, -4
	ds_read_b32 v1, v1
.LBB1345_245:
	s_or_b64 exec, exec, s[0:1]
	v_add_u32_e32 v20, -1, v31
	v_and_b32_e32 v21, 64, v31
	v_cmp_lt_i32_e32 vcc, v20, v21
	v_cndmask_b32_e32 v20, v20, v31, vcc
	s_waitcnt lgkmcnt(0)
	v_add_u32_e32 v18, v1, v18
	v_lshlrev_b32_e32 v20, 2, v20
	ds_read_b32 v19, v19 offset:4
	ds_bpermute_b32 v18, v20, v18
	s_mov_b32 s16, 0
	v_cmp_eq_u32_e32 vcc, 0, v0
	s_waitcnt lgkmcnt(1)
	v_readfirstlane_b32 s26, v19
	s_and_saveexec_b64 s[0:1], vcc
	s_cbranch_execz .LBB1345_247
; %bb.246:
	v_mov_b32_e32 v19, 0
	v_mov_b32_e32 v20, s26
	;; [unrolled: 1-line block ×3, first 2 shown]
	global_store_dwordx2 v19, v[20:21], s[30:31] offset:512
.LBB1345_247:
	s_or_b64 exec, exec, s[0:1]
	v_cmp_eq_u32_e64 s[0:1], 0, v31
	s_waitcnt lgkmcnt(0)
	v_cndmask_b32_e64 v1, v18, v1, s[0:1]
	v_cndmask_b32_e64 v24, v1, 0, vcc
	v_add_u32_sdwa v22, v24, v28 dst_sel:DWORD dst_unused:UNUSED_PAD src0_sel:DWORD src1_sel:BYTE_0
	v_add_u32_sdwa v20, v22, v28 dst_sel:DWORD dst_unused:UNUSED_PAD src0_sel:DWORD src1_sel:BYTE_1
	v_add_u32_e32 v18, v20, v30
	s_barrier
.LBB1345_248:
	s_load_dwordx4 s[4:7], s[4:5], 0x28
	s_cmpk_lt_u32 s26, 0x81
	s_cselect_b64 s[2:3], -1, 0
	v_lshrrev_b32_e32 v1, 8, v28
	s_mov_b64 s[0:1], -1
	s_and_b64 vcc, exec, s[2:3]
	s_cbranch_vccz .LBB1345_262
; %bb.249:
	s_add_i32 s8, s16, s26
	v_cmp_gt_u32_e32 vcc, s8, v24
	s_or_b64 s[10:11], s[34:35], vcc
	s_and_saveexec_b64 s[0:1], s[10:11]
	s_cbranch_execz .LBB1345_252
; %bb.250:
	v_and_b32_e32 v19, 1, v28
	v_cmp_eq_u32_e32 vcc, 1, v19
	s_and_b64 exec, exec, vcc
	s_cbranch_execz .LBB1345_252
; %bb.251:
	s_lshl_b64 s[10:11], s[22:23], 3
	s_waitcnt lgkmcnt(0)
	s_add_u32 s9, s4, s10
	v_mov_b32_e32 v25, 0
	s_addc_u32 s10, s5, s11
	v_lshlrev_b64 v[26:27], 3, v[24:25]
	v_mov_b32_e32 v19, s10
	v_add_co_u32_e32 v26, vcc, s9, v26
	v_addc_co_u32_e32 v27, vcc, v19, v27, vcc
	global_store_dwordx2 v[26:27], v[14:15], off
.LBB1345_252:
	s_or_b64 exec, exec, s[0:1]
	v_cmp_gt_u32_e32 vcc, s8, v22
	s_or_b64 s[10:11], s[34:35], vcc
	s_and_saveexec_b64 s[0:1], s[10:11]
	s_cbranch_execz .LBB1345_255
; %bb.253:
	v_and_b32_e32 v19, 1, v1
	v_cmp_eq_u32_e32 vcc, 1, v19
	s_and_b64 exec, exec, vcc
	s_cbranch_execz .LBB1345_255
; %bb.254:
	s_lshl_b64 s[10:11], s[22:23], 3
	s_waitcnt lgkmcnt(0)
	s_add_u32 s9, s4, s10
	v_mov_b32_e32 v23, 0
	s_addc_u32 s10, s5, s11
	v_lshlrev_b64 v[26:27], 3, v[22:23]
	v_mov_b32_e32 v19, s10
	v_add_co_u32_e32 v26, vcc, s9, v26
	v_addc_co_u32_e32 v27, vcc, v19, v27, vcc
	global_store_dwordx2 v[26:27], v[16:17], off
.LBB1345_255:
	s_or_b64 exec, exec, s[0:1]
	v_cmp_gt_u32_e32 vcc, s8, v20
	s_or_b64 s[10:11], s[34:35], vcc
	s_and_saveexec_b64 s[0:1], s[10:11]
	s_cbranch_execz .LBB1345_258
; %bb.256:
	v_mov_b32_e32 v19, 1
	v_and_b32_sdwa v19, v19, v28 dst_sel:DWORD dst_unused:UNUSED_PAD src0_sel:DWORD src1_sel:WORD_1
	v_cmp_eq_u32_e32 vcc, 1, v19
	s_and_b64 exec, exec, vcc
	s_cbranch_execz .LBB1345_258
; %bb.257:
	s_lshl_b64 s[10:11], s[22:23], 3
	s_waitcnt lgkmcnt(0)
	s_add_u32 s9, s4, s10
	v_mov_b32_e32 v21, 0
	s_addc_u32 s10, s5, s11
	v_lshlrev_b64 v[26:27], 3, v[20:21]
	v_mov_b32_e32 v19, s10
	v_add_co_u32_e32 v26, vcc, s9, v26
	v_addc_co_u32_e32 v27, vcc, v19, v27, vcc
	global_store_dwordx2 v[26:27], v[10:11], off
.LBB1345_258:
	s_or_b64 exec, exec, s[0:1]
	v_cmp_gt_u32_e32 vcc, s8, v18
	s_or_b64 s[8:9], s[34:35], vcc
	s_and_saveexec_b64 s[0:1], s[8:9]
	s_cbranch_execz .LBB1345_261
; %bb.259:
	v_and_b32_e32 v19, 1, v29
	v_cmp_eq_u32_e32 vcc, 1, v19
	s_and_b64 exec, exec, vcc
	s_cbranch_execz .LBB1345_261
; %bb.260:
	s_lshl_b64 s[8:9], s[22:23], 3
	s_waitcnt lgkmcnt(0)
	s_add_u32 s8, s4, s8
	v_mov_b32_e32 v19, 0
	s_addc_u32 s9, s5, s9
	v_lshlrev_b64 v[26:27], 3, v[18:19]
	v_mov_b32_e32 v19, s9
	v_add_co_u32_e32 v26, vcc, s8, v26
	v_addc_co_u32_e32 v27, vcc, v19, v27, vcc
	global_store_dwordx2 v[26:27], v[12:13], off
.LBB1345_261:
	s_or_b64 exec, exec, s[0:1]
	s_mov_b64 s[0:1], 0
.LBB1345_262:
	v_and_b32_e32 v26, 1, v28
	s_and_b64 vcc, exec, s[0:1]
	v_cmp_eq_u32_e64 s[0:1], 1, v26
	s_cbranch_vccz .LBB1345_275
; %bb.263:
	s_and_saveexec_b64 s[8:9], s[0:1]
	s_cbranch_execz .LBB1345_265
; %bb.264:
	v_subrev_u32_e32 v19, s16, v24
	v_lshlrev_b32_e32 v19, 3, v19
	ds_write_b64 v19, v[14:15]
.LBB1345_265:
	s_or_b64 exec, exec, s[8:9]
	v_and_b32_e32 v14, 1, v1
	v_cmp_eq_u32_e32 vcc, 1, v14
	s_and_saveexec_b64 s[0:1], vcc
	s_cbranch_execz .LBB1345_267
; %bb.266:
	v_subrev_u32_e32 v14, s16, v22
	v_lshlrev_b32_e32 v14, 3, v14
	ds_write_b64 v14, v[16:17]
.LBB1345_267:
	s_or_b64 exec, exec, s[0:1]
	v_mov_b32_e32 v14, 1
	v_and_b32_sdwa v14, v14, v28 dst_sel:DWORD dst_unused:UNUSED_PAD src0_sel:DWORD src1_sel:WORD_1
	v_cmp_eq_u32_e32 vcc, 1, v14
	s_and_saveexec_b64 s[0:1], vcc
	s_cbranch_execz .LBB1345_269
; %bb.268:
	v_subrev_u32_e32 v14, s16, v20
	v_lshlrev_b32_e32 v14, 3, v14
	ds_write_b64 v14, v[10:11]
.LBB1345_269:
	s_or_b64 exec, exec, s[0:1]
	v_and_b32_e32 v10, 1, v29
	v_cmp_eq_u32_e32 vcc, 1, v10
	s_and_saveexec_b64 s[0:1], vcc
	s_cbranch_execz .LBB1345_271
; %bb.270:
	v_subrev_u32_e32 v10, s16, v18
	v_lshlrev_b32_e32 v10, 3, v10
	ds_write_b64 v10, v[12:13]
.LBB1345_271:
	s_or_b64 exec, exec, s[0:1]
	v_cmp_gt_u32_e32 vcc, s26, v0
	s_waitcnt lgkmcnt(0)
	s_barrier
	s_and_saveexec_b64 s[0:1], vcc
	s_cbranch_execz .LBB1345_274
; %bb.272:
	s_mov_b32 s17, 0
	s_lshl_b64 s[8:9], s[16:17], 3
	s_add_u32 s8, s4, s8
	s_addc_u32 s9, s5, s9
	s_lshl_b64 s[4:5], s[22:23], 3
	s_add_u32 s8, s8, s4
	s_addc_u32 s9, s9, s5
	v_lshlrev_b32_e32 v12, 3, v0
	s_mov_b64 s[4:5], 0
	v_mov_b32_e32 v11, 0
	v_mov_b32_e32 v13, s9
	;; [unrolled: 1-line block ×3, first 2 shown]
.LBB1345_273:                           ; =>This Inner Loop Header: Depth=1
	ds_read_b64 v[14:15], v12
	v_lshlrev_b64 v[16:17], 3, v[10:11]
	v_add_co_u32_e32 v16, vcc, s8, v16
	v_add_u32_e32 v10, 0x80, v10
	v_addc_co_u32_e32 v17, vcc, v13, v17, vcc
	v_cmp_le_u32_e32 vcc, s26, v10
	v_add_u32_e32 v12, 0x400, v12
	s_or_b64 s[4:5], vcc, s[4:5]
	s_waitcnt lgkmcnt(0)
	global_store_dwordx2 v[16:17], v[14:15], off
	s_andn2_b64 exec, exec, s[4:5]
	s_cbranch_execnz .LBB1345_273
.LBB1345_274:
	s_or_b64 exec, exec, s[0:1]
.LBB1345_275:
	s_mov_b64 s[0:1], -1
	s_and_b64 vcc, exec, s[2:3]
	s_waitcnt lgkmcnt(0)
	s_barrier
	s_cbranch_vccnz .LBB1345_279
; %bb.276:
	s_and_b64 vcc, exec, s[0:1]
	s_cbranch_vccnz .LBB1345_292
.LBB1345_277:
	v_cmp_eq_u32_e32 vcc, 0, v0
	s_and_b64 s[0:1], vcc, s[24:25]
	s_and_saveexec_b64 s[2:3], s[0:1]
	s_cbranch_execnz .LBB1345_304
.LBB1345_278:
	s_endpgm
.LBB1345_279:
	s_add_i32 s2, s16, s26
	v_cmp_gt_u32_e32 vcc, s2, v24
	s_or_b64 s[4:5], s[34:35], vcc
	s_and_saveexec_b64 s[0:1], s[4:5]
	s_cbranch_execz .LBB1345_282
; %bb.280:
	v_cmp_eq_u32_e32 vcc, 1, v26
	s_and_b64 exec, exec, vcc
	s_cbranch_execz .LBB1345_282
; %bb.281:
	s_lshl_b64 s[4:5], s[22:23], 3
	s_add_u32 s3, s6, s4
	v_mov_b32_e32 v25, 0
	s_addc_u32 s4, s7, s5
	v_lshlrev_b64 v[10:11], 3, v[24:25]
	v_mov_b32_e32 v12, s4
	v_add_co_u32_e32 v10, vcc, s3, v10
	v_addc_co_u32_e32 v11, vcc, v12, v11, vcc
	global_store_dwordx2 v[10:11], v[6:7], off
.LBB1345_282:
	s_or_b64 exec, exec, s[0:1]
	v_cmp_gt_u32_e32 vcc, s2, v22
	s_or_b64 s[4:5], s[34:35], vcc
	s_and_saveexec_b64 s[0:1], s[4:5]
	s_cbranch_execz .LBB1345_285
; %bb.283:
	v_and_b32_e32 v10, 1, v1
	v_cmp_eq_u32_e32 vcc, 1, v10
	s_and_b64 exec, exec, vcc
	s_cbranch_execz .LBB1345_285
; %bb.284:
	s_lshl_b64 s[4:5], s[22:23], 3
	s_add_u32 s3, s6, s4
	v_mov_b32_e32 v23, 0
	s_addc_u32 s4, s7, s5
	v_lshlrev_b64 v[10:11], 3, v[22:23]
	v_mov_b32_e32 v12, s4
	v_add_co_u32_e32 v10, vcc, s3, v10
	v_addc_co_u32_e32 v11, vcc, v12, v11, vcc
	global_store_dwordx2 v[10:11], v[8:9], off
.LBB1345_285:
	s_or_b64 exec, exec, s[0:1]
	v_cmp_gt_u32_e32 vcc, s2, v20
	s_or_b64 s[4:5], s[34:35], vcc
	s_and_saveexec_b64 s[0:1], s[4:5]
	s_cbranch_execz .LBB1345_288
; %bb.286:
	v_mov_b32_e32 v10, 1
	v_and_b32_sdwa v10, v10, v28 dst_sel:DWORD dst_unused:UNUSED_PAD src0_sel:DWORD src1_sel:WORD_1
	v_cmp_eq_u32_e32 vcc, 1, v10
	s_and_b64 exec, exec, vcc
	s_cbranch_execz .LBB1345_288
; %bb.287:
	s_lshl_b64 s[4:5], s[22:23], 3
	s_add_u32 s3, s6, s4
	v_mov_b32_e32 v21, 0
	s_addc_u32 s4, s7, s5
	v_lshlrev_b64 v[10:11], 3, v[20:21]
	v_mov_b32_e32 v12, s4
	v_add_co_u32_e32 v10, vcc, s3, v10
	v_addc_co_u32_e32 v11, vcc, v12, v11, vcc
	global_store_dwordx2 v[10:11], v[2:3], off
.LBB1345_288:
	s_or_b64 exec, exec, s[0:1]
	v_cmp_gt_u32_e32 vcc, s2, v18
	s_or_b64 s[2:3], s[34:35], vcc
	s_and_saveexec_b64 s[0:1], s[2:3]
	s_cbranch_execz .LBB1345_291
; %bb.289:
	v_and_b32_e32 v10, 1, v29
	v_cmp_eq_u32_e32 vcc, 1, v10
	s_and_b64 exec, exec, vcc
	s_cbranch_execz .LBB1345_291
; %bb.290:
	s_lshl_b64 s[2:3], s[22:23], 3
	s_add_u32 s2, s6, s2
	v_mov_b32_e32 v19, 0
	s_addc_u32 s3, s7, s3
	v_lshlrev_b64 v[10:11], 3, v[18:19]
	v_mov_b32_e32 v12, s3
	v_add_co_u32_e32 v10, vcc, s2, v10
	v_addc_co_u32_e32 v11, vcc, v12, v11, vcc
	global_store_dwordx2 v[10:11], v[4:5], off
.LBB1345_291:
	s_or_b64 exec, exec, s[0:1]
	s_branch .LBB1345_277
.LBB1345_292:
	v_cmp_eq_u32_e32 vcc, 1, v26
	s_and_saveexec_b64 s[0:1], vcc
	s_cbranch_execz .LBB1345_294
; %bb.293:
	v_subrev_u32_e32 v10, s16, v24
	v_lshlrev_b32_e32 v10, 3, v10
	ds_write_b64 v10, v[6:7]
.LBB1345_294:
	s_or_b64 exec, exec, s[0:1]
	v_and_b32_e32 v1, 1, v1
	v_cmp_eq_u32_e32 vcc, 1, v1
	s_and_saveexec_b64 s[0:1], vcc
	s_cbranch_execz .LBB1345_296
; %bb.295:
	v_subrev_u32_e32 v1, s16, v22
	v_lshlrev_b32_e32 v1, 3, v1
	ds_write_b64 v1, v[8:9]
.LBB1345_296:
	s_or_b64 exec, exec, s[0:1]
	v_mov_b32_e32 v1, 1
	v_and_b32_sdwa v1, v1, v28 dst_sel:DWORD dst_unused:UNUSED_PAD src0_sel:DWORD src1_sel:WORD_1
	v_cmp_eq_u32_e32 vcc, 1, v1
	s_and_saveexec_b64 s[0:1], vcc
	s_cbranch_execz .LBB1345_298
; %bb.297:
	v_subrev_u32_e32 v1, s16, v20
	v_lshlrev_b32_e32 v1, 3, v1
	ds_write_b64 v1, v[2:3]
.LBB1345_298:
	s_or_b64 exec, exec, s[0:1]
	v_and_b32_e32 v1, 1, v29
	v_cmp_eq_u32_e32 vcc, 1, v1
	s_and_saveexec_b64 s[0:1], vcc
	s_cbranch_execz .LBB1345_300
; %bb.299:
	v_subrev_u32_e32 v1, s16, v18
	v_lshlrev_b32_e32 v1, 3, v1
	ds_write_b64 v1, v[4:5]
.LBB1345_300:
	s_or_b64 exec, exec, s[0:1]
	v_cmp_gt_u32_e32 vcc, s26, v0
	s_waitcnt lgkmcnt(0)
	s_barrier
	s_and_saveexec_b64 s[0:1], vcc
	s_cbranch_execz .LBB1345_303
; %bb.301:
	s_mov_b32 s17, 0
	s_lshl_b64 s[2:3], s[16:17], 3
	s_add_u32 s4, s6, s2
	s_addc_u32 s5, s7, s3
	s_lshl_b64 s[2:3], s[22:23], 3
	s_add_u32 s4, s4, s2
	s_addc_u32 s5, s5, s3
	v_lshlrev_b32_e32 v1, 3, v0
	s_mov_b64 s[2:3], 0
	v_mov_b32_e32 v3, 0
	v_mov_b32_e32 v4, s5
	;; [unrolled: 1-line block ×3, first 2 shown]
.LBB1345_302:                           ; =>This Inner Loop Header: Depth=1
	ds_read_b64 v[6:7], v1
	v_lshlrev_b64 v[8:9], 3, v[2:3]
	v_add_co_u32_e32 v8, vcc, s4, v8
	v_add_u32_e32 v2, 0x80, v2
	v_addc_co_u32_e32 v9, vcc, v4, v9, vcc
	v_cmp_le_u32_e32 vcc, s26, v2
	v_add_u32_e32 v1, 0x400, v1
	s_or_b64 s[2:3], vcc, s[2:3]
	s_waitcnt lgkmcnt(0)
	global_store_dwordx2 v[8:9], v[6:7], off
	s_andn2_b64 exec, exec, s[2:3]
	s_cbranch_execnz .LBB1345_302
.LBB1345_303:
	s_or_b64 exec, exec, s[0:1]
	v_cmp_eq_u32_e32 vcc, 0, v0
	s_and_b64 s[0:1], vcc, s[24:25]
	s_and_saveexec_b64 s[2:3], s[0:1]
	s_cbranch_execz .LBB1345_278
.LBB1345_304:
	s_add_u32 s0, s22, s26
	s_addc_u32 s1, s23, 0
	s_add_u32 s0, s0, s16
	s_addc_u32 s1, s1, 0
	v_mov_b32_e32 v2, 0
	v_pk_mov_b32 v[0:1], s[0:1], s[0:1] op_sel:[0,1]
	global_store_dwordx2 v2, v[0:1], s[20:21]
	s_endpgm
	.section	.rodata,"a",@progbits
	.p2align	6, 0x0
	.amdhsa_kernel _ZN7rocprim17ROCPRIM_400000_NS6detail17trampoline_kernelINS0_14default_configENS1_25partition_config_selectorILNS1_17partition_subalgoE9EllbEEZZNS1_14partition_implILS5_9ELb0ES3_jPlS8_PNS0_10empty_typeENS0_5tupleIJS8_S9_EEENSB_IJS8_SA_EEENS0_18inequality_wrapperIZN2at6native12_GLOBAL__N_124unique_dim_cuda_templateIN3c104HalfEEESt5tupleIJNSF_6TensorESM_SM_EERKSM_lbbbEUlllE0_EEPmJS9_EEE10hipError_tPvRmT3_T4_T5_T6_T7_T9_mT8_P12ihipStream_tbDpT10_ENKUlT_T0_E_clISt17integral_constantIbLb1EES1B_IbLb0EEEEDaS17_S18_EUlS17_E_NS1_11comp_targetILNS1_3genE4ELNS1_11target_archE910ELNS1_3gpuE8ELNS1_3repE0EEENS1_30default_config_static_selectorELNS0_4arch9wavefront6targetE1EEEvT1_
		.amdhsa_group_segment_fixed_size 4236
		.amdhsa_private_segment_fixed_size 0
		.amdhsa_kernarg_size 120
		.amdhsa_user_sgpr_count 6
		.amdhsa_user_sgpr_private_segment_buffer 1
		.amdhsa_user_sgpr_dispatch_ptr 0
		.amdhsa_user_sgpr_queue_ptr 0
		.amdhsa_user_sgpr_kernarg_segment_ptr 1
		.amdhsa_user_sgpr_dispatch_id 0
		.amdhsa_user_sgpr_flat_scratch_init 0
		.amdhsa_user_sgpr_kernarg_preload_length 0
		.amdhsa_user_sgpr_kernarg_preload_offset 0
		.amdhsa_user_sgpr_private_segment_size 0
		.amdhsa_uses_dynamic_stack 0
		.amdhsa_system_sgpr_private_segment_wavefront_offset 0
		.amdhsa_system_sgpr_workgroup_id_x 1
		.amdhsa_system_sgpr_workgroup_id_y 0
		.amdhsa_system_sgpr_workgroup_id_z 0
		.amdhsa_system_sgpr_workgroup_info 0
		.amdhsa_system_vgpr_workitem_id 0
		.amdhsa_next_free_vgpr 50
		.amdhsa_next_free_sgpr 46
		.amdhsa_accum_offset 52
		.amdhsa_reserve_vcc 1
		.amdhsa_reserve_flat_scratch 0
		.amdhsa_float_round_mode_32 0
		.amdhsa_float_round_mode_16_64 0
		.amdhsa_float_denorm_mode_32 3
		.amdhsa_float_denorm_mode_16_64 3
		.amdhsa_dx10_clamp 1
		.amdhsa_ieee_mode 1
		.amdhsa_fp16_overflow 0
		.amdhsa_tg_split 0
		.amdhsa_exception_fp_ieee_invalid_op 0
		.amdhsa_exception_fp_denorm_src 0
		.amdhsa_exception_fp_ieee_div_zero 0
		.amdhsa_exception_fp_ieee_overflow 0
		.amdhsa_exception_fp_ieee_underflow 0
		.amdhsa_exception_fp_ieee_inexact 0
		.amdhsa_exception_int_div_zero 0
	.end_amdhsa_kernel
	.section	.text._ZN7rocprim17ROCPRIM_400000_NS6detail17trampoline_kernelINS0_14default_configENS1_25partition_config_selectorILNS1_17partition_subalgoE9EllbEEZZNS1_14partition_implILS5_9ELb0ES3_jPlS8_PNS0_10empty_typeENS0_5tupleIJS8_S9_EEENSB_IJS8_SA_EEENS0_18inequality_wrapperIZN2at6native12_GLOBAL__N_124unique_dim_cuda_templateIN3c104HalfEEESt5tupleIJNSF_6TensorESM_SM_EERKSM_lbbbEUlllE0_EEPmJS9_EEE10hipError_tPvRmT3_T4_T5_T6_T7_T9_mT8_P12ihipStream_tbDpT10_ENKUlT_T0_E_clISt17integral_constantIbLb1EES1B_IbLb0EEEEDaS17_S18_EUlS17_E_NS1_11comp_targetILNS1_3genE4ELNS1_11target_archE910ELNS1_3gpuE8ELNS1_3repE0EEENS1_30default_config_static_selectorELNS0_4arch9wavefront6targetE1EEEvT1_,"axG",@progbits,_ZN7rocprim17ROCPRIM_400000_NS6detail17trampoline_kernelINS0_14default_configENS1_25partition_config_selectorILNS1_17partition_subalgoE9EllbEEZZNS1_14partition_implILS5_9ELb0ES3_jPlS8_PNS0_10empty_typeENS0_5tupleIJS8_S9_EEENSB_IJS8_SA_EEENS0_18inequality_wrapperIZN2at6native12_GLOBAL__N_124unique_dim_cuda_templateIN3c104HalfEEESt5tupleIJNSF_6TensorESM_SM_EERKSM_lbbbEUlllE0_EEPmJS9_EEE10hipError_tPvRmT3_T4_T5_T6_T7_T9_mT8_P12ihipStream_tbDpT10_ENKUlT_T0_E_clISt17integral_constantIbLb1EES1B_IbLb0EEEEDaS17_S18_EUlS17_E_NS1_11comp_targetILNS1_3genE4ELNS1_11target_archE910ELNS1_3gpuE8ELNS1_3repE0EEENS1_30default_config_static_selectorELNS0_4arch9wavefront6targetE1EEEvT1_,comdat
.Lfunc_end1345:
	.size	_ZN7rocprim17ROCPRIM_400000_NS6detail17trampoline_kernelINS0_14default_configENS1_25partition_config_selectorILNS1_17partition_subalgoE9EllbEEZZNS1_14partition_implILS5_9ELb0ES3_jPlS8_PNS0_10empty_typeENS0_5tupleIJS8_S9_EEENSB_IJS8_SA_EEENS0_18inequality_wrapperIZN2at6native12_GLOBAL__N_124unique_dim_cuda_templateIN3c104HalfEEESt5tupleIJNSF_6TensorESM_SM_EERKSM_lbbbEUlllE0_EEPmJS9_EEE10hipError_tPvRmT3_T4_T5_T6_T7_T9_mT8_P12ihipStream_tbDpT10_ENKUlT_T0_E_clISt17integral_constantIbLb1EES1B_IbLb0EEEEDaS17_S18_EUlS17_E_NS1_11comp_targetILNS1_3genE4ELNS1_11target_archE910ELNS1_3gpuE8ELNS1_3repE0EEENS1_30default_config_static_selectorELNS0_4arch9wavefront6targetE1EEEvT1_, .Lfunc_end1345-_ZN7rocprim17ROCPRIM_400000_NS6detail17trampoline_kernelINS0_14default_configENS1_25partition_config_selectorILNS1_17partition_subalgoE9EllbEEZZNS1_14partition_implILS5_9ELb0ES3_jPlS8_PNS0_10empty_typeENS0_5tupleIJS8_S9_EEENSB_IJS8_SA_EEENS0_18inequality_wrapperIZN2at6native12_GLOBAL__N_124unique_dim_cuda_templateIN3c104HalfEEESt5tupleIJNSF_6TensorESM_SM_EERKSM_lbbbEUlllE0_EEPmJS9_EEE10hipError_tPvRmT3_T4_T5_T6_T7_T9_mT8_P12ihipStream_tbDpT10_ENKUlT_T0_E_clISt17integral_constantIbLb1EES1B_IbLb0EEEEDaS17_S18_EUlS17_E_NS1_11comp_targetILNS1_3genE4ELNS1_11target_archE910ELNS1_3gpuE8ELNS1_3repE0EEENS1_30default_config_static_selectorELNS0_4arch9wavefront6targetE1EEEvT1_
                                        ; -- End function
	.section	.AMDGPU.csdata,"",@progbits
; Kernel info:
; codeLenInByte = 10876
; NumSgprs: 50
; NumVgprs: 50
; NumAgprs: 0
; TotalNumVgprs: 50
; ScratchSize: 0
; MemoryBound: 0
; FloatMode: 240
; IeeeMode: 1
; LDSByteSize: 4236 bytes/workgroup (compile time only)
; SGPRBlocks: 6
; VGPRBlocks: 6
; NumSGPRsForWavesPerEU: 50
; NumVGPRsForWavesPerEU: 50
; AccumOffset: 52
; Occupancy: 8
; WaveLimiterHint : 1
; COMPUTE_PGM_RSRC2:SCRATCH_EN: 0
; COMPUTE_PGM_RSRC2:USER_SGPR: 6
; COMPUTE_PGM_RSRC2:TRAP_HANDLER: 0
; COMPUTE_PGM_RSRC2:TGID_X_EN: 1
; COMPUTE_PGM_RSRC2:TGID_Y_EN: 0
; COMPUTE_PGM_RSRC2:TGID_Z_EN: 0
; COMPUTE_PGM_RSRC2:TIDIG_COMP_CNT: 0
; COMPUTE_PGM_RSRC3_GFX90A:ACCUM_OFFSET: 12
; COMPUTE_PGM_RSRC3_GFX90A:TG_SPLIT: 0
	.section	.text._ZN7rocprim17ROCPRIM_400000_NS6detail17trampoline_kernelINS0_14default_configENS1_25partition_config_selectorILNS1_17partition_subalgoE9EllbEEZZNS1_14partition_implILS5_9ELb0ES3_jPlS8_PNS0_10empty_typeENS0_5tupleIJS8_S9_EEENSB_IJS8_SA_EEENS0_18inequality_wrapperIZN2at6native12_GLOBAL__N_124unique_dim_cuda_templateIN3c104HalfEEESt5tupleIJNSF_6TensorESM_SM_EERKSM_lbbbEUlllE0_EEPmJS9_EEE10hipError_tPvRmT3_T4_T5_T6_T7_T9_mT8_P12ihipStream_tbDpT10_ENKUlT_T0_E_clISt17integral_constantIbLb1EES1B_IbLb0EEEEDaS17_S18_EUlS17_E_NS1_11comp_targetILNS1_3genE3ELNS1_11target_archE908ELNS1_3gpuE7ELNS1_3repE0EEENS1_30default_config_static_selectorELNS0_4arch9wavefront6targetE1EEEvT1_,"axG",@progbits,_ZN7rocprim17ROCPRIM_400000_NS6detail17trampoline_kernelINS0_14default_configENS1_25partition_config_selectorILNS1_17partition_subalgoE9EllbEEZZNS1_14partition_implILS5_9ELb0ES3_jPlS8_PNS0_10empty_typeENS0_5tupleIJS8_S9_EEENSB_IJS8_SA_EEENS0_18inequality_wrapperIZN2at6native12_GLOBAL__N_124unique_dim_cuda_templateIN3c104HalfEEESt5tupleIJNSF_6TensorESM_SM_EERKSM_lbbbEUlllE0_EEPmJS9_EEE10hipError_tPvRmT3_T4_T5_T6_T7_T9_mT8_P12ihipStream_tbDpT10_ENKUlT_T0_E_clISt17integral_constantIbLb1EES1B_IbLb0EEEEDaS17_S18_EUlS17_E_NS1_11comp_targetILNS1_3genE3ELNS1_11target_archE908ELNS1_3gpuE7ELNS1_3repE0EEENS1_30default_config_static_selectorELNS0_4arch9wavefront6targetE1EEEvT1_,comdat
	.globl	_ZN7rocprim17ROCPRIM_400000_NS6detail17trampoline_kernelINS0_14default_configENS1_25partition_config_selectorILNS1_17partition_subalgoE9EllbEEZZNS1_14partition_implILS5_9ELb0ES3_jPlS8_PNS0_10empty_typeENS0_5tupleIJS8_S9_EEENSB_IJS8_SA_EEENS0_18inequality_wrapperIZN2at6native12_GLOBAL__N_124unique_dim_cuda_templateIN3c104HalfEEESt5tupleIJNSF_6TensorESM_SM_EERKSM_lbbbEUlllE0_EEPmJS9_EEE10hipError_tPvRmT3_T4_T5_T6_T7_T9_mT8_P12ihipStream_tbDpT10_ENKUlT_T0_E_clISt17integral_constantIbLb1EES1B_IbLb0EEEEDaS17_S18_EUlS17_E_NS1_11comp_targetILNS1_3genE3ELNS1_11target_archE908ELNS1_3gpuE7ELNS1_3repE0EEENS1_30default_config_static_selectorELNS0_4arch9wavefront6targetE1EEEvT1_ ; -- Begin function _ZN7rocprim17ROCPRIM_400000_NS6detail17trampoline_kernelINS0_14default_configENS1_25partition_config_selectorILNS1_17partition_subalgoE9EllbEEZZNS1_14partition_implILS5_9ELb0ES3_jPlS8_PNS0_10empty_typeENS0_5tupleIJS8_S9_EEENSB_IJS8_SA_EEENS0_18inequality_wrapperIZN2at6native12_GLOBAL__N_124unique_dim_cuda_templateIN3c104HalfEEESt5tupleIJNSF_6TensorESM_SM_EERKSM_lbbbEUlllE0_EEPmJS9_EEE10hipError_tPvRmT3_T4_T5_T6_T7_T9_mT8_P12ihipStream_tbDpT10_ENKUlT_T0_E_clISt17integral_constantIbLb1EES1B_IbLb0EEEEDaS17_S18_EUlS17_E_NS1_11comp_targetILNS1_3genE3ELNS1_11target_archE908ELNS1_3gpuE7ELNS1_3repE0EEENS1_30default_config_static_selectorELNS0_4arch9wavefront6targetE1EEEvT1_
	.p2align	8
	.type	_ZN7rocprim17ROCPRIM_400000_NS6detail17trampoline_kernelINS0_14default_configENS1_25partition_config_selectorILNS1_17partition_subalgoE9EllbEEZZNS1_14partition_implILS5_9ELb0ES3_jPlS8_PNS0_10empty_typeENS0_5tupleIJS8_S9_EEENSB_IJS8_SA_EEENS0_18inequality_wrapperIZN2at6native12_GLOBAL__N_124unique_dim_cuda_templateIN3c104HalfEEESt5tupleIJNSF_6TensorESM_SM_EERKSM_lbbbEUlllE0_EEPmJS9_EEE10hipError_tPvRmT3_T4_T5_T6_T7_T9_mT8_P12ihipStream_tbDpT10_ENKUlT_T0_E_clISt17integral_constantIbLb1EES1B_IbLb0EEEEDaS17_S18_EUlS17_E_NS1_11comp_targetILNS1_3genE3ELNS1_11target_archE908ELNS1_3gpuE7ELNS1_3repE0EEENS1_30default_config_static_selectorELNS0_4arch9wavefront6targetE1EEEvT1_,@function
_ZN7rocprim17ROCPRIM_400000_NS6detail17trampoline_kernelINS0_14default_configENS1_25partition_config_selectorILNS1_17partition_subalgoE9EllbEEZZNS1_14partition_implILS5_9ELb0ES3_jPlS8_PNS0_10empty_typeENS0_5tupleIJS8_S9_EEENSB_IJS8_SA_EEENS0_18inequality_wrapperIZN2at6native12_GLOBAL__N_124unique_dim_cuda_templateIN3c104HalfEEESt5tupleIJNSF_6TensorESM_SM_EERKSM_lbbbEUlllE0_EEPmJS9_EEE10hipError_tPvRmT3_T4_T5_T6_T7_T9_mT8_P12ihipStream_tbDpT10_ENKUlT_T0_E_clISt17integral_constantIbLb1EES1B_IbLb0EEEEDaS17_S18_EUlS17_E_NS1_11comp_targetILNS1_3genE3ELNS1_11target_archE908ELNS1_3gpuE7ELNS1_3repE0EEENS1_30default_config_static_selectorELNS0_4arch9wavefront6targetE1EEEvT1_: ; @_ZN7rocprim17ROCPRIM_400000_NS6detail17trampoline_kernelINS0_14default_configENS1_25partition_config_selectorILNS1_17partition_subalgoE9EllbEEZZNS1_14partition_implILS5_9ELb0ES3_jPlS8_PNS0_10empty_typeENS0_5tupleIJS8_S9_EEENSB_IJS8_SA_EEENS0_18inequality_wrapperIZN2at6native12_GLOBAL__N_124unique_dim_cuda_templateIN3c104HalfEEESt5tupleIJNSF_6TensorESM_SM_EERKSM_lbbbEUlllE0_EEPmJS9_EEE10hipError_tPvRmT3_T4_T5_T6_T7_T9_mT8_P12ihipStream_tbDpT10_ENKUlT_T0_E_clISt17integral_constantIbLb1EES1B_IbLb0EEEEDaS17_S18_EUlS17_E_NS1_11comp_targetILNS1_3genE3ELNS1_11target_archE908ELNS1_3gpuE7ELNS1_3repE0EEENS1_30default_config_static_selectorELNS0_4arch9wavefront6targetE1EEEvT1_
; %bb.0:
	.section	.rodata,"a",@progbits
	.p2align	6, 0x0
	.amdhsa_kernel _ZN7rocprim17ROCPRIM_400000_NS6detail17trampoline_kernelINS0_14default_configENS1_25partition_config_selectorILNS1_17partition_subalgoE9EllbEEZZNS1_14partition_implILS5_9ELb0ES3_jPlS8_PNS0_10empty_typeENS0_5tupleIJS8_S9_EEENSB_IJS8_SA_EEENS0_18inequality_wrapperIZN2at6native12_GLOBAL__N_124unique_dim_cuda_templateIN3c104HalfEEESt5tupleIJNSF_6TensorESM_SM_EERKSM_lbbbEUlllE0_EEPmJS9_EEE10hipError_tPvRmT3_T4_T5_T6_T7_T9_mT8_P12ihipStream_tbDpT10_ENKUlT_T0_E_clISt17integral_constantIbLb1EES1B_IbLb0EEEEDaS17_S18_EUlS17_E_NS1_11comp_targetILNS1_3genE3ELNS1_11target_archE908ELNS1_3gpuE7ELNS1_3repE0EEENS1_30default_config_static_selectorELNS0_4arch9wavefront6targetE1EEEvT1_
		.amdhsa_group_segment_fixed_size 0
		.amdhsa_private_segment_fixed_size 0
		.amdhsa_kernarg_size 120
		.amdhsa_user_sgpr_count 6
		.amdhsa_user_sgpr_private_segment_buffer 1
		.amdhsa_user_sgpr_dispatch_ptr 0
		.amdhsa_user_sgpr_queue_ptr 0
		.amdhsa_user_sgpr_kernarg_segment_ptr 1
		.amdhsa_user_sgpr_dispatch_id 0
		.amdhsa_user_sgpr_flat_scratch_init 0
		.amdhsa_user_sgpr_kernarg_preload_length 0
		.amdhsa_user_sgpr_kernarg_preload_offset 0
		.amdhsa_user_sgpr_private_segment_size 0
		.amdhsa_uses_dynamic_stack 0
		.amdhsa_system_sgpr_private_segment_wavefront_offset 0
		.amdhsa_system_sgpr_workgroup_id_x 1
		.amdhsa_system_sgpr_workgroup_id_y 0
		.amdhsa_system_sgpr_workgroup_id_z 0
		.amdhsa_system_sgpr_workgroup_info 0
		.amdhsa_system_vgpr_workitem_id 0
		.amdhsa_next_free_vgpr 1
		.amdhsa_next_free_sgpr 0
		.amdhsa_accum_offset 4
		.amdhsa_reserve_vcc 0
		.amdhsa_reserve_flat_scratch 0
		.amdhsa_float_round_mode_32 0
		.amdhsa_float_round_mode_16_64 0
		.amdhsa_float_denorm_mode_32 3
		.amdhsa_float_denorm_mode_16_64 3
		.amdhsa_dx10_clamp 1
		.amdhsa_ieee_mode 1
		.amdhsa_fp16_overflow 0
		.amdhsa_tg_split 0
		.amdhsa_exception_fp_ieee_invalid_op 0
		.amdhsa_exception_fp_denorm_src 0
		.amdhsa_exception_fp_ieee_div_zero 0
		.amdhsa_exception_fp_ieee_overflow 0
		.amdhsa_exception_fp_ieee_underflow 0
		.amdhsa_exception_fp_ieee_inexact 0
		.amdhsa_exception_int_div_zero 0
	.end_amdhsa_kernel
	.section	.text._ZN7rocprim17ROCPRIM_400000_NS6detail17trampoline_kernelINS0_14default_configENS1_25partition_config_selectorILNS1_17partition_subalgoE9EllbEEZZNS1_14partition_implILS5_9ELb0ES3_jPlS8_PNS0_10empty_typeENS0_5tupleIJS8_S9_EEENSB_IJS8_SA_EEENS0_18inequality_wrapperIZN2at6native12_GLOBAL__N_124unique_dim_cuda_templateIN3c104HalfEEESt5tupleIJNSF_6TensorESM_SM_EERKSM_lbbbEUlllE0_EEPmJS9_EEE10hipError_tPvRmT3_T4_T5_T6_T7_T9_mT8_P12ihipStream_tbDpT10_ENKUlT_T0_E_clISt17integral_constantIbLb1EES1B_IbLb0EEEEDaS17_S18_EUlS17_E_NS1_11comp_targetILNS1_3genE3ELNS1_11target_archE908ELNS1_3gpuE7ELNS1_3repE0EEENS1_30default_config_static_selectorELNS0_4arch9wavefront6targetE1EEEvT1_,"axG",@progbits,_ZN7rocprim17ROCPRIM_400000_NS6detail17trampoline_kernelINS0_14default_configENS1_25partition_config_selectorILNS1_17partition_subalgoE9EllbEEZZNS1_14partition_implILS5_9ELb0ES3_jPlS8_PNS0_10empty_typeENS0_5tupleIJS8_S9_EEENSB_IJS8_SA_EEENS0_18inequality_wrapperIZN2at6native12_GLOBAL__N_124unique_dim_cuda_templateIN3c104HalfEEESt5tupleIJNSF_6TensorESM_SM_EERKSM_lbbbEUlllE0_EEPmJS9_EEE10hipError_tPvRmT3_T4_T5_T6_T7_T9_mT8_P12ihipStream_tbDpT10_ENKUlT_T0_E_clISt17integral_constantIbLb1EES1B_IbLb0EEEEDaS17_S18_EUlS17_E_NS1_11comp_targetILNS1_3genE3ELNS1_11target_archE908ELNS1_3gpuE7ELNS1_3repE0EEENS1_30default_config_static_selectorELNS0_4arch9wavefront6targetE1EEEvT1_,comdat
.Lfunc_end1346:
	.size	_ZN7rocprim17ROCPRIM_400000_NS6detail17trampoline_kernelINS0_14default_configENS1_25partition_config_selectorILNS1_17partition_subalgoE9EllbEEZZNS1_14partition_implILS5_9ELb0ES3_jPlS8_PNS0_10empty_typeENS0_5tupleIJS8_S9_EEENSB_IJS8_SA_EEENS0_18inequality_wrapperIZN2at6native12_GLOBAL__N_124unique_dim_cuda_templateIN3c104HalfEEESt5tupleIJNSF_6TensorESM_SM_EERKSM_lbbbEUlllE0_EEPmJS9_EEE10hipError_tPvRmT3_T4_T5_T6_T7_T9_mT8_P12ihipStream_tbDpT10_ENKUlT_T0_E_clISt17integral_constantIbLb1EES1B_IbLb0EEEEDaS17_S18_EUlS17_E_NS1_11comp_targetILNS1_3genE3ELNS1_11target_archE908ELNS1_3gpuE7ELNS1_3repE0EEENS1_30default_config_static_selectorELNS0_4arch9wavefront6targetE1EEEvT1_, .Lfunc_end1346-_ZN7rocprim17ROCPRIM_400000_NS6detail17trampoline_kernelINS0_14default_configENS1_25partition_config_selectorILNS1_17partition_subalgoE9EllbEEZZNS1_14partition_implILS5_9ELb0ES3_jPlS8_PNS0_10empty_typeENS0_5tupleIJS8_S9_EEENSB_IJS8_SA_EEENS0_18inequality_wrapperIZN2at6native12_GLOBAL__N_124unique_dim_cuda_templateIN3c104HalfEEESt5tupleIJNSF_6TensorESM_SM_EERKSM_lbbbEUlllE0_EEPmJS9_EEE10hipError_tPvRmT3_T4_T5_T6_T7_T9_mT8_P12ihipStream_tbDpT10_ENKUlT_T0_E_clISt17integral_constantIbLb1EES1B_IbLb0EEEEDaS17_S18_EUlS17_E_NS1_11comp_targetILNS1_3genE3ELNS1_11target_archE908ELNS1_3gpuE7ELNS1_3repE0EEENS1_30default_config_static_selectorELNS0_4arch9wavefront6targetE1EEEvT1_
                                        ; -- End function
	.section	.AMDGPU.csdata,"",@progbits
; Kernel info:
; codeLenInByte = 0
; NumSgprs: 4
; NumVgprs: 0
; NumAgprs: 0
; TotalNumVgprs: 0
; ScratchSize: 0
; MemoryBound: 0
; FloatMode: 240
; IeeeMode: 1
; LDSByteSize: 0 bytes/workgroup (compile time only)
; SGPRBlocks: 0
; VGPRBlocks: 0
; NumSGPRsForWavesPerEU: 4
; NumVGPRsForWavesPerEU: 1
; AccumOffset: 4
; Occupancy: 8
; WaveLimiterHint : 0
; COMPUTE_PGM_RSRC2:SCRATCH_EN: 0
; COMPUTE_PGM_RSRC2:USER_SGPR: 6
; COMPUTE_PGM_RSRC2:TRAP_HANDLER: 0
; COMPUTE_PGM_RSRC2:TGID_X_EN: 1
; COMPUTE_PGM_RSRC2:TGID_Y_EN: 0
; COMPUTE_PGM_RSRC2:TGID_Z_EN: 0
; COMPUTE_PGM_RSRC2:TIDIG_COMP_CNT: 0
; COMPUTE_PGM_RSRC3_GFX90A:ACCUM_OFFSET: 0
; COMPUTE_PGM_RSRC3_GFX90A:TG_SPLIT: 0
	.section	.text._ZN7rocprim17ROCPRIM_400000_NS6detail17trampoline_kernelINS0_14default_configENS1_25partition_config_selectorILNS1_17partition_subalgoE9EllbEEZZNS1_14partition_implILS5_9ELb0ES3_jPlS8_PNS0_10empty_typeENS0_5tupleIJS8_S9_EEENSB_IJS8_SA_EEENS0_18inequality_wrapperIZN2at6native12_GLOBAL__N_124unique_dim_cuda_templateIN3c104HalfEEESt5tupleIJNSF_6TensorESM_SM_EERKSM_lbbbEUlllE0_EEPmJS9_EEE10hipError_tPvRmT3_T4_T5_T6_T7_T9_mT8_P12ihipStream_tbDpT10_ENKUlT_T0_E_clISt17integral_constantIbLb1EES1B_IbLb0EEEEDaS17_S18_EUlS17_E_NS1_11comp_targetILNS1_3genE2ELNS1_11target_archE906ELNS1_3gpuE6ELNS1_3repE0EEENS1_30default_config_static_selectorELNS0_4arch9wavefront6targetE1EEEvT1_,"axG",@progbits,_ZN7rocprim17ROCPRIM_400000_NS6detail17trampoline_kernelINS0_14default_configENS1_25partition_config_selectorILNS1_17partition_subalgoE9EllbEEZZNS1_14partition_implILS5_9ELb0ES3_jPlS8_PNS0_10empty_typeENS0_5tupleIJS8_S9_EEENSB_IJS8_SA_EEENS0_18inequality_wrapperIZN2at6native12_GLOBAL__N_124unique_dim_cuda_templateIN3c104HalfEEESt5tupleIJNSF_6TensorESM_SM_EERKSM_lbbbEUlllE0_EEPmJS9_EEE10hipError_tPvRmT3_T4_T5_T6_T7_T9_mT8_P12ihipStream_tbDpT10_ENKUlT_T0_E_clISt17integral_constantIbLb1EES1B_IbLb0EEEEDaS17_S18_EUlS17_E_NS1_11comp_targetILNS1_3genE2ELNS1_11target_archE906ELNS1_3gpuE6ELNS1_3repE0EEENS1_30default_config_static_selectorELNS0_4arch9wavefront6targetE1EEEvT1_,comdat
	.globl	_ZN7rocprim17ROCPRIM_400000_NS6detail17trampoline_kernelINS0_14default_configENS1_25partition_config_selectorILNS1_17partition_subalgoE9EllbEEZZNS1_14partition_implILS5_9ELb0ES3_jPlS8_PNS0_10empty_typeENS0_5tupleIJS8_S9_EEENSB_IJS8_SA_EEENS0_18inequality_wrapperIZN2at6native12_GLOBAL__N_124unique_dim_cuda_templateIN3c104HalfEEESt5tupleIJNSF_6TensorESM_SM_EERKSM_lbbbEUlllE0_EEPmJS9_EEE10hipError_tPvRmT3_T4_T5_T6_T7_T9_mT8_P12ihipStream_tbDpT10_ENKUlT_T0_E_clISt17integral_constantIbLb1EES1B_IbLb0EEEEDaS17_S18_EUlS17_E_NS1_11comp_targetILNS1_3genE2ELNS1_11target_archE906ELNS1_3gpuE6ELNS1_3repE0EEENS1_30default_config_static_selectorELNS0_4arch9wavefront6targetE1EEEvT1_ ; -- Begin function _ZN7rocprim17ROCPRIM_400000_NS6detail17trampoline_kernelINS0_14default_configENS1_25partition_config_selectorILNS1_17partition_subalgoE9EllbEEZZNS1_14partition_implILS5_9ELb0ES3_jPlS8_PNS0_10empty_typeENS0_5tupleIJS8_S9_EEENSB_IJS8_SA_EEENS0_18inequality_wrapperIZN2at6native12_GLOBAL__N_124unique_dim_cuda_templateIN3c104HalfEEESt5tupleIJNSF_6TensorESM_SM_EERKSM_lbbbEUlllE0_EEPmJS9_EEE10hipError_tPvRmT3_T4_T5_T6_T7_T9_mT8_P12ihipStream_tbDpT10_ENKUlT_T0_E_clISt17integral_constantIbLb1EES1B_IbLb0EEEEDaS17_S18_EUlS17_E_NS1_11comp_targetILNS1_3genE2ELNS1_11target_archE906ELNS1_3gpuE6ELNS1_3repE0EEENS1_30default_config_static_selectorELNS0_4arch9wavefront6targetE1EEEvT1_
	.p2align	8
	.type	_ZN7rocprim17ROCPRIM_400000_NS6detail17trampoline_kernelINS0_14default_configENS1_25partition_config_selectorILNS1_17partition_subalgoE9EllbEEZZNS1_14partition_implILS5_9ELb0ES3_jPlS8_PNS0_10empty_typeENS0_5tupleIJS8_S9_EEENSB_IJS8_SA_EEENS0_18inequality_wrapperIZN2at6native12_GLOBAL__N_124unique_dim_cuda_templateIN3c104HalfEEESt5tupleIJNSF_6TensorESM_SM_EERKSM_lbbbEUlllE0_EEPmJS9_EEE10hipError_tPvRmT3_T4_T5_T6_T7_T9_mT8_P12ihipStream_tbDpT10_ENKUlT_T0_E_clISt17integral_constantIbLb1EES1B_IbLb0EEEEDaS17_S18_EUlS17_E_NS1_11comp_targetILNS1_3genE2ELNS1_11target_archE906ELNS1_3gpuE6ELNS1_3repE0EEENS1_30default_config_static_selectorELNS0_4arch9wavefront6targetE1EEEvT1_,@function
_ZN7rocprim17ROCPRIM_400000_NS6detail17trampoline_kernelINS0_14default_configENS1_25partition_config_selectorILNS1_17partition_subalgoE9EllbEEZZNS1_14partition_implILS5_9ELb0ES3_jPlS8_PNS0_10empty_typeENS0_5tupleIJS8_S9_EEENSB_IJS8_SA_EEENS0_18inequality_wrapperIZN2at6native12_GLOBAL__N_124unique_dim_cuda_templateIN3c104HalfEEESt5tupleIJNSF_6TensorESM_SM_EERKSM_lbbbEUlllE0_EEPmJS9_EEE10hipError_tPvRmT3_T4_T5_T6_T7_T9_mT8_P12ihipStream_tbDpT10_ENKUlT_T0_E_clISt17integral_constantIbLb1EES1B_IbLb0EEEEDaS17_S18_EUlS17_E_NS1_11comp_targetILNS1_3genE2ELNS1_11target_archE906ELNS1_3gpuE6ELNS1_3repE0EEENS1_30default_config_static_selectorELNS0_4arch9wavefront6targetE1EEEvT1_: ; @_ZN7rocprim17ROCPRIM_400000_NS6detail17trampoline_kernelINS0_14default_configENS1_25partition_config_selectorILNS1_17partition_subalgoE9EllbEEZZNS1_14partition_implILS5_9ELb0ES3_jPlS8_PNS0_10empty_typeENS0_5tupleIJS8_S9_EEENSB_IJS8_SA_EEENS0_18inequality_wrapperIZN2at6native12_GLOBAL__N_124unique_dim_cuda_templateIN3c104HalfEEESt5tupleIJNSF_6TensorESM_SM_EERKSM_lbbbEUlllE0_EEPmJS9_EEE10hipError_tPvRmT3_T4_T5_T6_T7_T9_mT8_P12ihipStream_tbDpT10_ENKUlT_T0_E_clISt17integral_constantIbLb1EES1B_IbLb0EEEEDaS17_S18_EUlS17_E_NS1_11comp_targetILNS1_3genE2ELNS1_11target_archE906ELNS1_3gpuE6ELNS1_3repE0EEENS1_30default_config_static_selectorELNS0_4arch9wavefront6targetE1EEEvT1_
; %bb.0:
	.section	.rodata,"a",@progbits
	.p2align	6, 0x0
	.amdhsa_kernel _ZN7rocprim17ROCPRIM_400000_NS6detail17trampoline_kernelINS0_14default_configENS1_25partition_config_selectorILNS1_17partition_subalgoE9EllbEEZZNS1_14partition_implILS5_9ELb0ES3_jPlS8_PNS0_10empty_typeENS0_5tupleIJS8_S9_EEENSB_IJS8_SA_EEENS0_18inequality_wrapperIZN2at6native12_GLOBAL__N_124unique_dim_cuda_templateIN3c104HalfEEESt5tupleIJNSF_6TensorESM_SM_EERKSM_lbbbEUlllE0_EEPmJS9_EEE10hipError_tPvRmT3_T4_T5_T6_T7_T9_mT8_P12ihipStream_tbDpT10_ENKUlT_T0_E_clISt17integral_constantIbLb1EES1B_IbLb0EEEEDaS17_S18_EUlS17_E_NS1_11comp_targetILNS1_3genE2ELNS1_11target_archE906ELNS1_3gpuE6ELNS1_3repE0EEENS1_30default_config_static_selectorELNS0_4arch9wavefront6targetE1EEEvT1_
		.amdhsa_group_segment_fixed_size 0
		.amdhsa_private_segment_fixed_size 0
		.amdhsa_kernarg_size 120
		.amdhsa_user_sgpr_count 6
		.amdhsa_user_sgpr_private_segment_buffer 1
		.amdhsa_user_sgpr_dispatch_ptr 0
		.amdhsa_user_sgpr_queue_ptr 0
		.amdhsa_user_sgpr_kernarg_segment_ptr 1
		.amdhsa_user_sgpr_dispatch_id 0
		.amdhsa_user_sgpr_flat_scratch_init 0
		.amdhsa_user_sgpr_kernarg_preload_length 0
		.amdhsa_user_sgpr_kernarg_preload_offset 0
		.amdhsa_user_sgpr_private_segment_size 0
		.amdhsa_uses_dynamic_stack 0
		.amdhsa_system_sgpr_private_segment_wavefront_offset 0
		.amdhsa_system_sgpr_workgroup_id_x 1
		.amdhsa_system_sgpr_workgroup_id_y 0
		.amdhsa_system_sgpr_workgroup_id_z 0
		.amdhsa_system_sgpr_workgroup_info 0
		.amdhsa_system_vgpr_workitem_id 0
		.amdhsa_next_free_vgpr 1
		.amdhsa_next_free_sgpr 0
		.amdhsa_accum_offset 4
		.amdhsa_reserve_vcc 0
		.amdhsa_reserve_flat_scratch 0
		.amdhsa_float_round_mode_32 0
		.amdhsa_float_round_mode_16_64 0
		.amdhsa_float_denorm_mode_32 3
		.amdhsa_float_denorm_mode_16_64 3
		.amdhsa_dx10_clamp 1
		.amdhsa_ieee_mode 1
		.amdhsa_fp16_overflow 0
		.amdhsa_tg_split 0
		.amdhsa_exception_fp_ieee_invalid_op 0
		.amdhsa_exception_fp_denorm_src 0
		.amdhsa_exception_fp_ieee_div_zero 0
		.amdhsa_exception_fp_ieee_overflow 0
		.amdhsa_exception_fp_ieee_underflow 0
		.amdhsa_exception_fp_ieee_inexact 0
		.amdhsa_exception_int_div_zero 0
	.end_amdhsa_kernel
	.section	.text._ZN7rocprim17ROCPRIM_400000_NS6detail17trampoline_kernelINS0_14default_configENS1_25partition_config_selectorILNS1_17partition_subalgoE9EllbEEZZNS1_14partition_implILS5_9ELb0ES3_jPlS8_PNS0_10empty_typeENS0_5tupleIJS8_S9_EEENSB_IJS8_SA_EEENS0_18inequality_wrapperIZN2at6native12_GLOBAL__N_124unique_dim_cuda_templateIN3c104HalfEEESt5tupleIJNSF_6TensorESM_SM_EERKSM_lbbbEUlllE0_EEPmJS9_EEE10hipError_tPvRmT3_T4_T5_T6_T7_T9_mT8_P12ihipStream_tbDpT10_ENKUlT_T0_E_clISt17integral_constantIbLb1EES1B_IbLb0EEEEDaS17_S18_EUlS17_E_NS1_11comp_targetILNS1_3genE2ELNS1_11target_archE906ELNS1_3gpuE6ELNS1_3repE0EEENS1_30default_config_static_selectorELNS0_4arch9wavefront6targetE1EEEvT1_,"axG",@progbits,_ZN7rocprim17ROCPRIM_400000_NS6detail17trampoline_kernelINS0_14default_configENS1_25partition_config_selectorILNS1_17partition_subalgoE9EllbEEZZNS1_14partition_implILS5_9ELb0ES3_jPlS8_PNS0_10empty_typeENS0_5tupleIJS8_S9_EEENSB_IJS8_SA_EEENS0_18inequality_wrapperIZN2at6native12_GLOBAL__N_124unique_dim_cuda_templateIN3c104HalfEEESt5tupleIJNSF_6TensorESM_SM_EERKSM_lbbbEUlllE0_EEPmJS9_EEE10hipError_tPvRmT3_T4_T5_T6_T7_T9_mT8_P12ihipStream_tbDpT10_ENKUlT_T0_E_clISt17integral_constantIbLb1EES1B_IbLb0EEEEDaS17_S18_EUlS17_E_NS1_11comp_targetILNS1_3genE2ELNS1_11target_archE906ELNS1_3gpuE6ELNS1_3repE0EEENS1_30default_config_static_selectorELNS0_4arch9wavefront6targetE1EEEvT1_,comdat
.Lfunc_end1347:
	.size	_ZN7rocprim17ROCPRIM_400000_NS6detail17trampoline_kernelINS0_14default_configENS1_25partition_config_selectorILNS1_17partition_subalgoE9EllbEEZZNS1_14partition_implILS5_9ELb0ES3_jPlS8_PNS0_10empty_typeENS0_5tupleIJS8_S9_EEENSB_IJS8_SA_EEENS0_18inequality_wrapperIZN2at6native12_GLOBAL__N_124unique_dim_cuda_templateIN3c104HalfEEESt5tupleIJNSF_6TensorESM_SM_EERKSM_lbbbEUlllE0_EEPmJS9_EEE10hipError_tPvRmT3_T4_T5_T6_T7_T9_mT8_P12ihipStream_tbDpT10_ENKUlT_T0_E_clISt17integral_constantIbLb1EES1B_IbLb0EEEEDaS17_S18_EUlS17_E_NS1_11comp_targetILNS1_3genE2ELNS1_11target_archE906ELNS1_3gpuE6ELNS1_3repE0EEENS1_30default_config_static_selectorELNS0_4arch9wavefront6targetE1EEEvT1_, .Lfunc_end1347-_ZN7rocprim17ROCPRIM_400000_NS6detail17trampoline_kernelINS0_14default_configENS1_25partition_config_selectorILNS1_17partition_subalgoE9EllbEEZZNS1_14partition_implILS5_9ELb0ES3_jPlS8_PNS0_10empty_typeENS0_5tupleIJS8_S9_EEENSB_IJS8_SA_EEENS0_18inequality_wrapperIZN2at6native12_GLOBAL__N_124unique_dim_cuda_templateIN3c104HalfEEESt5tupleIJNSF_6TensorESM_SM_EERKSM_lbbbEUlllE0_EEPmJS9_EEE10hipError_tPvRmT3_T4_T5_T6_T7_T9_mT8_P12ihipStream_tbDpT10_ENKUlT_T0_E_clISt17integral_constantIbLb1EES1B_IbLb0EEEEDaS17_S18_EUlS17_E_NS1_11comp_targetILNS1_3genE2ELNS1_11target_archE906ELNS1_3gpuE6ELNS1_3repE0EEENS1_30default_config_static_selectorELNS0_4arch9wavefront6targetE1EEEvT1_
                                        ; -- End function
	.section	.AMDGPU.csdata,"",@progbits
; Kernel info:
; codeLenInByte = 0
; NumSgprs: 4
; NumVgprs: 0
; NumAgprs: 0
; TotalNumVgprs: 0
; ScratchSize: 0
; MemoryBound: 0
; FloatMode: 240
; IeeeMode: 1
; LDSByteSize: 0 bytes/workgroup (compile time only)
; SGPRBlocks: 0
; VGPRBlocks: 0
; NumSGPRsForWavesPerEU: 4
; NumVGPRsForWavesPerEU: 1
; AccumOffset: 4
; Occupancy: 8
; WaveLimiterHint : 0
; COMPUTE_PGM_RSRC2:SCRATCH_EN: 0
; COMPUTE_PGM_RSRC2:USER_SGPR: 6
; COMPUTE_PGM_RSRC2:TRAP_HANDLER: 0
; COMPUTE_PGM_RSRC2:TGID_X_EN: 1
; COMPUTE_PGM_RSRC2:TGID_Y_EN: 0
; COMPUTE_PGM_RSRC2:TGID_Z_EN: 0
; COMPUTE_PGM_RSRC2:TIDIG_COMP_CNT: 0
; COMPUTE_PGM_RSRC3_GFX90A:ACCUM_OFFSET: 0
; COMPUTE_PGM_RSRC3_GFX90A:TG_SPLIT: 0
	.section	.text._ZN7rocprim17ROCPRIM_400000_NS6detail17trampoline_kernelINS0_14default_configENS1_25partition_config_selectorILNS1_17partition_subalgoE9EllbEEZZNS1_14partition_implILS5_9ELb0ES3_jPlS8_PNS0_10empty_typeENS0_5tupleIJS8_S9_EEENSB_IJS8_SA_EEENS0_18inequality_wrapperIZN2at6native12_GLOBAL__N_124unique_dim_cuda_templateIN3c104HalfEEESt5tupleIJNSF_6TensorESM_SM_EERKSM_lbbbEUlllE0_EEPmJS9_EEE10hipError_tPvRmT3_T4_T5_T6_T7_T9_mT8_P12ihipStream_tbDpT10_ENKUlT_T0_E_clISt17integral_constantIbLb1EES1B_IbLb0EEEEDaS17_S18_EUlS17_E_NS1_11comp_targetILNS1_3genE10ELNS1_11target_archE1200ELNS1_3gpuE4ELNS1_3repE0EEENS1_30default_config_static_selectorELNS0_4arch9wavefront6targetE1EEEvT1_,"axG",@progbits,_ZN7rocprim17ROCPRIM_400000_NS6detail17trampoline_kernelINS0_14default_configENS1_25partition_config_selectorILNS1_17partition_subalgoE9EllbEEZZNS1_14partition_implILS5_9ELb0ES3_jPlS8_PNS0_10empty_typeENS0_5tupleIJS8_S9_EEENSB_IJS8_SA_EEENS0_18inequality_wrapperIZN2at6native12_GLOBAL__N_124unique_dim_cuda_templateIN3c104HalfEEESt5tupleIJNSF_6TensorESM_SM_EERKSM_lbbbEUlllE0_EEPmJS9_EEE10hipError_tPvRmT3_T4_T5_T6_T7_T9_mT8_P12ihipStream_tbDpT10_ENKUlT_T0_E_clISt17integral_constantIbLb1EES1B_IbLb0EEEEDaS17_S18_EUlS17_E_NS1_11comp_targetILNS1_3genE10ELNS1_11target_archE1200ELNS1_3gpuE4ELNS1_3repE0EEENS1_30default_config_static_selectorELNS0_4arch9wavefront6targetE1EEEvT1_,comdat
	.globl	_ZN7rocprim17ROCPRIM_400000_NS6detail17trampoline_kernelINS0_14default_configENS1_25partition_config_selectorILNS1_17partition_subalgoE9EllbEEZZNS1_14partition_implILS5_9ELb0ES3_jPlS8_PNS0_10empty_typeENS0_5tupleIJS8_S9_EEENSB_IJS8_SA_EEENS0_18inequality_wrapperIZN2at6native12_GLOBAL__N_124unique_dim_cuda_templateIN3c104HalfEEESt5tupleIJNSF_6TensorESM_SM_EERKSM_lbbbEUlllE0_EEPmJS9_EEE10hipError_tPvRmT3_T4_T5_T6_T7_T9_mT8_P12ihipStream_tbDpT10_ENKUlT_T0_E_clISt17integral_constantIbLb1EES1B_IbLb0EEEEDaS17_S18_EUlS17_E_NS1_11comp_targetILNS1_3genE10ELNS1_11target_archE1200ELNS1_3gpuE4ELNS1_3repE0EEENS1_30default_config_static_selectorELNS0_4arch9wavefront6targetE1EEEvT1_ ; -- Begin function _ZN7rocprim17ROCPRIM_400000_NS6detail17trampoline_kernelINS0_14default_configENS1_25partition_config_selectorILNS1_17partition_subalgoE9EllbEEZZNS1_14partition_implILS5_9ELb0ES3_jPlS8_PNS0_10empty_typeENS0_5tupleIJS8_S9_EEENSB_IJS8_SA_EEENS0_18inequality_wrapperIZN2at6native12_GLOBAL__N_124unique_dim_cuda_templateIN3c104HalfEEESt5tupleIJNSF_6TensorESM_SM_EERKSM_lbbbEUlllE0_EEPmJS9_EEE10hipError_tPvRmT3_T4_T5_T6_T7_T9_mT8_P12ihipStream_tbDpT10_ENKUlT_T0_E_clISt17integral_constantIbLb1EES1B_IbLb0EEEEDaS17_S18_EUlS17_E_NS1_11comp_targetILNS1_3genE10ELNS1_11target_archE1200ELNS1_3gpuE4ELNS1_3repE0EEENS1_30default_config_static_selectorELNS0_4arch9wavefront6targetE1EEEvT1_
	.p2align	8
	.type	_ZN7rocprim17ROCPRIM_400000_NS6detail17trampoline_kernelINS0_14default_configENS1_25partition_config_selectorILNS1_17partition_subalgoE9EllbEEZZNS1_14partition_implILS5_9ELb0ES3_jPlS8_PNS0_10empty_typeENS0_5tupleIJS8_S9_EEENSB_IJS8_SA_EEENS0_18inequality_wrapperIZN2at6native12_GLOBAL__N_124unique_dim_cuda_templateIN3c104HalfEEESt5tupleIJNSF_6TensorESM_SM_EERKSM_lbbbEUlllE0_EEPmJS9_EEE10hipError_tPvRmT3_T4_T5_T6_T7_T9_mT8_P12ihipStream_tbDpT10_ENKUlT_T0_E_clISt17integral_constantIbLb1EES1B_IbLb0EEEEDaS17_S18_EUlS17_E_NS1_11comp_targetILNS1_3genE10ELNS1_11target_archE1200ELNS1_3gpuE4ELNS1_3repE0EEENS1_30default_config_static_selectorELNS0_4arch9wavefront6targetE1EEEvT1_,@function
_ZN7rocprim17ROCPRIM_400000_NS6detail17trampoline_kernelINS0_14default_configENS1_25partition_config_selectorILNS1_17partition_subalgoE9EllbEEZZNS1_14partition_implILS5_9ELb0ES3_jPlS8_PNS0_10empty_typeENS0_5tupleIJS8_S9_EEENSB_IJS8_SA_EEENS0_18inequality_wrapperIZN2at6native12_GLOBAL__N_124unique_dim_cuda_templateIN3c104HalfEEESt5tupleIJNSF_6TensorESM_SM_EERKSM_lbbbEUlllE0_EEPmJS9_EEE10hipError_tPvRmT3_T4_T5_T6_T7_T9_mT8_P12ihipStream_tbDpT10_ENKUlT_T0_E_clISt17integral_constantIbLb1EES1B_IbLb0EEEEDaS17_S18_EUlS17_E_NS1_11comp_targetILNS1_3genE10ELNS1_11target_archE1200ELNS1_3gpuE4ELNS1_3repE0EEENS1_30default_config_static_selectorELNS0_4arch9wavefront6targetE1EEEvT1_: ; @_ZN7rocprim17ROCPRIM_400000_NS6detail17trampoline_kernelINS0_14default_configENS1_25partition_config_selectorILNS1_17partition_subalgoE9EllbEEZZNS1_14partition_implILS5_9ELb0ES3_jPlS8_PNS0_10empty_typeENS0_5tupleIJS8_S9_EEENSB_IJS8_SA_EEENS0_18inequality_wrapperIZN2at6native12_GLOBAL__N_124unique_dim_cuda_templateIN3c104HalfEEESt5tupleIJNSF_6TensorESM_SM_EERKSM_lbbbEUlllE0_EEPmJS9_EEE10hipError_tPvRmT3_T4_T5_T6_T7_T9_mT8_P12ihipStream_tbDpT10_ENKUlT_T0_E_clISt17integral_constantIbLb1EES1B_IbLb0EEEEDaS17_S18_EUlS17_E_NS1_11comp_targetILNS1_3genE10ELNS1_11target_archE1200ELNS1_3gpuE4ELNS1_3repE0EEENS1_30default_config_static_selectorELNS0_4arch9wavefront6targetE1EEEvT1_
; %bb.0:
	.section	.rodata,"a",@progbits
	.p2align	6, 0x0
	.amdhsa_kernel _ZN7rocprim17ROCPRIM_400000_NS6detail17trampoline_kernelINS0_14default_configENS1_25partition_config_selectorILNS1_17partition_subalgoE9EllbEEZZNS1_14partition_implILS5_9ELb0ES3_jPlS8_PNS0_10empty_typeENS0_5tupleIJS8_S9_EEENSB_IJS8_SA_EEENS0_18inequality_wrapperIZN2at6native12_GLOBAL__N_124unique_dim_cuda_templateIN3c104HalfEEESt5tupleIJNSF_6TensorESM_SM_EERKSM_lbbbEUlllE0_EEPmJS9_EEE10hipError_tPvRmT3_T4_T5_T6_T7_T9_mT8_P12ihipStream_tbDpT10_ENKUlT_T0_E_clISt17integral_constantIbLb1EES1B_IbLb0EEEEDaS17_S18_EUlS17_E_NS1_11comp_targetILNS1_3genE10ELNS1_11target_archE1200ELNS1_3gpuE4ELNS1_3repE0EEENS1_30default_config_static_selectorELNS0_4arch9wavefront6targetE1EEEvT1_
		.amdhsa_group_segment_fixed_size 0
		.amdhsa_private_segment_fixed_size 0
		.amdhsa_kernarg_size 120
		.amdhsa_user_sgpr_count 6
		.amdhsa_user_sgpr_private_segment_buffer 1
		.amdhsa_user_sgpr_dispatch_ptr 0
		.amdhsa_user_sgpr_queue_ptr 0
		.amdhsa_user_sgpr_kernarg_segment_ptr 1
		.amdhsa_user_sgpr_dispatch_id 0
		.amdhsa_user_sgpr_flat_scratch_init 0
		.amdhsa_user_sgpr_kernarg_preload_length 0
		.amdhsa_user_sgpr_kernarg_preload_offset 0
		.amdhsa_user_sgpr_private_segment_size 0
		.amdhsa_uses_dynamic_stack 0
		.amdhsa_system_sgpr_private_segment_wavefront_offset 0
		.amdhsa_system_sgpr_workgroup_id_x 1
		.amdhsa_system_sgpr_workgroup_id_y 0
		.amdhsa_system_sgpr_workgroup_id_z 0
		.amdhsa_system_sgpr_workgroup_info 0
		.amdhsa_system_vgpr_workitem_id 0
		.amdhsa_next_free_vgpr 1
		.amdhsa_next_free_sgpr 0
		.amdhsa_accum_offset 4
		.amdhsa_reserve_vcc 0
		.amdhsa_reserve_flat_scratch 0
		.amdhsa_float_round_mode_32 0
		.amdhsa_float_round_mode_16_64 0
		.amdhsa_float_denorm_mode_32 3
		.amdhsa_float_denorm_mode_16_64 3
		.amdhsa_dx10_clamp 1
		.amdhsa_ieee_mode 1
		.amdhsa_fp16_overflow 0
		.amdhsa_tg_split 0
		.amdhsa_exception_fp_ieee_invalid_op 0
		.amdhsa_exception_fp_denorm_src 0
		.amdhsa_exception_fp_ieee_div_zero 0
		.amdhsa_exception_fp_ieee_overflow 0
		.amdhsa_exception_fp_ieee_underflow 0
		.amdhsa_exception_fp_ieee_inexact 0
		.amdhsa_exception_int_div_zero 0
	.end_amdhsa_kernel
	.section	.text._ZN7rocprim17ROCPRIM_400000_NS6detail17trampoline_kernelINS0_14default_configENS1_25partition_config_selectorILNS1_17partition_subalgoE9EllbEEZZNS1_14partition_implILS5_9ELb0ES3_jPlS8_PNS0_10empty_typeENS0_5tupleIJS8_S9_EEENSB_IJS8_SA_EEENS0_18inequality_wrapperIZN2at6native12_GLOBAL__N_124unique_dim_cuda_templateIN3c104HalfEEESt5tupleIJNSF_6TensorESM_SM_EERKSM_lbbbEUlllE0_EEPmJS9_EEE10hipError_tPvRmT3_T4_T5_T6_T7_T9_mT8_P12ihipStream_tbDpT10_ENKUlT_T0_E_clISt17integral_constantIbLb1EES1B_IbLb0EEEEDaS17_S18_EUlS17_E_NS1_11comp_targetILNS1_3genE10ELNS1_11target_archE1200ELNS1_3gpuE4ELNS1_3repE0EEENS1_30default_config_static_selectorELNS0_4arch9wavefront6targetE1EEEvT1_,"axG",@progbits,_ZN7rocprim17ROCPRIM_400000_NS6detail17trampoline_kernelINS0_14default_configENS1_25partition_config_selectorILNS1_17partition_subalgoE9EllbEEZZNS1_14partition_implILS5_9ELb0ES3_jPlS8_PNS0_10empty_typeENS0_5tupleIJS8_S9_EEENSB_IJS8_SA_EEENS0_18inequality_wrapperIZN2at6native12_GLOBAL__N_124unique_dim_cuda_templateIN3c104HalfEEESt5tupleIJNSF_6TensorESM_SM_EERKSM_lbbbEUlllE0_EEPmJS9_EEE10hipError_tPvRmT3_T4_T5_T6_T7_T9_mT8_P12ihipStream_tbDpT10_ENKUlT_T0_E_clISt17integral_constantIbLb1EES1B_IbLb0EEEEDaS17_S18_EUlS17_E_NS1_11comp_targetILNS1_3genE10ELNS1_11target_archE1200ELNS1_3gpuE4ELNS1_3repE0EEENS1_30default_config_static_selectorELNS0_4arch9wavefront6targetE1EEEvT1_,comdat
.Lfunc_end1348:
	.size	_ZN7rocprim17ROCPRIM_400000_NS6detail17trampoline_kernelINS0_14default_configENS1_25partition_config_selectorILNS1_17partition_subalgoE9EllbEEZZNS1_14partition_implILS5_9ELb0ES3_jPlS8_PNS0_10empty_typeENS0_5tupleIJS8_S9_EEENSB_IJS8_SA_EEENS0_18inequality_wrapperIZN2at6native12_GLOBAL__N_124unique_dim_cuda_templateIN3c104HalfEEESt5tupleIJNSF_6TensorESM_SM_EERKSM_lbbbEUlllE0_EEPmJS9_EEE10hipError_tPvRmT3_T4_T5_T6_T7_T9_mT8_P12ihipStream_tbDpT10_ENKUlT_T0_E_clISt17integral_constantIbLb1EES1B_IbLb0EEEEDaS17_S18_EUlS17_E_NS1_11comp_targetILNS1_3genE10ELNS1_11target_archE1200ELNS1_3gpuE4ELNS1_3repE0EEENS1_30default_config_static_selectorELNS0_4arch9wavefront6targetE1EEEvT1_, .Lfunc_end1348-_ZN7rocprim17ROCPRIM_400000_NS6detail17trampoline_kernelINS0_14default_configENS1_25partition_config_selectorILNS1_17partition_subalgoE9EllbEEZZNS1_14partition_implILS5_9ELb0ES3_jPlS8_PNS0_10empty_typeENS0_5tupleIJS8_S9_EEENSB_IJS8_SA_EEENS0_18inequality_wrapperIZN2at6native12_GLOBAL__N_124unique_dim_cuda_templateIN3c104HalfEEESt5tupleIJNSF_6TensorESM_SM_EERKSM_lbbbEUlllE0_EEPmJS9_EEE10hipError_tPvRmT3_T4_T5_T6_T7_T9_mT8_P12ihipStream_tbDpT10_ENKUlT_T0_E_clISt17integral_constantIbLb1EES1B_IbLb0EEEEDaS17_S18_EUlS17_E_NS1_11comp_targetILNS1_3genE10ELNS1_11target_archE1200ELNS1_3gpuE4ELNS1_3repE0EEENS1_30default_config_static_selectorELNS0_4arch9wavefront6targetE1EEEvT1_
                                        ; -- End function
	.section	.AMDGPU.csdata,"",@progbits
; Kernel info:
; codeLenInByte = 0
; NumSgprs: 4
; NumVgprs: 0
; NumAgprs: 0
; TotalNumVgprs: 0
; ScratchSize: 0
; MemoryBound: 0
; FloatMode: 240
; IeeeMode: 1
; LDSByteSize: 0 bytes/workgroup (compile time only)
; SGPRBlocks: 0
; VGPRBlocks: 0
; NumSGPRsForWavesPerEU: 4
; NumVGPRsForWavesPerEU: 1
; AccumOffset: 4
; Occupancy: 8
; WaveLimiterHint : 0
; COMPUTE_PGM_RSRC2:SCRATCH_EN: 0
; COMPUTE_PGM_RSRC2:USER_SGPR: 6
; COMPUTE_PGM_RSRC2:TRAP_HANDLER: 0
; COMPUTE_PGM_RSRC2:TGID_X_EN: 1
; COMPUTE_PGM_RSRC2:TGID_Y_EN: 0
; COMPUTE_PGM_RSRC2:TGID_Z_EN: 0
; COMPUTE_PGM_RSRC2:TIDIG_COMP_CNT: 0
; COMPUTE_PGM_RSRC3_GFX90A:ACCUM_OFFSET: 0
; COMPUTE_PGM_RSRC3_GFX90A:TG_SPLIT: 0
	.section	.text._ZN7rocprim17ROCPRIM_400000_NS6detail17trampoline_kernelINS0_14default_configENS1_25partition_config_selectorILNS1_17partition_subalgoE9EllbEEZZNS1_14partition_implILS5_9ELb0ES3_jPlS8_PNS0_10empty_typeENS0_5tupleIJS8_S9_EEENSB_IJS8_SA_EEENS0_18inequality_wrapperIZN2at6native12_GLOBAL__N_124unique_dim_cuda_templateIN3c104HalfEEESt5tupleIJNSF_6TensorESM_SM_EERKSM_lbbbEUlllE0_EEPmJS9_EEE10hipError_tPvRmT3_T4_T5_T6_T7_T9_mT8_P12ihipStream_tbDpT10_ENKUlT_T0_E_clISt17integral_constantIbLb1EES1B_IbLb0EEEEDaS17_S18_EUlS17_E_NS1_11comp_targetILNS1_3genE9ELNS1_11target_archE1100ELNS1_3gpuE3ELNS1_3repE0EEENS1_30default_config_static_selectorELNS0_4arch9wavefront6targetE1EEEvT1_,"axG",@progbits,_ZN7rocprim17ROCPRIM_400000_NS6detail17trampoline_kernelINS0_14default_configENS1_25partition_config_selectorILNS1_17partition_subalgoE9EllbEEZZNS1_14partition_implILS5_9ELb0ES3_jPlS8_PNS0_10empty_typeENS0_5tupleIJS8_S9_EEENSB_IJS8_SA_EEENS0_18inequality_wrapperIZN2at6native12_GLOBAL__N_124unique_dim_cuda_templateIN3c104HalfEEESt5tupleIJNSF_6TensorESM_SM_EERKSM_lbbbEUlllE0_EEPmJS9_EEE10hipError_tPvRmT3_T4_T5_T6_T7_T9_mT8_P12ihipStream_tbDpT10_ENKUlT_T0_E_clISt17integral_constantIbLb1EES1B_IbLb0EEEEDaS17_S18_EUlS17_E_NS1_11comp_targetILNS1_3genE9ELNS1_11target_archE1100ELNS1_3gpuE3ELNS1_3repE0EEENS1_30default_config_static_selectorELNS0_4arch9wavefront6targetE1EEEvT1_,comdat
	.globl	_ZN7rocprim17ROCPRIM_400000_NS6detail17trampoline_kernelINS0_14default_configENS1_25partition_config_selectorILNS1_17partition_subalgoE9EllbEEZZNS1_14partition_implILS5_9ELb0ES3_jPlS8_PNS0_10empty_typeENS0_5tupleIJS8_S9_EEENSB_IJS8_SA_EEENS0_18inequality_wrapperIZN2at6native12_GLOBAL__N_124unique_dim_cuda_templateIN3c104HalfEEESt5tupleIJNSF_6TensorESM_SM_EERKSM_lbbbEUlllE0_EEPmJS9_EEE10hipError_tPvRmT3_T4_T5_T6_T7_T9_mT8_P12ihipStream_tbDpT10_ENKUlT_T0_E_clISt17integral_constantIbLb1EES1B_IbLb0EEEEDaS17_S18_EUlS17_E_NS1_11comp_targetILNS1_3genE9ELNS1_11target_archE1100ELNS1_3gpuE3ELNS1_3repE0EEENS1_30default_config_static_selectorELNS0_4arch9wavefront6targetE1EEEvT1_ ; -- Begin function _ZN7rocprim17ROCPRIM_400000_NS6detail17trampoline_kernelINS0_14default_configENS1_25partition_config_selectorILNS1_17partition_subalgoE9EllbEEZZNS1_14partition_implILS5_9ELb0ES3_jPlS8_PNS0_10empty_typeENS0_5tupleIJS8_S9_EEENSB_IJS8_SA_EEENS0_18inequality_wrapperIZN2at6native12_GLOBAL__N_124unique_dim_cuda_templateIN3c104HalfEEESt5tupleIJNSF_6TensorESM_SM_EERKSM_lbbbEUlllE0_EEPmJS9_EEE10hipError_tPvRmT3_T4_T5_T6_T7_T9_mT8_P12ihipStream_tbDpT10_ENKUlT_T0_E_clISt17integral_constantIbLb1EES1B_IbLb0EEEEDaS17_S18_EUlS17_E_NS1_11comp_targetILNS1_3genE9ELNS1_11target_archE1100ELNS1_3gpuE3ELNS1_3repE0EEENS1_30default_config_static_selectorELNS0_4arch9wavefront6targetE1EEEvT1_
	.p2align	8
	.type	_ZN7rocprim17ROCPRIM_400000_NS6detail17trampoline_kernelINS0_14default_configENS1_25partition_config_selectorILNS1_17partition_subalgoE9EllbEEZZNS1_14partition_implILS5_9ELb0ES3_jPlS8_PNS0_10empty_typeENS0_5tupleIJS8_S9_EEENSB_IJS8_SA_EEENS0_18inequality_wrapperIZN2at6native12_GLOBAL__N_124unique_dim_cuda_templateIN3c104HalfEEESt5tupleIJNSF_6TensorESM_SM_EERKSM_lbbbEUlllE0_EEPmJS9_EEE10hipError_tPvRmT3_T4_T5_T6_T7_T9_mT8_P12ihipStream_tbDpT10_ENKUlT_T0_E_clISt17integral_constantIbLb1EES1B_IbLb0EEEEDaS17_S18_EUlS17_E_NS1_11comp_targetILNS1_3genE9ELNS1_11target_archE1100ELNS1_3gpuE3ELNS1_3repE0EEENS1_30default_config_static_selectorELNS0_4arch9wavefront6targetE1EEEvT1_,@function
_ZN7rocprim17ROCPRIM_400000_NS6detail17trampoline_kernelINS0_14default_configENS1_25partition_config_selectorILNS1_17partition_subalgoE9EllbEEZZNS1_14partition_implILS5_9ELb0ES3_jPlS8_PNS0_10empty_typeENS0_5tupleIJS8_S9_EEENSB_IJS8_SA_EEENS0_18inequality_wrapperIZN2at6native12_GLOBAL__N_124unique_dim_cuda_templateIN3c104HalfEEESt5tupleIJNSF_6TensorESM_SM_EERKSM_lbbbEUlllE0_EEPmJS9_EEE10hipError_tPvRmT3_T4_T5_T6_T7_T9_mT8_P12ihipStream_tbDpT10_ENKUlT_T0_E_clISt17integral_constantIbLb1EES1B_IbLb0EEEEDaS17_S18_EUlS17_E_NS1_11comp_targetILNS1_3genE9ELNS1_11target_archE1100ELNS1_3gpuE3ELNS1_3repE0EEENS1_30default_config_static_selectorELNS0_4arch9wavefront6targetE1EEEvT1_: ; @_ZN7rocprim17ROCPRIM_400000_NS6detail17trampoline_kernelINS0_14default_configENS1_25partition_config_selectorILNS1_17partition_subalgoE9EllbEEZZNS1_14partition_implILS5_9ELb0ES3_jPlS8_PNS0_10empty_typeENS0_5tupleIJS8_S9_EEENSB_IJS8_SA_EEENS0_18inequality_wrapperIZN2at6native12_GLOBAL__N_124unique_dim_cuda_templateIN3c104HalfEEESt5tupleIJNSF_6TensorESM_SM_EERKSM_lbbbEUlllE0_EEPmJS9_EEE10hipError_tPvRmT3_T4_T5_T6_T7_T9_mT8_P12ihipStream_tbDpT10_ENKUlT_T0_E_clISt17integral_constantIbLb1EES1B_IbLb0EEEEDaS17_S18_EUlS17_E_NS1_11comp_targetILNS1_3genE9ELNS1_11target_archE1100ELNS1_3gpuE3ELNS1_3repE0EEENS1_30default_config_static_selectorELNS0_4arch9wavefront6targetE1EEEvT1_
; %bb.0:
	.section	.rodata,"a",@progbits
	.p2align	6, 0x0
	.amdhsa_kernel _ZN7rocprim17ROCPRIM_400000_NS6detail17trampoline_kernelINS0_14default_configENS1_25partition_config_selectorILNS1_17partition_subalgoE9EllbEEZZNS1_14partition_implILS5_9ELb0ES3_jPlS8_PNS0_10empty_typeENS0_5tupleIJS8_S9_EEENSB_IJS8_SA_EEENS0_18inequality_wrapperIZN2at6native12_GLOBAL__N_124unique_dim_cuda_templateIN3c104HalfEEESt5tupleIJNSF_6TensorESM_SM_EERKSM_lbbbEUlllE0_EEPmJS9_EEE10hipError_tPvRmT3_T4_T5_T6_T7_T9_mT8_P12ihipStream_tbDpT10_ENKUlT_T0_E_clISt17integral_constantIbLb1EES1B_IbLb0EEEEDaS17_S18_EUlS17_E_NS1_11comp_targetILNS1_3genE9ELNS1_11target_archE1100ELNS1_3gpuE3ELNS1_3repE0EEENS1_30default_config_static_selectorELNS0_4arch9wavefront6targetE1EEEvT1_
		.amdhsa_group_segment_fixed_size 0
		.amdhsa_private_segment_fixed_size 0
		.amdhsa_kernarg_size 120
		.amdhsa_user_sgpr_count 6
		.amdhsa_user_sgpr_private_segment_buffer 1
		.amdhsa_user_sgpr_dispatch_ptr 0
		.amdhsa_user_sgpr_queue_ptr 0
		.amdhsa_user_sgpr_kernarg_segment_ptr 1
		.amdhsa_user_sgpr_dispatch_id 0
		.amdhsa_user_sgpr_flat_scratch_init 0
		.amdhsa_user_sgpr_kernarg_preload_length 0
		.amdhsa_user_sgpr_kernarg_preload_offset 0
		.amdhsa_user_sgpr_private_segment_size 0
		.amdhsa_uses_dynamic_stack 0
		.amdhsa_system_sgpr_private_segment_wavefront_offset 0
		.amdhsa_system_sgpr_workgroup_id_x 1
		.amdhsa_system_sgpr_workgroup_id_y 0
		.amdhsa_system_sgpr_workgroup_id_z 0
		.amdhsa_system_sgpr_workgroup_info 0
		.amdhsa_system_vgpr_workitem_id 0
		.amdhsa_next_free_vgpr 1
		.amdhsa_next_free_sgpr 0
		.amdhsa_accum_offset 4
		.amdhsa_reserve_vcc 0
		.amdhsa_reserve_flat_scratch 0
		.amdhsa_float_round_mode_32 0
		.amdhsa_float_round_mode_16_64 0
		.amdhsa_float_denorm_mode_32 3
		.amdhsa_float_denorm_mode_16_64 3
		.amdhsa_dx10_clamp 1
		.amdhsa_ieee_mode 1
		.amdhsa_fp16_overflow 0
		.amdhsa_tg_split 0
		.amdhsa_exception_fp_ieee_invalid_op 0
		.amdhsa_exception_fp_denorm_src 0
		.amdhsa_exception_fp_ieee_div_zero 0
		.amdhsa_exception_fp_ieee_overflow 0
		.amdhsa_exception_fp_ieee_underflow 0
		.amdhsa_exception_fp_ieee_inexact 0
		.amdhsa_exception_int_div_zero 0
	.end_amdhsa_kernel
	.section	.text._ZN7rocprim17ROCPRIM_400000_NS6detail17trampoline_kernelINS0_14default_configENS1_25partition_config_selectorILNS1_17partition_subalgoE9EllbEEZZNS1_14partition_implILS5_9ELb0ES3_jPlS8_PNS0_10empty_typeENS0_5tupleIJS8_S9_EEENSB_IJS8_SA_EEENS0_18inequality_wrapperIZN2at6native12_GLOBAL__N_124unique_dim_cuda_templateIN3c104HalfEEESt5tupleIJNSF_6TensorESM_SM_EERKSM_lbbbEUlllE0_EEPmJS9_EEE10hipError_tPvRmT3_T4_T5_T6_T7_T9_mT8_P12ihipStream_tbDpT10_ENKUlT_T0_E_clISt17integral_constantIbLb1EES1B_IbLb0EEEEDaS17_S18_EUlS17_E_NS1_11comp_targetILNS1_3genE9ELNS1_11target_archE1100ELNS1_3gpuE3ELNS1_3repE0EEENS1_30default_config_static_selectorELNS0_4arch9wavefront6targetE1EEEvT1_,"axG",@progbits,_ZN7rocprim17ROCPRIM_400000_NS6detail17trampoline_kernelINS0_14default_configENS1_25partition_config_selectorILNS1_17partition_subalgoE9EllbEEZZNS1_14partition_implILS5_9ELb0ES3_jPlS8_PNS0_10empty_typeENS0_5tupleIJS8_S9_EEENSB_IJS8_SA_EEENS0_18inequality_wrapperIZN2at6native12_GLOBAL__N_124unique_dim_cuda_templateIN3c104HalfEEESt5tupleIJNSF_6TensorESM_SM_EERKSM_lbbbEUlllE0_EEPmJS9_EEE10hipError_tPvRmT3_T4_T5_T6_T7_T9_mT8_P12ihipStream_tbDpT10_ENKUlT_T0_E_clISt17integral_constantIbLb1EES1B_IbLb0EEEEDaS17_S18_EUlS17_E_NS1_11comp_targetILNS1_3genE9ELNS1_11target_archE1100ELNS1_3gpuE3ELNS1_3repE0EEENS1_30default_config_static_selectorELNS0_4arch9wavefront6targetE1EEEvT1_,comdat
.Lfunc_end1349:
	.size	_ZN7rocprim17ROCPRIM_400000_NS6detail17trampoline_kernelINS0_14default_configENS1_25partition_config_selectorILNS1_17partition_subalgoE9EllbEEZZNS1_14partition_implILS5_9ELb0ES3_jPlS8_PNS0_10empty_typeENS0_5tupleIJS8_S9_EEENSB_IJS8_SA_EEENS0_18inequality_wrapperIZN2at6native12_GLOBAL__N_124unique_dim_cuda_templateIN3c104HalfEEESt5tupleIJNSF_6TensorESM_SM_EERKSM_lbbbEUlllE0_EEPmJS9_EEE10hipError_tPvRmT3_T4_T5_T6_T7_T9_mT8_P12ihipStream_tbDpT10_ENKUlT_T0_E_clISt17integral_constantIbLb1EES1B_IbLb0EEEEDaS17_S18_EUlS17_E_NS1_11comp_targetILNS1_3genE9ELNS1_11target_archE1100ELNS1_3gpuE3ELNS1_3repE0EEENS1_30default_config_static_selectorELNS0_4arch9wavefront6targetE1EEEvT1_, .Lfunc_end1349-_ZN7rocprim17ROCPRIM_400000_NS6detail17trampoline_kernelINS0_14default_configENS1_25partition_config_selectorILNS1_17partition_subalgoE9EllbEEZZNS1_14partition_implILS5_9ELb0ES3_jPlS8_PNS0_10empty_typeENS0_5tupleIJS8_S9_EEENSB_IJS8_SA_EEENS0_18inequality_wrapperIZN2at6native12_GLOBAL__N_124unique_dim_cuda_templateIN3c104HalfEEESt5tupleIJNSF_6TensorESM_SM_EERKSM_lbbbEUlllE0_EEPmJS9_EEE10hipError_tPvRmT3_T4_T5_T6_T7_T9_mT8_P12ihipStream_tbDpT10_ENKUlT_T0_E_clISt17integral_constantIbLb1EES1B_IbLb0EEEEDaS17_S18_EUlS17_E_NS1_11comp_targetILNS1_3genE9ELNS1_11target_archE1100ELNS1_3gpuE3ELNS1_3repE0EEENS1_30default_config_static_selectorELNS0_4arch9wavefront6targetE1EEEvT1_
                                        ; -- End function
	.section	.AMDGPU.csdata,"",@progbits
; Kernel info:
; codeLenInByte = 0
; NumSgprs: 4
; NumVgprs: 0
; NumAgprs: 0
; TotalNumVgprs: 0
; ScratchSize: 0
; MemoryBound: 0
; FloatMode: 240
; IeeeMode: 1
; LDSByteSize: 0 bytes/workgroup (compile time only)
; SGPRBlocks: 0
; VGPRBlocks: 0
; NumSGPRsForWavesPerEU: 4
; NumVGPRsForWavesPerEU: 1
; AccumOffset: 4
; Occupancy: 8
; WaveLimiterHint : 0
; COMPUTE_PGM_RSRC2:SCRATCH_EN: 0
; COMPUTE_PGM_RSRC2:USER_SGPR: 6
; COMPUTE_PGM_RSRC2:TRAP_HANDLER: 0
; COMPUTE_PGM_RSRC2:TGID_X_EN: 1
; COMPUTE_PGM_RSRC2:TGID_Y_EN: 0
; COMPUTE_PGM_RSRC2:TGID_Z_EN: 0
; COMPUTE_PGM_RSRC2:TIDIG_COMP_CNT: 0
; COMPUTE_PGM_RSRC3_GFX90A:ACCUM_OFFSET: 0
; COMPUTE_PGM_RSRC3_GFX90A:TG_SPLIT: 0
	.section	.text._ZN7rocprim17ROCPRIM_400000_NS6detail17trampoline_kernelINS0_14default_configENS1_25partition_config_selectorILNS1_17partition_subalgoE9EllbEEZZNS1_14partition_implILS5_9ELb0ES3_jPlS8_PNS0_10empty_typeENS0_5tupleIJS8_S9_EEENSB_IJS8_SA_EEENS0_18inequality_wrapperIZN2at6native12_GLOBAL__N_124unique_dim_cuda_templateIN3c104HalfEEESt5tupleIJNSF_6TensorESM_SM_EERKSM_lbbbEUlllE0_EEPmJS9_EEE10hipError_tPvRmT3_T4_T5_T6_T7_T9_mT8_P12ihipStream_tbDpT10_ENKUlT_T0_E_clISt17integral_constantIbLb1EES1B_IbLb0EEEEDaS17_S18_EUlS17_E_NS1_11comp_targetILNS1_3genE8ELNS1_11target_archE1030ELNS1_3gpuE2ELNS1_3repE0EEENS1_30default_config_static_selectorELNS0_4arch9wavefront6targetE1EEEvT1_,"axG",@progbits,_ZN7rocprim17ROCPRIM_400000_NS6detail17trampoline_kernelINS0_14default_configENS1_25partition_config_selectorILNS1_17partition_subalgoE9EllbEEZZNS1_14partition_implILS5_9ELb0ES3_jPlS8_PNS0_10empty_typeENS0_5tupleIJS8_S9_EEENSB_IJS8_SA_EEENS0_18inequality_wrapperIZN2at6native12_GLOBAL__N_124unique_dim_cuda_templateIN3c104HalfEEESt5tupleIJNSF_6TensorESM_SM_EERKSM_lbbbEUlllE0_EEPmJS9_EEE10hipError_tPvRmT3_T4_T5_T6_T7_T9_mT8_P12ihipStream_tbDpT10_ENKUlT_T0_E_clISt17integral_constantIbLb1EES1B_IbLb0EEEEDaS17_S18_EUlS17_E_NS1_11comp_targetILNS1_3genE8ELNS1_11target_archE1030ELNS1_3gpuE2ELNS1_3repE0EEENS1_30default_config_static_selectorELNS0_4arch9wavefront6targetE1EEEvT1_,comdat
	.globl	_ZN7rocprim17ROCPRIM_400000_NS6detail17trampoline_kernelINS0_14default_configENS1_25partition_config_selectorILNS1_17partition_subalgoE9EllbEEZZNS1_14partition_implILS5_9ELb0ES3_jPlS8_PNS0_10empty_typeENS0_5tupleIJS8_S9_EEENSB_IJS8_SA_EEENS0_18inequality_wrapperIZN2at6native12_GLOBAL__N_124unique_dim_cuda_templateIN3c104HalfEEESt5tupleIJNSF_6TensorESM_SM_EERKSM_lbbbEUlllE0_EEPmJS9_EEE10hipError_tPvRmT3_T4_T5_T6_T7_T9_mT8_P12ihipStream_tbDpT10_ENKUlT_T0_E_clISt17integral_constantIbLb1EES1B_IbLb0EEEEDaS17_S18_EUlS17_E_NS1_11comp_targetILNS1_3genE8ELNS1_11target_archE1030ELNS1_3gpuE2ELNS1_3repE0EEENS1_30default_config_static_selectorELNS0_4arch9wavefront6targetE1EEEvT1_ ; -- Begin function _ZN7rocprim17ROCPRIM_400000_NS6detail17trampoline_kernelINS0_14default_configENS1_25partition_config_selectorILNS1_17partition_subalgoE9EllbEEZZNS1_14partition_implILS5_9ELb0ES3_jPlS8_PNS0_10empty_typeENS0_5tupleIJS8_S9_EEENSB_IJS8_SA_EEENS0_18inequality_wrapperIZN2at6native12_GLOBAL__N_124unique_dim_cuda_templateIN3c104HalfEEESt5tupleIJNSF_6TensorESM_SM_EERKSM_lbbbEUlllE0_EEPmJS9_EEE10hipError_tPvRmT3_T4_T5_T6_T7_T9_mT8_P12ihipStream_tbDpT10_ENKUlT_T0_E_clISt17integral_constantIbLb1EES1B_IbLb0EEEEDaS17_S18_EUlS17_E_NS1_11comp_targetILNS1_3genE8ELNS1_11target_archE1030ELNS1_3gpuE2ELNS1_3repE0EEENS1_30default_config_static_selectorELNS0_4arch9wavefront6targetE1EEEvT1_
	.p2align	8
	.type	_ZN7rocprim17ROCPRIM_400000_NS6detail17trampoline_kernelINS0_14default_configENS1_25partition_config_selectorILNS1_17partition_subalgoE9EllbEEZZNS1_14partition_implILS5_9ELb0ES3_jPlS8_PNS0_10empty_typeENS0_5tupleIJS8_S9_EEENSB_IJS8_SA_EEENS0_18inequality_wrapperIZN2at6native12_GLOBAL__N_124unique_dim_cuda_templateIN3c104HalfEEESt5tupleIJNSF_6TensorESM_SM_EERKSM_lbbbEUlllE0_EEPmJS9_EEE10hipError_tPvRmT3_T4_T5_T6_T7_T9_mT8_P12ihipStream_tbDpT10_ENKUlT_T0_E_clISt17integral_constantIbLb1EES1B_IbLb0EEEEDaS17_S18_EUlS17_E_NS1_11comp_targetILNS1_3genE8ELNS1_11target_archE1030ELNS1_3gpuE2ELNS1_3repE0EEENS1_30default_config_static_selectorELNS0_4arch9wavefront6targetE1EEEvT1_,@function
_ZN7rocprim17ROCPRIM_400000_NS6detail17trampoline_kernelINS0_14default_configENS1_25partition_config_selectorILNS1_17partition_subalgoE9EllbEEZZNS1_14partition_implILS5_9ELb0ES3_jPlS8_PNS0_10empty_typeENS0_5tupleIJS8_S9_EEENSB_IJS8_SA_EEENS0_18inequality_wrapperIZN2at6native12_GLOBAL__N_124unique_dim_cuda_templateIN3c104HalfEEESt5tupleIJNSF_6TensorESM_SM_EERKSM_lbbbEUlllE0_EEPmJS9_EEE10hipError_tPvRmT3_T4_T5_T6_T7_T9_mT8_P12ihipStream_tbDpT10_ENKUlT_T0_E_clISt17integral_constantIbLb1EES1B_IbLb0EEEEDaS17_S18_EUlS17_E_NS1_11comp_targetILNS1_3genE8ELNS1_11target_archE1030ELNS1_3gpuE2ELNS1_3repE0EEENS1_30default_config_static_selectorELNS0_4arch9wavefront6targetE1EEEvT1_: ; @_ZN7rocprim17ROCPRIM_400000_NS6detail17trampoline_kernelINS0_14default_configENS1_25partition_config_selectorILNS1_17partition_subalgoE9EllbEEZZNS1_14partition_implILS5_9ELb0ES3_jPlS8_PNS0_10empty_typeENS0_5tupleIJS8_S9_EEENSB_IJS8_SA_EEENS0_18inequality_wrapperIZN2at6native12_GLOBAL__N_124unique_dim_cuda_templateIN3c104HalfEEESt5tupleIJNSF_6TensorESM_SM_EERKSM_lbbbEUlllE0_EEPmJS9_EEE10hipError_tPvRmT3_T4_T5_T6_T7_T9_mT8_P12ihipStream_tbDpT10_ENKUlT_T0_E_clISt17integral_constantIbLb1EES1B_IbLb0EEEEDaS17_S18_EUlS17_E_NS1_11comp_targetILNS1_3genE8ELNS1_11target_archE1030ELNS1_3gpuE2ELNS1_3repE0EEENS1_30default_config_static_selectorELNS0_4arch9wavefront6targetE1EEEvT1_
; %bb.0:
	.section	.rodata,"a",@progbits
	.p2align	6, 0x0
	.amdhsa_kernel _ZN7rocprim17ROCPRIM_400000_NS6detail17trampoline_kernelINS0_14default_configENS1_25partition_config_selectorILNS1_17partition_subalgoE9EllbEEZZNS1_14partition_implILS5_9ELb0ES3_jPlS8_PNS0_10empty_typeENS0_5tupleIJS8_S9_EEENSB_IJS8_SA_EEENS0_18inequality_wrapperIZN2at6native12_GLOBAL__N_124unique_dim_cuda_templateIN3c104HalfEEESt5tupleIJNSF_6TensorESM_SM_EERKSM_lbbbEUlllE0_EEPmJS9_EEE10hipError_tPvRmT3_T4_T5_T6_T7_T9_mT8_P12ihipStream_tbDpT10_ENKUlT_T0_E_clISt17integral_constantIbLb1EES1B_IbLb0EEEEDaS17_S18_EUlS17_E_NS1_11comp_targetILNS1_3genE8ELNS1_11target_archE1030ELNS1_3gpuE2ELNS1_3repE0EEENS1_30default_config_static_selectorELNS0_4arch9wavefront6targetE1EEEvT1_
		.amdhsa_group_segment_fixed_size 0
		.amdhsa_private_segment_fixed_size 0
		.amdhsa_kernarg_size 120
		.amdhsa_user_sgpr_count 6
		.amdhsa_user_sgpr_private_segment_buffer 1
		.amdhsa_user_sgpr_dispatch_ptr 0
		.amdhsa_user_sgpr_queue_ptr 0
		.amdhsa_user_sgpr_kernarg_segment_ptr 1
		.amdhsa_user_sgpr_dispatch_id 0
		.amdhsa_user_sgpr_flat_scratch_init 0
		.amdhsa_user_sgpr_kernarg_preload_length 0
		.amdhsa_user_sgpr_kernarg_preload_offset 0
		.amdhsa_user_sgpr_private_segment_size 0
		.amdhsa_uses_dynamic_stack 0
		.amdhsa_system_sgpr_private_segment_wavefront_offset 0
		.amdhsa_system_sgpr_workgroup_id_x 1
		.amdhsa_system_sgpr_workgroup_id_y 0
		.amdhsa_system_sgpr_workgroup_id_z 0
		.amdhsa_system_sgpr_workgroup_info 0
		.amdhsa_system_vgpr_workitem_id 0
		.amdhsa_next_free_vgpr 1
		.amdhsa_next_free_sgpr 0
		.amdhsa_accum_offset 4
		.amdhsa_reserve_vcc 0
		.amdhsa_reserve_flat_scratch 0
		.amdhsa_float_round_mode_32 0
		.amdhsa_float_round_mode_16_64 0
		.amdhsa_float_denorm_mode_32 3
		.amdhsa_float_denorm_mode_16_64 3
		.amdhsa_dx10_clamp 1
		.amdhsa_ieee_mode 1
		.amdhsa_fp16_overflow 0
		.amdhsa_tg_split 0
		.amdhsa_exception_fp_ieee_invalid_op 0
		.amdhsa_exception_fp_denorm_src 0
		.amdhsa_exception_fp_ieee_div_zero 0
		.amdhsa_exception_fp_ieee_overflow 0
		.amdhsa_exception_fp_ieee_underflow 0
		.amdhsa_exception_fp_ieee_inexact 0
		.amdhsa_exception_int_div_zero 0
	.end_amdhsa_kernel
	.section	.text._ZN7rocprim17ROCPRIM_400000_NS6detail17trampoline_kernelINS0_14default_configENS1_25partition_config_selectorILNS1_17partition_subalgoE9EllbEEZZNS1_14partition_implILS5_9ELb0ES3_jPlS8_PNS0_10empty_typeENS0_5tupleIJS8_S9_EEENSB_IJS8_SA_EEENS0_18inequality_wrapperIZN2at6native12_GLOBAL__N_124unique_dim_cuda_templateIN3c104HalfEEESt5tupleIJNSF_6TensorESM_SM_EERKSM_lbbbEUlllE0_EEPmJS9_EEE10hipError_tPvRmT3_T4_T5_T6_T7_T9_mT8_P12ihipStream_tbDpT10_ENKUlT_T0_E_clISt17integral_constantIbLb1EES1B_IbLb0EEEEDaS17_S18_EUlS17_E_NS1_11comp_targetILNS1_3genE8ELNS1_11target_archE1030ELNS1_3gpuE2ELNS1_3repE0EEENS1_30default_config_static_selectorELNS0_4arch9wavefront6targetE1EEEvT1_,"axG",@progbits,_ZN7rocprim17ROCPRIM_400000_NS6detail17trampoline_kernelINS0_14default_configENS1_25partition_config_selectorILNS1_17partition_subalgoE9EllbEEZZNS1_14partition_implILS5_9ELb0ES3_jPlS8_PNS0_10empty_typeENS0_5tupleIJS8_S9_EEENSB_IJS8_SA_EEENS0_18inequality_wrapperIZN2at6native12_GLOBAL__N_124unique_dim_cuda_templateIN3c104HalfEEESt5tupleIJNSF_6TensorESM_SM_EERKSM_lbbbEUlllE0_EEPmJS9_EEE10hipError_tPvRmT3_T4_T5_T6_T7_T9_mT8_P12ihipStream_tbDpT10_ENKUlT_T0_E_clISt17integral_constantIbLb1EES1B_IbLb0EEEEDaS17_S18_EUlS17_E_NS1_11comp_targetILNS1_3genE8ELNS1_11target_archE1030ELNS1_3gpuE2ELNS1_3repE0EEENS1_30default_config_static_selectorELNS0_4arch9wavefront6targetE1EEEvT1_,comdat
.Lfunc_end1350:
	.size	_ZN7rocprim17ROCPRIM_400000_NS6detail17trampoline_kernelINS0_14default_configENS1_25partition_config_selectorILNS1_17partition_subalgoE9EllbEEZZNS1_14partition_implILS5_9ELb0ES3_jPlS8_PNS0_10empty_typeENS0_5tupleIJS8_S9_EEENSB_IJS8_SA_EEENS0_18inequality_wrapperIZN2at6native12_GLOBAL__N_124unique_dim_cuda_templateIN3c104HalfEEESt5tupleIJNSF_6TensorESM_SM_EERKSM_lbbbEUlllE0_EEPmJS9_EEE10hipError_tPvRmT3_T4_T5_T6_T7_T9_mT8_P12ihipStream_tbDpT10_ENKUlT_T0_E_clISt17integral_constantIbLb1EES1B_IbLb0EEEEDaS17_S18_EUlS17_E_NS1_11comp_targetILNS1_3genE8ELNS1_11target_archE1030ELNS1_3gpuE2ELNS1_3repE0EEENS1_30default_config_static_selectorELNS0_4arch9wavefront6targetE1EEEvT1_, .Lfunc_end1350-_ZN7rocprim17ROCPRIM_400000_NS6detail17trampoline_kernelINS0_14default_configENS1_25partition_config_selectorILNS1_17partition_subalgoE9EllbEEZZNS1_14partition_implILS5_9ELb0ES3_jPlS8_PNS0_10empty_typeENS0_5tupleIJS8_S9_EEENSB_IJS8_SA_EEENS0_18inequality_wrapperIZN2at6native12_GLOBAL__N_124unique_dim_cuda_templateIN3c104HalfEEESt5tupleIJNSF_6TensorESM_SM_EERKSM_lbbbEUlllE0_EEPmJS9_EEE10hipError_tPvRmT3_T4_T5_T6_T7_T9_mT8_P12ihipStream_tbDpT10_ENKUlT_T0_E_clISt17integral_constantIbLb1EES1B_IbLb0EEEEDaS17_S18_EUlS17_E_NS1_11comp_targetILNS1_3genE8ELNS1_11target_archE1030ELNS1_3gpuE2ELNS1_3repE0EEENS1_30default_config_static_selectorELNS0_4arch9wavefront6targetE1EEEvT1_
                                        ; -- End function
	.section	.AMDGPU.csdata,"",@progbits
; Kernel info:
; codeLenInByte = 0
; NumSgprs: 4
; NumVgprs: 0
; NumAgprs: 0
; TotalNumVgprs: 0
; ScratchSize: 0
; MemoryBound: 0
; FloatMode: 240
; IeeeMode: 1
; LDSByteSize: 0 bytes/workgroup (compile time only)
; SGPRBlocks: 0
; VGPRBlocks: 0
; NumSGPRsForWavesPerEU: 4
; NumVGPRsForWavesPerEU: 1
; AccumOffset: 4
; Occupancy: 8
; WaveLimiterHint : 0
; COMPUTE_PGM_RSRC2:SCRATCH_EN: 0
; COMPUTE_PGM_RSRC2:USER_SGPR: 6
; COMPUTE_PGM_RSRC2:TRAP_HANDLER: 0
; COMPUTE_PGM_RSRC2:TGID_X_EN: 1
; COMPUTE_PGM_RSRC2:TGID_Y_EN: 0
; COMPUTE_PGM_RSRC2:TGID_Z_EN: 0
; COMPUTE_PGM_RSRC2:TIDIG_COMP_CNT: 0
; COMPUTE_PGM_RSRC3_GFX90A:ACCUM_OFFSET: 0
; COMPUTE_PGM_RSRC3_GFX90A:TG_SPLIT: 0
	.section	.text._ZN7rocprim17ROCPRIM_400000_NS6detail17trampoline_kernelINS0_14default_configENS1_25partition_config_selectorILNS1_17partition_subalgoE9EllbEEZZNS1_14partition_implILS5_9ELb0ES3_jPlS8_PNS0_10empty_typeENS0_5tupleIJS8_S9_EEENSB_IJS8_SA_EEENS0_18inequality_wrapperIZN2at6native12_GLOBAL__N_124unique_dim_cuda_templateIN3c104HalfEEESt5tupleIJNSF_6TensorESM_SM_EERKSM_lbbbEUlllE0_EEPmJS9_EEE10hipError_tPvRmT3_T4_T5_T6_T7_T9_mT8_P12ihipStream_tbDpT10_ENKUlT_T0_E_clISt17integral_constantIbLb0EES1B_IbLb1EEEEDaS17_S18_EUlS17_E_NS1_11comp_targetILNS1_3genE0ELNS1_11target_archE4294967295ELNS1_3gpuE0ELNS1_3repE0EEENS1_30default_config_static_selectorELNS0_4arch9wavefront6targetE1EEEvT1_,"axG",@progbits,_ZN7rocprim17ROCPRIM_400000_NS6detail17trampoline_kernelINS0_14default_configENS1_25partition_config_selectorILNS1_17partition_subalgoE9EllbEEZZNS1_14partition_implILS5_9ELb0ES3_jPlS8_PNS0_10empty_typeENS0_5tupleIJS8_S9_EEENSB_IJS8_SA_EEENS0_18inequality_wrapperIZN2at6native12_GLOBAL__N_124unique_dim_cuda_templateIN3c104HalfEEESt5tupleIJNSF_6TensorESM_SM_EERKSM_lbbbEUlllE0_EEPmJS9_EEE10hipError_tPvRmT3_T4_T5_T6_T7_T9_mT8_P12ihipStream_tbDpT10_ENKUlT_T0_E_clISt17integral_constantIbLb0EES1B_IbLb1EEEEDaS17_S18_EUlS17_E_NS1_11comp_targetILNS1_3genE0ELNS1_11target_archE4294967295ELNS1_3gpuE0ELNS1_3repE0EEENS1_30default_config_static_selectorELNS0_4arch9wavefront6targetE1EEEvT1_,comdat
	.globl	_ZN7rocprim17ROCPRIM_400000_NS6detail17trampoline_kernelINS0_14default_configENS1_25partition_config_selectorILNS1_17partition_subalgoE9EllbEEZZNS1_14partition_implILS5_9ELb0ES3_jPlS8_PNS0_10empty_typeENS0_5tupleIJS8_S9_EEENSB_IJS8_SA_EEENS0_18inequality_wrapperIZN2at6native12_GLOBAL__N_124unique_dim_cuda_templateIN3c104HalfEEESt5tupleIJNSF_6TensorESM_SM_EERKSM_lbbbEUlllE0_EEPmJS9_EEE10hipError_tPvRmT3_T4_T5_T6_T7_T9_mT8_P12ihipStream_tbDpT10_ENKUlT_T0_E_clISt17integral_constantIbLb0EES1B_IbLb1EEEEDaS17_S18_EUlS17_E_NS1_11comp_targetILNS1_3genE0ELNS1_11target_archE4294967295ELNS1_3gpuE0ELNS1_3repE0EEENS1_30default_config_static_selectorELNS0_4arch9wavefront6targetE1EEEvT1_ ; -- Begin function _ZN7rocprim17ROCPRIM_400000_NS6detail17trampoline_kernelINS0_14default_configENS1_25partition_config_selectorILNS1_17partition_subalgoE9EllbEEZZNS1_14partition_implILS5_9ELb0ES3_jPlS8_PNS0_10empty_typeENS0_5tupleIJS8_S9_EEENSB_IJS8_SA_EEENS0_18inequality_wrapperIZN2at6native12_GLOBAL__N_124unique_dim_cuda_templateIN3c104HalfEEESt5tupleIJNSF_6TensorESM_SM_EERKSM_lbbbEUlllE0_EEPmJS9_EEE10hipError_tPvRmT3_T4_T5_T6_T7_T9_mT8_P12ihipStream_tbDpT10_ENKUlT_T0_E_clISt17integral_constantIbLb0EES1B_IbLb1EEEEDaS17_S18_EUlS17_E_NS1_11comp_targetILNS1_3genE0ELNS1_11target_archE4294967295ELNS1_3gpuE0ELNS1_3repE0EEENS1_30default_config_static_selectorELNS0_4arch9wavefront6targetE1EEEvT1_
	.p2align	8
	.type	_ZN7rocprim17ROCPRIM_400000_NS6detail17trampoline_kernelINS0_14default_configENS1_25partition_config_selectorILNS1_17partition_subalgoE9EllbEEZZNS1_14partition_implILS5_9ELb0ES3_jPlS8_PNS0_10empty_typeENS0_5tupleIJS8_S9_EEENSB_IJS8_SA_EEENS0_18inequality_wrapperIZN2at6native12_GLOBAL__N_124unique_dim_cuda_templateIN3c104HalfEEESt5tupleIJNSF_6TensorESM_SM_EERKSM_lbbbEUlllE0_EEPmJS9_EEE10hipError_tPvRmT3_T4_T5_T6_T7_T9_mT8_P12ihipStream_tbDpT10_ENKUlT_T0_E_clISt17integral_constantIbLb0EES1B_IbLb1EEEEDaS17_S18_EUlS17_E_NS1_11comp_targetILNS1_3genE0ELNS1_11target_archE4294967295ELNS1_3gpuE0ELNS1_3repE0EEENS1_30default_config_static_selectorELNS0_4arch9wavefront6targetE1EEEvT1_,@function
_ZN7rocprim17ROCPRIM_400000_NS6detail17trampoline_kernelINS0_14default_configENS1_25partition_config_selectorILNS1_17partition_subalgoE9EllbEEZZNS1_14partition_implILS5_9ELb0ES3_jPlS8_PNS0_10empty_typeENS0_5tupleIJS8_S9_EEENSB_IJS8_SA_EEENS0_18inequality_wrapperIZN2at6native12_GLOBAL__N_124unique_dim_cuda_templateIN3c104HalfEEESt5tupleIJNSF_6TensorESM_SM_EERKSM_lbbbEUlllE0_EEPmJS9_EEE10hipError_tPvRmT3_T4_T5_T6_T7_T9_mT8_P12ihipStream_tbDpT10_ENKUlT_T0_E_clISt17integral_constantIbLb0EES1B_IbLb1EEEEDaS17_S18_EUlS17_E_NS1_11comp_targetILNS1_3genE0ELNS1_11target_archE4294967295ELNS1_3gpuE0ELNS1_3repE0EEENS1_30default_config_static_selectorELNS0_4arch9wavefront6targetE1EEEvT1_: ; @_ZN7rocprim17ROCPRIM_400000_NS6detail17trampoline_kernelINS0_14default_configENS1_25partition_config_selectorILNS1_17partition_subalgoE9EllbEEZZNS1_14partition_implILS5_9ELb0ES3_jPlS8_PNS0_10empty_typeENS0_5tupleIJS8_S9_EEENSB_IJS8_SA_EEENS0_18inequality_wrapperIZN2at6native12_GLOBAL__N_124unique_dim_cuda_templateIN3c104HalfEEESt5tupleIJNSF_6TensorESM_SM_EERKSM_lbbbEUlllE0_EEPmJS9_EEE10hipError_tPvRmT3_T4_T5_T6_T7_T9_mT8_P12ihipStream_tbDpT10_ENKUlT_T0_E_clISt17integral_constantIbLb0EES1B_IbLb1EEEEDaS17_S18_EUlS17_E_NS1_11comp_targetILNS1_3genE0ELNS1_11target_archE4294967295ELNS1_3gpuE0ELNS1_3repE0EEENS1_30default_config_static_selectorELNS0_4arch9wavefront6targetE1EEEvT1_
; %bb.0:
	.section	.rodata,"a",@progbits
	.p2align	6, 0x0
	.amdhsa_kernel _ZN7rocprim17ROCPRIM_400000_NS6detail17trampoline_kernelINS0_14default_configENS1_25partition_config_selectorILNS1_17partition_subalgoE9EllbEEZZNS1_14partition_implILS5_9ELb0ES3_jPlS8_PNS0_10empty_typeENS0_5tupleIJS8_S9_EEENSB_IJS8_SA_EEENS0_18inequality_wrapperIZN2at6native12_GLOBAL__N_124unique_dim_cuda_templateIN3c104HalfEEESt5tupleIJNSF_6TensorESM_SM_EERKSM_lbbbEUlllE0_EEPmJS9_EEE10hipError_tPvRmT3_T4_T5_T6_T7_T9_mT8_P12ihipStream_tbDpT10_ENKUlT_T0_E_clISt17integral_constantIbLb0EES1B_IbLb1EEEEDaS17_S18_EUlS17_E_NS1_11comp_targetILNS1_3genE0ELNS1_11target_archE4294967295ELNS1_3gpuE0ELNS1_3repE0EEENS1_30default_config_static_selectorELNS0_4arch9wavefront6targetE1EEEvT1_
		.amdhsa_group_segment_fixed_size 0
		.amdhsa_private_segment_fixed_size 0
		.amdhsa_kernarg_size 136
		.amdhsa_user_sgpr_count 6
		.amdhsa_user_sgpr_private_segment_buffer 1
		.amdhsa_user_sgpr_dispatch_ptr 0
		.amdhsa_user_sgpr_queue_ptr 0
		.amdhsa_user_sgpr_kernarg_segment_ptr 1
		.amdhsa_user_sgpr_dispatch_id 0
		.amdhsa_user_sgpr_flat_scratch_init 0
		.amdhsa_user_sgpr_kernarg_preload_length 0
		.amdhsa_user_sgpr_kernarg_preload_offset 0
		.amdhsa_user_sgpr_private_segment_size 0
		.amdhsa_uses_dynamic_stack 0
		.amdhsa_system_sgpr_private_segment_wavefront_offset 0
		.amdhsa_system_sgpr_workgroup_id_x 1
		.amdhsa_system_sgpr_workgroup_id_y 0
		.amdhsa_system_sgpr_workgroup_id_z 0
		.amdhsa_system_sgpr_workgroup_info 0
		.amdhsa_system_vgpr_workitem_id 0
		.amdhsa_next_free_vgpr 1
		.amdhsa_next_free_sgpr 0
		.amdhsa_accum_offset 4
		.amdhsa_reserve_vcc 0
		.amdhsa_reserve_flat_scratch 0
		.amdhsa_float_round_mode_32 0
		.amdhsa_float_round_mode_16_64 0
		.amdhsa_float_denorm_mode_32 3
		.amdhsa_float_denorm_mode_16_64 3
		.amdhsa_dx10_clamp 1
		.amdhsa_ieee_mode 1
		.amdhsa_fp16_overflow 0
		.amdhsa_tg_split 0
		.amdhsa_exception_fp_ieee_invalid_op 0
		.amdhsa_exception_fp_denorm_src 0
		.amdhsa_exception_fp_ieee_div_zero 0
		.amdhsa_exception_fp_ieee_overflow 0
		.amdhsa_exception_fp_ieee_underflow 0
		.amdhsa_exception_fp_ieee_inexact 0
		.amdhsa_exception_int_div_zero 0
	.end_amdhsa_kernel
	.section	.text._ZN7rocprim17ROCPRIM_400000_NS6detail17trampoline_kernelINS0_14default_configENS1_25partition_config_selectorILNS1_17partition_subalgoE9EllbEEZZNS1_14partition_implILS5_9ELb0ES3_jPlS8_PNS0_10empty_typeENS0_5tupleIJS8_S9_EEENSB_IJS8_SA_EEENS0_18inequality_wrapperIZN2at6native12_GLOBAL__N_124unique_dim_cuda_templateIN3c104HalfEEESt5tupleIJNSF_6TensorESM_SM_EERKSM_lbbbEUlllE0_EEPmJS9_EEE10hipError_tPvRmT3_T4_T5_T6_T7_T9_mT8_P12ihipStream_tbDpT10_ENKUlT_T0_E_clISt17integral_constantIbLb0EES1B_IbLb1EEEEDaS17_S18_EUlS17_E_NS1_11comp_targetILNS1_3genE0ELNS1_11target_archE4294967295ELNS1_3gpuE0ELNS1_3repE0EEENS1_30default_config_static_selectorELNS0_4arch9wavefront6targetE1EEEvT1_,"axG",@progbits,_ZN7rocprim17ROCPRIM_400000_NS6detail17trampoline_kernelINS0_14default_configENS1_25partition_config_selectorILNS1_17partition_subalgoE9EllbEEZZNS1_14partition_implILS5_9ELb0ES3_jPlS8_PNS0_10empty_typeENS0_5tupleIJS8_S9_EEENSB_IJS8_SA_EEENS0_18inequality_wrapperIZN2at6native12_GLOBAL__N_124unique_dim_cuda_templateIN3c104HalfEEESt5tupleIJNSF_6TensorESM_SM_EERKSM_lbbbEUlllE0_EEPmJS9_EEE10hipError_tPvRmT3_T4_T5_T6_T7_T9_mT8_P12ihipStream_tbDpT10_ENKUlT_T0_E_clISt17integral_constantIbLb0EES1B_IbLb1EEEEDaS17_S18_EUlS17_E_NS1_11comp_targetILNS1_3genE0ELNS1_11target_archE4294967295ELNS1_3gpuE0ELNS1_3repE0EEENS1_30default_config_static_selectorELNS0_4arch9wavefront6targetE1EEEvT1_,comdat
.Lfunc_end1351:
	.size	_ZN7rocprim17ROCPRIM_400000_NS6detail17trampoline_kernelINS0_14default_configENS1_25partition_config_selectorILNS1_17partition_subalgoE9EllbEEZZNS1_14partition_implILS5_9ELb0ES3_jPlS8_PNS0_10empty_typeENS0_5tupleIJS8_S9_EEENSB_IJS8_SA_EEENS0_18inequality_wrapperIZN2at6native12_GLOBAL__N_124unique_dim_cuda_templateIN3c104HalfEEESt5tupleIJNSF_6TensorESM_SM_EERKSM_lbbbEUlllE0_EEPmJS9_EEE10hipError_tPvRmT3_T4_T5_T6_T7_T9_mT8_P12ihipStream_tbDpT10_ENKUlT_T0_E_clISt17integral_constantIbLb0EES1B_IbLb1EEEEDaS17_S18_EUlS17_E_NS1_11comp_targetILNS1_3genE0ELNS1_11target_archE4294967295ELNS1_3gpuE0ELNS1_3repE0EEENS1_30default_config_static_selectorELNS0_4arch9wavefront6targetE1EEEvT1_, .Lfunc_end1351-_ZN7rocprim17ROCPRIM_400000_NS6detail17trampoline_kernelINS0_14default_configENS1_25partition_config_selectorILNS1_17partition_subalgoE9EllbEEZZNS1_14partition_implILS5_9ELb0ES3_jPlS8_PNS0_10empty_typeENS0_5tupleIJS8_S9_EEENSB_IJS8_SA_EEENS0_18inequality_wrapperIZN2at6native12_GLOBAL__N_124unique_dim_cuda_templateIN3c104HalfEEESt5tupleIJNSF_6TensorESM_SM_EERKSM_lbbbEUlllE0_EEPmJS9_EEE10hipError_tPvRmT3_T4_T5_T6_T7_T9_mT8_P12ihipStream_tbDpT10_ENKUlT_T0_E_clISt17integral_constantIbLb0EES1B_IbLb1EEEEDaS17_S18_EUlS17_E_NS1_11comp_targetILNS1_3genE0ELNS1_11target_archE4294967295ELNS1_3gpuE0ELNS1_3repE0EEENS1_30default_config_static_selectorELNS0_4arch9wavefront6targetE1EEEvT1_
                                        ; -- End function
	.section	.AMDGPU.csdata,"",@progbits
; Kernel info:
; codeLenInByte = 0
; NumSgprs: 4
; NumVgprs: 0
; NumAgprs: 0
; TotalNumVgprs: 0
; ScratchSize: 0
; MemoryBound: 0
; FloatMode: 240
; IeeeMode: 1
; LDSByteSize: 0 bytes/workgroup (compile time only)
; SGPRBlocks: 0
; VGPRBlocks: 0
; NumSGPRsForWavesPerEU: 4
; NumVGPRsForWavesPerEU: 1
; AccumOffset: 4
; Occupancy: 8
; WaveLimiterHint : 0
; COMPUTE_PGM_RSRC2:SCRATCH_EN: 0
; COMPUTE_PGM_RSRC2:USER_SGPR: 6
; COMPUTE_PGM_RSRC2:TRAP_HANDLER: 0
; COMPUTE_PGM_RSRC2:TGID_X_EN: 1
; COMPUTE_PGM_RSRC2:TGID_Y_EN: 0
; COMPUTE_PGM_RSRC2:TGID_Z_EN: 0
; COMPUTE_PGM_RSRC2:TIDIG_COMP_CNT: 0
; COMPUTE_PGM_RSRC3_GFX90A:ACCUM_OFFSET: 0
; COMPUTE_PGM_RSRC3_GFX90A:TG_SPLIT: 0
	.section	.text._ZN7rocprim17ROCPRIM_400000_NS6detail17trampoline_kernelINS0_14default_configENS1_25partition_config_selectorILNS1_17partition_subalgoE9EllbEEZZNS1_14partition_implILS5_9ELb0ES3_jPlS8_PNS0_10empty_typeENS0_5tupleIJS8_S9_EEENSB_IJS8_SA_EEENS0_18inequality_wrapperIZN2at6native12_GLOBAL__N_124unique_dim_cuda_templateIN3c104HalfEEESt5tupleIJNSF_6TensorESM_SM_EERKSM_lbbbEUlllE0_EEPmJS9_EEE10hipError_tPvRmT3_T4_T5_T6_T7_T9_mT8_P12ihipStream_tbDpT10_ENKUlT_T0_E_clISt17integral_constantIbLb0EES1B_IbLb1EEEEDaS17_S18_EUlS17_E_NS1_11comp_targetILNS1_3genE5ELNS1_11target_archE942ELNS1_3gpuE9ELNS1_3repE0EEENS1_30default_config_static_selectorELNS0_4arch9wavefront6targetE1EEEvT1_,"axG",@progbits,_ZN7rocprim17ROCPRIM_400000_NS6detail17trampoline_kernelINS0_14default_configENS1_25partition_config_selectorILNS1_17partition_subalgoE9EllbEEZZNS1_14partition_implILS5_9ELb0ES3_jPlS8_PNS0_10empty_typeENS0_5tupleIJS8_S9_EEENSB_IJS8_SA_EEENS0_18inequality_wrapperIZN2at6native12_GLOBAL__N_124unique_dim_cuda_templateIN3c104HalfEEESt5tupleIJNSF_6TensorESM_SM_EERKSM_lbbbEUlllE0_EEPmJS9_EEE10hipError_tPvRmT3_T4_T5_T6_T7_T9_mT8_P12ihipStream_tbDpT10_ENKUlT_T0_E_clISt17integral_constantIbLb0EES1B_IbLb1EEEEDaS17_S18_EUlS17_E_NS1_11comp_targetILNS1_3genE5ELNS1_11target_archE942ELNS1_3gpuE9ELNS1_3repE0EEENS1_30default_config_static_selectorELNS0_4arch9wavefront6targetE1EEEvT1_,comdat
	.globl	_ZN7rocprim17ROCPRIM_400000_NS6detail17trampoline_kernelINS0_14default_configENS1_25partition_config_selectorILNS1_17partition_subalgoE9EllbEEZZNS1_14partition_implILS5_9ELb0ES3_jPlS8_PNS0_10empty_typeENS0_5tupleIJS8_S9_EEENSB_IJS8_SA_EEENS0_18inequality_wrapperIZN2at6native12_GLOBAL__N_124unique_dim_cuda_templateIN3c104HalfEEESt5tupleIJNSF_6TensorESM_SM_EERKSM_lbbbEUlllE0_EEPmJS9_EEE10hipError_tPvRmT3_T4_T5_T6_T7_T9_mT8_P12ihipStream_tbDpT10_ENKUlT_T0_E_clISt17integral_constantIbLb0EES1B_IbLb1EEEEDaS17_S18_EUlS17_E_NS1_11comp_targetILNS1_3genE5ELNS1_11target_archE942ELNS1_3gpuE9ELNS1_3repE0EEENS1_30default_config_static_selectorELNS0_4arch9wavefront6targetE1EEEvT1_ ; -- Begin function _ZN7rocprim17ROCPRIM_400000_NS6detail17trampoline_kernelINS0_14default_configENS1_25partition_config_selectorILNS1_17partition_subalgoE9EllbEEZZNS1_14partition_implILS5_9ELb0ES3_jPlS8_PNS0_10empty_typeENS0_5tupleIJS8_S9_EEENSB_IJS8_SA_EEENS0_18inequality_wrapperIZN2at6native12_GLOBAL__N_124unique_dim_cuda_templateIN3c104HalfEEESt5tupleIJNSF_6TensorESM_SM_EERKSM_lbbbEUlllE0_EEPmJS9_EEE10hipError_tPvRmT3_T4_T5_T6_T7_T9_mT8_P12ihipStream_tbDpT10_ENKUlT_T0_E_clISt17integral_constantIbLb0EES1B_IbLb1EEEEDaS17_S18_EUlS17_E_NS1_11comp_targetILNS1_3genE5ELNS1_11target_archE942ELNS1_3gpuE9ELNS1_3repE0EEENS1_30default_config_static_selectorELNS0_4arch9wavefront6targetE1EEEvT1_
	.p2align	8
	.type	_ZN7rocprim17ROCPRIM_400000_NS6detail17trampoline_kernelINS0_14default_configENS1_25partition_config_selectorILNS1_17partition_subalgoE9EllbEEZZNS1_14partition_implILS5_9ELb0ES3_jPlS8_PNS0_10empty_typeENS0_5tupleIJS8_S9_EEENSB_IJS8_SA_EEENS0_18inequality_wrapperIZN2at6native12_GLOBAL__N_124unique_dim_cuda_templateIN3c104HalfEEESt5tupleIJNSF_6TensorESM_SM_EERKSM_lbbbEUlllE0_EEPmJS9_EEE10hipError_tPvRmT3_T4_T5_T6_T7_T9_mT8_P12ihipStream_tbDpT10_ENKUlT_T0_E_clISt17integral_constantIbLb0EES1B_IbLb1EEEEDaS17_S18_EUlS17_E_NS1_11comp_targetILNS1_3genE5ELNS1_11target_archE942ELNS1_3gpuE9ELNS1_3repE0EEENS1_30default_config_static_selectorELNS0_4arch9wavefront6targetE1EEEvT1_,@function
_ZN7rocprim17ROCPRIM_400000_NS6detail17trampoline_kernelINS0_14default_configENS1_25partition_config_selectorILNS1_17partition_subalgoE9EllbEEZZNS1_14partition_implILS5_9ELb0ES3_jPlS8_PNS0_10empty_typeENS0_5tupleIJS8_S9_EEENSB_IJS8_SA_EEENS0_18inequality_wrapperIZN2at6native12_GLOBAL__N_124unique_dim_cuda_templateIN3c104HalfEEESt5tupleIJNSF_6TensorESM_SM_EERKSM_lbbbEUlllE0_EEPmJS9_EEE10hipError_tPvRmT3_T4_T5_T6_T7_T9_mT8_P12ihipStream_tbDpT10_ENKUlT_T0_E_clISt17integral_constantIbLb0EES1B_IbLb1EEEEDaS17_S18_EUlS17_E_NS1_11comp_targetILNS1_3genE5ELNS1_11target_archE942ELNS1_3gpuE9ELNS1_3repE0EEENS1_30default_config_static_selectorELNS0_4arch9wavefront6targetE1EEEvT1_: ; @_ZN7rocprim17ROCPRIM_400000_NS6detail17trampoline_kernelINS0_14default_configENS1_25partition_config_selectorILNS1_17partition_subalgoE9EllbEEZZNS1_14partition_implILS5_9ELb0ES3_jPlS8_PNS0_10empty_typeENS0_5tupleIJS8_S9_EEENSB_IJS8_SA_EEENS0_18inequality_wrapperIZN2at6native12_GLOBAL__N_124unique_dim_cuda_templateIN3c104HalfEEESt5tupleIJNSF_6TensorESM_SM_EERKSM_lbbbEUlllE0_EEPmJS9_EEE10hipError_tPvRmT3_T4_T5_T6_T7_T9_mT8_P12ihipStream_tbDpT10_ENKUlT_T0_E_clISt17integral_constantIbLb0EES1B_IbLb1EEEEDaS17_S18_EUlS17_E_NS1_11comp_targetILNS1_3genE5ELNS1_11target_archE942ELNS1_3gpuE9ELNS1_3repE0EEENS1_30default_config_static_selectorELNS0_4arch9wavefront6targetE1EEEvT1_
; %bb.0:
	.section	.rodata,"a",@progbits
	.p2align	6, 0x0
	.amdhsa_kernel _ZN7rocprim17ROCPRIM_400000_NS6detail17trampoline_kernelINS0_14default_configENS1_25partition_config_selectorILNS1_17partition_subalgoE9EllbEEZZNS1_14partition_implILS5_9ELb0ES3_jPlS8_PNS0_10empty_typeENS0_5tupleIJS8_S9_EEENSB_IJS8_SA_EEENS0_18inequality_wrapperIZN2at6native12_GLOBAL__N_124unique_dim_cuda_templateIN3c104HalfEEESt5tupleIJNSF_6TensorESM_SM_EERKSM_lbbbEUlllE0_EEPmJS9_EEE10hipError_tPvRmT3_T4_T5_T6_T7_T9_mT8_P12ihipStream_tbDpT10_ENKUlT_T0_E_clISt17integral_constantIbLb0EES1B_IbLb1EEEEDaS17_S18_EUlS17_E_NS1_11comp_targetILNS1_3genE5ELNS1_11target_archE942ELNS1_3gpuE9ELNS1_3repE0EEENS1_30default_config_static_selectorELNS0_4arch9wavefront6targetE1EEEvT1_
		.amdhsa_group_segment_fixed_size 0
		.amdhsa_private_segment_fixed_size 0
		.amdhsa_kernarg_size 136
		.amdhsa_user_sgpr_count 6
		.amdhsa_user_sgpr_private_segment_buffer 1
		.amdhsa_user_sgpr_dispatch_ptr 0
		.amdhsa_user_sgpr_queue_ptr 0
		.amdhsa_user_sgpr_kernarg_segment_ptr 1
		.amdhsa_user_sgpr_dispatch_id 0
		.amdhsa_user_sgpr_flat_scratch_init 0
		.amdhsa_user_sgpr_kernarg_preload_length 0
		.amdhsa_user_sgpr_kernarg_preload_offset 0
		.amdhsa_user_sgpr_private_segment_size 0
		.amdhsa_uses_dynamic_stack 0
		.amdhsa_system_sgpr_private_segment_wavefront_offset 0
		.amdhsa_system_sgpr_workgroup_id_x 1
		.amdhsa_system_sgpr_workgroup_id_y 0
		.amdhsa_system_sgpr_workgroup_id_z 0
		.amdhsa_system_sgpr_workgroup_info 0
		.amdhsa_system_vgpr_workitem_id 0
		.amdhsa_next_free_vgpr 1
		.amdhsa_next_free_sgpr 0
		.amdhsa_accum_offset 4
		.amdhsa_reserve_vcc 0
		.amdhsa_reserve_flat_scratch 0
		.amdhsa_float_round_mode_32 0
		.amdhsa_float_round_mode_16_64 0
		.amdhsa_float_denorm_mode_32 3
		.amdhsa_float_denorm_mode_16_64 3
		.amdhsa_dx10_clamp 1
		.amdhsa_ieee_mode 1
		.amdhsa_fp16_overflow 0
		.amdhsa_tg_split 0
		.amdhsa_exception_fp_ieee_invalid_op 0
		.amdhsa_exception_fp_denorm_src 0
		.amdhsa_exception_fp_ieee_div_zero 0
		.amdhsa_exception_fp_ieee_overflow 0
		.amdhsa_exception_fp_ieee_underflow 0
		.amdhsa_exception_fp_ieee_inexact 0
		.amdhsa_exception_int_div_zero 0
	.end_amdhsa_kernel
	.section	.text._ZN7rocprim17ROCPRIM_400000_NS6detail17trampoline_kernelINS0_14default_configENS1_25partition_config_selectorILNS1_17partition_subalgoE9EllbEEZZNS1_14partition_implILS5_9ELb0ES3_jPlS8_PNS0_10empty_typeENS0_5tupleIJS8_S9_EEENSB_IJS8_SA_EEENS0_18inequality_wrapperIZN2at6native12_GLOBAL__N_124unique_dim_cuda_templateIN3c104HalfEEESt5tupleIJNSF_6TensorESM_SM_EERKSM_lbbbEUlllE0_EEPmJS9_EEE10hipError_tPvRmT3_T4_T5_T6_T7_T9_mT8_P12ihipStream_tbDpT10_ENKUlT_T0_E_clISt17integral_constantIbLb0EES1B_IbLb1EEEEDaS17_S18_EUlS17_E_NS1_11comp_targetILNS1_3genE5ELNS1_11target_archE942ELNS1_3gpuE9ELNS1_3repE0EEENS1_30default_config_static_selectorELNS0_4arch9wavefront6targetE1EEEvT1_,"axG",@progbits,_ZN7rocprim17ROCPRIM_400000_NS6detail17trampoline_kernelINS0_14default_configENS1_25partition_config_selectorILNS1_17partition_subalgoE9EllbEEZZNS1_14partition_implILS5_9ELb0ES3_jPlS8_PNS0_10empty_typeENS0_5tupleIJS8_S9_EEENSB_IJS8_SA_EEENS0_18inequality_wrapperIZN2at6native12_GLOBAL__N_124unique_dim_cuda_templateIN3c104HalfEEESt5tupleIJNSF_6TensorESM_SM_EERKSM_lbbbEUlllE0_EEPmJS9_EEE10hipError_tPvRmT3_T4_T5_T6_T7_T9_mT8_P12ihipStream_tbDpT10_ENKUlT_T0_E_clISt17integral_constantIbLb0EES1B_IbLb1EEEEDaS17_S18_EUlS17_E_NS1_11comp_targetILNS1_3genE5ELNS1_11target_archE942ELNS1_3gpuE9ELNS1_3repE0EEENS1_30default_config_static_selectorELNS0_4arch9wavefront6targetE1EEEvT1_,comdat
.Lfunc_end1352:
	.size	_ZN7rocprim17ROCPRIM_400000_NS6detail17trampoline_kernelINS0_14default_configENS1_25partition_config_selectorILNS1_17partition_subalgoE9EllbEEZZNS1_14partition_implILS5_9ELb0ES3_jPlS8_PNS0_10empty_typeENS0_5tupleIJS8_S9_EEENSB_IJS8_SA_EEENS0_18inequality_wrapperIZN2at6native12_GLOBAL__N_124unique_dim_cuda_templateIN3c104HalfEEESt5tupleIJNSF_6TensorESM_SM_EERKSM_lbbbEUlllE0_EEPmJS9_EEE10hipError_tPvRmT3_T4_T5_T6_T7_T9_mT8_P12ihipStream_tbDpT10_ENKUlT_T0_E_clISt17integral_constantIbLb0EES1B_IbLb1EEEEDaS17_S18_EUlS17_E_NS1_11comp_targetILNS1_3genE5ELNS1_11target_archE942ELNS1_3gpuE9ELNS1_3repE0EEENS1_30default_config_static_selectorELNS0_4arch9wavefront6targetE1EEEvT1_, .Lfunc_end1352-_ZN7rocprim17ROCPRIM_400000_NS6detail17trampoline_kernelINS0_14default_configENS1_25partition_config_selectorILNS1_17partition_subalgoE9EllbEEZZNS1_14partition_implILS5_9ELb0ES3_jPlS8_PNS0_10empty_typeENS0_5tupleIJS8_S9_EEENSB_IJS8_SA_EEENS0_18inequality_wrapperIZN2at6native12_GLOBAL__N_124unique_dim_cuda_templateIN3c104HalfEEESt5tupleIJNSF_6TensorESM_SM_EERKSM_lbbbEUlllE0_EEPmJS9_EEE10hipError_tPvRmT3_T4_T5_T6_T7_T9_mT8_P12ihipStream_tbDpT10_ENKUlT_T0_E_clISt17integral_constantIbLb0EES1B_IbLb1EEEEDaS17_S18_EUlS17_E_NS1_11comp_targetILNS1_3genE5ELNS1_11target_archE942ELNS1_3gpuE9ELNS1_3repE0EEENS1_30default_config_static_selectorELNS0_4arch9wavefront6targetE1EEEvT1_
                                        ; -- End function
	.section	.AMDGPU.csdata,"",@progbits
; Kernel info:
; codeLenInByte = 0
; NumSgprs: 4
; NumVgprs: 0
; NumAgprs: 0
; TotalNumVgprs: 0
; ScratchSize: 0
; MemoryBound: 0
; FloatMode: 240
; IeeeMode: 1
; LDSByteSize: 0 bytes/workgroup (compile time only)
; SGPRBlocks: 0
; VGPRBlocks: 0
; NumSGPRsForWavesPerEU: 4
; NumVGPRsForWavesPerEU: 1
; AccumOffset: 4
; Occupancy: 8
; WaveLimiterHint : 0
; COMPUTE_PGM_RSRC2:SCRATCH_EN: 0
; COMPUTE_PGM_RSRC2:USER_SGPR: 6
; COMPUTE_PGM_RSRC2:TRAP_HANDLER: 0
; COMPUTE_PGM_RSRC2:TGID_X_EN: 1
; COMPUTE_PGM_RSRC2:TGID_Y_EN: 0
; COMPUTE_PGM_RSRC2:TGID_Z_EN: 0
; COMPUTE_PGM_RSRC2:TIDIG_COMP_CNT: 0
; COMPUTE_PGM_RSRC3_GFX90A:ACCUM_OFFSET: 0
; COMPUTE_PGM_RSRC3_GFX90A:TG_SPLIT: 0
	.section	.text._ZN7rocprim17ROCPRIM_400000_NS6detail17trampoline_kernelINS0_14default_configENS1_25partition_config_selectorILNS1_17partition_subalgoE9EllbEEZZNS1_14partition_implILS5_9ELb0ES3_jPlS8_PNS0_10empty_typeENS0_5tupleIJS8_S9_EEENSB_IJS8_SA_EEENS0_18inequality_wrapperIZN2at6native12_GLOBAL__N_124unique_dim_cuda_templateIN3c104HalfEEESt5tupleIJNSF_6TensorESM_SM_EERKSM_lbbbEUlllE0_EEPmJS9_EEE10hipError_tPvRmT3_T4_T5_T6_T7_T9_mT8_P12ihipStream_tbDpT10_ENKUlT_T0_E_clISt17integral_constantIbLb0EES1B_IbLb1EEEEDaS17_S18_EUlS17_E_NS1_11comp_targetILNS1_3genE4ELNS1_11target_archE910ELNS1_3gpuE8ELNS1_3repE0EEENS1_30default_config_static_selectorELNS0_4arch9wavefront6targetE1EEEvT1_,"axG",@progbits,_ZN7rocprim17ROCPRIM_400000_NS6detail17trampoline_kernelINS0_14default_configENS1_25partition_config_selectorILNS1_17partition_subalgoE9EllbEEZZNS1_14partition_implILS5_9ELb0ES3_jPlS8_PNS0_10empty_typeENS0_5tupleIJS8_S9_EEENSB_IJS8_SA_EEENS0_18inequality_wrapperIZN2at6native12_GLOBAL__N_124unique_dim_cuda_templateIN3c104HalfEEESt5tupleIJNSF_6TensorESM_SM_EERKSM_lbbbEUlllE0_EEPmJS9_EEE10hipError_tPvRmT3_T4_T5_T6_T7_T9_mT8_P12ihipStream_tbDpT10_ENKUlT_T0_E_clISt17integral_constantIbLb0EES1B_IbLb1EEEEDaS17_S18_EUlS17_E_NS1_11comp_targetILNS1_3genE4ELNS1_11target_archE910ELNS1_3gpuE8ELNS1_3repE0EEENS1_30default_config_static_selectorELNS0_4arch9wavefront6targetE1EEEvT1_,comdat
	.globl	_ZN7rocprim17ROCPRIM_400000_NS6detail17trampoline_kernelINS0_14default_configENS1_25partition_config_selectorILNS1_17partition_subalgoE9EllbEEZZNS1_14partition_implILS5_9ELb0ES3_jPlS8_PNS0_10empty_typeENS0_5tupleIJS8_S9_EEENSB_IJS8_SA_EEENS0_18inequality_wrapperIZN2at6native12_GLOBAL__N_124unique_dim_cuda_templateIN3c104HalfEEESt5tupleIJNSF_6TensorESM_SM_EERKSM_lbbbEUlllE0_EEPmJS9_EEE10hipError_tPvRmT3_T4_T5_T6_T7_T9_mT8_P12ihipStream_tbDpT10_ENKUlT_T0_E_clISt17integral_constantIbLb0EES1B_IbLb1EEEEDaS17_S18_EUlS17_E_NS1_11comp_targetILNS1_3genE4ELNS1_11target_archE910ELNS1_3gpuE8ELNS1_3repE0EEENS1_30default_config_static_selectorELNS0_4arch9wavefront6targetE1EEEvT1_ ; -- Begin function _ZN7rocprim17ROCPRIM_400000_NS6detail17trampoline_kernelINS0_14default_configENS1_25partition_config_selectorILNS1_17partition_subalgoE9EllbEEZZNS1_14partition_implILS5_9ELb0ES3_jPlS8_PNS0_10empty_typeENS0_5tupleIJS8_S9_EEENSB_IJS8_SA_EEENS0_18inequality_wrapperIZN2at6native12_GLOBAL__N_124unique_dim_cuda_templateIN3c104HalfEEESt5tupleIJNSF_6TensorESM_SM_EERKSM_lbbbEUlllE0_EEPmJS9_EEE10hipError_tPvRmT3_T4_T5_T6_T7_T9_mT8_P12ihipStream_tbDpT10_ENKUlT_T0_E_clISt17integral_constantIbLb0EES1B_IbLb1EEEEDaS17_S18_EUlS17_E_NS1_11comp_targetILNS1_3genE4ELNS1_11target_archE910ELNS1_3gpuE8ELNS1_3repE0EEENS1_30default_config_static_selectorELNS0_4arch9wavefront6targetE1EEEvT1_
	.p2align	8
	.type	_ZN7rocprim17ROCPRIM_400000_NS6detail17trampoline_kernelINS0_14default_configENS1_25partition_config_selectorILNS1_17partition_subalgoE9EllbEEZZNS1_14partition_implILS5_9ELb0ES3_jPlS8_PNS0_10empty_typeENS0_5tupleIJS8_S9_EEENSB_IJS8_SA_EEENS0_18inequality_wrapperIZN2at6native12_GLOBAL__N_124unique_dim_cuda_templateIN3c104HalfEEESt5tupleIJNSF_6TensorESM_SM_EERKSM_lbbbEUlllE0_EEPmJS9_EEE10hipError_tPvRmT3_T4_T5_T6_T7_T9_mT8_P12ihipStream_tbDpT10_ENKUlT_T0_E_clISt17integral_constantIbLb0EES1B_IbLb1EEEEDaS17_S18_EUlS17_E_NS1_11comp_targetILNS1_3genE4ELNS1_11target_archE910ELNS1_3gpuE8ELNS1_3repE0EEENS1_30default_config_static_selectorELNS0_4arch9wavefront6targetE1EEEvT1_,@function
_ZN7rocprim17ROCPRIM_400000_NS6detail17trampoline_kernelINS0_14default_configENS1_25partition_config_selectorILNS1_17partition_subalgoE9EllbEEZZNS1_14partition_implILS5_9ELb0ES3_jPlS8_PNS0_10empty_typeENS0_5tupleIJS8_S9_EEENSB_IJS8_SA_EEENS0_18inequality_wrapperIZN2at6native12_GLOBAL__N_124unique_dim_cuda_templateIN3c104HalfEEESt5tupleIJNSF_6TensorESM_SM_EERKSM_lbbbEUlllE0_EEPmJS9_EEE10hipError_tPvRmT3_T4_T5_T6_T7_T9_mT8_P12ihipStream_tbDpT10_ENKUlT_T0_E_clISt17integral_constantIbLb0EES1B_IbLb1EEEEDaS17_S18_EUlS17_E_NS1_11comp_targetILNS1_3genE4ELNS1_11target_archE910ELNS1_3gpuE8ELNS1_3repE0EEENS1_30default_config_static_selectorELNS0_4arch9wavefront6targetE1EEEvT1_: ; @_ZN7rocprim17ROCPRIM_400000_NS6detail17trampoline_kernelINS0_14default_configENS1_25partition_config_selectorILNS1_17partition_subalgoE9EllbEEZZNS1_14partition_implILS5_9ELb0ES3_jPlS8_PNS0_10empty_typeENS0_5tupleIJS8_S9_EEENSB_IJS8_SA_EEENS0_18inequality_wrapperIZN2at6native12_GLOBAL__N_124unique_dim_cuda_templateIN3c104HalfEEESt5tupleIJNSF_6TensorESM_SM_EERKSM_lbbbEUlllE0_EEPmJS9_EEE10hipError_tPvRmT3_T4_T5_T6_T7_T9_mT8_P12ihipStream_tbDpT10_ENKUlT_T0_E_clISt17integral_constantIbLb0EES1B_IbLb1EEEEDaS17_S18_EUlS17_E_NS1_11comp_targetILNS1_3genE4ELNS1_11target_archE910ELNS1_3gpuE8ELNS1_3repE0EEENS1_30default_config_static_selectorELNS0_4arch9wavefront6targetE1EEEvT1_
; %bb.0:
	s_load_dwordx4 s[8:11], s[4:5], 0x8
	s_load_dwordx2 s[14:15], s[4:5], 0x18
	s_load_dwordx8 s[20:27], s[4:5], 0x40
	s_load_dwordx4 s[16:19], s[4:5], 0x60
	v_cmp_ne_u32_e64 s[2:3], 0, v0
	v_cmp_eq_u32_e64 s[0:1], 0, v0
	s_and_saveexec_b64 s[6:7], s[0:1]
	s_cbranch_execz .LBB1353_4
; %bb.1:
	s_mov_b64 s[28:29], exec
	v_mbcnt_lo_u32_b32 v1, s28, 0
	v_mbcnt_hi_u32_b32 v1, s29, v1
	v_cmp_eq_u32_e32 vcc, 0, v1
                                        ; implicit-def: $vgpr2
	s_and_saveexec_b64 s[12:13], vcc
	s_cbranch_execz .LBB1353_3
; %bb.2:
	s_load_dwordx2 s[30:31], s[4:5], 0x78
	s_bcnt1_i32_b64 s28, s[28:29]
	v_mov_b32_e32 v2, 0
	v_mov_b32_e32 v3, s28
	s_waitcnt lgkmcnt(0)
	global_atomic_add v2, v2, v3, s[30:31] glc
.LBB1353_3:
	s_or_b64 exec, exec, s[12:13]
	s_waitcnt vmcnt(0)
	v_readfirstlane_b32 s12, v2
	v_add_u32_e32 v1, s12, v1
	v_mov_b32_e32 v2, 0
	ds_write_b32 v2, v1
.LBB1353_4:
	s_or_b64 exec, exec, s[6:7]
	v_mov_b32_e32 v1, 0
	s_load_dwordx4 s[28:31], s[4:5], 0x28
	s_load_dword s6, s[4:5], 0x70
	s_waitcnt lgkmcnt(0)
	s_barrier
	ds_read_b32 v6, v1
	s_waitcnt lgkmcnt(0)
	s_barrier
	global_load_dwordx2 v[2:3], v1, s[22:23]
	s_lshl_b64 s[36:37], s[10:11], 3
	s_add_u32 s22, s8, s36
	s_addc_u32 s23, s9, s37
	s_add_i32 s12, s6, -1
	s_lshl_b32 s8, s6, 9
	s_lshl_b32 s6, s12, 9
	s_add_i32 s6, s10, s6
	v_readfirstlane_b32 s33, v6
	s_sub_i32 s48, s24, s6
	s_lshl_b32 s6, s33, 9
	s_add_u32 s8, s10, s8
	s_addc_u32 s9, s11, 0
	v_mov_b32_e32 v4, s24
	v_mov_b32_e32 v5, s25
	s_cmp_eq_u32 s33, s12
	v_cmp_ge_u64_e32 vcc, s[8:9], v[4:5]
	s_cselect_b64 s[24:25], -1, 0
	s_mov_b32 s7, 0
	s_and_b64 s[12:13], vcc, s[24:25]
	s_lshl_b64 s[8:9], s[6:7], 3
	s_xor_b64 s[34:35], s[12:13], -1
	s_add_u32 s6, s22, s8
	s_mov_b64 s[4:5], -1
	v_lshrrev_b32_e32 v18, 2, v0
	s_addc_u32 s7, s23, s9
	s_and_b64 vcc, exec, s[34:35]
	s_waitcnt vmcnt(0)
	v_readfirstlane_b32 s22, v2
	v_readfirstlane_b32 s23, v3
	s_cbranch_vccz .LBB1353_6
; %bb.5:
	v_lshlrev_b32_e32 v1, 3, v0
	global_load_dwordx2 v[2:3], v1, s[6:7]
	global_load_dwordx2 v[4:5], v1, s[6:7] offset:1024
	global_load_dwordx2 v[6:7], v1, s[6:7] offset:2048
	;; [unrolled: 1-line block ×3, first 2 shown]
	v_or_b32_e32 v11, 0x80, v0
	v_or_b32_e32 v12, 0x100, v0
	;; [unrolled: 1-line block ×3, first 2 shown]
	v_and_b32_e32 v10, 24, v18
	v_lshrrev_b32_e32 v11, 2, v11
	v_lshrrev_b32_e32 v12, 2, v12
	;; [unrolled: 1-line block ×3, first 2 shown]
	v_add_u32_e32 v10, v10, v1
	v_and_b32_e32 v11, 56, v11
	v_and_b32_e32 v12, 0x58, v12
	v_and_b32_e32 v13, 0x78, v13
	v_add_u32_e32 v11, v11, v1
	v_add_u32_e32 v12, v12, v1
	;; [unrolled: 1-line block ×3, first 2 shown]
	s_mov_b64 s[4:5], 0
	s_waitcnt vmcnt(3)
	ds_write_b64 v10, v[2:3]
	s_waitcnt vmcnt(2)
	ds_write_b64 v11, v[4:5] offset:1024
	s_waitcnt vmcnt(1)
	ds_write_b64 v12, v[6:7] offset:2048
	;; [unrolled: 2-line block ×3, first 2 shown]
	s_waitcnt lgkmcnt(0)
	s_barrier
.LBB1353_6:
	s_andn2_b64 vcc, exec, s[4:5]
	v_cmp_gt_u32_e64 s[4:5], s48, v0
	s_cbranch_vccnz .LBB1353_16
; %bb.7:
                                        ; implicit-def: $vgpr2_vgpr3_vgpr4_vgpr5_vgpr6_vgpr7_vgpr8_vgpr9
	s_and_saveexec_b64 s[38:39], s[4:5]
	s_cbranch_execz .LBB1353_9
; %bb.8:
	v_lshlrev_b32_e32 v1, 3, v0
	global_load_dwordx2 v[2:3], v1, s[6:7]
.LBB1353_9:
	s_or_b64 exec, exec, s[38:39]
	v_or_b32_e32 v1, 0x80, v0
	v_cmp_gt_u32_e32 vcc, s48, v1
	s_and_saveexec_b64 s[4:5], vcc
	s_cbranch_execz .LBB1353_11
; %bb.10:
	v_lshlrev_b32_e32 v4, 3, v0
	global_load_dwordx2 v[4:5], v4, s[6:7] offset:1024
.LBB1353_11:
	s_or_b64 exec, exec, s[4:5]
	v_or_b32_e32 v10, 0x100, v0
	v_cmp_gt_u32_e32 vcc, s48, v10
	s_and_saveexec_b64 s[4:5], vcc
	s_cbranch_execz .LBB1353_13
; %bb.12:
	v_lshlrev_b32_e32 v6, 3, v0
	global_load_dwordx2 v[6:7], v6, s[6:7] offset:2048
.LBB1353_13:
	;; [unrolled: 9-line block ×3, first 2 shown]
	s_or_b64 exec, exec, s[4:5]
	v_lshrrev_b32_e32 v1, 2, v1
	v_lshlrev_b32_e32 v13, 3, v0
	v_and_b32_e32 v1, 56, v1
	v_add_u32_e32 v1, v1, v13
	s_waitcnt vmcnt(0)
	ds_write_b64 v1, v[4:5] offset:1024
	v_lshrrev_b32_e32 v1, 2, v10
	v_and_b32_e32 v1, 0x78, v1
	v_add_u32_e32 v1, v1, v13
	ds_write_b64 v1, v[6:7] offset:2048
	v_lshrrev_b32_e32 v1, 2, v11
	v_and_b32_e32 v12, 24, v18
	v_and_b32_e32 v1, 0x78, v1
	v_add_u32_e32 v12, v12, v13
	v_add_u32_e32 v1, v1, v13
	ds_write_b64 v12, v[2:3]
	ds_write_b64 v1, v[8:9] offset:3072
	s_waitcnt lgkmcnt(0)
	s_barrier
.LBB1353_16:
	v_lshlrev_b32_e32 v1, 2, v0
	v_lshrrev_b32_e32 v2, 3, v0
	v_add_lshl_u32 v19, v2, v1, 3
	ds_read2_b64 v[14:17], v19 offset1:1
	ds_read2_b64 v[10:13], v19 offset0:2 offset1:3
	s_add_u32 s4, s14, s36
	s_addc_u32 s5, s15, s37
	s_add_u32 s4, s4, s8
	s_addc_u32 s5, s5, s9
	s_mov_b64 s[8:9], -1
	s_and_b64 vcc, exec, s[34:35]
	s_waitcnt lgkmcnt(0)
	s_barrier
	s_cbranch_vccz .LBB1353_18
; %bb.17:
	v_lshlrev_b32_e32 v20, 3, v0
	global_load_dwordx2 v[2:3], v20, s[4:5]
	global_load_dwordx2 v[4:5], v20, s[4:5] offset:1024
	global_load_dwordx2 v[6:7], v20, s[4:5] offset:2048
	;; [unrolled: 1-line block ×3, first 2 shown]
	v_or_b32_e32 v22, 0x80, v0
	v_or_b32_e32 v23, 0x100, v0
	;; [unrolled: 1-line block ×3, first 2 shown]
	v_and_b32_e32 v21, 24, v18
	v_lshrrev_b32_e32 v22, 2, v22
	v_lshrrev_b32_e32 v23, 2, v23
	;; [unrolled: 1-line block ×3, first 2 shown]
	v_add_u32_e32 v21, v21, v20
	v_and_b32_e32 v22, 56, v22
	v_and_b32_e32 v23, 0x58, v23
	v_and_b32_e32 v24, 0x78, v24
	v_add_u32_e32 v22, v22, v20
	v_add_u32_e32 v23, v23, v20
	;; [unrolled: 1-line block ×3, first 2 shown]
	s_mov_b64 s[8:9], 0
	s_waitcnt vmcnt(3)
	ds_write_b64 v21, v[2:3]
	s_waitcnt vmcnt(2)
	ds_write_b64 v22, v[4:5] offset:1024
	s_waitcnt vmcnt(1)
	ds_write_b64 v23, v[6:7] offset:2048
	;; [unrolled: 2-line block ×3, first 2 shown]
	s_waitcnt lgkmcnt(0)
	s_barrier
.LBB1353_18:
	s_andn2_b64 vcc, exec, s[8:9]
	s_cbranch_vccnz .LBB1353_28
; %bb.19:
	v_cmp_gt_u32_e32 vcc, s48, v0
                                        ; implicit-def: $vgpr2_vgpr3
	s_and_saveexec_b64 s[8:9], vcc
	s_cbranch_execz .LBB1353_21
; %bb.20:
	v_lshlrev_b32_e32 v2, 3, v0
	global_load_dwordx2 v[2:3], v2, s[4:5]
.LBB1353_21:
	s_or_b64 exec, exec, s[8:9]
	v_or_b32_e32 v20, 0x80, v0
	v_cmp_gt_u32_e32 vcc, s48, v20
                                        ; implicit-def: $vgpr4_vgpr5
	s_and_saveexec_b64 s[8:9], vcc
	s_cbranch_execz .LBB1353_23
; %bb.22:
	v_lshlrev_b32_e32 v4, 3, v0
	global_load_dwordx2 v[4:5], v4, s[4:5] offset:1024
.LBB1353_23:
	s_or_b64 exec, exec, s[8:9]
	v_or_b32_e32 v21, 0x100, v0
	v_cmp_gt_u32_e32 vcc, s48, v21
                                        ; implicit-def: $vgpr6_vgpr7
	s_and_saveexec_b64 s[8:9], vcc
	s_cbranch_execz .LBB1353_25
; %bb.24:
	v_lshlrev_b32_e32 v6, 3, v0
	global_load_dwordx2 v[6:7], v6, s[4:5] offset:2048
.LBB1353_25:
	s_or_b64 exec, exec, s[8:9]
	v_or_b32_e32 v22, 0x180, v0
	v_cmp_gt_u32_e32 vcc, s48, v22
                                        ; implicit-def: $vgpr8_vgpr9
	s_and_saveexec_b64 s[8:9], vcc
	s_cbranch_execz .LBB1353_27
; %bb.26:
	v_lshlrev_b32_e32 v8, 3, v0
	global_load_dwordx2 v[8:9], v8, s[4:5] offset:3072
.LBB1353_27:
	s_or_b64 exec, exec, s[8:9]
	v_and_b32_e32 v18, 24, v18
	v_lshlrev_b32_e32 v23, 3, v0
	v_add_u32_e32 v18, v18, v23
	s_waitcnt vmcnt(0)
	ds_write_b64 v18, v[2:3]
	v_lshrrev_b32_e32 v2, 2, v20
	v_and_b32_e32 v2, 56, v2
	v_add_u32_e32 v2, v2, v23
	ds_write_b64 v2, v[4:5] offset:1024
	v_lshrrev_b32_e32 v2, 2, v21
	v_and_b32_e32 v2, 0x78, v2
	v_add_u32_e32 v2, v2, v23
	ds_write_b64 v2, v[6:7] offset:2048
	;; [unrolled: 4-line block ×3, first 2 shown]
	s_waitcnt lgkmcnt(0)
	s_barrier
.LBB1353_28:
	ds_read2_b64 v[6:9], v19 offset1:1
	ds_read2_b64 v[2:5], v19 offset0:2 offset1:3
	s_cmp_lg_u32 s33, 0
	s_cselect_b64 s[36:37], -1, 0
	s_cmp_lg_u64 s[10:11], 0
	s_cselect_b64 s[4:5], -1, 0
	s_or_b64 s[4:5], s[4:5], s[36:37]
	s_mov_b64 s[14:15], 0
	s_and_b64 vcc, exec, s[4:5]
	v_cmp_gt_i64_e64 s[4:5], s[26:27], 0
	s_waitcnt lgkmcnt(0)
	s_barrier
	s_cbranch_vccz .LBB1353_37
; %bb.29:
	v_mov_b32_e32 v18, 0
	global_load_dwordx2 v[18:19], v18, s[6:7] offset:-8
	v_cndmask_b32_e64 v20, 0, 1, s[4:5]
	v_lshlrev_b32_e32 v29, 3, v0
	s_mov_b64 s[10:11], 0
	s_and_b64 vcc, exec, s[34:35]
	v_cmp_ne_u32_e64 s[4:5], 1, v20
	ds_write_b64 v29, v[12:13]
	s_cbranch_vccz .LBB1353_38
; %bb.30:
	v_mul_lo_u32 v22, v11, s26
	v_mul_lo_u32 v23, v10, s27
	v_mad_u64_u32 v[20:21], s[6:7], v10, s26, 0
	v_add3_u32 v21, v21, v23, v22
	s_and_b64 vcc, exec, s[4:5]
	v_lshlrev_b64 v[20:21], 1, v[20:21]
	s_cbranch_vccnz .LBB1353_41
; %bb.31:
	v_mul_lo_u32 v24, v13, s26
	v_mul_lo_u32 v25, v12, s27
	v_mad_u64_u32 v[22:23], s[6:7], v12, s26, 0
	v_add3_u32 v23, v23, v25, v24
	v_mov_b32_e32 v25, s17
	v_add_co_u32_e32 v24, vcc, s16, v20
	v_addc_co_u32_e64 v25, s[6:7], v25, v21, vcc
	v_lshlrev_b64 v[22:23], 1, v[22:23]
	v_mov_b32_e32 v27, s17
	v_add_co_u32_e64 v26, s[6:7], s16, v22
	v_addc_co_u32_e64 v27, s[8:9], v27, v23, s[6:7]
	global_load_ushort v22, v[24:25], off
	global_load_ushort v28, v[26:27], off
	s_mov_b64 s[10:11], -1
	s_waitcnt vmcnt(0)
	v_cmp_eq_f16_e64 s[8:9], v22, v28
	s_and_saveexec_b64 s[14:15], s[8:9]
	s_cbranch_execz .LBB1353_40
; %bb.32:
	v_mov_b32_e32 v22, s17
	v_addc_co_u32_e64 v23, s[6:7], v23, v22, s[6:7]
	v_add_co_u32_e64 v22, s[6:7], 2, v26
	v_mov_b32_e32 v25, s17
	v_addc_co_u32_e64 v23, s[6:7], 0, v23, s[6:7]
	v_addc_co_u32_e32 v25, vcc, v21, v25, vcc
	v_add_co_u32_e32 v24, vcc, 2, v24
	s_add_u32 s6, s26, -1
	v_addc_co_u32_e32 v25, vcc, 0, v25, vcc
	s_addc_u32 s7, s27, -1
	s_mov_b64 s[8:9], 0
	s_mov_b64 s[38:39], 0
                                        ; implicit-def: $sgpr10_sgpr11
	s_branch .LBB1353_35
.LBB1353_33:                            ;   in Loop: Header=BB1353_35 Depth=1
	global_load_ushort v26, v[24:25], off
	global_load_ushort v27, v[22:23], off
	v_add_co_u32_e32 v22, vcc, 2, v22
	v_addc_co_u32_e32 v23, vcc, 0, v23, vcc
	v_add_co_u32_e32 v24, vcc, 2, v24
	v_addc_co_u32_e32 v25, vcc, 0, v25, vcc
	s_add_u32 s38, s38, 1
	s_addc_u32 s39, s39, 0
	s_andn2_b64 s[10:11], s[10:11], exec
	s_waitcnt vmcnt(0)
	v_cmp_neq_f16_e32 vcc, v26, v27
	s_and_b64 s[40:41], vcc, exec
	s_or_b64 s[10:11], s[10:11], s[40:41]
.LBB1353_34:                            ;   in Loop: Header=BB1353_35 Depth=1
	s_and_b64 s[40:41], exec, s[10:11]
	s_or_b64 s[8:9], s[40:41], s[8:9]
	v_pk_mov_b32 v[26:27], s[38:39], s[38:39] op_sel:[0,1]
	s_andn2_b64 exec, exec, s[8:9]
	s_cbranch_execz .LBB1353_39
.LBB1353_35:                            ; =>This Inner Loop Header: Depth=1
	s_or_b64 s[10:11], s[10:11], exec
	s_cmp_eq_u64 s[6:7], s[38:39]
	s_cbranch_scc0 .LBB1353_33
; %bb.36:                               ;   in Loop: Header=BB1353_35 Depth=1
                                        ; implicit-def: $vgpr22_vgpr23
                                        ; implicit-def: $vgpr24_vgpr25
	s_mov_b64 s[38:39], s[26:27]
	s_branch .LBB1353_34
.LBB1353_37:
                                        ; implicit-def: $sgpr38_sgpr39
                                        ; implicit-def: $vgpr28
	s_branch .LBB1353_119
.LBB1353_38:
                                        ; implicit-def: $sgpr38_sgpr39
                                        ; implicit-def: $vgpr28
	s_cbranch_execnz .LBB1353_71
	s_branch .LBB1353_118
.LBB1353_39:
	s_or_b64 exec, exec, s[8:9]
	v_cmp_gt_i64_e32 vcc, s[26:27], v[26:27]
	s_orn2_b64 s[10:11], vcc, exec
.LBB1353_40:
	s_or_b64 exec, exec, s[14:15]
.LBB1353_41:
	v_mul_lo_u32 v24, v17, s26
	v_mul_lo_u32 v25, v16, s27
	v_mad_u64_u32 v[22:23], s[6:7], v16, s26, 0
	v_add3_u32 v23, v23, v25, v24
	s_mov_b64 s[14:15], 0
	s_and_b64 vcc, exec, s[4:5]
	v_lshlrev_b64 v[22:23], 1, v[22:23]
	s_mov_b64 s[38:39], 0
	s_cbranch_vccnz .LBB1353_50
; %bb.42:
	v_mov_b32_e32 v25, s17
	v_add_co_u32_e32 v24, vcc, s16, v22
	v_addc_co_u32_e64 v25, s[6:7], v25, v23, vcc
	v_mov_b32_e32 v27, s17
	v_add_co_u32_e64 v26, s[6:7], s16, v20
	v_addc_co_u32_e64 v27, s[8:9], v27, v21, s[6:7]
	global_load_ushort v20, v[24:25], off
	global_load_ushort v28, v[26:27], off
	s_mov_b64 s[38:39], -1
	s_waitcnt vmcnt(0)
	v_cmp_eq_f16_e64 s[8:9], v20, v28
	s_and_saveexec_b64 s[40:41], s[8:9]
	s_cbranch_execz .LBB1353_49
; %bb.43:
	v_mov_b32_e32 v20, s17
	v_addc_co_u32_e64 v21, s[6:7], v21, v20, s[6:7]
	v_add_co_u32_e64 v20, s[6:7], 2, v26
	v_mov_b32_e32 v25, s17
	v_addc_co_u32_e64 v21, s[6:7], 0, v21, s[6:7]
	v_addc_co_u32_e32 v25, vcc, v23, v25, vcc
	v_add_co_u32_e32 v24, vcc, 2, v24
	s_add_u32 s6, s26, -1
	v_addc_co_u32_e32 v25, vcc, 0, v25, vcc
	s_addc_u32 s7, s27, -1
	s_mov_b64 s[8:9], 0
	s_mov_b64 s[42:43], 0
                                        ; implicit-def: $sgpr38_sgpr39
	s_branch .LBB1353_46
.LBB1353_44:                            ;   in Loop: Header=BB1353_46 Depth=1
	global_load_ushort v26, v[24:25], off
	global_load_ushort v27, v[20:21], off
	v_add_co_u32_e32 v20, vcc, 2, v20
	v_addc_co_u32_e32 v21, vcc, 0, v21, vcc
	v_add_co_u32_e32 v24, vcc, 2, v24
	v_addc_co_u32_e32 v25, vcc, 0, v25, vcc
	s_add_u32 s42, s42, 1
	s_addc_u32 s43, s43, 0
	s_andn2_b64 s[38:39], s[38:39], exec
	s_waitcnt vmcnt(0)
	v_cmp_neq_f16_e32 vcc, v26, v27
	s_and_b64 s[44:45], vcc, exec
	s_or_b64 s[38:39], s[38:39], s[44:45]
.LBB1353_45:                            ;   in Loop: Header=BB1353_46 Depth=1
	s_and_b64 s[44:45], exec, s[38:39]
	s_or_b64 s[8:9], s[44:45], s[8:9]
	v_pk_mov_b32 v[26:27], s[42:43], s[42:43] op_sel:[0,1]
	s_andn2_b64 exec, exec, s[8:9]
	s_cbranch_execz .LBB1353_48
.LBB1353_46:                            ; =>This Inner Loop Header: Depth=1
	s_or_b64 s[38:39], s[38:39], exec
	s_cmp_eq_u64 s[6:7], s[42:43]
	s_cbranch_scc0 .LBB1353_44
; %bb.47:                               ;   in Loop: Header=BB1353_46 Depth=1
                                        ; implicit-def: $vgpr20_vgpr21
                                        ; implicit-def: $vgpr24_vgpr25
	s_mov_b64 s[42:43], s[26:27]
	s_branch .LBB1353_45
.LBB1353_48:
	s_or_b64 exec, exec, s[8:9]
	v_cmp_gt_i64_e32 vcc, s[26:27], v[26:27]
	s_orn2_b64 s[38:39], vcc, exec
.LBB1353_49:
	s_or_b64 exec, exec, s[40:41]
.LBB1353_50:
	v_mul_lo_u32 v24, v15, s26
	v_mul_lo_u32 v25, v14, s27
	v_mad_u64_u32 v[20:21], s[6:7], v14, s26, 0
	v_add3_u32 v21, v21, v25, v24
	s_and_b64 vcc, exec, s[4:5]
	v_lshlrev_b64 v[20:21], 1, v[20:21]
	s_cbranch_vccnz .LBB1353_59
; %bb.51:
	v_mov_b32_e32 v25, s17
	v_add_co_u32_e32 v24, vcc, s16, v20
	v_addc_co_u32_e64 v25, s[6:7], v25, v21, vcc
	v_mov_b32_e32 v27, s17
	v_add_co_u32_e64 v26, s[6:7], s16, v22
	v_addc_co_u32_e64 v27, s[8:9], v27, v23, s[6:7]
	global_load_ushort v22, v[24:25], off
	global_load_ushort v28, v[26:27], off
	s_mov_b64 s[14:15], -1
	s_waitcnt vmcnt(0)
	v_cmp_eq_f16_e64 s[8:9], v22, v28
	s_and_saveexec_b64 s[40:41], s[8:9]
	s_cbranch_execz .LBB1353_58
; %bb.52:
	v_mov_b32_e32 v22, s17
	v_addc_co_u32_e64 v23, s[6:7], v23, v22, s[6:7]
	v_add_co_u32_e64 v22, s[6:7], 2, v26
	v_mov_b32_e32 v25, s17
	v_addc_co_u32_e64 v23, s[6:7], 0, v23, s[6:7]
	v_addc_co_u32_e32 v25, vcc, v21, v25, vcc
	v_add_co_u32_e32 v24, vcc, 2, v24
	s_add_u32 s6, s26, -1
	v_addc_co_u32_e32 v25, vcc, 0, v25, vcc
	s_addc_u32 s7, s27, -1
	s_mov_b64 s[8:9], 0
	s_mov_b64 s[42:43], 0
                                        ; implicit-def: $sgpr14_sgpr15
	s_branch .LBB1353_55
.LBB1353_53:                            ;   in Loop: Header=BB1353_55 Depth=1
	global_load_ushort v26, v[24:25], off
	global_load_ushort v27, v[22:23], off
	v_add_co_u32_e32 v22, vcc, 2, v22
	v_addc_co_u32_e32 v23, vcc, 0, v23, vcc
	v_add_co_u32_e32 v24, vcc, 2, v24
	v_addc_co_u32_e32 v25, vcc, 0, v25, vcc
	s_add_u32 s42, s42, 1
	s_addc_u32 s43, s43, 0
	s_andn2_b64 s[14:15], s[14:15], exec
	s_waitcnt vmcnt(0)
	v_cmp_neq_f16_e32 vcc, v26, v27
	s_and_b64 s[44:45], vcc, exec
	s_or_b64 s[14:15], s[14:15], s[44:45]
.LBB1353_54:                            ;   in Loop: Header=BB1353_55 Depth=1
	s_and_b64 s[44:45], exec, s[14:15]
	s_or_b64 s[8:9], s[44:45], s[8:9]
	v_pk_mov_b32 v[26:27], s[42:43], s[42:43] op_sel:[0,1]
	s_andn2_b64 exec, exec, s[8:9]
	s_cbranch_execz .LBB1353_57
.LBB1353_55:                            ; =>This Inner Loop Header: Depth=1
	s_or_b64 s[14:15], s[14:15], exec
	s_cmp_eq_u64 s[6:7], s[42:43]
	s_cbranch_scc0 .LBB1353_53
; %bb.56:                               ;   in Loop: Header=BB1353_55 Depth=1
                                        ; implicit-def: $vgpr22_vgpr23
                                        ; implicit-def: $vgpr24_vgpr25
	s_mov_b64 s[42:43], s[26:27]
	s_branch .LBB1353_54
.LBB1353_57:
	s_or_b64 exec, exec, s[8:9]
	v_cmp_gt_i64_e32 vcc, s[26:27], v[26:27]
	s_orn2_b64 s[14:15], vcc, exec
.LBB1353_58:
	s_or_b64 exec, exec, s[40:41]
.LBB1353_59:
	s_waitcnt vmcnt(0)
	v_pk_mov_b32 v[22:23], v[18:19], v[18:19] op_sel:[0,1]
	s_waitcnt lgkmcnt(0)
	s_barrier
	s_and_saveexec_b64 s[6:7], s[2:3]
	s_cbranch_execz .LBB1353_61
; %bb.60:
	v_add_u32_e32 v22, -8, v29
	ds_read_b64 v[22:23], v22
.LBB1353_61:
	s_or_b64 exec, exec, s[6:7]
	v_cndmask_b32_e64 v25, 0, 1, s[10:11]
	v_cndmask_b32_e64 v24, 0, 1, s[38:39]
	;; [unrolled: 1-line block ×3, first 2 shown]
	v_lshlrev_b16_e32 v25, 8, v25
	v_lshlrev_b16_e32 v28, 8, v26
	v_or_b32_sdwa v30, v24, v25 dst_sel:WORD_1 dst_unused:UNUSED_PAD src0_sel:DWORD src1_sel:DWORD
	s_mov_b64 s[10:11], 0
	s_and_b64 vcc, exec, s[4:5]
	s_mov_b64 s[38:39], 0
	s_cbranch_vccnz .LBB1353_70
; %bb.62:
	s_waitcnt lgkmcnt(0)
	v_mul_lo_u32 v24, v23, s26
	v_mul_lo_u32 v25, v22, s27
	v_mad_u64_u32 v[22:23], s[6:7], v22, s26, 0
	v_add3_u32 v23, v23, v25, v24
	v_lshlrev_b64 v[22:23], 1, v[22:23]
	v_mov_b32_e32 v25, s17
	v_add_co_u32_e32 v24, vcc, s16, v22
	v_addc_co_u32_e64 v25, s[6:7], v25, v23, vcc
	v_mov_b32_e32 v22, s17
	v_add_co_u32_e64 v26, s[6:7], s16, v20
	v_addc_co_u32_e64 v27, s[8:9], v22, v21, s[6:7]
	global_load_ushort v20, v[24:25], off
	global_load_ushort v22, v[26:27], off
	s_mov_b64 s[38:39], -1
	s_waitcnt vmcnt(0)
	v_cmp_eq_f16_e64 s[8:9], v20, v22
	s_and_saveexec_b64 s[14:15], s[8:9]
	s_cbranch_execz .LBB1353_69
; %bb.63:
	v_mov_b32_e32 v20, s17
	v_addc_co_u32_e64 v21, s[6:7], v21, v20, s[6:7]
	v_add_co_u32_e64 v20, s[6:7], 2, v26
	v_mov_b32_e32 v22, s17
	v_addc_co_u32_e64 v21, s[6:7], 0, v21, s[6:7]
	v_addc_co_u32_e32 v23, vcc, v23, v22, vcc
	v_add_co_u32_e32 v22, vcc, 2, v24
	s_add_u32 s6, s26, -1
	v_addc_co_u32_e32 v23, vcc, 0, v23, vcc
	s_addc_u32 s7, s27, -1
	s_mov_b64 s[8:9], 0
	s_mov_b64 s[40:41], 0
                                        ; implicit-def: $sgpr38_sgpr39
	s_branch .LBB1353_66
.LBB1353_64:                            ;   in Loop: Header=BB1353_66 Depth=1
	global_load_ushort v24, v[22:23], off
	global_load_ushort v25, v[20:21], off
	v_add_co_u32_e32 v20, vcc, 2, v20
	v_addc_co_u32_e32 v21, vcc, 0, v21, vcc
	v_add_co_u32_e32 v22, vcc, 2, v22
	v_addc_co_u32_e32 v23, vcc, 0, v23, vcc
	s_add_u32 s40, s40, 1
	s_addc_u32 s41, s41, 0
	s_andn2_b64 s[38:39], s[38:39], exec
	s_waitcnt vmcnt(0)
	v_cmp_neq_f16_e32 vcc, v24, v25
	s_and_b64 s[42:43], vcc, exec
	s_or_b64 s[38:39], s[38:39], s[42:43]
.LBB1353_65:                            ;   in Loop: Header=BB1353_66 Depth=1
	s_and_b64 s[42:43], exec, s[38:39]
	s_or_b64 s[8:9], s[42:43], s[8:9]
	v_pk_mov_b32 v[24:25], s[40:41], s[40:41] op_sel:[0,1]
	s_andn2_b64 exec, exec, s[8:9]
	s_cbranch_execz .LBB1353_68
.LBB1353_66:                            ; =>This Inner Loop Header: Depth=1
	s_or_b64 s[38:39], s[38:39], exec
	s_cmp_eq_u64 s[6:7], s[40:41]
	s_cbranch_scc0 .LBB1353_64
; %bb.67:                               ;   in Loop: Header=BB1353_66 Depth=1
                                        ; implicit-def: $vgpr20_vgpr21
                                        ; implicit-def: $vgpr22_vgpr23
	s_mov_b64 s[40:41], s[26:27]
	s_branch .LBB1353_65
.LBB1353_68:
	s_or_b64 exec, exec, s[8:9]
	v_cmp_gt_i64_e32 vcc, s[26:27], v[24:25]
	s_orn2_b64 s[38:39], vcc, exec
.LBB1353_69:
	s_or_b64 exec, exec, s[14:15]
.LBB1353_70:
	v_or_b32_e32 v28, v28, v30
	s_and_b64 vcc, exec, s[10:11]
	s_cbranch_vccz .LBB1353_118
.LBB1353_71:
	v_or_b32_e32 v20, 3, v1
	v_cmp_gt_u32_e32 vcc, s48, v20
	s_mov_b64 s[14:15], 0
	s_mov_b64 s[10:11], 0
	s_and_saveexec_b64 s[38:39], vcc
	s_cbranch_execz .LBB1353_82
; %bb.72:
	s_and_b64 vcc, exec, s[4:5]
	s_mov_b64 s[40:41], 0
	s_cbranch_vccnz .LBB1353_81
; %bb.73:
	s_waitcnt lgkmcnt(0)
	v_mul_lo_u32 v22, v11, s26
	v_mul_lo_u32 v23, v10, s27
	v_mad_u64_u32 v[20:21], s[6:7], v10, s26, 0
	v_add3_u32 v21, v21, v23, v22
	v_mul_lo_u32 v22, v13, s26
	v_mul_lo_u32 v23, v12, s27
	v_mad_u64_u32 v[26:27], s[6:7], v12, s26, 0
	v_add3_u32 v27, v27, v23, v22
	v_lshlrev_b64 v[22:23], 1, v[20:21]
	v_mov_b32_e32 v20, s17
	v_add_co_u32_e32 v24, vcc, s16, v22
	v_addc_co_u32_e64 v25, s[6:7], v20, v23, vcc
	v_lshlrev_b64 v[20:21], 1, v[26:27]
	v_mov_b32_e32 v22, s17
	v_add_co_u32_e64 v26, s[6:7], s16, v20
	v_addc_co_u32_e64 v27, s[8:9], v22, v21, s[6:7]
	global_load_ushort v20, v[24:25], off
	global_load_ushort v22, v[26:27], off
	s_mov_b64 s[40:41], -1
	s_waitcnt vmcnt(0)
	v_cmp_eq_f16_e64 s[8:9], v20, v22
	s_and_saveexec_b64 s[10:11], s[8:9]
	s_cbranch_execz .LBB1353_80
; %bb.74:
	v_mov_b32_e32 v20, s17
	v_addc_co_u32_e64 v21, s[6:7], v21, v20, s[6:7]
	v_add_co_u32_e64 v20, s[6:7], 2, v26
	v_mov_b32_e32 v22, s17
	v_addc_co_u32_e64 v21, s[6:7], 0, v21, s[6:7]
	v_addc_co_u32_e32 v23, vcc, v23, v22, vcc
	v_add_co_u32_e32 v22, vcc, 2, v24
	s_add_u32 s6, s26, -1
	v_addc_co_u32_e32 v23, vcc, 0, v23, vcc
	s_addc_u32 s7, s27, -1
	s_mov_b64 s[8:9], 0
	s_mov_b64 s[42:43], 0
                                        ; implicit-def: $sgpr40_sgpr41
	s_branch .LBB1353_77
.LBB1353_75:                            ;   in Loop: Header=BB1353_77 Depth=1
	global_load_ushort v24, v[22:23], off
	global_load_ushort v25, v[20:21], off
	v_add_co_u32_e32 v20, vcc, 2, v20
	v_addc_co_u32_e32 v21, vcc, 0, v21, vcc
	v_add_co_u32_e32 v22, vcc, 2, v22
	v_addc_co_u32_e32 v23, vcc, 0, v23, vcc
	s_add_u32 s42, s42, 1
	s_addc_u32 s43, s43, 0
	s_andn2_b64 s[40:41], s[40:41], exec
	s_waitcnt vmcnt(0)
	v_cmp_neq_f16_e32 vcc, v24, v25
	s_and_b64 s[44:45], vcc, exec
	s_or_b64 s[40:41], s[40:41], s[44:45]
.LBB1353_76:                            ;   in Loop: Header=BB1353_77 Depth=1
	s_and_b64 s[44:45], exec, s[40:41]
	s_or_b64 s[8:9], s[44:45], s[8:9]
	v_pk_mov_b32 v[24:25], s[42:43], s[42:43] op_sel:[0,1]
	s_andn2_b64 exec, exec, s[8:9]
	s_cbranch_execz .LBB1353_79
.LBB1353_77:                            ; =>This Inner Loop Header: Depth=1
	s_or_b64 s[40:41], s[40:41], exec
	s_cmp_eq_u64 s[6:7], s[42:43]
	s_cbranch_scc0 .LBB1353_75
; %bb.78:                               ;   in Loop: Header=BB1353_77 Depth=1
                                        ; implicit-def: $vgpr20_vgpr21
                                        ; implicit-def: $vgpr22_vgpr23
	s_mov_b64 s[42:43], s[26:27]
	s_branch .LBB1353_76
.LBB1353_79:
	s_or_b64 exec, exec, s[8:9]
	v_cmp_gt_i64_e32 vcc, s[26:27], v[24:25]
	s_orn2_b64 s[40:41], vcc, exec
.LBB1353_80:
	s_or_b64 exec, exec, s[10:11]
.LBB1353_81:
	s_and_b64 s[10:11], s[40:41], exec
.LBB1353_82:
	s_or_b64 exec, exec, s[38:39]
	v_or_b32_e32 v20, 2, v1
	v_cmp_gt_u32_e32 vcc, s48, v20
	s_and_saveexec_b64 s[38:39], vcc
	s_cbranch_execz .LBB1353_93
; %bb.83:
	s_and_b64 vcc, exec, s[4:5]
	s_mov_b64 s[40:41], 0
	s_cbranch_vccnz .LBB1353_92
; %bb.84:
	s_waitcnt lgkmcnt(0)
	v_mul_lo_u32 v22, v17, s26
	v_mul_lo_u32 v23, v16, s27
	v_mad_u64_u32 v[20:21], s[6:7], v16, s26, 0
	v_add3_u32 v21, v21, v23, v22
	v_mul_lo_u32 v22, v11, s26
	v_mul_lo_u32 v23, v10, s27
	v_mad_u64_u32 v[26:27], s[6:7], v10, s26, 0
	v_add3_u32 v27, v27, v23, v22
	v_lshlrev_b64 v[22:23], 1, v[20:21]
	v_mov_b32_e32 v20, s17
	v_add_co_u32_e32 v24, vcc, s16, v22
	v_addc_co_u32_e64 v25, s[6:7], v20, v23, vcc
	v_lshlrev_b64 v[20:21], 1, v[26:27]
	v_mov_b32_e32 v22, s17
	v_add_co_u32_e64 v26, s[6:7], s16, v20
	v_addc_co_u32_e64 v27, s[8:9], v22, v21, s[6:7]
	global_load_ushort v20, v[24:25], off
	global_load_ushort v22, v[26:27], off
	s_mov_b64 s[40:41], -1
	s_waitcnt vmcnt(0)
	v_cmp_eq_f16_e64 s[8:9], v20, v22
	s_and_saveexec_b64 s[14:15], s[8:9]
	s_cbranch_execz .LBB1353_91
; %bb.85:
	v_mov_b32_e32 v20, s17
	v_addc_co_u32_e64 v21, s[6:7], v21, v20, s[6:7]
	v_add_co_u32_e64 v20, s[6:7], 2, v26
	v_mov_b32_e32 v22, s17
	v_addc_co_u32_e64 v21, s[6:7], 0, v21, s[6:7]
	v_addc_co_u32_e32 v23, vcc, v23, v22, vcc
	v_add_co_u32_e32 v22, vcc, 2, v24
	s_add_u32 s6, s26, -1
	v_addc_co_u32_e32 v23, vcc, 0, v23, vcc
	s_addc_u32 s7, s27, -1
	s_mov_b64 s[8:9], 0
	s_mov_b64 s[42:43], 0
                                        ; implicit-def: $sgpr40_sgpr41
	s_branch .LBB1353_88
.LBB1353_86:                            ;   in Loop: Header=BB1353_88 Depth=1
	global_load_ushort v24, v[22:23], off
	global_load_ushort v25, v[20:21], off
	v_add_co_u32_e32 v20, vcc, 2, v20
	v_addc_co_u32_e32 v21, vcc, 0, v21, vcc
	v_add_co_u32_e32 v22, vcc, 2, v22
	v_addc_co_u32_e32 v23, vcc, 0, v23, vcc
	s_add_u32 s42, s42, 1
	s_addc_u32 s43, s43, 0
	s_andn2_b64 s[40:41], s[40:41], exec
	s_waitcnt vmcnt(0)
	v_cmp_neq_f16_e32 vcc, v24, v25
	s_and_b64 s[44:45], vcc, exec
	s_or_b64 s[40:41], s[40:41], s[44:45]
.LBB1353_87:                            ;   in Loop: Header=BB1353_88 Depth=1
	s_and_b64 s[44:45], exec, s[40:41]
	s_or_b64 s[8:9], s[44:45], s[8:9]
	v_pk_mov_b32 v[24:25], s[42:43], s[42:43] op_sel:[0,1]
	s_andn2_b64 exec, exec, s[8:9]
	s_cbranch_execz .LBB1353_90
.LBB1353_88:                            ; =>This Inner Loop Header: Depth=1
	s_or_b64 s[40:41], s[40:41], exec
	s_cmp_eq_u64 s[6:7], s[42:43]
	s_cbranch_scc0 .LBB1353_86
; %bb.89:                               ;   in Loop: Header=BB1353_88 Depth=1
                                        ; implicit-def: $vgpr20_vgpr21
                                        ; implicit-def: $vgpr22_vgpr23
	s_mov_b64 s[42:43], s[26:27]
	s_branch .LBB1353_87
.LBB1353_90:
	s_or_b64 exec, exec, s[8:9]
	v_cmp_gt_i64_e32 vcc, s[26:27], v[24:25]
	s_orn2_b64 s[40:41], vcc, exec
.LBB1353_91:
	s_or_b64 exec, exec, s[14:15]
.LBB1353_92:
	s_and_b64 s[14:15], s[40:41], exec
.LBB1353_93:
	s_or_b64 exec, exec, s[38:39]
	v_or_b32_e32 v20, 1, v1
	v_cmp_gt_u32_e32 vcc, s48, v20
	s_mov_b64 s[6:7], 0
	s_and_saveexec_b64 s[38:39], vcc
	s_cbranch_execz .LBB1353_104
; %bb.94:
	s_and_b64 vcc, exec, s[4:5]
	s_mov_b64 s[42:43], 0
	s_cbranch_vccnz .LBB1353_103
; %bb.95:
	s_waitcnt lgkmcnt(0)
	v_mul_lo_u32 v22, v15, s26
	v_mul_lo_u32 v23, v14, s27
	v_mad_u64_u32 v[20:21], s[6:7], v14, s26, 0
	v_add3_u32 v21, v21, v23, v22
	v_mul_lo_u32 v22, v17, s26
	v_mul_lo_u32 v23, v16, s27
	v_mad_u64_u32 v[26:27], s[6:7], v16, s26, 0
	v_add3_u32 v27, v27, v23, v22
	v_lshlrev_b64 v[22:23], 1, v[20:21]
	v_mov_b32_e32 v20, s17
	v_add_co_u32_e32 v24, vcc, s16, v22
	v_addc_co_u32_e64 v25, s[6:7], v20, v23, vcc
	v_lshlrev_b64 v[20:21], 1, v[26:27]
	v_mov_b32_e32 v22, s17
	v_add_co_u32_e64 v26, s[6:7], s16, v20
	v_addc_co_u32_e64 v27, s[8:9], v22, v21, s[6:7]
	global_load_ushort v20, v[24:25], off
	global_load_ushort v22, v[26:27], off
	s_mov_b64 s[42:43], -1
	s_waitcnt vmcnt(0)
	v_cmp_eq_f16_e64 s[8:9], v20, v22
	s_and_saveexec_b64 s[40:41], s[8:9]
	s_cbranch_execz .LBB1353_102
; %bb.96:
	v_mov_b32_e32 v20, s17
	v_addc_co_u32_e64 v21, s[6:7], v21, v20, s[6:7]
	v_add_co_u32_e64 v20, s[6:7], 2, v26
	v_mov_b32_e32 v22, s17
	v_addc_co_u32_e64 v21, s[6:7], 0, v21, s[6:7]
	v_addc_co_u32_e32 v23, vcc, v23, v22, vcc
	v_add_co_u32_e32 v22, vcc, 2, v24
	s_add_u32 s6, s26, -1
	v_addc_co_u32_e32 v23, vcc, 0, v23, vcc
	s_addc_u32 s7, s27, -1
	s_mov_b64 s[8:9], 0
	s_mov_b64 s[44:45], 0
                                        ; implicit-def: $sgpr42_sgpr43
	s_branch .LBB1353_99
.LBB1353_97:                            ;   in Loop: Header=BB1353_99 Depth=1
	global_load_ushort v24, v[22:23], off
	global_load_ushort v25, v[20:21], off
	v_add_co_u32_e32 v20, vcc, 2, v20
	v_addc_co_u32_e32 v21, vcc, 0, v21, vcc
	v_add_co_u32_e32 v22, vcc, 2, v22
	v_addc_co_u32_e32 v23, vcc, 0, v23, vcc
	s_add_u32 s44, s44, 1
	s_addc_u32 s45, s45, 0
	s_andn2_b64 s[42:43], s[42:43], exec
	s_waitcnt vmcnt(0)
	v_cmp_neq_f16_e32 vcc, v24, v25
	s_and_b64 s[46:47], vcc, exec
	s_or_b64 s[42:43], s[42:43], s[46:47]
.LBB1353_98:                            ;   in Loop: Header=BB1353_99 Depth=1
	s_and_b64 s[46:47], exec, s[42:43]
	s_or_b64 s[8:9], s[46:47], s[8:9]
	v_pk_mov_b32 v[24:25], s[44:45], s[44:45] op_sel:[0,1]
	s_andn2_b64 exec, exec, s[8:9]
	s_cbranch_execz .LBB1353_101
.LBB1353_99:                            ; =>This Inner Loop Header: Depth=1
	s_or_b64 s[42:43], s[42:43], exec
	s_cmp_eq_u64 s[6:7], s[44:45]
	s_cbranch_scc0 .LBB1353_97
; %bb.100:                              ;   in Loop: Header=BB1353_99 Depth=1
                                        ; implicit-def: $vgpr20_vgpr21
                                        ; implicit-def: $vgpr22_vgpr23
	s_mov_b64 s[44:45], s[26:27]
	s_branch .LBB1353_98
.LBB1353_101:
	s_or_b64 exec, exec, s[8:9]
	v_cmp_gt_i64_e32 vcc, s[26:27], v[24:25]
	s_orn2_b64 s[42:43], vcc, exec
.LBB1353_102:
	s_or_b64 exec, exec, s[40:41]
.LBB1353_103:
	s_and_b64 s[6:7], s[42:43], exec
.LBB1353_104:
	s_or_b64 exec, exec, s[38:39]
	s_waitcnt lgkmcnt(0)
	s_barrier
	s_and_saveexec_b64 s[8:9], s[2:3]
	s_cbranch_execz .LBB1353_106
; %bb.105:
	s_waitcnt vmcnt(0)
	v_add_u32_e32 v18, -8, v29
	ds_read_b64 v[18:19], v18
.LBB1353_106:
	s_or_b64 exec, exec, s[8:9]
	v_cndmask_b32_e64 v21, 0, 1, s[10:11]
	v_cndmask_b32_e64 v20, 0, 1, s[14:15]
	;; [unrolled: 1-line block ×3, first 2 shown]
	v_lshlrev_b16_e32 v21, 8, v21
	v_lshlrev_b16_e32 v26, 8, v22
	v_or_b32_sdwa v27, v20, v21 dst_sel:WORD_1 dst_unused:UNUSED_PAD src0_sel:DWORD src1_sel:DWORD
	v_cmp_gt_u32_e32 vcc, s48, v1
	s_mov_b64 s[38:39], 0
	s_and_saveexec_b64 s[8:9], vcc
	s_cbranch_execz .LBB1353_117
; %bb.107:
	s_and_b64 vcc, exec, s[4:5]
	s_mov_b64 s[14:15], 0
	s_cbranch_vccnz .LBB1353_116
; %bb.108:
	s_waitcnt vmcnt(0) lgkmcnt(0)
	v_mul_lo_u32 v20, v19, s26
	v_mul_lo_u32 v21, v18, s27
	v_mad_u64_u32 v[18:19], s[4:5], v18, s26, 0
	v_add3_u32 v19, v19, v21, v20
	v_mul_lo_u32 v20, v15, s26
	v_mul_lo_u32 v21, v14, s27
	v_mad_u64_u32 v[24:25], s[4:5], v14, s26, 0
	v_add3_u32 v25, v25, v21, v20
	v_lshlrev_b64 v[20:21], 1, v[18:19]
	v_mov_b32_e32 v18, s17
	v_add_co_u32_e32 v22, vcc, s16, v20
	v_addc_co_u32_e64 v23, s[4:5], v18, v21, vcc
	v_lshlrev_b64 v[18:19], 1, v[24:25]
	v_mov_b32_e32 v20, s17
	v_add_co_u32_e64 v24, s[4:5], s16, v18
	v_addc_co_u32_e64 v25, s[6:7], v20, v19, s[4:5]
	global_load_ushort v18, v[22:23], off
	global_load_ushort v20, v[24:25], off
	s_mov_b64 s[14:15], -1
	s_waitcnt vmcnt(0)
	v_cmp_eq_f16_e64 s[6:7], v18, v20
	s_and_saveexec_b64 s[10:11], s[6:7]
	s_cbranch_execz .LBB1353_115
; %bb.109:
	v_mov_b32_e32 v18, s17
	v_addc_co_u32_e64 v19, s[4:5], v19, v18, s[4:5]
	v_add_co_u32_e64 v18, s[4:5], 2, v24
	v_mov_b32_e32 v20, s17
	v_addc_co_u32_e64 v19, s[4:5], 0, v19, s[4:5]
	v_addc_co_u32_e32 v21, vcc, v21, v20, vcc
	v_add_co_u32_e32 v20, vcc, 2, v22
	s_add_u32 s4, s26, -1
	v_addc_co_u32_e32 v21, vcc, 0, v21, vcc
	s_addc_u32 s5, s27, -1
	s_mov_b64 s[6:7], 0
                                        ; implicit-def: $sgpr14_sgpr15
	s_branch .LBB1353_112
.LBB1353_110:                           ;   in Loop: Header=BB1353_112 Depth=1
	global_load_ushort v22, v[20:21], off
	global_load_ushort v23, v[18:19], off
	v_add_co_u32_e32 v18, vcc, 2, v18
	v_addc_co_u32_e32 v19, vcc, 0, v19, vcc
	v_add_co_u32_e32 v20, vcc, 2, v20
	v_addc_co_u32_e32 v21, vcc, 0, v21, vcc
	s_add_u32 s38, s38, 1
	s_addc_u32 s39, s39, 0
	s_andn2_b64 s[14:15], s[14:15], exec
	s_waitcnt vmcnt(0)
	v_cmp_neq_f16_e32 vcc, v22, v23
	s_and_b64 s[40:41], vcc, exec
	s_or_b64 s[14:15], s[14:15], s[40:41]
.LBB1353_111:                           ;   in Loop: Header=BB1353_112 Depth=1
	s_and_b64 s[40:41], exec, s[14:15]
	s_or_b64 s[6:7], s[40:41], s[6:7]
	v_pk_mov_b32 v[22:23], s[38:39], s[38:39] op_sel:[0,1]
	s_andn2_b64 exec, exec, s[6:7]
	s_cbranch_execz .LBB1353_114
.LBB1353_112:                           ; =>This Inner Loop Header: Depth=1
	s_or_b64 s[14:15], s[14:15], exec
	s_cmp_eq_u64 s[4:5], s[38:39]
	s_cbranch_scc0 .LBB1353_110
; %bb.113:                              ;   in Loop: Header=BB1353_112 Depth=1
                                        ; implicit-def: $vgpr18_vgpr19
                                        ; implicit-def: $vgpr20_vgpr21
	s_mov_b64 s[38:39], s[26:27]
	s_branch .LBB1353_111
.LBB1353_114:
	s_or_b64 exec, exec, s[6:7]
	v_cmp_gt_i64_e32 vcc, s[26:27], v[22:23]
	s_orn2_b64 s[14:15], vcc, exec
.LBB1353_115:
	s_or_b64 exec, exec, s[10:11]
.LBB1353_116:
	s_and_b64 s[38:39], s[14:15], exec
.LBB1353_117:
	s_or_b64 exec, exec, s[8:9]
	v_or_b32_e32 v28, v26, v27
.LBB1353_118:
	s_mov_b64 s[14:15], -1
	s_cbranch_execnz .LBB1353_207
.LBB1353_119:
	v_lshlrev_b32_e32 v29, 3, v0
	s_mov_b64 s[38:39], 0
	v_cmp_gt_i64_e64 s[10:11], s[26:27], 0
	s_and_b64 vcc, exec, s[34:35]
	ds_write_b64 v29, v[12:13]
	s_cbranch_vccz .LBB1353_127
; %bb.120:
	v_mul_lo_u32 v20, v11, s26
	v_mul_lo_u32 v21, v10, s27
	s_waitcnt vmcnt(0) lgkmcnt(1)
	v_mad_u64_u32 v[18:19], s[4:5], v10, s26, 0
	v_add3_u32 v19, v19, v21, v20
	v_cndmask_b32_e64 v20, 0, 1, s[10:11]
	v_cmp_ne_u32_e64 s[4:5], 1, v20
	s_andn2_b64 vcc, exec, s[10:11]
	v_lshlrev_b64 v[18:19], 1, v[18:19]
	s_cbranch_vccnz .LBB1353_130
; %bb.121:
	v_mul_lo_u32 v22, v13, s26
	v_mul_lo_u32 v23, v12, s27
	v_mad_u64_u32 v[20:21], s[6:7], v12, s26, 0
	v_add3_u32 v21, v21, v23, v22
	v_mov_b32_e32 v23, s17
	v_add_co_u32_e32 v22, vcc, s16, v18
	v_addc_co_u32_e64 v23, s[6:7], v23, v19, vcc
	v_lshlrev_b64 v[20:21], 1, v[20:21]
	v_mov_b32_e32 v25, s17
	v_add_co_u32_e64 v24, s[6:7], s16, v20
	v_addc_co_u32_e64 v25, s[8:9], v25, v21, s[6:7]
	global_load_ushort v20, v[22:23], off
	global_load_ushort v26, v[24:25], off
	s_mov_b64 s[38:39], -1
	s_waitcnt vmcnt(0)
	v_cmp_eq_f16_e64 s[8:9], v20, v26
	s_and_saveexec_b64 s[40:41], s[8:9]
	s_cbranch_execz .LBB1353_129
; %bb.122:
	v_mov_b32_e32 v20, s17
	v_addc_co_u32_e64 v21, s[6:7], v21, v20, s[6:7]
	v_add_co_u32_e64 v20, s[6:7], 2, v24
	v_mov_b32_e32 v23, s17
	v_addc_co_u32_e64 v21, s[6:7], 0, v21, s[6:7]
	v_addc_co_u32_e32 v23, vcc, v19, v23, vcc
	v_add_co_u32_e32 v22, vcc, 2, v22
	s_add_u32 s6, s26, -1
	v_addc_co_u32_e32 v23, vcc, 0, v23, vcc
	s_addc_u32 s7, s27, -1
	s_mov_b64 s[8:9], 0
	s_mov_b64 s[42:43], 0
                                        ; implicit-def: $sgpr38_sgpr39
	s_branch .LBB1353_125
.LBB1353_123:                           ;   in Loop: Header=BB1353_125 Depth=1
	global_load_ushort v24, v[22:23], off
	global_load_ushort v25, v[20:21], off
	v_add_co_u32_e32 v20, vcc, 2, v20
	v_addc_co_u32_e32 v21, vcc, 0, v21, vcc
	v_add_co_u32_e32 v22, vcc, 2, v22
	v_addc_co_u32_e32 v23, vcc, 0, v23, vcc
	s_add_u32 s42, s42, 1
	s_addc_u32 s43, s43, 0
	s_andn2_b64 s[38:39], s[38:39], exec
	s_waitcnt vmcnt(0)
	v_cmp_neq_f16_e32 vcc, v24, v25
	s_and_b64 s[44:45], vcc, exec
	s_or_b64 s[38:39], s[38:39], s[44:45]
.LBB1353_124:                           ;   in Loop: Header=BB1353_125 Depth=1
	s_and_b64 s[44:45], exec, s[38:39]
	s_or_b64 s[8:9], s[44:45], s[8:9]
	v_pk_mov_b32 v[24:25], s[42:43], s[42:43] op_sel:[0,1]
	s_andn2_b64 exec, exec, s[8:9]
	s_cbranch_execz .LBB1353_128
.LBB1353_125:                           ; =>This Inner Loop Header: Depth=1
	s_or_b64 s[38:39], s[38:39], exec
	s_cmp_eq_u64 s[6:7], s[42:43]
	s_cbranch_scc0 .LBB1353_123
; %bb.126:                              ;   in Loop: Header=BB1353_125 Depth=1
                                        ; implicit-def: $vgpr20_vgpr21
                                        ; implicit-def: $vgpr22_vgpr23
	s_mov_b64 s[42:43], s[26:27]
	s_branch .LBB1353_124
.LBB1353_127:
                                        ; implicit-def: $sgpr38_sgpr39
                                        ; implicit-def: $vgpr28
	s_cbranch_execnz .LBB1353_160
	s_branch .LBB1353_207
.LBB1353_128:
	s_or_b64 exec, exec, s[8:9]
	v_cmp_gt_i64_e32 vcc, s[26:27], v[24:25]
	s_orn2_b64 s[38:39], vcc, exec
.LBB1353_129:
	s_or_b64 exec, exec, s[40:41]
.LBB1353_130:
	v_mul_lo_u32 v22, v17, s26
	v_mul_lo_u32 v23, v16, s27
	v_mad_u64_u32 v[20:21], s[6:7], v16, s26, 0
	v_add3_u32 v21, v21, v23, v22
	s_mov_b64 s[40:41], 0
	s_and_b64 vcc, exec, s[4:5]
	v_lshlrev_b64 v[20:21], 1, v[20:21]
	s_mov_b64 s[42:43], 0
	s_cbranch_vccnz .LBB1353_139
; %bb.131:
	v_mov_b32_e32 v23, s17
	v_add_co_u32_e32 v22, vcc, s16, v20
	v_addc_co_u32_e64 v23, s[6:7], v23, v21, vcc
	v_mov_b32_e32 v25, s17
	v_add_co_u32_e64 v24, s[6:7], s16, v18
	v_addc_co_u32_e64 v25, s[8:9], v25, v19, s[6:7]
	global_load_ushort v18, v[22:23], off
	global_load_ushort v26, v[24:25], off
	s_mov_b64 s[42:43], -1
	s_waitcnt vmcnt(0)
	v_cmp_eq_f16_e64 s[8:9], v18, v26
	s_and_saveexec_b64 s[44:45], s[8:9]
	s_cbranch_execz .LBB1353_138
; %bb.132:
	v_mov_b32_e32 v18, s17
	v_addc_co_u32_e64 v19, s[6:7], v19, v18, s[6:7]
	v_add_co_u32_e64 v18, s[6:7], 2, v24
	v_mov_b32_e32 v23, s17
	v_addc_co_u32_e64 v19, s[6:7], 0, v19, s[6:7]
	v_addc_co_u32_e32 v23, vcc, v21, v23, vcc
	v_add_co_u32_e32 v22, vcc, 2, v22
	s_add_u32 s6, s26, -1
	v_addc_co_u32_e32 v23, vcc, 0, v23, vcc
	s_addc_u32 s7, s27, -1
	s_mov_b64 s[8:9], 0
	s_mov_b64 s[46:47], 0
                                        ; implicit-def: $sgpr42_sgpr43
	s_branch .LBB1353_135
.LBB1353_133:                           ;   in Loop: Header=BB1353_135 Depth=1
	global_load_ushort v24, v[22:23], off
	global_load_ushort v25, v[18:19], off
	v_add_co_u32_e32 v18, vcc, 2, v18
	v_addc_co_u32_e32 v19, vcc, 0, v19, vcc
	v_add_co_u32_e32 v22, vcc, 2, v22
	v_addc_co_u32_e32 v23, vcc, 0, v23, vcc
	s_add_u32 s46, s46, 1
	s_addc_u32 s47, s47, 0
	s_andn2_b64 s[42:43], s[42:43], exec
	s_waitcnt vmcnt(0)
	v_cmp_neq_f16_e32 vcc, v24, v25
	s_and_b64 s[50:51], vcc, exec
	s_or_b64 s[42:43], s[42:43], s[50:51]
.LBB1353_134:                           ;   in Loop: Header=BB1353_135 Depth=1
	s_and_b64 s[50:51], exec, s[42:43]
	s_or_b64 s[8:9], s[50:51], s[8:9]
	v_pk_mov_b32 v[24:25], s[46:47], s[46:47] op_sel:[0,1]
	s_andn2_b64 exec, exec, s[8:9]
	s_cbranch_execz .LBB1353_137
.LBB1353_135:                           ; =>This Inner Loop Header: Depth=1
	s_or_b64 s[42:43], s[42:43], exec
	s_cmp_eq_u64 s[6:7], s[46:47]
	s_cbranch_scc0 .LBB1353_133
; %bb.136:                              ;   in Loop: Header=BB1353_135 Depth=1
                                        ; implicit-def: $vgpr18_vgpr19
                                        ; implicit-def: $vgpr22_vgpr23
	s_mov_b64 s[46:47], s[26:27]
	s_branch .LBB1353_134
.LBB1353_137:
	s_or_b64 exec, exec, s[8:9]
	v_cmp_gt_i64_e32 vcc, s[26:27], v[24:25]
	s_orn2_b64 s[42:43], vcc, exec
.LBB1353_138:
	s_or_b64 exec, exec, s[44:45]
.LBB1353_139:
	v_mul_lo_u32 v22, v15, s26
	v_mul_lo_u32 v23, v14, s27
	v_mad_u64_u32 v[18:19], s[6:7], v14, s26, 0
	s_and_b64 vcc, exec, s[4:5]
	v_add3_u32 v19, v19, v23, v22
	s_cbranch_vccnz .LBB1353_148
; %bb.140:
	v_lshlrev_b64 v[22:23], 1, v[18:19]
	v_mov_b32_e32 v25, s17
	v_add_co_u32_e32 v24, vcc, s16, v22
	v_addc_co_u32_e64 v25, s[6:7], v25, v23, vcc
	v_mov_b32_e32 v22, s17
	v_add_co_u32_e64 v26, s[6:7], s16, v20
	v_addc_co_u32_e64 v27, s[8:9], v22, v21, s[6:7]
	global_load_ushort v20, v[24:25], off
	global_load_ushort v22, v[26:27], off
	s_mov_b64 s[40:41], -1
	s_waitcnt vmcnt(0)
	v_cmp_eq_f16_e64 s[8:9], v20, v22
	s_and_saveexec_b64 s[44:45], s[8:9]
	s_cbranch_execz .LBB1353_147
; %bb.141:
	v_mov_b32_e32 v20, s17
	v_addc_co_u32_e64 v21, s[6:7], v21, v20, s[6:7]
	v_add_co_u32_e64 v20, s[6:7], 2, v26
	v_mov_b32_e32 v22, s17
	v_addc_co_u32_e64 v21, s[6:7], 0, v21, s[6:7]
	v_addc_co_u32_e32 v23, vcc, v23, v22, vcc
	v_add_co_u32_e32 v22, vcc, 2, v24
	s_add_u32 s6, s26, -1
	v_addc_co_u32_e32 v23, vcc, 0, v23, vcc
	s_addc_u32 s7, s27, -1
	s_mov_b64 s[8:9], 0
	s_mov_b64 s[46:47], 0
                                        ; implicit-def: $sgpr40_sgpr41
	s_branch .LBB1353_144
.LBB1353_142:                           ;   in Loop: Header=BB1353_144 Depth=1
	global_load_ushort v24, v[22:23], off
	global_load_ushort v25, v[20:21], off
	v_add_co_u32_e32 v20, vcc, 2, v20
	v_addc_co_u32_e32 v21, vcc, 0, v21, vcc
	v_add_co_u32_e32 v22, vcc, 2, v22
	v_addc_co_u32_e32 v23, vcc, 0, v23, vcc
	s_add_u32 s46, s46, 1
	s_addc_u32 s47, s47, 0
	s_andn2_b64 s[40:41], s[40:41], exec
	s_waitcnt vmcnt(0)
	v_cmp_neq_f16_e32 vcc, v24, v25
	s_and_b64 s[50:51], vcc, exec
	s_or_b64 s[40:41], s[40:41], s[50:51]
.LBB1353_143:                           ;   in Loop: Header=BB1353_144 Depth=1
	s_and_b64 s[50:51], exec, s[40:41]
	s_or_b64 s[8:9], s[50:51], s[8:9]
	v_pk_mov_b32 v[24:25], s[46:47], s[46:47] op_sel:[0,1]
	s_andn2_b64 exec, exec, s[8:9]
	s_cbranch_execz .LBB1353_146
.LBB1353_144:                           ; =>This Inner Loop Header: Depth=1
	s_or_b64 s[40:41], s[40:41], exec
	s_cmp_eq_u64 s[6:7], s[46:47]
	s_cbranch_scc0 .LBB1353_142
; %bb.145:                              ;   in Loop: Header=BB1353_144 Depth=1
                                        ; implicit-def: $vgpr20_vgpr21
                                        ; implicit-def: $vgpr22_vgpr23
	s_mov_b64 s[46:47], s[26:27]
	s_branch .LBB1353_143
.LBB1353_146:
	s_or_b64 exec, exec, s[8:9]
	v_cmp_gt_i64_e32 vcc, s[26:27], v[24:25]
	s_orn2_b64 s[40:41], vcc, exec
.LBB1353_147:
	s_or_b64 exec, exec, s[44:45]
.LBB1353_148:
	v_cndmask_b32_e64 v21, 0, 1, s[38:39]
	v_cndmask_b32_e64 v22, 0, 1, s[40:41]
	;; [unrolled: 1-line block ×3, first 2 shown]
	v_lshlrev_b16_e32 v22, 8, v22
	v_lshlrev_b16_e32 v21, 8, v21
	v_or_b32_e32 v22, 1, v22
	v_or_b32_sdwa v20, v20, v21 dst_sel:WORD_1 dst_unused:UNUSED_PAD src0_sel:DWORD src1_sel:DWORD
	v_or_b32_sdwa v28, v22, v20 dst_sel:DWORD dst_unused:UNUSED_PAD src0_sel:WORD_0 src1_sel:DWORD
	s_waitcnt lgkmcnt(0)
	s_barrier
	s_waitcnt lgkmcnt(0)
                                        ; implicit-def: $sgpr38_sgpr39
	s_and_saveexec_b64 s[6:7], s[2:3]
	s_xor_b64 s[8:9], exec, s[6:7]
	s_cbranch_execz .LBB1353_159
; %bb.149:
	s_and_b64 vcc, exec, s[4:5]
	s_mov_b64 s[40:41], 0
	s_cbranch_vccnz .LBB1353_158
; %bb.150:
	v_add_u32_e32 v20, -8, v29
	ds_read_b64 v[20:21], v20
	v_mov_b32_e32 v23, s17
	v_lshlrev_b64 v[18:19], 1, v[18:19]
	s_mov_b64 s[40:41], -1
	s_waitcnt lgkmcnt(0)
	v_mul_lo_u32 v22, v21, s26
	v_mul_lo_u32 v24, v20, s27
	v_mad_u64_u32 v[20:21], s[4:5], v20, s26, 0
	v_add3_u32 v21, v21, v24, v22
	v_lshlrev_b64 v[20:21], 1, v[20:21]
	v_add_co_u32_e32 v22, vcc, s16, v20
	v_addc_co_u32_e64 v23, s[4:5], v23, v21, vcc
	v_mov_b32_e32 v20, s17
	v_add_co_u32_e64 v24, s[4:5], s16, v18
	v_addc_co_u32_e64 v25, s[6:7], v20, v19, s[4:5]
	global_load_ushort v18, v[22:23], off
	global_load_ushort v20, v[24:25], off
	s_waitcnt vmcnt(0)
	v_cmp_eq_f16_e64 s[6:7], v18, v20
	s_and_saveexec_b64 s[38:39], s[6:7]
	s_cbranch_execz .LBB1353_157
; %bb.151:
	v_mov_b32_e32 v18, s17
	v_addc_co_u32_e64 v19, s[4:5], v19, v18, s[4:5]
	v_add_co_u32_e64 v18, s[4:5], 2, v24
	v_mov_b32_e32 v20, s17
	v_addc_co_u32_e64 v19, s[4:5], 0, v19, s[4:5]
	v_addc_co_u32_e32 v21, vcc, v21, v20, vcc
	v_add_co_u32_e32 v20, vcc, 2, v22
	s_add_u32 s4, s26, -1
	v_addc_co_u32_e32 v21, vcc, 0, v21, vcc
	s_addc_u32 s5, s27, -1
	s_mov_b64 s[6:7], 0
	s_mov_b64 s[42:43], 0
                                        ; implicit-def: $sgpr40_sgpr41
	s_branch .LBB1353_154
.LBB1353_152:                           ;   in Loop: Header=BB1353_154 Depth=1
	global_load_ushort v22, v[20:21], off
	global_load_ushort v23, v[18:19], off
	v_add_co_u32_e32 v18, vcc, 2, v18
	v_addc_co_u32_e32 v19, vcc, 0, v19, vcc
	v_add_co_u32_e32 v20, vcc, 2, v20
	v_addc_co_u32_e32 v21, vcc, 0, v21, vcc
	s_add_u32 s42, s42, 1
	s_addc_u32 s43, s43, 0
	s_andn2_b64 s[40:41], s[40:41], exec
	s_waitcnt vmcnt(0)
	v_cmp_neq_f16_e32 vcc, v22, v23
	s_and_b64 s[44:45], vcc, exec
	s_or_b64 s[40:41], s[40:41], s[44:45]
.LBB1353_153:                           ;   in Loop: Header=BB1353_154 Depth=1
	s_and_b64 s[44:45], exec, s[40:41]
	s_or_b64 s[6:7], s[44:45], s[6:7]
	v_pk_mov_b32 v[22:23], s[42:43], s[42:43] op_sel:[0,1]
	s_andn2_b64 exec, exec, s[6:7]
	s_cbranch_execz .LBB1353_156
.LBB1353_154:                           ; =>This Inner Loop Header: Depth=1
	s_or_b64 s[40:41], s[40:41], exec
	s_cmp_eq_u64 s[4:5], s[42:43]
	s_cbranch_scc0 .LBB1353_152
; %bb.155:                              ;   in Loop: Header=BB1353_154 Depth=1
                                        ; implicit-def: $vgpr18_vgpr19
                                        ; implicit-def: $vgpr20_vgpr21
	s_mov_b64 s[42:43], s[26:27]
	s_branch .LBB1353_153
.LBB1353_156:
	s_or_b64 exec, exec, s[6:7]
	v_cmp_gt_i64_e32 vcc, s[26:27], v[22:23]
	s_orn2_b64 s[40:41], vcc, exec
.LBB1353_157:
	s_or_b64 exec, exec, s[38:39]
.LBB1353_158:
	s_and_b64 s[38:39], s[40:41], exec
	s_or_b64 s[14:15], s[14:15], exec
.LBB1353_159:
	s_or_b64 exec, exec, s[8:9]
	s_branch .LBB1353_207
.LBB1353_160:
	s_waitcnt vmcnt(0) lgkmcnt(1)
	v_or_b32_e32 v18, 3, v1
	v_cmp_gt_u32_e32 vcc, s48, v18
	s_mov_b64 s[38:39], 0
	s_mov_b64 s[8:9], 0
	s_and_saveexec_b64 s[40:41], vcc
	s_cbranch_execz .LBB1353_171
; %bb.161:
	s_andn2_b64 vcc, exec, s[10:11]
	s_mov_b64 s[42:43], 0
	s_cbranch_vccnz .LBB1353_170
; %bb.162:
	v_mul_lo_u32 v20, v11, s26
	v_mul_lo_u32 v21, v10, s27
	v_mad_u64_u32 v[18:19], s[4:5], v10, s26, 0
	v_add3_u32 v19, v19, v21, v20
	v_mul_lo_u32 v20, v13, s26
	v_mul_lo_u32 v21, v12, s27
	v_mad_u64_u32 v[24:25], s[4:5], v12, s26, 0
	v_add3_u32 v25, v25, v21, v20
	v_lshlrev_b64 v[20:21], 1, v[18:19]
	v_mov_b32_e32 v18, s17
	v_add_co_u32_e32 v22, vcc, s16, v20
	v_addc_co_u32_e64 v23, s[4:5], v18, v21, vcc
	v_lshlrev_b64 v[18:19], 1, v[24:25]
	v_mov_b32_e32 v20, s17
	v_add_co_u32_e64 v24, s[4:5], s16, v18
	v_addc_co_u32_e64 v25, s[6:7], v20, v19, s[4:5]
	global_load_ushort v18, v[22:23], off
	global_load_ushort v20, v[24:25], off
	s_mov_b64 s[42:43], -1
	s_waitcnt vmcnt(0)
	v_cmp_eq_f16_e64 s[6:7], v18, v20
	s_and_saveexec_b64 s[8:9], s[6:7]
	s_cbranch_execz .LBB1353_169
; %bb.163:
	v_mov_b32_e32 v18, s17
	v_addc_co_u32_e64 v19, s[4:5], v19, v18, s[4:5]
	v_add_co_u32_e64 v18, s[4:5], 2, v24
	v_mov_b32_e32 v20, s17
	v_addc_co_u32_e64 v19, s[4:5], 0, v19, s[4:5]
	v_addc_co_u32_e32 v21, vcc, v21, v20, vcc
	v_add_co_u32_e32 v20, vcc, 2, v22
	s_add_u32 s4, s26, -1
	v_addc_co_u32_e32 v21, vcc, 0, v21, vcc
	s_addc_u32 s5, s27, -1
	s_mov_b64 s[6:7], 0
	s_mov_b64 s[44:45], 0
                                        ; implicit-def: $sgpr42_sgpr43
	s_branch .LBB1353_166
.LBB1353_164:                           ;   in Loop: Header=BB1353_166 Depth=1
	global_load_ushort v22, v[20:21], off
	global_load_ushort v23, v[18:19], off
	v_add_co_u32_e32 v18, vcc, 2, v18
	v_addc_co_u32_e32 v19, vcc, 0, v19, vcc
	v_add_co_u32_e32 v20, vcc, 2, v20
	v_addc_co_u32_e32 v21, vcc, 0, v21, vcc
	s_add_u32 s44, s44, 1
	s_addc_u32 s45, s45, 0
	s_andn2_b64 s[42:43], s[42:43], exec
	s_waitcnt vmcnt(0)
	v_cmp_neq_f16_e32 vcc, v22, v23
	s_and_b64 s[46:47], vcc, exec
	s_or_b64 s[42:43], s[42:43], s[46:47]
.LBB1353_165:                           ;   in Loop: Header=BB1353_166 Depth=1
	s_and_b64 s[46:47], exec, s[42:43]
	s_or_b64 s[6:7], s[46:47], s[6:7]
	v_pk_mov_b32 v[22:23], s[44:45], s[44:45] op_sel:[0,1]
	s_andn2_b64 exec, exec, s[6:7]
	s_cbranch_execz .LBB1353_168
.LBB1353_166:                           ; =>This Inner Loop Header: Depth=1
	s_or_b64 s[42:43], s[42:43], exec
	s_cmp_eq_u64 s[4:5], s[44:45]
	s_cbranch_scc0 .LBB1353_164
; %bb.167:                              ;   in Loop: Header=BB1353_166 Depth=1
                                        ; implicit-def: $vgpr18_vgpr19
                                        ; implicit-def: $vgpr20_vgpr21
	s_mov_b64 s[44:45], s[26:27]
	s_branch .LBB1353_165
.LBB1353_168:
	s_or_b64 exec, exec, s[6:7]
	v_cmp_gt_i64_e32 vcc, s[26:27], v[22:23]
	s_orn2_b64 s[42:43], vcc, exec
.LBB1353_169:
	s_or_b64 exec, exec, s[8:9]
.LBB1353_170:
	s_and_b64 s[8:9], s[42:43], exec
.LBB1353_171:
	s_or_b64 exec, exec, s[40:41]
	v_or_b32_e32 v18, 2, v1
	v_cmp_gt_u32_e32 vcc, s48, v18
	s_and_saveexec_b64 s[40:41], vcc
	s_cbranch_execz .LBB1353_182
; %bb.172:
	s_andn2_b64 vcc, exec, s[10:11]
	s_mov_b64 s[42:43], 0
	s_cbranch_vccnz .LBB1353_181
; %bb.173:
	v_mul_lo_u32 v20, v17, s26
	v_mul_lo_u32 v21, v16, s27
	v_mad_u64_u32 v[18:19], s[4:5], v16, s26, 0
	v_add3_u32 v19, v19, v21, v20
	v_mul_lo_u32 v20, v11, s26
	v_mul_lo_u32 v21, v10, s27
	v_mad_u64_u32 v[24:25], s[4:5], v10, s26, 0
	v_add3_u32 v25, v25, v21, v20
	v_lshlrev_b64 v[20:21], 1, v[18:19]
	v_mov_b32_e32 v18, s17
	v_add_co_u32_e32 v22, vcc, s16, v20
	v_addc_co_u32_e64 v23, s[4:5], v18, v21, vcc
	v_lshlrev_b64 v[18:19], 1, v[24:25]
	v_mov_b32_e32 v20, s17
	v_add_co_u32_e64 v24, s[4:5], s16, v18
	v_addc_co_u32_e64 v25, s[6:7], v20, v19, s[4:5]
	global_load_ushort v18, v[22:23], off
	global_load_ushort v20, v[24:25], off
	s_mov_b64 s[42:43], -1
	s_waitcnt vmcnt(0)
	v_cmp_eq_f16_e64 s[6:7], v18, v20
	s_and_saveexec_b64 s[38:39], s[6:7]
	s_cbranch_execz .LBB1353_180
; %bb.174:
	v_mov_b32_e32 v18, s17
	v_addc_co_u32_e64 v19, s[4:5], v19, v18, s[4:5]
	v_add_co_u32_e64 v18, s[4:5], 2, v24
	v_mov_b32_e32 v20, s17
	v_addc_co_u32_e64 v19, s[4:5], 0, v19, s[4:5]
	v_addc_co_u32_e32 v21, vcc, v21, v20, vcc
	v_add_co_u32_e32 v20, vcc, 2, v22
	s_add_u32 s4, s26, -1
	v_addc_co_u32_e32 v21, vcc, 0, v21, vcc
	s_addc_u32 s5, s27, -1
	s_mov_b64 s[6:7], 0
	s_mov_b64 s[44:45], 0
                                        ; implicit-def: $sgpr42_sgpr43
	s_branch .LBB1353_177
.LBB1353_175:                           ;   in Loop: Header=BB1353_177 Depth=1
	global_load_ushort v22, v[20:21], off
	global_load_ushort v23, v[18:19], off
	v_add_co_u32_e32 v18, vcc, 2, v18
	v_addc_co_u32_e32 v19, vcc, 0, v19, vcc
	v_add_co_u32_e32 v20, vcc, 2, v20
	v_addc_co_u32_e32 v21, vcc, 0, v21, vcc
	s_add_u32 s44, s44, 1
	s_addc_u32 s45, s45, 0
	s_andn2_b64 s[42:43], s[42:43], exec
	s_waitcnt vmcnt(0)
	v_cmp_neq_f16_e32 vcc, v22, v23
	s_and_b64 s[46:47], vcc, exec
	s_or_b64 s[42:43], s[42:43], s[46:47]
.LBB1353_176:                           ;   in Loop: Header=BB1353_177 Depth=1
	s_and_b64 s[46:47], exec, s[42:43]
	s_or_b64 s[6:7], s[46:47], s[6:7]
	v_pk_mov_b32 v[22:23], s[44:45], s[44:45] op_sel:[0,1]
	s_andn2_b64 exec, exec, s[6:7]
	s_cbranch_execz .LBB1353_179
.LBB1353_177:                           ; =>This Inner Loop Header: Depth=1
	s_or_b64 s[42:43], s[42:43], exec
	s_cmp_eq_u64 s[4:5], s[44:45]
	s_cbranch_scc0 .LBB1353_175
; %bb.178:                              ;   in Loop: Header=BB1353_177 Depth=1
                                        ; implicit-def: $vgpr18_vgpr19
                                        ; implicit-def: $vgpr20_vgpr21
	s_mov_b64 s[44:45], s[26:27]
	s_branch .LBB1353_176
.LBB1353_179:
	s_or_b64 exec, exec, s[6:7]
	v_cmp_gt_i64_e32 vcc, s[26:27], v[22:23]
	s_orn2_b64 s[42:43], vcc, exec
.LBB1353_180:
	s_or_b64 exec, exec, s[38:39]
.LBB1353_181:
	s_and_b64 s[38:39], s[42:43], exec
.LBB1353_182:
	s_or_b64 exec, exec, s[40:41]
	v_or_b32_e32 v18, 1, v1
	v_cmp_gt_u32_e32 vcc, s48, v18
	s_mov_b64 s[4:5], 0
	s_and_saveexec_b64 s[40:41], vcc
	s_cbranch_execz .LBB1353_193
; %bb.183:
	s_andn2_b64 vcc, exec, s[10:11]
	s_mov_b64 s[44:45], 0
	s_cbranch_vccnz .LBB1353_192
; %bb.184:
	v_mul_lo_u32 v20, v15, s26
	v_mul_lo_u32 v21, v14, s27
	v_mad_u64_u32 v[18:19], s[4:5], v14, s26, 0
	v_add3_u32 v19, v19, v21, v20
	v_mul_lo_u32 v20, v17, s26
	v_mul_lo_u32 v21, v16, s27
	v_mad_u64_u32 v[24:25], s[4:5], v16, s26, 0
	v_add3_u32 v25, v25, v21, v20
	v_lshlrev_b64 v[20:21], 1, v[18:19]
	v_mov_b32_e32 v18, s17
	v_add_co_u32_e32 v22, vcc, s16, v20
	v_addc_co_u32_e64 v23, s[4:5], v18, v21, vcc
	v_lshlrev_b64 v[18:19], 1, v[24:25]
	v_mov_b32_e32 v20, s17
	v_add_co_u32_e64 v24, s[4:5], s16, v18
	v_addc_co_u32_e64 v25, s[6:7], v20, v19, s[4:5]
	global_load_ushort v18, v[22:23], off
	global_load_ushort v20, v[24:25], off
	s_mov_b64 s[44:45], -1
	s_waitcnt vmcnt(0)
	v_cmp_eq_f16_e64 s[6:7], v18, v20
	s_and_saveexec_b64 s[42:43], s[6:7]
	s_cbranch_execz .LBB1353_191
; %bb.185:
	v_mov_b32_e32 v18, s17
	v_addc_co_u32_e64 v19, s[4:5], v19, v18, s[4:5]
	v_add_co_u32_e64 v18, s[4:5], 2, v24
	v_mov_b32_e32 v20, s17
	v_addc_co_u32_e64 v19, s[4:5], 0, v19, s[4:5]
	v_addc_co_u32_e32 v21, vcc, v21, v20, vcc
	v_add_co_u32_e32 v20, vcc, 2, v22
	s_add_u32 s4, s26, -1
	v_addc_co_u32_e32 v21, vcc, 0, v21, vcc
	s_addc_u32 s5, s27, -1
	s_mov_b64 s[6:7], 0
	s_mov_b64 s[46:47], 0
                                        ; implicit-def: $sgpr44_sgpr45
	s_branch .LBB1353_188
.LBB1353_186:                           ;   in Loop: Header=BB1353_188 Depth=1
	global_load_ushort v22, v[20:21], off
	global_load_ushort v23, v[18:19], off
	v_add_co_u32_e32 v18, vcc, 2, v18
	v_addc_co_u32_e32 v19, vcc, 0, v19, vcc
	v_add_co_u32_e32 v20, vcc, 2, v20
	v_addc_co_u32_e32 v21, vcc, 0, v21, vcc
	s_add_u32 s46, s46, 1
	s_addc_u32 s47, s47, 0
	s_andn2_b64 s[44:45], s[44:45], exec
	s_waitcnt vmcnt(0)
	v_cmp_neq_f16_e32 vcc, v22, v23
	s_and_b64 s[50:51], vcc, exec
	s_or_b64 s[44:45], s[44:45], s[50:51]
.LBB1353_187:                           ;   in Loop: Header=BB1353_188 Depth=1
	s_and_b64 s[50:51], exec, s[44:45]
	s_or_b64 s[6:7], s[50:51], s[6:7]
	v_pk_mov_b32 v[22:23], s[46:47], s[46:47] op_sel:[0,1]
	s_andn2_b64 exec, exec, s[6:7]
	s_cbranch_execz .LBB1353_190
.LBB1353_188:                           ; =>This Inner Loop Header: Depth=1
	s_or_b64 s[44:45], s[44:45], exec
	s_cmp_eq_u64 s[4:5], s[46:47]
	s_cbranch_scc0 .LBB1353_186
; %bb.189:                              ;   in Loop: Header=BB1353_188 Depth=1
                                        ; implicit-def: $vgpr18_vgpr19
                                        ; implicit-def: $vgpr20_vgpr21
	s_mov_b64 s[46:47], s[26:27]
	s_branch .LBB1353_187
.LBB1353_190:
	s_or_b64 exec, exec, s[6:7]
	v_cmp_gt_i64_e32 vcc, s[26:27], v[22:23]
	s_orn2_b64 s[44:45], vcc, exec
.LBB1353_191:
	s_or_b64 exec, exec, s[42:43]
.LBB1353_192:
	s_and_b64 s[4:5], s[44:45], exec
.LBB1353_193:
	s_or_b64 exec, exec, s[40:41]
	v_cndmask_b32_e64 v19, 0, 1, s[8:9]
	v_cndmask_b32_e64 v20, 0, 1, s[4:5]
	v_cndmask_b32_e64 v18, 0, 1, s[38:39]
	v_lshlrev_b16_e32 v20, 8, v20
	v_lshlrev_b16_e32 v19, 8, v19
	v_or_b32_e32 v20, 1, v20
	v_or_b32_sdwa v18, v18, v19 dst_sel:WORD_1 dst_unused:UNUSED_PAD src0_sel:DWORD src1_sel:DWORD
	v_or_b32_sdwa v28, v20, v18 dst_sel:DWORD dst_unused:UNUSED_PAD src0_sel:WORD_0 src1_sel:DWORD
	s_waitcnt lgkmcnt(0)
	s_barrier
	s_waitcnt lgkmcnt(0)
                                        ; implicit-def: $sgpr38_sgpr39
	s_and_saveexec_b64 s[6:7], s[2:3]
	s_cbranch_execz .LBB1353_206
; %bb.194:
	v_cmp_gt_u32_e32 vcc, s48, v1
	s_mov_b64 s[2:3], 0
	s_and_saveexec_b64 s[8:9], vcc
	s_cbranch_execz .LBB1353_205
; %bb.195:
	s_andn2_b64 vcc, exec, s[10:11]
	s_mov_b64 s[38:39], 0
	s_cbranch_vccnz .LBB1353_204
; %bb.196:
	v_add_u32_e32 v18, -8, v29
	ds_read_b64 v[18:19], v18
	v_mul_lo_u32 v20, v15, s26
	v_mad_u64_u32 v[24:25], s[2:3], v14, s26, 0
	s_mov_b64 s[38:39], -1
	s_waitcnt lgkmcnt(0)
	v_mul_lo_u32 v21, v19, s26
	v_mul_lo_u32 v22, v18, s27
	v_mad_u64_u32 v[18:19], s[2:3], v18, s26, 0
	v_add3_u32 v19, v19, v22, v21
	v_mul_lo_u32 v21, v14, s27
	v_add3_u32 v25, v25, v21, v20
	v_lshlrev_b64 v[20:21], 1, v[18:19]
	v_mov_b32_e32 v18, s17
	v_add_co_u32_e32 v22, vcc, s16, v20
	v_addc_co_u32_e64 v23, s[2:3], v18, v21, vcc
	v_lshlrev_b64 v[18:19], 1, v[24:25]
	v_mov_b32_e32 v20, s17
	v_add_co_u32_e64 v24, s[2:3], s16, v18
	v_addc_co_u32_e64 v25, s[4:5], v20, v19, s[2:3]
	global_load_ushort v18, v[22:23], off
	global_load_ushort v20, v[24:25], off
	s_waitcnt vmcnt(0)
	v_cmp_eq_f16_e64 s[4:5], v18, v20
	s_and_saveexec_b64 s[10:11], s[4:5]
	s_cbranch_execz .LBB1353_203
; %bb.197:
	v_mov_b32_e32 v18, s17
	v_addc_co_u32_e64 v19, s[2:3], v19, v18, s[2:3]
	v_add_co_u32_e64 v18, s[2:3], 2, v24
	v_mov_b32_e32 v20, s17
	v_addc_co_u32_e64 v19, s[2:3], 0, v19, s[2:3]
	v_addc_co_u32_e32 v21, vcc, v21, v20, vcc
	v_add_co_u32_e32 v20, vcc, 2, v22
	s_add_u32 s2, s26, -1
	v_addc_co_u32_e32 v21, vcc, 0, v21, vcc
	s_addc_u32 s3, s27, -1
	s_mov_b64 s[4:5], 0
	s_mov_b64 s[38:39], 0
                                        ; implicit-def: $sgpr16_sgpr17
	s_branch .LBB1353_200
.LBB1353_198:                           ;   in Loop: Header=BB1353_200 Depth=1
	global_load_ushort v22, v[20:21], off
	global_load_ushort v23, v[18:19], off
	v_add_co_u32_e32 v18, vcc, 2, v18
	v_addc_co_u32_e32 v19, vcc, 0, v19, vcc
	v_add_co_u32_e32 v20, vcc, 2, v20
	v_addc_co_u32_e32 v21, vcc, 0, v21, vcc
	s_add_u32 s38, s38, 1
	s_addc_u32 s39, s39, 0
	s_andn2_b64 s[16:17], s[16:17], exec
	s_waitcnt vmcnt(0)
	v_cmp_neq_f16_e32 vcc, v22, v23
	s_and_b64 s[40:41], vcc, exec
	s_or_b64 s[16:17], s[16:17], s[40:41]
.LBB1353_199:                           ;   in Loop: Header=BB1353_200 Depth=1
	s_and_b64 s[40:41], exec, s[16:17]
	s_or_b64 s[4:5], s[40:41], s[4:5]
	v_pk_mov_b32 v[22:23], s[38:39], s[38:39] op_sel:[0,1]
	s_andn2_b64 exec, exec, s[4:5]
	s_cbranch_execz .LBB1353_202
.LBB1353_200:                           ; =>This Inner Loop Header: Depth=1
	s_or_b64 s[16:17], s[16:17], exec
	s_cmp_eq_u64 s[2:3], s[38:39]
	s_cbranch_scc0 .LBB1353_198
; %bb.201:                              ;   in Loop: Header=BB1353_200 Depth=1
                                        ; implicit-def: $vgpr18_vgpr19
                                        ; implicit-def: $vgpr20_vgpr21
	s_mov_b64 s[38:39], s[26:27]
	s_branch .LBB1353_199
.LBB1353_202:
	s_or_b64 exec, exec, s[4:5]
	v_cmp_gt_i64_e32 vcc, s[26:27], v[22:23]
	s_orn2_b64 s[38:39], vcc, exec
.LBB1353_203:
	s_or_b64 exec, exec, s[10:11]
.LBB1353_204:
	s_and_b64 s[2:3], s[38:39], exec
.LBB1353_205:
	s_or_b64 exec, exec, s[8:9]
	s_and_b64 s[38:39], s[2:3], exec
	s_or_b64 s[14:15], s[14:15], exec
.LBB1353_206:
	s_or_b64 exec, exec, s[6:7]
.LBB1353_207:
	s_and_saveexec_b64 s[2:3], s[14:15]
	s_cbranch_execz .LBB1353_209
; %bb.208:
	s_waitcnt vmcnt(0) lgkmcnt(0)
	v_and_b32_e32 v18, 0xffffff00, v28
	v_cndmask_b32_e64 v19, 0, 1, s[38:39]
	v_or_b32_e32 v18, v19, v18
	v_and_b32_e32 v18, 0xffff, v18
	s_mov_b32 s4, 0xffff0000
	v_and_or_b32 v28, v28, s4, v18
.LBB1353_209:
	s_or_b64 exec, exec, s[2:3]
	s_andn2_b64 vcc, exec, s[12:13]
	s_cbranch_vccnz .LBB1353_211
; %bb.210:
	v_cmp_gt_u32_e32 vcc, s48, v1
	s_waitcnt vmcnt(0) lgkmcnt(0)
	v_cndmask_b32_e32 v18, 0, v28, vcc
	v_or_b32_e32 v19, 1, v1
	v_and_b32_e32 v18, 0xff, v18
	v_cmp_gt_u32_e32 vcc, s48, v19
	v_cndmask_b32_e32 v18, v18, v28, vcc
	v_or_b32_e32 v19, 2, v1
	v_and_b32_e32 v18, 0xffff, v18
	v_cmp_gt_u32_e32 vcc, s48, v19
	;; [unrolled: 4-line block ×3, first 2 shown]
	v_cndmask_b32_e32 v28, v18, v28, vcc
.LBB1353_211:
	v_bfe_u32 v30, v28, 16, 8
	v_lshrrev_b32_e32 v29, 24, v28
	s_waitcnt vmcnt(0) lgkmcnt(0)
	v_add_u32_sdwa v18, v28, v28 dst_sel:DWORD dst_unused:UNUSED_PAD src0_sel:BYTE_1 src1_sel:BYTE_0
	v_add3_u32 v33, v18, v30, v29
	v_mbcnt_lo_u32_b32 v18, -1, 0
	v_mbcnt_hi_u32_b32 v31, -1, v18
	v_and_b32_e32 v18, 15, v31
	v_cmp_eq_u32_e64 s[14:15], 0, v18
	v_cmp_lt_u32_e64 s[12:13], 1, v18
	v_cmp_lt_u32_e64 s[10:11], 3, v18
	;; [unrolled: 1-line block ×3, first 2 shown]
	v_and_b32_e32 v18, 16, v31
	v_cmp_eq_u32_e64 s[6:7], 0, v18
	v_or_b32_e32 v18, 63, v0
	v_cmp_lt_u32_e64 s[2:3], 31, v31
	v_lshrrev_b32_e32 v32, 6, v0
	v_cmp_eq_u32_e64 s[4:5], v18, v0
	s_and_b64 vcc, exec, s[36:37]
	s_barrier
	s_cbranch_vccz .LBB1353_238
; %bb.212:
	v_mov_b32_dpp v18, v33 row_shr:1 row_mask:0xf bank_mask:0xf
	v_cndmask_b32_e64 v18, v18, 0, s[14:15]
	v_add_u32_e32 v18, v18, v33
	s_nop 1
	v_mov_b32_dpp v19, v18 row_shr:2 row_mask:0xf bank_mask:0xf
	v_cndmask_b32_e64 v19, 0, v19, s[12:13]
	v_add_u32_e32 v18, v18, v19
	s_nop 1
	;; [unrolled: 4-line block ×4, first 2 shown]
	v_mov_b32_dpp v19, v18 row_bcast:15 row_mask:0xf bank_mask:0xf
	v_cndmask_b32_e64 v19, v19, 0, s[6:7]
	v_add_u32_e32 v18, v18, v19
	s_nop 1
	v_mov_b32_dpp v19, v18 row_bcast:31 row_mask:0xf bank_mask:0xf
	v_cndmask_b32_e64 v19, 0, v19, s[2:3]
	v_add_u32_e32 v18, v18, v19
	s_and_saveexec_b64 s[16:17], s[4:5]
	s_cbranch_execz .LBB1353_214
; %bb.213:
	v_lshlrev_b32_e32 v19, 2, v32
	ds_write_b32 v19, v18
.LBB1353_214:
	s_or_b64 exec, exec, s[16:17]
	v_cmp_gt_u32_e32 vcc, 2, v0
	s_waitcnt lgkmcnt(0)
	s_barrier
	s_and_saveexec_b64 s[16:17], vcc
	s_cbranch_execz .LBB1353_216
; %bb.215:
	ds_read_b32 v19, v1
	v_bfe_i32 v20, v31, 0, 1
	s_waitcnt lgkmcnt(0)
	v_mov_b32_dpp v21, v19 row_shr:1 row_mask:0xf bank_mask:0xf
	v_and_b32_e32 v20, v20, v21
	v_add_u32_e32 v19, v20, v19
	ds_write_b32 v1, v19
.LBB1353_216:
	s_or_b64 exec, exec, s[16:17]
	v_cmp_gt_u32_e32 vcc, 64, v0
	v_cmp_lt_u32_e64 s[16:17], 63, v0
	s_waitcnt lgkmcnt(0)
	s_barrier
	s_waitcnt lgkmcnt(0)
                                        ; implicit-def: $vgpr34
	s_and_saveexec_b64 s[26:27], s[16:17]
	s_cbranch_execz .LBB1353_218
; %bb.217:
	v_lshl_add_u32 v19, v32, 2, -4
	ds_read_b32 v34, v19
	s_waitcnt lgkmcnt(0)
	v_add_u32_e32 v18, v34, v18
.LBB1353_218:
	s_or_b64 exec, exec, s[26:27]
	v_add_u32_e32 v19, -1, v31
	v_and_b32_e32 v20, 64, v31
	v_cmp_lt_i32_e64 s[16:17], v19, v20
	v_cndmask_b32_e64 v19, v19, v31, s[16:17]
	v_lshlrev_b32_e32 v19, 2, v19
	ds_bpermute_b32 v35, v19, v18
	v_cmp_eq_u32_e64 s[16:17], 0, v31
	s_and_saveexec_b64 s[26:27], vcc
	s_cbranch_execz .LBB1353_237
; %bb.219:
	v_mov_b32_e32 v25, 0
	ds_read_b32 v18, v25 offset:4
	s_and_saveexec_b64 s[36:37], s[16:17]
	s_cbranch_execz .LBB1353_221
; %bb.220:
	s_add_i32 s38, s33, 64
	s_mov_b32 s39, 0
	s_lshl_b64 s[38:39], s[38:39], 3
	s_add_u32 s38, s18, s38
	v_mov_b32_e32 v19, 1
	s_addc_u32 s39, s19, s39
	s_waitcnt lgkmcnt(0)
	global_store_dwordx2 v25, v[18:19], s[38:39]
.LBB1353_221:
	s_or_b64 exec, exec, s[36:37]
	v_xad_u32 v20, v31, -1, s33
	v_add_u32_e32 v24, 64, v20
	v_lshlrev_b64 v[22:23], 3, v[24:25]
	v_mov_b32_e32 v19, s19
	v_add_co_u32_e32 v26, vcc, s18, v22
	v_addc_co_u32_e32 v27, vcc, v19, v23, vcc
	global_load_dwordx2 v[22:23], v[26:27], off glc
	s_waitcnt vmcnt(0)
	v_cmp_eq_u16_sdwa s[38:39], v23, v25 src0_sel:BYTE_0 src1_sel:DWORD
	s_and_saveexec_b64 s[36:37], s[38:39]
	s_cbranch_execz .LBB1353_225
; %bb.222:
	s_mov_b64 s[38:39], 0
	v_mov_b32_e32 v19, 0
.LBB1353_223:                           ; =>This Inner Loop Header: Depth=1
	global_load_dwordx2 v[22:23], v[26:27], off glc
	s_waitcnt vmcnt(0)
	v_cmp_ne_u16_sdwa s[40:41], v23, v19 src0_sel:BYTE_0 src1_sel:DWORD
	s_or_b64 s[38:39], s[40:41], s[38:39]
	s_andn2_b64 exec, exec, s[38:39]
	s_cbranch_execnz .LBB1353_223
; %bb.224:
	s_or_b64 exec, exec, s[38:39]
.LBB1353_225:
	s_or_b64 exec, exec, s[36:37]
	v_and_b32_e32 v36, 63, v31
	v_mov_b32_e32 v19, 2
	v_cmp_ne_u32_e32 vcc, 63, v36
	v_cmp_eq_u16_sdwa s[36:37], v23, v19 src0_sel:BYTE_0 src1_sel:DWORD
	v_lshlrev_b64 v[24:25], v31, -1
	v_addc_co_u32_e32 v27, vcc, 0, v31, vcc
	v_and_b32_e32 v21, s37, v25
	v_lshlrev_b32_e32 v37, 2, v27
	v_or_b32_e32 v21, 0x80000000, v21
	ds_bpermute_b32 v27, v37, v22
	v_and_b32_e32 v26, s36, v24
	v_ffbl_b32_e32 v21, v21
	v_add_u32_e32 v21, 32, v21
	v_ffbl_b32_e32 v26, v26
	v_min_u32_e32 v21, v26, v21
	v_cmp_lt_u32_e32 vcc, v36, v21
	s_waitcnt lgkmcnt(0)
	v_cndmask_b32_e32 v26, 0, v27, vcc
	v_cmp_gt_u32_e32 vcc, 62, v36
	v_add_u32_e32 v22, v26, v22
	v_cndmask_b32_e64 v26, 0, 1, vcc
	v_lshlrev_b32_e32 v26, 1, v26
	v_add_lshl_u32 v38, v26, v31, 2
	ds_bpermute_b32 v26, v38, v22
	v_add_u32_e32 v39, 2, v36
	v_cmp_le_u32_e32 vcc, v39, v21
	v_add_u32_e32 v41, 4, v36
	v_add_u32_e32 v43, 8, v36
	s_waitcnt lgkmcnt(0)
	v_cndmask_b32_e32 v26, 0, v26, vcc
	v_cmp_gt_u32_e32 vcc, 60, v36
	v_add_u32_e32 v22, v22, v26
	v_cndmask_b32_e64 v26, 0, 1, vcc
	v_lshlrev_b32_e32 v26, 2, v26
	v_add_lshl_u32 v40, v26, v31, 2
	ds_bpermute_b32 v26, v40, v22
	v_cmp_le_u32_e32 vcc, v41, v21
	v_add_u32_e32 v46, 16, v36
	v_add_u32_e32 v48, 32, v36
	s_waitcnt lgkmcnt(0)
	v_cndmask_b32_e32 v26, 0, v26, vcc
	v_cmp_gt_u32_e32 vcc, 56, v36
	v_add_u32_e32 v22, v22, v26
	v_cndmask_b32_e64 v26, 0, 1, vcc
	v_lshlrev_b32_e32 v26, 3, v26
	v_add_lshl_u32 v42, v26, v31, 2
	ds_bpermute_b32 v26, v42, v22
	v_cmp_le_u32_e32 vcc, v43, v21
	s_waitcnt lgkmcnt(0)
	v_cndmask_b32_e32 v26, 0, v26, vcc
	v_cmp_gt_u32_e32 vcc, 48, v36
	v_add_u32_e32 v22, v22, v26
	v_cndmask_b32_e64 v26, 0, 1, vcc
	v_lshlrev_b32_e32 v26, 4, v26
	v_add_lshl_u32 v45, v26, v31, 2
	ds_bpermute_b32 v26, v45, v22
	v_cmp_le_u32_e32 vcc, v46, v21
	;; [unrolled: 9-line block ×3, first 2 shown]
	s_waitcnt lgkmcnt(0)
	v_cndmask_b32_e32 v21, 0, v26, vcc
	v_add_u32_e32 v22, v22, v21
	v_mov_b32_e32 v21, 0
	s_branch .LBB1353_227
.LBB1353_226:                           ;   in Loop: Header=BB1353_227 Depth=1
	s_or_b64 exec, exec, s[36:37]
	v_cmp_eq_u16_sdwa s[36:37], v23, v19 src0_sel:BYTE_0 src1_sel:DWORD
	v_and_b32_e32 v26, s37, v25
	v_or_b32_e32 v26, 0x80000000, v26
	ds_bpermute_b32 v49, v37, v22
	v_and_b32_e32 v27, s36, v24
	v_ffbl_b32_e32 v26, v26
	v_add_u32_e32 v26, 32, v26
	v_ffbl_b32_e32 v27, v27
	v_min_u32_e32 v26, v27, v26
	v_cmp_lt_u32_e32 vcc, v36, v26
	s_waitcnt lgkmcnt(0)
	v_cndmask_b32_e32 v27, 0, v49, vcc
	v_add_u32_e32 v22, v27, v22
	ds_bpermute_b32 v27, v38, v22
	v_cmp_le_u32_e32 vcc, v39, v26
	v_subrev_u32_e32 v20, 64, v20
	s_waitcnt lgkmcnt(0)
	v_cndmask_b32_e32 v27, 0, v27, vcc
	v_add_u32_e32 v22, v22, v27
	ds_bpermute_b32 v27, v40, v22
	v_cmp_le_u32_e32 vcc, v41, v26
	s_waitcnt lgkmcnt(0)
	v_cndmask_b32_e32 v27, 0, v27, vcc
	v_add_u32_e32 v22, v22, v27
	ds_bpermute_b32 v27, v42, v22
	v_cmp_le_u32_e32 vcc, v43, v26
	;; [unrolled: 5-line block ×4, first 2 shown]
	s_waitcnt lgkmcnt(0)
	v_cndmask_b32_e32 v26, 0, v27, vcc
	v_add3_u32 v22, v26, v44, v22
.LBB1353_227:                           ; =>This Loop Header: Depth=1
                                        ;     Child Loop BB1353_230 Depth 2
	v_cmp_ne_u16_sdwa s[36:37], v23, v19 src0_sel:BYTE_0 src1_sel:DWORD
	v_cndmask_b32_e64 v23, 0, 1, s[36:37]
	;;#ASMSTART
	;;#ASMEND
	v_cmp_ne_u32_e32 vcc, 0, v23
	s_cmp_lg_u64 vcc, exec
	v_mov_b32_e32 v44, v22
	s_cbranch_scc1 .LBB1353_232
; %bb.228:                              ;   in Loop: Header=BB1353_227 Depth=1
	v_lshlrev_b64 v[22:23], 3, v[20:21]
	v_mov_b32_e32 v27, s19
	v_add_co_u32_e32 v26, vcc, s18, v22
	v_addc_co_u32_e32 v27, vcc, v27, v23, vcc
	global_load_dwordx2 v[22:23], v[26:27], off glc
	s_waitcnt vmcnt(0)
	v_cmp_eq_u16_sdwa s[38:39], v23, v21 src0_sel:BYTE_0 src1_sel:DWORD
	s_and_saveexec_b64 s[36:37], s[38:39]
	s_cbranch_execz .LBB1353_226
; %bb.229:                              ;   in Loop: Header=BB1353_227 Depth=1
	s_mov_b64 s[38:39], 0
.LBB1353_230:                           ;   Parent Loop BB1353_227 Depth=1
                                        ; =>  This Inner Loop Header: Depth=2
	global_load_dwordx2 v[22:23], v[26:27], off glc
	s_waitcnt vmcnt(0)
	v_cmp_ne_u16_sdwa s[40:41], v23, v21 src0_sel:BYTE_0 src1_sel:DWORD
	s_or_b64 s[38:39], s[40:41], s[38:39]
	s_andn2_b64 exec, exec, s[38:39]
	s_cbranch_execnz .LBB1353_230
; %bb.231:                              ;   in Loop: Header=BB1353_227 Depth=1
	s_or_b64 exec, exec, s[38:39]
	s_branch .LBB1353_226
.LBB1353_232:                           ;   in Loop: Header=BB1353_227 Depth=1
                                        ; implicit-def: $vgpr22
                                        ; implicit-def: $vgpr23
	s_cbranch_execz .LBB1353_227
; %bb.233:
	s_and_saveexec_b64 s[36:37], s[16:17]
	s_cbranch_execz .LBB1353_235
; %bb.234:
	s_add_i32 s38, s33, 64
	s_mov_b32 s39, 0
	s_lshl_b64 s[38:39], s[38:39], 3
	s_add_u32 s38, s18, s38
	v_add_u32_e32 v20, v44, v18
	v_mov_b32_e32 v21, 2
	s_addc_u32 s39, s19, s39
	v_mov_b32_e32 v19, 0
	s_movk_i32 s33, 0x1000
	global_store_dwordx2 v19, v[20:21], s[38:39]
	v_add_u32_e64 v19, s33, 0
	ds_write2_b32 v19, v18, v44 offset0:32 offset1:34
.LBB1353_235:
	s_or_b64 exec, exec, s[36:37]
	s_and_b64 exec, exec, s[0:1]
	s_cbranch_execz .LBB1353_237
; %bb.236:
	v_mov_b32_e32 v18, 0
	ds_write_b32 v18, v44 offset:4
.LBB1353_237:
	s_or_b64 exec, exec, s[26:27]
	v_mov_b32_e32 v19, 0
	s_waitcnt lgkmcnt(0)
	s_barrier
	ds_read_b32 v19, v19 offset:4
	v_cndmask_b32_e64 v18, v35, v34, s[16:17]
	s_movk_i32 s16, 0x1000
	v_add_u32_e64 v20, s16, 0
	s_waitcnt lgkmcnt(0)
	s_barrier
	ds_read2_b32 v[26:27], v20 offset0:32 offset1:34
	v_cndmask_b32_e64 v18, v18, 0, s[0:1]
	v_add_u32_e32 v24, v19, v18
	v_add_u32_sdwa v22, v24, v28 dst_sel:DWORD dst_unused:UNUSED_PAD src0_sel:DWORD src1_sel:BYTE_0
	v_add_u32_sdwa v20, v22, v28 dst_sel:DWORD dst_unused:UNUSED_PAD src0_sel:DWORD src1_sel:BYTE_1
	v_add_u32_e32 v18, v20, v30
	s_waitcnt lgkmcnt(0)
	v_readfirstlane_b32 s33, v26
	v_readfirstlane_b32 s16, v27
	s_branch .LBB1353_248
.LBB1353_238:
                                        ; implicit-def: $vgpr18
                                        ; implicit-def: $vgpr20
                                        ; implicit-def: $vgpr22
                                        ; implicit-def: $vgpr24
                                        ; implicit-def: $sgpr16
                                        ; implicit-def: $sgpr33
	s_cbranch_execz .LBB1353_248
; %bb.239:
	s_nop 0
	v_mov_b32_dpp v18, v33 row_shr:1 row_mask:0xf bank_mask:0xf
	v_cndmask_b32_e64 v18, v18, 0, s[14:15]
	v_add_u32_e32 v18, v18, v33
	s_nop 1
	v_mov_b32_dpp v19, v18 row_shr:2 row_mask:0xf bank_mask:0xf
	v_cndmask_b32_e64 v19, 0, v19, s[12:13]
	v_add_u32_e32 v18, v18, v19
	;; [unrolled: 4-line block ×4, first 2 shown]
	s_nop 1
	v_mov_b32_dpp v19, v18 row_bcast:15 row_mask:0xf bank_mask:0xf
	v_cndmask_b32_e64 v19, v19, 0, s[6:7]
	v_add_u32_e32 v18, v18, v19
	s_nop 1
	v_mov_b32_dpp v19, v18 row_bcast:31 row_mask:0xf bank_mask:0xf
	v_cndmask_b32_e64 v19, 0, v19, s[2:3]
	v_add_u32_e32 v18, v18, v19
	s_and_saveexec_b64 s[2:3], s[4:5]
	s_cbranch_execz .LBB1353_241
; %bb.240:
	v_lshlrev_b32_e32 v19, 2, v32
	ds_write_b32 v19, v18
.LBB1353_241:
	s_or_b64 exec, exec, s[2:3]
	v_cmp_gt_u32_e32 vcc, 2, v0
	s_waitcnt lgkmcnt(0)
	s_barrier
	s_and_saveexec_b64 s[2:3], vcc
	s_cbranch_execz .LBB1353_243
; %bb.242:
	ds_read_b32 v19, v1
	v_bfe_i32 v20, v31, 0, 1
	s_waitcnt lgkmcnt(0)
	v_mov_b32_dpp v21, v19 row_shr:1 row_mask:0xf bank_mask:0xf
	v_and_b32_e32 v20, v20, v21
	v_add_u32_e32 v19, v20, v19
	ds_write_b32 v1, v19
.LBB1353_243:
	s_or_b64 exec, exec, s[2:3]
	v_cmp_lt_u32_e32 vcc, 63, v0
	v_mov_b32_e32 v19, 0
	v_mov_b32_e32 v1, 0
	s_waitcnt lgkmcnt(0)
	s_barrier
	s_and_saveexec_b64 s[2:3], vcc
	s_cbranch_execz .LBB1353_245
; %bb.244:
	v_lshl_add_u32 v1, v32, 2, -4
	ds_read_b32 v1, v1
.LBB1353_245:
	s_or_b64 exec, exec, s[2:3]
	v_add_u32_e32 v20, -1, v31
	v_and_b32_e32 v21, 64, v31
	v_cmp_lt_i32_e32 vcc, v20, v21
	v_cndmask_b32_e32 v20, v20, v31, vcc
	s_waitcnt lgkmcnt(0)
	v_add_u32_e32 v18, v1, v18
	v_lshlrev_b32_e32 v20, 2, v20
	ds_read_b32 v19, v19 offset:4
	ds_bpermute_b32 v18, v20, v18
	s_waitcnt lgkmcnt(1)
	v_readfirstlane_b32 s33, v19
	s_and_saveexec_b64 s[2:3], s[0:1]
	s_cbranch_execz .LBB1353_247
; %bb.246:
	v_mov_b32_e32 v19, 0
	v_mov_b32_e32 v20, s33
	;; [unrolled: 1-line block ×3, first 2 shown]
	global_store_dwordx2 v19, v[20:21], s[18:19] offset:512
.LBB1353_247:
	s_or_b64 exec, exec, s[2:3]
	v_cmp_eq_u32_e32 vcc, 0, v31
	s_waitcnt lgkmcnt(0)
	v_cndmask_b32_e32 v1, v18, v1, vcc
	v_cndmask_b32_e64 v24, v1, 0, s[0:1]
	v_add_u32_sdwa v22, v24, v28 dst_sel:DWORD dst_unused:UNUSED_PAD src0_sel:DWORD src1_sel:BYTE_0
	v_add_u32_sdwa v20, v22, v28 dst_sel:DWORD dst_unused:UNUSED_PAD src0_sel:DWORD src1_sel:BYTE_1
	s_mov_b32 s16, 0
	v_add_u32_e32 v18, v20, v30
	s_barrier
.LBB1353_248:
	s_cmpk_lt_u32 s33, 0x81
	s_cselect_b64 s[4:5], -1, 0
	v_lshrrev_b32_e32 v1, 8, v28
	s_mov_b64 s[2:3], -1
	s_and_b64 vcc, exec, s[4:5]
	s_cbranch_vccz .LBB1353_262
; %bb.249:
	s_add_i32 s6, s16, s33
	v_cmp_gt_u32_e32 vcc, s6, v24
	s_or_b64 s[8:9], s[34:35], vcc
	s_and_saveexec_b64 s[2:3], s[8:9]
	s_cbranch_execz .LBB1353_252
; %bb.250:
	v_and_b32_e32 v19, 1, v28
	v_cmp_eq_u32_e32 vcc, 1, v19
	s_and_b64 exec, exec, vcc
	s_cbranch_execz .LBB1353_252
; %bb.251:
	s_lshl_b64 s[8:9], s[22:23], 3
	s_add_u32 s7, s28, s8
	v_mov_b32_e32 v25, 0
	s_addc_u32 s8, s29, s9
	v_lshlrev_b64 v[26:27], 3, v[24:25]
	v_mov_b32_e32 v19, s8
	v_add_co_u32_e32 v26, vcc, s7, v26
	v_addc_co_u32_e32 v27, vcc, v19, v27, vcc
	global_store_dwordx2 v[26:27], v[14:15], off
.LBB1353_252:
	s_or_b64 exec, exec, s[2:3]
	v_cmp_gt_u32_e32 vcc, s6, v22
	s_or_b64 s[8:9], s[34:35], vcc
	s_and_saveexec_b64 s[2:3], s[8:9]
	s_cbranch_execz .LBB1353_255
; %bb.253:
	v_and_b32_e32 v19, 1, v1
	v_cmp_eq_u32_e32 vcc, 1, v19
	s_and_b64 exec, exec, vcc
	s_cbranch_execz .LBB1353_255
; %bb.254:
	s_lshl_b64 s[8:9], s[22:23], 3
	s_add_u32 s7, s28, s8
	v_mov_b32_e32 v23, 0
	s_addc_u32 s8, s29, s9
	v_lshlrev_b64 v[26:27], 3, v[22:23]
	v_mov_b32_e32 v19, s8
	v_add_co_u32_e32 v26, vcc, s7, v26
	v_addc_co_u32_e32 v27, vcc, v19, v27, vcc
	global_store_dwordx2 v[26:27], v[16:17], off
.LBB1353_255:
	s_or_b64 exec, exec, s[2:3]
	v_cmp_gt_u32_e32 vcc, s6, v20
	s_or_b64 s[8:9], s[34:35], vcc
	s_and_saveexec_b64 s[2:3], s[8:9]
	s_cbranch_execz .LBB1353_258
; %bb.256:
	v_mov_b32_e32 v19, 1
	v_and_b32_sdwa v19, v19, v28 dst_sel:DWORD dst_unused:UNUSED_PAD src0_sel:DWORD src1_sel:WORD_1
	v_cmp_eq_u32_e32 vcc, 1, v19
	s_and_b64 exec, exec, vcc
	s_cbranch_execz .LBB1353_258
; %bb.257:
	s_lshl_b64 s[8:9], s[22:23], 3
	s_add_u32 s7, s28, s8
	v_mov_b32_e32 v21, 0
	s_addc_u32 s8, s29, s9
	v_lshlrev_b64 v[26:27], 3, v[20:21]
	v_mov_b32_e32 v19, s8
	v_add_co_u32_e32 v26, vcc, s7, v26
	v_addc_co_u32_e32 v27, vcc, v19, v27, vcc
	global_store_dwordx2 v[26:27], v[10:11], off
.LBB1353_258:
	s_or_b64 exec, exec, s[2:3]
	v_cmp_gt_u32_e32 vcc, s6, v18
	s_or_b64 s[6:7], s[34:35], vcc
	s_and_saveexec_b64 s[2:3], s[6:7]
	s_cbranch_execz .LBB1353_261
; %bb.259:
	v_and_b32_e32 v19, 1, v29
	v_cmp_eq_u32_e32 vcc, 1, v19
	s_and_b64 exec, exec, vcc
	s_cbranch_execz .LBB1353_261
; %bb.260:
	s_lshl_b64 s[6:7], s[22:23], 3
	s_add_u32 s6, s28, s6
	v_mov_b32_e32 v19, 0
	s_addc_u32 s7, s29, s7
	v_lshlrev_b64 v[26:27], 3, v[18:19]
	v_mov_b32_e32 v19, s7
	v_add_co_u32_e32 v26, vcc, s6, v26
	v_addc_co_u32_e32 v27, vcc, v19, v27, vcc
	global_store_dwordx2 v[26:27], v[12:13], off
.LBB1353_261:
	s_or_b64 exec, exec, s[2:3]
	s_mov_b64 s[2:3], 0
.LBB1353_262:
	v_and_b32_e32 v26, 1, v28
	s_and_b64 vcc, exec, s[2:3]
	v_cmp_eq_u32_e64 s[2:3], 1, v26
	s_cbranch_vccz .LBB1353_275
; %bb.263:
	s_and_saveexec_b64 s[6:7], s[2:3]
	s_cbranch_execz .LBB1353_265
; %bb.264:
	v_subrev_u32_e32 v19, s16, v24
	v_lshlrev_b32_e32 v19, 3, v19
	ds_write_b64 v19, v[14:15]
.LBB1353_265:
	s_or_b64 exec, exec, s[6:7]
	v_and_b32_e32 v14, 1, v1
	v_cmp_eq_u32_e32 vcc, 1, v14
	s_and_saveexec_b64 s[2:3], vcc
	s_cbranch_execz .LBB1353_267
; %bb.266:
	v_subrev_u32_e32 v14, s16, v22
	v_lshlrev_b32_e32 v14, 3, v14
	ds_write_b64 v14, v[16:17]
.LBB1353_267:
	s_or_b64 exec, exec, s[2:3]
	v_mov_b32_e32 v14, 1
	v_and_b32_sdwa v14, v14, v28 dst_sel:DWORD dst_unused:UNUSED_PAD src0_sel:DWORD src1_sel:WORD_1
	v_cmp_eq_u32_e32 vcc, 1, v14
	s_and_saveexec_b64 s[2:3], vcc
	s_cbranch_execz .LBB1353_269
; %bb.268:
	v_subrev_u32_e32 v14, s16, v20
	v_lshlrev_b32_e32 v14, 3, v14
	ds_write_b64 v14, v[10:11]
.LBB1353_269:
	s_or_b64 exec, exec, s[2:3]
	v_and_b32_e32 v10, 1, v29
	v_cmp_eq_u32_e32 vcc, 1, v10
	s_and_saveexec_b64 s[2:3], vcc
	s_cbranch_execz .LBB1353_271
; %bb.270:
	v_subrev_u32_e32 v10, s16, v18
	v_lshlrev_b32_e32 v10, 3, v10
	ds_write_b64 v10, v[12:13]
.LBB1353_271:
	s_or_b64 exec, exec, s[2:3]
	v_cmp_gt_u32_e32 vcc, s33, v0
	s_waitcnt lgkmcnt(0)
	s_barrier
	s_and_saveexec_b64 s[2:3], vcc
	s_cbranch_execz .LBB1353_274
; %bb.272:
	s_mov_b32 s17, 0
	s_lshl_b64 s[6:7], s[16:17], 3
	s_add_u32 s8, s28, s6
	s_addc_u32 s9, s29, s7
	s_lshl_b64 s[6:7], s[22:23], 3
	s_add_u32 s8, s8, s6
	s_addc_u32 s9, s9, s7
	v_lshlrev_b32_e32 v12, 3, v0
	s_mov_b64 s[6:7], 0
	v_mov_b32_e32 v11, 0
	v_mov_b32_e32 v13, s9
	;; [unrolled: 1-line block ×3, first 2 shown]
.LBB1353_273:                           ; =>This Inner Loop Header: Depth=1
	ds_read_b64 v[14:15], v12
	v_lshlrev_b64 v[16:17], 3, v[10:11]
	v_add_co_u32_e32 v16, vcc, s8, v16
	v_add_u32_e32 v10, 0x80, v10
	v_addc_co_u32_e32 v17, vcc, v13, v17, vcc
	v_cmp_le_u32_e32 vcc, s33, v10
	v_add_u32_e32 v12, 0x400, v12
	s_or_b64 s[6:7], vcc, s[6:7]
	s_waitcnt lgkmcnt(0)
	global_store_dwordx2 v[16:17], v[14:15], off
	s_andn2_b64 exec, exec, s[6:7]
	s_cbranch_execnz .LBB1353_273
.LBB1353_274:
	s_or_b64 exec, exec, s[2:3]
.LBB1353_275:
	s_mov_b64 s[2:3], -1
	s_and_b64 vcc, exec, s[4:5]
	s_barrier
	s_cbranch_vccnz .LBB1353_279
; %bb.276:
	s_and_b64 vcc, exec, s[2:3]
	s_cbranch_vccnz .LBB1353_292
.LBB1353_277:
	s_and_b64 s[0:1], s[0:1], s[24:25]
	s_and_saveexec_b64 s[2:3], s[0:1]
	s_cbranch_execnz .LBB1353_304
.LBB1353_278:
	s_endpgm
.LBB1353_279:
	s_add_i32 s4, s16, s33
	v_cmp_gt_u32_e32 vcc, s4, v24
	s_or_b64 s[6:7], s[34:35], vcc
	s_and_saveexec_b64 s[2:3], s[6:7]
	s_cbranch_execz .LBB1353_282
; %bb.280:
	v_cmp_eq_u32_e32 vcc, 1, v26
	s_and_b64 exec, exec, vcc
	s_cbranch_execz .LBB1353_282
; %bb.281:
	s_lshl_b64 s[6:7], s[22:23], 3
	s_add_u32 s5, s30, s6
	v_mov_b32_e32 v25, 0
	s_addc_u32 s6, s31, s7
	v_lshlrev_b64 v[10:11], 3, v[24:25]
	v_mov_b32_e32 v12, s6
	v_add_co_u32_e32 v10, vcc, s5, v10
	v_addc_co_u32_e32 v11, vcc, v12, v11, vcc
	global_store_dwordx2 v[10:11], v[6:7], off
.LBB1353_282:
	s_or_b64 exec, exec, s[2:3]
	v_cmp_gt_u32_e32 vcc, s4, v22
	s_or_b64 s[6:7], s[34:35], vcc
	s_and_saveexec_b64 s[2:3], s[6:7]
	s_cbranch_execz .LBB1353_285
; %bb.283:
	v_and_b32_e32 v10, 1, v1
	v_cmp_eq_u32_e32 vcc, 1, v10
	s_and_b64 exec, exec, vcc
	s_cbranch_execz .LBB1353_285
; %bb.284:
	s_lshl_b64 s[6:7], s[22:23], 3
	s_add_u32 s5, s30, s6
	v_mov_b32_e32 v23, 0
	s_addc_u32 s6, s31, s7
	v_lshlrev_b64 v[10:11], 3, v[22:23]
	v_mov_b32_e32 v12, s6
	v_add_co_u32_e32 v10, vcc, s5, v10
	v_addc_co_u32_e32 v11, vcc, v12, v11, vcc
	global_store_dwordx2 v[10:11], v[8:9], off
.LBB1353_285:
	s_or_b64 exec, exec, s[2:3]
	v_cmp_gt_u32_e32 vcc, s4, v20
	s_or_b64 s[6:7], s[34:35], vcc
	s_and_saveexec_b64 s[2:3], s[6:7]
	s_cbranch_execz .LBB1353_288
; %bb.286:
	v_mov_b32_e32 v10, 1
	v_and_b32_sdwa v10, v10, v28 dst_sel:DWORD dst_unused:UNUSED_PAD src0_sel:DWORD src1_sel:WORD_1
	v_cmp_eq_u32_e32 vcc, 1, v10
	s_and_b64 exec, exec, vcc
	s_cbranch_execz .LBB1353_288
; %bb.287:
	s_lshl_b64 s[6:7], s[22:23], 3
	s_add_u32 s5, s30, s6
	v_mov_b32_e32 v21, 0
	s_addc_u32 s6, s31, s7
	v_lshlrev_b64 v[10:11], 3, v[20:21]
	v_mov_b32_e32 v12, s6
	v_add_co_u32_e32 v10, vcc, s5, v10
	v_addc_co_u32_e32 v11, vcc, v12, v11, vcc
	global_store_dwordx2 v[10:11], v[2:3], off
.LBB1353_288:
	s_or_b64 exec, exec, s[2:3]
	v_cmp_gt_u32_e32 vcc, s4, v18
	s_or_b64 s[4:5], s[34:35], vcc
	s_and_saveexec_b64 s[2:3], s[4:5]
	s_cbranch_execz .LBB1353_291
; %bb.289:
	v_and_b32_e32 v10, 1, v29
	v_cmp_eq_u32_e32 vcc, 1, v10
	s_and_b64 exec, exec, vcc
	s_cbranch_execz .LBB1353_291
; %bb.290:
	s_lshl_b64 s[4:5], s[22:23], 3
	s_add_u32 s4, s30, s4
	v_mov_b32_e32 v19, 0
	s_addc_u32 s5, s31, s5
	v_lshlrev_b64 v[10:11], 3, v[18:19]
	v_mov_b32_e32 v12, s5
	v_add_co_u32_e32 v10, vcc, s4, v10
	v_addc_co_u32_e32 v11, vcc, v12, v11, vcc
	global_store_dwordx2 v[10:11], v[4:5], off
.LBB1353_291:
	s_or_b64 exec, exec, s[2:3]
	s_branch .LBB1353_277
.LBB1353_292:
	v_cmp_eq_u32_e32 vcc, 1, v26
	s_and_saveexec_b64 s[2:3], vcc
	s_cbranch_execz .LBB1353_294
; %bb.293:
	v_subrev_u32_e32 v10, s16, v24
	v_lshlrev_b32_e32 v10, 3, v10
	ds_write_b64 v10, v[6:7]
.LBB1353_294:
	s_or_b64 exec, exec, s[2:3]
	v_and_b32_e32 v1, 1, v1
	v_cmp_eq_u32_e32 vcc, 1, v1
	s_and_saveexec_b64 s[2:3], vcc
	s_cbranch_execz .LBB1353_296
; %bb.295:
	v_subrev_u32_e32 v1, s16, v22
	v_lshlrev_b32_e32 v1, 3, v1
	ds_write_b64 v1, v[8:9]
.LBB1353_296:
	s_or_b64 exec, exec, s[2:3]
	v_mov_b32_e32 v1, 1
	v_and_b32_sdwa v1, v1, v28 dst_sel:DWORD dst_unused:UNUSED_PAD src0_sel:DWORD src1_sel:WORD_1
	v_cmp_eq_u32_e32 vcc, 1, v1
	s_and_saveexec_b64 s[2:3], vcc
	s_cbranch_execz .LBB1353_298
; %bb.297:
	v_subrev_u32_e32 v1, s16, v20
	v_lshlrev_b32_e32 v1, 3, v1
	ds_write_b64 v1, v[2:3]
.LBB1353_298:
	s_or_b64 exec, exec, s[2:3]
	v_and_b32_e32 v1, 1, v29
	v_cmp_eq_u32_e32 vcc, 1, v1
	s_and_saveexec_b64 s[2:3], vcc
	s_cbranch_execz .LBB1353_300
; %bb.299:
	v_subrev_u32_e32 v1, s16, v18
	v_lshlrev_b32_e32 v1, 3, v1
	ds_write_b64 v1, v[4:5]
.LBB1353_300:
	s_or_b64 exec, exec, s[2:3]
	v_cmp_gt_u32_e32 vcc, s33, v0
	s_waitcnt lgkmcnt(0)
	s_barrier
	s_and_saveexec_b64 s[2:3], vcc
	s_cbranch_execz .LBB1353_303
; %bb.301:
	s_mov_b32 s17, 0
	s_lshl_b64 s[4:5], s[16:17], 3
	s_add_u32 s6, s30, s4
	s_addc_u32 s7, s31, s5
	s_lshl_b64 s[4:5], s[22:23], 3
	s_add_u32 s6, s6, s4
	s_addc_u32 s7, s7, s5
	v_lshlrev_b32_e32 v2, 3, v0
	s_mov_b64 s[4:5], 0
	v_mov_b32_e32 v1, 0
	v_mov_b32_e32 v3, s7
.LBB1353_302:                           ; =>This Inner Loop Header: Depth=1
	ds_read_b64 v[4:5], v2
	v_lshlrev_b64 v[6:7], 3, v[0:1]
	v_add_co_u32_e32 v6, vcc, s6, v6
	v_add_u32_e32 v0, 0x80, v0
	v_addc_co_u32_e32 v7, vcc, v3, v7, vcc
	v_cmp_le_u32_e32 vcc, s33, v0
	v_add_u32_e32 v2, 0x400, v2
	s_or_b64 s[4:5], vcc, s[4:5]
	s_waitcnt lgkmcnt(0)
	global_store_dwordx2 v[6:7], v[4:5], off
	s_andn2_b64 exec, exec, s[4:5]
	s_cbranch_execnz .LBB1353_302
.LBB1353_303:
	s_or_b64 exec, exec, s[2:3]
	s_and_b64 s[0:1], s[0:1], s[24:25]
	s_and_saveexec_b64 s[2:3], s[0:1]
	s_cbranch_execz .LBB1353_278
.LBB1353_304:
	s_add_u32 s0, s22, s33
	s_addc_u32 s1, s23, 0
	s_add_u32 s0, s0, s16
	s_addc_u32 s1, s1, 0
	v_mov_b32_e32 v2, 0
	v_pk_mov_b32 v[0:1], s[0:1], s[0:1] op_sel:[0,1]
	global_store_dwordx2 v2, v[0:1], s[20:21]
	s_endpgm
	.section	.rodata,"a",@progbits
	.p2align	6, 0x0
	.amdhsa_kernel _ZN7rocprim17ROCPRIM_400000_NS6detail17trampoline_kernelINS0_14default_configENS1_25partition_config_selectorILNS1_17partition_subalgoE9EllbEEZZNS1_14partition_implILS5_9ELb0ES3_jPlS8_PNS0_10empty_typeENS0_5tupleIJS8_S9_EEENSB_IJS8_SA_EEENS0_18inequality_wrapperIZN2at6native12_GLOBAL__N_124unique_dim_cuda_templateIN3c104HalfEEESt5tupleIJNSF_6TensorESM_SM_EERKSM_lbbbEUlllE0_EEPmJS9_EEE10hipError_tPvRmT3_T4_T5_T6_T7_T9_mT8_P12ihipStream_tbDpT10_ENKUlT_T0_E_clISt17integral_constantIbLb0EES1B_IbLb1EEEEDaS17_S18_EUlS17_E_NS1_11comp_targetILNS1_3genE4ELNS1_11target_archE910ELNS1_3gpuE8ELNS1_3repE0EEENS1_30default_config_static_selectorELNS0_4arch9wavefront6targetE1EEEvT1_
		.amdhsa_group_segment_fixed_size 4236
		.amdhsa_private_segment_fixed_size 0
		.amdhsa_kernarg_size 136
		.amdhsa_user_sgpr_count 6
		.amdhsa_user_sgpr_private_segment_buffer 1
		.amdhsa_user_sgpr_dispatch_ptr 0
		.amdhsa_user_sgpr_queue_ptr 0
		.amdhsa_user_sgpr_kernarg_segment_ptr 1
		.amdhsa_user_sgpr_dispatch_id 0
		.amdhsa_user_sgpr_flat_scratch_init 0
		.amdhsa_user_sgpr_kernarg_preload_length 0
		.amdhsa_user_sgpr_kernarg_preload_offset 0
		.amdhsa_user_sgpr_private_segment_size 0
		.amdhsa_uses_dynamic_stack 0
		.amdhsa_system_sgpr_private_segment_wavefront_offset 0
		.amdhsa_system_sgpr_workgroup_id_x 1
		.amdhsa_system_sgpr_workgroup_id_y 0
		.amdhsa_system_sgpr_workgroup_id_z 0
		.amdhsa_system_sgpr_workgroup_info 0
		.amdhsa_system_vgpr_workitem_id 0
		.amdhsa_next_free_vgpr 50
		.amdhsa_next_free_sgpr 52
		.amdhsa_accum_offset 52
		.amdhsa_reserve_vcc 1
		.amdhsa_reserve_flat_scratch 0
		.amdhsa_float_round_mode_32 0
		.amdhsa_float_round_mode_16_64 0
		.amdhsa_float_denorm_mode_32 3
		.amdhsa_float_denorm_mode_16_64 3
		.amdhsa_dx10_clamp 1
		.amdhsa_ieee_mode 1
		.amdhsa_fp16_overflow 0
		.amdhsa_tg_split 0
		.amdhsa_exception_fp_ieee_invalid_op 0
		.amdhsa_exception_fp_denorm_src 0
		.amdhsa_exception_fp_ieee_div_zero 0
		.amdhsa_exception_fp_ieee_overflow 0
		.amdhsa_exception_fp_ieee_underflow 0
		.amdhsa_exception_fp_ieee_inexact 0
		.amdhsa_exception_int_div_zero 0
	.end_amdhsa_kernel
	.section	.text._ZN7rocprim17ROCPRIM_400000_NS6detail17trampoline_kernelINS0_14default_configENS1_25partition_config_selectorILNS1_17partition_subalgoE9EllbEEZZNS1_14partition_implILS5_9ELb0ES3_jPlS8_PNS0_10empty_typeENS0_5tupleIJS8_S9_EEENSB_IJS8_SA_EEENS0_18inequality_wrapperIZN2at6native12_GLOBAL__N_124unique_dim_cuda_templateIN3c104HalfEEESt5tupleIJNSF_6TensorESM_SM_EERKSM_lbbbEUlllE0_EEPmJS9_EEE10hipError_tPvRmT3_T4_T5_T6_T7_T9_mT8_P12ihipStream_tbDpT10_ENKUlT_T0_E_clISt17integral_constantIbLb0EES1B_IbLb1EEEEDaS17_S18_EUlS17_E_NS1_11comp_targetILNS1_3genE4ELNS1_11target_archE910ELNS1_3gpuE8ELNS1_3repE0EEENS1_30default_config_static_selectorELNS0_4arch9wavefront6targetE1EEEvT1_,"axG",@progbits,_ZN7rocprim17ROCPRIM_400000_NS6detail17trampoline_kernelINS0_14default_configENS1_25partition_config_selectorILNS1_17partition_subalgoE9EllbEEZZNS1_14partition_implILS5_9ELb0ES3_jPlS8_PNS0_10empty_typeENS0_5tupleIJS8_S9_EEENSB_IJS8_SA_EEENS0_18inequality_wrapperIZN2at6native12_GLOBAL__N_124unique_dim_cuda_templateIN3c104HalfEEESt5tupleIJNSF_6TensorESM_SM_EERKSM_lbbbEUlllE0_EEPmJS9_EEE10hipError_tPvRmT3_T4_T5_T6_T7_T9_mT8_P12ihipStream_tbDpT10_ENKUlT_T0_E_clISt17integral_constantIbLb0EES1B_IbLb1EEEEDaS17_S18_EUlS17_E_NS1_11comp_targetILNS1_3genE4ELNS1_11target_archE910ELNS1_3gpuE8ELNS1_3repE0EEENS1_30default_config_static_selectorELNS0_4arch9wavefront6targetE1EEEvT1_,comdat
.Lfunc_end1353:
	.size	_ZN7rocprim17ROCPRIM_400000_NS6detail17trampoline_kernelINS0_14default_configENS1_25partition_config_selectorILNS1_17partition_subalgoE9EllbEEZZNS1_14partition_implILS5_9ELb0ES3_jPlS8_PNS0_10empty_typeENS0_5tupleIJS8_S9_EEENSB_IJS8_SA_EEENS0_18inequality_wrapperIZN2at6native12_GLOBAL__N_124unique_dim_cuda_templateIN3c104HalfEEESt5tupleIJNSF_6TensorESM_SM_EERKSM_lbbbEUlllE0_EEPmJS9_EEE10hipError_tPvRmT3_T4_T5_T6_T7_T9_mT8_P12ihipStream_tbDpT10_ENKUlT_T0_E_clISt17integral_constantIbLb0EES1B_IbLb1EEEEDaS17_S18_EUlS17_E_NS1_11comp_targetILNS1_3genE4ELNS1_11target_archE910ELNS1_3gpuE8ELNS1_3repE0EEENS1_30default_config_static_selectorELNS0_4arch9wavefront6targetE1EEEvT1_, .Lfunc_end1353-_ZN7rocprim17ROCPRIM_400000_NS6detail17trampoline_kernelINS0_14default_configENS1_25partition_config_selectorILNS1_17partition_subalgoE9EllbEEZZNS1_14partition_implILS5_9ELb0ES3_jPlS8_PNS0_10empty_typeENS0_5tupleIJS8_S9_EEENSB_IJS8_SA_EEENS0_18inequality_wrapperIZN2at6native12_GLOBAL__N_124unique_dim_cuda_templateIN3c104HalfEEESt5tupleIJNSF_6TensorESM_SM_EERKSM_lbbbEUlllE0_EEPmJS9_EEE10hipError_tPvRmT3_T4_T5_T6_T7_T9_mT8_P12ihipStream_tbDpT10_ENKUlT_T0_E_clISt17integral_constantIbLb0EES1B_IbLb1EEEEDaS17_S18_EUlS17_E_NS1_11comp_targetILNS1_3genE4ELNS1_11target_archE910ELNS1_3gpuE8ELNS1_3repE0EEENS1_30default_config_static_selectorELNS0_4arch9wavefront6targetE1EEEvT1_
                                        ; -- End function
	.section	.AMDGPU.csdata,"",@progbits
; Kernel info:
; codeLenInByte = 10900
; NumSgprs: 56
; NumVgprs: 50
; NumAgprs: 0
; TotalNumVgprs: 50
; ScratchSize: 0
; MemoryBound: 0
; FloatMode: 240
; IeeeMode: 1
; LDSByteSize: 4236 bytes/workgroup (compile time only)
; SGPRBlocks: 6
; VGPRBlocks: 6
; NumSGPRsForWavesPerEU: 56
; NumVGPRsForWavesPerEU: 50
; AccumOffset: 52
; Occupancy: 8
; WaveLimiterHint : 1
; COMPUTE_PGM_RSRC2:SCRATCH_EN: 0
; COMPUTE_PGM_RSRC2:USER_SGPR: 6
; COMPUTE_PGM_RSRC2:TRAP_HANDLER: 0
; COMPUTE_PGM_RSRC2:TGID_X_EN: 1
; COMPUTE_PGM_RSRC2:TGID_Y_EN: 0
; COMPUTE_PGM_RSRC2:TGID_Z_EN: 0
; COMPUTE_PGM_RSRC2:TIDIG_COMP_CNT: 0
; COMPUTE_PGM_RSRC3_GFX90A:ACCUM_OFFSET: 12
; COMPUTE_PGM_RSRC3_GFX90A:TG_SPLIT: 0
	.section	.text._ZN7rocprim17ROCPRIM_400000_NS6detail17trampoline_kernelINS0_14default_configENS1_25partition_config_selectorILNS1_17partition_subalgoE9EllbEEZZNS1_14partition_implILS5_9ELb0ES3_jPlS8_PNS0_10empty_typeENS0_5tupleIJS8_S9_EEENSB_IJS8_SA_EEENS0_18inequality_wrapperIZN2at6native12_GLOBAL__N_124unique_dim_cuda_templateIN3c104HalfEEESt5tupleIJNSF_6TensorESM_SM_EERKSM_lbbbEUlllE0_EEPmJS9_EEE10hipError_tPvRmT3_T4_T5_T6_T7_T9_mT8_P12ihipStream_tbDpT10_ENKUlT_T0_E_clISt17integral_constantIbLb0EES1B_IbLb1EEEEDaS17_S18_EUlS17_E_NS1_11comp_targetILNS1_3genE3ELNS1_11target_archE908ELNS1_3gpuE7ELNS1_3repE0EEENS1_30default_config_static_selectorELNS0_4arch9wavefront6targetE1EEEvT1_,"axG",@progbits,_ZN7rocprim17ROCPRIM_400000_NS6detail17trampoline_kernelINS0_14default_configENS1_25partition_config_selectorILNS1_17partition_subalgoE9EllbEEZZNS1_14partition_implILS5_9ELb0ES3_jPlS8_PNS0_10empty_typeENS0_5tupleIJS8_S9_EEENSB_IJS8_SA_EEENS0_18inequality_wrapperIZN2at6native12_GLOBAL__N_124unique_dim_cuda_templateIN3c104HalfEEESt5tupleIJNSF_6TensorESM_SM_EERKSM_lbbbEUlllE0_EEPmJS9_EEE10hipError_tPvRmT3_T4_T5_T6_T7_T9_mT8_P12ihipStream_tbDpT10_ENKUlT_T0_E_clISt17integral_constantIbLb0EES1B_IbLb1EEEEDaS17_S18_EUlS17_E_NS1_11comp_targetILNS1_3genE3ELNS1_11target_archE908ELNS1_3gpuE7ELNS1_3repE0EEENS1_30default_config_static_selectorELNS0_4arch9wavefront6targetE1EEEvT1_,comdat
	.globl	_ZN7rocprim17ROCPRIM_400000_NS6detail17trampoline_kernelINS0_14default_configENS1_25partition_config_selectorILNS1_17partition_subalgoE9EllbEEZZNS1_14partition_implILS5_9ELb0ES3_jPlS8_PNS0_10empty_typeENS0_5tupleIJS8_S9_EEENSB_IJS8_SA_EEENS0_18inequality_wrapperIZN2at6native12_GLOBAL__N_124unique_dim_cuda_templateIN3c104HalfEEESt5tupleIJNSF_6TensorESM_SM_EERKSM_lbbbEUlllE0_EEPmJS9_EEE10hipError_tPvRmT3_T4_T5_T6_T7_T9_mT8_P12ihipStream_tbDpT10_ENKUlT_T0_E_clISt17integral_constantIbLb0EES1B_IbLb1EEEEDaS17_S18_EUlS17_E_NS1_11comp_targetILNS1_3genE3ELNS1_11target_archE908ELNS1_3gpuE7ELNS1_3repE0EEENS1_30default_config_static_selectorELNS0_4arch9wavefront6targetE1EEEvT1_ ; -- Begin function _ZN7rocprim17ROCPRIM_400000_NS6detail17trampoline_kernelINS0_14default_configENS1_25partition_config_selectorILNS1_17partition_subalgoE9EllbEEZZNS1_14partition_implILS5_9ELb0ES3_jPlS8_PNS0_10empty_typeENS0_5tupleIJS8_S9_EEENSB_IJS8_SA_EEENS0_18inequality_wrapperIZN2at6native12_GLOBAL__N_124unique_dim_cuda_templateIN3c104HalfEEESt5tupleIJNSF_6TensorESM_SM_EERKSM_lbbbEUlllE0_EEPmJS9_EEE10hipError_tPvRmT3_T4_T5_T6_T7_T9_mT8_P12ihipStream_tbDpT10_ENKUlT_T0_E_clISt17integral_constantIbLb0EES1B_IbLb1EEEEDaS17_S18_EUlS17_E_NS1_11comp_targetILNS1_3genE3ELNS1_11target_archE908ELNS1_3gpuE7ELNS1_3repE0EEENS1_30default_config_static_selectorELNS0_4arch9wavefront6targetE1EEEvT1_
	.p2align	8
	.type	_ZN7rocprim17ROCPRIM_400000_NS6detail17trampoline_kernelINS0_14default_configENS1_25partition_config_selectorILNS1_17partition_subalgoE9EllbEEZZNS1_14partition_implILS5_9ELb0ES3_jPlS8_PNS0_10empty_typeENS0_5tupleIJS8_S9_EEENSB_IJS8_SA_EEENS0_18inequality_wrapperIZN2at6native12_GLOBAL__N_124unique_dim_cuda_templateIN3c104HalfEEESt5tupleIJNSF_6TensorESM_SM_EERKSM_lbbbEUlllE0_EEPmJS9_EEE10hipError_tPvRmT3_T4_T5_T6_T7_T9_mT8_P12ihipStream_tbDpT10_ENKUlT_T0_E_clISt17integral_constantIbLb0EES1B_IbLb1EEEEDaS17_S18_EUlS17_E_NS1_11comp_targetILNS1_3genE3ELNS1_11target_archE908ELNS1_3gpuE7ELNS1_3repE0EEENS1_30default_config_static_selectorELNS0_4arch9wavefront6targetE1EEEvT1_,@function
_ZN7rocprim17ROCPRIM_400000_NS6detail17trampoline_kernelINS0_14default_configENS1_25partition_config_selectorILNS1_17partition_subalgoE9EllbEEZZNS1_14partition_implILS5_9ELb0ES3_jPlS8_PNS0_10empty_typeENS0_5tupleIJS8_S9_EEENSB_IJS8_SA_EEENS0_18inequality_wrapperIZN2at6native12_GLOBAL__N_124unique_dim_cuda_templateIN3c104HalfEEESt5tupleIJNSF_6TensorESM_SM_EERKSM_lbbbEUlllE0_EEPmJS9_EEE10hipError_tPvRmT3_T4_T5_T6_T7_T9_mT8_P12ihipStream_tbDpT10_ENKUlT_T0_E_clISt17integral_constantIbLb0EES1B_IbLb1EEEEDaS17_S18_EUlS17_E_NS1_11comp_targetILNS1_3genE3ELNS1_11target_archE908ELNS1_3gpuE7ELNS1_3repE0EEENS1_30default_config_static_selectorELNS0_4arch9wavefront6targetE1EEEvT1_: ; @_ZN7rocprim17ROCPRIM_400000_NS6detail17trampoline_kernelINS0_14default_configENS1_25partition_config_selectorILNS1_17partition_subalgoE9EllbEEZZNS1_14partition_implILS5_9ELb0ES3_jPlS8_PNS0_10empty_typeENS0_5tupleIJS8_S9_EEENSB_IJS8_SA_EEENS0_18inequality_wrapperIZN2at6native12_GLOBAL__N_124unique_dim_cuda_templateIN3c104HalfEEESt5tupleIJNSF_6TensorESM_SM_EERKSM_lbbbEUlllE0_EEPmJS9_EEE10hipError_tPvRmT3_T4_T5_T6_T7_T9_mT8_P12ihipStream_tbDpT10_ENKUlT_T0_E_clISt17integral_constantIbLb0EES1B_IbLb1EEEEDaS17_S18_EUlS17_E_NS1_11comp_targetILNS1_3genE3ELNS1_11target_archE908ELNS1_3gpuE7ELNS1_3repE0EEENS1_30default_config_static_selectorELNS0_4arch9wavefront6targetE1EEEvT1_
; %bb.0:
	.section	.rodata,"a",@progbits
	.p2align	6, 0x0
	.amdhsa_kernel _ZN7rocprim17ROCPRIM_400000_NS6detail17trampoline_kernelINS0_14default_configENS1_25partition_config_selectorILNS1_17partition_subalgoE9EllbEEZZNS1_14partition_implILS5_9ELb0ES3_jPlS8_PNS0_10empty_typeENS0_5tupleIJS8_S9_EEENSB_IJS8_SA_EEENS0_18inequality_wrapperIZN2at6native12_GLOBAL__N_124unique_dim_cuda_templateIN3c104HalfEEESt5tupleIJNSF_6TensorESM_SM_EERKSM_lbbbEUlllE0_EEPmJS9_EEE10hipError_tPvRmT3_T4_T5_T6_T7_T9_mT8_P12ihipStream_tbDpT10_ENKUlT_T0_E_clISt17integral_constantIbLb0EES1B_IbLb1EEEEDaS17_S18_EUlS17_E_NS1_11comp_targetILNS1_3genE3ELNS1_11target_archE908ELNS1_3gpuE7ELNS1_3repE0EEENS1_30default_config_static_selectorELNS0_4arch9wavefront6targetE1EEEvT1_
		.amdhsa_group_segment_fixed_size 0
		.amdhsa_private_segment_fixed_size 0
		.amdhsa_kernarg_size 136
		.amdhsa_user_sgpr_count 6
		.amdhsa_user_sgpr_private_segment_buffer 1
		.amdhsa_user_sgpr_dispatch_ptr 0
		.amdhsa_user_sgpr_queue_ptr 0
		.amdhsa_user_sgpr_kernarg_segment_ptr 1
		.amdhsa_user_sgpr_dispatch_id 0
		.amdhsa_user_sgpr_flat_scratch_init 0
		.amdhsa_user_sgpr_kernarg_preload_length 0
		.amdhsa_user_sgpr_kernarg_preload_offset 0
		.amdhsa_user_sgpr_private_segment_size 0
		.amdhsa_uses_dynamic_stack 0
		.amdhsa_system_sgpr_private_segment_wavefront_offset 0
		.amdhsa_system_sgpr_workgroup_id_x 1
		.amdhsa_system_sgpr_workgroup_id_y 0
		.amdhsa_system_sgpr_workgroup_id_z 0
		.amdhsa_system_sgpr_workgroup_info 0
		.amdhsa_system_vgpr_workitem_id 0
		.amdhsa_next_free_vgpr 1
		.amdhsa_next_free_sgpr 0
		.amdhsa_accum_offset 4
		.amdhsa_reserve_vcc 0
		.amdhsa_reserve_flat_scratch 0
		.amdhsa_float_round_mode_32 0
		.amdhsa_float_round_mode_16_64 0
		.amdhsa_float_denorm_mode_32 3
		.amdhsa_float_denorm_mode_16_64 3
		.amdhsa_dx10_clamp 1
		.amdhsa_ieee_mode 1
		.amdhsa_fp16_overflow 0
		.amdhsa_tg_split 0
		.amdhsa_exception_fp_ieee_invalid_op 0
		.amdhsa_exception_fp_denorm_src 0
		.amdhsa_exception_fp_ieee_div_zero 0
		.amdhsa_exception_fp_ieee_overflow 0
		.amdhsa_exception_fp_ieee_underflow 0
		.amdhsa_exception_fp_ieee_inexact 0
		.amdhsa_exception_int_div_zero 0
	.end_amdhsa_kernel
	.section	.text._ZN7rocprim17ROCPRIM_400000_NS6detail17trampoline_kernelINS0_14default_configENS1_25partition_config_selectorILNS1_17partition_subalgoE9EllbEEZZNS1_14partition_implILS5_9ELb0ES3_jPlS8_PNS0_10empty_typeENS0_5tupleIJS8_S9_EEENSB_IJS8_SA_EEENS0_18inequality_wrapperIZN2at6native12_GLOBAL__N_124unique_dim_cuda_templateIN3c104HalfEEESt5tupleIJNSF_6TensorESM_SM_EERKSM_lbbbEUlllE0_EEPmJS9_EEE10hipError_tPvRmT3_T4_T5_T6_T7_T9_mT8_P12ihipStream_tbDpT10_ENKUlT_T0_E_clISt17integral_constantIbLb0EES1B_IbLb1EEEEDaS17_S18_EUlS17_E_NS1_11comp_targetILNS1_3genE3ELNS1_11target_archE908ELNS1_3gpuE7ELNS1_3repE0EEENS1_30default_config_static_selectorELNS0_4arch9wavefront6targetE1EEEvT1_,"axG",@progbits,_ZN7rocprim17ROCPRIM_400000_NS6detail17trampoline_kernelINS0_14default_configENS1_25partition_config_selectorILNS1_17partition_subalgoE9EllbEEZZNS1_14partition_implILS5_9ELb0ES3_jPlS8_PNS0_10empty_typeENS0_5tupleIJS8_S9_EEENSB_IJS8_SA_EEENS0_18inequality_wrapperIZN2at6native12_GLOBAL__N_124unique_dim_cuda_templateIN3c104HalfEEESt5tupleIJNSF_6TensorESM_SM_EERKSM_lbbbEUlllE0_EEPmJS9_EEE10hipError_tPvRmT3_T4_T5_T6_T7_T9_mT8_P12ihipStream_tbDpT10_ENKUlT_T0_E_clISt17integral_constantIbLb0EES1B_IbLb1EEEEDaS17_S18_EUlS17_E_NS1_11comp_targetILNS1_3genE3ELNS1_11target_archE908ELNS1_3gpuE7ELNS1_3repE0EEENS1_30default_config_static_selectorELNS0_4arch9wavefront6targetE1EEEvT1_,comdat
.Lfunc_end1354:
	.size	_ZN7rocprim17ROCPRIM_400000_NS6detail17trampoline_kernelINS0_14default_configENS1_25partition_config_selectorILNS1_17partition_subalgoE9EllbEEZZNS1_14partition_implILS5_9ELb0ES3_jPlS8_PNS0_10empty_typeENS0_5tupleIJS8_S9_EEENSB_IJS8_SA_EEENS0_18inequality_wrapperIZN2at6native12_GLOBAL__N_124unique_dim_cuda_templateIN3c104HalfEEESt5tupleIJNSF_6TensorESM_SM_EERKSM_lbbbEUlllE0_EEPmJS9_EEE10hipError_tPvRmT3_T4_T5_T6_T7_T9_mT8_P12ihipStream_tbDpT10_ENKUlT_T0_E_clISt17integral_constantIbLb0EES1B_IbLb1EEEEDaS17_S18_EUlS17_E_NS1_11comp_targetILNS1_3genE3ELNS1_11target_archE908ELNS1_3gpuE7ELNS1_3repE0EEENS1_30default_config_static_selectorELNS0_4arch9wavefront6targetE1EEEvT1_, .Lfunc_end1354-_ZN7rocprim17ROCPRIM_400000_NS6detail17trampoline_kernelINS0_14default_configENS1_25partition_config_selectorILNS1_17partition_subalgoE9EllbEEZZNS1_14partition_implILS5_9ELb0ES3_jPlS8_PNS0_10empty_typeENS0_5tupleIJS8_S9_EEENSB_IJS8_SA_EEENS0_18inequality_wrapperIZN2at6native12_GLOBAL__N_124unique_dim_cuda_templateIN3c104HalfEEESt5tupleIJNSF_6TensorESM_SM_EERKSM_lbbbEUlllE0_EEPmJS9_EEE10hipError_tPvRmT3_T4_T5_T6_T7_T9_mT8_P12ihipStream_tbDpT10_ENKUlT_T0_E_clISt17integral_constantIbLb0EES1B_IbLb1EEEEDaS17_S18_EUlS17_E_NS1_11comp_targetILNS1_3genE3ELNS1_11target_archE908ELNS1_3gpuE7ELNS1_3repE0EEENS1_30default_config_static_selectorELNS0_4arch9wavefront6targetE1EEEvT1_
                                        ; -- End function
	.section	.AMDGPU.csdata,"",@progbits
; Kernel info:
; codeLenInByte = 0
; NumSgprs: 4
; NumVgprs: 0
; NumAgprs: 0
; TotalNumVgprs: 0
; ScratchSize: 0
; MemoryBound: 0
; FloatMode: 240
; IeeeMode: 1
; LDSByteSize: 0 bytes/workgroup (compile time only)
; SGPRBlocks: 0
; VGPRBlocks: 0
; NumSGPRsForWavesPerEU: 4
; NumVGPRsForWavesPerEU: 1
; AccumOffset: 4
; Occupancy: 8
; WaveLimiterHint : 0
; COMPUTE_PGM_RSRC2:SCRATCH_EN: 0
; COMPUTE_PGM_RSRC2:USER_SGPR: 6
; COMPUTE_PGM_RSRC2:TRAP_HANDLER: 0
; COMPUTE_PGM_RSRC2:TGID_X_EN: 1
; COMPUTE_PGM_RSRC2:TGID_Y_EN: 0
; COMPUTE_PGM_RSRC2:TGID_Z_EN: 0
; COMPUTE_PGM_RSRC2:TIDIG_COMP_CNT: 0
; COMPUTE_PGM_RSRC3_GFX90A:ACCUM_OFFSET: 0
; COMPUTE_PGM_RSRC3_GFX90A:TG_SPLIT: 0
	.section	.text._ZN7rocprim17ROCPRIM_400000_NS6detail17trampoline_kernelINS0_14default_configENS1_25partition_config_selectorILNS1_17partition_subalgoE9EllbEEZZNS1_14partition_implILS5_9ELb0ES3_jPlS8_PNS0_10empty_typeENS0_5tupleIJS8_S9_EEENSB_IJS8_SA_EEENS0_18inequality_wrapperIZN2at6native12_GLOBAL__N_124unique_dim_cuda_templateIN3c104HalfEEESt5tupleIJNSF_6TensorESM_SM_EERKSM_lbbbEUlllE0_EEPmJS9_EEE10hipError_tPvRmT3_T4_T5_T6_T7_T9_mT8_P12ihipStream_tbDpT10_ENKUlT_T0_E_clISt17integral_constantIbLb0EES1B_IbLb1EEEEDaS17_S18_EUlS17_E_NS1_11comp_targetILNS1_3genE2ELNS1_11target_archE906ELNS1_3gpuE6ELNS1_3repE0EEENS1_30default_config_static_selectorELNS0_4arch9wavefront6targetE1EEEvT1_,"axG",@progbits,_ZN7rocprim17ROCPRIM_400000_NS6detail17trampoline_kernelINS0_14default_configENS1_25partition_config_selectorILNS1_17partition_subalgoE9EllbEEZZNS1_14partition_implILS5_9ELb0ES3_jPlS8_PNS0_10empty_typeENS0_5tupleIJS8_S9_EEENSB_IJS8_SA_EEENS0_18inequality_wrapperIZN2at6native12_GLOBAL__N_124unique_dim_cuda_templateIN3c104HalfEEESt5tupleIJNSF_6TensorESM_SM_EERKSM_lbbbEUlllE0_EEPmJS9_EEE10hipError_tPvRmT3_T4_T5_T6_T7_T9_mT8_P12ihipStream_tbDpT10_ENKUlT_T0_E_clISt17integral_constantIbLb0EES1B_IbLb1EEEEDaS17_S18_EUlS17_E_NS1_11comp_targetILNS1_3genE2ELNS1_11target_archE906ELNS1_3gpuE6ELNS1_3repE0EEENS1_30default_config_static_selectorELNS0_4arch9wavefront6targetE1EEEvT1_,comdat
	.globl	_ZN7rocprim17ROCPRIM_400000_NS6detail17trampoline_kernelINS0_14default_configENS1_25partition_config_selectorILNS1_17partition_subalgoE9EllbEEZZNS1_14partition_implILS5_9ELb0ES3_jPlS8_PNS0_10empty_typeENS0_5tupleIJS8_S9_EEENSB_IJS8_SA_EEENS0_18inequality_wrapperIZN2at6native12_GLOBAL__N_124unique_dim_cuda_templateIN3c104HalfEEESt5tupleIJNSF_6TensorESM_SM_EERKSM_lbbbEUlllE0_EEPmJS9_EEE10hipError_tPvRmT3_T4_T5_T6_T7_T9_mT8_P12ihipStream_tbDpT10_ENKUlT_T0_E_clISt17integral_constantIbLb0EES1B_IbLb1EEEEDaS17_S18_EUlS17_E_NS1_11comp_targetILNS1_3genE2ELNS1_11target_archE906ELNS1_3gpuE6ELNS1_3repE0EEENS1_30default_config_static_selectorELNS0_4arch9wavefront6targetE1EEEvT1_ ; -- Begin function _ZN7rocprim17ROCPRIM_400000_NS6detail17trampoline_kernelINS0_14default_configENS1_25partition_config_selectorILNS1_17partition_subalgoE9EllbEEZZNS1_14partition_implILS5_9ELb0ES3_jPlS8_PNS0_10empty_typeENS0_5tupleIJS8_S9_EEENSB_IJS8_SA_EEENS0_18inequality_wrapperIZN2at6native12_GLOBAL__N_124unique_dim_cuda_templateIN3c104HalfEEESt5tupleIJNSF_6TensorESM_SM_EERKSM_lbbbEUlllE0_EEPmJS9_EEE10hipError_tPvRmT3_T4_T5_T6_T7_T9_mT8_P12ihipStream_tbDpT10_ENKUlT_T0_E_clISt17integral_constantIbLb0EES1B_IbLb1EEEEDaS17_S18_EUlS17_E_NS1_11comp_targetILNS1_3genE2ELNS1_11target_archE906ELNS1_3gpuE6ELNS1_3repE0EEENS1_30default_config_static_selectorELNS0_4arch9wavefront6targetE1EEEvT1_
	.p2align	8
	.type	_ZN7rocprim17ROCPRIM_400000_NS6detail17trampoline_kernelINS0_14default_configENS1_25partition_config_selectorILNS1_17partition_subalgoE9EllbEEZZNS1_14partition_implILS5_9ELb0ES3_jPlS8_PNS0_10empty_typeENS0_5tupleIJS8_S9_EEENSB_IJS8_SA_EEENS0_18inequality_wrapperIZN2at6native12_GLOBAL__N_124unique_dim_cuda_templateIN3c104HalfEEESt5tupleIJNSF_6TensorESM_SM_EERKSM_lbbbEUlllE0_EEPmJS9_EEE10hipError_tPvRmT3_T4_T5_T6_T7_T9_mT8_P12ihipStream_tbDpT10_ENKUlT_T0_E_clISt17integral_constantIbLb0EES1B_IbLb1EEEEDaS17_S18_EUlS17_E_NS1_11comp_targetILNS1_3genE2ELNS1_11target_archE906ELNS1_3gpuE6ELNS1_3repE0EEENS1_30default_config_static_selectorELNS0_4arch9wavefront6targetE1EEEvT1_,@function
_ZN7rocprim17ROCPRIM_400000_NS6detail17trampoline_kernelINS0_14default_configENS1_25partition_config_selectorILNS1_17partition_subalgoE9EllbEEZZNS1_14partition_implILS5_9ELb0ES3_jPlS8_PNS0_10empty_typeENS0_5tupleIJS8_S9_EEENSB_IJS8_SA_EEENS0_18inequality_wrapperIZN2at6native12_GLOBAL__N_124unique_dim_cuda_templateIN3c104HalfEEESt5tupleIJNSF_6TensorESM_SM_EERKSM_lbbbEUlllE0_EEPmJS9_EEE10hipError_tPvRmT3_T4_T5_T6_T7_T9_mT8_P12ihipStream_tbDpT10_ENKUlT_T0_E_clISt17integral_constantIbLb0EES1B_IbLb1EEEEDaS17_S18_EUlS17_E_NS1_11comp_targetILNS1_3genE2ELNS1_11target_archE906ELNS1_3gpuE6ELNS1_3repE0EEENS1_30default_config_static_selectorELNS0_4arch9wavefront6targetE1EEEvT1_: ; @_ZN7rocprim17ROCPRIM_400000_NS6detail17trampoline_kernelINS0_14default_configENS1_25partition_config_selectorILNS1_17partition_subalgoE9EllbEEZZNS1_14partition_implILS5_9ELb0ES3_jPlS8_PNS0_10empty_typeENS0_5tupleIJS8_S9_EEENSB_IJS8_SA_EEENS0_18inequality_wrapperIZN2at6native12_GLOBAL__N_124unique_dim_cuda_templateIN3c104HalfEEESt5tupleIJNSF_6TensorESM_SM_EERKSM_lbbbEUlllE0_EEPmJS9_EEE10hipError_tPvRmT3_T4_T5_T6_T7_T9_mT8_P12ihipStream_tbDpT10_ENKUlT_T0_E_clISt17integral_constantIbLb0EES1B_IbLb1EEEEDaS17_S18_EUlS17_E_NS1_11comp_targetILNS1_3genE2ELNS1_11target_archE906ELNS1_3gpuE6ELNS1_3repE0EEENS1_30default_config_static_selectorELNS0_4arch9wavefront6targetE1EEEvT1_
; %bb.0:
	.section	.rodata,"a",@progbits
	.p2align	6, 0x0
	.amdhsa_kernel _ZN7rocprim17ROCPRIM_400000_NS6detail17trampoline_kernelINS0_14default_configENS1_25partition_config_selectorILNS1_17partition_subalgoE9EllbEEZZNS1_14partition_implILS5_9ELb0ES3_jPlS8_PNS0_10empty_typeENS0_5tupleIJS8_S9_EEENSB_IJS8_SA_EEENS0_18inequality_wrapperIZN2at6native12_GLOBAL__N_124unique_dim_cuda_templateIN3c104HalfEEESt5tupleIJNSF_6TensorESM_SM_EERKSM_lbbbEUlllE0_EEPmJS9_EEE10hipError_tPvRmT3_T4_T5_T6_T7_T9_mT8_P12ihipStream_tbDpT10_ENKUlT_T0_E_clISt17integral_constantIbLb0EES1B_IbLb1EEEEDaS17_S18_EUlS17_E_NS1_11comp_targetILNS1_3genE2ELNS1_11target_archE906ELNS1_3gpuE6ELNS1_3repE0EEENS1_30default_config_static_selectorELNS0_4arch9wavefront6targetE1EEEvT1_
		.amdhsa_group_segment_fixed_size 0
		.amdhsa_private_segment_fixed_size 0
		.amdhsa_kernarg_size 136
		.amdhsa_user_sgpr_count 6
		.amdhsa_user_sgpr_private_segment_buffer 1
		.amdhsa_user_sgpr_dispatch_ptr 0
		.amdhsa_user_sgpr_queue_ptr 0
		.amdhsa_user_sgpr_kernarg_segment_ptr 1
		.amdhsa_user_sgpr_dispatch_id 0
		.amdhsa_user_sgpr_flat_scratch_init 0
		.amdhsa_user_sgpr_kernarg_preload_length 0
		.amdhsa_user_sgpr_kernarg_preload_offset 0
		.amdhsa_user_sgpr_private_segment_size 0
		.amdhsa_uses_dynamic_stack 0
		.amdhsa_system_sgpr_private_segment_wavefront_offset 0
		.amdhsa_system_sgpr_workgroup_id_x 1
		.amdhsa_system_sgpr_workgroup_id_y 0
		.amdhsa_system_sgpr_workgroup_id_z 0
		.amdhsa_system_sgpr_workgroup_info 0
		.amdhsa_system_vgpr_workitem_id 0
		.amdhsa_next_free_vgpr 1
		.amdhsa_next_free_sgpr 0
		.amdhsa_accum_offset 4
		.amdhsa_reserve_vcc 0
		.amdhsa_reserve_flat_scratch 0
		.amdhsa_float_round_mode_32 0
		.amdhsa_float_round_mode_16_64 0
		.amdhsa_float_denorm_mode_32 3
		.amdhsa_float_denorm_mode_16_64 3
		.amdhsa_dx10_clamp 1
		.amdhsa_ieee_mode 1
		.amdhsa_fp16_overflow 0
		.amdhsa_tg_split 0
		.amdhsa_exception_fp_ieee_invalid_op 0
		.amdhsa_exception_fp_denorm_src 0
		.amdhsa_exception_fp_ieee_div_zero 0
		.amdhsa_exception_fp_ieee_overflow 0
		.amdhsa_exception_fp_ieee_underflow 0
		.amdhsa_exception_fp_ieee_inexact 0
		.amdhsa_exception_int_div_zero 0
	.end_amdhsa_kernel
	.section	.text._ZN7rocprim17ROCPRIM_400000_NS6detail17trampoline_kernelINS0_14default_configENS1_25partition_config_selectorILNS1_17partition_subalgoE9EllbEEZZNS1_14partition_implILS5_9ELb0ES3_jPlS8_PNS0_10empty_typeENS0_5tupleIJS8_S9_EEENSB_IJS8_SA_EEENS0_18inequality_wrapperIZN2at6native12_GLOBAL__N_124unique_dim_cuda_templateIN3c104HalfEEESt5tupleIJNSF_6TensorESM_SM_EERKSM_lbbbEUlllE0_EEPmJS9_EEE10hipError_tPvRmT3_T4_T5_T6_T7_T9_mT8_P12ihipStream_tbDpT10_ENKUlT_T0_E_clISt17integral_constantIbLb0EES1B_IbLb1EEEEDaS17_S18_EUlS17_E_NS1_11comp_targetILNS1_3genE2ELNS1_11target_archE906ELNS1_3gpuE6ELNS1_3repE0EEENS1_30default_config_static_selectorELNS0_4arch9wavefront6targetE1EEEvT1_,"axG",@progbits,_ZN7rocprim17ROCPRIM_400000_NS6detail17trampoline_kernelINS0_14default_configENS1_25partition_config_selectorILNS1_17partition_subalgoE9EllbEEZZNS1_14partition_implILS5_9ELb0ES3_jPlS8_PNS0_10empty_typeENS0_5tupleIJS8_S9_EEENSB_IJS8_SA_EEENS0_18inequality_wrapperIZN2at6native12_GLOBAL__N_124unique_dim_cuda_templateIN3c104HalfEEESt5tupleIJNSF_6TensorESM_SM_EERKSM_lbbbEUlllE0_EEPmJS9_EEE10hipError_tPvRmT3_T4_T5_T6_T7_T9_mT8_P12ihipStream_tbDpT10_ENKUlT_T0_E_clISt17integral_constantIbLb0EES1B_IbLb1EEEEDaS17_S18_EUlS17_E_NS1_11comp_targetILNS1_3genE2ELNS1_11target_archE906ELNS1_3gpuE6ELNS1_3repE0EEENS1_30default_config_static_selectorELNS0_4arch9wavefront6targetE1EEEvT1_,comdat
.Lfunc_end1355:
	.size	_ZN7rocprim17ROCPRIM_400000_NS6detail17trampoline_kernelINS0_14default_configENS1_25partition_config_selectorILNS1_17partition_subalgoE9EllbEEZZNS1_14partition_implILS5_9ELb0ES3_jPlS8_PNS0_10empty_typeENS0_5tupleIJS8_S9_EEENSB_IJS8_SA_EEENS0_18inequality_wrapperIZN2at6native12_GLOBAL__N_124unique_dim_cuda_templateIN3c104HalfEEESt5tupleIJNSF_6TensorESM_SM_EERKSM_lbbbEUlllE0_EEPmJS9_EEE10hipError_tPvRmT3_T4_T5_T6_T7_T9_mT8_P12ihipStream_tbDpT10_ENKUlT_T0_E_clISt17integral_constantIbLb0EES1B_IbLb1EEEEDaS17_S18_EUlS17_E_NS1_11comp_targetILNS1_3genE2ELNS1_11target_archE906ELNS1_3gpuE6ELNS1_3repE0EEENS1_30default_config_static_selectorELNS0_4arch9wavefront6targetE1EEEvT1_, .Lfunc_end1355-_ZN7rocprim17ROCPRIM_400000_NS6detail17trampoline_kernelINS0_14default_configENS1_25partition_config_selectorILNS1_17partition_subalgoE9EllbEEZZNS1_14partition_implILS5_9ELb0ES3_jPlS8_PNS0_10empty_typeENS0_5tupleIJS8_S9_EEENSB_IJS8_SA_EEENS0_18inequality_wrapperIZN2at6native12_GLOBAL__N_124unique_dim_cuda_templateIN3c104HalfEEESt5tupleIJNSF_6TensorESM_SM_EERKSM_lbbbEUlllE0_EEPmJS9_EEE10hipError_tPvRmT3_T4_T5_T6_T7_T9_mT8_P12ihipStream_tbDpT10_ENKUlT_T0_E_clISt17integral_constantIbLb0EES1B_IbLb1EEEEDaS17_S18_EUlS17_E_NS1_11comp_targetILNS1_3genE2ELNS1_11target_archE906ELNS1_3gpuE6ELNS1_3repE0EEENS1_30default_config_static_selectorELNS0_4arch9wavefront6targetE1EEEvT1_
                                        ; -- End function
	.section	.AMDGPU.csdata,"",@progbits
; Kernel info:
; codeLenInByte = 0
; NumSgprs: 4
; NumVgprs: 0
; NumAgprs: 0
; TotalNumVgprs: 0
; ScratchSize: 0
; MemoryBound: 0
; FloatMode: 240
; IeeeMode: 1
; LDSByteSize: 0 bytes/workgroup (compile time only)
; SGPRBlocks: 0
; VGPRBlocks: 0
; NumSGPRsForWavesPerEU: 4
; NumVGPRsForWavesPerEU: 1
; AccumOffset: 4
; Occupancy: 8
; WaveLimiterHint : 0
; COMPUTE_PGM_RSRC2:SCRATCH_EN: 0
; COMPUTE_PGM_RSRC2:USER_SGPR: 6
; COMPUTE_PGM_RSRC2:TRAP_HANDLER: 0
; COMPUTE_PGM_RSRC2:TGID_X_EN: 1
; COMPUTE_PGM_RSRC2:TGID_Y_EN: 0
; COMPUTE_PGM_RSRC2:TGID_Z_EN: 0
; COMPUTE_PGM_RSRC2:TIDIG_COMP_CNT: 0
; COMPUTE_PGM_RSRC3_GFX90A:ACCUM_OFFSET: 0
; COMPUTE_PGM_RSRC3_GFX90A:TG_SPLIT: 0
	.section	.text._ZN7rocprim17ROCPRIM_400000_NS6detail17trampoline_kernelINS0_14default_configENS1_25partition_config_selectorILNS1_17partition_subalgoE9EllbEEZZNS1_14partition_implILS5_9ELb0ES3_jPlS8_PNS0_10empty_typeENS0_5tupleIJS8_S9_EEENSB_IJS8_SA_EEENS0_18inequality_wrapperIZN2at6native12_GLOBAL__N_124unique_dim_cuda_templateIN3c104HalfEEESt5tupleIJNSF_6TensorESM_SM_EERKSM_lbbbEUlllE0_EEPmJS9_EEE10hipError_tPvRmT3_T4_T5_T6_T7_T9_mT8_P12ihipStream_tbDpT10_ENKUlT_T0_E_clISt17integral_constantIbLb0EES1B_IbLb1EEEEDaS17_S18_EUlS17_E_NS1_11comp_targetILNS1_3genE10ELNS1_11target_archE1200ELNS1_3gpuE4ELNS1_3repE0EEENS1_30default_config_static_selectorELNS0_4arch9wavefront6targetE1EEEvT1_,"axG",@progbits,_ZN7rocprim17ROCPRIM_400000_NS6detail17trampoline_kernelINS0_14default_configENS1_25partition_config_selectorILNS1_17partition_subalgoE9EllbEEZZNS1_14partition_implILS5_9ELb0ES3_jPlS8_PNS0_10empty_typeENS0_5tupleIJS8_S9_EEENSB_IJS8_SA_EEENS0_18inequality_wrapperIZN2at6native12_GLOBAL__N_124unique_dim_cuda_templateIN3c104HalfEEESt5tupleIJNSF_6TensorESM_SM_EERKSM_lbbbEUlllE0_EEPmJS9_EEE10hipError_tPvRmT3_T4_T5_T6_T7_T9_mT8_P12ihipStream_tbDpT10_ENKUlT_T0_E_clISt17integral_constantIbLb0EES1B_IbLb1EEEEDaS17_S18_EUlS17_E_NS1_11comp_targetILNS1_3genE10ELNS1_11target_archE1200ELNS1_3gpuE4ELNS1_3repE0EEENS1_30default_config_static_selectorELNS0_4arch9wavefront6targetE1EEEvT1_,comdat
	.globl	_ZN7rocprim17ROCPRIM_400000_NS6detail17trampoline_kernelINS0_14default_configENS1_25partition_config_selectorILNS1_17partition_subalgoE9EllbEEZZNS1_14partition_implILS5_9ELb0ES3_jPlS8_PNS0_10empty_typeENS0_5tupleIJS8_S9_EEENSB_IJS8_SA_EEENS0_18inequality_wrapperIZN2at6native12_GLOBAL__N_124unique_dim_cuda_templateIN3c104HalfEEESt5tupleIJNSF_6TensorESM_SM_EERKSM_lbbbEUlllE0_EEPmJS9_EEE10hipError_tPvRmT3_T4_T5_T6_T7_T9_mT8_P12ihipStream_tbDpT10_ENKUlT_T0_E_clISt17integral_constantIbLb0EES1B_IbLb1EEEEDaS17_S18_EUlS17_E_NS1_11comp_targetILNS1_3genE10ELNS1_11target_archE1200ELNS1_3gpuE4ELNS1_3repE0EEENS1_30default_config_static_selectorELNS0_4arch9wavefront6targetE1EEEvT1_ ; -- Begin function _ZN7rocprim17ROCPRIM_400000_NS6detail17trampoline_kernelINS0_14default_configENS1_25partition_config_selectorILNS1_17partition_subalgoE9EllbEEZZNS1_14partition_implILS5_9ELb0ES3_jPlS8_PNS0_10empty_typeENS0_5tupleIJS8_S9_EEENSB_IJS8_SA_EEENS0_18inequality_wrapperIZN2at6native12_GLOBAL__N_124unique_dim_cuda_templateIN3c104HalfEEESt5tupleIJNSF_6TensorESM_SM_EERKSM_lbbbEUlllE0_EEPmJS9_EEE10hipError_tPvRmT3_T4_T5_T6_T7_T9_mT8_P12ihipStream_tbDpT10_ENKUlT_T0_E_clISt17integral_constantIbLb0EES1B_IbLb1EEEEDaS17_S18_EUlS17_E_NS1_11comp_targetILNS1_3genE10ELNS1_11target_archE1200ELNS1_3gpuE4ELNS1_3repE0EEENS1_30default_config_static_selectorELNS0_4arch9wavefront6targetE1EEEvT1_
	.p2align	8
	.type	_ZN7rocprim17ROCPRIM_400000_NS6detail17trampoline_kernelINS0_14default_configENS1_25partition_config_selectorILNS1_17partition_subalgoE9EllbEEZZNS1_14partition_implILS5_9ELb0ES3_jPlS8_PNS0_10empty_typeENS0_5tupleIJS8_S9_EEENSB_IJS8_SA_EEENS0_18inequality_wrapperIZN2at6native12_GLOBAL__N_124unique_dim_cuda_templateIN3c104HalfEEESt5tupleIJNSF_6TensorESM_SM_EERKSM_lbbbEUlllE0_EEPmJS9_EEE10hipError_tPvRmT3_T4_T5_T6_T7_T9_mT8_P12ihipStream_tbDpT10_ENKUlT_T0_E_clISt17integral_constantIbLb0EES1B_IbLb1EEEEDaS17_S18_EUlS17_E_NS1_11comp_targetILNS1_3genE10ELNS1_11target_archE1200ELNS1_3gpuE4ELNS1_3repE0EEENS1_30default_config_static_selectorELNS0_4arch9wavefront6targetE1EEEvT1_,@function
_ZN7rocprim17ROCPRIM_400000_NS6detail17trampoline_kernelINS0_14default_configENS1_25partition_config_selectorILNS1_17partition_subalgoE9EllbEEZZNS1_14partition_implILS5_9ELb0ES3_jPlS8_PNS0_10empty_typeENS0_5tupleIJS8_S9_EEENSB_IJS8_SA_EEENS0_18inequality_wrapperIZN2at6native12_GLOBAL__N_124unique_dim_cuda_templateIN3c104HalfEEESt5tupleIJNSF_6TensorESM_SM_EERKSM_lbbbEUlllE0_EEPmJS9_EEE10hipError_tPvRmT3_T4_T5_T6_T7_T9_mT8_P12ihipStream_tbDpT10_ENKUlT_T0_E_clISt17integral_constantIbLb0EES1B_IbLb1EEEEDaS17_S18_EUlS17_E_NS1_11comp_targetILNS1_3genE10ELNS1_11target_archE1200ELNS1_3gpuE4ELNS1_3repE0EEENS1_30default_config_static_selectorELNS0_4arch9wavefront6targetE1EEEvT1_: ; @_ZN7rocprim17ROCPRIM_400000_NS6detail17trampoline_kernelINS0_14default_configENS1_25partition_config_selectorILNS1_17partition_subalgoE9EllbEEZZNS1_14partition_implILS5_9ELb0ES3_jPlS8_PNS0_10empty_typeENS0_5tupleIJS8_S9_EEENSB_IJS8_SA_EEENS0_18inequality_wrapperIZN2at6native12_GLOBAL__N_124unique_dim_cuda_templateIN3c104HalfEEESt5tupleIJNSF_6TensorESM_SM_EERKSM_lbbbEUlllE0_EEPmJS9_EEE10hipError_tPvRmT3_T4_T5_T6_T7_T9_mT8_P12ihipStream_tbDpT10_ENKUlT_T0_E_clISt17integral_constantIbLb0EES1B_IbLb1EEEEDaS17_S18_EUlS17_E_NS1_11comp_targetILNS1_3genE10ELNS1_11target_archE1200ELNS1_3gpuE4ELNS1_3repE0EEENS1_30default_config_static_selectorELNS0_4arch9wavefront6targetE1EEEvT1_
; %bb.0:
	.section	.rodata,"a",@progbits
	.p2align	6, 0x0
	.amdhsa_kernel _ZN7rocprim17ROCPRIM_400000_NS6detail17trampoline_kernelINS0_14default_configENS1_25partition_config_selectorILNS1_17partition_subalgoE9EllbEEZZNS1_14partition_implILS5_9ELb0ES3_jPlS8_PNS0_10empty_typeENS0_5tupleIJS8_S9_EEENSB_IJS8_SA_EEENS0_18inequality_wrapperIZN2at6native12_GLOBAL__N_124unique_dim_cuda_templateIN3c104HalfEEESt5tupleIJNSF_6TensorESM_SM_EERKSM_lbbbEUlllE0_EEPmJS9_EEE10hipError_tPvRmT3_T4_T5_T6_T7_T9_mT8_P12ihipStream_tbDpT10_ENKUlT_T0_E_clISt17integral_constantIbLb0EES1B_IbLb1EEEEDaS17_S18_EUlS17_E_NS1_11comp_targetILNS1_3genE10ELNS1_11target_archE1200ELNS1_3gpuE4ELNS1_3repE0EEENS1_30default_config_static_selectorELNS0_4arch9wavefront6targetE1EEEvT1_
		.amdhsa_group_segment_fixed_size 0
		.amdhsa_private_segment_fixed_size 0
		.amdhsa_kernarg_size 136
		.amdhsa_user_sgpr_count 6
		.amdhsa_user_sgpr_private_segment_buffer 1
		.amdhsa_user_sgpr_dispatch_ptr 0
		.amdhsa_user_sgpr_queue_ptr 0
		.amdhsa_user_sgpr_kernarg_segment_ptr 1
		.amdhsa_user_sgpr_dispatch_id 0
		.amdhsa_user_sgpr_flat_scratch_init 0
		.amdhsa_user_sgpr_kernarg_preload_length 0
		.amdhsa_user_sgpr_kernarg_preload_offset 0
		.amdhsa_user_sgpr_private_segment_size 0
		.amdhsa_uses_dynamic_stack 0
		.amdhsa_system_sgpr_private_segment_wavefront_offset 0
		.amdhsa_system_sgpr_workgroup_id_x 1
		.amdhsa_system_sgpr_workgroup_id_y 0
		.amdhsa_system_sgpr_workgroup_id_z 0
		.amdhsa_system_sgpr_workgroup_info 0
		.amdhsa_system_vgpr_workitem_id 0
		.amdhsa_next_free_vgpr 1
		.amdhsa_next_free_sgpr 0
		.amdhsa_accum_offset 4
		.amdhsa_reserve_vcc 0
		.amdhsa_reserve_flat_scratch 0
		.amdhsa_float_round_mode_32 0
		.amdhsa_float_round_mode_16_64 0
		.amdhsa_float_denorm_mode_32 3
		.amdhsa_float_denorm_mode_16_64 3
		.amdhsa_dx10_clamp 1
		.amdhsa_ieee_mode 1
		.amdhsa_fp16_overflow 0
		.amdhsa_tg_split 0
		.amdhsa_exception_fp_ieee_invalid_op 0
		.amdhsa_exception_fp_denorm_src 0
		.amdhsa_exception_fp_ieee_div_zero 0
		.amdhsa_exception_fp_ieee_overflow 0
		.amdhsa_exception_fp_ieee_underflow 0
		.amdhsa_exception_fp_ieee_inexact 0
		.amdhsa_exception_int_div_zero 0
	.end_amdhsa_kernel
	.section	.text._ZN7rocprim17ROCPRIM_400000_NS6detail17trampoline_kernelINS0_14default_configENS1_25partition_config_selectorILNS1_17partition_subalgoE9EllbEEZZNS1_14partition_implILS5_9ELb0ES3_jPlS8_PNS0_10empty_typeENS0_5tupleIJS8_S9_EEENSB_IJS8_SA_EEENS0_18inequality_wrapperIZN2at6native12_GLOBAL__N_124unique_dim_cuda_templateIN3c104HalfEEESt5tupleIJNSF_6TensorESM_SM_EERKSM_lbbbEUlllE0_EEPmJS9_EEE10hipError_tPvRmT3_T4_T5_T6_T7_T9_mT8_P12ihipStream_tbDpT10_ENKUlT_T0_E_clISt17integral_constantIbLb0EES1B_IbLb1EEEEDaS17_S18_EUlS17_E_NS1_11comp_targetILNS1_3genE10ELNS1_11target_archE1200ELNS1_3gpuE4ELNS1_3repE0EEENS1_30default_config_static_selectorELNS0_4arch9wavefront6targetE1EEEvT1_,"axG",@progbits,_ZN7rocprim17ROCPRIM_400000_NS6detail17trampoline_kernelINS0_14default_configENS1_25partition_config_selectorILNS1_17partition_subalgoE9EllbEEZZNS1_14partition_implILS5_9ELb0ES3_jPlS8_PNS0_10empty_typeENS0_5tupleIJS8_S9_EEENSB_IJS8_SA_EEENS0_18inequality_wrapperIZN2at6native12_GLOBAL__N_124unique_dim_cuda_templateIN3c104HalfEEESt5tupleIJNSF_6TensorESM_SM_EERKSM_lbbbEUlllE0_EEPmJS9_EEE10hipError_tPvRmT3_T4_T5_T6_T7_T9_mT8_P12ihipStream_tbDpT10_ENKUlT_T0_E_clISt17integral_constantIbLb0EES1B_IbLb1EEEEDaS17_S18_EUlS17_E_NS1_11comp_targetILNS1_3genE10ELNS1_11target_archE1200ELNS1_3gpuE4ELNS1_3repE0EEENS1_30default_config_static_selectorELNS0_4arch9wavefront6targetE1EEEvT1_,comdat
.Lfunc_end1356:
	.size	_ZN7rocprim17ROCPRIM_400000_NS6detail17trampoline_kernelINS0_14default_configENS1_25partition_config_selectorILNS1_17partition_subalgoE9EllbEEZZNS1_14partition_implILS5_9ELb0ES3_jPlS8_PNS0_10empty_typeENS0_5tupleIJS8_S9_EEENSB_IJS8_SA_EEENS0_18inequality_wrapperIZN2at6native12_GLOBAL__N_124unique_dim_cuda_templateIN3c104HalfEEESt5tupleIJNSF_6TensorESM_SM_EERKSM_lbbbEUlllE0_EEPmJS9_EEE10hipError_tPvRmT3_T4_T5_T6_T7_T9_mT8_P12ihipStream_tbDpT10_ENKUlT_T0_E_clISt17integral_constantIbLb0EES1B_IbLb1EEEEDaS17_S18_EUlS17_E_NS1_11comp_targetILNS1_3genE10ELNS1_11target_archE1200ELNS1_3gpuE4ELNS1_3repE0EEENS1_30default_config_static_selectorELNS0_4arch9wavefront6targetE1EEEvT1_, .Lfunc_end1356-_ZN7rocprim17ROCPRIM_400000_NS6detail17trampoline_kernelINS0_14default_configENS1_25partition_config_selectorILNS1_17partition_subalgoE9EllbEEZZNS1_14partition_implILS5_9ELb0ES3_jPlS8_PNS0_10empty_typeENS0_5tupleIJS8_S9_EEENSB_IJS8_SA_EEENS0_18inequality_wrapperIZN2at6native12_GLOBAL__N_124unique_dim_cuda_templateIN3c104HalfEEESt5tupleIJNSF_6TensorESM_SM_EERKSM_lbbbEUlllE0_EEPmJS9_EEE10hipError_tPvRmT3_T4_T5_T6_T7_T9_mT8_P12ihipStream_tbDpT10_ENKUlT_T0_E_clISt17integral_constantIbLb0EES1B_IbLb1EEEEDaS17_S18_EUlS17_E_NS1_11comp_targetILNS1_3genE10ELNS1_11target_archE1200ELNS1_3gpuE4ELNS1_3repE0EEENS1_30default_config_static_selectorELNS0_4arch9wavefront6targetE1EEEvT1_
                                        ; -- End function
	.section	.AMDGPU.csdata,"",@progbits
; Kernel info:
; codeLenInByte = 0
; NumSgprs: 4
; NumVgprs: 0
; NumAgprs: 0
; TotalNumVgprs: 0
; ScratchSize: 0
; MemoryBound: 0
; FloatMode: 240
; IeeeMode: 1
; LDSByteSize: 0 bytes/workgroup (compile time only)
; SGPRBlocks: 0
; VGPRBlocks: 0
; NumSGPRsForWavesPerEU: 4
; NumVGPRsForWavesPerEU: 1
; AccumOffset: 4
; Occupancy: 8
; WaveLimiterHint : 0
; COMPUTE_PGM_RSRC2:SCRATCH_EN: 0
; COMPUTE_PGM_RSRC2:USER_SGPR: 6
; COMPUTE_PGM_RSRC2:TRAP_HANDLER: 0
; COMPUTE_PGM_RSRC2:TGID_X_EN: 1
; COMPUTE_PGM_RSRC2:TGID_Y_EN: 0
; COMPUTE_PGM_RSRC2:TGID_Z_EN: 0
; COMPUTE_PGM_RSRC2:TIDIG_COMP_CNT: 0
; COMPUTE_PGM_RSRC3_GFX90A:ACCUM_OFFSET: 0
; COMPUTE_PGM_RSRC3_GFX90A:TG_SPLIT: 0
	.section	.text._ZN7rocprim17ROCPRIM_400000_NS6detail17trampoline_kernelINS0_14default_configENS1_25partition_config_selectorILNS1_17partition_subalgoE9EllbEEZZNS1_14partition_implILS5_9ELb0ES3_jPlS8_PNS0_10empty_typeENS0_5tupleIJS8_S9_EEENSB_IJS8_SA_EEENS0_18inequality_wrapperIZN2at6native12_GLOBAL__N_124unique_dim_cuda_templateIN3c104HalfEEESt5tupleIJNSF_6TensorESM_SM_EERKSM_lbbbEUlllE0_EEPmJS9_EEE10hipError_tPvRmT3_T4_T5_T6_T7_T9_mT8_P12ihipStream_tbDpT10_ENKUlT_T0_E_clISt17integral_constantIbLb0EES1B_IbLb1EEEEDaS17_S18_EUlS17_E_NS1_11comp_targetILNS1_3genE9ELNS1_11target_archE1100ELNS1_3gpuE3ELNS1_3repE0EEENS1_30default_config_static_selectorELNS0_4arch9wavefront6targetE1EEEvT1_,"axG",@progbits,_ZN7rocprim17ROCPRIM_400000_NS6detail17trampoline_kernelINS0_14default_configENS1_25partition_config_selectorILNS1_17partition_subalgoE9EllbEEZZNS1_14partition_implILS5_9ELb0ES3_jPlS8_PNS0_10empty_typeENS0_5tupleIJS8_S9_EEENSB_IJS8_SA_EEENS0_18inequality_wrapperIZN2at6native12_GLOBAL__N_124unique_dim_cuda_templateIN3c104HalfEEESt5tupleIJNSF_6TensorESM_SM_EERKSM_lbbbEUlllE0_EEPmJS9_EEE10hipError_tPvRmT3_T4_T5_T6_T7_T9_mT8_P12ihipStream_tbDpT10_ENKUlT_T0_E_clISt17integral_constantIbLb0EES1B_IbLb1EEEEDaS17_S18_EUlS17_E_NS1_11comp_targetILNS1_3genE9ELNS1_11target_archE1100ELNS1_3gpuE3ELNS1_3repE0EEENS1_30default_config_static_selectorELNS0_4arch9wavefront6targetE1EEEvT1_,comdat
	.globl	_ZN7rocprim17ROCPRIM_400000_NS6detail17trampoline_kernelINS0_14default_configENS1_25partition_config_selectorILNS1_17partition_subalgoE9EllbEEZZNS1_14partition_implILS5_9ELb0ES3_jPlS8_PNS0_10empty_typeENS0_5tupleIJS8_S9_EEENSB_IJS8_SA_EEENS0_18inequality_wrapperIZN2at6native12_GLOBAL__N_124unique_dim_cuda_templateIN3c104HalfEEESt5tupleIJNSF_6TensorESM_SM_EERKSM_lbbbEUlllE0_EEPmJS9_EEE10hipError_tPvRmT3_T4_T5_T6_T7_T9_mT8_P12ihipStream_tbDpT10_ENKUlT_T0_E_clISt17integral_constantIbLb0EES1B_IbLb1EEEEDaS17_S18_EUlS17_E_NS1_11comp_targetILNS1_3genE9ELNS1_11target_archE1100ELNS1_3gpuE3ELNS1_3repE0EEENS1_30default_config_static_selectorELNS0_4arch9wavefront6targetE1EEEvT1_ ; -- Begin function _ZN7rocprim17ROCPRIM_400000_NS6detail17trampoline_kernelINS0_14default_configENS1_25partition_config_selectorILNS1_17partition_subalgoE9EllbEEZZNS1_14partition_implILS5_9ELb0ES3_jPlS8_PNS0_10empty_typeENS0_5tupleIJS8_S9_EEENSB_IJS8_SA_EEENS0_18inequality_wrapperIZN2at6native12_GLOBAL__N_124unique_dim_cuda_templateIN3c104HalfEEESt5tupleIJNSF_6TensorESM_SM_EERKSM_lbbbEUlllE0_EEPmJS9_EEE10hipError_tPvRmT3_T4_T5_T6_T7_T9_mT8_P12ihipStream_tbDpT10_ENKUlT_T0_E_clISt17integral_constantIbLb0EES1B_IbLb1EEEEDaS17_S18_EUlS17_E_NS1_11comp_targetILNS1_3genE9ELNS1_11target_archE1100ELNS1_3gpuE3ELNS1_3repE0EEENS1_30default_config_static_selectorELNS0_4arch9wavefront6targetE1EEEvT1_
	.p2align	8
	.type	_ZN7rocprim17ROCPRIM_400000_NS6detail17trampoline_kernelINS0_14default_configENS1_25partition_config_selectorILNS1_17partition_subalgoE9EllbEEZZNS1_14partition_implILS5_9ELb0ES3_jPlS8_PNS0_10empty_typeENS0_5tupleIJS8_S9_EEENSB_IJS8_SA_EEENS0_18inequality_wrapperIZN2at6native12_GLOBAL__N_124unique_dim_cuda_templateIN3c104HalfEEESt5tupleIJNSF_6TensorESM_SM_EERKSM_lbbbEUlllE0_EEPmJS9_EEE10hipError_tPvRmT3_T4_T5_T6_T7_T9_mT8_P12ihipStream_tbDpT10_ENKUlT_T0_E_clISt17integral_constantIbLb0EES1B_IbLb1EEEEDaS17_S18_EUlS17_E_NS1_11comp_targetILNS1_3genE9ELNS1_11target_archE1100ELNS1_3gpuE3ELNS1_3repE0EEENS1_30default_config_static_selectorELNS0_4arch9wavefront6targetE1EEEvT1_,@function
_ZN7rocprim17ROCPRIM_400000_NS6detail17trampoline_kernelINS0_14default_configENS1_25partition_config_selectorILNS1_17partition_subalgoE9EllbEEZZNS1_14partition_implILS5_9ELb0ES3_jPlS8_PNS0_10empty_typeENS0_5tupleIJS8_S9_EEENSB_IJS8_SA_EEENS0_18inequality_wrapperIZN2at6native12_GLOBAL__N_124unique_dim_cuda_templateIN3c104HalfEEESt5tupleIJNSF_6TensorESM_SM_EERKSM_lbbbEUlllE0_EEPmJS9_EEE10hipError_tPvRmT3_T4_T5_T6_T7_T9_mT8_P12ihipStream_tbDpT10_ENKUlT_T0_E_clISt17integral_constantIbLb0EES1B_IbLb1EEEEDaS17_S18_EUlS17_E_NS1_11comp_targetILNS1_3genE9ELNS1_11target_archE1100ELNS1_3gpuE3ELNS1_3repE0EEENS1_30default_config_static_selectorELNS0_4arch9wavefront6targetE1EEEvT1_: ; @_ZN7rocprim17ROCPRIM_400000_NS6detail17trampoline_kernelINS0_14default_configENS1_25partition_config_selectorILNS1_17partition_subalgoE9EllbEEZZNS1_14partition_implILS5_9ELb0ES3_jPlS8_PNS0_10empty_typeENS0_5tupleIJS8_S9_EEENSB_IJS8_SA_EEENS0_18inequality_wrapperIZN2at6native12_GLOBAL__N_124unique_dim_cuda_templateIN3c104HalfEEESt5tupleIJNSF_6TensorESM_SM_EERKSM_lbbbEUlllE0_EEPmJS9_EEE10hipError_tPvRmT3_T4_T5_T6_T7_T9_mT8_P12ihipStream_tbDpT10_ENKUlT_T0_E_clISt17integral_constantIbLb0EES1B_IbLb1EEEEDaS17_S18_EUlS17_E_NS1_11comp_targetILNS1_3genE9ELNS1_11target_archE1100ELNS1_3gpuE3ELNS1_3repE0EEENS1_30default_config_static_selectorELNS0_4arch9wavefront6targetE1EEEvT1_
; %bb.0:
	.section	.rodata,"a",@progbits
	.p2align	6, 0x0
	.amdhsa_kernel _ZN7rocprim17ROCPRIM_400000_NS6detail17trampoline_kernelINS0_14default_configENS1_25partition_config_selectorILNS1_17partition_subalgoE9EllbEEZZNS1_14partition_implILS5_9ELb0ES3_jPlS8_PNS0_10empty_typeENS0_5tupleIJS8_S9_EEENSB_IJS8_SA_EEENS0_18inequality_wrapperIZN2at6native12_GLOBAL__N_124unique_dim_cuda_templateIN3c104HalfEEESt5tupleIJNSF_6TensorESM_SM_EERKSM_lbbbEUlllE0_EEPmJS9_EEE10hipError_tPvRmT3_T4_T5_T6_T7_T9_mT8_P12ihipStream_tbDpT10_ENKUlT_T0_E_clISt17integral_constantIbLb0EES1B_IbLb1EEEEDaS17_S18_EUlS17_E_NS1_11comp_targetILNS1_3genE9ELNS1_11target_archE1100ELNS1_3gpuE3ELNS1_3repE0EEENS1_30default_config_static_selectorELNS0_4arch9wavefront6targetE1EEEvT1_
		.amdhsa_group_segment_fixed_size 0
		.amdhsa_private_segment_fixed_size 0
		.amdhsa_kernarg_size 136
		.amdhsa_user_sgpr_count 6
		.amdhsa_user_sgpr_private_segment_buffer 1
		.amdhsa_user_sgpr_dispatch_ptr 0
		.amdhsa_user_sgpr_queue_ptr 0
		.amdhsa_user_sgpr_kernarg_segment_ptr 1
		.amdhsa_user_sgpr_dispatch_id 0
		.amdhsa_user_sgpr_flat_scratch_init 0
		.amdhsa_user_sgpr_kernarg_preload_length 0
		.amdhsa_user_sgpr_kernarg_preload_offset 0
		.amdhsa_user_sgpr_private_segment_size 0
		.amdhsa_uses_dynamic_stack 0
		.amdhsa_system_sgpr_private_segment_wavefront_offset 0
		.amdhsa_system_sgpr_workgroup_id_x 1
		.amdhsa_system_sgpr_workgroup_id_y 0
		.amdhsa_system_sgpr_workgroup_id_z 0
		.amdhsa_system_sgpr_workgroup_info 0
		.amdhsa_system_vgpr_workitem_id 0
		.amdhsa_next_free_vgpr 1
		.amdhsa_next_free_sgpr 0
		.amdhsa_accum_offset 4
		.amdhsa_reserve_vcc 0
		.amdhsa_reserve_flat_scratch 0
		.amdhsa_float_round_mode_32 0
		.amdhsa_float_round_mode_16_64 0
		.amdhsa_float_denorm_mode_32 3
		.amdhsa_float_denorm_mode_16_64 3
		.amdhsa_dx10_clamp 1
		.amdhsa_ieee_mode 1
		.amdhsa_fp16_overflow 0
		.amdhsa_tg_split 0
		.amdhsa_exception_fp_ieee_invalid_op 0
		.amdhsa_exception_fp_denorm_src 0
		.amdhsa_exception_fp_ieee_div_zero 0
		.amdhsa_exception_fp_ieee_overflow 0
		.amdhsa_exception_fp_ieee_underflow 0
		.amdhsa_exception_fp_ieee_inexact 0
		.amdhsa_exception_int_div_zero 0
	.end_amdhsa_kernel
	.section	.text._ZN7rocprim17ROCPRIM_400000_NS6detail17trampoline_kernelINS0_14default_configENS1_25partition_config_selectorILNS1_17partition_subalgoE9EllbEEZZNS1_14partition_implILS5_9ELb0ES3_jPlS8_PNS0_10empty_typeENS0_5tupleIJS8_S9_EEENSB_IJS8_SA_EEENS0_18inequality_wrapperIZN2at6native12_GLOBAL__N_124unique_dim_cuda_templateIN3c104HalfEEESt5tupleIJNSF_6TensorESM_SM_EERKSM_lbbbEUlllE0_EEPmJS9_EEE10hipError_tPvRmT3_T4_T5_T6_T7_T9_mT8_P12ihipStream_tbDpT10_ENKUlT_T0_E_clISt17integral_constantIbLb0EES1B_IbLb1EEEEDaS17_S18_EUlS17_E_NS1_11comp_targetILNS1_3genE9ELNS1_11target_archE1100ELNS1_3gpuE3ELNS1_3repE0EEENS1_30default_config_static_selectorELNS0_4arch9wavefront6targetE1EEEvT1_,"axG",@progbits,_ZN7rocprim17ROCPRIM_400000_NS6detail17trampoline_kernelINS0_14default_configENS1_25partition_config_selectorILNS1_17partition_subalgoE9EllbEEZZNS1_14partition_implILS5_9ELb0ES3_jPlS8_PNS0_10empty_typeENS0_5tupleIJS8_S9_EEENSB_IJS8_SA_EEENS0_18inequality_wrapperIZN2at6native12_GLOBAL__N_124unique_dim_cuda_templateIN3c104HalfEEESt5tupleIJNSF_6TensorESM_SM_EERKSM_lbbbEUlllE0_EEPmJS9_EEE10hipError_tPvRmT3_T4_T5_T6_T7_T9_mT8_P12ihipStream_tbDpT10_ENKUlT_T0_E_clISt17integral_constantIbLb0EES1B_IbLb1EEEEDaS17_S18_EUlS17_E_NS1_11comp_targetILNS1_3genE9ELNS1_11target_archE1100ELNS1_3gpuE3ELNS1_3repE0EEENS1_30default_config_static_selectorELNS0_4arch9wavefront6targetE1EEEvT1_,comdat
.Lfunc_end1357:
	.size	_ZN7rocprim17ROCPRIM_400000_NS6detail17trampoline_kernelINS0_14default_configENS1_25partition_config_selectorILNS1_17partition_subalgoE9EllbEEZZNS1_14partition_implILS5_9ELb0ES3_jPlS8_PNS0_10empty_typeENS0_5tupleIJS8_S9_EEENSB_IJS8_SA_EEENS0_18inequality_wrapperIZN2at6native12_GLOBAL__N_124unique_dim_cuda_templateIN3c104HalfEEESt5tupleIJNSF_6TensorESM_SM_EERKSM_lbbbEUlllE0_EEPmJS9_EEE10hipError_tPvRmT3_T4_T5_T6_T7_T9_mT8_P12ihipStream_tbDpT10_ENKUlT_T0_E_clISt17integral_constantIbLb0EES1B_IbLb1EEEEDaS17_S18_EUlS17_E_NS1_11comp_targetILNS1_3genE9ELNS1_11target_archE1100ELNS1_3gpuE3ELNS1_3repE0EEENS1_30default_config_static_selectorELNS0_4arch9wavefront6targetE1EEEvT1_, .Lfunc_end1357-_ZN7rocprim17ROCPRIM_400000_NS6detail17trampoline_kernelINS0_14default_configENS1_25partition_config_selectorILNS1_17partition_subalgoE9EllbEEZZNS1_14partition_implILS5_9ELb0ES3_jPlS8_PNS0_10empty_typeENS0_5tupleIJS8_S9_EEENSB_IJS8_SA_EEENS0_18inequality_wrapperIZN2at6native12_GLOBAL__N_124unique_dim_cuda_templateIN3c104HalfEEESt5tupleIJNSF_6TensorESM_SM_EERKSM_lbbbEUlllE0_EEPmJS9_EEE10hipError_tPvRmT3_T4_T5_T6_T7_T9_mT8_P12ihipStream_tbDpT10_ENKUlT_T0_E_clISt17integral_constantIbLb0EES1B_IbLb1EEEEDaS17_S18_EUlS17_E_NS1_11comp_targetILNS1_3genE9ELNS1_11target_archE1100ELNS1_3gpuE3ELNS1_3repE0EEENS1_30default_config_static_selectorELNS0_4arch9wavefront6targetE1EEEvT1_
                                        ; -- End function
	.section	.AMDGPU.csdata,"",@progbits
; Kernel info:
; codeLenInByte = 0
; NumSgprs: 4
; NumVgprs: 0
; NumAgprs: 0
; TotalNumVgprs: 0
; ScratchSize: 0
; MemoryBound: 0
; FloatMode: 240
; IeeeMode: 1
; LDSByteSize: 0 bytes/workgroup (compile time only)
; SGPRBlocks: 0
; VGPRBlocks: 0
; NumSGPRsForWavesPerEU: 4
; NumVGPRsForWavesPerEU: 1
; AccumOffset: 4
; Occupancy: 8
; WaveLimiterHint : 0
; COMPUTE_PGM_RSRC2:SCRATCH_EN: 0
; COMPUTE_PGM_RSRC2:USER_SGPR: 6
; COMPUTE_PGM_RSRC2:TRAP_HANDLER: 0
; COMPUTE_PGM_RSRC2:TGID_X_EN: 1
; COMPUTE_PGM_RSRC2:TGID_Y_EN: 0
; COMPUTE_PGM_RSRC2:TGID_Z_EN: 0
; COMPUTE_PGM_RSRC2:TIDIG_COMP_CNT: 0
; COMPUTE_PGM_RSRC3_GFX90A:ACCUM_OFFSET: 0
; COMPUTE_PGM_RSRC3_GFX90A:TG_SPLIT: 0
	.section	.text._ZN7rocprim17ROCPRIM_400000_NS6detail17trampoline_kernelINS0_14default_configENS1_25partition_config_selectorILNS1_17partition_subalgoE9EllbEEZZNS1_14partition_implILS5_9ELb0ES3_jPlS8_PNS0_10empty_typeENS0_5tupleIJS8_S9_EEENSB_IJS8_SA_EEENS0_18inequality_wrapperIZN2at6native12_GLOBAL__N_124unique_dim_cuda_templateIN3c104HalfEEESt5tupleIJNSF_6TensorESM_SM_EERKSM_lbbbEUlllE0_EEPmJS9_EEE10hipError_tPvRmT3_T4_T5_T6_T7_T9_mT8_P12ihipStream_tbDpT10_ENKUlT_T0_E_clISt17integral_constantIbLb0EES1B_IbLb1EEEEDaS17_S18_EUlS17_E_NS1_11comp_targetILNS1_3genE8ELNS1_11target_archE1030ELNS1_3gpuE2ELNS1_3repE0EEENS1_30default_config_static_selectorELNS0_4arch9wavefront6targetE1EEEvT1_,"axG",@progbits,_ZN7rocprim17ROCPRIM_400000_NS6detail17trampoline_kernelINS0_14default_configENS1_25partition_config_selectorILNS1_17partition_subalgoE9EllbEEZZNS1_14partition_implILS5_9ELb0ES3_jPlS8_PNS0_10empty_typeENS0_5tupleIJS8_S9_EEENSB_IJS8_SA_EEENS0_18inequality_wrapperIZN2at6native12_GLOBAL__N_124unique_dim_cuda_templateIN3c104HalfEEESt5tupleIJNSF_6TensorESM_SM_EERKSM_lbbbEUlllE0_EEPmJS9_EEE10hipError_tPvRmT3_T4_T5_T6_T7_T9_mT8_P12ihipStream_tbDpT10_ENKUlT_T0_E_clISt17integral_constantIbLb0EES1B_IbLb1EEEEDaS17_S18_EUlS17_E_NS1_11comp_targetILNS1_3genE8ELNS1_11target_archE1030ELNS1_3gpuE2ELNS1_3repE0EEENS1_30default_config_static_selectorELNS0_4arch9wavefront6targetE1EEEvT1_,comdat
	.globl	_ZN7rocprim17ROCPRIM_400000_NS6detail17trampoline_kernelINS0_14default_configENS1_25partition_config_selectorILNS1_17partition_subalgoE9EllbEEZZNS1_14partition_implILS5_9ELb0ES3_jPlS8_PNS0_10empty_typeENS0_5tupleIJS8_S9_EEENSB_IJS8_SA_EEENS0_18inequality_wrapperIZN2at6native12_GLOBAL__N_124unique_dim_cuda_templateIN3c104HalfEEESt5tupleIJNSF_6TensorESM_SM_EERKSM_lbbbEUlllE0_EEPmJS9_EEE10hipError_tPvRmT3_T4_T5_T6_T7_T9_mT8_P12ihipStream_tbDpT10_ENKUlT_T0_E_clISt17integral_constantIbLb0EES1B_IbLb1EEEEDaS17_S18_EUlS17_E_NS1_11comp_targetILNS1_3genE8ELNS1_11target_archE1030ELNS1_3gpuE2ELNS1_3repE0EEENS1_30default_config_static_selectorELNS0_4arch9wavefront6targetE1EEEvT1_ ; -- Begin function _ZN7rocprim17ROCPRIM_400000_NS6detail17trampoline_kernelINS0_14default_configENS1_25partition_config_selectorILNS1_17partition_subalgoE9EllbEEZZNS1_14partition_implILS5_9ELb0ES3_jPlS8_PNS0_10empty_typeENS0_5tupleIJS8_S9_EEENSB_IJS8_SA_EEENS0_18inequality_wrapperIZN2at6native12_GLOBAL__N_124unique_dim_cuda_templateIN3c104HalfEEESt5tupleIJNSF_6TensorESM_SM_EERKSM_lbbbEUlllE0_EEPmJS9_EEE10hipError_tPvRmT3_T4_T5_T6_T7_T9_mT8_P12ihipStream_tbDpT10_ENKUlT_T0_E_clISt17integral_constantIbLb0EES1B_IbLb1EEEEDaS17_S18_EUlS17_E_NS1_11comp_targetILNS1_3genE8ELNS1_11target_archE1030ELNS1_3gpuE2ELNS1_3repE0EEENS1_30default_config_static_selectorELNS0_4arch9wavefront6targetE1EEEvT1_
	.p2align	8
	.type	_ZN7rocprim17ROCPRIM_400000_NS6detail17trampoline_kernelINS0_14default_configENS1_25partition_config_selectorILNS1_17partition_subalgoE9EllbEEZZNS1_14partition_implILS5_9ELb0ES3_jPlS8_PNS0_10empty_typeENS0_5tupleIJS8_S9_EEENSB_IJS8_SA_EEENS0_18inequality_wrapperIZN2at6native12_GLOBAL__N_124unique_dim_cuda_templateIN3c104HalfEEESt5tupleIJNSF_6TensorESM_SM_EERKSM_lbbbEUlllE0_EEPmJS9_EEE10hipError_tPvRmT3_T4_T5_T6_T7_T9_mT8_P12ihipStream_tbDpT10_ENKUlT_T0_E_clISt17integral_constantIbLb0EES1B_IbLb1EEEEDaS17_S18_EUlS17_E_NS1_11comp_targetILNS1_3genE8ELNS1_11target_archE1030ELNS1_3gpuE2ELNS1_3repE0EEENS1_30default_config_static_selectorELNS0_4arch9wavefront6targetE1EEEvT1_,@function
_ZN7rocprim17ROCPRIM_400000_NS6detail17trampoline_kernelINS0_14default_configENS1_25partition_config_selectorILNS1_17partition_subalgoE9EllbEEZZNS1_14partition_implILS5_9ELb0ES3_jPlS8_PNS0_10empty_typeENS0_5tupleIJS8_S9_EEENSB_IJS8_SA_EEENS0_18inequality_wrapperIZN2at6native12_GLOBAL__N_124unique_dim_cuda_templateIN3c104HalfEEESt5tupleIJNSF_6TensorESM_SM_EERKSM_lbbbEUlllE0_EEPmJS9_EEE10hipError_tPvRmT3_T4_T5_T6_T7_T9_mT8_P12ihipStream_tbDpT10_ENKUlT_T0_E_clISt17integral_constantIbLb0EES1B_IbLb1EEEEDaS17_S18_EUlS17_E_NS1_11comp_targetILNS1_3genE8ELNS1_11target_archE1030ELNS1_3gpuE2ELNS1_3repE0EEENS1_30default_config_static_selectorELNS0_4arch9wavefront6targetE1EEEvT1_: ; @_ZN7rocprim17ROCPRIM_400000_NS6detail17trampoline_kernelINS0_14default_configENS1_25partition_config_selectorILNS1_17partition_subalgoE9EllbEEZZNS1_14partition_implILS5_9ELb0ES3_jPlS8_PNS0_10empty_typeENS0_5tupleIJS8_S9_EEENSB_IJS8_SA_EEENS0_18inequality_wrapperIZN2at6native12_GLOBAL__N_124unique_dim_cuda_templateIN3c104HalfEEESt5tupleIJNSF_6TensorESM_SM_EERKSM_lbbbEUlllE0_EEPmJS9_EEE10hipError_tPvRmT3_T4_T5_T6_T7_T9_mT8_P12ihipStream_tbDpT10_ENKUlT_T0_E_clISt17integral_constantIbLb0EES1B_IbLb1EEEEDaS17_S18_EUlS17_E_NS1_11comp_targetILNS1_3genE8ELNS1_11target_archE1030ELNS1_3gpuE2ELNS1_3repE0EEENS1_30default_config_static_selectorELNS0_4arch9wavefront6targetE1EEEvT1_
; %bb.0:
	.section	.rodata,"a",@progbits
	.p2align	6, 0x0
	.amdhsa_kernel _ZN7rocprim17ROCPRIM_400000_NS6detail17trampoline_kernelINS0_14default_configENS1_25partition_config_selectorILNS1_17partition_subalgoE9EllbEEZZNS1_14partition_implILS5_9ELb0ES3_jPlS8_PNS0_10empty_typeENS0_5tupleIJS8_S9_EEENSB_IJS8_SA_EEENS0_18inequality_wrapperIZN2at6native12_GLOBAL__N_124unique_dim_cuda_templateIN3c104HalfEEESt5tupleIJNSF_6TensorESM_SM_EERKSM_lbbbEUlllE0_EEPmJS9_EEE10hipError_tPvRmT3_T4_T5_T6_T7_T9_mT8_P12ihipStream_tbDpT10_ENKUlT_T0_E_clISt17integral_constantIbLb0EES1B_IbLb1EEEEDaS17_S18_EUlS17_E_NS1_11comp_targetILNS1_3genE8ELNS1_11target_archE1030ELNS1_3gpuE2ELNS1_3repE0EEENS1_30default_config_static_selectorELNS0_4arch9wavefront6targetE1EEEvT1_
		.amdhsa_group_segment_fixed_size 0
		.amdhsa_private_segment_fixed_size 0
		.amdhsa_kernarg_size 136
		.amdhsa_user_sgpr_count 6
		.amdhsa_user_sgpr_private_segment_buffer 1
		.amdhsa_user_sgpr_dispatch_ptr 0
		.amdhsa_user_sgpr_queue_ptr 0
		.amdhsa_user_sgpr_kernarg_segment_ptr 1
		.amdhsa_user_sgpr_dispatch_id 0
		.amdhsa_user_sgpr_flat_scratch_init 0
		.amdhsa_user_sgpr_kernarg_preload_length 0
		.amdhsa_user_sgpr_kernarg_preload_offset 0
		.amdhsa_user_sgpr_private_segment_size 0
		.amdhsa_uses_dynamic_stack 0
		.amdhsa_system_sgpr_private_segment_wavefront_offset 0
		.amdhsa_system_sgpr_workgroup_id_x 1
		.amdhsa_system_sgpr_workgroup_id_y 0
		.amdhsa_system_sgpr_workgroup_id_z 0
		.amdhsa_system_sgpr_workgroup_info 0
		.amdhsa_system_vgpr_workitem_id 0
		.amdhsa_next_free_vgpr 1
		.amdhsa_next_free_sgpr 0
		.amdhsa_accum_offset 4
		.amdhsa_reserve_vcc 0
		.amdhsa_reserve_flat_scratch 0
		.amdhsa_float_round_mode_32 0
		.amdhsa_float_round_mode_16_64 0
		.amdhsa_float_denorm_mode_32 3
		.amdhsa_float_denorm_mode_16_64 3
		.amdhsa_dx10_clamp 1
		.amdhsa_ieee_mode 1
		.amdhsa_fp16_overflow 0
		.amdhsa_tg_split 0
		.amdhsa_exception_fp_ieee_invalid_op 0
		.amdhsa_exception_fp_denorm_src 0
		.amdhsa_exception_fp_ieee_div_zero 0
		.amdhsa_exception_fp_ieee_overflow 0
		.amdhsa_exception_fp_ieee_underflow 0
		.amdhsa_exception_fp_ieee_inexact 0
		.amdhsa_exception_int_div_zero 0
	.end_amdhsa_kernel
	.section	.text._ZN7rocprim17ROCPRIM_400000_NS6detail17trampoline_kernelINS0_14default_configENS1_25partition_config_selectorILNS1_17partition_subalgoE9EllbEEZZNS1_14partition_implILS5_9ELb0ES3_jPlS8_PNS0_10empty_typeENS0_5tupleIJS8_S9_EEENSB_IJS8_SA_EEENS0_18inequality_wrapperIZN2at6native12_GLOBAL__N_124unique_dim_cuda_templateIN3c104HalfEEESt5tupleIJNSF_6TensorESM_SM_EERKSM_lbbbEUlllE0_EEPmJS9_EEE10hipError_tPvRmT3_T4_T5_T6_T7_T9_mT8_P12ihipStream_tbDpT10_ENKUlT_T0_E_clISt17integral_constantIbLb0EES1B_IbLb1EEEEDaS17_S18_EUlS17_E_NS1_11comp_targetILNS1_3genE8ELNS1_11target_archE1030ELNS1_3gpuE2ELNS1_3repE0EEENS1_30default_config_static_selectorELNS0_4arch9wavefront6targetE1EEEvT1_,"axG",@progbits,_ZN7rocprim17ROCPRIM_400000_NS6detail17trampoline_kernelINS0_14default_configENS1_25partition_config_selectorILNS1_17partition_subalgoE9EllbEEZZNS1_14partition_implILS5_9ELb0ES3_jPlS8_PNS0_10empty_typeENS0_5tupleIJS8_S9_EEENSB_IJS8_SA_EEENS0_18inequality_wrapperIZN2at6native12_GLOBAL__N_124unique_dim_cuda_templateIN3c104HalfEEESt5tupleIJNSF_6TensorESM_SM_EERKSM_lbbbEUlllE0_EEPmJS9_EEE10hipError_tPvRmT3_T4_T5_T6_T7_T9_mT8_P12ihipStream_tbDpT10_ENKUlT_T0_E_clISt17integral_constantIbLb0EES1B_IbLb1EEEEDaS17_S18_EUlS17_E_NS1_11comp_targetILNS1_3genE8ELNS1_11target_archE1030ELNS1_3gpuE2ELNS1_3repE0EEENS1_30default_config_static_selectorELNS0_4arch9wavefront6targetE1EEEvT1_,comdat
.Lfunc_end1358:
	.size	_ZN7rocprim17ROCPRIM_400000_NS6detail17trampoline_kernelINS0_14default_configENS1_25partition_config_selectorILNS1_17partition_subalgoE9EllbEEZZNS1_14partition_implILS5_9ELb0ES3_jPlS8_PNS0_10empty_typeENS0_5tupleIJS8_S9_EEENSB_IJS8_SA_EEENS0_18inequality_wrapperIZN2at6native12_GLOBAL__N_124unique_dim_cuda_templateIN3c104HalfEEESt5tupleIJNSF_6TensorESM_SM_EERKSM_lbbbEUlllE0_EEPmJS9_EEE10hipError_tPvRmT3_T4_T5_T6_T7_T9_mT8_P12ihipStream_tbDpT10_ENKUlT_T0_E_clISt17integral_constantIbLb0EES1B_IbLb1EEEEDaS17_S18_EUlS17_E_NS1_11comp_targetILNS1_3genE8ELNS1_11target_archE1030ELNS1_3gpuE2ELNS1_3repE0EEENS1_30default_config_static_selectorELNS0_4arch9wavefront6targetE1EEEvT1_, .Lfunc_end1358-_ZN7rocprim17ROCPRIM_400000_NS6detail17trampoline_kernelINS0_14default_configENS1_25partition_config_selectorILNS1_17partition_subalgoE9EllbEEZZNS1_14partition_implILS5_9ELb0ES3_jPlS8_PNS0_10empty_typeENS0_5tupleIJS8_S9_EEENSB_IJS8_SA_EEENS0_18inequality_wrapperIZN2at6native12_GLOBAL__N_124unique_dim_cuda_templateIN3c104HalfEEESt5tupleIJNSF_6TensorESM_SM_EERKSM_lbbbEUlllE0_EEPmJS9_EEE10hipError_tPvRmT3_T4_T5_T6_T7_T9_mT8_P12ihipStream_tbDpT10_ENKUlT_T0_E_clISt17integral_constantIbLb0EES1B_IbLb1EEEEDaS17_S18_EUlS17_E_NS1_11comp_targetILNS1_3genE8ELNS1_11target_archE1030ELNS1_3gpuE2ELNS1_3repE0EEENS1_30default_config_static_selectorELNS0_4arch9wavefront6targetE1EEEvT1_
                                        ; -- End function
	.section	.AMDGPU.csdata,"",@progbits
; Kernel info:
; codeLenInByte = 0
; NumSgprs: 4
; NumVgprs: 0
; NumAgprs: 0
; TotalNumVgprs: 0
; ScratchSize: 0
; MemoryBound: 0
; FloatMode: 240
; IeeeMode: 1
; LDSByteSize: 0 bytes/workgroup (compile time only)
; SGPRBlocks: 0
; VGPRBlocks: 0
; NumSGPRsForWavesPerEU: 4
; NumVGPRsForWavesPerEU: 1
; AccumOffset: 4
; Occupancy: 8
; WaveLimiterHint : 0
; COMPUTE_PGM_RSRC2:SCRATCH_EN: 0
; COMPUTE_PGM_RSRC2:USER_SGPR: 6
; COMPUTE_PGM_RSRC2:TRAP_HANDLER: 0
; COMPUTE_PGM_RSRC2:TGID_X_EN: 1
; COMPUTE_PGM_RSRC2:TGID_Y_EN: 0
; COMPUTE_PGM_RSRC2:TGID_Z_EN: 0
; COMPUTE_PGM_RSRC2:TIDIG_COMP_CNT: 0
; COMPUTE_PGM_RSRC3_GFX90A:ACCUM_OFFSET: 0
; COMPUTE_PGM_RSRC3_GFX90A:TG_SPLIT: 0
	.section	.text._ZN7rocprim17ROCPRIM_400000_NS6detail17trampoline_kernelINS0_14default_configENS1_37merge_sort_block_sort_config_selectorIlNS0_10empty_typeEEEZNS1_21merge_sort_block_sortIS3_PlS8_PS5_S9_ZN2at6native12_GLOBAL__N_124unique_dim_cuda_templateItEESt5tupleIJNSA_6TensorESF_SF_EERKSF_lbbbEUlllE_EE10hipError_tT0_T1_T2_T3_mRjT4_P12ihipStream_tbNS1_7vsmem_tEEUlT_E_NS1_11comp_targetILNS1_3genE0ELNS1_11target_archE4294967295ELNS1_3gpuE0ELNS1_3repE0EEENS1_30default_config_static_selectorELNS0_4arch9wavefront6targetE1EEEvSM_,"axG",@progbits,_ZN7rocprim17ROCPRIM_400000_NS6detail17trampoline_kernelINS0_14default_configENS1_37merge_sort_block_sort_config_selectorIlNS0_10empty_typeEEEZNS1_21merge_sort_block_sortIS3_PlS8_PS5_S9_ZN2at6native12_GLOBAL__N_124unique_dim_cuda_templateItEESt5tupleIJNSA_6TensorESF_SF_EERKSF_lbbbEUlllE_EE10hipError_tT0_T1_T2_T3_mRjT4_P12ihipStream_tbNS1_7vsmem_tEEUlT_E_NS1_11comp_targetILNS1_3genE0ELNS1_11target_archE4294967295ELNS1_3gpuE0ELNS1_3repE0EEENS1_30default_config_static_selectorELNS0_4arch9wavefront6targetE1EEEvSM_,comdat
	.globl	_ZN7rocprim17ROCPRIM_400000_NS6detail17trampoline_kernelINS0_14default_configENS1_37merge_sort_block_sort_config_selectorIlNS0_10empty_typeEEEZNS1_21merge_sort_block_sortIS3_PlS8_PS5_S9_ZN2at6native12_GLOBAL__N_124unique_dim_cuda_templateItEESt5tupleIJNSA_6TensorESF_SF_EERKSF_lbbbEUlllE_EE10hipError_tT0_T1_T2_T3_mRjT4_P12ihipStream_tbNS1_7vsmem_tEEUlT_E_NS1_11comp_targetILNS1_3genE0ELNS1_11target_archE4294967295ELNS1_3gpuE0ELNS1_3repE0EEENS1_30default_config_static_selectorELNS0_4arch9wavefront6targetE1EEEvSM_ ; -- Begin function _ZN7rocprim17ROCPRIM_400000_NS6detail17trampoline_kernelINS0_14default_configENS1_37merge_sort_block_sort_config_selectorIlNS0_10empty_typeEEEZNS1_21merge_sort_block_sortIS3_PlS8_PS5_S9_ZN2at6native12_GLOBAL__N_124unique_dim_cuda_templateItEESt5tupleIJNSA_6TensorESF_SF_EERKSF_lbbbEUlllE_EE10hipError_tT0_T1_T2_T3_mRjT4_P12ihipStream_tbNS1_7vsmem_tEEUlT_E_NS1_11comp_targetILNS1_3genE0ELNS1_11target_archE4294967295ELNS1_3gpuE0ELNS1_3repE0EEENS1_30default_config_static_selectorELNS0_4arch9wavefront6targetE1EEEvSM_
	.p2align	8
	.type	_ZN7rocprim17ROCPRIM_400000_NS6detail17trampoline_kernelINS0_14default_configENS1_37merge_sort_block_sort_config_selectorIlNS0_10empty_typeEEEZNS1_21merge_sort_block_sortIS3_PlS8_PS5_S9_ZN2at6native12_GLOBAL__N_124unique_dim_cuda_templateItEESt5tupleIJNSA_6TensorESF_SF_EERKSF_lbbbEUlllE_EE10hipError_tT0_T1_T2_T3_mRjT4_P12ihipStream_tbNS1_7vsmem_tEEUlT_E_NS1_11comp_targetILNS1_3genE0ELNS1_11target_archE4294967295ELNS1_3gpuE0ELNS1_3repE0EEENS1_30default_config_static_selectorELNS0_4arch9wavefront6targetE1EEEvSM_,@function
_ZN7rocprim17ROCPRIM_400000_NS6detail17trampoline_kernelINS0_14default_configENS1_37merge_sort_block_sort_config_selectorIlNS0_10empty_typeEEEZNS1_21merge_sort_block_sortIS3_PlS8_PS5_S9_ZN2at6native12_GLOBAL__N_124unique_dim_cuda_templateItEESt5tupleIJNSA_6TensorESF_SF_EERKSF_lbbbEUlllE_EE10hipError_tT0_T1_T2_T3_mRjT4_P12ihipStream_tbNS1_7vsmem_tEEUlT_E_NS1_11comp_targetILNS1_3genE0ELNS1_11target_archE4294967295ELNS1_3gpuE0ELNS1_3repE0EEENS1_30default_config_static_selectorELNS0_4arch9wavefront6targetE1EEEvSM_: ; @_ZN7rocprim17ROCPRIM_400000_NS6detail17trampoline_kernelINS0_14default_configENS1_37merge_sort_block_sort_config_selectorIlNS0_10empty_typeEEEZNS1_21merge_sort_block_sortIS3_PlS8_PS5_S9_ZN2at6native12_GLOBAL__N_124unique_dim_cuda_templateItEESt5tupleIJNSA_6TensorESF_SF_EERKSF_lbbbEUlllE_EE10hipError_tT0_T1_T2_T3_mRjT4_P12ihipStream_tbNS1_7vsmem_tEEUlT_E_NS1_11comp_targetILNS1_3genE0ELNS1_11target_archE4294967295ELNS1_3gpuE0ELNS1_3repE0EEENS1_30default_config_static_selectorELNS0_4arch9wavefront6targetE1EEEvSM_
; %bb.0:
	.section	.rodata,"a",@progbits
	.p2align	6, 0x0
	.amdhsa_kernel _ZN7rocprim17ROCPRIM_400000_NS6detail17trampoline_kernelINS0_14default_configENS1_37merge_sort_block_sort_config_selectorIlNS0_10empty_typeEEEZNS1_21merge_sort_block_sortIS3_PlS8_PS5_S9_ZN2at6native12_GLOBAL__N_124unique_dim_cuda_templateItEESt5tupleIJNSA_6TensorESF_SF_EERKSF_lbbbEUlllE_EE10hipError_tT0_T1_T2_T3_mRjT4_P12ihipStream_tbNS1_7vsmem_tEEUlT_E_NS1_11comp_targetILNS1_3genE0ELNS1_11target_archE4294967295ELNS1_3gpuE0ELNS1_3repE0EEENS1_30default_config_static_selectorELNS0_4arch9wavefront6targetE1EEEvSM_
		.amdhsa_group_segment_fixed_size 0
		.amdhsa_private_segment_fixed_size 0
		.amdhsa_kernarg_size 72
		.amdhsa_user_sgpr_count 6
		.amdhsa_user_sgpr_private_segment_buffer 1
		.amdhsa_user_sgpr_dispatch_ptr 0
		.amdhsa_user_sgpr_queue_ptr 0
		.amdhsa_user_sgpr_kernarg_segment_ptr 1
		.amdhsa_user_sgpr_dispatch_id 0
		.amdhsa_user_sgpr_flat_scratch_init 0
		.amdhsa_user_sgpr_kernarg_preload_length 0
		.amdhsa_user_sgpr_kernarg_preload_offset 0
		.amdhsa_user_sgpr_private_segment_size 0
		.amdhsa_uses_dynamic_stack 0
		.amdhsa_system_sgpr_private_segment_wavefront_offset 0
		.amdhsa_system_sgpr_workgroup_id_x 1
		.amdhsa_system_sgpr_workgroup_id_y 0
		.amdhsa_system_sgpr_workgroup_id_z 0
		.amdhsa_system_sgpr_workgroup_info 0
		.amdhsa_system_vgpr_workitem_id 0
		.amdhsa_next_free_vgpr 1
		.amdhsa_next_free_sgpr 0
		.amdhsa_accum_offset 4
		.amdhsa_reserve_vcc 0
		.amdhsa_reserve_flat_scratch 0
		.amdhsa_float_round_mode_32 0
		.amdhsa_float_round_mode_16_64 0
		.amdhsa_float_denorm_mode_32 3
		.amdhsa_float_denorm_mode_16_64 3
		.amdhsa_dx10_clamp 1
		.amdhsa_ieee_mode 1
		.amdhsa_fp16_overflow 0
		.amdhsa_tg_split 0
		.amdhsa_exception_fp_ieee_invalid_op 0
		.amdhsa_exception_fp_denorm_src 0
		.amdhsa_exception_fp_ieee_div_zero 0
		.amdhsa_exception_fp_ieee_overflow 0
		.amdhsa_exception_fp_ieee_underflow 0
		.amdhsa_exception_fp_ieee_inexact 0
		.amdhsa_exception_int_div_zero 0
	.end_amdhsa_kernel
	.section	.text._ZN7rocprim17ROCPRIM_400000_NS6detail17trampoline_kernelINS0_14default_configENS1_37merge_sort_block_sort_config_selectorIlNS0_10empty_typeEEEZNS1_21merge_sort_block_sortIS3_PlS8_PS5_S9_ZN2at6native12_GLOBAL__N_124unique_dim_cuda_templateItEESt5tupleIJNSA_6TensorESF_SF_EERKSF_lbbbEUlllE_EE10hipError_tT0_T1_T2_T3_mRjT4_P12ihipStream_tbNS1_7vsmem_tEEUlT_E_NS1_11comp_targetILNS1_3genE0ELNS1_11target_archE4294967295ELNS1_3gpuE0ELNS1_3repE0EEENS1_30default_config_static_selectorELNS0_4arch9wavefront6targetE1EEEvSM_,"axG",@progbits,_ZN7rocprim17ROCPRIM_400000_NS6detail17trampoline_kernelINS0_14default_configENS1_37merge_sort_block_sort_config_selectorIlNS0_10empty_typeEEEZNS1_21merge_sort_block_sortIS3_PlS8_PS5_S9_ZN2at6native12_GLOBAL__N_124unique_dim_cuda_templateItEESt5tupleIJNSA_6TensorESF_SF_EERKSF_lbbbEUlllE_EE10hipError_tT0_T1_T2_T3_mRjT4_P12ihipStream_tbNS1_7vsmem_tEEUlT_E_NS1_11comp_targetILNS1_3genE0ELNS1_11target_archE4294967295ELNS1_3gpuE0ELNS1_3repE0EEENS1_30default_config_static_selectorELNS0_4arch9wavefront6targetE1EEEvSM_,comdat
.Lfunc_end1359:
	.size	_ZN7rocprim17ROCPRIM_400000_NS6detail17trampoline_kernelINS0_14default_configENS1_37merge_sort_block_sort_config_selectorIlNS0_10empty_typeEEEZNS1_21merge_sort_block_sortIS3_PlS8_PS5_S9_ZN2at6native12_GLOBAL__N_124unique_dim_cuda_templateItEESt5tupleIJNSA_6TensorESF_SF_EERKSF_lbbbEUlllE_EE10hipError_tT0_T1_T2_T3_mRjT4_P12ihipStream_tbNS1_7vsmem_tEEUlT_E_NS1_11comp_targetILNS1_3genE0ELNS1_11target_archE4294967295ELNS1_3gpuE0ELNS1_3repE0EEENS1_30default_config_static_selectorELNS0_4arch9wavefront6targetE1EEEvSM_, .Lfunc_end1359-_ZN7rocprim17ROCPRIM_400000_NS6detail17trampoline_kernelINS0_14default_configENS1_37merge_sort_block_sort_config_selectorIlNS0_10empty_typeEEEZNS1_21merge_sort_block_sortIS3_PlS8_PS5_S9_ZN2at6native12_GLOBAL__N_124unique_dim_cuda_templateItEESt5tupleIJNSA_6TensorESF_SF_EERKSF_lbbbEUlllE_EE10hipError_tT0_T1_T2_T3_mRjT4_P12ihipStream_tbNS1_7vsmem_tEEUlT_E_NS1_11comp_targetILNS1_3genE0ELNS1_11target_archE4294967295ELNS1_3gpuE0ELNS1_3repE0EEENS1_30default_config_static_selectorELNS0_4arch9wavefront6targetE1EEEvSM_
                                        ; -- End function
	.section	.AMDGPU.csdata,"",@progbits
; Kernel info:
; codeLenInByte = 0
; NumSgprs: 4
; NumVgprs: 0
; NumAgprs: 0
; TotalNumVgprs: 0
; ScratchSize: 0
; MemoryBound: 0
; FloatMode: 240
; IeeeMode: 1
; LDSByteSize: 0 bytes/workgroup (compile time only)
; SGPRBlocks: 0
; VGPRBlocks: 0
; NumSGPRsForWavesPerEU: 4
; NumVGPRsForWavesPerEU: 1
; AccumOffset: 4
; Occupancy: 8
; WaveLimiterHint : 0
; COMPUTE_PGM_RSRC2:SCRATCH_EN: 0
; COMPUTE_PGM_RSRC2:USER_SGPR: 6
; COMPUTE_PGM_RSRC2:TRAP_HANDLER: 0
; COMPUTE_PGM_RSRC2:TGID_X_EN: 1
; COMPUTE_PGM_RSRC2:TGID_Y_EN: 0
; COMPUTE_PGM_RSRC2:TGID_Z_EN: 0
; COMPUTE_PGM_RSRC2:TIDIG_COMP_CNT: 0
; COMPUTE_PGM_RSRC3_GFX90A:ACCUM_OFFSET: 0
; COMPUTE_PGM_RSRC3_GFX90A:TG_SPLIT: 0
	.section	.text._ZN7rocprim17ROCPRIM_400000_NS6detail17trampoline_kernelINS0_14default_configENS1_37merge_sort_block_sort_config_selectorIlNS0_10empty_typeEEEZNS1_21merge_sort_block_sortIS3_PlS8_PS5_S9_ZN2at6native12_GLOBAL__N_124unique_dim_cuda_templateItEESt5tupleIJNSA_6TensorESF_SF_EERKSF_lbbbEUlllE_EE10hipError_tT0_T1_T2_T3_mRjT4_P12ihipStream_tbNS1_7vsmem_tEEUlT_E_NS1_11comp_targetILNS1_3genE5ELNS1_11target_archE942ELNS1_3gpuE9ELNS1_3repE0EEENS1_30default_config_static_selectorELNS0_4arch9wavefront6targetE1EEEvSM_,"axG",@progbits,_ZN7rocprim17ROCPRIM_400000_NS6detail17trampoline_kernelINS0_14default_configENS1_37merge_sort_block_sort_config_selectorIlNS0_10empty_typeEEEZNS1_21merge_sort_block_sortIS3_PlS8_PS5_S9_ZN2at6native12_GLOBAL__N_124unique_dim_cuda_templateItEESt5tupleIJNSA_6TensorESF_SF_EERKSF_lbbbEUlllE_EE10hipError_tT0_T1_T2_T3_mRjT4_P12ihipStream_tbNS1_7vsmem_tEEUlT_E_NS1_11comp_targetILNS1_3genE5ELNS1_11target_archE942ELNS1_3gpuE9ELNS1_3repE0EEENS1_30default_config_static_selectorELNS0_4arch9wavefront6targetE1EEEvSM_,comdat
	.globl	_ZN7rocprim17ROCPRIM_400000_NS6detail17trampoline_kernelINS0_14default_configENS1_37merge_sort_block_sort_config_selectorIlNS0_10empty_typeEEEZNS1_21merge_sort_block_sortIS3_PlS8_PS5_S9_ZN2at6native12_GLOBAL__N_124unique_dim_cuda_templateItEESt5tupleIJNSA_6TensorESF_SF_EERKSF_lbbbEUlllE_EE10hipError_tT0_T1_T2_T3_mRjT4_P12ihipStream_tbNS1_7vsmem_tEEUlT_E_NS1_11comp_targetILNS1_3genE5ELNS1_11target_archE942ELNS1_3gpuE9ELNS1_3repE0EEENS1_30default_config_static_selectorELNS0_4arch9wavefront6targetE1EEEvSM_ ; -- Begin function _ZN7rocprim17ROCPRIM_400000_NS6detail17trampoline_kernelINS0_14default_configENS1_37merge_sort_block_sort_config_selectorIlNS0_10empty_typeEEEZNS1_21merge_sort_block_sortIS3_PlS8_PS5_S9_ZN2at6native12_GLOBAL__N_124unique_dim_cuda_templateItEESt5tupleIJNSA_6TensorESF_SF_EERKSF_lbbbEUlllE_EE10hipError_tT0_T1_T2_T3_mRjT4_P12ihipStream_tbNS1_7vsmem_tEEUlT_E_NS1_11comp_targetILNS1_3genE5ELNS1_11target_archE942ELNS1_3gpuE9ELNS1_3repE0EEENS1_30default_config_static_selectorELNS0_4arch9wavefront6targetE1EEEvSM_
	.p2align	8
	.type	_ZN7rocprim17ROCPRIM_400000_NS6detail17trampoline_kernelINS0_14default_configENS1_37merge_sort_block_sort_config_selectorIlNS0_10empty_typeEEEZNS1_21merge_sort_block_sortIS3_PlS8_PS5_S9_ZN2at6native12_GLOBAL__N_124unique_dim_cuda_templateItEESt5tupleIJNSA_6TensorESF_SF_EERKSF_lbbbEUlllE_EE10hipError_tT0_T1_T2_T3_mRjT4_P12ihipStream_tbNS1_7vsmem_tEEUlT_E_NS1_11comp_targetILNS1_3genE5ELNS1_11target_archE942ELNS1_3gpuE9ELNS1_3repE0EEENS1_30default_config_static_selectorELNS0_4arch9wavefront6targetE1EEEvSM_,@function
_ZN7rocprim17ROCPRIM_400000_NS6detail17trampoline_kernelINS0_14default_configENS1_37merge_sort_block_sort_config_selectorIlNS0_10empty_typeEEEZNS1_21merge_sort_block_sortIS3_PlS8_PS5_S9_ZN2at6native12_GLOBAL__N_124unique_dim_cuda_templateItEESt5tupleIJNSA_6TensorESF_SF_EERKSF_lbbbEUlllE_EE10hipError_tT0_T1_T2_T3_mRjT4_P12ihipStream_tbNS1_7vsmem_tEEUlT_E_NS1_11comp_targetILNS1_3genE5ELNS1_11target_archE942ELNS1_3gpuE9ELNS1_3repE0EEENS1_30default_config_static_selectorELNS0_4arch9wavefront6targetE1EEEvSM_: ; @_ZN7rocprim17ROCPRIM_400000_NS6detail17trampoline_kernelINS0_14default_configENS1_37merge_sort_block_sort_config_selectorIlNS0_10empty_typeEEEZNS1_21merge_sort_block_sortIS3_PlS8_PS5_S9_ZN2at6native12_GLOBAL__N_124unique_dim_cuda_templateItEESt5tupleIJNSA_6TensorESF_SF_EERKSF_lbbbEUlllE_EE10hipError_tT0_T1_T2_T3_mRjT4_P12ihipStream_tbNS1_7vsmem_tEEUlT_E_NS1_11comp_targetILNS1_3genE5ELNS1_11target_archE942ELNS1_3gpuE9ELNS1_3repE0EEENS1_30default_config_static_selectorELNS0_4arch9wavefront6targetE1EEEvSM_
; %bb.0:
	.section	.rodata,"a",@progbits
	.p2align	6, 0x0
	.amdhsa_kernel _ZN7rocprim17ROCPRIM_400000_NS6detail17trampoline_kernelINS0_14default_configENS1_37merge_sort_block_sort_config_selectorIlNS0_10empty_typeEEEZNS1_21merge_sort_block_sortIS3_PlS8_PS5_S9_ZN2at6native12_GLOBAL__N_124unique_dim_cuda_templateItEESt5tupleIJNSA_6TensorESF_SF_EERKSF_lbbbEUlllE_EE10hipError_tT0_T1_T2_T3_mRjT4_P12ihipStream_tbNS1_7vsmem_tEEUlT_E_NS1_11comp_targetILNS1_3genE5ELNS1_11target_archE942ELNS1_3gpuE9ELNS1_3repE0EEENS1_30default_config_static_selectorELNS0_4arch9wavefront6targetE1EEEvSM_
		.amdhsa_group_segment_fixed_size 0
		.amdhsa_private_segment_fixed_size 0
		.amdhsa_kernarg_size 72
		.amdhsa_user_sgpr_count 6
		.amdhsa_user_sgpr_private_segment_buffer 1
		.amdhsa_user_sgpr_dispatch_ptr 0
		.amdhsa_user_sgpr_queue_ptr 0
		.amdhsa_user_sgpr_kernarg_segment_ptr 1
		.amdhsa_user_sgpr_dispatch_id 0
		.amdhsa_user_sgpr_flat_scratch_init 0
		.amdhsa_user_sgpr_kernarg_preload_length 0
		.amdhsa_user_sgpr_kernarg_preload_offset 0
		.amdhsa_user_sgpr_private_segment_size 0
		.amdhsa_uses_dynamic_stack 0
		.amdhsa_system_sgpr_private_segment_wavefront_offset 0
		.amdhsa_system_sgpr_workgroup_id_x 1
		.amdhsa_system_sgpr_workgroup_id_y 0
		.amdhsa_system_sgpr_workgroup_id_z 0
		.amdhsa_system_sgpr_workgroup_info 0
		.amdhsa_system_vgpr_workitem_id 0
		.amdhsa_next_free_vgpr 1
		.amdhsa_next_free_sgpr 0
		.amdhsa_accum_offset 4
		.amdhsa_reserve_vcc 0
		.amdhsa_reserve_flat_scratch 0
		.amdhsa_float_round_mode_32 0
		.amdhsa_float_round_mode_16_64 0
		.amdhsa_float_denorm_mode_32 3
		.amdhsa_float_denorm_mode_16_64 3
		.amdhsa_dx10_clamp 1
		.amdhsa_ieee_mode 1
		.amdhsa_fp16_overflow 0
		.amdhsa_tg_split 0
		.amdhsa_exception_fp_ieee_invalid_op 0
		.amdhsa_exception_fp_denorm_src 0
		.amdhsa_exception_fp_ieee_div_zero 0
		.amdhsa_exception_fp_ieee_overflow 0
		.amdhsa_exception_fp_ieee_underflow 0
		.amdhsa_exception_fp_ieee_inexact 0
		.amdhsa_exception_int_div_zero 0
	.end_amdhsa_kernel
	.section	.text._ZN7rocprim17ROCPRIM_400000_NS6detail17trampoline_kernelINS0_14default_configENS1_37merge_sort_block_sort_config_selectorIlNS0_10empty_typeEEEZNS1_21merge_sort_block_sortIS3_PlS8_PS5_S9_ZN2at6native12_GLOBAL__N_124unique_dim_cuda_templateItEESt5tupleIJNSA_6TensorESF_SF_EERKSF_lbbbEUlllE_EE10hipError_tT0_T1_T2_T3_mRjT4_P12ihipStream_tbNS1_7vsmem_tEEUlT_E_NS1_11comp_targetILNS1_3genE5ELNS1_11target_archE942ELNS1_3gpuE9ELNS1_3repE0EEENS1_30default_config_static_selectorELNS0_4arch9wavefront6targetE1EEEvSM_,"axG",@progbits,_ZN7rocprim17ROCPRIM_400000_NS6detail17trampoline_kernelINS0_14default_configENS1_37merge_sort_block_sort_config_selectorIlNS0_10empty_typeEEEZNS1_21merge_sort_block_sortIS3_PlS8_PS5_S9_ZN2at6native12_GLOBAL__N_124unique_dim_cuda_templateItEESt5tupleIJNSA_6TensorESF_SF_EERKSF_lbbbEUlllE_EE10hipError_tT0_T1_T2_T3_mRjT4_P12ihipStream_tbNS1_7vsmem_tEEUlT_E_NS1_11comp_targetILNS1_3genE5ELNS1_11target_archE942ELNS1_3gpuE9ELNS1_3repE0EEENS1_30default_config_static_selectorELNS0_4arch9wavefront6targetE1EEEvSM_,comdat
.Lfunc_end1360:
	.size	_ZN7rocprim17ROCPRIM_400000_NS6detail17trampoline_kernelINS0_14default_configENS1_37merge_sort_block_sort_config_selectorIlNS0_10empty_typeEEEZNS1_21merge_sort_block_sortIS3_PlS8_PS5_S9_ZN2at6native12_GLOBAL__N_124unique_dim_cuda_templateItEESt5tupleIJNSA_6TensorESF_SF_EERKSF_lbbbEUlllE_EE10hipError_tT0_T1_T2_T3_mRjT4_P12ihipStream_tbNS1_7vsmem_tEEUlT_E_NS1_11comp_targetILNS1_3genE5ELNS1_11target_archE942ELNS1_3gpuE9ELNS1_3repE0EEENS1_30default_config_static_selectorELNS0_4arch9wavefront6targetE1EEEvSM_, .Lfunc_end1360-_ZN7rocprim17ROCPRIM_400000_NS6detail17trampoline_kernelINS0_14default_configENS1_37merge_sort_block_sort_config_selectorIlNS0_10empty_typeEEEZNS1_21merge_sort_block_sortIS3_PlS8_PS5_S9_ZN2at6native12_GLOBAL__N_124unique_dim_cuda_templateItEESt5tupleIJNSA_6TensorESF_SF_EERKSF_lbbbEUlllE_EE10hipError_tT0_T1_T2_T3_mRjT4_P12ihipStream_tbNS1_7vsmem_tEEUlT_E_NS1_11comp_targetILNS1_3genE5ELNS1_11target_archE942ELNS1_3gpuE9ELNS1_3repE0EEENS1_30default_config_static_selectorELNS0_4arch9wavefront6targetE1EEEvSM_
                                        ; -- End function
	.section	.AMDGPU.csdata,"",@progbits
; Kernel info:
; codeLenInByte = 0
; NumSgprs: 4
; NumVgprs: 0
; NumAgprs: 0
; TotalNumVgprs: 0
; ScratchSize: 0
; MemoryBound: 0
; FloatMode: 240
; IeeeMode: 1
; LDSByteSize: 0 bytes/workgroup (compile time only)
; SGPRBlocks: 0
; VGPRBlocks: 0
; NumSGPRsForWavesPerEU: 4
; NumVGPRsForWavesPerEU: 1
; AccumOffset: 4
; Occupancy: 8
; WaveLimiterHint : 0
; COMPUTE_PGM_RSRC2:SCRATCH_EN: 0
; COMPUTE_PGM_RSRC2:USER_SGPR: 6
; COMPUTE_PGM_RSRC2:TRAP_HANDLER: 0
; COMPUTE_PGM_RSRC2:TGID_X_EN: 1
; COMPUTE_PGM_RSRC2:TGID_Y_EN: 0
; COMPUTE_PGM_RSRC2:TGID_Z_EN: 0
; COMPUTE_PGM_RSRC2:TIDIG_COMP_CNT: 0
; COMPUTE_PGM_RSRC3_GFX90A:ACCUM_OFFSET: 0
; COMPUTE_PGM_RSRC3_GFX90A:TG_SPLIT: 0
	.section	.text._ZN7rocprim17ROCPRIM_400000_NS6detail17trampoline_kernelINS0_14default_configENS1_37merge_sort_block_sort_config_selectorIlNS0_10empty_typeEEEZNS1_21merge_sort_block_sortIS3_PlS8_PS5_S9_ZN2at6native12_GLOBAL__N_124unique_dim_cuda_templateItEESt5tupleIJNSA_6TensorESF_SF_EERKSF_lbbbEUlllE_EE10hipError_tT0_T1_T2_T3_mRjT4_P12ihipStream_tbNS1_7vsmem_tEEUlT_E_NS1_11comp_targetILNS1_3genE4ELNS1_11target_archE910ELNS1_3gpuE8ELNS1_3repE0EEENS1_30default_config_static_selectorELNS0_4arch9wavefront6targetE1EEEvSM_,"axG",@progbits,_ZN7rocprim17ROCPRIM_400000_NS6detail17trampoline_kernelINS0_14default_configENS1_37merge_sort_block_sort_config_selectorIlNS0_10empty_typeEEEZNS1_21merge_sort_block_sortIS3_PlS8_PS5_S9_ZN2at6native12_GLOBAL__N_124unique_dim_cuda_templateItEESt5tupleIJNSA_6TensorESF_SF_EERKSF_lbbbEUlllE_EE10hipError_tT0_T1_T2_T3_mRjT4_P12ihipStream_tbNS1_7vsmem_tEEUlT_E_NS1_11comp_targetILNS1_3genE4ELNS1_11target_archE910ELNS1_3gpuE8ELNS1_3repE0EEENS1_30default_config_static_selectorELNS0_4arch9wavefront6targetE1EEEvSM_,comdat
	.globl	_ZN7rocprim17ROCPRIM_400000_NS6detail17trampoline_kernelINS0_14default_configENS1_37merge_sort_block_sort_config_selectorIlNS0_10empty_typeEEEZNS1_21merge_sort_block_sortIS3_PlS8_PS5_S9_ZN2at6native12_GLOBAL__N_124unique_dim_cuda_templateItEESt5tupleIJNSA_6TensorESF_SF_EERKSF_lbbbEUlllE_EE10hipError_tT0_T1_T2_T3_mRjT4_P12ihipStream_tbNS1_7vsmem_tEEUlT_E_NS1_11comp_targetILNS1_3genE4ELNS1_11target_archE910ELNS1_3gpuE8ELNS1_3repE0EEENS1_30default_config_static_selectorELNS0_4arch9wavefront6targetE1EEEvSM_ ; -- Begin function _ZN7rocprim17ROCPRIM_400000_NS6detail17trampoline_kernelINS0_14default_configENS1_37merge_sort_block_sort_config_selectorIlNS0_10empty_typeEEEZNS1_21merge_sort_block_sortIS3_PlS8_PS5_S9_ZN2at6native12_GLOBAL__N_124unique_dim_cuda_templateItEESt5tupleIJNSA_6TensorESF_SF_EERKSF_lbbbEUlllE_EE10hipError_tT0_T1_T2_T3_mRjT4_P12ihipStream_tbNS1_7vsmem_tEEUlT_E_NS1_11comp_targetILNS1_3genE4ELNS1_11target_archE910ELNS1_3gpuE8ELNS1_3repE0EEENS1_30default_config_static_selectorELNS0_4arch9wavefront6targetE1EEEvSM_
	.p2align	8
	.type	_ZN7rocprim17ROCPRIM_400000_NS6detail17trampoline_kernelINS0_14default_configENS1_37merge_sort_block_sort_config_selectorIlNS0_10empty_typeEEEZNS1_21merge_sort_block_sortIS3_PlS8_PS5_S9_ZN2at6native12_GLOBAL__N_124unique_dim_cuda_templateItEESt5tupleIJNSA_6TensorESF_SF_EERKSF_lbbbEUlllE_EE10hipError_tT0_T1_T2_T3_mRjT4_P12ihipStream_tbNS1_7vsmem_tEEUlT_E_NS1_11comp_targetILNS1_3genE4ELNS1_11target_archE910ELNS1_3gpuE8ELNS1_3repE0EEENS1_30default_config_static_selectorELNS0_4arch9wavefront6targetE1EEEvSM_,@function
_ZN7rocprim17ROCPRIM_400000_NS6detail17trampoline_kernelINS0_14default_configENS1_37merge_sort_block_sort_config_selectorIlNS0_10empty_typeEEEZNS1_21merge_sort_block_sortIS3_PlS8_PS5_S9_ZN2at6native12_GLOBAL__N_124unique_dim_cuda_templateItEESt5tupleIJNSA_6TensorESF_SF_EERKSF_lbbbEUlllE_EE10hipError_tT0_T1_T2_T3_mRjT4_P12ihipStream_tbNS1_7vsmem_tEEUlT_E_NS1_11comp_targetILNS1_3genE4ELNS1_11target_archE910ELNS1_3gpuE8ELNS1_3repE0EEENS1_30default_config_static_selectorELNS0_4arch9wavefront6targetE1EEEvSM_: ; @_ZN7rocprim17ROCPRIM_400000_NS6detail17trampoline_kernelINS0_14default_configENS1_37merge_sort_block_sort_config_selectorIlNS0_10empty_typeEEEZNS1_21merge_sort_block_sortIS3_PlS8_PS5_S9_ZN2at6native12_GLOBAL__N_124unique_dim_cuda_templateItEESt5tupleIJNSA_6TensorESF_SF_EERKSF_lbbbEUlllE_EE10hipError_tT0_T1_T2_T3_mRjT4_P12ihipStream_tbNS1_7vsmem_tEEUlT_E_NS1_11comp_targetILNS1_3genE4ELNS1_11target_archE910ELNS1_3gpuE8ELNS1_3repE0EEENS1_30default_config_static_selectorELNS0_4arch9wavefront6targetE1EEEvSM_
; %bb.0:
	s_load_dwordx2 s[12:13], s[4:5], 0x48
	s_load_dword s0, s[4:5], 0x0
	s_add_u32 s10, s4, 0x48
	s_addc_u32 s11, s5, 0
	s_waitcnt lgkmcnt(0)
	s_mul_i32 s1, s13, s8
	s_add_i32 s1, s1, s7
	s_mul_i32 s1, s1, s12
	s_add_i32 s14, s1, s6
	s_cmp_ge_u32 s14, s0
	s_cbranch_scc1 .LBB1361_876
; %bb.1:
	s_load_dwordx2 s[22:23], s[4:5], 0x8
	s_load_dwordx4 s[0:3], s[4:5], 0x18
	s_load_dwordx4 s[16:19], s[4:5], 0x38
	s_mov_b32 s15, 0
	s_lshl_b64 s[4:5], s[14:15], 13
	s_waitcnt lgkmcnt(0)
	s_lshr_b64 s[24:25], s[22:23], 10
	s_add_u32 s8, s0, s4
	s_addc_u32 s9, s1, s5
	s_add_u32 s20, s2, s4
	s_addc_u32 s21, s3, s5
	v_and_b32_e32 v12, 0x3ff, v0
	s_cmp_lg_u64 s[24:25], s[14:15]
	v_bfe_u32 v28, v0, 10, 10
	v_bfe_u32 v29, v0, 20, 10
	v_lshlrev_b32_e32 v26, 3, v12
	v_lshrrev_b32_e32 v31, 2, v12
	v_lshlrev_b32_e32 v27, 2, v12
	v_lshrrev_b32_e32 v30, 3, v12
	v_cmp_gt_i64_e64 s[24:25], s[16:17], 0
	s_cbranch_scc0 .LBB1361_8
; %bb.2:
	v_mov_b32_e32 v0, s9
	v_add_co_u32_e32 v4, vcc, s8, v26
	v_addc_co_u32_e32 v5, vcc, 0, v0, vcc
	v_add_co_u32_e32 v4, vcc, 0x1000, v4
	v_addc_co_u32_e32 v5, vcc, 0, v5, vcc
	global_load_dwordx2 v[0:1], v26, s[8:9]
	global_load_dwordx2 v[2:3], v26, s[8:9] offset:2048
	global_load_dwordx2 v[6:7], v[4:5], off
	global_load_dwordx2 v[8:9], v[4:5], off offset:2048
	v_and_b32_e32 v4, 0xf8, v31
	v_add_u32_e32 v5, 0x100, v12
	v_add_u32_e32 v10, 0x200, v12
	;; [unrolled: 1-line block ×4, first 2 shown]
	v_lshrrev_b32_e32 v4, 2, v5
	v_lshrrev_b32_e32 v5, 2, v10
	;; [unrolled: 1-line block ×3, first 2 shown]
	v_add_lshl_u32 v33, v30, v27, 3
	v_and_b32_e32 v4, 0x1f8, v4
	v_and_b32_e32 v5, 0x1f8, v5
	;; [unrolled: 1-line block ×3, first 2 shown]
	v_add_u32_e32 v34, v4, v26
	v_add_u32_e32 v35, v5, v26
	;; [unrolled: 1-line block ×3, first 2 shown]
	v_mov_b32_e32 v13, 0
	s_waitcnt vmcnt(3)
	ds_write_b64 v32, v[0:1]
	s_waitcnt vmcnt(2)
	ds_write_b64 v34, v[2:3] offset:2048
	s_waitcnt vmcnt(1)
	ds_write_b64 v35, v[6:7] offset:4096
	;; [unrolled: 2-line block ×3, first 2 shown]
	s_waitcnt lgkmcnt(0)
	s_barrier
	ds_read2_b64 v[8:11], v33 offset1:1
	ds_read2_b64 v[4:7], v33 offset0:2 offset1:3
	s_waitcnt lgkmcnt(0)
	s_barrier
	s_load_dword s0, s[10:11], 0xc
	v_mov_b32_e32 v0, v8
	v_mov_b32_e32 v1, v9
	;; [unrolled: 1-line block ×4, first 2 shown]
	s_waitcnt lgkmcnt(0)
	s_lshr_b32 s2, s0, 16
	s_cmp_lt_u32 s6, s12
	s_cselect_b32 s0, 12, 18
	s_add_u32 s0, s10, s0
	s_addc_u32 s1, s11, 0
	global_load_ushort v14, v13, s[0:1]
	v_mad_u32_u24 v15, v29, s2, v28
	s_movk_i32 s0, 0x400
	s_waitcnt vmcnt(0)
	v_mul_lo_u32 v14, v15, v14
	v_add_lshl_u32 v37, v14, v12, 2
	v_cmp_gt_u32_e32 vcc, s0, v37
	s_and_saveexec_b64 s[26:27], vcc
	s_cbranch_execz .LBB1361_62
; %bb.3:
	v_cndmask_b32_e64 v14, 0, 1, s[24:25]
	v_cmp_ne_u32_e64 s[0:1], 1, v14
	s_andn2_b64 vcc, exec, s[24:25]
	s_cbranch_vccnz .LBB1361_14
; %bb.4:
	v_mul_lo_u32 v16, v11, s16
	v_mul_lo_u32 v17, v10, s17
	v_mad_u64_u32 v[14:15], s[2:3], v10, s16, 0
	v_add3_u32 v15, v15, v17, v16
	v_lshlrev_b64 v[14:15], 1, v[14:15]
	v_mov_b32_e32 v16, s19
	v_add_co_u32_e32 v14, vcc, s18, v14
	v_addc_co_u32_e32 v15, vcc, v16, v15, vcc
	v_mul_lo_u32 v18, v9, s16
	v_mul_lo_u32 v19, v8, s17
	v_mad_u64_u32 v[16:17], s[2:3], v8, s16, 0
	v_add3_u32 v17, v17, v19, v18
	v_lshlrev_b64 v[16:17], 1, v[16:17]
	v_mov_b32_e32 v18, s19
	v_add_co_u32_e32 v16, vcc, s18, v16
	v_addc_co_u32_e32 v17, vcc, v18, v17, vcc
	s_mov_b64 s[34:35], 0
	s_mov_b64 s[42:43], s[16:17]
                                        ; implicit-def: $sgpr28_sgpr29
                                        ; implicit-def: $sgpr30_sgpr31
                                        ; implicit-def: $sgpr38_sgpr39
                                        ; implicit-def: $sgpr36_sgpr37
                                        ; implicit-def: $sgpr40_sgpr41
                                        ; implicit-def: $sgpr44_sgpr45
	s_branch .LBB1361_6
.LBB1361_5:                             ;   in Loop: Header=BB1361_6 Depth=1
	s_or_b64 exec, exec, s[46:47]
	s_and_b64 s[4:5], exec, s[38:39]
	s_or_b64 s[34:35], s[4:5], s[34:35]
	s_andn2_b64 s[4:5], s[44:45], exec
	s_and_b64 s[44:45], s[40:41], exec
	s_or_b64 s[44:45], s[4:5], s[44:45]
	s_andn2_b64 s[4:5], s[30:31], exec
	s_and_b64 s[30:31], s[36:37], exec
	;; [unrolled: 3-line block ×3, first 2 shown]
	s_or_b64 s[28:29], s[4:5], s[2:3]
	s_andn2_b64 exec, exec, s[34:35]
	s_cbranch_execz .LBB1361_9
.LBB1361_6:                             ; =>This Inner Loop Header: Depth=1
	global_load_ushort v18, v[14:15], off
	global_load_ushort v19, v[16:17], off
	s_andn2_b64 s[40:41], s[40:41], exec
	s_or_b64 s[36:37], s[36:37], exec
	s_or_b64 s[38:39], s[38:39], exec
	s_waitcnt vmcnt(0)
	v_cmp_le_u16_e64 s[2:3], v18, v19
	v_cmp_lt_u16_e32 vcc, v18, v19
	s_and_b64 s[2:3], s[2:3], s[44:45]
	v_cmp_eq_u16_e64 s[4:5], v18, v19
	s_or_b64 s[2:3], vcc, s[2:3]
	s_and_saveexec_b64 s[46:47], s[4:5]
	s_cbranch_execz .LBB1361_5
; %bb.7:                                ;   in Loop: Header=BB1361_6 Depth=1
	s_add_u32 s42, s42, -1
	s_addc_u32 s43, s43, -1
	v_add_co_u32_e32 v14, vcc, 2, v14
	s_cmp_eq_u64 s[42:43], 0
	v_addc_co_u32_e32 v15, vcc, 0, v15, vcc
	s_cselect_b64 s[4:5], -1, 0
	v_add_co_u32_e32 v16, vcc, 2, v16
	s_andn2_b64 s[40:41], s[40:41], exec
	s_and_b64 s[44:45], s[2:3], exec
	s_andn2_b64 s[38:39], s[38:39], exec
	s_and_b64 s[4:5], s[4:5], exec
	v_addc_co_u32_e32 v17, vcc, 0, v17, vcc
	s_or_b64 s[40:41], s[40:41], s[44:45]
	s_andn2_b64 s[36:37], s[36:37], exec
	s_or_b64 s[38:39], s[38:39], s[4:5]
                                        ; implicit-def: $sgpr44_sgpr45
	s_branch .LBB1361_5
.LBB1361_8:
	s_mov_b64 s[24:25], 0
                                        ; implicit-def: $vgpr0_vgpr1
	s_cbranch_execnz .LBB1361_519
	s_branch .LBB1361_874
.LBB1361_9:
	s_or_b64 exec, exec, s[34:35]
	s_and_saveexec_b64 s[2:3], s[30:31]
	s_xor_b64 s[2:3], exec, s[2:3]
	s_cbranch_execz .LBB1361_13
; %bb.10:
	v_pk_mov_b32 v[14:15], v[10:11], v[10:11] op_sel:[0,1]
	s_and_saveexec_b64 s[4:5], s[28:29]
; %bb.11:
	v_mov_b32_e32 v0, v10
	v_mov_b32_e32 v1, v11
	;; [unrolled: 1-line block ×4, first 2 shown]
	v_pk_mov_b32 v[14:15], v[8:9], v[8:9] op_sel:[0,1]
	v_pk_mov_b32 v[8:9], v[10:11], v[10:11] op_sel:[0,1]
; %bb.12:
	s_or_b64 exec, exec, s[4:5]
	v_pk_mov_b32 v[10:11], v[14:15], v[14:15] op_sel:[0,1]
.LBB1361_13:
	s_or_b64 exec, exec, s[2:3]
.LBB1361_14:
	v_mul_lo_u32 v20, v5, s16
	v_mul_lo_u32 v21, v4, s17
	v_mad_u64_u32 v[18:19], s[2:3], v4, s16, 0
	v_mov_b32_e32 v16, v6
	v_mov_b32_e32 v17, v7
	;; [unrolled: 1-line block ×4, first 2 shown]
	s_and_b64 vcc, exec, s[0:1]
	v_add3_u32 v19, v19, v21, v20
	s_cbranch_vccnz .LBB1361_24
; %bb.15:
	v_mul_lo_u32 v22, v7, s16
	v_mul_lo_u32 v23, v6, s17
	v_mad_u64_u32 v[20:21], s[2:3], v6, s16, 0
	v_add3_u32 v21, v21, v23, v22
	v_lshlrev_b64 v[22:23], 1, v[20:21]
	v_mov_b32_e32 v24, s19
	v_add_co_u32_e32 v22, vcc, s18, v22
	v_addc_co_u32_e32 v23, vcc, v24, v23, vcc
	v_lshlrev_b64 v[24:25], 1, v[18:19]
	v_mov_b32_e32 v38, s19
	v_add_co_u32_e32 v24, vcc, s18, v24
	v_addc_co_u32_e32 v25, vcc, v38, v25, vcc
	s_mov_b64 s[34:35], 0
	s_mov_b64 s[42:43], s[16:17]
                                        ; implicit-def: $sgpr28_sgpr29
                                        ; implicit-def: $sgpr30_sgpr31
                                        ; implicit-def: $sgpr38_sgpr39
                                        ; implicit-def: $sgpr36_sgpr37
                                        ; implicit-def: $sgpr40_sgpr41
                                        ; implicit-def: $sgpr44_sgpr45
	s_branch .LBB1361_17
.LBB1361_16:                            ;   in Loop: Header=BB1361_17 Depth=1
	s_or_b64 exec, exec, s[46:47]
	s_and_b64 s[4:5], exec, s[38:39]
	s_or_b64 s[34:35], s[4:5], s[34:35]
	s_andn2_b64 s[4:5], s[44:45], exec
	s_and_b64 s[44:45], s[40:41], exec
	s_or_b64 s[44:45], s[4:5], s[44:45]
	s_andn2_b64 s[4:5], s[30:31], exec
	s_and_b64 s[30:31], s[36:37], exec
	;; [unrolled: 3-line block ×3, first 2 shown]
	s_or_b64 s[28:29], s[4:5], s[2:3]
	s_andn2_b64 exec, exec, s[34:35]
	s_cbranch_execz .LBB1361_19
.LBB1361_17:                            ; =>This Inner Loop Header: Depth=1
	global_load_ushort v38, v[22:23], off
	global_load_ushort v39, v[24:25], off
	s_andn2_b64 s[40:41], s[40:41], exec
	s_or_b64 s[36:37], s[36:37], exec
	s_or_b64 s[38:39], s[38:39], exec
	s_waitcnt vmcnt(0)
	v_cmp_le_u16_e64 s[2:3], v38, v39
	v_cmp_lt_u16_e32 vcc, v38, v39
	s_and_b64 s[2:3], s[2:3], s[44:45]
	v_cmp_eq_u16_e64 s[4:5], v38, v39
	s_or_b64 s[2:3], vcc, s[2:3]
	s_and_saveexec_b64 s[46:47], s[4:5]
	s_cbranch_execz .LBB1361_16
; %bb.18:                               ;   in Loop: Header=BB1361_17 Depth=1
	s_add_u32 s42, s42, -1
	s_addc_u32 s43, s43, -1
	v_add_co_u32_e32 v22, vcc, 2, v22
	s_cmp_eq_u64 s[42:43], 0
	v_addc_co_u32_e32 v23, vcc, 0, v23, vcc
	s_cselect_b64 s[4:5], -1, 0
	v_add_co_u32_e32 v24, vcc, 2, v24
	s_andn2_b64 s[40:41], s[40:41], exec
	s_and_b64 s[44:45], s[2:3], exec
	s_andn2_b64 s[38:39], s[38:39], exec
	s_and_b64 s[4:5], s[4:5], exec
	v_addc_co_u32_e32 v25, vcc, 0, v25, vcc
	s_or_b64 s[40:41], s[40:41], s[44:45]
	s_andn2_b64 s[36:37], s[36:37], exec
	s_or_b64 s[38:39], s[38:39], s[4:5]
                                        ; implicit-def: $sgpr44_sgpr45
	s_branch .LBB1361_16
.LBB1361_19:
	s_or_b64 exec, exec, s[34:35]
	s_and_saveexec_b64 s[2:3], s[30:31]
	s_xor_b64 s[2:3], exec, s[2:3]
	s_cbranch_execz .LBB1361_23
; %bb.20:
	s_and_saveexec_b64 s[4:5], s[28:29]
	s_cbranch_execz .LBB1361_22
; %bb.21:
	v_mov_b32_e32 v38, v0
	v_mov_b32_e32 v39, v1
	;; [unrolled: 1-line block ×8, first 2 shown]
	v_pk_mov_b32 v[22:23], v[16:17], v[16:17] op_sel:[0,1]
	v_pk_mov_b32 v[0:1], v[38:39], v[38:39] op_sel:[0,1]
	;; [unrolled: 1-line block ×8, first 2 shown]
.LBB1361_22:
	s_or_b64 exec, exec, s[4:5]
.LBB1361_23:
	s_or_b64 exec, exec, s[2:3]
.LBB1361_24:
	v_mul_lo_u32 v22, v11, s16
	v_mul_lo_u32 v23, v10, s17
	v_mad_u64_u32 v[20:21], s[2:3], v10, s16, 0
	s_and_b64 vcc, exec, s[0:1]
	v_add3_u32 v21, v21, v23, v22
	s_cbranch_vccnz .LBB1361_34
; %bb.25:
	v_lshlrev_b64 v[22:23], 1, v[18:19]
	v_mov_b32_e32 v24, s19
	v_add_co_u32_e32 v22, vcc, s18, v22
	v_addc_co_u32_e32 v23, vcc, v24, v23, vcc
	v_lshlrev_b64 v[24:25], 1, v[20:21]
	v_mov_b32_e32 v38, s19
	v_add_co_u32_e32 v24, vcc, s18, v24
	v_addc_co_u32_e32 v25, vcc, v38, v25, vcc
	s_mov_b64 s[34:35], 0
	s_mov_b64 s[42:43], s[16:17]
                                        ; implicit-def: $sgpr28_sgpr29
                                        ; implicit-def: $sgpr30_sgpr31
                                        ; implicit-def: $sgpr38_sgpr39
                                        ; implicit-def: $sgpr36_sgpr37
                                        ; implicit-def: $sgpr40_sgpr41
                                        ; implicit-def: $sgpr44_sgpr45
	s_branch .LBB1361_27
.LBB1361_26:                            ;   in Loop: Header=BB1361_27 Depth=1
	s_or_b64 exec, exec, s[46:47]
	s_and_b64 s[4:5], exec, s[38:39]
	s_or_b64 s[34:35], s[4:5], s[34:35]
	s_andn2_b64 s[4:5], s[44:45], exec
	s_and_b64 s[44:45], s[40:41], exec
	s_or_b64 s[44:45], s[4:5], s[44:45]
	s_andn2_b64 s[4:5], s[30:31], exec
	s_and_b64 s[30:31], s[36:37], exec
	;; [unrolled: 3-line block ×3, first 2 shown]
	s_or_b64 s[28:29], s[4:5], s[2:3]
	s_andn2_b64 exec, exec, s[34:35]
	s_cbranch_execz .LBB1361_29
.LBB1361_27:                            ; =>This Inner Loop Header: Depth=1
	global_load_ushort v38, v[22:23], off
	global_load_ushort v39, v[24:25], off
	s_andn2_b64 s[40:41], s[40:41], exec
	s_or_b64 s[36:37], s[36:37], exec
	s_or_b64 s[38:39], s[38:39], exec
	s_waitcnt vmcnt(0)
	v_cmp_le_u16_e64 s[2:3], v38, v39
	v_cmp_lt_u16_e32 vcc, v38, v39
	s_and_b64 s[2:3], s[2:3], s[44:45]
	v_cmp_eq_u16_e64 s[4:5], v38, v39
	s_or_b64 s[2:3], vcc, s[2:3]
	s_and_saveexec_b64 s[46:47], s[4:5]
	s_cbranch_execz .LBB1361_26
; %bb.28:                               ;   in Loop: Header=BB1361_27 Depth=1
	s_add_u32 s42, s42, -1
	s_addc_u32 s43, s43, -1
	v_add_co_u32_e32 v22, vcc, 2, v22
	s_cmp_eq_u64 s[42:43], 0
	v_addc_co_u32_e32 v23, vcc, 0, v23, vcc
	s_cselect_b64 s[4:5], -1, 0
	v_add_co_u32_e32 v24, vcc, 2, v24
	s_andn2_b64 s[40:41], s[40:41], exec
	s_and_b64 s[44:45], s[2:3], exec
	s_andn2_b64 s[38:39], s[38:39], exec
	s_and_b64 s[4:5], s[4:5], exec
	v_addc_co_u32_e32 v25, vcc, 0, v25, vcc
	s_or_b64 s[40:41], s[40:41], s[44:45]
	s_andn2_b64 s[36:37], s[36:37], exec
	s_or_b64 s[38:39], s[38:39], s[4:5]
                                        ; implicit-def: $sgpr44_sgpr45
	s_branch .LBB1361_26
.LBB1361_29:
	s_or_b64 exec, exec, s[34:35]
	s_and_saveexec_b64 s[2:3], s[30:31]
	s_xor_b64 s[2:3], exec, s[2:3]
	s_cbranch_execz .LBB1361_33
; %bb.30:
	v_pk_mov_b32 v[22:23], v[10:11], v[10:11] op_sel:[0,1]
	s_and_saveexec_b64 s[4:5], s[28:29]
; %bb.31:
	v_mov_b32_e32 v2, v14
	v_mov_b32_e32 v3, v15
	;; [unrolled: 1-line block ×4, first 2 shown]
	v_pk_mov_b32 v[22:23], v[14:15], v[14:15] op_sel:[0,1]
	v_pk_mov_b32 v[14:15], v[10:11], v[10:11] op_sel:[0,1]
	;; [unrolled: 1-line block ×3, first 2 shown]
; %bb.32:
	s_or_b64 exec, exec, s[4:5]
	v_pk_mov_b32 v[10:11], v[22:23], v[22:23] op_sel:[0,1]
.LBB1361_33:
	s_or_b64 exec, exec, s[2:3]
.LBB1361_34:
	s_and_b64 vcc, exec, s[0:1]
	s_cbranch_vccnz .LBB1361_44
; %bb.35:
	v_lshlrev_b64 v[18:19], 1, v[20:21]
	v_mov_b32_e32 v20, s19
	v_add_co_u32_e32 v18, vcc, s18, v18
	v_addc_co_u32_e32 v19, vcc, v20, v19, vcc
	v_mul_lo_u32 v22, v9, s16
	v_mul_lo_u32 v23, v8, s17
	v_mad_u64_u32 v[20:21], s[2:3], v8, s16, 0
	v_add3_u32 v21, v21, v23, v22
	v_lshlrev_b64 v[20:21], 1, v[20:21]
	v_mov_b32_e32 v22, s19
	v_add_co_u32_e32 v20, vcc, s18, v20
	v_addc_co_u32_e32 v21, vcc, v22, v21, vcc
	s_mov_b64 s[34:35], 0
	s_mov_b64 s[42:43], s[16:17]
                                        ; implicit-def: $sgpr28_sgpr29
                                        ; implicit-def: $sgpr30_sgpr31
                                        ; implicit-def: $sgpr38_sgpr39
                                        ; implicit-def: $sgpr36_sgpr37
                                        ; implicit-def: $sgpr40_sgpr41
                                        ; implicit-def: $sgpr44_sgpr45
	s_branch .LBB1361_37
.LBB1361_36:                            ;   in Loop: Header=BB1361_37 Depth=1
	s_or_b64 exec, exec, s[46:47]
	s_and_b64 s[4:5], exec, s[38:39]
	s_or_b64 s[34:35], s[4:5], s[34:35]
	s_andn2_b64 s[4:5], s[44:45], exec
	s_and_b64 s[44:45], s[40:41], exec
	s_or_b64 s[44:45], s[4:5], s[44:45]
	s_andn2_b64 s[4:5], s[30:31], exec
	s_and_b64 s[30:31], s[36:37], exec
	;; [unrolled: 3-line block ×3, first 2 shown]
	s_or_b64 s[28:29], s[4:5], s[2:3]
	s_andn2_b64 exec, exec, s[34:35]
	s_cbranch_execz .LBB1361_39
.LBB1361_37:                            ; =>This Inner Loop Header: Depth=1
	global_load_ushort v22, v[18:19], off
	global_load_ushort v23, v[20:21], off
	s_andn2_b64 s[40:41], s[40:41], exec
	s_or_b64 s[36:37], s[36:37], exec
	s_or_b64 s[38:39], s[38:39], exec
	s_waitcnt vmcnt(0)
	v_cmp_le_u16_e64 s[2:3], v22, v23
	v_cmp_lt_u16_e32 vcc, v22, v23
	s_and_b64 s[2:3], s[2:3], s[44:45]
	v_cmp_eq_u16_e64 s[4:5], v22, v23
	s_or_b64 s[2:3], vcc, s[2:3]
	s_and_saveexec_b64 s[46:47], s[4:5]
	s_cbranch_execz .LBB1361_36
; %bb.38:                               ;   in Loop: Header=BB1361_37 Depth=1
	s_add_u32 s42, s42, -1
	s_addc_u32 s43, s43, -1
	v_add_co_u32_e32 v18, vcc, 2, v18
	s_cmp_eq_u64 s[42:43], 0
	v_addc_co_u32_e32 v19, vcc, 0, v19, vcc
	s_cselect_b64 s[4:5], -1, 0
	v_add_co_u32_e32 v20, vcc, 2, v20
	s_andn2_b64 s[40:41], s[40:41], exec
	s_and_b64 s[44:45], s[2:3], exec
	s_andn2_b64 s[38:39], s[38:39], exec
	s_and_b64 s[4:5], s[4:5], exec
	v_addc_co_u32_e32 v21, vcc, 0, v21, vcc
	s_or_b64 s[40:41], s[40:41], s[44:45]
	s_andn2_b64 s[36:37], s[36:37], exec
	s_or_b64 s[38:39], s[38:39], s[4:5]
                                        ; implicit-def: $sgpr44_sgpr45
	s_branch .LBB1361_36
.LBB1361_39:
	s_or_b64 exec, exec, s[34:35]
	s_and_saveexec_b64 s[2:3], s[30:31]
	s_xor_b64 s[2:3], exec, s[2:3]
	s_cbranch_execz .LBB1361_43
; %bb.40:
	v_pk_mov_b32 v[18:19], v[10:11], v[10:11] op_sel:[0,1]
	s_and_saveexec_b64 s[4:5], s[28:29]
; %bb.41:
	v_mov_b32_e32 v0, v10
	v_mov_b32_e32 v1, v11
	;; [unrolled: 1-line block ×4, first 2 shown]
	v_pk_mov_b32 v[18:19], v[8:9], v[8:9] op_sel:[0,1]
	v_pk_mov_b32 v[8:9], v[10:11], v[10:11] op_sel:[0,1]
; %bb.42:
	s_or_b64 exec, exec, s[4:5]
	v_pk_mov_b32 v[10:11], v[18:19], v[18:19] op_sel:[0,1]
.LBB1361_43:
	s_or_b64 exec, exec, s[2:3]
.LBB1361_44:
	v_mul_lo_u32 v20, v15, s16
	v_mul_lo_u32 v21, v14, s17
	v_mad_u64_u32 v[18:19], s[2:3], v14, s16, 0
	s_and_b64 vcc, exec, s[0:1]
	v_add3_u32 v19, v19, v21, v20
	s_cbranch_vccnz .LBB1361_54
; %bb.45:
	v_mul_lo_u32 v22, v17, s16
	v_mul_lo_u32 v23, v16, s17
	v_mad_u64_u32 v[20:21], s[2:3], v16, s16, 0
	v_add3_u32 v21, v21, v23, v22
	v_lshlrev_b64 v[22:23], 1, v[20:21]
	v_mov_b32_e32 v24, s19
	v_add_co_u32_e32 v22, vcc, s18, v22
	v_addc_co_u32_e32 v23, vcc, v24, v23, vcc
	v_lshlrev_b64 v[24:25], 1, v[18:19]
	v_mov_b32_e32 v38, s19
	v_add_co_u32_e32 v24, vcc, s18, v24
	v_addc_co_u32_e32 v25, vcc, v38, v25, vcc
	s_mov_b64 s[34:35], 0
	s_mov_b64 s[42:43], s[16:17]
                                        ; implicit-def: $sgpr28_sgpr29
                                        ; implicit-def: $sgpr30_sgpr31
                                        ; implicit-def: $sgpr38_sgpr39
                                        ; implicit-def: $sgpr36_sgpr37
                                        ; implicit-def: $sgpr40_sgpr41
                                        ; implicit-def: $sgpr44_sgpr45
	s_branch .LBB1361_47
.LBB1361_46:                            ;   in Loop: Header=BB1361_47 Depth=1
	s_or_b64 exec, exec, s[46:47]
	s_and_b64 s[4:5], exec, s[38:39]
	s_or_b64 s[34:35], s[4:5], s[34:35]
	s_andn2_b64 s[4:5], s[44:45], exec
	s_and_b64 s[44:45], s[40:41], exec
	s_or_b64 s[44:45], s[4:5], s[44:45]
	s_andn2_b64 s[4:5], s[30:31], exec
	s_and_b64 s[30:31], s[36:37], exec
	;; [unrolled: 3-line block ×3, first 2 shown]
	s_or_b64 s[28:29], s[4:5], s[2:3]
	s_andn2_b64 exec, exec, s[34:35]
	s_cbranch_execz .LBB1361_49
.LBB1361_47:                            ; =>This Inner Loop Header: Depth=1
	global_load_ushort v38, v[22:23], off
	global_load_ushort v39, v[24:25], off
	s_andn2_b64 s[40:41], s[40:41], exec
	s_or_b64 s[36:37], s[36:37], exec
	s_or_b64 s[38:39], s[38:39], exec
	s_waitcnt vmcnt(0)
	v_cmp_le_u16_e64 s[2:3], v38, v39
	v_cmp_lt_u16_e32 vcc, v38, v39
	s_and_b64 s[2:3], s[2:3], s[44:45]
	v_cmp_eq_u16_e64 s[4:5], v38, v39
	s_or_b64 s[2:3], vcc, s[2:3]
	s_and_saveexec_b64 s[46:47], s[4:5]
	s_cbranch_execz .LBB1361_46
; %bb.48:                               ;   in Loop: Header=BB1361_47 Depth=1
	s_add_u32 s42, s42, -1
	s_addc_u32 s43, s43, -1
	v_add_co_u32_e32 v22, vcc, 2, v22
	s_cmp_eq_u64 s[42:43], 0
	v_addc_co_u32_e32 v23, vcc, 0, v23, vcc
	s_cselect_b64 s[4:5], -1, 0
	v_add_co_u32_e32 v24, vcc, 2, v24
	s_andn2_b64 s[40:41], s[40:41], exec
	s_and_b64 s[44:45], s[2:3], exec
	s_andn2_b64 s[38:39], s[38:39], exec
	s_and_b64 s[4:5], s[4:5], exec
	v_addc_co_u32_e32 v25, vcc, 0, v25, vcc
	s_or_b64 s[40:41], s[40:41], s[44:45]
	s_andn2_b64 s[36:37], s[36:37], exec
	s_or_b64 s[38:39], s[38:39], s[4:5]
                                        ; implicit-def: $sgpr44_sgpr45
	s_branch .LBB1361_46
.LBB1361_49:
	s_or_b64 exec, exec, s[34:35]
	s_and_saveexec_b64 s[2:3], s[30:31]
	s_xor_b64 s[2:3], exec, s[2:3]
	s_cbranch_execz .LBB1361_53
; %bb.50:
	s_and_saveexec_b64 s[4:5], s[28:29]
; %bb.51:
	v_mov_b32_e32 v4, v16
	v_mov_b32_e32 v5, v17
	;; [unrolled: 1-line block ×4, first 2 shown]
	v_pk_mov_b32 v[14:15], v[16:17], v[16:17] op_sel:[0,1]
	v_pk_mov_b32 v[18:19], v[20:21], v[20:21] op_sel:[0,1]
; %bb.52:
	s_or_b64 exec, exec, s[4:5]
.LBB1361_53:
	s_or_b64 exec, exec, s[2:3]
.LBB1361_54:
	s_and_b64 vcc, exec, s[0:1]
	s_cbranch_vccnz .LBB1361_62
; %bb.55:
	v_lshlrev_b64 v[16:17], 1, v[18:19]
	v_mov_b32_e32 v18, s19
	v_add_co_u32_e32 v16, vcc, s18, v16
	v_addc_co_u32_e32 v17, vcc, v18, v17, vcc
	v_mul_lo_u32 v20, v11, s16
	v_mul_lo_u32 v21, v10, s17
	v_mad_u64_u32 v[18:19], s[0:1], v10, s16, 0
	v_add3_u32 v19, v19, v21, v20
	v_lshlrev_b64 v[18:19], 1, v[18:19]
	v_mov_b32_e32 v20, s19
	v_add_co_u32_e32 v18, vcc, s18, v18
	v_addc_co_u32_e32 v19, vcc, v20, v19, vcc
	s_mov_b64 s[28:29], 0
	s_mov_b64 s[40:41], s[16:17]
                                        ; implicit-def: $sgpr4_sgpr5
                                        ; implicit-def: $sgpr30_sgpr31
                                        ; implicit-def: $sgpr36_sgpr37
                                        ; implicit-def: $sgpr34_sgpr35
                                        ; implicit-def: $sgpr38_sgpr39
                                        ; implicit-def: $sgpr42_sgpr43
	s_branch .LBB1361_57
.LBB1361_56:                            ;   in Loop: Header=BB1361_57 Depth=1
	s_or_b64 exec, exec, s[44:45]
	s_and_b64 s[2:3], exec, s[36:37]
	s_or_b64 s[28:29], s[2:3], s[28:29]
	s_andn2_b64 s[2:3], s[42:43], exec
	s_and_b64 s[42:43], s[38:39], exec
	s_or_b64 s[42:43], s[2:3], s[42:43]
	s_andn2_b64 s[2:3], s[30:31], exec
	s_and_b64 s[30:31], s[34:35], exec
	;; [unrolled: 3-line block ×3, first 2 shown]
	s_or_b64 s[4:5], s[2:3], s[0:1]
	s_andn2_b64 exec, exec, s[28:29]
	s_cbranch_execz .LBB1361_59
.LBB1361_57:                            ; =>This Inner Loop Header: Depth=1
	global_load_ushort v20, v[16:17], off
	global_load_ushort v21, v[18:19], off
	s_andn2_b64 s[38:39], s[38:39], exec
	s_or_b64 s[34:35], s[34:35], exec
	s_or_b64 s[36:37], s[36:37], exec
	s_waitcnt vmcnt(0)
	v_cmp_le_u16_e64 s[0:1], v20, v21
	v_cmp_lt_u16_e32 vcc, v20, v21
	s_and_b64 s[0:1], s[0:1], s[42:43]
	v_cmp_eq_u16_e64 s[2:3], v20, v21
	s_or_b64 s[0:1], vcc, s[0:1]
	s_and_saveexec_b64 s[44:45], s[2:3]
	s_cbranch_execz .LBB1361_56
; %bb.58:                               ;   in Loop: Header=BB1361_57 Depth=1
	s_add_u32 s40, s40, -1
	s_addc_u32 s41, s41, -1
	v_add_co_u32_e32 v16, vcc, 2, v16
	s_cmp_eq_u64 s[40:41], 0
	v_addc_co_u32_e32 v17, vcc, 0, v17, vcc
	s_cselect_b64 s[2:3], -1, 0
	v_add_co_u32_e32 v18, vcc, 2, v18
	s_andn2_b64 s[38:39], s[38:39], exec
	s_and_b64 s[42:43], s[0:1], exec
	s_andn2_b64 s[36:37], s[36:37], exec
	s_and_b64 s[2:3], s[2:3], exec
	v_addc_co_u32_e32 v19, vcc, 0, v19, vcc
	s_or_b64 s[38:39], s[38:39], s[42:43]
	s_andn2_b64 s[34:35], s[34:35], exec
	s_or_b64 s[36:37], s[36:37], s[2:3]
                                        ; implicit-def: $sgpr42_sgpr43
	s_branch .LBB1361_56
.LBB1361_59:
	s_or_b64 exec, exec, s[28:29]
	s_and_saveexec_b64 s[0:1], s[30:31]
	s_xor_b64 s[0:1], exec, s[0:1]
; %bb.60:
	v_cndmask_b32_e64 v5, v5, v11, s[4:5]
	v_cndmask_b32_e64 v4, v4, v10, s[4:5]
	;; [unrolled: 1-line block ×4, first 2 shown]
; %bb.61:
	s_or_b64 exec, exec, s[0:1]
.LBB1361_62:
	s_or_b64 exec, exec, s[26:27]
	v_mbcnt_lo_u32_b32 v10, -1, 0
	v_and_b32_e32 v11, 0xffffff00, v37
	v_mbcnt_hi_u32_b32 v10, -1, v10
	s_movk_i32 s0, 0x400
	v_lshlrev_b32_e32 v16, 3, v11
	v_sub_u32_e64 v17, s0, v11 clamp
	v_lshlrev_b32_e32 v18, 2, v10
	v_lshl_add_u32 v19, v10, 5, v16
	v_mov_b32_e32 v10, v2
	v_mov_b32_e32 v11, v3
	ds_write_b128 v19, v[8:11]
	ds_write_b128 v19, v[4:7] offset:16
	v_or_b32_e32 v8, 4, v18
	v_min_u32_e32 v14, v17, v8
	v_add_u32_e32 v8, 4, v14
	v_and_b32_e32 v22, 0x1f8, v18
	v_min_u32_e32 v15, v17, v8
	v_and_b32_e32 v8, 4, v18
	v_min_u32_e32 v23, v17, v8
	v_sub_u32_e32 v8, v14, v22
	v_sub_u32_e32 v9, v15, v14
	v_sub_u32_e64 v21, v23, v9 clamp
	v_min_u32_e32 v24, v23, v8
	v_lshl_add_u32 v20, v22, 3, v16
	v_cmp_lt_u32_e32 vcc, v21, v24
	; wave barrier
	s_and_saveexec_b64 s[26:27], vcc
	s_cbranch_execz .LBB1361_72
; %bb.63:
	v_lshlrev_b32_e32 v8, 3, v14
	v_lshlrev_b32_e32 v9, 3, v23
	v_add3_u32 v25, v16, v8, v9
	v_cndmask_b32_e64 v8, 0, 1, s[24:25]
	s_lshl_b64 s[30:31], s[16:17], 1
	s_mov_b64 s[28:29], 0
	v_cmp_ne_u32_e64 s[0:1], 1, v8
	s_branch .LBB1361_66
.LBB1361_64:                            ;   in Loop: Header=BB1361_66 Depth=1
	s_or_b64 exec, exec, s[36:37]
.LBB1361_65:                            ;   in Loop: Header=BB1361_66 Depth=1
	v_add_u32_e32 v8, 1, v37
	v_cndmask_b32_e64 v24, v24, v37, s[34:35]
	v_cndmask_b32_e64 v21, v8, v21, s[34:35]
	v_cmp_ge_u32_e32 vcc, v21, v24
	s_or_b64 s[28:29], vcc, s[28:29]
	s_andn2_b64 exec, exec, s[28:29]
	s_cbranch_execz .LBB1361_71
.LBB1361_66:                            ; =>This Loop Header: Depth=1
                                        ;     Child Loop BB1361_69 Depth 2
	v_add_u32_e32 v8, v24, v21
	v_lshrrev_b32_e32 v37, 1, v8
	s_and_b64 vcc, exec, s[0:1]
	s_mov_b64 s[34:35], 0
	s_cbranch_vccnz .LBB1361_65
; %bb.67:                               ;   in Loop: Header=BB1361_66 Depth=1
	v_not_b32_e32 v8, v37
	v_lshl_add_u32 v8, v8, 3, v25
	ds_read_b64 v[8:9], v8
	v_lshl_add_u32 v38, v37, 3, v20
	ds_read_b64 v[38:39], v38
	v_pk_mov_b32 v[10:11], s[18:19], s[18:19] op_sel:[0,1]
	s_mov_b64 s[36:37], 0
	s_waitcnt lgkmcnt(1)
	v_mul_lo_u32 v40, s30, v9
	v_mul_lo_u32 v41, s31, v8
	v_mad_u64_u32 v[8:9], s[2:3], s30, v8, v[10:11]
	v_add3_u32 v9, v41, v9, v40
	s_waitcnt lgkmcnt(0)
	v_mul_lo_u32 v39, s30, v39
	v_mul_lo_u32 v40, s31, v38
	v_mad_u64_u32 v[10:11], s[2:3], s30, v38, v[10:11]
	v_add3_u32 v11, v40, v11, v39
	s_mov_b64 s[42:43], s[16:17]
                                        ; implicit-def: $sgpr34_sgpr35
                                        ; implicit-def: $sgpr38_sgpr39
                                        ; implicit-def: $sgpr40_sgpr41
                                        ; implicit-def: $sgpr2_sgpr3
                                        ; implicit-def: $sgpr44_sgpr45
	s_branch .LBB1361_69
.LBB1361_68:                            ;   in Loop: Header=BB1361_69 Depth=2
	s_or_b64 exec, exec, s[46:47]
	s_and_b64 s[4:5], exec, s[38:39]
	s_or_b64 s[36:37], s[4:5], s[36:37]
	s_andn2_b64 s[4:5], s[44:45], exec
	s_and_b64 s[44:45], s[40:41], exec
	s_or_b64 s[44:45], s[4:5], s[44:45]
	s_andn2_b64 s[4:5], s[34:35], exec
	s_and_b64 s[34:35], s[2:3], exec
	s_or_b64 s[34:35], s[4:5], s[34:35]
	s_andn2_b64 exec, exec, s[36:37]
	s_cbranch_execz .LBB1361_64
.LBB1361_69:                            ;   Parent Loop BB1361_66 Depth=1
                                        ; =>  This Inner Loop Header: Depth=2
	global_load_ushort v38, v[8:9], off
	global_load_ushort v39, v[10:11], off
	s_andn2_b64 s[46:47], s[2:3], exec
	s_andn2_b64 s[40:41], s[40:41], exec
	s_or_b64 s[38:39], s[38:39], exec
	s_waitcnt vmcnt(0)
	v_cmp_le_u16_e64 s[2:3], v38, v39
	v_cmp_lt_u16_e32 vcc, v38, v39
	s_and_b64 s[2:3], s[2:3], s[44:45]
	s_or_b64 s[48:49], vcc, s[2:3]
	s_and_b64 s[2:3], s[48:49], exec
	v_cmp_eq_u16_e64 s[4:5], v38, v39
	s_or_b64 s[2:3], s[46:47], s[2:3]
	s_and_saveexec_b64 s[46:47], s[4:5]
	s_cbranch_execz .LBB1361_68
; %bb.70:                               ;   in Loop: Header=BB1361_69 Depth=2
	s_add_u32 s42, s42, -1
	s_addc_u32 s43, s43, -1
	v_add_co_u32_e32 v8, vcc, 2, v8
	s_cmp_eq_u64 s[42:43], 0
	v_addc_co_u32_e32 v9, vcc, 0, v9, vcc
	s_cselect_b64 s[4:5], -1, 0
	v_add_co_u32_e32 v10, vcc, 2, v10
	s_andn2_b64 s[40:41], s[40:41], exec
	s_and_b64 s[44:45], s[48:49], exec
	s_andn2_b64 s[38:39], s[38:39], exec
	s_and_b64 s[4:5], s[4:5], exec
	v_addc_co_u32_e32 v11, vcc, 0, v11, vcc
	s_andn2_b64 s[2:3], s[2:3], exec
	s_or_b64 s[40:41], s[40:41], s[44:45]
	s_or_b64 s[38:39], s[38:39], s[4:5]
                                        ; implicit-def: $sgpr44_sgpr45
	s_branch .LBB1361_68
.LBB1361_71:
	s_or_b64 exec, exec, s[28:29]
.LBB1361_72:
	s_or_b64 exec, exec, s[26:27]
	v_add_u32_e32 v9, v14, v23
	v_add_u32_e32 v8, v21, v22
	v_sub_u32_e32 v9, v9, v21
	v_cmp_le_u32_e32 vcc, v8, v14
	v_cmp_le_u32_e64 s[0:1], v9, v15
	s_or_b64 s[0:1], vcc, s[0:1]
	s_and_saveexec_b64 s[4:5], s[0:1]
	s_cbranch_execz .LBB1361_119
; %bb.73:
	v_cmp_ge_u32_e32 vcc, v8, v14
	v_cmp_lt_u32_e64 s[0:1], v8, v14
                                        ; implicit-def: $vgpr0_vgpr1
	s_and_saveexec_b64 s[2:3], s[0:1]
	s_cbranch_execz .LBB1361_75
; %bb.74:
	v_lshl_add_u32 v0, v21, 3, v20
	ds_read_b64 v[0:1], v0
.LBB1361_75:
	s_or_b64 exec, exec, s[2:3]
	v_cmp_ge_u32_e64 s[26:27], v9, v15
	v_cmp_lt_u32_e64 s[0:1], v9, v15
                                        ; implicit-def: $vgpr2_vgpr3
	s_and_saveexec_b64 s[2:3], s[0:1]
	s_cbranch_execz .LBB1361_77
; %bb.76:
	v_lshl_add_u32 v2, v9, 3, v16
	ds_read_b64 v[2:3], v2
.LBB1361_77:
	s_or_b64 exec, exec, s[2:3]
	s_or_b64 s[0:1], vcc, s[26:27]
	s_mov_b64 s[28:29], -1
	s_xor_b64 s[0:1], s[0:1], -1
	s_and_saveexec_b64 s[30:31], s[0:1]
	s_cbranch_execz .LBB1361_86
; %bb.78:
	s_andn2_b64 vcc, exec, s[24:25]
	s_cbranch_vccnz .LBB1361_84
; %bb.79:
	s_waitcnt lgkmcnt(0)
	v_mul_lo_u32 v6, v3, s16
	v_mul_lo_u32 v7, v2, s17
	v_mad_u64_u32 v[4:5], s[0:1], v2, s16, 0
	v_add3_u32 v5, v5, v7, v6
	v_lshlrev_b64 v[4:5], 1, v[4:5]
	v_mov_b32_e32 v6, s19
	v_add_co_u32_e32 v4, vcc, s18, v4
	v_addc_co_u32_e32 v5, vcc, v6, v5, vcc
	v_mul_lo_u32 v10, v1, s16
	v_mul_lo_u32 v11, v0, s17
	v_mad_u64_u32 v[6:7], s[0:1], v0, s16, 0
	v_add3_u32 v7, v7, v11, v10
	v_lshlrev_b64 v[6:7], 1, v[6:7]
	v_mov_b32_e32 v10, s19
	v_add_co_u32_e32 v6, vcc, s18, v6
	v_addc_co_u32_e32 v7, vcc, v10, v7, vcc
	s_mov_b64 s[34:35], 0
	s_mov_b64 s[42:43], s[16:17]
                                        ; implicit-def: $sgpr36_sgpr37
                                        ; implicit-def: $sgpr38_sgpr39
                                        ; implicit-def: $sgpr0_sgpr1
                                        ; implicit-def: $sgpr40_sgpr41
                                        ; implicit-def: $sgpr44_sgpr45
	s_branch .LBB1361_81
.LBB1361_80:                            ;   in Loop: Header=BB1361_81 Depth=1
	s_or_b64 exec, exec, s[46:47]
	s_and_b64 s[2:3], exec, s[38:39]
	s_or_b64 s[34:35], s[2:3], s[34:35]
	s_andn2_b64 s[2:3], s[44:45], exec
	s_and_b64 s[44:45], s[40:41], exec
	s_or_b64 s[44:45], s[2:3], s[44:45]
	s_andn2_b64 s[2:3], s[36:37], exec
	s_and_b64 s[36:37], s[0:1], exec
	s_or_b64 s[36:37], s[2:3], s[36:37]
	s_andn2_b64 exec, exec, s[34:35]
	s_cbranch_execz .LBB1361_83
.LBB1361_81:                            ; =>This Inner Loop Header: Depth=1
	global_load_ushort v10, v[4:5], off
	global_load_ushort v11, v[6:7], off
	s_andn2_b64 s[46:47], s[0:1], exec
	s_andn2_b64 s[40:41], s[40:41], exec
	s_or_b64 s[38:39], s[38:39], exec
	s_waitcnt vmcnt(0)
	v_cmp_le_u16_e64 s[0:1], v10, v11
	v_cmp_lt_u16_e32 vcc, v10, v11
	s_and_b64 s[0:1], s[0:1], s[44:45]
	s_or_b64 s[48:49], vcc, s[0:1]
	s_and_b64 s[0:1], s[48:49], exec
	v_cmp_eq_u16_e64 s[2:3], v10, v11
	s_or_b64 s[0:1], s[46:47], s[0:1]
	s_and_saveexec_b64 s[46:47], s[2:3]
	s_cbranch_execz .LBB1361_80
; %bb.82:                               ;   in Loop: Header=BB1361_81 Depth=1
	s_add_u32 s42, s42, -1
	s_addc_u32 s43, s43, -1
	v_add_co_u32_e32 v4, vcc, 2, v4
	s_cmp_eq_u64 s[42:43], 0
	v_addc_co_u32_e32 v5, vcc, 0, v5, vcc
	s_cselect_b64 s[2:3], -1, 0
	v_add_co_u32_e32 v6, vcc, 2, v6
	s_andn2_b64 s[40:41], s[40:41], exec
	s_and_b64 s[44:45], s[48:49], exec
	s_andn2_b64 s[38:39], s[38:39], exec
	s_and_b64 s[2:3], s[2:3], exec
	v_addc_co_u32_e32 v7, vcc, 0, v7, vcc
	s_or_b64 s[40:41], s[40:41], s[44:45]
	s_andn2_b64 s[0:1], s[0:1], exec
	s_or_b64 s[38:39], s[38:39], s[2:3]
                                        ; implicit-def: $sgpr44_sgpr45
	s_branch .LBB1361_80
.LBB1361_83:
	s_or_b64 exec, exec, s[34:35]
	s_xor_b64 s[0:1], s[36:37], -1
	s_branch .LBB1361_85
.LBB1361_84:
	s_mov_b64 s[0:1], -1
.LBB1361_85:
	s_andn2_b64 s[2:3], s[26:27], exec
	s_and_b64 s[0:1], s[0:1], exec
	s_or_b64 s[26:27], s[2:3], s[0:1]
.LBB1361_86:
	s_or_b64 exec, exec, s[30:31]
	v_cndmask_b32_e64 v4, v9, v8, s[26:27]
	v_cndmask_b32_e64 v5, v15, v14, s[26:27]
	v_add_u32_e32 v6, 1, v4
	v_add_u32_e32 v4, -1, v5
	v_min_u32_e32 v4, v6, v4
	v_lshl_add_u32 v4, v4, 3, v16
	ds_read_b64 v[4:5], v4
	v_cndmask_b32_e64 v9, v6, v9, s[26:27]
	v_cndmask_b32_e64 v8, v8, v6, s[26:27]
	v_cmp_lt_u32_e32 vcc, v9, v15
	s_waitcnt lgkmcnt(0)
	v_cndmask_b32_e64 v20, v5, v3, s[26:27]
	v_cndmask_b32_e64 v21, v4, v2, s[26:27]
	;; [unrolled: 1-line block ×4, first 2 shown]
	s_and_saveexec_b64 s[30:31], vcc
	s_cbranch_execz .LBB1361_97
; %bb.87:
	v_cmp_lt_u32_e32 vcc, v8, v14
	s_mov_b64 s[0:1], 0
	s_and_saveexec_b64 s[28:29], vcc
	s_cbranch_execz .LBB1361_96
; %bb.88:
	s_andn2_b64 vcc, exec, s[24:25]
	s_cbranch_vccnz .LBB1361_94
; %bb.89:
	v_mul_lo_u32 v6, v20, s16
	v_mul_lo_u32 v7, v21, s17
	v_mad_u64_u32 v[4:5], s[0:1], v21, s16, 0
	v_add3_u32 v5, v5, v7, v6
	v_lshlrev_b64 v[4:5], 1, v[4:5]
	v_mov_b32_e32 v6, s19
	v_add_co_u32_e32 v4, vcc, s18, v4
	v_addc_co_u32_e32 v5, vcc, v6, v5, vcc
	v_mul_lo_u32 v10, v22, s16
	v_mul_lo_u32 v11, v23, s17
	v_mad_u64_u32 v[6:7], s[0:1], v23, s16, 0
	v_add3_u32 v7, v7, v11, v10
	v_lshlrev_b64 v[6:7], 1, v[6:7]
	v_mov_b32_e32 v10, s19
	v_add_co_u32_e32 v6, vcc, s18, v6
	v_addc_co_u32_e32 v7, vcc, v10, v7, vcc
	s_mov_b64 s[34:35], 0
	s_mov_b64 s[42:43], s[16:17]
                                        ; implicit-def: $sgpr36_sgpr37
                                        ; implicit-def: $sgpr38_sgpr39
                                        ; implicit-def: $sgpr0_sgpr1
                                        ; implicit-def: $sgpr40_sgpr41
                                        ; implicit-def: $sgpr44_sgpr45
	s_branch .LBB1361_91
.LBB1361_90:                            ;   in Loop: Header=BB1361_91 Depth=1
	s_or_b64 exec, exec, s[46:47]
	s_and_b64 s[2:3], exec, s[38:39]
	s_or_b64 s[34:35], s[2:3], s[34:35]
	s_andn2_b64 s[2:3], s[44:45], exec
	s_and_b64 s[44:45], s[40:41], exec
	s_or_b64 s[44:45], s[2:3], s[44:45]
	s_andn2_b64 s[2:3], s[36:37], exec
	s_and_b64 s[36:37], s[0:1], exec
	s_or_b64 s[36:37], s[2:3], s[36:37]
	s_andn2_b64 exec, exec, s[34:35]
	s_cbranch_execz .LBB1361_93
.LBB1361_91:                            ; =>This Inner Loop Header: Depth=1
	global_load_ushort v10, v[4:5], off
	global_load_ushort v11, v[6:7], off
	s_andn2_b64 s[46:47], s[0:1], exec
	s_andn2_b64 s[40:41], s[40:41], exec
	s_or_b64 s[38:39], s[38:39], exec
	s_waitcnt vmcnt(0)
	v_cmp_le_u16_e64 s[0:1], v10, v11
	v_cmp_lt_u16_e32 vcc, v10, v11
	s_and_b64 s[0:1], s[0:1], s[44:45]
	s_or_b64 s[48:49], vcc, s[0:1]
	s_and_b64 s[0:1], s[48:49], exec
	v_cmp_eq_u16_e64 s[2:3], v10, v11
	s_or_b64 s[0:1], s[46:47], s[0:1]
	s_and_saveexec_b64 s[46:47], s[2:3]
	s_cbranch_execz .LBB1361_90
; %bb.92:                               ;   in Loop: Header=BB1361_91 Depth=1
	s_add_u32 s42, s42, -1
	s_addc_u32 s43, s43, -1
	v_add_co_u32_e32 v4, vcc, 2, v4
	s_cmp_eq_u64 s[42:43], 0
	v_addc_co_u32_e32 v5, vcc, 0, v5, vcc
	s_cselect_b64 s[2:3], -1, 0
	v_add_co_u32_e32 v6, vcc, 2, v6
	s_andn2_b64 s[40:41], s[40:41], exec
	s_and_b64 s[44:45], s[48:49], exec
	s_andn2_b64 s[38:39], s[38:39], exec
	s_and_b64 s[2:3], s[2:3], exec
	v_addc_co_u32_e32 v7, vcc, 0, v7, vcc
	s_or_b64 s[40:41], s[40:41], s[44:45]
	s_andn2_b64 s[0:1], s[0:1], exec
	s_or_b64 s[38:39], s[38:39], s[2:3]
                                        ; implicit-def: $sgpr44_sgpr45
	s_branch .LBB1361_90
.LBB1361_93:
	s_or_b64 exec, exec, s[34:35]
	s_xor_b64 s[0:1], s[36:37], -1
	s_branch .LBB1361_95
.LBB1361_94:
	s_mov_b64 s[0:1], -1
.LBB1361_95:
	s_and_b64 s[0:1], s[0:1], exec
.LBB1361_96:
	s_or_b64 exec, exec, s[28:29]
	s_orn2_b64 s[28:29], s[0:1], exec
.LBB1361_97:
	s_or_b64 exec, exec, s[30:31]
	v_cndmask_b32_e64 v4, v9, v8, s[28:29]
	v_cndmask_b32_e64 v5, v15, v14, s[28:29]
	v_add_u32_e32 v6, 1, v4
	v_add_u32_e32 v4, -1, v5
	v_min_u32_e32 v4, v6, v4
	v_lshl_add_u32 v4, v4, 3, v16
	ds_read_b64 v[4:5], v4
	v_cndmask_b32_e64 v9, v6, v9, s[28:29]
	v_cndmask_b32_e64 v8, v8, v6, s[28:29]
	v_cmp_lt_u32_e32 vcc, v9, v15
	s_mov_b64 s[30:31], -1
	s_waitcnt lgkmcnt(0)
	v_cndmask_b32_e64 v24, v5, v20, s[28:29]
	v_cndmask_b32_e64 v25, v4, v21, s[28:29]
	;; [unrolled: 1-line block ×4, first 2 shown]
	s_and_saveexec_b64 s[34:35], vcc
	s_cbranch_execz .LBB1361_108
; %bb.98:
	v_cmp_lt_u32_e32 vcc, v8, v14
	s_mov_b64 s[0:1], 0
	s_and_saveexec_b64 s[30:31], vcc
	s_cbranch_execz .LBB1361_107
; %bb.99:
	s_andn2_b64 vcc, exec, s[24:25]
	s_cbranch_vccnz .LBB1361_105
; %bb.100:
	v_mul_lo_u32 v6, v24, s16
	v_mul_lo_u32 v7, v25, s17
	v_mad_u64_u32 v[4:5], s[0:1], v25, s16, 0
	v_add3_u32 v5, v5, v7, v6
	v_lshlrev_b64 v[4:5], 1, v[4:5]
	v_mov_b32_e32 v6, s19
	v_add_co_u32_e32 v4, vcc, s18, v4
	v_addc_co_u32_e32 v5, vcc, v6, v5, vcc
	v_mul_lo_u32 v10, v37, s16
	v_mul_lo_u32 v11, v38, s17
	v_mad_u64_u32 v[6:7], s[0:1], v38, s16, 0
	v_add3_u32 v7, v7, v11, v10
	v_lshlrev_b64 v[6:7], 1, v[6:7]
	v_mov_b32_e32 v10, s19
	v_add_co_u32_e32 v6, vcc, s18, v6
	v_addc_co_u32_e32 v7, vcc, v10, v7, vcc
	s_mov_b64 s[36:37], 0
	s_mov_b64 s[44:45], s[16:17]
                                        ; implicit-def: $sgpr38_sgpr39
                                        ; implicit-def: $sgpr40_sgpr41
                                        ; implicit-def: $sgpr0_sgpr1
                                        ; implicit-def: $sgpr42_sgpr43
                                        ; implicit-def: $sgpr46_sgpr47
	s_branch .LBB1361_102
.LBB1361_101:                           ;   in Loop: Header=BB1361_102 Depth=1
	s_or_b64 exec, exec, s[48:49]
	s_and_b64 s[2:3], exec, s[40:41]
	s_or_b64 s[36:37], s[2:3], s[36:37]
	s_andn2_b64 s[2:3], s[46:47], exec
	s_and_b64 s[46:47], s[42:43], exec
	s_or_b64 s[46:47], s[2:3], s[46:47]
	s_andn2_b64 s[2:3], s[38:39], exec
	s_and_b64 s[38:39], s[0:1], exec
	s_or_b64 s[38:39], s[2:3], s[38:39]
	s_andn2_b64 exec, exec, s[36:37]
	s_cbranch_execz .LBB1361_104
.LBB1361_102:                           ; =>This Inner Loop Header: Depth=1
	global_load_ushort v10, v[4:5], off
	global_load_ushort v11, v[6:7], off
	s_andn2_b64 s[48:49], s[0:1], exec
	s_andn2_b64 s[42:43], s[42:43], exec
	s_or_b64 s[40:41], s[40:41], exec
	s_waitcnt vmcnt(0)
	v_cmp_le_u16_e64 s[0:1], v10, v11
	v_cmp_lt_u16_e32 vcc, v10, v11
	s_and_b64 s[0:1], s[0:1], s[46:47]
	s_or_b64 s[50:51], vcc, s[0:1]
	s_and_b64 s[0:1], s[50:51], exec
	v_cmp_eq_u16_e64 s[2:3], v10, v11
	s_or_b64 s[0:1], s[48:49], s[0:1]
	s_and_saveexec_b64 s[48:49], s[2:3]
	s_cbranch_execz .LBB1361_101
; %bb.103:                              ;   in Loop: Header=BB1361_102 Depth=1
	s_add_u32 s44, s44, -1
	s_addc_u32 s45, s45, -1
	v_add_co_u32_e32 v4, vcc, 2, v4
	s_cmp_eq_u64 s[44:45], 0
	v_addc_co_u32_e32 v5, vcc, 0, v5, vcc
	s_cselect_b64 s[2:3], -1, 0
	v_add_co_u32_e32 v6, vcc, 2, v6
	s_andn2_b64 s[42:43], s[42:43], exec
	s_and_b64 s[46:47], s[50:51], exec
	s_andn2_b64 s[40:41], s[40:41], exec
	s_and_b64 s[2:3], s[2:3], exec
	v_addc_co_u32_e32 v7, vcc, 0, v7, vcc
	s_or_b64 s[42:43], s[42:43], s[46:47]
	s_andn2_b64 s[0:1], s[0:1], exec
	s_or_b64 s[40:41], s[40:41], s[2:3]
                                        ; implicit-def: $sgpr46_sgpr47
	s_branch .LBB1361_101
.LBB1361_104:
	s_or_b64 exec, exec, s[36:37]
	s_xor_b64 s[0:1], s[38:39], -1
	s_branch .LBB1361_106
.LBB1361_105:
	s_mov_b64 s[0:1], -1
.LBB1361_106:
	s_and_b64 s[0:1], s[0:1], exec
.LBB1361_107:
	s_or_b64 exec, exec, s[30:31]
	s_orn2_b64 s[30:31], s[0:1], exec
.LBB1361_108:
	s_or_b64 exec, exec, s[34:35]
	v_cndmask_b32_e64 v4, v9, v8, s[30:31]
	v_cndmask_b32_e64 v5, v15, v14, s[30:31]
	v_add_u32_e32 v10, 1, v4
	v_add_u32_e32 v4, -1, v5
	v_min_u32_e32 v4, v10, v4
	v_lshl_add_u32 v4, v4, 3, v16
	ds_read_b64 v[4:5], v4
	v_cndmask_b32_e64 v9, v10, v9, s[30:31]
	v_cmp_lt_u32_e32 vcc, v9, v15
	s_waitcnt lgkmcnt(0)
	v_cndmask_b32_e64 v7, v37, v5, s[30:31]
	v_cndmask_b32_e64 v6, v38, v4, s[30:31]
	s_and_saveexec_b64 s[34:35], vcc
	s_cbranch_execz .LBB1361_118
; %bb.109:
	v_cndmask_b32_e64 v8, v8, v10, s[30:31]
	v_cndmask_b32_e64 v5, v5, v24, s[30:31]
	;; [unrolled: 1-line block ×3, first 2 shown]
	v_cmp_lt_u32_e32 vcc, v8, v14
	s_and_saveexec_b64 s[36:37], vcc
	s_cbranch_execz .LBB1361_117
; %bb.110:
	s_andn2_b64 vcc, exec, s[24:25]
	s_cbranch_vccnz .LBB1361_116
; %bb.111:
	v_mul_lo_u32 v10, v5, s16
	v_mul_lo_u32 v11, v4, s17
	v_mad_u64_u32 v[8:9], s[0:1], v4, s16, 0
	v_add3_u32 v9, v9, v11, v10
	v_lshlrev_b64 v[8:9], 1, v[8:9]
	v_mov_b32_e32 v10, s19
	v_add_co_u32_e32 v8, vcc, s18, v8
	v_addc_co_u32_e32 v9, vcc, v10, v9, vcc
	v_mul_lo_u32 v14, v7, s16
	v_mul_lo_u32 v15, v6, s17
	v_mad_u64_u32 v[10:11], s[0:1], v6, s16, 0
	v_add3_u32 v11, v11, v15, v14
	v_lshlrev_b64 v[10:11], 1, v[10:11]
	v_mov_b32_e32 v14, s19
	v_add_co_u32_e32 v10, vcc, s18, v10
	v_addc_co_u32_e32 v11, vcc, v14, v11, vcc
	s_mov_b64 s[38:39], 0
	s_mov_b64 s[46:47], s[16:17]
                                        ; implicit-def: $sgpr40_sgpr41
                                        ; implicit-def: $sgpr42_sgpr43
                                        ; implicit-def: $sgpr0_sgpr1
                                        ; implicit-def: $sgpr44_sgpr45
                                        ; implicit-def: $sgpr48_sgpr49
	s_branch .LBB1361_113
.LBB1361_112:                           ;   in Loop: Header=BB1361_113 Depth=1
	s_or_b64 exec, exec, s[50:51]
	s_and_b64 s[2:3], exec, s[42:43]
	s_or_b64 s[38:39], s[2:3], s[38:39]
	s_andn2_b64 s[2:3], s[48:49], exec
	s_and_b64 s[48:49], s[44:45], exec
	s_or_b64 s[48:49], s[2:3], s[48:49]
	s_andn2_b64 s[2:3], s[40:41], exec
	s_and_b64 s[40:41], s[0:1], exec
	s_or_b64 s[40:41], s[2:3], s[40:41]
	s_andn2_b64 exec, exec, s[38:39]
	s_cbranch_execz .LBB1361_115
.LBB1361_113:                           ; =>This Inner Loop Header: Depth=1
	global_load_ushort v14, v[8:9], off
	global_load_ushort v15, v[10:11], off
	s_andn2_b64 s[50:51], s[0:1], exec
	s_andn2_b64 s[44:45], s[44:45], exec
	s_or_b64 s[42:43], s[42:43], exec
	s_waitcnt vmcnt(0)
	v_cmp_le_u16_e64 s[0:1], v14, v15
	v_cmp_lt_u16_e32 vcc, v14, v15
	s_and_b64 s[0:1], s[0:1], s[48:49]
	s_or_b64 s[52:53], vcc, s[0:1]
	s_and_b64 s[0:1], s[52:53], exec
	v_cmp_eq_u16_e64 s[2:3], v14, v15
	s_or_b64 s[0:1], s[50:51], s[0:1]
	s_and_saveexec_b64 s[50:51], s[2:3]
	s_cbranch_execz .LBB1361_112
; %bb.114:                              ;   in Loop: Header=BB1361_113 Depth=1
	s_add_u32 s46, s46, -1
	s_addc_u32 s47, s47, -1
	v_add_co_u32_e32 v8, vcc, 2, v8
	s_cmp_eq_u64 s[46:47], 0
	v_addc_co_u32_e32 v9, vcc, 0, v9, vcc
	s_cselect_b64 s[2:3], -1, 0
	v_add_co_u32_e32 v10, vcc, 2, v10
	s_andn2_b64 s[44:45], s[44:45], exec
	s_and_b64 s[48:49], s[52:53], exec
	s_andn2_b64 s[42:43], s[42:43], exec
	s_and_b64 s[2:3], s[2:3], exec
	v_addc_co_u32_e32 v11, vcc, 0, v11, vcc
	s_or_b64 s[44:45], s[44:45], s[48:49]
	s_andn2_b64 s[0:1], s[0:1], exec
	s_or_b64 s[42:43], s[42:43], s[2:3]
                                        ; implicit-def: $sgpr48_sgpr49
	s_branch .LBB1361_112
.LBB1361_115:
	s_or_b64 exec, exec, s[38:39]
	v_cndmask_b32_e64 v7, v7, v5, s[40:41]
	v_cndmask_b32_e64 v6, v6, v4, s[40:41]
.LBB1361_116:
	v_pk_mov_b32 v[4:5], v[6:7], v[6:7] op_sel:[0,1]
.LBB1361_117:
	s_or_b64 exec, exec, s[36:37]
	v_pk_mov_b32 v[6:7], v[4:5], v[4:5] op_sel:[0,1]
.LBB1361_118:
	s_or_b64 exec, exec, s[34:35]
	v_cndmask_b32_e64 v1, v3, v1, s[26:27]
	v_cndmask_b32_e64 v0, v2, v0, s[26:27]
	;; [unrolled: 1-line block ×6, first 2 shown]
.LBB1361_119:
	s_or_b64 exec, exec, s[4:5]
	v_and_b32_e32 v20, 0x1f0, v18
	v_or_b32_e32 v8, 8, v20
	v_min_u32_e32 v14, v17, v8
	v_add_u32_e32 v8, 8, v14
	v_min_u32_e32 v15, v17, v8
	v_and_b32_e32 v8, 12, v18
	v_min_u32_e32 v21, v17, v8
	v_sub_u32_e32 v8, v14, v20
	v_sub_u32_e32 v9, v15, v14
	v_sub_u32_e64 v23, v21, v9 clamp
	v_min_u32_e32 v24, v21, v8
	v_lshl_add_u32 v22, v20, 3, v16
	v_cmp_lt_u32_e32 vcc, v23, v24
	; wave barrier
	ds_write_b128 v19, v[0:3]
	ds_write_b128 v19, v[4:7] offset:16
	; wave barrier
	s_and_saveexec_b64 s[26:27], vcc
	s_cbranch_execz .LBB1361_129
; %bb.120:
	v_lshlrev_b32_e32 v8, 3, v14
	v_lshlrev_b32_e32 v9, 3, v21
	v_add3_u32 v25, v16, v8, v9
	v_cndmask_b32_e64 v8, 0, 1, s[24:25]
	s_lshl_b64 s[30:31], s[16:17], 1
	s_mov_b64 s[28:29], 0
	v_cmp_ne_u32_e64 s[0:1], 1, v8
	s_branch .LBB1361_123
.LBB1361_121:                           ;   in Loop: Header=BB1361_123 Depth=1
	s_or_b64 exec, exec, s[36:37]
.LBB1361_122:                           ;   in Loop: Header=BB1361_123 Depth=1
	v_add_u32_e32 v8, 1, v37
	v_cndmask_b32_e64 v24, v24, v37, s[34:35]
	v_cndmask_b32_e64 v23, v8, v23, s[34:35]
	v_cmp_ge_u32_e32 vcc, v23, v24
	s_or_b64 s[28:29], vcc, s[28:29]
	s_andn2_b64 exec, exec, s[28:29]
	s_cbranch_execz .LBB1361_128
.LBB1361_123:                           ; =>This Loop Header: Depth=1
                                        ;     Child Loop BB1361_126 Depth 2
	v_add_u32_e32 v8, v24, v23
	v_lshrrev_b32_e32 v37, 1, v8
	s_and_b64 vcc, exec, s[0:1]
	s_mov_b64 s[34:35], 0
	s_cbranch_vccnz .LBB1361_122
; %bb.124:                              ;   in Loop: Header=BB1361_123 Depth=1
	v_not_b32_e32 v8, v37
	v_lshl_add_u32 v8, v8, 3, v25
	ds_read_b64 v[8:9], v8
	v_lshl_add_u32 v38, v37, 3, v22
	ds_read_b64 v[38:39], v38
	v_pk_mov_b32 v[10:11], s[18:19], s[18:19] op_sel:[0,1]
	s_mov_b64 s[36:37], 0
	s_waitcnt lgkmcnt(1)
	v_mul_lo_u32 v40, s30, v9
	v_mul_lo_u32 v41, s31, v8
	v_mad_u64_u32 v[8:9], s[2:3], s30, v8, v[10:11]
	v_add3_u32 v9, v41, v9, v40
	s_waitcnt lgkmcnt(0)
	v_mul_lo_u32 v39, s30, v39
	v_mul_lo_u32 v40, s31, v38
	v_mad_u64_u32 v[10:11], s[2:3], s30, v38, v[10:11]
	v_add3_u32 v11, v40, v11, v39
	s_mov_b64 s[42:43], s[16:17]
                                        ; implicit-def: $sgpr34_sgpr35
                                        ; implicit-def: $sgpr38_sgpr39
                                        ; implicit-def: $sgpr40_sgpr41
                                        ; implicit-def: $sgpr2_sgpr3
                                        ; implicit-def: $sgpr44_sgpr45
	s_branch .LBB1361_126
.LBB1361_125:                           ;   in Loop: Header=BB1361_126 Depth=2
	s_or_b64 exec, exec, s[46:47]
	s_and_b64 s[4:5], exec, s[38:39]
	s_or_b64 s[36:37], s[4:5], s[36:37]
	s_andn2_b64 s[4:5], s[44:45], exec
	s_and_b64 s[44:45], s[40:41], exec
	s_or_b64 s[44:45], s[4:5], s[44:45]
	s_andn2_b64 s[4:5], s[34:35], exec
	s_and_b64 s[34:35], s[2:3], exec
	s_or_b64 s[34:35], s[4:5], s[34:35]
	s_andn2_b64 exec, exec, s[36:37]
	s_cbranch_execz .LBB1361_121
.LBB1361_126:                           ;   Parent Loop BB1361_123 Depth=1
                                        ; =>  This Inner Loop Header: Depth=2
	global_load_ushort v38, v[8:9], off
	global_load_ushort v39, v[10:11], off
	s_andn2_b64 s[46:47], s[2:3], exec
	s_andn2_b64 s[40:41], s[40:41], exec
	s_or_b64 s[38:39], s[38:39], exec
	s_waitcnt vmcnt(0)
	v_cmp_le_u16_e64 s[2:3], v38, v39
	v_cmp_lt_u16_e32 vcc, v38, v39
	s_and_b64 s[2:3], s[2:3], s[44:45]
	s_or_b64 s[48:49], vcc, s[2:3]
	s_and_b64 s[2:3], s[48:49], exec
	v_cmp_eq_u16_e64 s[4:5], v38, v39
	s_or_b64 s[2:3], s[46:47], s[2:3]
	s_and_saveexec_b64 s[46:47], s[4:5]
	s_cbranch_execz .LBB1361_125
; %bb.127:                              ;   in Loop: Header=BB1361_126 Depth=2
	s_add_u32 s42, s42, -1
	s_addc_u32 s43, s43, -1
	v_add_co_u32_e32 v8, vcc, 2, v8
	s_cmp_eq_u64 s[42:43], 0
	v_addc_co_u32_e32 v9, vcc, 0, v9, vcc
	s_cselect_b64 s[4:5], -1, 0
	v_add_co_u32_e32 v10, vcc, 2, v10
	s_andn2_b64 s[40:41], s[40:41], exec
	s_and_b64 s[44:45], s[48:49], exec
	s_andn2_b64 s[38:39], s[38:39], exec
	s_and_b64 s[4:5], s[4:5], exec
	v_addc_co_u32_e32 v11, vcc, 0, v11, vcc
	s_andn2_b64 s[2:3], s[2:3], exec
	s_or_b64 s[40:41], s[40:41], s[44:45]
	s_or_b64 s[38:39], s[38:39], s[4:5]
                                        ; implicit-def: $sgpr44_sgpr45
	s_branch .LBB1361_125
.LBB1361_128:
	s_or_b64 exec, exec, s[28:29]
.LBB1361_129:
	s_or_b64 exec, exec, s[26:27]
	v_add_u32_e32 v8, v14, v21
	v_add_u32_e32 v20, v23, v20
	v_sub_u32_e32 v21, v8, v23
	v_cmp_le_u32_e32 vcc, v20, v14
	v_cmp_le_u32_e64 s[0:1], v21, v15
	s_or_b64 s[0:1], vcc, s[0:1]
	s_and_saveexec_b64 s[4:5], s[0:1]
	s_cbranch_execz .LBB1361_176
; %bb.130:
	v_cmp_ge_u32_e32 vcc, v20, v14
	v_cmp_lt_u32_e64 s[0:1], v20, v14
                                        ; implicit-def: $vgpr0_vgpr1
	s_and_saveexec_b64 s[2:3], s[0:1]
	s_cbranch_execz .LBB1361_132
; %bb.131:
	v_lshl_add_u32 v0, v23, 3, v22
	ds_read_b64 v[0:1], v0
.LBB1361_132:
	s_or_b64 exec, exec, s[2:3]
	v_cmp_ge_u32_e64 s[26:27], v21, v15
	v_cmp_lt_u32_e64 s[0:1], v21, v15
                                        ; implicit-def: $vgpr4_vgpr5
	s_and_saveexec_b64 s[2:3], s[0:1]
	s_cbranch_execz .LBB1361_134
; %bb.133:
	v_lshl_add_u32 v2, v21, 3, v16
	ds_read_b64 v[4:5], v2
.LBB1361_134:
	s_or_b64 exec, exec, s[2:3]
	s_or_b64 s[0:1], vcc, s[26:27]
	s_mov_b64 s[28:29], -1
	s_xor_b64 s[0:1], s[0:1], -1
	s_and_saveexec_b64 s[30:31], s[0:1]
	s_cbranch_execz .LBB1361_143
; %bb.135:
	s_andn2_b64 vcc, exec, s[24:25]
	s_cbranch_vccnz .LBB1361_141
; %bb.136:
	s_waitcnt lgkmcnt(0)
	v_mul_lo_u32 v6, v5, s16
	v_mul_lo_u32 v7, v4, s17
	v_mad_u64_u32 v[2:3], s[0:1], v4, s16, 0
	v_add3_u32 v3, v3, v7, v6
	v_lshlrev_b64 v[2:3], 1, v[2:3]
	v_mov_b32_e32 v6, s19
	v_add_co_u32_e32 v2, vcc, s18, v2
	v_addc_co_u32_e32 v3, vcc, v6, v3, vcc
	v_mul_lo_u32 v8, v1, s16
	v_mul_lo_u32 v9, v0, s17
	v_mad_u64_u32 v[6:7], s[0:1], v0, s16, 0
	v_add3_u32 v7, v7, v9, v8
	v_lshlrev_b64 v[6:7], 1, v[6:7]
	v_mov_b32_e32 v8, s19
	v_add_co_u32_e32 v6, vcc, s18, v6
	v_addc_co_u32_e32 v7, vcc, v8, v7, vcc
	s_mov_b64 s[34:35], 0
	s_mov_b64 s[42:43], s[16:17]
                                        ; implicit-def: $sgpr36_sgpr37
                                        ; implicit-def: $sgpr38_sgpr39
                                        ; implicit-def: $sgpr0_sgpr1
                                        ; implicit-def: $sgpr40_sgpr41
                                        ; implicit-def: $sgpr44_sgpr45
	s_branch .LBB1361_138
.LBB1361_137:                           ;   in Loop: Header=BB1361_138 Depth=1
	s_or_b64 exec, exec, s[46:47]
	s_and_b64 s[2:3], exec, s[38:39]
	s_or_b64 s[34:35], s[2:3], s[34:35]
	s_andn2_b64 s[2:3], s[44:45], exec
	s_and_b64 s[44:45], s[40:41], exec
	s_or_b64 s[44:45], s[2:3], s[44:45]
	s_andn2_b64 s[2:3], s[36:37], exec
	s_and_b64 s[36:37], s[0:1], exec
	s_or_b64 s[36:37], s[2:3], s[36:37]
	s_andn2_b64 exec, exec, s[34:35]
	s_cbranch_execz .LBB1361_140
.LBB1361_138:                           ; =>This Inner Loop Header: Depth=1
	global_load_ushort v8, v[2:3], off
	global_load_ushort v9, v[6:7], off
	s_andn2_b64 s[46:47], s[0:1], exec
	s_andn2_b64 s[40:41], s[40:41], exec
	s_or_b64 s[38:39], s[38:39], exec
	s_waitcnt vmcnt(0)
	v_cmp_le_u16_e64 s[0:1], v8, v9
	v_cmp_lt_u16_e32 vcc, v8, v9
	s_and_b64 s[0:1], s[0:1], s[44:45]
	s_or_b64 s[48:49], vcc, s[0:1]
	s_and_b64 s[0:1], s[48:49], exec
	v_cmp_eq_u16_e64 s[2:3], v8, v9
	s_or_b64 s[0:1], s[46:47], s[0:1]
	s_and_saveexec_b64 s[46:47], s[2:3]
	s_cbranch_execz .LBB1361_137
; %bb.139:                              ;   in Loop: Header=BB1361_138 Depth=1
	s_add_u32 s42, s42, -1
	s_addc_u32 s43, s43, -1
	v_add_co_u32_e32 v2, vcc, 2, v2
	s_cmp_eq_u64 s[42:43], 0
	v_addc_co_u32_e32 v3, vcc, 0, v3, vcc
	s_cselect_b64 s[2:3], -1, 0
	v_add_co_u32_e32 v6, vcc, 2, v6
	s_andn2_b64 s[40:41], s[40:41], exec
	s_and_b64 s[44:45], s[48:49], exec
	s_andn2_b64 s[38:39], s[38:39], exec
	s_and_b64 s[2:3], s[2:3], exec
	v_addc_co_u32_e32 v7, vcc, 0, v7, vcc
	s_or_b64 s[40:41], s[40:41], s[44:45]
	s_andn2_b64 s[0:1], s[0:1], exec
	s_or_b64 s[38:39], s[38:39], s[2:3]
                                        ; implicit-def: $sgpr44_sgpr45
	s_branch .LBB1361_137
.LBB1361_140:
	s_or_b64 exec, exec, s[34:35]
	s_xor_b64 s[0:1], s[36:37], -1
	s_branch .LBB1361_142
.LBB1361_141:
	s_mov_b64 s[0:1], -1
.LBB1361_142:
	s_andn2_b64 s[2:3], s[26:27], exec
	s_and_b64 s[0:1], s[0:1], exec
	s_or_b64 s[26:27], s[2:3], s[0:1]
.LBB1361_143:
	s_or_b64 exec, exec, s[30:31]
	v_cndmask_b32_e64 v2, v21, v20, s[26:27]
	v_cndmask_b32_e64 v3, v15, v14, s[26:27]
	v_add_u32_e32 v6, 1, v2
	v_add_u32_e32 v2, -1, v3
	v_min_u32_e32 v2, v6, v2
	v_lshl_add_u32 v2, v2, 3, v16
	ds_read_b64 v[2:3], v2
	v_cndmask_b32_e64 v22, v6, v21, s[26:27]
	v_cndmask_b32_e64 v37, v20, v6, s[26:27]
	v_cmp_lt_u32_e32 vcc, v22, v15
	s_waitcnt lgkmcnt(0)
	v_cndmask_b32_e64 v8, v3, v5, s[26:27]
	v_cndmask_b32_e64 v9, v2, v4, s[26:27]
	;; [unrolled: 1-line block ×4, first 2 shown]
	s_and_saveexec_b64 s[30:31], vcc
	s_cbranch_execz .LBB1361_154
; %bb.144:
	v_cmp_lt_u32_e32 vcc, v37, v14
	s_mov_b64 s[0:1], 0
	s_and_saveexec_b64 s[28:29], vcc
	s_cbranch_execz .LBB1361_153
; %bb.145:
	s_andn2_b64 vcc, exec, s[24:25]
	s_cbranch_vccnz .LBB1361_151
; %bb.146:
	v_mul_lo_u32 v6, v8, s16
	v_mul_lo_u32 v7, v9, s17
	v_mad_u64_u32 v[2:3], s[0:1], v9, s16, 0
	v_add3_u32 v3, v3, v7, v6
	v_lshlrev_b64 v[2:3], 1, v[2:3]
	v_mov_b32_e32 v6, s19
	v_add_co_u32_e32 v2, vcc, s18, v2
	v_addc_co_u32_e32 v3, vcc, v6, v3, vcc
	v_mul_lo_u32 v20, v10, s16
	v_mul_lo_u32 v21, v11, s17
	v_mad_u64_u32 v[6:7], s[0:1], v11, s16, 0
	v_add3_u32 v7, v7, v21, v20
	v_lshlrev_b64 v[6:7], 1, v[6:7]
	v_mov_b32_e32 v20, s19
	v_add_co_u32_e32 v6, vcc, s18, v6
	v_addc_co_u32_e32 v7, vcc, v20, v7, vcc
	s_mov_b64 s[34:35], 0
	s_mov_b64 s[42:43], s[16:17]
                                        ; implicit-def: $sgpr36_sgpr37
                                        ; implicit-def: $sgpr38_sgpr39
                                        ; implicit-def: $sgpr0_sgpr1
                                        ; implicit-def: $sgpr40_sgpr41
                                        ; implicit-def: $sgpr44_sgpr45
	s_branch .LBB1361_148
.LBB1361_147:                           ;   in Loop: Header=BB1361_148 Depth=1
	s_or_b64 exec, exec, s[46:47]
	s_and_b64 s[2:3], exec, s[38:39]
	s_or_b64 s[34:35], s[2:3], s[34:35]
	s_andn2_b64 s[2:3], s[44:45], exec
	s_and_b64 s[44:45], s[40:41], exec
	s_or_b64 s[44:45], s[2:3], s[44:45]
	s_andn2_b64 s[2:3], s[36:37], exec
	s_and_b64 s[36:37], s[0:1], exec
	s_or_b64 s[36:37], s[2:3], s[36:37]
	s_andn2_b64 exec, exec, s[34:35]
	s_cbranch_execz .LBB1361_150
.LBB1361_148:                           ; =>This Inner Loop Header: Depth=1
	global_load_ushort v20, v[2:3], off
	global_load_ushort v21, v[6:7], off
	s_andn2_b64 s[46:47], s[0:1], exec
	s_andn2_b64 s[40:41], s[40:41], exec
	s_or_b64 s[38:39], s[38:39], exec
	s_waitcnt vmcnt(0)
	v_cmp_le_u16_e64 s[0:1], v20, v21
	v_cmp_lt_u16_e32 vcc, v20, v21
	s_and_b64 s[0:1], s[0:1], s[44:45]
	s_or_b64 s[48:49], vcc, s[0:1]
	s_and_b64 s[0:1], s[48:49], exec
	v_cmp_eq_u16_e64 s[2:3], v20, v21
	s_or_b64 s[0:1], s[46:47], s[0:1]
	s_and_saveexec_b64 s[46:47], s[2:3]
	s_cbranch_execz .LBB1361_147
; %bb.149:                              ;   in Loop: Header=BB1361_148 Depth=1
	s_add_u32 s42, s42, -1
	s_addc_u32 s43, s43, -1
	v_add_co_u32_e32 v2, vcc, 2, v2
	s_cmp_eq_u64 s[42:43], 0
	v_addc_co_u32_e32 v3, vcc, 0, v3, vcc
	s_cselect_b64 s[2:3], -1, 0
	v_add_co_u32_e32 v6, vcc, 2, v6
	s_andn2_b64 s[40:41], s[40:41], exec
	s_and_b64 s[44:45], s[48:49], exec
	s_andn2_b64 s[38:39], s[38:39], exec
	s_and_b64 s[2:3], s[2:3], exec
	v_addc_co_u32_e32 v7, vcc, 0, v7, vcc
	s_or_b64 s[40:41], s[40:41], s[44:45]
	s_andn2_b64 s[0:1], s[0:1], exec
	s_or_b64 s[38:39], s[38:39], s[2:3]
                                        ; implicit-def: $sgpr44_sgpr45
	s_branch .LBB1361_147
.LBB1361_150:
	s_or_b64 exec, exec, s[34:35]
	s_xor_b64 s[0:1], s[36:37], -1
	s_branch .LBB1361_152
.LBB1361_151:
	s_mov_b64 s[0:1], -1
.LBB1361_152:
	s_and_b64 s[0:1], s[0:1], exec
.LBB1361_153:
	s_or_b64 exec, exec, s[28:29]
	s_orn2_b64 s[28:29], s[0:1], exec
.LBB1361_154:
	s_or_b64 exec, exec, s[30:31]
	v_cndmask_b32_e64 v2, v22, v37, s[28:29]
	v_cndmask_b32_e64 v3, v15, v14, s[28:29]
	v_add_u32_e32 v6, 1, v2
	v_add_u32_e32 v2, -1, v3
	v_min_u32_e32 v2, v6, v2
	v_lshl_add_u32 v2, v2, 3, v16
	ds_read_b64 v[2:3], v2
	v_cndmask_b32_e64 v23, v6, v22, s[28:29]
	v_cndmask_b32_e64 v22, v37, v6, s[28:29]
	v_cmp_lt_u32_e32 vcc, v23, v15
	s_mov_b64 s[0:1], -1
	s_waitcnt lgkmcnt(0)
	v_cndmask_b32_e64 v20, v3, v8, s[28:29]
	v_cndmask_b32_e64 v21, v2, v9, s[28:29]
	;; [unrolled: 1-line block ×4, first 2 shown]
	s_and_saveexec_b64 s[30:31], vcc
	s_cbranch_execz .LBB1361_165
; %bb.155:
	v_cmp_lt_u32_e32 vcc, v22, v14
	s_mov_b64 s[0:1], 0
	s_and_saveexec_b64 s[34:35], vcc
	s_cbranch_execz .LBB1361_164
; %bb.156:
	s_andn2_b64 vcc, exec, s[24:25]
	s_cbranch_vccnz .LBB1361_162
; %bb.157:
	v_mul_lo_u32 v6, v20, s16
	v_mul_lo_u32 v7, v21, s17
	v_mad_u64_u32 v[2:3], s[0:1], v21, s16, 0
	v_add3_u32 v3, v3, v7, v6
	v_lshlrev_b64 v[2:3], 1, v[2:3]
	v_mov_b32_e32 v6, s19
	v_add_co_u32_e32 v2, vcc, s18, v2
	v_addc_co_u32_e32 v3, vcc, v6, v3, vcc
	v_mul_lo_u32 v37, v24, s16
	v_mul_lo_u32 v38, v25, s17
	v_mad_u64_u32 v[6:7], s[0:1], v25, s16, 0
	v_add3_u32 v7, v7, v38, v37
	v_lshlrev_b64 v[6:7], 1, v[6:7]
	v_mov_b32_e32 v37, s19
	v_add_co_u32_e32 v6, vcc, s18, v6
	v_addc_co_u32_e32 v7, vcc, v37, v7, vcc
	s_mov_b64 s[36:37], 0
	s_mov_b64 s[44:45], s[16:17]
                                        ; implicit-def: $sgpr38_sgpr39
                                        ; implicit-def: $sgpr40_sgpr41
                                        ; implicit-def: $sgpr0_sgpr1
                                        ; implicit-def: $sgpr42_sgpr43
                                        ; implicit-def: $sgpr46_sgpr47
	s_branch .LBB1361_159
.LBB1361_158:                           ;   in Loop: Header=BB1361_159 Depth=1
	s_or_b64 exec, exec, s[48:49]
	s_and_b64 s[2:3], exec, s[40:41]
	s_or_b64 s[36:37], s[2:3], s[36:37]
	s_andn2_b64 s[2:3], s[46:47], exec
	s_and_b64 s[46:47], s[42:43], exec
	s_or_b64 s[46:47], s[2:3], s[46:47]
	s_andn2_b64 s[2:3], s[38:39], exec
	s_and_b64 s[38:39], s[0:1], exec
	s_or_b64 s[38:39], s[2:3], s[38:39]
	s_andn2_b64 exec, exec, s[36:37]
	s_cbranch_execz .LBB1361_161
.LBB1361_159:                           ; =>This Inner Loop Header: Depth=1
	global_load_ushort v37, v[2:3], off
	global_load_ushort v38, v[6:7], off
	s_andn2_b64 s[48:49], s[0:1], exec
	s_andn2_b64 s[42:43], s[42:43], exec
	s_or_b64 s[40:41], s[40:41], exec
	s_waitcnt vmcnt(0)
	v_cmp_le_u16_e64 s[0:1], v37, v38
	v_cmp_lt_u16_e32 vcc, v37, v38
	s_and_b64 s[0:1], s[0:1], s[46:47]
	s_or_b64 s[50:51], vcc, s[0:1]
	s_and_b64 s[0:1], s[50:51], exec
	v_cmp_eq_u16_e64 s[2:3], v37, v38
	s_or_b64 s[0:1], s[48:49], s[0:1]
	s_and_saveexec_b64 s[48:49], s[2:3]
	s_cbranch_execz .LBB1361_158
; %bb.160:                              ;   in Loop: Header=BB1361_159 Depth=1
	s_add_u32 s44, s44, -1
	s_addc_u32 s45, s45, -1
	v_add_co_u32_e32 v2, vcc, 2, v2
	s_cmp_eq_u64 s[44:45], 0
	v_addc_co_u32_e32 v3, vcc, 0, v3, vcc
	s_cselect_b64 s[2:3], -1, 0
	v_add_co_u32_e32 v6, vcc, 2, v6
	s_andn2_b64 s[42:43], s[42:43], exec
	s_and_b64 s[46:47], s[50:51], exec
	s_andn2_b64 s[40:41], s[40:41], exec
	s_and_b64 s[2:3], s[2:3], exec
	v_addc_co_u32_e32 v7, vcc, 0, v7, vcc
	s_or_b64 s[42:43], s[42:43], s[46:47]
	s_andn2_b64 s[0:1], s[0:1], exec
	s_or_b64 s[40:41], s[40:41], s[2:3]
                                        ; implicit-def: $sgpr46_sgpr47
	s_branch .LBB1361_158
.LBB1361_161:
	s_or_b64 exec, exec, s[36:37]
	s_xor_b64 s[0:1], s[38:39], -1
	s_branch .LBB1361_163
.LBB1361_162:
	s_mov_b64 s[0:1], -1
.LBB1361_163:
	s_and_b64 s[0:1], s[0:1], exec
.LBB1361_164:
	s_or_b64 exec, exec, s[34:35]
	s_orn2_b64 s[0:1], s[0:1], exec
.LBB1361_165:
	s_or_b64 exec, exec, s[30:31]
	v_cndmask_b32_e64 v6, v23, v22, s[0:1]
	v_cndmask_b32_e64 v7, v15, v14, s[0:1]
	;; [unrolled: 1-line block ×3, first 2 shown]
	v_add_u32_e32 v10, 1, v6
	v_add_u32_e32 v6, -1, v7
	v_min_u32_e32 v6, v10, v6
	v_lshl_add_u32 v6, v6, 3, v16
	v_cndmask_b32_e64 v2, v9, v11, s[28:29]
	ds_read_b64 v[8:9], v6
	v_cndmask_b32_e64 v11, v10, v23, s[0:1]
	v_cndmask_b32_e64 v1, v5, v1, s[26:27]
	;; [unrolled: 1-line block ×5, first 2 shown]
	s_waitcnt lgkmcnt(0)
	v_cndmask_b32_e64 v7, v24, v9, s[0:1]
	v_cndmask_b32_e64 v6, v25, v8, s[0:1]
	v_cmp_lt_u32_e32 vcc, v11, v15
	s_and_saveexec_b64 s[26:27], vcc
	s_cbranch_execz .LBB1361_175
; %bb.166:
	v_cndmask_b32_e64 v10, v22, v10, s[0:1]
	v_cndmask_b32_e64 v9, v9, v20, s[0:1]
	v_cndmask_b32_e64 v8, v8, v21, s[0:1]
	v_cmp_lt_u32_e32 vcc, v10, v14
	s_and_saveexec_b64 s[28:29], vcc
	s_cbranch_execz .LBB1361_174
; %bb.167:
	s_andn2_b64 vcc, exec, s[24:25]
	s_cbranch_vccnz .LBB1361_173
; %bb.168:
	v_mul_lo_u32 v14, v9, s16
	v_mul_lo_u32 v15, v8, s17
	v_mad_u64_u32 v[10:11], s[0:1], v8, s16, 0
	v_add3_u32 v11, v11, v15, v14
	v_lshlrev_b64 v[10:11], 1, v[10:11]
	v_mov_b32_e32 v14, s19
	v_add_co_u32_e32 v10, vcc, s18, v10
	v_addc_co_u32_e32 v11, vcc, v14, v11, vcc
	v_mul_lo_u32 v20, v7, s16
	v_mul_lo_u32 v21, v6, s17
	v_mad_u64_u32 v[14:15], s[0:1], v6, s16, 0
	v_add3_u32 v15, v15, v21, v20
	v_lshlrev_b64 v[14:15], 1, v[14:15]
	v_mov_b32_e32 v20, s19
	v_add_co_u32_e32 v14, vcc, s18, v14
	v_addc_co_u32_e32 v15, vcc, v20, v15, vcc
	s_mov_b64 s[30:31], 0
	s_mov_b64 s[40:41], s[16:17]
                                        ; implicit-def: $sgpr34_sgpr35
                                        ; implicit-def: $sgpr36_sgpr37
                                        ; implicit-def: $sgpr0_sgpr1
                                        ; implicit-def: $sgpr38_sgpr39
                                        ; implicit-def: $sgpr42_sgpr43
	s_branch .LBB1361_170
.LBB1361_169:                           ;   in Loop: Header=BB1361_170 Depth=1
	s_or_b64 exec, exec, s[44:45]
	s_and_b64 s[2:3], exec, s[36:37]
	s_or_b64 s[30:31], s[2:3], s[30:31]
	s_andn2_b64 s[2:3], s[42:43], exec
	s_and_b64 s[42:43], s[38:39], exec
	s_or_b64 s[42:43], s[2:3], s[42:43]
	s_andn2_b64 s[2:3], s[34:35], exec
	s_and_b64 s[34:35], s[0:1], exec
	s_or_b64 s[34:35], s[2:3], s[34:35]
	s_andn2_b64 exec, exec, s[30:31]
	s_cbranch_execz .LBB1361_172
.LBB1361_170:                           ; =>This Inner Loop Header: Depth=1
	global_load_ushort v20, v[10:11], off
	global_load_ushort v21, v[14:15], off
	s_andn2_b64 s[44:45], s[0:1], exec
	s_andn2_b64 s[38:39], s[38:39], exec
	s_or_b64 s[36:37], s[36:37], exec
	s_waitcnt vmcnt(0)
	v_cmp_le_u16_e64 s[0:1], v20, v21
	v_cmp_lt_u16_e32 vcc, v20, v21
	s_and_b64 s[0:1], s[0:1], s[42:43]
	s_or_b64 s[46:47], vcc, s[0:1]
	s_and_b64 s[0:1], s[46:47], exec
	v_cmp_eq_u16_e64 s[2:3], v20, v21
	s_or_b64 s[0:1], s[44:45], s[0:1]
	s_and_saveexec_b64 s[44:45], s[2:3]
	s_cbranch_execz .LBB1361_169
; %bb.171:                              ;   in Loop: Header=BB1361_170 Depth=1
	s_add_u32 s40, s40, -1
	s_addc_u32 s41, s41, -1
	v_add_co_u32_e32 v10, vcc, 2, v10
	s_cmp_eq_u64 s[40:41], 0
	v_addc_co_u32_e32 v11, vcc, 0, v11, vcc
	s_cselect_b64 s[2:3], -1, 0
	v_add_co_u32_e32 v14, vcc, 2, v14
	s_andn2_b64 s[38:39], s[38:39], exec
	s_and_b64 s[42:43], s[46:47], exec
	s_andn2_b64 s[36:37], s[36:37], exec
	s_and_b64 s[2:3], s[2:3], exec
	v_addc_co_u32_e32 v15, vcc, 0, v15, vcc
	s_or_b64 s[38:39], s[38:39], s[42:43]
	s_andn2_b64 s[0:1], s[0:1], exec
	s_or_b64 s[36:37], s[36:37], s[2:3]
                                        ; implicit-def: $sgpr42_sgpr43
	s_branch .LBB1361_169
.LBB1361_172:
	s_or_b64 exec, exec, s[30:31]
	v_cndmask_b32_e64 v7, v7, v9, s[34:35]
	v_cndmask_b32_e64 v6, v6, v8, s[34:35]
.LBB1361_173:
	v_pk_mov_b32 v[8:9], v[6:7], v[6:7] op_sel:[0,1]
.LBB1361_174:
	s_or_b64 exec, exec, s[28:29]
	v_pk_mov_b32 v[6:7], v[8:9], v[8:9] op_sel:[0,1]
.LBB1361_175:
	s_or_b64 exec, exec, s[26:27]
.LBB1361_176:
	s_or_b64 exec, exec, s[4:5]
	v_and_b32_e32 v20, 0x1e0, v18
	v_or_b32_e32 v8, 16, v20
	v_min_u32_e32 v14, v17, v8
	v_add_u32_e32 v8, 16, v14
	v_min_u32_e32 v15, v17, v8
	v_and_b32_e32 v8, 28, v18
	v_min_u32_e32 v21, v17, v8
	v_sub_u32_e32 v8, v14, v20
	v_sub_u32_e32 v9, v15, v14
	v_sub_u32_e64 v23, v21, v9 clamp
	v_min_u32_e32 v24, v21, v8
	v_lshl_add_u32 v22, v20, 3, v16
	v_cmp_lt_u32_e32 vcc, v23, v24
	; wave barrier
	ds_write_b128 v19, v[0:3]
	ds_write_b128 v19, v[4:7] offset:16
	; wave barrier
	s_and_saveexec_b64 s[26:27], vcc
	s_cbranch_execz .LBB1361_186
; %bb.177:
	v_lshlrev_b32_e32 v8, 3, v14
	v_lshlrev_b32_e32 v9, 3, v21
	v_add3_u32 v25, v16, v8, v9
	v_cndmask_b32_e64 v8, 0, 1, s[24:25]
	s_lshl_b64 s[30:31], s[16:17], 1
	s_mov_b64 s[28:29], 0
	v_cmp_ne_u32_e64 s[0:1], 1, v8
	s_branch .LBB1361_180
.LBB1361_178:                           ;   in Loop: Header=BB1361_180 Depth=1
	s_or_b64 exec, exec, s[36:37]
.LBB1361_179:                           ;   in Loop: Header=BB1361_180 Depth=1
	v_add_u32_e32 v8, 1, v37
	v_cndmask_b32_e64 v24, v24, v37, s[34:35]
	v_cndmask_b32_e64 v23, v8, v23, s[34:35]
	v_cmp_ge_u32_e32 vcc, v23, v24
	s_or_b64 s[28:29], vcc, s[28:29]
	s_andn2_b64 exec, exec, s[28:29]
	s_cbranch_execz .LBB1361_185
.LBB1361_180:                           ; =>This Loop Header: Depth=1
                                        ;     Child Loop BB1361_183 Depth 2
	v_add_u32_e32 v8, v24, v23
	v_lshrrev_b32_e32 v37, 1, v8
	s_and_b64 vcc, exec, s[0:1]
	s_mov_b64 s[34:35], 0
	s_cbranch_vccnz .LBB1361_179
; %bb.181:                              ;   in Loop: Header=BB1361_180 Depth=1
	v_not_b32_e32 v8, v37
	v_lshl_add_u32 v8, v8, 3, v25
	ds_read_b64 v[8:9], v8
	v_lshl_add_u32 v38, v37, 3, v22
	ds_read_b64 v[38:39], v38
	v_pk_mov_b32 v[10:11], s[18:19], s[18:19] op_sel:[0,1]
	s_mov_b64 s[36:37], 0
	s_waitcnt lgkmcnt(1)
	v_mul_lo_u32 v40, s30, v9
	v_mul_lo_u32 v41, s31, v8
	v_mad_u64_u32 v[8:9], s[2:3], s30, v8, v[10:11]
	v_add3_u32 v9, v41, v9, v40
	s_waitcnt lgkmcnt(0)
	v_mul_lo_u32 v39, s30, v39
	v_mul_lo_u32 v40, s31, v38
	v_mad_u64_u32 v[10:11], s[2:3], s30, v38, v[10:11]
	v_add3_u32 v11, v40, v11, v39
	s_mov_b64 s[42:43], s[16:17]
                                        ; implicit-def: $sgpr34_sgpr35
                                        ; implicit-def: $sgpr38_sgpr39
                                        ; implicit-def: $sgpr40_sgpr41
                                        ; implicit-def: $sgpr2_sgpr3
                                        ; implicit-def: $sgpr44_sgpr45
	s_branch .LBB1361_183
.LBB1361_182:                           ;   in Loop: Header=BB1361_183 Depth=2
	s_or_b64 exec, exec, s[46:47]
	s_and_b64 s[4:5], exec, s[38:39]
	s_or_b64 s[36:37], s[4:5], s[36:37]
	s_andn2_b64 s[4:5], s[44:45], exec
	s_and_b64 s[44:45], s[40:41], exec
	s_or_b64 s[44:45], s[4:5], s[44:45]
	s_andn2_b64 s[4:5], s[34:35], exec
	s_and_b64 s[34:35], s[2:3], exec
	s_or_b64 s[34:35], s[4:5], s[34:35]
	s_andn2_b64 exec, exec, s[36:37]
	s_cbranch_execz .LBB1361_178
.LBB1361_183:                           ;   Parent Loop BB1361_180 Depth=1
                                        ; =>  This Inner Loop Header: Depth=2
	global_load_ushort v38, v[8:9], off
	global_load_ushort v39, v[10:11], off
	s_andn2_b64 s[46:47], s[2:3], exec
	s_andn2_b64 s[40:41], s[40:41], exec
	s_or_b64 s[38:39], s[38:39], exec
	s_waitcnt vmcnt(0)
	v_cmp_le_u16_e64 s[2:3], v38, v39
	v_cmp_lt_u16_e32 vcc, v38, v39
	s_and_b64 s[2:3], s[2:3], s[44:45]
	s_or_b64 s[48:49], vcc, s[2:3]
	s_and_b64 s[2:3], s[48:49], exec
	v_cmp_eq_u16_e64 s[4:5], v38, v39
	s_or_b64 s[2:3], s[46:47], s[2:3]
	s_and_saveexec_b64 s[46:47], s[4:5]
	s_cbranch_execz .LBB1361_182
; %bb.184:                              ;   in Loop: Header=BB1361_183 Depth=2
	s_add_u32 s42, s42, -1
	s_addc_u32 s43, s43, -1
	v_add_co_u32_e32 v8, vcc, 2, v8
	s_cmp_eq_u64 s[42:43], 0
	v_addc_co_u32_e32 v9, vcc, 0, v9, vcc
	s_cselect_b64 s[4:5], -1, 0
	v_add_co_u32_e32 v10, vcc, 2, v10
	s_andn2_b64 s[40:41], s[40:41], exec
	s_and_b64 s[44:45], s[48:49], exec
	s_andn2_b64 s[38:39], s[38:39], exec
	s_and_b64 s[4:5], s[4:5], exec
	v_addc_co_u32_e32 v11, vcc, 0, v11, vcc
	s_andn2_b64 s[2:3], s[2:3], exec
	s_or_b64 s[40:41], s[40:41], s[44:45]
	s_or_b64 s[38:39], s[38:39], s[4:5]
                                        ; implicit-def: $sgpr44_sgpr45
	s_branch .LBB1361_182
.LBB1361_185:
	s_or_b64 exec, exec, s[28:29]
.LBB1361_186:
	s_or_b64 exec, exec, s[26:27]
	v_add_u32_e32 v8, v14, v21
	v_add_u32_e32 v20, v23, v20
	v_sub_u32_e32 v21, v8, v23
	v_cmp_le_u32_e32 vcc, v20, v14
	v_cmp_le_u32_e64 s[0:1], v21, v15
	s_or_b64 s[0:1], vcc, s[0:1]
	s_and_saveexec_b64 s[4:5], s[0:1]
	s_cbranch_execz .LBB1361_233
; %bb.187:
	v_cmp_ge_u32_e32 vcc, v20, v14
	v_cmp_lt_u32_e64 s[0:1], v20, v14
                                        ; implicit-def: $vgpr0_vgpr1
	s_and_saveexec_b64 s[2:3], s[0:1]
	s_cbranch_execz .LBB1361_189
; %bb.188:
	v_lshl_add_u32 v0, v23, 3, v22
	ds_read_b64 v[0:1], v0
.LBB1361_189:
	s_or_b64 exec, exec, s[2:3]
	v_cmp_ge_u32_e64 s[26:27], v21, v15
	v_cmp_lt_u32_e64 s[0:1], v21, v15
                                        ; implicit-def: $vgpr4_vgpr5
	s_and_saveexec_b64 s[2:3], s[0:1]
	s_cbranch_execz .LBB1361_191
; %bb.190:
	v_lshl_add_u32 v2, v21, 3, v16
	ds_read_b64 v[4:5], v2
.LBB1361_191:
	s_or_b64 exec, exec, s[2:3]
	s_or_b64 s[0:1], vcc, s[26:27]
	s_mov_b64 s[28:29], -1
	s_xor_b64 s[0:1], s[0:1], -1
	s_and_saveexec_b64 s[30:31], s[0:1]
	s_cbranch_execz .LBB1361_200
; %bb.192:
	s_andn2_b64 vcc, exec, s[24:25]
	s_cbranch_vccnz .LBB1361_198
; %bb.193:
	s_waitcnt lgkmcnt(0)
	v_mul_lo_u32 v6, v5, s16
	v_mul_lo_u32 v7, v4, s17
	v_mad_u64_u32 v[2:3], s[0:1], v4, s16, 0
	v_add3_u32 v3, v3, v7, v6
	v_lshlrev_b64 v[2:3], 1, v[2:3]
	v_mov_b32_e32 v6, s19
	v_add_co_u32_e32 v2, vcc, s18, v2
	v_addc_co_u32_e32 v3, vcc, v6, v3, vcc
	v_mul_lo_u32 v8, v1, s16
	v_mul_lo_u32 v9, v0, s17
	v_mad_u64_u32 v[6:7], s[0:1], v0, s16, 0
	v_add3_u32 v7, v7, v9, v8
	v_lshlrev_b64 v[6:7], 1, v[6:7]
	v_mov_b32_e32 v8, s19
	v_add_co_u32_e32 v6, vcc, s18, v6
	v_addc_co_u32_e32 v7, vcc, v8, v7, vcc
	s_mov_b64 s[34:35], 0
	s_mov_b64 s[42:43], s[16:17]
                                        ; implicit-def: $sgpr36_sgpr37
                                        ; implicit-def: $sgpr38_sgpr39
                                        ; implicit-def: $sgpr0_sgpr1
                                        ; implicit-def: $sgpr40_sgpr41
                                        ; implicit-def: $sgpr44_sgpr45
	s_branch .LBB1361_195
.LBB1361_194:                           ;   in Loop: Header=BB1361_195 Depth=1
	s_or_b64 exec, exec, s[46:47]
	s_and_b64 s[2:3], exec, s[38:39]
	s_or_b64 s[34:35], s[2:3], s[34:35]
	s_andn2_b64 s[2:3], s[44:45], exec
	s_and_b64 s[44:45], s[40:41], exec
	s_or_b64 s[44:45], s[2:3], s[44:45]
	s_andn2_b64 s[2:3], s[36:37], exec
	s_and_b64 s[36:37], s[0:1], exec
	s_or_b64 s[36:37], s[2:3], s[36:37]
	s_andn2_b64 exec, exec, s[34:35]
	s_cbranch_execz .LBB1361_197
.LBB1361_195:                           ; =>This Inner Loop Header: Depth=1
	global_load_ushort v8, v[2:3], off
	global_load_ushort v9, v[6:7], off
	s_andn2_b64 s[46:47], s[0:1], exec
	s_andn2_b64 s[40:41], s[40:41], exec
	s_or_b64 s[38:39], s[38:39], exec
	s_waitcnt vmcnt(0)
	v_cmp_le_u16_e64 s[0:1], v8, v9
	v_cmp_lt_u16_e32 vcc, v8, v9
	s_and_b64 s[0:1], s[0:1], s[44:45]
	s_or_b64 s[48:49], vcc, s[0:1]
	s_and_b64 s[0:1], s[48:49], exec
	v_cmp_eq_u16_e64 s[2:3], v8, v9
	s_or_b64 s[0:1], s[46:47], s[0:1]
	s_and_saveexec_b64 s[46:47], s[2:3]
	s_cbranch_execz .LBB1361_194
; %bb.196:                              ;   in Loop: Header=BB1361_195 Depth=1
	s_add_u32 s42, s42, -1
	s_addc_u32 s43, s43, -1
	v_add_co_u32_e32 v2, vcc, 2, v2
	s_cmp_eq_u64 s[42:43], 0
	v_addc_co_u32_e32 v3, vcc, 0, v3, vcc
	s_cselect_b64 s[2:3], -1, 0
	v_add_co_u32_e32 v6, vcc, 2, v6
	s_andn2_b64 s[40:41], s[40:41], exec
	s_and_b64 s[44:45], s[48:49], exec
	s_andn2_b64 s[38:39], s[38:39], exec
	s_and_b64 s[2:3], s[2:3], exec
	v_addc_co_u32_e32 v7, vcc, 0, v7, vcc
	s_or_b64 s[40:41], s[40:41], s[44:45]
	s_andn2_b64 s[0:1], s[0:1], exec
	s_or_b64 s[38:39], s[38:39], s[2:3]
                                        ; implicit-def: $sgpr44_sgpr45
	s_branch .LBB1361_194
.LBB1361_197:
	s_or_b64 exec, exec, s[34:35]
	s_xor_b64 s[0:1], s[36:37], -1
	s_branch .LBB1361_199
.LBB1361_198:
	s_mov_b64 s[0:1], -1
.LBB1361_199:
	s_andn2_b64 s[2:3], s[26:27], exec
	s_and_b64 s[0:1], s[0:1], exec
	s_or_b64 s[26:27], s[2:3], s[0:1]
.LBB1361_200:
	s_or_b64 exec, exec, s[30:31]
	v_cndmask_b32_e64 v2, v21, v20, s[26:27]
	v_cndmask_b32_e64 v3, v15, v14, s[26:27]
	v_add_u32_e32 v6, 1, v2
	v_add_u32_e32 v2, -1, v3
	v_min_u32_e32 v2, v6, v2
	v_lshl_add_u32 v2, v2, 3, v16
	ds_read_b64 v[2:3], v2
	v_cndmask_b32_e64 v22, v6, v21, s[26:27]
	v_cndmask_b32_e64 v37, v20, v6, s[26:27]
	v_cmp_lt_u32_e32 vcc, v22, v15
	s_waitcnt lgkmcnt(0)
	v_cndmask_b32_e64 v8, v3, v5, s[26:27]
	v_cndmask_b32_e64 v9, v2, v4, s[26:27]
	;; [unrolled: 1-line block ×4, first 2 shown]
	s_and_saveexec_b64 s[30:31], vcc
	s_cbranch_execz .LBB1361_211
; %bb.201:
	v_cmp_lt_u32_e32 vcc, v37, v14
	s_mov_b64 s[0:1], 0
	s_and_saveexec_b64 s[28:29], vcc
	s_cbranch_execz .LBB1361_210
; %bb.202:
	s_andn2_b64 vcc, exec, s[24:25]
	s_cbranch_vccnz .LBB1361_208
; %bb.203:
	v_mul_lo_u32 v6, v8, s16
	v_mul_lo_u32 v7, v9, s17
	v_mad_u64_u32 v[2:3], s[0:1], v9, s16, 0
	v_add3_u32 v3, v3, v7, v6
	v_lshlrev_b64 v[2:3], 1, v[2:3]
	v_mov_b32_e32 v6, s19
	v_add_co_u32_e32 v2, vcc, s18, v2
	v_addc_co_u32_e32 v3, vcc, v6, v3, vcc
	v_mul_lo_u32 v20, v10, s16
	v_mul_lo_u32 v21, v11, s17
	v_mad_u64_u32 v[6:7], s[0:1], v11, s16, 0
	v_add3_u32 v7, v7, v21, v20
	v_lshlrev_b64 v[6:7], 1, v[6:7]
	v_mov_b32_e32 v20, s19
	v_add_co_u32_e32 v6, vcc, s18, v6
	v_addc_co_u32_e32 v7, vcc, v20, v7, vcc
	s_mov_b64 s[34:35], 0
	s_mov_b64 s[42:43], s[16:17]
                                        ; implicit-def: $sgpr36_sgpr37
                                        ; implicit-def: $sgpr38_sgpr39
                                        ; implicit-def: $sgpr0_sgpr1
                                        ; implicit-def: $sgpr40_sgpr41
                                        ; implicit-def: $sgpr44_sgpr45
	s_branch .LBB1361_205
.LBB1361_204:                           ;   in Loop: Header=BB1361_205 Depth=1
	s_or_b64 exec, exec, s[46:47]
	s_and_b64 s[2:3], exec, s[38:39]
	s_or_b64 s[34:35], s[2:3], s[34:35]
	s_andn2_b64 s[2:3], s[44:45], exec
	s_and_b64 s[44:45], s[40:41], exec
	s_or_b64 s[44:45], s[2:3], s[44:45]
	s_andn2_b64 s[2:3], s[36:37], exec
	s_and_b64 s[36:37], s[0:1], exec
	s_or_b64 s[36:37], s[2:3], s[36:37]
	s_andn2_b64 exec, exec, s[34:35]
	s_cbranch_execz .LBB1361_207
.LBB1361_205:                           ; =>This Inner Loop Header: Depth=1
	global_load_ushort v20, v[2:3], off
	global_load_ushort v21, v[6:7], off
	s_andn2_b64 s[46:47], s[0:1], exec
	s_andn2_b64 s[40:41], s[40:41], exec
	s_or_b64 s[38:39], s[38:39], exec
	s_waitcnt vmcnt(0)
	v_cmp_le_u16_e64 s[0:1], v20, v21
	v_cmp_lt_u16_e32 vcc, v20, v21
	s_and_b64 s[0:1], s[0:1], s[44:45]
	s_or_b64 s[48:49], vcc, s[0:1]
	s_and_b64 s[0:1], s[48:49], exec
	v_cmp_eq_u16_e64 s[2:3], v20, v21
	s_or_b64 s[0:1], s[46:47], s[0:1]
	s_and_saveexec_b64 s[46:47], s[2:3]
	s_cbranch_execz .LBB1361_204
; %bb.206:                              ;   in Loop: Header=BB1361_205 Depth=1
	s_add_u32 s42, s42, -1
	s_addc_u32 s43, s43, -1
	v_add_co_u32_e32 v2, vcc, 2, v2
	s_cmp_eq_u64 s[42:43], 0
	v_addc_co_u32_e32 v3, vcc, 0, v3, vcc
	s_cselect_b64 s[2:3], -1, 0
	v_add_co_u32_e32 v6, vcc, 2, v6
	s_andn2_b64 s[40:41], s[40:41], exec
	s_and_b64 s[44:45], s[48:49], exec
	s_andn2_b64 s[38:39], s[38:39], exec
	s_and_b64 s[2:3], s[2:3], exec
	v_addc_co_u32_e32 v7, vcc, 0, v7, vcc
	s_or_b64 s[40:41], s[40:41], s[44:45]
	s_andn2_b64 s[0:1], s[0:1], exec
	s_or_b64 s[38:39], s[38:39], s[2:3]
                                        ; implicit-def: $sgpr44_sgpr45
	s_branch .LBB1361_204
.LBB1361_207:
	s_or_b64 exec, exec, s[34:35]
	s_xor_b64 s[0:1], s[36:37], -1
	s_branch .LBB1361_209
.LBB1361_208:
	s_mov_b64 s[0:1], -1
.LBB1361_209:
	s_and_b64 s[0:1], s[0:1], exec
.LBB1361_210:
	s_or_b64 exec, exec, s[28:29]
	s_orn2_b64 s[28:29], s[0:1], exec
.LBB1361_211:
	s_or_b64 exec, exec, s[30:31]
	v_cndmask_b32_e64 v2, v22, v37, s[28:29]
	v_cndmask_b32_e64 v3, v15, v14, s[28:29]
	v_add_u32_e32 v6, 1, v2
	v_add_u32_e32 v2, -1, v3
	v_min_u32_e32 v2, v6, v2
	v_lshl_add_u32 v2, v2, 3, v16
	ds_read_b64 v[2:3], v2
	v_cndmask_b32_e64 v23, v6, v22, s[28:29]
	v_cndmask_b32_e64 v22, v37, v6, s[28:29]
	v_cmp_lt_u32_e32 vcc, v23, v15
	s_mov_b64 s[0:1], -1
	s_waitcnt lgkmcnt(0)
	v_cndmask_b32_e64 v20, v3, v8, s[28:29]
	v_cndmask_b32_e64 v21, v2, v9, s[28:29]
	;; [unrolled: 1-line block ×4, first 2 shown]
	s_and_saveexec_b64 s[30:31], vcc
	s_cbranch_execz .LBB1361_222
; %bb.212:
	v_cmp_lt_u32_e32 vcc, v22, v14
	s_mov_b64 s[0:1], 0
	s_and_saveexec_b64 s[34:35], vcc
	s_cbranch_execz .LBB1361_221
; %bb.213:
	s_andn2_b64 vcc, exec, s[24:25]
	s_cbranch_vccnz .LBB1361_219
; %bb.214:
	v_mul_lo_u32 v6, v20, s16
	v_mul_lo_u32 v7, v21, s17
	v_mad_u64_u32 v[2:3], s[0:1], v21, s16, 0
	v_add3_u32 v3, v3, v7, v6
	v_lshlrev_b64 v[2:3], 1, v[2:3]
	v_mov_b32_e32 v6, s19
	v_add_co_u32_e32 v2, vcc, s18, v2
	v_addc_co_u32_e32 v3, vcc, v6, v3, vcc
	v_mul_lo_u32 v37, v24, s16
	v_mul_lo_u32 v38, v25, s17
	v_mad_u64_u32 v[6:7], s[0:1], v25, s16, 0
	v_add3_u32 v7, v7, v38, v37
	v_lshlrev_b64 v[6:7], 1, v[6:7]
	v_mov_b32_e32 v37, s19
	v_add_co_u32_e32 v6, vcc, s18, v6
	v_addc_co_u32_e32 v7, vcc, v37, v7, vcc
	s_mov_b64 s[36:37], 0
	s_mov_b64 s[44:45], s[16:17]
                                        ; implicit-def: $sgpr38_sgpr39
                                        ; implicit-def: $sgpr40_sgpr41
                                        ; implicit-def: $sgpr0_sgpr1
                                        ; implicit-def: $sgpr42_sgpr43
                                        ; implicit-def: $sgpr46_sgpr47
	s_branch .LBB1361_216
.LBB1361_215:                           ;   in Loop: Header=BB1361_216 Depth=1
	s_or_b64 exec, exec, s[48:49]
	s_and_b64 s[2:3], exec, s[40:41]
	s_or_b64 s[36:37], s[2:3], s[36:37]
	s_andn2_b64 s[2:3], s[46:47], exec
	s_and_b64 s[46:47], s[42:43], exec
	s_or_b64 s[46:47], s[2:3], s[46:47]
	s_andn2_b64 s[2:3], s[38:39], exec
	s_and_b64 s[38:39], s[0:1], exec
	s_or_b64 s[38:39], s[2:3], s[38:39]
	s_andn2_b64 exec, exec, s[36:37]
	s_cbranch_execz .LBB1361_218
.LBB1361_216:                           ; =>This Inner Loop Header: Depth=1
	global_load_ushort v37, v[2:3], off
	global_load_ushort v38, v[6:7], off
	s_andn2_b64 s[48:49], s[0:1], exec
	s_andn2_b64 s[42:43], s[42:43], exec
	s_or_b64 s[40:41], s[40:41], exec
	s_waitcnt vmcnt(0)
	v_cmp_le_u16_e64 s[0:1], v37, v38
	v_cmp_lt_u16_e32 vcc, v37, v38
	s_and_b64 s[0:1], s[0:1], s[46:47]
	s_or_b64 s[50:51], vcc, s[0:1]
	s_and_b64 s[0:1], s[50:51], exec
	v_cmp_eq_u16_e64 s[2:3], v37, v38
	s_or_b64 s[0:1], s[48:49], s[0:1]
	s_and_saveexec_b64 s[48:49], s[2:3]
	s_cbranch_execz .LBB1361_215
; %bb.217:                              ;   in Loop: Header=BB1361_216 Depth=1
	s_add_u32 s44, s44, -1
	s_addc_u32 s45, s45, -1
	v_add_co_u32_e32 v2, vcc, 2, v2
	s_cmp_eq_u64 s[44:45], 0
	v_addc_co_u32_e32 v3, vcc, 0, v3, vcc
	s_cselect_b64 s[2:3], -1, 0
	v_add_co_u32_e32 v6, vcc, 2, v6
	s_andn2_b64 s[42:43], s[42:43], exec
	s_and_b64 s[46:47], s[50:51], exec
	s_andn2_b64 s[40:41], s[40:41], exec
	s_and_b64 s[2:3], s[2:3], exec
	v_addc_co_u32_e32 v7, vcc, 0, v7, vcc
	s_or_b64 s[42:43], s[42:43], s[46:47]
	s_andn2_b64 s[0:1], s[0:1], exec
	s_or_b64 s[40:41], s[40:41], s[2:3]
                                        ; implicit-def: $sgpr46_sgpr47
	s_branch .LBB1361_215
.LBB1361_218:
	s_or_b64 exec, exec, s[36:37]
	s_xor_b64 s[0:1], s[38:39], -1
	s_branch .LBB1361_220
.LBB1361_219:
	s_mov_b64 s[0:1], -1
.LBB1361_220:
	s_and_b64 s[0:1], s[0:1], exec
.LBB1361_221:
	s_or_b64 exec, exec, s[34:35]
	s_orn2_b64 s[0:1], s[0:1], exec
.LBB1361_222:
	s_or_b64 exec, exec, s[30:31]
	v_cndmask_b32_e64 v6, v23, v22, s[0:1]
	v_cndmask_b32_e64 v7, v15, v14, s[0:1]
	;; [unrolled: 1-line block ×3, first 2 shown]
	v_add_u32_e32 v10, 1, v6
	v_add_u32_e32 v6, -1, v7
	v_min_u32_e32 v6, v10, v6
	v_lshl_add_u32 v6, v6, 3, v16
	v_cndmask_b32_e64 v2, v9, v11, s[28:29]
	ds_read_b64 v[8:9], v6
	v_cndmask_b32_e64 v11, v10, v23, s[0:1]
	v_cndmask_b32_e64 v1, v5, v1, s[26:27]
	;; [unrolled: 1-line block ×5, first 2 shown]
	s_waitcnt lgkmcnt(0)
	v_cndmask_b32_e64 v7, v24, v9, s[0:1]
	v_cndmask_b32_e64 v6, v25, v8, s[0:1]
	v_cmp_lt_u32_e32 vcc, v11, v15
	s_and_saveexec_b64 s[26:27], vcc
	s_cbranch_execz .LBB1361_232
; %bb.223:
	v_cndmask_b32_e64 v10, v22, v10, s[0:1]
	v_cndmask_b32_e64 v9, v9, v20, s[0:1]
	;; [unrolled: 1-line block ×3, first 2 shown]
	v_cmp_lt_u32_e32 vcc, v10, v14
	s_and_saveexec_b64 s[28:29], vcc
	s_cbranch_execz .LBB1361_231
; %bb.224:
	s_andn2_b64 vcc, exec, s[24:25]
	s_cbranch_vccnz .LBB1361_230
; %bb.225:
	v_mul_lo_u32 v14, v9, s16
	v_mul_lo_u32 v15, v8, s17
	v_mad_u64_u32 v[10:11], s[0:1], v8, s16, 0
	v_add3_u32 v11, v11, v15, v14
	v_lshlrev_b64 v[10:11], 1, v[10:11]
	v_mov_b32_e32 v14, s19
	v_add_co_u32_e32 v10, vcc, s18, v10
	v_addc_co_u32_e32 v11, vcc, v14, v11, vcc
	v_mul_lo_u32 v20, v7, s16
	v_mul_lo_u32 v21, v6, s17
	v_mad_u64_u32 v[14:15], s[0:1], v6, s16, 0
	v_add3_u32 v15, v15, v21, v20
	v_lshlrev_b64 v[14:15], 1, v[14:15]
	v_mov_b32_e32 v20, s19
	v_add_co_u32_e32 v14, vcc, s18, v14
	v_addc_co_u32_e32 v15, vcc, v20, v15, vcc
	s_mov_b64 s[30:31], 0
	s_mov_b64 s[40:41], s[16:17]
                                        ; implicit-def: $sgpr34_sgpr35
                                        ; implicit-def: $sgpr36_sgpr37
                                        ; implicit-def: $sgpr0_sgpr1
                                        ; implicit-def: $sgpr38_sgpr39
                                        ; implicit-def: $sgpr42_sgpr43
	s_branch .LBB1361_227
.LBB1361_226:                           ;   in Loop: Header=BB1361_227 Depth=1
	s_or_b64 exec, exec, s[44:45]
	s_and_b64 s[2:3], exec, s[36:37]
	s_or_b64 s[30:31], s[2:3], s[30:31]
	s_andn2_b64 s[2:3], s[42:43], exec
	s_and_b64 s[42:43], s[38:39], exec
	s_or_b64 s[42:43], s[2:3], s[42:43]
	s_andn2_b64 s[2:3], s[34:35], exec
	s_and_b64 s[34:35], s[0:1], exec
	s_or_b64 s[34:35], s[2:3], s[34:35]
	s_andn2_b64 exec, exec, s[30:31]
	s_cbranch_execz .LBB1361_229
.LBB1361_227:                           ; =>This Inner Loop Header: Depth=1
	global_load_ushort v20, v[10:11], off
	global_load_ushort v21, v[14:15], off
	s_andn2_b64 s[44:45], s[0:1], exec
	s_andn2_b64 s[38:39], s[38:39], exec
	s_or_b64 s[36:37], s[36:37], exec
	s_waitcnt vmcnt(0)
	v_cmp_le_u16_e64 s[0:1], v20, v21
	v_cmp_lt_u16_e32 vcc, v20, v21
	s_and_b64 s[0:1], s[0:1], s[42:43]
	s_or_b64 s[46:47], vcc, s[0:1]
	s_and_b64 s[0:1], s[46:47], exec
	v_cmp_eq_u16_e64 s[2:3], v20, v21
	s_or_b64 s[0:1], s[44:45], s[0:1]
	s_and_saveexec_b64 s[44:45], s[2:3]
	s_cbranch_execz .LBB1361_226
; %bb.228:                              ;   in Loop: Header=BB1361_227 Depth=1
	s_add_u32 s40, s40, -1
	s_addc_u32 s41, s41, -1
	v_add_co_u32_e32 v10, vcc, 2, v10
	s_cmp_eq_u64 s[40:41], 0
	v_addc_co_u32_e32 v11, vcc, 0, v11, vcc
	s_cselect_b64 s[2:3], -1, 0
	v_add_co_u32_e32 v14, vcc, 2, v14
	s_andn2_b64 s[38:39], s[38:39], exec
	s_and_b64 s[42:43], s[46:47], exec
	s_andn2_b64 s[36:37], s[36:37], exec
	s_and_b64 s[2:3], s[2:3], exec
	v_addc_co_u32_e32 v15, vcc, 0, v15, vcc
	s_or_b64 s[38:39], s[38:39], s[42:43]
	s_andn2_b64 s[0:1], s[0:1], exec
	s_or_b64 s[36:37], s[36:37], s[2:3]
                                        ; implicit-def: $sgpr42_sgpr43
	s_branch .LBB1361_226
.LBB1361_229:
	s_or_b64 exec, exec, s[30:31]
	v_cndmask_b32_e64 v7, v7, v9, s[34:35]
	v_cndmask_b32_e64 v6, v6, v8, s[34:35]
.LBB1361_230:
	v_pk_mov_b32 v[8:9], v[6:7], v[6:7] op_sel:[0,1]
.LBB1361_231:
	s_or_b64 exec, exec, s[28:29]
	v_pk_mov_b32 v[6:7], v[8:9], v[8:9] op_sel:[0,1]
.LBB1361_232:
	s_or_b64 exec, exec, s[26:27]
.LBB1361_233:
	s_or_b64 exec, exec, s[4:5]
	v_and_b32_e32 v21, 0x1c0, v18
	v_or_b32_e32 v8, 32, v21
	v_min_u32_e32 v14, v17, v8
	v_add_u32_e32 v8, 32, v14
	v_min_u32_e32 v15, v17, v8
	v_and_b32_e32 v8, 60, v18
	v_min_u32_e32 v18, v17, v8
	v_sub_u32_e32 v8, v14, v21
	v_sub_u32_e32 v9, v15, v14
	v_sub_u32_e64 v20, v18, v9 clamp
	v_min_u32_e32 v17, v18, v8
	; wave barrier
	ds_write_b128 v19, v[0:3]
	ds_write_b128 v19, v[4:7] offset:16
	v_lshl_add_u32 v19, v21, 3, v16
	v_cmp_lt_u32_e32 vcc, v20, v17
	; wave barrier
	s_and_saveexec_b64 s[26:27], vcc
	s_cbranch_execz .LBB1361_243
; %bb.234:
	v_lshlrev_b32_e32 v8, 3, v14
	v_lshlrev_b32_e32 v9, 3, v18
	v_add3_u32 v22, v16, v8, v9
	v_cndmask_b32_e64 v8, 0, 1, s[24:25]
	s_lshl_b64 s[30:31], s[16:17], 1
	s_mov_b64 s[28:29], 0
	v_cmp_ne_u32_e64 s[0:1], 1, v8
	s_branch .LBB1361_237
.LBB1361_235:                           ;   in Loop: Header=BB1361_237 Depth=1
	s_or_b64 exec, exec, s[36:37]
.LBB1361_236:                           ;   in Loop: Header=BB1361_237 Depth=1
	v_add_u32_e32 v8, 1, v23
	v_cndmask_b32_e64 v17, v17, v23, s[34:35]
	v_cndmask_b32_e64 v20, v8, v20, s[34:35]
	v_cmp_ge_u32_e32 vcc, v20, v17
	s_or_b64 s[28:29], vcc, s[28:29]
	s_andn2_b64 exec, exec, s[28:29]
	s_cbranch_execz .LBB1361_242
.LBB1361_237:                           ; =>This Loop Header: Depth=1
                                        ;     Child Loop BB1361_240 Depth 2
	v_add_u32_e32 v8, v17, v20
	v_lshrrev_b32_e32 v23, 1, v8
	s_and_b64 vcc, exec, s[0:1]
	s_mov_b64 s[34:35], 0
	s_cbranch_vccnz .LBB1361_236
; %bb.238:                              ;   in Loop: Header=BB1361_237 Depth=1
	v_not_b32_e32 v8, v23
	v_lshl_add_u32 v8, v8, 3, v22
	ds_read_b64 v[8:9], v8
	v_lshl_add_u32 v24, v23, 3, v19
	ds_read_b64 v[24:25], v24
	v_pk_mov_b32 v[10:11], s[18:19], s[18:19] op_sel:[0,1]
	s_mov_b64 s[36:37], 0
	s_waitcnt lgkmcnt(1)
	v_mul_lo_u32 v37, s30, v9
	v_mul_lo_u32 v38, s31, v8
	v_mad_u64_u32 v[8:9], s[2:3], s30, v8, v[10:11]
	v_add3_u32 v9, v38, v9, v37
	s_waitcnt lgkmcnt(0)
	v_mul_lo_u32 v25, s30, v25
	v_mul_lo_u32 v37, s31, v24
	v_mad_u64_u32 v[10:11], s[2:3], s30, v24, v[10:11]
	v_add3_u32 v11, v37, v11, v25
	s_mov_b64 s[42:43], s[16:17]
                                        ; implicit-def: $sgpr34_sgpr35
                                        ; implicit-def: $sgpr38_sgpr39
                                        ; implicit-def: $sgpr40_sgpr41
                                        ; implicit-def: $sgpr2_sgpr3
                                        ; implicit-def: $sgpr44_sgpr45
	s_branch .LBB1361_240
.LBB1361_239:                           ;   in Loop: Header=BB1361_240 Depth=2
	s_or_b64 exec, exec, s[46:47]
	s_and_b64 s[4:5], exec, s[38:39]
	s_or_b64 s[36:37], s[4:5], s[36:37]
	s_andn2_b64 s[4:5], s[44:45], exec
	s_and_b64 s[44:45], s[40:41], exec
	s_or_b64 s[44:45], s[4:5], s[44:45]
	s_andn2_b64 s[4:5], s[34:35], exec
	s_and_b64 s[34:35], s[2:3], exec
	s_or_b64 s[34:35], s[4:5], s[34:35]
	s_andn2_b64 exec, exec, s[36:37]
	s_cbranch_execz .LBB1361_235
.LBB1361_240:                           ;   Parent Loop BB1361_237 Depth=1
                                        ; =>  This Inner Loop Header: Depth=2
	global_load_ushort v24, v[8:9], off
	global_load_ushort v25, v[10:11], off
	s_andn2_b64 s[46:47], s[2:3], exec
	s_andn2_b64 s[40:41], s[40:41], exec
	s_or_b64 s[38:39], s[38:39], exec
	s_waitcnt vmcnt(0)
	v_cmp_le_u16_e64 s[2:3], v24, v25
	v_cmp_lt_u16_e32 vcc, v24, v25
	s_and_b64 s[2:3], s[2:3], s[44:45]
	s_or_b64 s[48:49], vcc, s[2:3]
	s_and_b64 s[2:3], s[48:49], exec
	v_cmp_eq_u16_e64 s[4:5], v24, v25
	s_or_b64 s[2:3], s[46:47], s[2:3]
	s_and_saveexec_b64 s[46:47], s[4:5]
	s_cbranch_execz .LBB1361_239
; %bb.241:                              ;   in Loop: Header=BB1361_240 Depth=2
	s_add_u32 s42, s42, -1
	s_addc_u32 s43, s43, -1
	v_add_co_u32_e32 v8, vcc, 2, v8
	s_cmp_eq_u64 s[42:43], 0
	v_addc_co_u32_e32 v9, vcc, 0, v9, vcc
	s_cselect_b64 s[4:5], -1, 0
	v_add_co_u32_e32 v10, vcc, 2, v10
	s_andn2_b64 s[40:41], s[40:41], exec
	s_and_b64 s[44:45], s[48:49], exec
	s_andn2_b64 s[38:39], s[38:39], exec
	s_and_b64 s[4:5], s[4:5], exec
	v_addc_co_u32_e32 v11, vcc, 0, v11, vcc
	s_andn2_b64 s[2:3], s[2:3], exec
	s_or_b64 s[40:41], s[40:41], s[44:45]
	s_or_b64 s[38:39], s[38:39], s[4:5]
                                        ; implicit-def: $sgpr44_sgpr45
	s_branch .LBB1361_239
.LBB1361_242:
	s_or_b64 exec, exec, s[28:29]
.LBB1361_243:
	s_or_b64 exec, exec, s[26:27]
	v_add_u32_e32 v8, v14, v18
	v_add_u32_e32 v17, v20, v21
	v_sub_u32_e32 v18, v8, v20
	v_cmp_le_u32_e32 vcc, v17, v14
	v_cmp_le_u32_e64 s[0:1], v18, v15
	s_or_b64 s[0:1], vcc, s[0:1]
	s_and_saveexec_b64 s[4:5], s[0:1]
	s_cbranch_execz .LBB1361_290
; %bb.244:
	v_cmp_ge_u32_e32 vcc, v17, v14
	v_cmp_lt_u32_e64 s[0:1], v17, v14
                                        ; implicit-def: $vgpr0_vgpr1
	s_and_saveexec_b64 s[2:3], s[0:1]
	s_cbranch_execz .LBB1361_246
; %bb.245:
	v_lshl_add_u32 v0, v20, 3, v19
	ds_read_b64 v[0:1], v0
.LBB1361_246:
	s_or_b64 exec, exec, s[2:3]
	v_cmp_ge_u32_e64 s[26:27], v18, v15
	v_cmp_lt_u32_e64 s[0:1], v18, v15
                                        ; implicit-def: $vgpr4_vgpr5
	s_and_saveexec_b64 s[2:3], s[0:1]
	s_cbranch_execz .LBB1361_248
; %bb.247:
	v_lshl_add_u32 v2, v18, 3, v16
	ds_read_b64 v[4:5], v2
.LBB1361_248:
	s_or_b64 exec, exec, s[2:3]
	s_or_b64 s[0:1], vcc, s[26:27]
	s_mov_b64 s[28:29], -1
	s_xor_b64 s[0:1], s[0:1], -1
	s_and_saveexec_b64 s[30:31], s[0:1]
	s_cbranch_execz .LBB1361_257
; %bb.249:
	s_andn2_b64 vcc, exec, s[24:25]
	s_cbranch_vccnz .LBB1361_255
; %bb.250:
	s_waitcnt lgkmcnt(0)
	v_mul_lo_u32 v6, v5, s16
	v_mul_lo_u32 v7, v4, s17
	v_mad_u64_u32 v[2:3], s[0:1], v4, s16, 0
	v_add3_u32 v3, v3, v7, v6
	v_lshlrev_b64 v[2:3], 1, v[2:3]
	v_mov_b32_e32 v6, s19
	v_add_co_u32_e32 v2, vcc, s18, v2
	v_addc_co_u32_e32 v3, vcc, v6, v3, vcc
	v_mul_lo_u32 v8, v1, s16
	v_mul_lo_u32 v9, v0, s17
	v_mad_u64_u32 v[6:7], s[0:1], v0, s16, 0
	v_add3_u32 v7, v7, v9, v8
	v_lshlrev_b64 v[6:7], 1, v[6:7]
	v_mov_b32_e32 v8, s19
	v_add_co_u32_e32 v6, vcc, s18, v6
	v_addc_co_u32_e32 v7, vcc, v8, v7, vcc
	s_mov_b64 s[34:35], 0
	s_mov_b64 s[42:43], s[16:17]
                                        ; implicit-def: $sgpr36_sgpr37
                                        ; implicit-def: $sgpr38_sgpr39
                                        ; implicit-def: $sgpr0_sgpr1
                                        ; implicit-def: $sgpr40_sgpr41
                                        ; implicit-def: $sgpr44_sgpr45
	s_branch .LBB1361_252
.LBB1361_251:                           ;   in Loop: Header=BB1361_252 Depth=1
	s_or_b64 exec, exec, s[46:47]
	s_and_b64 s[2:3], exec, s[38:39]
	s_or_b64 s[34:35], s[2:3], s[34:35]
	s_andn2_b64 s[2:3], s[44:45], exec
	s_and_b64 s[44:45], s[40:41], exec
	s_or_b64 s[44:45], s[2:3], s[44:45]
	s_andn2_b64 s[2:3], s[36:37], exec
	s_and_b64 s[36:37], s[0:1], exec
	s_or_b64 s[36:37], s[2:3], s[36:37]
	s_andn2_b64 exec, exec, s[34:35]
	s_cbranch_execz .LBB1361_254
.LBB1361_252:                           ; =>This Inner Loop Header: Depth=1
	global_load_ushort v8, v[2:3], off
	global_load_ushort v9, v[6:7], off
	s_andn2_b64 s[46:47], s[0:1], exec
	s_andn2_b64 s[40:41], s[40:41], exec
	s_or_b64 s[38:39], s[38:39], exec
	s_waitcnt vmcnt(0)
	v_cmp_le_u16_e64 s[0:1], v8, v9
	v_cmp_lt_u16_e32 vcc, v8, v9
	s_and_b64 s[0:1], s[0:1], s[44:45]
	s_or_b64 s[48:49], vcc, s[0:1]
	s_and_b64 s[0:1], s[48:49], exec
	v_cmp_eq_u16_e64 s[2:3], v8, v9
	s_or_b64 s[0:1], s[46:47], s[0:1]
	s_and_saveexec_b64 s[46:47], s[2:3]
	s_cbranch_execz .LBB1361_251
; %bb.253:                              ;   in Loop: Header=BB1361_252 Depth=1
	s_add_u32 s42, s42, -1
	s_addc_u32 s43, s43, -1
	v_add_co_u32_e32 v2, vcc, 2, v2
	s_cmp_eq_u64 s[42:43], 0
	v_addc_co_u32_e32 v3, vcc, 0, v3, vcc
	s_cselect_b64 s[2:3], -1, 0
	v_add_co_u32_e32 v6, vcc, 2, v6
	s_andn2_b64 s[40:41], s[40:41], exec
	s_and_b64 s[44:45], s[48:49], exec
	s_andn2_b64 s[38:39], s[38:39], exec
	s_and_b64 s[2:3], s[2:3], exec
	v_addc_co_u32_e32 v7, vcc, 0, v7, vcc
	s_or_b64 s[40:41], s[40:41], s[44:45]
	s_andn2_b64 s[0:1], s[0:1], exec
	s_or_b64 s[38:39], s[38:39], s[2:3]
                                        ; implicit-def: $sgpr44_sgpr45
	s_branch .LBB1361_251
.LBB1361_254:
	s_or_b64 exec, exec, s[34:35]
	s_xor_b64 s[0:1], s[36:37], -1
	s_branch .LBB1361_256
.LBB1361_255:
	s_mov_b64 s[0:1], -1
.LBB1361_256:
	s_andn2_b64 s[2:3], s[26:27], exec
	s_and_b64 s[0:1], s[0:1], exec
	s_or_b64 s[26:27], s[2:3], s[0:1]
.LBB1361_257:
	s_or_b64 exec, exec, s[30:31]
	v_cndmask_b32_e64 v2, v18, v17, s[26:27]
	v_cndmask_b32_e64 v3, v15, v14, s[26:27]
	v_add_u32_e32 v6, 1, v2
	v_add_u32_e32 v2, -1, v3
	v_min_u32_e32 v2, v6, v2
	v_lshl_add_u32 v2, v2, 3, v16
	ds_read_b64 v[2:3], v2
	v_cndmask_b32_e64 v19, v6, v18, s[26:27]
	v_cndmask_b32_e64 v23, v17, v6, s[26:27]
	v_cmp_lt_u32_e32 vcc, v19, v15
	s_waitcnt lgkmcnt(0)
	v_cndmask_b32_e64 v8, v3, v5, s[26:27]
	v_cndmask_b32_e64 v9, v2, v4, s[26:27]
	;; [unrolled: 1-line block ×4, first 2 shown]
	s_and_saveexec_b64 s[30:31], vcc
	s_cbranch_execz .LBB1361_268
; %bb.258:
	v_cmp_lt_u32_e32 vcc, v23, v14
	s_mov_b64 s[0:1], 0
	s_and_saveexec_b64 s[28:29], vcc
	s_cbranch_execz .LBB1361_267
; %bb.259:
	s_andn2_b64 vcc, exec, s[24:25]
	s_cbranch_vccnz .LBB1361_265
; %bb.260:
	v_mul_lo_u32 v6, v8, s16
	v_mul_lo_u32 v7, v9, s17
	v_mad_u64_u32 v[2:3], s[0:1], v9, s16, 0
	v_add3_u32 v3, v3, v7, v6
	v_lshlrev_b64 v[2:3], 1, v[2:3]
	v_mov_b32_e32 v6, s19
	v_add_co_u32_e32 v2, vcc, s18, v2
	v_addc_co_u32_e32 v3, vcc, v6, v3, vcc
	v_mul_lo_u32 v17, v10, s16
	v_mul_lo_u32 v18, v11, s17
	v_mad_u64_u32 v[6:7], s[0:1], v11, s16, 0
	v_add3_u32 v7, v7, v18, v17
	v_lshlrev_b64 v[6:7], 1, v[6:7]
	v_mov_b32_e32 v17, s19
	v_add_co_u32_e32 v6, vcc, s18, v6
	v_addc_co_u32_e32 v7, vcc, v17, v7, vcc
	s_mov_b64 s[34:35], 0
	s_mov_b64 s[42:43], s[16:17]
                                        ; implicit-def: $sgpr36_sgpr37
                                        ; implicit-def: $sgpr38_sgpr39
                                        ; implicit-def: $sgpr0_sgpr1
                                        ; implicit-def: $sgpr40_sgpr41
                                        ; implicit-def: $sgpr44_sgpr45
	s_branch .LBB1361_262
.LBB1361_261:                           ;   in Loop: Header=BB1361_262 Depth=1
	s_or_b64 exec, exec, s[46:47]
	s_and_b64 s[2:3], exec, s[38:39]
	s_or_b64 s[34:35], s[2:3], s[34:35]
	s_andn2_b64 s[2:3], s[44:45], exec
	s_and_b64 s[44:45], s[40:41], exec
	s_or_b64 s[44:45], s[2:3], s[44:45]
	s_andn2_b64 s[2:3], s[36:37], exec
	s_and_b64 s[36:37], s[0:1], exec
	s_or_b64 s[36:37], s[2:3], s[36:37]
	s_andn2_b64 exec, exec, s[34:35]
	s_cbranch_execz .LBB1361_264
.LBB1361_262:                           ; =>This Inner Loop Header: Depth=1
	global_load_ushort v17, v[2:3], off
	global_load_ushort v18, v[6:7], off
	s_andn2_b64 s[46:47], s[0:1], exec
	s_andn2_b64 s[40:41], s[40:41], exec
	s_or_b64 s[38:39], s[38:39], exec
	s_waitcnt vmcnt(0)
	v_cmp_le_u16_e64 s[0:1], v17, v18
	v_cmp_lt_u16_e32 vcc, v17, v18
	s_and_b64 s[0:1], s[0:1], s[44:45]
	s_or_b64 s[48:49], vcc, s[0:1]
	s_and_b64 s[0:1], s[48:49], exec
	v_cmp_eq_u16_e64 s[2:3], v17, v18
	s_or_b64 s[0:1], s[46:47], s[0:1]
	s_and_saveexec_b64 s[46:47], s[2:3]
	s_cbranch_execz .LBB1361_261
; %bb.263:                              ;   in Loop: Header=BB1361_262 Depth=1
	s_add_u32 s42, s42, -1
	s_addc_u32 s43, s43, -1
	v_add_co_u32_e32 v2, vcc, 2, v2
	s_cmp_eq_u64 s[42:43], 0
	v_addc_co_u32_e32 v3, vcc, 0, v3, vcc
	s_cselect_b64 s[2:3], -1, 0
	v_add_co_u32_e32 v6, vcc, 2, v6
	s_andn2_b64 s[40:41], s[40:41], exec
	s_and_b64 s[44:45], s[48:49], exec
	s_andn2_b64 s[38:39], s[38:39], exec
	s_and_b64 s[2:3], s[2:3], exec
	v_addc_co_u32_e32 v7, vcc, 0, v7, vcc
	s_or_b64 s[40:41], s[40:41], s[44:45]
	s_andn2_b64 s[0:1], s[0:1], exec
	s_or_b64 s[38:39], s[38:39], s[2:3]
                                        ; implicit-def: $sgpr44_sgpr45
	s_branch .LBB1361_261
.LBB1361_264:
	s_or_b64 exec, exec, s[34:35]
	s_xor_b64 s[0:1], s[36:37], -1
	s_branch .LBB1361_266
.LBB1361_265:
	s_mov_b64 s[0:1], -1
.LBB1361_266:
	s_and_b64 s[0:1], s[0:1], exec
.LBB1361_267:
	s_or_b64 exec, exec, s[28:29]
	s_orn2_b64 s[28:29], s[0:1], exec
.LBB1361_268:
	s_or_b64 exec, exec, s[30:31]
	v_cndmask_b32_e64 v2, v19, v23, s[28:29]
	v_cndmask_b32_e64 v3, v15, v14, s[28:29]
	v_add_u32_e32 v6, 1, v2
	v_add_u32_e32 v2, -1, v3
	v_min_u32_e32 v2, v6, v2
	v_lshl_add_u32 v2, v2, 3, v16
	ds_read_b64 v[2:3], v2
	v_cndmask_b32_e64 v20, v6, v19, s[28:29]
	v_cndmask_b32_e64 v19, v23, v6, s[28:29]
	v_cmp_lt_u32_e32 vcc, v20, v15
	s_mov_b64 s[0:1], -1
	s_waitcnt lgkmcnt(0)
	v_cndmask_b32_e64 v17, v3, v8, s[28:29]
	v_cndmask_b32_e64 v18, v2, v9, s[28:29]
	;; [unrolled: 1-line block ×4, first 2 shown]
	s_and_saveexec_b64 s[30:31], vcc
	s_cbranch_execz .LBB1361_279
; %bb.269:
	v_cmp_lt_u32_e32 vcc, v19, v14
	s_mov_b64 s[0:1], 0
	s_and_saveexec_b64 s[34:35], vcc
	s_cbranch_execz .LBB1361_278
; %bb.270:
	s_andn2_b64 vcc, exec, s[24:25]
	s_cbranch_vccnz .LBB1361_276
; %bb.271:
	v_mul_lo_u32 v6, v17, s16
	v_mul_lo_u32 v7, v18, s17
	v_mad_u64_u32 v[2:3], s[0:1], v18, s16, 0
	v_add3_u32 v3, v3, v7, v6
	v_lshlrev_b64 v[2:3], 1, v[2:3]
	v_mov_b32_e32 v6, s19
	v_add_co_u32_e32 v2, vcc, s18, v2
	v_addc_co_u32_e32 v3, vcc, v6, v3, vcc
	v_mul_lo_u32 v23, v21, s16
	v_mul_lo_u32 v24, v22, s17
	v_mad_u64_u32 v[6:7], s[0:1], v22, s16, 0
	v_add3_u32 v7, v7, v24, v23
	v_lshlrev_b64 v[6:7], 1, v[6:7]
	v_mov_b32_e32 v23, s19
	v_add_co_u32_e32 v6, vcc, s18, v6
	v_addc_co_u32_e32 v7, vcc, v23, v7, vcc
	s_mov_b64 s[36:37], 0
	s_mov_b64 s[44:45], s[16:17]
                                        ; implicit-def: $sgpr38_sgpr39
                                        ; implicit-def: $sgpr40_sgpr41
                                        ; implicit-def: $sgpr0_sgpr1
                                        ; implicit-def: $sgpr42_sgpr43
                                        ; implicit-def: $sgpr46_sgpr47
	s_branch .LBB1361_273
.LBB1361_272:                           ;   in Loop: Header=BB1361_273 Depth=1
	s_or_b64 exec, exec, s[48:49]
	s_and_b64 s[2:3], exec, s[40:41]
	s_or_b64 s[36:37], s[2:3], s[36:37]
	s_andn2_b64 s[2:3], s[46:47], exec
	s_and_b64 s[46:47], s[42:43], exec
	s_or_b64 s[46:47], s[2:3], s[46:47]
	s_andn2_b64 s[2:3], s[38:39], exec
	s_and_b64 s[38:39], s[0:1], exec
	s_or_b64 s[38:39], s[2:3], s[38:39]
	s_andn2_b64 exec, exec, s[36:37]
	s_cbranch_execz .LBB1361_275
.LBB1361_273:                           ; =>This Inner Loop Header: Depth=1
	global_load_ushort v23, v[2:3], off
	global_load_ushort v24, v[6:7], off
	s_andn2_b64 s[48:49], s[0:1], exec
	s_andn2_b64 s[42:43], s[42:43], exec
	s_or_b64 s[40:41], s[40:41], exec
	s_waitcnt vmcnt(0)
	v_cmp_le_u16_e64 s[0:1], v23, v24
	v_cmp_lt_u16_e32 vcc, v23, v24
	s_and_b64 s[0:1], s[0:1], s[46:47]
	s_or_b64 s[50:51], vcc, s[0:1]
	s_and_b64 s[0:1], s[50:51], exec
	v_cmp_eq_u16_e64 s[2:3], v23, v24
	s_or_b64 s[0:1], s[48:49], s[0:1]
	s_and_saveexec_b64 s[48:49], s[2:3]
	s_cbranch_execz .LBB1361_272
; %bb.274:                              ;   in Loop: Header=BB1361_273 Depth=1
	s_add_u32 s44, s44, -1
	s_addc_u32 s45, s45, -1
	v_add_co_u32_e32 v2, vcc, 2, v2
	s_cmp_eq_u64 s[44:45], 0
	v_addc_co_u32_e32 v3, vcc, 0, v3, vcc
	s_cselect_b64 s[2:3], -1, 0
	v_add_co_u32_e32 v6, vcc, 2, v6
	s_andn2_b64 s[42:43], s[42:43], exec
	s_and_b64 s[46:47], s[50:51], exec
	s_andn2_b64 s[40:41], s[40:41], exec
	s_and_b64 s[2:3], s[2:3], exec
	v_addc_co_u32_e32 v7, vcc, 0, v7, vcc
	s_or_b64 s[42:43], s[42:43], s[46:47]
	s_andn2_b64 s[0:1], s[0:1], exec
	s_or_b64 s[40:41], s[40:41], s[2:3]
                                        ; implicit-def: $sgpr46_sgpr47
	s_branch .LBB1361_272
.LBB1361_275:
	s_or_b64 exec, exec, s[36:37]
	s_xor_b64 s[0:1], s[38:39], -1
	s_branch .LBB1361_277
.LBB1361_276:
	s_mov_b64 s[0:1], -1
.LBB1361_277:
	s_and_b64 s[0:1], s[0:1], exec
.LBB1361_278:
	s_or_b64 exec, exec, s[34:35]
	s_orn2_b64 s[0:1], s[0:1], exec
.LBB1361_279:
	s_or_b64 exec, exec, s[30:31]
	v_cndmask_b32_e64 v6, v20, v19, s[0:1]
	v_cndmask_b32_e64 v7, v15, v14, s[0:1]
	;; [unrolled: 1-line block ×3, first 2 shown]
	v_add_u32_e32 v10, 1, v6
	v_add_u32_e32 v6, -1, v7
	v_min_u32_e32 v6, v10, v6
	v_lshl_add_u32 v6, v6, 3, v16
	v_cndmask_b32_e64 v2, v9, v11, s[28:29]
	ds_read_b64 v[8:9], v6
	v_cndmask_b32_e64 v11, v10, v20, s[0:1]
	v_cndmask_b32_e64 v1, v5, v1, s[26:27]
	;; [unrolled: 1-line block ×5, first 2 shown]
	s_waitcnt lgkmcnt(0)
	v_cndmask_b32_e64 v7, v21, v9, s[0:1]
	v_cndmask_b32_e64 v6, v22, v8, s[0:1]
	v_cmp_lt_u32_e32 vcc, v11, v15
	s_and_saveexec_b64 s[26:27], vcc
	s_cbranch_execz .LBB1361_289
; %bb.280:
	v_cndmask_b32_e64 v10, v19, v10, s[0:1]
	v_cndmask_b32_e64 v9, v9, v17, s[0:1]
	;; [unrolled: 1-line block ×3, first 2 shown]
	v_cmp_lt_u32_e32 vcc, v10, v14
	s_and_saveexec_b64 s[28:29], vcc
	s_cbranch_execz .LBB1361_288
; %bb.281:
	s_andn2_b64 vcc, exec, s[24:25]
	s_cbranch_vccnz .LBB1361_287
; %bb.282:
	v_mul_lo_u32 v14, v9, s16
	v_mul_lo_u32 v15, v8, s17
	v_mad_u64_u32 v[10:11], s[0:1], v8, s16, 0
	v_add3_u32 v11, v11, v15, v14
	v_lshlrev_b64 v[10:11], 1, v[10:11]
	v_mov_b32_e32 v14, s19
	v_add_co_u32_e32 v10, vcc, s18, v10
	v_addc_co_u32_e32 v11, vcc, v14, v11, vcc
	v_mul_lo_u32 v16, v7, s16
	v_mul_lo_u32 v17, v6, s17
	v_mad_u64_u32 v[14:15], s[0:1], v6, s16, 0
	v_add3_u32 v15, v15, v17, v16
	v_lshlrev_b64 v[14:15], 1, v[14:15]
	v_mov_b32_e32 v16, s19
	v_add_co_u32_e32 v14, vcc, s18, v14
	v_addc_co_u32_e32 v15, vcc, v16, v15, vcc
	s_mov_b64 s[30:31], 0
	s_mov_b64 s[40:41], s[16:17]
                                        ; implicit-def: $sgpr34_sgpr35
                                        ; implicit-def: $sgpr36_sgpr37
                                        ; implicit-def: $sgpr0_sgpr1
                                        ; implicit-def: $sgpr38_sgpr39
                                        ; implicit-def: $sgpr42_sgpr43
	s_branch .LBB1361_284
.LBB1361_283:                           ;   in Loop: Header=BB1361_284 Depth=1
	s_or_b64 exec, exec, s[44:45]
	s_and_b64 s[2:3], exec, s[36:37]
	s_or_b64 s[30:31], s[2:3], s[30:31]
	s_andn2_b64 s[2:3], s[42:43], exec
	s_and_b64 s[42:43], s[38:39], exec
	s_or_b64 s[42:43], s[2:3], s[42:43]
	s_andn2_b64 s[2:3], s[34:35], exec
	s_and_b64 s[34:35], s[0:1], exec
	s_or_b64 s[34:35], s[2:3], s[34:35]
	s_andn2_b64 exec, exec, s[30:31]
	s_cbranch_execz .LBB1361_286
.LBB1361_284:                           ; =>This Inner Loop Header: Depth=1
	global_load_ushort v16, v[10:11], off
	global_load_ushort v17, v[14:15], off
	s_andn2_b64 s[44:45], s[0:1], exec
	s_andn2_b64 s[38:39], s[38:39], exec
	s_or_b64 s[36:37], s[36:37], exec
	s_waitcnt vmcnt(0)
	v_cmp_le_u16_e64 s[0:1], v16, v17
	v_cmp_lt_u16_e32 vcc, v16, v17
	s_and_b64 s[0:1], s[0:1], s[42:43]
	s_or_b64 s[46:47], vcc, s[0:1]
	s_and_b64 s[0:1], s[46:47], exec
	v_cmp_eq_u16_e64 s[2:3], v16, v17
	s_or_b64 s[0:1], s[44:45], s[0:1]
	s_and_saveexec_b64 s[44:45], s[2:3]
	s_cbranch_execz .LBB1361_283
; %bb.285:                              ;   in Loop: Header=BB1361_284 Depth=1
	s_add_u32 s40, s40, -1
	s_addc_u32 s41, s41, -1
	v_add_co_u32_e32 v10, vcc, 2, v10
	s_cmp_eq_u64 s[40:41], 0
	v_addc_co_u32_e32 v11, vcc, 0, v11, vcc
	s_cselect_b64 s[2:3], -1, 0
	v_add_co_u32_e32 v14, vcc, 2, v14
	s_andn2_b64 s[38:39], s[38:39], exec
	s_and_b64 s[42:43], s[46:47], exec
	s_andn2_b64 s[36:37], s[36:37], exec
	s_and_b64 s[2:3], s[2:3], exec
	v_addc_co_u32_e32 v15, vcc, 0, v15, vcc
	s_or_b64 s[38:39], s[38:39], s[42:43]
	s_andn2_b64 s[0:1], s[0:1], exec
	s_or_b64 s[36:37], s[36:37], s[2:3]
                                        ; implicit-def: $sgpr42_sgpr43
	s_branch .LBB1361_283
.LBB1361_286:
	s_or_b64 exec, exec, s[30:31]
	v_cndmask_b32_e64 v7, v7, v9, s[34:35]
	v_cndmask_b32_e64 v6, v6, v8, s[34:35]
.LBB1361_287:
	v_pk_mov_b32 v[8:9], v[6:7], v[6:7] op_sel:[0,1]
.LBB1361_288:
	s_or_b64 exec, exec, s[28:29]
	v_pk_mov_b32 v[6:7], v[8:9], v[8:9] op_sel:[0,1]
.LBB1361_289:
	s_or_b64 exec, exec, s[26:27]
.LBB1361_290:
	s_or_b64 exec, exec, s[4:5]
	v_and_b32_e32 v17, 0xf80, v27
	v_or_b32_e32 v8, 64, v17
	v_min_u32_e32 v14, 0x400, v8
	v_min_u32_e32 v8, 0x3c0, v8
	v_add_u32_e32 v15, 64, v8
	v_and_b32_e32 v18, 0x7c, v27
	v_sub_u32_e32 v8, v14, v17
	v_sub_u32_e32 v9, v15, v14
	v_sub_u32_e64 v20, v18, v9 clamp
	v_min_u32_e32 v21, v18, v8
	v_lshlrev_b32_e32 v16, 3, v27
	v_lshlrev_b32_e32 v19, 3, v17
	v_cmp_lt_u32_e32 vcc, v20, v21
	; wave barrier
	s_waitcnt lgkmcnt(0)
	s_barrier
	ds_write_b128 v16, v[0:3]
	ds_write_b128 v16, v[4:7] offset:16
	s_waitcnt lgkmcnt(0)
	s_barrier
	s_and_saveexec_b64 s[26:27], vcc
	s_cbranch_execz .LBB1361_300
; %bb.291:
	v_lshlrev_b32_e32 v8, 3, v18
	v_lshl_add_u32 v22, v14, 3, v8
	v_cndmask_b32_e64 v8, 0, 1, s[24:25]
	s_lshl_b64 s[30:31], s[16:17], 1
	s_mov_b64 s[28:29], 0
	v_cmp_ne_u32_e64 s[0:1], 1, v8
	s_branch .LBB1361_294
.LBB1361_292:                           ;   in Loop: Header=BB1361_294 Depth=1
	s_or_b64 exec, exec, s[36:37]
.LBB1361_293:                           ;   in Loop: Header=BB1361_294 Depth=1
	v_add_u32_e32 v8, 1, v23
	v_cndmask_b32_e64 v21, v21, v23, s[34:35]
	v_cndmask_b32_e64 v20, v8, v20, s[34:35]
	v_cmp_ge_u32_e32 vcc, v20, v21
	s_or_b64 s[28:29], vcc, s[28:29]
	s_andn2_b64 exec, exec, s[28:29]
	s_cbranch_execz .LBB1361_299
.LBB1361_294:                           ; =>This Loop Header: Depth=1
                                        ;     Child Loop BB1361_297 Depth 2
	v_add_u32_e32 v8, v21, v20
	v_lshrrev_b32_e32 v23, 1, v8
	s_and_b64 vcc, exec, s[0:1]
	s_mov_b64 s[34:35], 0
	s_cbranch_vccnz .LBB1361_293
; %bb.295:                              ;   in Loop: Header=BB1361_294 Depth=1
	v_not_b32_e32 v8, v23
	v_lshl_add_u32 v8, v8, 3, v22
	ds_read_b64 v[8:9], v8
	v_lshl_add_u32 v24, v23, 3, v19
	ds_read_b64 v[24:25], v24
	v_pk_mov_b32 v[10:11], s[18:19], s[18:19] op_sel:[0,1]
	s_mov_b64 s[36:37], 0
	s_waitcnt lgkmcnt(1)
	v_mul_lo_u32 v37, s30, v9
	v_mul_lo_u32 v38, s31, v8
	v_mad_u64_u32 v[8:9], s[2:3], s30, v8, v[10:11]
	v_add3_u32 v9, v38, v9, v37
	s_waitcnt lgkmcnt(0)
	v_mul_lo_u32 v25, s30, v25
	v_mul_lo_u32 v37, s31, v24
	v_mad_u64_u32 v[10:11], s[2:3], s30, v24, v[10:11]
	v_add3_u32 v11, v37, v11, v25
	s_mov_b64 s[42:43], s[16:17]
                                        ; implicit-def: $sgpr34_sgpr35
                                        ; implicit-def: $sgpr38_sgpr39
                                        ; implicit-def: $sgpr40_sgpr41
                                        ; implicit-def: $sgpr2_sgpr3
                                        ; implicit-def: $sgpr44_sgpr45
	s_branch .LBB1361_297
.LBB1361_296:                           ;   in Loop: Header=BB1361_297 Depth=2
	s_or_b64 exec, exec, s[46:47]
	s_and_b64 s[4:5], exec, s[38:39]
	s_or_b64 s[36:37], s[4:5], s[36:37]
	s_andn2_b64 s[4:5], s[44:45], exec
	s_and_b64 s[44:45], s[40:41], exec
	s_or_b64 s[44:45], s[4:5], s[44:45]
	s_andn2_b64 s[4:5], s[34:35], exec
	s_and_b64 s[34:35], s[2:3], exec
	s_or_b64 s[34:35], s[4:5], s[34:35]
	s_andn2_b64 exec, exec, s[36:37]
	s_cbranch_execz .LBB1361_292
.LBB1361_297:                           ;   Parent Loop BB1361_294 Depth=1
                                        ; =>  This Inner Loop Header: Depth=2
	global_load_ushort v24, v[8:9], off
	global_load_ushort v25, v[10:11], off
	s_andn2_b64 s[46:47], s[2:3], exec
	s_andn2_b64 s[40:41], s[40:41], exec
	s_or_b64 s[38:39], s[38:39], exec
	s_waitcnt vmcnt(0)
	v_cmp_le_u16_e64 s[2:3], v24, v25
	v_cmp_lt_u16_e32 vcc, v24, v25
	s_and_b64 s[2:3], s[2:3], s[44:45]
	s_or_b64 s[48:49], vcc, s[2:3]
	s_and_b64 s[2:3], s[48:49], exec
	v_cmp_eq_u16_e64 s[4:5], v24, v25
	s_or_b64 s[2:3], s[46:47], s[2:3]
	s_and_saveexec_b64 s[46:47], s[4:5]
	s_cbranch_execz .LBB1361_296
; %bb.298:                              ;   in Loop: Header=BB1361_297 Depth=2
	s_add_u32 s42, s42, -1
	s_addc_u32 s43, s43, -1
	v_add_co_u32_e32 v8, vcc, 2, v8
	s_cmp_eq_u64 s[42:43], 0
	v_addc_co_u32_e32 v9, vcc, 0, v9, vcc
	s_cselect_b64 s[4:5], -1, 0
	v_add_co_u32_e32 v10, vcc, 2, v10
	s_andn2_b64 s[40:41], s[40:41], exec
	s_and_b64 s[44:45], s[48:49], exec
	s_andn2_b64 s[38:39], s[38:39], exec
	s_and_b64 s[4:5], s[4:5], exec
	v_addc_co_u32_e32 v11, vcc, 0, v11, vcc
	s_andn2_b64 s[2:3], s[2:3], exec
	s_or_b64 s[40:41], s[40:41], s[44:45]
	s_or_b64 s[38:39], s[38:39], s[4:5]
                                        ; implicit-def: $sgpr44_sgpr45
	s_branch .LBB1361_296
.LBB1361_299:
	s_or_b64 exec, exec, s[28:29]
.LBB1361_300:
	s_or_b64 exec, exec, s[26:27]
	v_sub_u32_e32 v8, v18, v20
	v_add_u32_e32 v17, v20, v17
	v_add_u32_e32 v18, v8, v14
	v_cmp_le_u32_e32 vcc, v17, v14
	v_cmp_le_u32_e64 s[0:1], v18, v15
	s_or_b64 s[0:1], vcc, s[0:1]
	s_and_saveexec_b64 s[4:5], s[0:1]
	s_cbranch_execz .LBB1361_347
; %bb.301:
	v_cmp_ge_u32_e32 vcc, v17, v14
	v_cmp_lt_u32_e64 s[0:1], v17, v14
                                        ; implicit-def: $vgpr0_vgpr1
	s_and_saveexec_b64 s[2:3], s[0:1]
	s_cbranch_execz .LBB1361_303
; %bb.302:
	v_lshl_add_u32 v0, v20, 3, v19
	ds_read_b64 v[0:1], v0
.LBB1361_303:
	s_or_b64 exec, exec, s[2:3]
	v_cmp_ge_u32_e64 s[26:27], v18, v15
	v_cmp_lt_u32_e64 s[0:1], v18, v15
                                        ; implicit-def: $vgpr4_vgpr5
	s_and_saveexec_b64 s[2:3], s[0:1]
	s_cbranch_execz .LBB1361_305
; %bb.304:
	v_lshlrev_b32_e32 v2, 3, v18
	ds_read_b64 v[4:5], v2
.LBB1361_305:
	s_or_b64 exec, exec, s[2:3]
	s_or_b64 s[0:1], vcc, s[26:27]
	s_mov_b64 s[28:29], -1
	s_xor_b64 s[0:1], s[0:1], -1
	s_and_saveexec_b64 s[30:31], s[0:1]
	s_cbranch_execz .LBB1361_314
; %bb.306:
	s_andn2_b64 vcc, exec, s[24:25]
	s_cbranch_vccnz .LBB1361_312
; %bb.307:
	s_waitcnt lgkmcnt(0)
	v_mul_lo_u32 v6, v5, s16
	v_mul_lo_u32 v7, v4, s17
	v_mad_u64_u32 v[2:3], s[0:1], v4, s16, 0
	v_add3_u32 v3, v3, v7, v6
	v_lshlrev_b64 v[2:3], 1, v[2:3]
	v_mov_b32_e32 v6, s19
	v_add_co_u32_e32 v2, vcc, s18, v2
	v_addc_co_u32_e32 v3, vcc, v6, v3, vcc
	v_mul_lo_u32 v8, v1, s16
	v_mul_lo_u32 v9, v0, s17
	v_mad_u64_u32 v[6:7], s[0:1], v0, s16, 0
	v_add3_u32 v7, v7, v9, v8
	v_lshlrev_b64 v[6:7], 1, v[6:7]
	v_mov_b32_e32 v8, s19
	v_add_co_u32_e32 v6, vcc, s18, v6
	v_addc_co_u32_e32 v7, vcc, v8, v7, vcc
	s_mov_b64 s[34:35], 0
	s_mov_b64 s[42:43], s[16:17]
                                        ; implicit-def: $sgpr36_sgpr37
                                        ; implicit-def: $sgpr38_sgpr39
                                        ; implicit-def: $sgpr0_sgpr1
                                        ; implicit-def: $sgpr40_sgpr41
                                        ; implicit-def: $sgpr44_sgpr45
	s_branch .LBB1361_309
.LBB1361_308:                           ;   in Loop: Header=BB1361_309 Depth=1
	s_or_b64 exec, exec, s[46:47]
	s_and_b64 s[2:3], exec, s[38:39]
	s_or_b64 s[34:35], s[2:3], s[34:35]
	s_andn2_b64 s[2:3], s[44:45], exec
	s_and_b64 s[44:45], s[40:41], exec
	s_or_b64 s[44:45], s[2:3], s[44:45]
	s_andn2_b64 s[2:3], s[36:37], exec
	s_and_b64 s[36:37], s[0:1], exec
	s_or_b64 s[36:37], s[2:3], s[36:37]
	s_andn2_b64 exec, exec, s[34:35]
	s_cbranch_execz .LBB1361_311
.LBB1361_309:                           ; =>This Inner Loop Header: Depth=1
	global_load_ushort v8, v[2:3], off
	global_load_ushort v9, v[6:7], off
	s_andn2_b64 s[46:47], s[0:1], exec
	s_andn2_b64 s[40:41], s[40:41], exec
	s_or_b64 s[38:39], s[38:39], exec
	s_waitcnt vmcnt(0)
	v_cmp_le_u16_e64 s[0:1], v8, v9
	v_cmp_lt_u16_e32 vcc, v8, v9
	s_and_b64 s[0:1], s[0:1], s[44:45]
	s_or_b64 s[48:49], vcc, s[0:1]
	s_and_b64 s[0:1], s[48:49], exec
	v_cmp_eq_u16_e64 s[2:3], v8, v9
	s_or_b64 s[0:1], s[46:47], s[0:1]
	s_and_saveexec_b64 s[46:47], s[2:3]
	s_cbranch_execz .LBB1361_308
; %bb.310:                              ;   in Loop: Header=BB1361_309 Depth=1
	s_add_u32 s42, s42, -1
	s_addc_u32 s43, s43, -1
	v_add_co_u32_e32 v2, vcc, 2, v2
	s_cmp_eq_u64 s[42:43], 0
	v_addc_co_u32_e32 v3, vcc, 0, v3, vcc
	s_cselect_b64 s[2:3], -1, 0
	v_add_co_u32_e32 v6, vcc, 2, v6
	s_andn2_b64 s[40:41], s[40:41], exec
	s_and_b64 s[44:45], s[48:49], exec
	s_andn2_b64 s[38:39], s[38:39], exec
	s_and_b64 s[2:3], s[2:3], exec
	v_addc_co_u32_e32 v7, vcc, 0, v7, vcc
	s_or_b64 s[40:41], s[40:41], s[44:45]
	s_andn2_b64 s[0:1], s[0:1], exec
	s_or_b64 s[38:39], s[38:39], s[2:3]
                                        ; implicit-def: $sgpr44_sgpr45
	s_branch .LBB1361_308
.LBB1361_311:
	s_or_b64 exec, exec, s[34:35]
	s_xor_b64 s[0:1], s[36:37], -1
	s_branch .LBB1361_313
.LBB1361_312:
	s_mov_b64 s[0:1], -1
.LBB1361_313:
	s_andn2_b64 s[2:3], s[26:27], exec
	s_and_b64 s[0:1], s[0:1], exec
	s_or_b64 s[26:27], s[2:3], s[0:1]
.LBB1361_314:
	s_or_b64 exec, exec, s[30:31]
	v_cndmask_b32_e64 v2, v18, v17, s[26:27]
	v_cndmask_b32_e64 v3, v15, v14, s[26:27]
	v_add_u32_e32 v6, 1, v2
	v_add_u32_e32 v2, -1, v3
	v_min_u32_e32 v2, v6, v2
	v_lshlrev_b32_e32 v2, 3, v2
	ds_read_b64 v[2:3], v2
	v_cndmask_b32_e64 v19, v6, v18, s[26:27]
	v_cndmask_b32_e64 v23, v17, v6, s[26:27]
	v_cmp_lt_u32_e32 vcc, v19, v15
	s_waitcnt lgkmcnt(0)
	v_cndmask_b32_e64 v8, v3, v5, s[26:27]
	v_cndmask_b32_e64 v9, v2, v4, s[26:27]
	v_cndmask_b32_e64 v10, v1, v3, s[26:27]
	v_cndmask_b32_e64 v11, v0, v2, s[26:27]
	s_and_saveexec_b64 s[30:31], vcc
	s_cbranch_execz .LBB1361_325
; %bb.315:
	v_cmp_lt_u32_e32 vcc, v23, v14
	s_mov_b64 s[0:1], 0
	s_and_saveexec_b64 s[28:29], vcc
	s_cbranch_execz .LBB1361_324
; %bb.316:
	s_andn2_b64 vcc, exec, s[24:25]
	s_cbranch_vccnz .LBB1361_322
; %bb.317:
	v_mul_lo_u32 v6, v8, s16
	v_mul_lo_u32 v7, v9, s17
	v_mad_u64_u32 v[2:3], s[0:1], v9, s16, 0
	v_add3_u32 v3, v3, v7, v6
	v_lshlrev_b64 v[2:3], 1, v[2:3]
	v_mov_b32_e32 v6, s19
	v_add_co_u32_e32 v2, vcc, s18, v2
	v_addc_co_u32_e32 v3, vcc, v6, v3, vcc
	v_mul_lo_u32 v17, v10, s16
	v_mul_lo_u32 v18, v11, s17
	v_mad_u64_u32 v[6:7], s[0:1], v11, s16, 0
	v_add3_u32 v7, v7, v18, v17
	v_lshlrev_b64 v[6:7], 1, v[6:7]
	v_mov_b32_e32 v17, s19
	v_add_co_u32_e32 v6, vcc, s18, v6
	v_addc_co_u32_e32 v7, vcc, v17, v7, vcc
	s_mov_b64 s[34:35], 0
	s_mov_b64 s[42:43], s[16:17]
                                        ; implicit-def: $sgpr36_sgpr37
                                        ; implicit-def: $sgpr38_sgpr39
                                        ; implicit-def: $sgpr0_sgpr1
                                        ; implicit-def: $sgpr40_sgpr41
                                        ; implicit-def: $sgpr44_sgpr45
	s_branch .LBB1361_319
.LBB1361_318:                           ;   in Loop: Header=BB1361_319 Depth=1
	s_or_b64 exec, exec, s[46:47]
	s_and_b64 s[2:3], exec, s[38:39]
	s_or_b64 s[34:35], s[2:3], s[34:35]
	s_andn2_b64 s[2:3], s[44:45], exec
	s_and_b64 s[44:45], s[40:41], exec
	s_or_b64 s[44:45], s[2:3], s[44:45]
	s_andn2_b64 s[2:3], s[36:37], exec
	s_and_b64 s[36:37], s[0:1], exec
	s_or_b64 s[36:37], s[2:3], s[36:37]
	s_andn2_b64 exec, exec, s[34:35]
	s_cbranch_execz .LBB1361_321
.LBB1361_319:                           ; =>This Inner Loop Header: Depth=1
	global_load_ushort v17, v[2:3], off
	global_load_ushort v18, v[6:7], off
	s_andn2_b64 s[46:47], s[0:1], exec
	s_andn2_b64 s[40:41], s[40:41], exec
	s_or_b64 s[38:39], s[38:39], exec
	s_waitcnt vmcnt(0)
	v_cmp_le_u16_e64 s[0:1], v17, v18
	v_cmp_lt_u16_e32 vcc, v17, v18
	s_and_b64 s[0:1], s[0:1], s[44:45]
	s_or_b64 s[48:49], vcc, s[0:1]
	s_and_b64 s[0:1], s[48:49], exec
	v_cmp_eq_u16_e64 s[2:3], v17, v18
	s_or_b64 s[0:1], s[46:47], s[0:1]
	s_and_saveexec_b64 s[46:47], s[2:3]
	s_cbranch_execz .LBB1361_318
; %bb.320:                              ;   in Loop: Header=BB1361_319 Depth=1
	s_add_u32 s42, s42, -1
	s_addc_u32 s43, s43, -1
	v_add_co_u32_e32 v2, vcc, 2, v2
	s_cmp_eq_u64 s[42:43], 0
	v_addc_co_u32_e32 v3, vcc, 0, v3, vcc
	s_cselect_b64 s[2:3], -1, 0
	v_add_co_u32_e32 v6, vcc, 2, v6
	s_andn2_b64 s[40:41], s[40:41], exec
	s_and_b64 s[44:45], s[48:49], exec
	s_andn2_b64 s[38:39], s[38:39], exec
	s_and_b64 s[2:3], s[2:3], exec
	v_addc_co_u32_e32 v7, vcc, 0, v7, vcc
	s_or_b64 s[40:41], s[40:41], s[44:45]
	s_andn2_b64 s[0:1], s[0:1], exec
	s_or_b64 s[38:39], s[38:39], s[2:3]
                                        ; implicit-def: $sgpr44_sgpr45
	s_branch .LBB1361_318
.LBB1361_321:
	s_or_b64 exec, exec, s[34:35]
	s_xor_b64 s[0:1], s[36:37], -1
	s_branch .LBB1361_323
.LBB1361_322:
	s_mov_b64 s[0:1], -1
.LBB1361_323:
	s_and_b64 s[0:1], s[0:1], exec
.LBB1361_324:
	s_or_b64 exec, exec, s[28:29]
	s_orn2_b64 s[28:29], s[0:1], exec
.LBB1361_325:
	s_or_b64 exec, exec, s[30:31]
	v_cndmask_b32_e64 v2, v19, v23, s[28:29]
	v_cndmask_b32_e64 v3, v15, v14, s[28:29]
	v_add_u32_e32 v6, 1, v2
	v_add_u32_e32 v2, -1, v3
	v_min_u32_e32 v2, v6, v2
	v_lshlrev_b32_e32 v2, 3, v2
	ds_read_b64 v[2:3], v2
	v_cndmask_b32_e64 v20, v6, v19, s[28:29]
	v_cndmask_b32_e64 v19, v23, v6, s[28:29]
	v_cmp_lt_u32_e32 vcc, v20, v15
	s_mov_b64 s[0:1], -1
	s_waitcnt lgkmcnt(0)
	v_cndmask_b32_e64 v17, v3, v8, s[28:29]
	v_cndmask_b32_e64 v18, v2, v9, s[28:29]
	;; [unrolled: 1-line block ×4, first 2 shown]
	s_and_saveexec_b64 s[30:31], vcc
	s_cbranch_execz .LBB1361_336
; %bb.326:
	v_cmp_lt_u32_e32 vcc, v19, v14
	s_mov_b64 s[0:1], 0
	s_and_saveexec_b64 s[34:35], vcc
	s_cbranch_execz .LBB1361_335
; %bb.327:
	s_andn2_b64 vcc, exec, s[24:25]
	s_cbranch_vccnz .LBB1361_333
; %bb.328:
	v_mul_lo_u32 v6, v17, s16
	v_mul_lo_u32 v7, v18, s17
	v_mad_u64_u32 v[2:3], s[0:1], v18, s16, 0
	v_add3_u32 v3, v3, v7, v6
	v_lshlrev_b64 v[2:3], 1, v[2:3]
	v_mov_b32_e32 v6, s19
	v_add_co_u32_e32 v2, vcc, s18, v2
	v_addc_co_u32_e32 v3, vcc, v6, v3, vcc
	v_mul_lo_u32 v23, v21, s16
	v_mul_lo_u32 v24, v22, s17
	v_mad_u64_u32 v[6:7], s[0:1], v22, s16, 0
	v_add3_u32 v7, v7, v24, v23
	v_lshlrev_b64 v[6:7], 1, v[6:7]
	v_mov_b32_e32 v23, s19
	v_add_co_u32_e32 v6, vcc, s18, v6
	v_addc_co_u32_e32 v7, vcc, v23, v7, vcc
	s_mov_b64 s[36:37], 0
	s_mov_b64 s[44:45], s[16:17]
                                        ; implicit-def: $sgpr38_sgpr39
                                        ; implicit-def: $sgpr40_sgpr41
                                        ; implicit-def: $sgpr0_sgpr1
                                        ; implicit-def: $sgpr42_sgpr43
                                        ; implicit-def: $sgpr46_sgpr47
	s_branch .LBB1361_330
.LBB1361_329:                           ;   in Loop: Header=BB1361_330 Depth=1
	s_or_b64 exec, exec, s[48:49]
	s_and_b64 s[2:3], exec, s[40:41]
	s_or_b64 s[36:37], s[2:3], s[36:37]
	s_andn2_b64 s[2:3], s[46:47], exec
	s_and_b64 s[46:47], s[42:43], exec
	s_or_b64 s[46:47], s[2:3], s[46:47]
	s_andn2_b64 s[2:3], s[38:39], exec
	s_and_b64 s[38:39], s[0:1], exec
	s_or_b64 s[38:39], s[2:3], s[38:39]
	s_andn2_b64 exec, exec, s[36:37]
	s_cbranch_execz .LBB1361_332
.LBB1361_330:                           ; =>This Inner Loop Header: Depth=1
	global_load_ushort v23, v[2:3], off
	global_load_ushort v24, v[6:7], off
	s_andn2_b64 s[48:49], s[0:1], exec
	s_andn2_b64 s[42:43], s[42:43], exec
	s_or_b64 s[40:41], s[40:41], exec
	s_waitcnt vmcnt(0)
	v_cmp_le_u16_e64 s[0:1], v23, v24
	v_cmp_lt_u16_e32 vcc, v23, v24
	s_and_b64 s[0:1], s[0:1], s[46:47]
	s_or_b64 s[50:51], vcc, s[0:1]
	s_and_b64 s[0:1], s[50:51], exec
	v_cmp_eq_u16_e64 s[2:3], v23, v24
	s_or_b64 s[0:1], s[48:49], s[0:1]
	s_and_saveexec_b64 s[48:49], s[2:3]
	s_cbranch_execz .LBB1361_329
; %bb.331:                              ;   in Loop: Header=BB1361_330 Depth=1
	s_add_u32 s44, s44, -1
	s_addc_u32 s45, s45, -1
	v_add_co_u32_e32 v2, vcc, 2, v2
	s_cmp_eq_u64 s[44:45], 0
	v_addc_co_u32_e32 v3, vcc, 0, v3, vcc
	s_cselect_b64 s[2:3], -1, 0
	v_add_co_u32_e32 v6, vcc, 2, v6
	s_andn2_b64 s[42:43], s[42:43], exec
	s_and_b64 s[46:47], s[50:51], exec
	s_andn2_b64 s[40:41], s[40:41], exec
	s_and_b64 s[2:3], s[2:3], exec
	v_addc_co_u32_e32 v7, vcc, 0, v7, vcc
	s_or_b64 s[42:43], s[42:43], s[46:47]
	s_andn2_b64 s[0:1], s[0:1], exec
	s_or_b64 s[40:41], s[40:41], s[2:3]
                                        ; implicit-def: $sgpr46_sgpr47
	s_branch .LBB1361_329
.LBB1361_332:
	s_or_b64 exec, exec, s[36:37]
	s_xor_b64 s[0:1], s[38:39], -1
	s_branch .LBB1361_334
.LBB1361_333:
	s_mov_b64 s[0:1], -1
.LBB1361_334:
	s_and_b64 s[0:1], s[0:1], exec
.LBB1361_335:
	s_or_b64 exec, exec, s[34:35]
	s_orn2_b64 s[0:1], s[0:1], exec
.LBB1361_336:
	s_or_b64 exec, exec, s[30:31]
	v_cndmask_b32_e64 v6, v20, v19, s[0:1]
	v_cndmask_b32_e64 v7, v15, v14, s[0:1]
	;; [unrolled: 1-line block ×3, first 2 shown]
	v_add_u32_e32 v10, 1, v6
	v_add_u32_e32 v6, -1, v7
	v_min_u32_e32 v6, v10, v6
	v_lshlrev_b32_e32 v6, 3, v6
	v_cndmask_b32_e64 v2, v9, v11, s[28:29]
	ds_read_b64 v[8:9], v6
	v_cndmask_b32_e64 v11, v10, v20, s[0:1]
	v_cndmask_b32_e64 v1, v5, v1, s[26:27]
	;; [unrolled: 1-line block ×5, first 2 shown]
	s_waitcnt lgkmcnt(0)
	v_cndmask_b32_e64 v7, v21, v9, s[0:1]
	v_cndmask_b32_e64 v6, v22, v8, s[0:1]
	v_cmp_lt_u32_e32 vcc, v11, v15
	s_and_saveexec_b64 s[26:27], vcc
	s_cbranch_execz .LBB1361_346
; %bb.337:
	v_cndmask_b32_e64 v10, v19, v10, s[0:1]
	v_cndmask_b32_e64 v9, v9, v17, s[0:1]
	;; [unrolled: 1-line block ×3, first 2 shown]
	v_cmp_lt_u32_e32 vcc, v10, v14
	s_and_saveexec_b64 s[28:29], vcc
	s_cbranch_execz .LBB1361_345
; %bb.338:
	s_andn2_b64 vcc, exec, s[24:25]
	s_cbranch_vccnz .LBB1361_344
; %bb.339:
	v_mul_lo_u32 v14, v9, s16
	v_mul_lo_u32 v15, v8, s17
	v_mad_u64_u32 v[10:11], s[0:1], v8, s16, 0
	v_add3_u32 v11, v11, v15, v14
	v_lshlrev_b64 v[10:11], 1, v[10:11]
	v_mov_b32_e32 v14, s19
	v_add_co_u32_e32 v10, vcc, s18, v10
	v_addc_co_u32_e32 v11, vcc, v14, v11, vcc
	v_mul_lo_u32 v17, v7, s16
	v_mul_lo_u32 v18, v6, s17
	v_mad_u64_u32 v[14:15], s[0:1], v6, s16, 0
	v_add3_u32 v15, v15, v18, v17
	v_lshlrev_b64 v[14:15], 1, v[14:15]
	v_mov_b32_e32 v17, s19
	v_add_co_u32_e32 v14, vcc, s18, v14
	v_addc_co_u32_e32 v15, vcc, v17, v15, vcc
	s_mov_b64 s[30:31], 0
	s_mov_b64 s[40:41], s[16:17]
                                        ; implicit-def: $sgpr34_sgpr35
                                        ; implicit-def: $sgpr36_sgpr37
                                        ; implicit-def: $sgpr0_sgpr1
                                        ; implicit-def: $sgpr38_sgpr39
                                        ; implicit-def: $sgpr42_sgpr43
	s_branch .LBB1361_341
.LBB1361_340:                           ;   in Loop: Header=BB1361_341 Depth=1
	s_or_b64 exec, exec, s[44:45]
	s_and_b64 s[2:3], exec, s[36:37]
	s_or_b64 s[30:31], s[2:3], s[30:31]
	s_andn2_b64 s[2:3], s[42:43], exec
	s_and_b64 s[42:43], s[38:39], exec
	s_or_b64 s[42:43], s[2:3], s[42:43]
	s_andn2_b64 s[2:3], s[34:35], exec
	s_and_b64 s[34:35], s[0:1], exec
	s_or_b64 s[34:35], s[2:3], s[34:35]
	s_andn2_b64 exec, exec, s[30:31]
	s_cbranch_execz .LBB1361_343
.LBB1361_341:                           ; =>This Inner Loop Header: Depth=1
	global_load_ushort v17, v[10:11], off
	global_load_ushort v18, v[14:15], off
	s_andn2_b64 s[44:45], s[0:1], exec
	s_andn2_b64 s[38:39], s[38:39], exec
	s_or_b64 s[36:37], s[36:37], exec
	s_waitcnt vmcnt(0)
	v_cmp_le_u16_e64 s[0:1], v17, v18
	v_cmp_lt_u16_e32 vcc, v17, v18
	s_and_b64 s[0:1], s[0:1], s[42:43]
	s_or_b64 s[46:47], vcc, s[0:1]
	s_and_b64 s[0:1], s[46:47], exec
	v_cmp_eq_u16_e64 s[2:3], v17, v18
	s_or_b64 s[0:1], s[44:45], s[0:1]
	s_and_saveexec_b64 s[44:45], s[2:3]
	s_cbranch_execz .LBB1361_340
; %bb.342:                              ;   in Loop: Header=BB1361_341 Depth=1
	s_add_u32 s40, s40, -1
	s_addc_u32 s41, s41, -1
	v_add_co_u32_e32 v10, vcc, 2, v10
	s_cmp_eq_u64 s[40:41], 0
	v_addc_co_u32_e32 v11, vcc, 0, v11, vcc
	s_cselect_b64 s[2:3], -1, 0
	v_add_co_u32_e32 v14, vcc, 2, v14
	s_andn2_b64 s[38:39], s[38:39], exec
	s_and_b64 s[42:43], s[46:47], exec
	s_andn2_b64 s[36:37], s[36:37], exec
	s_and_b64 s[2:3], s[2:3], exec
	v_addc_co_u32_e32 v15, vcc, 0, v15, vcc
	s_or_b64 s[38:39], s[38:39], s[42:43]
	s_andn2_b64 s[0:1], s[0:1], exec
	s_or_b64 s[36:37], s[36:37], s[2:3]
                                        ; implicit-def: $sgpr42_sgpr43
	s_branch .LBB1361_340
.LBB1361_343:
	s_or_b64 exec, exec, s[30:31]
	v_cndmask_b32_e64 v7, v7, v9, s[34:35]
	v_cndmask_b32_e64 v6, v6, v8, s[34:35]
.LBB1361_344:
	v_pk_mov_b32 v[8:9], v[6:7], v[6:7] op_sel:[0,1]
.LBB1361_345:
	s_or_b64 exec, exec, s[28:29]
	v_pk_mov_b32 v[6:7], v[8:9], v[8:9] op_sel:[0,1]
.LBB1361_346:
	s_or_b64 exec, exec, s[26:27]
.LBB1361_347:
	s_or_b64 exec, exec, s[4:5]
	v_and_b32_e32 v17, 0xf00, v27
	v_or_b32_e32 v8, 0x80, v17
	v_min_u32_e32 v14, 0x400, v8
	v_min_u32_e32 v8, 0x380, v8
	v_add_u32_e32 v15, 0x80, v8
	v_and_b32_e32 v18, 0xfc, v27
	v_sub_u32_e32 v8, v14, v17
	v_sub_u32_e32 v9, v15, v14
	v_sub_u32_e64 v20, v18, v9 clamp
	v_min_u32_e32 v21, v18, v8
	v_lshlrev_b32_e32 v19, 3, v17
	v_cmp_lt_u32_e32 vcc, v20, v21
	s_barrier
	ds_write_b128 v16, v[0:3]
	ds_write_b128 v16, v[4:7] offset:16
	s_waitcnt lgkmcnt(0)
	s_barrier
	s_and_saveexec_b64 s[26:27], vcc
	s_cbranch_execz .LBB1361_357
; %bb.348:
	v_lshlrev_b32_e32 v8, 3, v18
	v_lshl_add_u32 v22, v14, 3, v8
	v_cndmask_b32_e64 v8, 0, 1, s[24:25]
	s_lshl_b64 s[30:31], s[16:17], 1
	s_mov_b64 s[28:29], 0
	v_cmp_ne_u32_e64 s[0:1], 1, v8
	s_branch .LBB1361_351
.LBB1361_349:                           ;   in Loop: Header=BB1361_351 Depth=1
	s_or_b64 exec, exec, s[36:37]
.LBB1361_350:                           ;   in Loop: Header=BB1361_351 Depth=1
	v_add_u32_e32 v8, 1, v23
	v_cndmask_b32_e64 v21, v21, v23, s[34:35]
	v_cndmask_b32_e64 v20, v8, v20, s[34:35]
	v_cmp_ge_u32_e32 vcc, v20, v21
	s_or_b64 s[28:29], vcc, s[28:29]
	s_andn2_b64 exec, exec, s[28:29]
	s_cbranch_execz .LBB1361_356
.LBB1361_351:                           ; =>This Loop Header: Depth=1
                                        ;     Child Loop BB1361_354 Depth 2
	v_add_u32_e32 v8, v21, v20
	v_lshrrev_b32_e32 v23, 1, v8
	s_and_b64 vcc, exec, s[0:1]
	s_mov_b64 s[34:35], 0
	s_cbranch_vccnz .LBB1361_350
; %bb.352:                              ;   in Loop: Header=BB1361_351 Depth=1
	v_not_b32_e32 v8, v23
	v_lshl_add_u32 v8, v8, 3, v22
	ds_read_b64 v[8:9], v8
	v_lshl_add_u32 v24, v23, 3, v19
	ds_read_b64 v[24:25], v24
	v_pk_mov_b32 v[10:11], s[18:19], s[18:19] op_sel:[0,1]
	s_mov_b64 s[36:37], 0
	s_waitcnt lgkmcnt(1)
	v_mul_lo_u32 v37, s30, v9
	v_mul_lo_u32 v38, s31, v8
	v_mad_u64_u32 v[8:9], s[2:3], s30, v8, v[10:11]
	v_add3_u32 v9, v38, v9, v37
	s_waitcnt lgkmcnt(0)
	v_mul_lo_u32 v25, s30, v25
	v_mul_lo_u32 v37, s31, v24
	v_mad_u64_u32 v[10:11], s[2:3], s30, v24, v[10:11]
	v_add3_u32 v11, v37, v11, v25
	s_mov_b64 s[42:43], s[16:17]
                                        ; implicit-def: $sgpr34_sgpr35
                                        ; implicit-def: $sgpr38_sgpr39
                                        ; implicit-def: $sgpr40_sgpr41
                                        ; implicit-def: $sgpr2_sgpr3
                                        ; implicit-def: $sgpr44_sgpr45
	s_branch .LBB1361_354
.LBB1361_353:                           ;   in Loop: Header=BB1361_354 Depth=2
	s_or_b64 exec, exec, s[46:47]
	s_and_b64 s[4:5], exec, s[38:39]
	s_or_b64 s[36:37], s[4:5], s[36:37]
	s_andn2_b64 s[4:5], s[44:45], exec
	s_and_b64 s[44:45], s[40:41], exec
	s_or_b64 s[44:45], s[4:5], s[44:45]
	s_andn2_b64 s[4:5], s[34:35], exec
	s_and_b64 s[34:35], s[2:3], exec
	s_or_b64 s[34:35], s[4:5], s[34:35]
	s_andn2_b64 exec, exec, s[36:37]
	s_cbranch_execz .LBB1361_349
.LBB1361_354:                           ;   Parent Loop BB1361_351 Depth=1
                                        ; =>  This Inner Loop Header: Depth=2
	global_load_ushort v24, v[8:9], off
	global_load_ushort v25, v[10:11], off
	s_andn2_b64 s[46:47], s[2:3], exec
	s_andn2_b64 s[40:41], s[40:41], exec
	s_or_b64 s[38:39], s[38:39], exec
	s_waitcnt vmcnt(0)
	v_cmp_le_u16_e64 s[2:3], v24, v25
	v_cmp_lt_u16_e32 vcc, v24, v25
	s_and_b64 s[2:3], s[2:3], s[44:45]
	s_or_b64 s[48:49], vcc, s[2:3]
	s_and_b64 s[2:3], s[48:49], exec
	v_cmp_eq_u16_e64 s[4:5], v24, v25
	s_or_b64 s[2:3], s[46:47], s[2:3]
	s_and_saveexec_b64 s[46:47], s[4:5]
	s_cbranch_execz .LBB1361_353
; %bb.355:                              ;   in Loop: Header=BB1361_354 Depth=2
	s_add_u32 s42, s42, -1
	s_addc_u32 s43, s43, -1
	v_add_co_u32_e32 v8, vcc, 2, v8
	s_cmp_eq_u64 s[42:43], 0
	v_addc_co_u32_e32 v9, vcc, 0, v9, vcc
	s_cselect_b64 s[4:5], -1, 0
	v_add_co_u32_e32 v10, vcc, 2, v10
	s_andn2_b64 s[40:41], s[40:41], exec
	s_and_b64 s[44:45], s[48:49], exec
	s_andn2_b64 s[38:39], s[38:39], exec
	s_and_b64 s[4:5], s[4:5], exec
	v_addc_co_u32_e32 v11, vcc, 0, v11, vcc
	s_andn2_b64 s[2:3], s[2:3], exec
	s_or_b64 s[40:41], s[40:41], s[44:45]
	s_or_b64 s[38:39], s[38:39], s[4:5]
                                        ; implicit-def: $sgpr44_sgpr45
	s_branch .LBB1361_353
.LBB1361_356:
	s_or_b64 exec, exec, s[28:29]
.LBB1361_357:
	s_or_b64 exec, exec, s[26:27]
	v_sub_u32_e32 v8, v18, v20
	v_add_u32_e32 v17, v20, v17
	v_add_u32_e32 v18, v8, v14
	v_cmp_le_u32_e32 vcc, v17, v14
	v_cmp_le_u32_e64 s[0:1], v18, v15
	s_or_b64 s[0:1], vcc, s[0:1]
	s_and_saveexec_b64 s[4:5], s[0:1]
	s_cbranch_execz .LBB1361_404
; %bb.358:
	v_cmp_ge_u32_e32 vcc, v17, v14
	v_cmp_lt_u32_e64 s[0:1], v17, v14
                                        ; implicit-def: $vgpr0_vgpr1
	s_and_saveexec_b64 s[2:3], s[0:1]
	s_cbranch_execz .LBB1361_360
; %bb.359:
	v_lshl_add_u32 v0, v20, 3, v19
	ds_read_b64 v[0:1], v0
.LBB1361_360:
	s_or_b64 exec, exec, s[2:3]
	v_cmp_ge_u32_e64 s[26:27], v18, v15
	v_cmp_lt_u32_e64 s[0:1], v18, v15
                                        ; implicit-def: $vgpr4_vgpr5
	s_and_saveexec_b64 s[2:3], s[0:1]
	s_cbranch_execz .LBB1361_362
; %bb.361:
	v_lshlrev_b32_e32 v2, 3, v18
	ds_read_b64 v[4:5], v2
.LBB1361_362:
	s_or_b64 exec, exec, s[2:3]
	s_or_b64 s[0:1], vcc, s[26:27]
	s_mov_b64 s[28:29], -1
	s_xor_b64 s[0:1], s[0:1], -1
	s_and_saveexec_b64 s[30:31], s[0:1]
	s_cbranch_execz .LBB1361_371
; %bb.363:
	s_andn2_b64 vcc, exec, s[24:25]
	s_cbranch_vccnz .LBB1361_369
; %bb.364:
	s_waitcnt lgkmcnt(0)
	v_mul_lo_u32 v6, v5, s16
	v_mul_lo_u32 v7, v4, s17
	v_mad_u64_u32 v[2:3], s[0:1], v4, s16, 0
	v_add3_u32 v3, v3, v7, v6
	v_lshlrev_b64 v[2:3], 1, v[2:3]
	v_mov_b32_e32 v6, s19
	v_add_co_u32_e32 v2, vcc, s18, v2
	v_addc_co_u32_e32 v3, vcc, v6, v3, vcc
	v_mul_lo_u32 v8, v1, s16
	v_mul_lo_u32 v9, v0, s17
	v_mad_u64_u32 v[6:7], s[0:1], v0, s16, 0
	v_add3_u32 v7, v7, v9, v8
	v_lshlrev_b64 v[6:7], 1, v[6:7]
	v_mov_b32_e32 v8, s19
	v_add_co_u32_e32 v6, vcc, s18, v6
	v_addc_co_u32_e32 v7, vcc, v8, v7, vcc
	s_mov_b64 s[34:35], 0
	s_mov_b64 s[42:43], s[16:17]
                                        ; implicit-def: $sgpr36_sgpr37
                                        ; implicit-def: $sgpr38_sgpr39
                                        ; implicit-def: $sgpr0_sgpr1
                                        ; implicit-def: $sgpr40_sgpr41
                                        ; implicit-def: $sgpr44_sgpr45
	s_branch .LBB1361_366
.LBB1361_365:                           ;   in Loop: Header=BB1361_366 Depth=1
	s_or_b64 exec, exec, s[46:47]
	s_and_b64 s[2:3], exec, s[38:39]
	s_or_b64 s[34:35], s[2:3], s[34:35]
	s_andn2_b64 s[2:3], s[44:45], exec
	s_and_b64 s[44:45], s[40:41], exec
	s_or_b64 s[44:45], s[2:3], s[44:45]
	s_andn2_b64 s[2:3], s[36:37], exec
	s_and_b64 s[36:37], s[0:1], exec
	s_or_b64 s[36:37], s[2:3], s[36:37]
	s_andn2_b64 exec, exec, s[34:35]
	s_cbranch_execz .LBB1361_368
.LBB1361_366:                           ; =>This Inner Loop Header: Depth=1
	global_load_ushort v8, v[2:3], off
	global_load_ushort v9, v[6:7], off
	s_andn2_b64 s[46:47], s[0:1], exec
	s_andn2_b64 s[40:41], s[40:41], exec
	s_or_b64 s[38:39], s[38:39], exec
	s_waitcnt vmcnt(0)
	v_cmp_le_u16_e64 s[0:1], v8, v9
	v_cmp_lt_u16_e32 vcc, v8, v9
	s_and_b64 s[0:1], s[0:1], s[44:45]
	s_or_b64 s[48:49], vcc, s[0:1]
	s_and_b64 s[0:1], s[48:49], exec
	v_cmp_eq_u16_e64 s[2:3], v8, v9
	s_or_b64 s[0:1], s[46:47], s[0:1]
	s_and_saveexec_b64 s[46:47], s[2:3]
	s_cbranch_execz .LBB1361_365
; %bb.367:                              ;   in Loop: Header=BB1361_366 Depth=1
	s_add_u32 s42, s42, -1
	s_addc_u32 s43, s43, -1
	v_add_co_u32_e32 v2, vcc, 2, v2
	s_cmp_eq_u64 s[42:43], 0
	v_addc_co_u32_e32 v3, vcc, 0, v3, vcc
	s_cselect_b64 s[2:3], -1, 0
	v_add_co_u32_e32 v6, vcc, 2, v6
	s_andn2_b64 s[40:41], s[40:41], exec
	s_and_b64 s[44:45], s[48:49], exec
	s_andn2_b64 s[38:39], s[38:39], exec
	s_and_b64 s[2:3], s[2:3], exec
	v_addc_co_u32_e32 v7, vcc, 0, v7, vcc
	s_or_b64 s[40:41], s[40:41], s[44:45]
	s_andn2_b64 s[0:1], s[0:1], exec
	s_or_b64 s[38:39], s[38:39], s[2:3]
                                        ; implicit-def: $sgpr44_sgpr45
	s_branch .LBB1361_365
.LBB1361_368:
	s_or_b64 exec, exec, s[34:35]
	s_xor_b64 s[0:1], s[36:37], -1
	s_branch .LBB1361_370
.LBB1361_369:
	s_mov_b64 s[0:1], -1
.LBB1361_370:
	s_andn2_b64 s[2:3], s[26:27], exec
	s_and_b64 s[0:1], s[0:1], exec
	s_or_b64 s[26:27], s[2:3], s[0:1]
.LBB1361_371:
	s_or_b64 exec, exec, s[30:31]
	v_cndmask_b32_e64 v2, v18, v17, s[26:27]
	v_cndmask_b32_e64 v3, v15, v14, s[26:27]
	v_add_u32_e32 v6, 1, v2
	v_add_u32_e32 v2, -1, v3
	v_min_u32_e32 v2, v6, v2
	v_lshlrev_b32_e32 v2, 3, v2
	ds_read_b64 v[2:3], v2
	v_cndmask_b32_e64 v19, v6, v18, s[26:27]
	v_cndmask_b32_e64 v23, v17, v6, s[26:27]
	v_cmp_lt_u32_e32 vcc, v19, v15
	s_waitcnt lgkmcnt(0)
	v_cndmask_b32_e64 v8, v3, v5, s[26:27]
	v_cndmask_b32_e64 v9, v2, v4, s[26:27]
	;; [unrolled: 1-line block ×4, first 2 shown]
	s_and_saveexec_b64 s[30:31], vcc
	s_cbranch_execz .LBB1361_382
; %bb.372:
	v_cmp_lt_u32_e32 vcc, v23, v14
	s_mov_b64 s[0:1], 0
	s_and_saveexec_b64 s[28:29], vcc
	s_cbranch_execz .LBB1361_381
; %bb.373:
	s_andn2_b64 vcc, exec, s[24:25]
	s_cbranch_vccnz .LBB1361_379
; %bb.374:
	v_mul_lo_u32 v6, v8, s16
	v_mul_lo_u32 v7, v9, s17
	v_mad_u64_u32 v[2:3], s[0:1], v9, s16, 0
	v_add3_u32 v3, v3, v7, v6
	v_lshlrev_b64 v[2:3], 1, v[2:3]
	v_mov_b32_e32 v6, s19
	v_add_co_u32_e32 v2, vcc, s18, v2
	v_addc_co_u32_e32 v3, vcc, v6, v3, vcc
	v_mul_lo_u32 v17, v10, s16
	v_mul_lo_u32 v18, v11, s17
	v_mad_u64_u32 v[6:7], s[0:1], v11, s16, 0
	v_add3_u32 v7, v7, v18, v17
	v_lshlrev_b64 v[6:7], 1, v[6:7]
	v_mov_b32_e32 v17, s19
	v_add_co_u32_e32 v6, vcc, s18, v6
	v_addc_co_u32_e32 v7, vcc, v17, v7, vcc
	s_mov_b64 s[34:35], 0
	s_mov_b64 s[42:43], s[16:17]
                                        ; implicit-def: $sgpr36_sgpr37
                                        ; implicit-def: $sgpr38_sgpr39
                                        ; implicit-def: $sgpr0_sgpr1
                                        ; implicit-def: $sgpr40_sgpr41
                                        ; implicit-def: $sgpr44_sgpr45
	s_branch .LBB1361_376
.LBB1361_375:                           ;   in Loop: Header=BB1361_376 Depth=1
	s_or_b64 exec, exec, s[46:47]
	s_and_b64 s[2:3], exec, s[38:39]
	s_or_b64 s[34:35], s[2:3], s[34:35]
	s_andn2_b64 s[2:3], s[44:45], exec
	s_and_b64 s[44:45], s[40:41], exec
	s_or_b64 s[44:45], s[2:3], s[44:45]
	s_andn2_b64 s[2:3], s[36:37], exec
	s_and_b64 s[36:37], s[0:1], exec
	s_or_b64 s[36:37], s[2:3], s[36:37]
	s_andn2_b64 exec, exec, s[34:35]
	s_cbranch_execz .LBB1361_378
.LBB1361_376:                           ; =>This Inner Loop Header: Depth=1
	global_load_ushort v17, v[2:3], off
	global_load_ushort v18, v[6:7], off
	s_andn2_b64 s[46:47], s[0:1], exec
	s_andn2_b64 s[40:41], s[40:41], exec
	s_or_b64 s[38:39], s[38:39], exec
	s_waitcnt vmcnt(0)
	v_cmp_le_u16_e64 s[0:1], v17, v18
	v_cmp_lt_u16_e32 vcc, v17, v18
	s_and_b64 s[0:1], s[0:1], s[44:45]
	s_or_b64 s[48:49], vcc, s[0:1]
	s_and_b64 s[0:1], s[48:49], exec
	v_cmp_eq_u16_e64 s[2:3], v17, v18
	s_or_b64 s[0:1], s[46:47], s[0:1]
	s_and_saveexec_b64 s[46:47], s[2:3]
	s_cbranch_execz .LBB1361_375
; %bb.377:                              ;   in Loop: Header=BB1361_376 Depth=1
	s_add_u32 s42, s42, -1
	s_addc_u32 s43, s43, -1
	v_add_co_u32_e32 v2, vcc, 2, v2
	s_cmp_eq_u64 s[42:43], 0
	v_addc_co_u32_e32 v3, vcc, 0, v3, vcc
	s_cselect_b64 s[2:3], -1, 0
	v_add_co_u32_e32 v6, vcc, 2, v6
	s_andn2_b64 s[40:41], s[40:41], exec
	s_and_b64 s[44:45], s[48:49], exec
	s_andn2_b64 s[38:39], s[38:39], exec
	s_and_b64 s[2:3], s[2:3], exec
	v_addc_co_u32_e32 v7, vcc, 0, v7, vcc
	s_or_b64 s[40:41], s[40:41], s[44:45]
	s_andn2_b64 s[0:1], s[0:1], exec
	s_or_b64 s[38:39], s[38:39], s[2:3]
                                        ; implicit-def: $sgpr44_sgpr45
	s_branch .LBB1361_375
.LBB1361_378:
	s_or_b64 exec, exec, s[34:35]
	s_xor_b64 s[0:1], s[36:37], -1
	s_branch .LBB1361_380
.LBB1361_379:
	s_mov_b64 s[0:1], -1
.LBB1361_380:
	s_and_b64 s[0:1], s[0:1], exec
.LBB1361_381:
	s_or_b64 exec, exec, s[28:29]
	s_orn2_b64 s[28:29], s[0:1], exec
.LBB1361_382:
	s_or_b64 exec, exec, s[30:31]
	v_cndmask_b32_e64 v2, v19, v23, s[28:29]
	v_cndmask_b32_e64 v3, v15, v14, s[28:29]
	v_add_u32_e32 v6, 1, v2
	v_add_u32_e32 v2, -1, v3
	v_min_u32_e32 v2, v6, v2
	v_lshlrev_b32_e32 v2, 3, v2
	ds_read_b64 v[2:3], v2
	v_cndmask_b32_e64 v20, v6, v19, s[28:29]
	v_cndmask_b32_e64 v19, v23, v6, s[28:29]
	v_cmp_lt_u32_e32 vcc, v20, v15
	s_mov_b64 s[0:1], -1
	s_waitcnt lgkmcnt(0)
	v_cndmask_b32_e64 v17, v3, v8, s[28:29]
	v_cndmask_b32_e64 v18, v2, v9, s[28:29]
	;; [unrolled: 1-line block ×4, first 2 shown]
	s_and_saveexec_b64 s[30:31], vcc
	s_cbranch_execz .LBB1361_393
; %bb.383:
	v_cmp_lt_u32_e32 vcc, v19, v14
	s_mov_b64 s[0:1], 0
	s_and_saveexec_b64 s[34:35], vcc
	s_cbranch_execz .LBB1361_392
; %bb.384:
	s_andn2_b64 vcc, exec, s[24:25]
	s_cbranch_vccnz .LBB1361_390
; %bb.385:
	v_mul_lo_u32 v6, v17, s16
	v_mul_lo_u32 v7, v18, s17
	v_mad_u64_u32 v[2:3], s[0:1], v18, s16, 0
	v_add3_u32 v3, v3, v7, v6
	v_lshlrev_b64 v[2:3], 1, v[2:3]
	v_mov_b32_e32 v6, s19
	v_add_co_u32_e32 v2, vcc, s18, v2
	v_addc_co_u32_e32 v3, vcc, v6, v3, vcc
	v_mul_lo_u32 v23, v21, s16
	v_mul_lo_u32 v24, v22, s17
	v_mad_u64_u32 v[6:7], s[0:1], v22, s16, 0
	v_add3_u32 v7, v7, v24, v23
	v_lshlrev_b64 v[6:7], 1, v[6:7]
	v_mov_b32_e32 v23, s19
	v_add_co_u32_e32 v6, vcc, s18, v6
	v_addc_co_u32_e32 v7, vcc, v23, v7, vcc
	s_mov_b64 s[36:37], 0
	s_mov_b64 s[44:45], s[16:17]
                                        ; implicit-def: $sgpr38_sgpr39
                                        ; implicit-def: $sgpr40_sgpr41
                                        ; implicit-def: $sgpr0_sgpr1
                                        ; implicit-def: $sgpr42_sgpr43
                                        ; implicit-def: $sgpr46_sgpr47
	s_branch .LBB1361_387
.LBB1361_386:                           ;   in Loop: Header=BB1361_387 Depth=1
	s_or_b64 exec, exec, s[48:49]
	s_and_b64 s[2:3], exec, s[40:41]
	s_or_b64 s[36:37], s[2:3], s[36:37]
	s_andn2_b64 s[2:3], s[46:47], exec
	s_and_b64 s[46:47], s[42:43], exec
	s_or_b64 s[46:47], s[2:3], s[46:47]
	s_andn2_b64 s[2:3], s[38:39], exec
	s_and_b64 s[38:39], s[0:1], exec
	s_or_b64 s[38:39], s[2:3], s[38:39]
	s_andn2_b64 exec, exec, s[36:37]
	s_cbranch_execz .LBB1361_389
.LBB1361_387:                           ; =>This Inner Loop Header: Depth=1
	global_load_ushort v23, v[2:3], off
	global_load_ushort v24, v[6:7], off
	s_andn2_b64 s[48:49], s[0:1], exec
	s_andn2_b64 s[42:43], s[42:43], exec
	s_or_b64 s[40:41], s[40:41], exec
	s_waitcnt vmcnt(0)
	v_cmp_le_u16_e64 s[0:1], v23, v24
	v_cmp_lt_u16_e32 vcc, v23, v24
	s_and_b64 s[0:1], s[0:1], s[46:47]
	s_or_b64 s[50:51], vcc, s[0:1]
	s_and_b64 s[0:1], s[50:51], exec
	v_cmp_eq_u16_e64 s[2:3], v23, v24
	s_or_b64 s[0:1], s[48:49], s[0:1]
	s_and_saveexec_b64 s[48:49], s[2:3]
	s_cbranch_execz .LBB1361_386
; %bb.388:                              ;   in Loop: Header=BB1361_387 Depth=1
	s_add_u32 s44, s44, -1
	s_addc_u32 s45, s45, -1
	v_add_co_u32_e32 v2, vcc, 2, v2
	s_cmp_eq_u64 s[44:45], 0
	v_addc_co_u32_e32 v3, vcc, 0, v3, vcc
	s_cselect_b64 s[2:3], -1, 0
	v_add_co_u32_e32 v6, vcc, 2, v6
	s_andn2_b64 s[42:43], s[42:43], exec
	s_and_b64 s[46:47], s[50:51], exec
	s_andn2_b64 s[40:41], s[40:41], exec
	s_and_b64 s[2:3], s[2:3], exec
	v_addc_co_u32_e32 v7, vcc, 0, v7, vcc
	s_or_b64 s[42:43], s[42:43], s[46:47]
	s_andn2_b64 s[0:1], s[0:1], exec
	s_or_b64 s[40:41], s[40:41], s[2:3]
                                        ; implicit-def: $sgpr46_sgpr47
	s_branch .LBB1361_386
.LBB1361_389:
	s_or_b64 exec, exec, s[36:37]
	s_xor_b64 s[0:1], s[38:39], -1
	s_branch .LBB1361_391
.LBB1361_390:
	s_mov_b64 s[0:1], -1
.LBB1361_391:
	s_and_b64 s[0:1], s[0:1], exec
.LBB1361_392:
	s_or_b64 exec, exec, s[34:35]
	s_orn2_b64 s[0:1], s[0:1], exec
.LBB1361_393:
	s_or_b64 exec, exec, s[30:31]
	v_cndmask_b32_e64 v6, v20, v19, s[0:1]
	v_cndmask_b32_e64 v7, v15, v14, s[0:1]
	;; [unrolled: 1-line block ×3, first 2 shown]
	v_add_u32_e32 v10, 1, v6
	v_add_u32_e32 v6, -1, v7
	v_min_u32_e32 v6, v10, v6
	v_lshlrev_b32_e32 v6, 3, v6
	v_cndmask_b32_e64 v2, v9, v11, s[28:29]
	ds_read_b64 v[8:9], v6
	v_cndmask_b32_e64 v11, v10, v20, s[0:1]
	v_cndmask_b32_e64 v1, v5, v1, s[26:27]
	v_cndmask_b32_e64 v0, v4, v0, s[26:27]
	v_cndmask_b32_e64 v5, v17, v21, s[0:1]
	v_cndmask_b32_e64 v4, v18, v22, s[0:1]
	s_waitcnt lgkmcnt(0)
	v_cndmask_b32_e64 v7, v21, v9, s[0:1]
	v_cndmask_b32_e64 v6, v22, v8, s[0:1]
	v_cmp_lt_u32_e32 vcc, v11, v15
	s_and_saveexec_b64 s[26:27], vcc
	s_cbranch_execz .LBB1361_403
; %bb.394:
	v_cndmask_b32_e64 v10, v19, v10, s[0:1]
	v_cndmask_b32_e64 v9, v9, v17, s[0:1]
	;; [unrolled: 1-line block ×3, first 2 shown]
	v_cmp_lt_u32_e32 vcc, v10, v14
	s_and_saveexec_b64 s[28:29], vcc
	s_cbranch_execz .LBB1361_402
; %bb.395:
	s_andn2_b64 vcc, exec, s[24:25]
	s_cbranch_vccnz .LBB1361_401
; %bb.396:
	v_mul_lo_u32 v14, v9, s16
	v_mul_lo_u32 v15, v8, s17
	v_mad_u64_u32 v[10:11], s[0:1], v8, s16, 0
	v_add3_u32 v11, v11, v15, v14
	v_lshlrev_b64 v[10:11], 1, v[10:11]
	v_mov_b32_e32 v14, s19
	v_add_co_u32_e32 v10, vcc, s18, v10
	v_addc_co_u32_e32 v11, vcc, v14, v11, vcc
	v_mul_lo_u32 v17, v7, s16
	v_mul_lo_u32 v18, v6, s17
	v_mad_u64_u32 v[14:15], s[0:1], v6, s16, 0
	v_add3_u32 v15, v15, v18, v17
	v_lshlrev_b64 v[14:15], 1, v[14:15]
	v_mov_b32_e32 v17, s19
	v_add_co_u32_e32 v14, vcc, s18, v14
	v_addc_co_u32_e32 v15, vcc, v17, v15, vcc
	s_mov_b64 s[30:31], 0
	s_mov_b64 s[40:41], s[16:17]
                                        ; implicit-def: $sgpr34_sgpr35
                                        ; implicit-def: $sgpr36_sgpr37
                                        ; implicit-def: $sgpr0_sgpr1
                                        ; implicit-def: $sgpr38_sgpr39
                                        ; implicit-def: $sgpr42_sgpr43
	s_branch .LBB1361_398
.LBB1361_397:                           ;   in Loop: Header=BB1361_398 Depth=1
	s_or_b64 exec, exec, s[44:45]
	s_and_b64 s[2:3], exec, s[36:37]
	s_or_b64 s[30:31], s[2:3], s[30:31]
	s_andn2_b64 s[2:3], s[42:43], exec
	s_and_b64 s[42:43], s[38:39], exec
	s_or_b64 s[42:43], s[2:3], s[42:43]
	s_andn2_b64 s[2:3], s[34:35], exec
	s_and_b64 s[34:35], s[0:1], exec
	s_or_b64 s[34:35], s[2:3], s[34:35]
	s_andn2_b64 exec, exec, s[30:31]
	s_cbranch_execz .LBB1361_400
.LBB1361_398:                           ; =>This Inner Loop Header: Depth=1
	global_load_ushort v17, v[10:11], off
	global_load_ushort v18, v[14:15], off
	s_andn2_b64 s[44:45], s[0:1], exec
	s_andn2_b64 s[38:39], s[38:39], exec
	s_or_b64 s[36:37], s[36:37], exec
	s_waitcnt vmcnt(0)
	v_cmp_le_u16_e64 s[0:1], v17, v18
	v_cmp_lt_u16_e32 vcc, v17, v18
	s_and_b64 s[0:1], s[0:1], s[42:43]
	s_or_b64 s[46:47], vcc, s[0:1]
	s_and_b64 s[0:1], s[46:47], exec
	v_cmp_eq_u16_e64 s[2:3], v17, v18
	s_or_b64 s[0:1], s[44:45], s[0:1]
	s_and_saveexec_b64 s[44:45], s[2:3]
	s_cbranch_execz .LBB1361_397
; %bb.399:                              ;   in Loop: Header=BB1361_398 Depth=1
	s_add_u32 s40, s40, -1
	s_addc_u32 s41, s41, -1
	v_add_co_u32_e32 v10, vcc, 2, v10
	s_cmp_eq_u64 s[40:41], 0
	v_addc_co_u32_e32 v11, vcc, 0, v11, vcc
	s_cselect_b64 s[2:3], -1, 0
	v_add_co_u32_e32 v14, vcc, 2, v14
	s_andn2_b64 s[38:39], s[38:39], exec
	s_and_b64 s[42:43], s[46:47], exec
	s_andn2_b64 s[36:37], s[36:37], exec
	s_and_b64 s[2:3], s[2:3], exec
	v_addc_co_u32_e32 v15, vcc, 0, v15, vcc
	s_or_b64 s[38:39], s[38:39], s[42:43]
	s_andn2_b64 s[0:1], s[0:1], exec
	s_or_b64 s[36:37], s[36:37], s[2:3]
                                        ; implicit-def: $sgpr42_sgpr43
	s_branch .LBB1361_397
.LBB1361_400:
	s_or_b64 exec, exec, s[30:31]
	v_cndmask_b32_e64 v7, v7, v9, s[34:35]
	v_cndmask_b32_e64 v6, v6, v8, s[34:35]
.LBB1361_401:
	v_pk_mov_b32 v[8:9], v[6:7], v[6:7] op_sel:[0,1]
.LBB1361_402:
	s_or_b64 exec, exec, s[28:29]
	v_pk_mov_b32 v[6:7], v[8:9], v[8:9] op_sel:[0,1]
.LBB1361_403:
	s_or_b64 exec, exec, s[26:27]
.LBB1361_404:
	s_or_b64 exec, exec, s[4:5]
	v_and_b32_e32 v17, 0xe00, v27
	v_or_b32_e32 v8, 0x100, v17
	v_min_u32_e32 v14, 0x400, v8
	v_min_u32_e32 v8, 0x300, v8
	v_add_u32_e32 v15, 0x100, v8
	v_and_b32_e32 v18, 0x1fc, v27
	v_sub_u32_e32 v8, v14, v17
	v_sub_u32_e32 v9, v15, v14
	v_sub_u32_e64 v20, v18, v9 clamp
	v_min_u32_e32 v21, v18, v8
	v_lshlrev_b32_e32 v19, 3, v17
	v_cmp_lt_u32_e32 vcc, v20, v21
	s_barrier
	ds_write_b128 v16, v[0:3]
	ds_write_b128 v16, v[4:7] offset:16
	s_waitcnt lgkmcnt(0)
	s_barrier
	s_and_saveexec_b64 s[26:27], vcc
	s_cbranch_execz .LBB1361_414
; %bb.405:
	v_lshlrev_b32_e32 v8, 3, v18
	v_lshl_add_u32 v22, v14, 3, v8
	v_cndmask_b32_e64 v8, 0, 1, s[24:25]
	s_lshl_b64 s[30:31], s[16:17], 1
	s_mov_b64 s[28:29], 0
	v_cmp_ne_u32_e64 s[0:1], 1, v8
	s_branch .LBB1361_408
.LBB1361_406:                           ;   in Loop: Header=BB1361_408 Depth=1
	s_or_b64 exec, exec, s[36:37]
.LBB1361_407:                           ;   in Loop: Header=BB1361_408 Depth=1
	v_add_u32_e32 v8, 1, v23
	v_cndmask_b32_e64 v21, v21, v23, s[34:35]
	v_cndmask_b32_e64 v20, v8, v20, s[34:35]
	v_cmp_ge_u32_e32 vcc, v20, v21
	s_or_b64 s[28:29], vcc, s[28:29]
	s_andn2_b64 exec, exec, s[28:29]
	s_cbranch_execz .LBB1361_413
.LBB1361_408:                           ; =>This Loop Header: Depth=1
                                        ;     Child Loop BB1361_411 Depth 2
	v_add_u32_e32 v8, v21, v20
	v_lshrrev_b32_e32 v23, 1, v8
	s_and_b64 vcc, exec, s[0:1]
	s_mov_b64 s[34:35], 0
	s_cbranch_vccnz .LBB1361_407
; %bb.409:                              ;   in Loop: Header=BB1361_408 Depth=1
	v_not_b32_e32 v8, v23
	v_lshl_add_u32 v8, v8, 3, v22
	ds_read_b64 v[8:9], v8
	v_lshl_add_u32 v24, v23, 3, v19
	ds_read_b64 v[24:25], v24
	v_pk_mov_b32 v[10:11], s[18:19], s[18:19] op_sel:[0,1]
	s_mov_b64 s[36:37], 0
	s_waitcnt lgkmcnt(1)
	v_mul_lo_u32 v37, s30, v9
	v_mul_lo_u32 v38, s31, v8
	v_mad_u64_u32 v[8:9], s[2:3], s30, v8, v[10:11]
	v_add3_u32 v9, v38, v9, v37
	s_waitcnt lgkmcnt(0)
	v_mul_lo_u32 v25, s30, v25
	v_mul_lo_u32 v37, s31, v24
	v_mad_u64_u32 v[10:11], s[2:3], s30, v24, v[10:11]
	v_add3_u32 v11, v37, v11, v25
	s_mov_b64 s[42:43], s[16:17]
                                        ; implicit-def: $sgpr34_sgpr35
                                        ; implicit-def: $sgpr38_sgpr39
                                        ; implicit-def: $sgpr40_sgpr41
                                        ; implicit-def: $sgpr2_sgpr3
                                        ; implicit-def: $sgpr44_sgpr45
	s_branch .LBB1361_411
.LBB1361_410:                           ;   in Loop: Header=BB1361_411 Depth=2
	s_or_b64 exec, exec, s[46:47]
	s_and_b64 s[4:5], exec, s[38:39]
	s_or_b64 s[36:37], s[4:5], s[36:37]
	s_andn2_b64 s[4:5], s[44:45], exec
	s_and_b64 s[44:45], s[40:41], exec
	s_or_b64 s[44:45], s[4:5], s[44:45]
	s_andn2_b64 s[4:5], s[34:35], exec
	s_and_b64 s[34:35], s[2:3], exec
	s_or_b64 s[34:35], s[4:5], s[34:35]
	s_andn2_b64 exec, exec, s[36:37]
	s_cbranch_execz .LBB1361_406
.LBB1361_411:                           ;   Parent Loop BB1361_408 Depth=1
                                        ; =>  This Inner Loop Header: Depth=2
	global_load_ushort v24, v[8:9], off
	global_load_ushort v25, v[10:11], off
	s_andn2_b64 s[46:47], s[2:3], exec
	s_andn2_b64 s[40:41], s[40:41], exec
	s_or_b64 s[38:39], s[38:39], exec
	s_waitcnt vmcnt(0)
	v_cmp_le_u16_e64 s[2:3], v24, v25
	v_cmp_lt_u16_e32 vcc, v24, v25
	s_and_b64 s[2:3], s[2:3], s[44:45]
	s_or_b64 s[48:49], vcc, s[2:3]
	s_and_b64 s[2:3], s[48:49], exec
	v_cmp_eq_u16_e64 s[4:5], v24, v25
	s_or_b64 s[2:3], s[46:47], s[2:3]
	s_and_saveexec_b64 s[46:47], s[4:5]
	s_cbranch_execz .LBB1361_410
; %bb.412:                              ;   in Loop: Header=BB1361_411 Depth=2
	s_add_u32 s42, s42, -1
	s_addc_u32 s43, s43, -1
	v_add_co_u32_e32 v8, vcc, 2, v8
	s_cmp_eq_u64 s[42:43], 0
	v_addc_co_u32_e32 v9, vcc, 0, v9, vcc
	s_cselect_b64 s[4:5], -1, 0
	v_add_co_u32_e32 v10, vcc, 2, v10
	s_andn2_b64 s[40:41], s[40:41], exec
	s_and_b64 s[44:45], s[48:49], exec
	s_andn2_b64 s[38:39], s[38:39], exec
	s_and_b64 s[4:5], s[4:5], exec
	v_addc_co_u32_e32 v11, vcc, 0, v11, vcc
	s_andn2_b64 s[2:3], s[2:3], exec
	s_or_b64 s[40:41], s[40:41], s[44:45]
	s_or_b64 s[38:39], s[38:39], s[4:5]
                                        ; implicit-def: $sgpr44_sgpr45
	s_branch .LBB1361_410
.LBB1361_413:
	s_or_b64 exec, exec, s[28:29]
.LBB1361_414:
	s_or_b64 exec, exec, s[26:27]
	v_sub_u32_e32 v8, v18, v20
	v_add_u32_e32 v17, v20, v17
	v_add_u32_e32 v18, v8, v14
	v_cmp_le_u32_e32 vcc, v17, v14
	v_cmp_le_u32_e64 s[0:1], v18, v15
	s_or_b64 s[0:1], vcc, s[0:1]
	s_and_saveexec_b64 s[4:5], s[0:1]
	s_cbranch_execz .LBB1361_461
; %bb.415:
	v_cmp_ge_u32_e32 vcc, v17, v14
	v_cmp_lt_u32_e64 s[0:1], v17, v14
                                        ; implicit-def: $vgpr0_vgpr1
	s_and_saveexec_b64 s[2:3], s[0:1]
	s_cbranch_execz .LBB1361_417
; %bb.416:
	v_lshl_add_u32 v0, v20, 3, v19
	ds_read_b64 v[0:1], v0
.LBB1361_417:
	s_or_b64 exec, exec, s[2:3]
	v_cmp_ge_u32_e64 s[26:27], v18, v15
	v_cmp_lt_u32_e64 s[0:1], v18, v15
                                        ; implicit-def: $vgpr4_vgpr5
	s_and_saveexec_b64 s[2:3], s[0:1]
	s_cbranch_execz .LBB1361_419
; %bb.418:
	v_lshlrev_b32_e32 v2, 3, v18
	ds_read_b64 v[4:5], v2
.LBB1361_419:
	s_or_b64 exec, exec, s[2:3]
	s_or_b64 s[0:1], vcc, s[26:27]
	s_mov_b64 s[28:29], -1
	s_xor_b64 s[0:1], s[0:1], -1
	s_and_saveexec_b64 s[30:31], s[0:1]
	s_cbranch_execz .LBB1361_428
; %bb.420:
	s_andn2_b64 vcc, exec, s[24:25]
	s_cbranch_vccnz .LBB1361_426
; %bb.421:
	s_waitcnt lgkmcnt(0)
	v_mul_lo_u32 v6, v5, s16
	v_mul_lo_u32 v7, v4, s17
	v_mad_u64_u32 v[2:3], s[0:1], v4, s16, 0
	v_add3_u32 v3, v3, v7, v6
	v_lshlrev_b64 v[2:3], 1, v[2:3]
	v_mov_b32_e32 v6, s19
	v_add_co_u32_e32 v2, vcc, s18, v2
	v_addc_co_u32_e32 v3, vcc, v6, v3, vcc
	v_mul_lo_u32 v8, v1, s16
	v_mul_lo_u32 v9, v0, s17
	v_mad_u64_u32 v[6:7], s[0:1], v0, s16, 0
	v_add3_u32 v7, v7, v9, v8
	v_lshlrev_b64 v[6:7], 1, v[6:7]
	v_mov_b32_e32 v8, s19
	v_add_co_u32_e32 v6, vcc, s18, v6
	v_addc_co_u32_e32 v7, vcc, v8, v7, vcc
	s_mov_b64 s[34:35], 0
	s_mov_b64 s[42:43], s[16:17]
                                        ; implicit-def: $sgpr36_sgpr37
                                        ; implicit-def: $sgpr38_sgpr39
                                        ; implicit-def: $sgpr0_sgpr1
                                        ; implicit-def: $sgpr40_sgpr41
                                        ; implicit-def: $sgpr44_sgpr45
	s_branch .LBB1361_423
.LBB1361_422:                           ;   in Loop: Header=BB1361_423 Depth=1
	s_or_b64 exec, exec, s[46:47]
	s_and_b64 s[2:3], exec, s[38:39]
	s_or_b64 s[34:35], s[2:3], s[34:35]
	s_andn2_b64 s[2:3], s[44:45], exec
	s_and_b64 s[44:45], s[40:41], exec
	s_or_b64 s[44:45], s[2:3], s[44:45]
	s_andn2_b64 s[2:3], s[36:37], exec
	s_and_b64 s[36:37], s[0:1], exec
	s_or_b64 s[36:37], s[2:3], s[36:37]
	s_andn2_b64 exec, exec, s[34:35]
	s_cbranch_execz .LBB1361_425
.LBB1361_423:                           ; =>This Inner Loop Header: Depth=1
	global_load_ushort v8, v[2:3], off
	global_load_ushort v9, v[6:7], off
	s_andn2_b64 s[46:47], s[0:1], exec
	s_andn2_b64 s[40:41], s[40:41], exec
	s_or_b64 s[38:39], s[38:39], exec
	s_waitcnt vmcnt(0)
	v_cmp_le_u16_e64 s[0:1], v8, v9
	v_cmp_lt_u16_e32 vcc, v8, v9
	s_and_b64 s[0:1], s[0:1], s[44:45]
	s_or_b64 s[48:49], vcc, s[0:1]
	s_and_b64 s[0:1], s[48:49], exec
	v_cmp_eq_u16_e64 s[2:3], v8, v9
	s_or_b64 s[0:1], s[46:47], s[0:1]
	s_and_saveexec_b64 s[46:47], s[2:3]
	s_cbranch_execz .LBB1361_422
; %bb.424:                              ;   in Loop: Header=BB1361_423 Depth=1
	s_add_u32 s42, s42, -1
	s_addc_u32 s43, s43, -1
	v_add_co_u32_e32 v2, vcc, 2, v2
	s_cmp_eq_u64 s[42:43], 0
	v_addc_co_u32_e32 v3, vcc, 0, v3, vcc
	s_cselect_b64 s[2:3], -1, 0
	v_add_co_u32_e32 v6, vcc, 2, v6
	s_andn2_b64 s[40:41], s[40:41], exec
	s_and_b64 s[44:45], s[48:49], exec
	s_andn2_b64 s[38:39], s[38:39], exec
	s_and_b64 s[2:3], s[2:3], exec
	v_addc_co_u32_e32 v7, vcc, 0, v7, vcc
	s_or_b64 s[40:41], s[40:41], s[44:45]
	s_andn2_b64 s[0:1], s[0:1], exec
	s_or_b64 s[38:39], s[38:39], s[2:3]
                                        ; implicit-def: $sgpr44_sgpr45
	s_branch .LBB1361_422
.LBB1361_425:
	s_or_b64 exec, exec, s[34:35]
	s_xor_b64 s[0:1], s[36:37], -1
	s_branch .LBB1361_427
.LBB1361_426:
	s_mov_b64 s[0:1], -1
.LBB1361_427:
	s_andn2_b64 s[2:3], s[26:27], exec
	s_and_b64 s[0:1], s[0:1], exec
	s_or_b64 s[26:27], s[2:3], s[0:1]
.LBB1361_428:
	s_or_b64 exec, exec, s[30:31]
	v_cndmask_b32_e64 v2, v18, v17, s[26:27]
	v_cndmask_b32_e64 v3, v15, v14, s[26:27]
	v_add_u32_e32 v6, 1, v2
	v_add_u32_e32 v2, -1, v3
	v_min_u32_e32 v2, v6, v2
	v_lshlrev_b32_e32 v2, 3, v2
	ds_read_b64 v[2:3], v2
	v_cndmask_b32_e64 v19, v6, v18, s[26:27]
	v_cndmask_b32_e64 v23, v17, v6, s[26:27]
	v_cmp_lt_u32_e32 vcc, v19, v15
	s_waitcnt lgkmcnt(0)
	v_cndmask_b32_e64 v8, v3, v5, s[26:27]
	v_cndmask_b32_e64 v9, v2, v4, s[26:27]
	v_cndmask_b32_e64 v10, v1, v3, s[26:27]
	v_cndmask_b32_e64 v11, v0, v2, s[26:27]
	s_and_saveexec_b64 s[30:31], vcc
	s_cbranch_execz .LBB1361_439
; %bb.429:
	v_cmp_lt_u32_e32 vcc, v23, v14
	s_mov_b64 s[0:1], 0
	s_and_saveexec_b64 s[28:29], vcc
	s_cbranch_execz .LBB1361_438
; %bb.430:
	s_andn2_b64 vcc, exec, s[24:25]
	s_cbranch_vccnz .LBB1361_436
; %bb.431:
	v_mul_lo_u32 v6, v8, s16
	v_mul_lo_u32 v7, v9, s17
	v_mad_u64_u32 v[2:3], s[0:1], v9, s16, 0
	v_add3_u32 v3, v3, v7, v6
	v_lshlrev_b64 v[2:3], 1, v[2:3]
	v_mov_b32_e32 v6, s19
	v_add_co_u32_e32 v2, vcc, s18, v2
	v_addc_co_u32_e32 v3, vcc, v6, v3, vcc
	v_mul_lo_u32 v17, v10, s16
	v_mul_lo_u32 v18, v11, s17
	v_mad_u64_u32 v[6:7], s[0:1], v11, s16, 0
	v_add3_u32 v7, v7, v18, v17
	v_lshlrev_b64 v[6:7], 1, v[6:7]
	v_mov_b32_e32 v17, s19
	v_add_co_u32_e32 v6, vcc, s18, v6
	v_addc_co_u32_e32 v7, vcc, v17, v7, vcc
	s_mov_b64 s[34:35], 0
	s_mov_b64 s[42:43], s[16:17]
                                        ; implicit-def: $sgpr36_sgpr37
                                        ; implicit-def: $sgpr38_sgpr39
                                        ; implicit-def: $sgpr0_sgpr1
                                        ; implicit-def: $sgpr40_sgpr41
                                        ; implicit-def: $sgpr44_sgpr45
	s_branch .LBB1361_433
.LBB1361_432:                           ;   in Loop: Header=BB1361_433 Depth=1
	s_or_b64 exec, exec, s[46:47]
	s_and_b64 s[2:3], exec, s[38:39]
	s_or_b64 s[34:35], s[2:3], s[34:35]
	s_andn2_b64 s[2:3], s[44:45], exec
	s_and_b64 s[44:45], s[40:41], exec
	s_or_b64 s[44:45], s[2:3], s[44:45]
	s_andn2_b64 s[2:3], s[36:37], exec
	s_and_b64 s[36:37], s[0:1], exec
	s_or_b64 s[36:37], s[2:3], s[36:37]
	s_andn2_b64 exec, exec, s[34:35]
	s_cbranch_execz .LBB1361_435
.LBB1361_433:                           ; =>This Inner Loop Header: Depth=1
	global_load_ushort v17, v[2:3], off
	global_load_ushort v18, v[6:7], off
	s_andn2_b64 s[46:47], s[0:1], exec
	s_andn2_b64 s[40:41], s[40:41], exec
	s_or_b64 s[38:39], s[38:39], exec
	s_waitcnt vmcnt(0)
	v_cmp_le_u16_e64 s[0:1], v17, v18
	v_cmp_lt_u16_e32 vcc, v17, v18
	s_and_b64 s[0:1], s[0:1], s[44:45]
	s_or_b64 s[48:49], vcc, s[0:1]
	s_and_b64 s[0:1], s[48:49], exec
	v_cmp_eq_u16_e64 s[2:3], v17, v18
	s_or_b64 s[0:1], s[46:47], s[0:1]
	s_and_saveexec_b64 s[46:47], s[2:3]
	s_cbranch_execz .LBB1361_432
; %bb.434:                              ;   in Loop: Header=BB1361_433 Depth=1
	s_add_u32 s42, s42, -1
	s_addc_u32 s43, s43, -1
	v_add_co_u32_e32 v2, vcc, 2, v2
	s_cmp_eq_u64 s[42:43], 0
	v_addc_co_u32_e32 v3, vcc, 0, v3, vcc
	s_cselect_b64 s[2:3], -1, 0
	v_add_co_u32_e32 v6, vcc, 2, v6
	s_andn2_b64 s[40:41], s[40:41], exec
	s_and_b64 s[44:45], s[48:49], exec
	s_andn2_b64 s[38:39], s[38:39], exec
	s_and_b64 s[2:3], s[2:3], exec
	v_addc_co_u32_e32 v7, vcc, 0, v7, vcc
	s_or_b64 s[40:41], s[40:41], s[44:45]
	s_andn2_b64 s[0:1], s[0:1], exec
	s_or_b64 s[38:39], s[38:39], s[2:3]
                                        ; implicit-def: $sgpr44_sgpr45
	s_branch .LBB1361_432
.LBB1361_435:
	s_or_b64 exec, exec, s[34:35]
	s_xor_b64 s[0:1], s[36:37], -1
	s_branch .LBB1361_437
.LBB1361_436:
	s_mov_b64 s[0:1], -1
.LBB1361_437:
	s_and_b64 s[0:1], s[0:1], exec
.LBB1361_438:
	s_or_b64 exec, exec, s[28:29]
	s_orn2_b64 s[28:29], s[0:1], exec
.LBB1361_439:
	s_or_b64 exec, exec, s[30:31]
	v_cndmask_b32_e64 v2, v19, v23, s[28:29]
	v_cndmask_b32_e64 v3, v15, v14, s[28:29]
	v_add_u32_e32 v6, 1, v2
	v_add_u32_e32 v2, -1, v3
	v_min_u32_e32 v2, v6, v2
	v_lshlrev_b32_e32 v2, 3, v2
	ds_read_b64 v[2:3], v2
	v_cndmask_b32_e64 v20, v6, v19, s[28:29]
	v_cndmask_b32_e64 v19, v23, v6, s[28:29]
	v_cmp_lt_u32_e32 vcc, v20, v15
	s_mov_b64 s[0:1], -1
	s_waitcnt lgkmcnt(0)
	v_cndmask_b32_e64 v17, v3, v8, s[28:29]
	v_cndmask_b32_e64 v18, v2, v9, s[28:29]
	;; [unrolled: 1-line block ×4, first 2 shown]
	s_and_saveexec_b64 s[30:31], vcc
	s_cbranch_execz .LBB1361_450
; %bb.440:
	v_cmp_lt_u32_e32 vcc, v19, v14
	s_mov_b64 s[0:1], 0
	s_and_saveexec_b64 s[34:35], vcc
	s_cbranch_execz .LBB1361_449
; %bb.441:
	s_andn2_b64 vcc, exec, s[24:25]
	s_cbranch_vccnz .LBB1361_447
; %bb.442:
	v_mul_lo_u32 v6, v17, s16
	v_mul_lo_u32 v7, v18, s17
	v_mad_u64_u32 v[2:3], s[0:1], v18, s16, 0
	v_add3_u32 v3, v3, v7, v6
	v_lshlrev_b64 v[2:3], 1, v[2:3]
	v_mov_b32_e32 v6, s19
	v_add_co_u32_e32 v2, vcc, s18, v2
	v_addc_co_u32_e32 v3, vcc, v6, v3, vcc
	v_mul_lo_u32 v23, v21, s16
	v_mul_lo_u32 v24, v22, s17
	v_mad_u64_u32 v[6:7], s[0:1], v22, s16, 0
	v_add3_u32 v7, v7, v24, v23
	v_lshlrev_b64 v[6:7], 1, v[6:7]
	v_mov_b32_e32 v23, s19
	v_add_co_u32_e32 v6, vcc, s18, v6
	v_addc_co_u32_e32 v7, vcc, v23, v7, vcc
	s_mov_b64 s[36:37], 0
	s_mov_b64 s[44:45], s[16:17]
                                        ; implicit-def: $sgpr38_sgpr39
                                        ; implicit-def: $sgpr40_sgpr41
                                        ; implicit-def: $sgpr0_sgpr1
                                        ; implicit-def: $sgpr42_sgpr43
                                        ; implicit-def: $sgpr46_sgpr47
	s_branch .LBB1361_444
.LBB1361_443:                           ;   in Loop: Header=BB1361_444 Depth=1
	s_or_b64 exec, exec, s[48:49]
	s_and_b64 s[2:3], exec, s[40:41]
	s_or_b64 s[36:37], s[2:3], s[36:37]
	s_andn2_b64 s[2:3], s[46:47], exec
	s_and_b64 s[46:47], s[42:43], exec
	s_or_b64 s[46:47], s[2:3], s[46:47]
	s_andn2_b64 s[2:3], s[38:39], exec
	s_and_b64 s[38:39], s[0:1], exec
	s_or_b64 s[38:39], s[2:3], s[38:39]
	s_andn2_b64 exec, exec, s[36:37]
	s_cbranch_execz .LBB1361_446
.LBB1361_444:                           ; =>This Inner Loop Header: Depth=1
	global_load_ushort v23, v[2:3], off
	global_load_ushort v24, v[6:7], off
	s_andn2_b64 s[48:49], s[0:1], exec
	s_andn2_b64 s[42:43], s[42:43], exec
	s_or_b64 s[40:41], s[40:41], exec
	s_waitcnt vmcnt(0)
	v_cmp_le_u16_e64 s[0:1], v23, v24
	v_cmp_lt_u16_e32 vcc, v23, v24
	s_and_b64 s[0:1], s[0:1], s[46:47]
	s_or_b64 s[50:51], vcc, s[0:1]
	s_and_b64 s[0:1], s[50:51], exec
	v_cmp_eq_u16_e64 s[2:3], v23, v24
	s_or_b64 s[0:1], s[48:49], s[0:1]
	s_and_saveexec_b64 s[48:49], s[2:3]
	s_cbranch_execz .LBB1361_443
; %bb.445:                              ;   in Loop: Header=BB1361_444 Depth=1
	s_add_u32 s44, s44, -1
	s_addc_u32 s45, s45, -1
	v_add_co_u32_e32 v2, vcc, 2, v2
	s_cmp_eq_u64 s[44:45], 0
	v_addc_co_u32_e32 v3, vcc, 0, v3, vcc
	s_cselect_b64 s[2:3], -1, 0
	v_add_co_u32_e32 v6, vcc, 2, v6
	s_andn2_b64 s[42:43], s[42:43], exec
	s_and_b64 s[46:47], s[50:51], exec
	s_andn2_b64 s[40:41], s[40:41], exec
	s_and_b64 s[2:3], s[2:3], exec
	v_addc_co_u32_e32 v7, vcc, 0, v7, vcc
	s_or_b64 s[42:43], s[42:43], s[46:47]
	s_andn2_b64 s[0:1], s[0:1], exec
	s_or_b64 s[40:41], s[40:41], s[2:3]
                                        ; implicit-def: $sgpr46_sgpr47
	s_branch .LBB1361_443
.LBB1361_446:
	s_or_b64 exec, exec, s[36:37]
	s_xor_b64 s[0:1], s[38:39], -1
	s_branch .LBB1361_448
.LBB1361_447:
	s_mov_b64 s[0:1], -1
.LBB1361_448:
	s_and_b64 s[0:1], s[0:1], exec
.LBB1361_449:
	s_or_b64 exec, exec, s[34:35]
	s_orn2_b64 s[0:1], s[0:1], exec
.LBB1361_450:
	s_or_b64 exec, exec, s[30:31]
	v_cndmask_b32_e64 v6, v20, v19, s[0:1]
	v_cndmask_b32_e64 v7, v15, v14, s[0:1]
	;; [unrolled: 1-line block ×3, first 2 shown]
	v_add_u32_e32 v10, 1, v6
	v_add_u32_e32 v6, -1, v7
	v_min_u32_e32 v6, v10, v6
	v_lshlrev_b32_e32 v6, 3, v6
	v_cndmask_b32_e64 v2, v9, v11, s[28:29]
	ds_read_b64 v[8:9], v6
	v_cndmask_b32_e64 v11, v10, v20, s[0:1]
	v_cndmask_b32_e64 v1, v5, v1, s[26:27]
	;; [unrolled: 1-line block ×5, first 2 shown]
	s_waitcnt lgkmcnt(0)
	v_cndmask_b32_e64 v7, v21, v9, s[0:1]
	v_cndmask_b32_e64 v6, v22, v8, s[0:1]
	v_cmp_lt_u32_e32 vcc, v11, v15
	s_and_saveexec_b64 s[26:27], vcc
	s_cbranch_execz .LBB1361_460
; %bb.451:
	v_cndmask_b32_e64 v10, v19, v10, s[0:1]
	v_cndmask_b32_e64 v9, v9, v17, s[0:1]
	;; [unrolled: 1-line block ×3, first 2 shown]
	v_cmp_lt_u32_e32 vcc, v10, v14
	s_and_saveexec_b64 s[28:29], vcc
	s_cbranch_execz .LBB1361_459
; %bb.452:
	s_andn2_b64 vcc, exec, s[24:25]
	s_cbranch_vccnz .LBB1361_458
; %bb.453:
	v_mul_lo_u32 v14, v9, s16
	v_mul_lo_u32 v15, v8, s17
	v_mad_u64_u32 v[10:11], s[0:1], v8, s16, 0
	v_add3_u32 v11, v11, v15, v14
	v_lshlrev_b64 v[10:11], 1, v[10:11]
	v_mov_b32_e32 v14, s19
	v_add_co_u32_e32 v10, vcc, s18, v10
	v_addc_co_u32_e32 v11, vcc, v14, v11, vcc
	v_mul_lo_u32 v17, v7, s16
	v_mul_lo_u32 v18, v6, s17
	v_mad_u64_u32 v[14:15], s[0:1], v6, s16, 0
	v_add3_u32 v15, v15, v18, v17
	v_lshlrev_b64 v[14:15], 1, v[14:15]
	v_mov_b32_e32 v17, s19
	v_add_co_u32_e32 v14, vcc, s18, v14
	v_addc_co_u32_e32 v15, vcc, v17, v15, vcc
	s_mov_b64 s[30:31], 0
	s_mov_b64 s[40:41], s[16:17]
                                        ; implicit-def: $sgpr34_sgpr35
                                        ; implicit-def: $sgpr36_sgpr37
                                        ; implicit-def: $sgpr0_sgpr1
                                        ; implicit-def: $sgpr38_sgpr39
                                        ; implicit-def: $sgpr42_sgpr43
	s_branch .LBB1361_455
.LBB1361_454:                           ;   in Loop: Header=BB1361_455 Depth=1
	s_or_b64 exec, exec, s[44:45]
	s_and_b64 s[2:3], exec, s[36:37]
	s_or_b64 s[30:31], s[2:3], s[30:31]
	s_andn2_b64 s[2:3], s[42:43], exec
	s_and_b64 s[42:43], s[38:39], exec
	s_or_b64 s[42:43], s[2:3], s[42:43]
	s_andn2_b64 s[2:3], s[34:35], exec
	s_and_b64 s[34:35], s[0:1], exec
	s_or_b64 s[34:35], s[2:3], s[34:35]
	s_andn2_b64 exec, exec, s[30:31]
	s_cbranch_execz .LBB1361_457
.LBB1361_455:                           ; =>This Inner Loop Header: Depth=1
	global_load_ushort v17, v[10:11], off
	global_load_ushort v18, v[14:15], off
	s_andn2_b64 s[44:45], s[0:1], exec
	s_andn2_b64 s[38:39], s[38:39], exec
	s_or_b64 s[36:37], s[36:37], exec
	s_waitcnt vmcnt(0)
	v_cmp_le_u16_e64 s[0:1], v17, v18
	v_cmp_lt_u16_e32 vcc, v17, v18
	s_and_b64 s[0:1], s[0:1], s[42:43]
	s_or_b64 s[46:47], vcc, s[0:1]
	s_and_b64 s[0:1], s[46:47], exec
	v_cmp_eq_u16_e64 s[2:3], v17, v18
	s_or_b64 s[0:1], s[44:45], s[0:1]
	s_and_saveexec_b64 s[44:45], s[2:3]
	s_cbranch_execz .LBB1361_454
; %bb.456:                              ;   in Loop: Header=BB1361_455 Depth=1
	s_add_u32 s40, s40, -1
	s_addc_u32 s41, s41, -1
	v_add_co_u32_e32 v10, vcc, 2, v10
	s_cmp_eq_u64 s[40:41], 0
	v_addc_co_u32_e32 v11, vcc, 0, v11, vcc
	s_cselect_b64 s[2:3], -1, 0
	v_add_co_u32_e32 v14, vcc, 2, v14
	s_andn2_b64 s[38:39], s[38:39], exec
	s_and_b64 s[42:43], s[46:47], exec
	s_andn2_b64 s[36:37], s[36:37], exec
	s_and_b64 s[2:3], s[2:3], exec
	v_addc_co_u32_e32 v15, vcc, 0, v15, vcc
	s_or_b64 s[38:39], s[38:39], s[42:43]
	s_andn2_b64 s[0:1], s[0:1], exec
	s_or_b64 s[36:37], s[36:37], s[2:3]
                                        ; implicit-def: $sgpr42_sgpr43
	s_branch .LBB1361_454
.LBB1361_457:
	s_or_b64 exec, exec, s[30:31]
	v_cndmask_b32_e64 v7, v7, v9, s[34:35]
	v_cndmask_b32_e64 v6, v6, v8, s[34:35]
.LBB1361_458:
	v_pk_mov_b32 v[8:9], v[6:7], v[6:7] op_sel:[0,1]
.LBB1361_459:
	s_or_b64 exec, exec, s[28:29]
	v_pk_mov_b32 v[6:7], v[8:9], v[8:9] op_sel:[0,1]
.LBB1361_460:
	s_or_b64 exec, exec, s[26:27]
.LBB1361_461:
	s_or_b64 exec, exec, s[4:5]
	s_barrier
	ds_write_b128 v16, v[0:3]
	ds_write_b128 v16, v[4:7] offset:16
	v_and_b32_e32 v16, 0xc00, v27
	v_or_b32_e32 v8, 0x200, v16
	v_min_u32_e32 v14, 0x400, v8
	v_and_b32_e32 v17, 0x3fc, v27
	v_sub_u32_e32 v8, v14, v16
	v_sub_u32_e32 v9, 0x400, v14
	v_sub_u32_e64 v18, v17, v9 clamp
	v_min_u32_e32 v19, v17, v8
	v_lshlrev_b32_e32 v15, 3, v16
	v_cmp_lt_u32_e32 vcc, v18, v19
	s_waitcnt lgkmcnt(0)
	s_barrier
	s_and_saveexec_b64 s[26:27], vcc
	s_cbranch_execz .LBB1361_471
; %bb.462:
	v_lshlrev_b32_e32 v8, 3, v17
	v_lshl_add_u32 v20, v14, 3, v8
	v_cndmask_b32_e64 v8, 0, 1, s[24:25]
	s_lshl_b64 s[30:31], s[16:17], 1
	s_mov_b64 s[28:29], 0
	v_cmp_ne_u32_e64 s[0:1], 1, v8
	s_branch .LBB1361_465
.LBB1361_463:                           ;   in Loop: Header=BB1361_465 Depth=1
	s_or_b64 exec, exec, s[36:37]
.LBB1361_464:                           ;   in Loop: Header=BB1361_465 Depth=1
	v_add_u32_e32 v8, 1, v21
	v_cndmask_b32_e64 v19, v19, v21, s[34:35]
	v_cndmask_b32_e64 v18, v8, v18, s[34:35]
	v_cmp_ge_u32_e32 vcc, v18, v19
	s_or_b64 s[28:29], vcc, s[28:29]
	s_andn2_b64 exec, exec, s[28:29]
	s_cbranch_execz .LBB1361_470
.LBB1361_465:                           ; =>This Loop Header: Depth=1
                                        ;     Child Loop BB1361_468 Depth 2
	v_add_u32_e32 v8, v19, v18
	v_lshrrev_b32_e32 v21, 1, v8
	s_and_b64 vcc, exec, s[0:1]
	s_mov_b64 s[34:35], 0
	s_cbranch_vccnz .LBB1361_464
; %bb.466:                              ;   in Loop: Header=BB1361_465 Depth=1
	v_not_b32_e32 v8, v21
	v_lshl_add_u32 v8, v8, 3, v20
	ds_read_b64 v[8:9], v8
	v_lshl_add_u32 v22, v21, 3, v15
	ds_read_b64 v[22:23], v22
	v_pk_mov_b32 v[10:11], s[18:19], s[18:19] op_sel:[0,1]
	s_mov_b64 s[36:37], 0
	s_waitcnt lgkmcnt(1)
	v_mul_lo_u32 v24, s30, v9
	v_mul_lo_u32 v25, s31, v8
	v_mad_u64_u32 v[8:9], s[2:3], s30, v8, v[10:11]
	v_add3_u32 v9, v25, v9, v24
	s_waitcnt lgkmcnt(0)
	v_mul_lo_u32 v23, s30, v23
	v_mul_lo_u32 v24, s31, v22
	v_mad_u64_u32 v[10:11], s[2:3], s30, v22, v[10:11]
	v_add3_u32 v11, v24, v11, v23
	s_mov_b64 s[42:43], s[16:17]
                                        ; implicit-def: $sgpr34_sgpr35
                                        ; implicit-def: $sgpr38_sgpr39
                                        ; implicit-def: $sgpr40_sgpr41
                                        ; implicit-def: $sgpr2_sgpr3
                                        ; implicit-def: $sgpr44_sgpr45
	s_branch .LBB1361_468
.LBB1361_467:                           ;   in Loop: Header=BB1361_468 Depth=2
	s_or_b64 exec, exec, s[46:47]
	s_and_b64 s[4:5], exec, s[38:39]
	s_or_b64 s[36:37], s[4:5], s[36:37]
	s_andn2_b64 s[4:5], s[44:45], exec
	s_and_b64 s[44:45], s[40:41], exec
	s_or_b64 s[44:45], s[4:5], s[44:45]
	s_andn2_b64 s[4:5], s[34:35], exec
	s_and_b64 s[34:35], s[2:3], exec
	s_or_b64 s[34:35], s[4:5], s[34:35]
	s_andn2_b64 exec, exec, s[36:37]
	s_cbranch_execz .LBB1361_463
.LBB1361_468:                           ;   Parent Loop BB1361_465 Depth=1
                                        ; =>  This Inner Loop Header: Depth=2
	global_load_ushort v22, v[8:9], off
	global_load_ushort v23, v[10:11], off
	s_andn2_b64 s[46:47], s[2:3], exec
	s_andn2_b64 s[40:41], s[40:41], exec
	s_or_b64 s[38:39], s[38:39], exec
	s_waitcnt vmcnt(0)
	v_cmp_le_u16_e64 s[2:3], v22, v23
	v_cmp_lt_u16_e32 vcc, v22, v23
	s_and_b64 s[2:3], s[2:3], s[44:45]
	s_or_b64 s[48:49], vcc, s[2:3]
	s_and_b64 s[2:3], s[48:49], exec
	v_cmp_eq_u16_e64 s[4:5], v22, v23
	s_or_b64 s[2:3], s[46:47], s[2:3]
	s_and_saveexec_b64 s[46:47], s[4:5]
	s_cbranch_execz .LBB1361_467
; %bb.469:                              ;   in Loop: Header=BB1361_468 Depth=2
	s_add_u32 s42, s42, -1
	s_addc_u32 s43, s43, -1
	v_add_co_u32_e32 v8, vcc, 2, v8
	s_cmp_eq_u64 s[42:43], 0
	v_addc_co_u32_e32 v9, vcc, 0, v9, vcc
	s_cselect_b64 s[4:5], -1, 0
	v_add_co_u32_e32 v10, vcc, 2, v10
	s_andn2_b64 s[40:41], s[40:41], exec
	s_and_b64 s[44:45], s[48:49], exec
	s_andn2_b64 s[38:39], s[38:39], exec
	s_and_b64 s[4:5], s[4:5], exec
	v_addc_co_u32_e32 v11, vcc, 0, v11, vcc
	s_andn2_b64 s[2:3], s[2:3], exec
	s_or_b64 s[40:41], s[40:41], s[44:45]
	s_or_b64 s[38:39], s[38:39], s[4:5]
                                        ; implicit-def: $sgpr44_sgpr45
	s_branch .LBB1361_467
.LBB1361_470:
	s_or_b64 exec, exec, s[28:29]
.LBB1361_471:
	s_or_b64 exec, exec, s[26:27]
	v_sub_u32_e32 v8, v17, v18
	v_add_u32_e32 v16, v18, v16
	v_add_u32_e32 v17, v8, v14
	s_movk_i32 s0, 0x401
	v_cmp_le_u32_e32 vcc, v16, v14
	v_cmp_gt_u32_e64 s[0:1], s0, v17
	s_or_b64 s[0:1], vcc, s[0:1]
	s_and_saveexec_b64 s[4:5], s[0:1]
	s_cbranch_execz .LBB1361_518
; %bb.472:
	v_cmp_ge_u32_e32 vcc, v16, v14
	v_cmp_lt_u32_e64 s[0:1], v16, v14
                                        ; implicit-def: $vgpr0_vgpr1
	s_and_saveexec_b64 s[2:3], s[0:1]
	s_cbranch_execz .LBB1361_474
; %bb.473:
	v_lshl_add_u32 v0, v18, 3, v15
	ds_read_b64 v[0:1], v0
.LBB1361_474:
	s_or_b64 exec, exec, s[2:3]
	s_movk_i32 s0, 0x3ff
	v_cmp_lt_u32_e64 s[26:27], s0, v17
	s_movk_i32 s0, 0x400
	v_cmp_gt_u32_e64 s[0:1], s0, v17
                                        ; implicit-def: $vgpr4_vgpr5
	s_and_saveexec_b64 s[2:3], s[0:1]
	s_cbranch_execz .LBB1361_476
; %bb.475:
	v_lshlrev_b32_e32 v2, 3, v17
	ds_read_b64 v[4:5], v2
.LBB1361_476:
	s_or_b64 exec, exec, s[2:3]
	s_or_b64 s[0:1], vcc, s[26:27]
	s_mov_b64 s[28:29], -1
	s_xor_b64 s[0:1], s[0:1], -1
	s_and_saveexec_b64 s[30:31], s[0:1]
	s_cbranch_execz .LBB1361_485
; %bb.477:
	s_andn2_b64 vcc, exec, s[24:25]
	s_cbranch_vccnz .LBB1361_483
; %bb.478:
	s_waitcnt lgkmcnt(0)
	v_mul_lo_u32 v6, v5, s16
	v_mul_lo_u32 v7, v4, s17
	v_mad_u64_u32 v[2:3], s[0:1], v4, s16, 0
	v_add3_u32 v3, v3, v7, v6
	v_lshlrev_b64 v[2:3], 1, v[2:3]
	v_mov_b32_e32 v6, s19
	v_add_co_u32_e32 v2, vcc, s18, v2
	v_addc_co_u32_e32 v3, vcc, v6, v3, vcc
	v_mul_lo_u32 v8, v1, s16
	v_mul_lo_u32 v9, v0, s17
	v_mad_u64_u32 v[6:7], s[0:1], v0, s16, 0
	v_add3_u32 v7, v7, v9, v8
	v_lshlrev_b64 v[6:7], 1, v[6:7]
	v_mov_b32_e32 v8, s19
	v_add_co_u32_e32 v6, vcc, s18, v6
	v_addc_co_u32_e32 v7, vcc, v8, v7, vcc
	s_mov_b64 s[34:35], 0
	s_mov_b64 s[42:43], s[16:17]
                                        ; implicit-def: $sgpr36_sgpr37
                                        ; implicit-def: $sgpr38_sgpr39
                                        ; implicit-def: $sgpr0_sgpr1
                                        ; implicit-def: $sgpr40_sgpr41
                                        ; implicit-def: $sgpr44_sgpr45
	s_branch .LBB1361_480
.LBB1361_479:                           ;   in Loop: Header=BB1361_480 Depth=1
	s_or_b64 exec, exec, s[46:47]
	s_and_b64 s[2:3], exec, s[38:39]
	s_or_b64 s[34:35], s[2:3], s[34:35]
	s_andn2_b64 s[2:3], s[44:45], exec
	s_and_b64 s[44:45], s[40:41], exec
	s_or_b64 s[44:45], s[2:3], s[44:45]
	s_andn2_b64 s[2:3], s[36:37], exec
	s_and_b64 s[36:37], s[0:1], exec
	s_or_b64 s[36:37], s[2:3], s[36:37]
	s_andn2_b64 exec, exec, s[34:35]
	s_cbranch_execz .LBB1361_482
.LBB1361_480:                           ; =>This Inner Loop Header: Depth=1
	global_load_ushort v8, v[2:3], off
	global_load_ushort v9, v[6:7], off
	s_andn2_b64 s[46:47], s[0:1], exec
	s_andn2_b64 s[40:41], s[40:41], exec
	s_or_b64 s[38:39], s[38:39], exec
	s_waitcnt vmcnt(0)
	v_cmp_le_u16_e64 s[0:1], v8, v9
	v_cmp_lt_u16_e32 vcc, v8, v9
	s_and_b64 s[0:1], s[0:1], s[44:45]
	s_or_b64 s[48:49], vcc, s[0:1]
	s_and_b64 s[0:1], s[48:49], exec
	v_cmp_eq_u16_e64 s[2:3], v8, v9
	s_or_b64 s[0:1], s[46:47], s[0:1]
	s_and_saveexec_b64 s[46:47], s[2:3]
	s_cbranch_execz .LBB1361_479
; %bb.481:                              ;   in Loop: Header=BB1361_480 Depth=1
	s_add_u32 s42, s42, -1
	s_addc_u32 s43, s43, -1
	v_add_co_u32_e32 v2, vcc, 2, v2
	s_cmp_eq_u64 s[42:43], 0
	v_addc_co_u32_e32 v3, vcc, 0, v3, vcc
	s_cselect_b64 s[2:3], -1, 0
	v_add_co_u32_e32 v6, vcc, 2, v6
	s_andn2_b64 s[40:41], s[40:41], exec
	s_and_b64 s[44:45], s[48:49], exec
	s_andn2_b64 s[38:39], s[38:39], exec
	s_and_b64 s[2:3], s[2:3], exec
	v_addc_co_u32_e32 v7, vcc, 0, v7, vcc
	s_or_b64 s[40:41], s[40:41], s[44:45]
	s_andn2_b64 s[0:1], s[0:1], exec
	s_or_b64 s[38:39], s[38:39], s[2:3]
                                        ; implicit-def: $sgpr44_sgpr45
	s_branch .LBB1361_479
.LBB1361_482:
	s_or_b64 exec, exec, s[34:35]
	s_xor_b64 s[0:1], s[36:37], -1
	s_branch .LBB1361_484
.LBB1361_483:
	s_mov_b64 s[0:1], -1
.LBB1361_484:
	s_andn2_b64 s[2:3], s[26:27], exec
	s_and_b64 s[0:1], s[0:1], exec
	s_or_b64 s[26:27], s[2:3], s[0:1]
.LBB1361_485:
	s_or_b64 exec, exec, s[30:31]
	v_cndmask_b32_e64 v2, v17, v16, s[26:27]
	v_add_u32_e32 v8, -1, v14
	v_mov_b32_e32 v18, 0x3ff
	v_add_u32_e32 v6, 1, v2
	v_cndmask_b32_e64 v2, v18, v8, s[26:27]
	v_min_u32_e32 v2, v6, v2
	v_lshlrev_b32_e32 v2, 3, v2
	ds_read_b64 v[2:3], v2
	v_cndmask_b32_e64 v19, v6, v17, s[26:27]
	s_movk_i32 s7, 0x400
	v_cndmask_b32_e64 v22, v16, v6, s[26:27]
	v_cmp_gt_u32_e32 vcc, s7, v19
	s_waitcnt lgkmcnt(0)
	v_cndmask_b32_e64 v9, v3, v5, s[26:27]
	v_cndmask_b32_e64 v10, v2, v4, s[26:27]
	;; [unrolled: 1-line block ×4, first 2 shown]
	s_and_saveexec_b64 s[30:31], vcc
	s_cbranch_execz .LBB1361_496
; %bb.486:
	v_cmp_lt_u32_e32 vcc, v22, v14
	s_mov_b64 s[0:1], 0
	s_and_saveexec_b64 s[28:29], vcc
	s_cbranch_execz .LBB1361_495
; %bb.487:
	s_andn2_b64 vcc, exec, s[24:25]
	s_cbranch_vccnz .LBB1361_493
; %bb.488:
	v_mul_lo_u32 v6, v9, s16
	v_mul_lo_u32 v7, v10, s17
	v_mad_u64_u32 v[2:3], s[0:1], v10, s16, 0
	v_add3_u32 v3, v3, v7, v6
	v_lshlrev_b64 v[2:3], 1, v[2:3]
	v_mov_b32_e32 v6, s19
	v_add_co_u32_e32 v2, vcc, s18, v2
	v_addc_co_u32_e32 v3, vcc, v6, v3, vcc
	v_mul_lo_u32 v16, v11, s16
	v_mul_lo_u32 v17, v15, s17
	v_mad_u64_u32 v[6:7], s[0:1], v15, s16, 0
	v_add3_u32 v7, v7, v17, v16
	v_lshlrev_b64 v[6:7], 1, v[6:7]
	v_mov_b32_e32 v16, s19
	v_add_co_u32_e32 v6, vcc, s18, v6
	v_addc_co_u32_e32 v7, vcc, v16, v7, vcc
	s_mov_b64 s[34:35], 0
	s_mov_b64 s[42:43], s[16:17]
                                        ; implicit-def: $sgpr36_sgpr37
                                        ; implicit-def: $sgpr38_sgpr39
                                        ; implicit-def: $sgpr0_sgpr1
                                        ; implicit-def: $sgpr40_sgpr41
                                        ; implicit-def: $sgpr44_sgpr45
	s_branch .LBB1361_490
.LBB1361_489:                           ;   in Loop: Header=BB1361_490 Depth=1
	s_or_b64 exec, exec, s[46:47]
	s_and_b64 s[2:3], exec, s[38:39]
	s_or_b64 s[34:35], s[2:3], s[34:35]
	s_andn2_b64 s[2:3], s[44:45], exec
	s_and_b64 s[44:45], s[40:41], exec
	s_or_b64 s[44:45], s[2:3], s[44:45]
	s_andn2_b64 s[2:3], s[36:37], exec
	s_and_b64 s[36:37], s[0:1], exec
	s_or_b64 s[36:37], s[2:3], s[36:37]
	s_andn2_b64 exec, exec, s[34:35]
	s_cbranch_execz .LBB1361_492
.LBB1361_490:                           ; =>This Inner Loop Header: Depth=1
	global_load_ushort v16, v[2:3], off
	global_load_ushort v17, v[6:7], off
	s_andn2_b64 s[46:47], s[0:1], exec
	s_andn2_b64 s[40:41], s[40:41], exec
	s_or_b64 s[38:39], s[38:39], exec
	s_waitcnt vmcnt(0)
	v_cmp_le_u16_e64 s[0:1], v16, v17
	v_cmp_lt_u16_e32 vcc, v16, v17
	s_and_b64 s[0:1], s[0:1], s[44:45]
	s_or_b64 s[48:49], vcc, s[0:1]
	s_and_b64 s[0:1], s[48:49], exec
	v_cmp_eq_u16_e64 s[2:3], v16, v17
	s_or_b64 s[0:1], s[46:47], s[0:1]
	s_and_saveexec_b64 s[46:47], s[2:3]
	s_cbranch_execz .LBB1361_489
; %bb.491:                              ;   in Loop: Header=BB1361_490 Depth=1
	s_add_u32 s42, s42, -1
	s_addc_u32 s43, s43, -1
	v_add_co_u32_e32 v2, vcc, 2, v2
	s_cmp_eq_u64 s[42:43], 0
	v_addc_co_u32_e32 v3, vcc, 0, v3, vcc
	s_cselect_b64 s[2:3], -1, 0
	v_add_co_u32_e32 v6, vcc, 2, v6
	s_andn2_b64 s[40:41], s[40:41], exec
	s_and_b64 s[44:45], s[48:49], exec
	s_andn2_b64 s[38:39], s[38:39], exec
	s_and_b64 s[2:3], s[2:3], exec
	v_addc_co_u32_e32 v7, vcc, 0, v7, vcc
	s_or_b64 s[40:41], s[40:41], s[44:45]
	s_andn2_b64 s[0:1], s[0:1], exec
	s_or_b64 s[38:39], s[38:39], s[2:3]
                                        ; implicit-def: $sgpr44_sgpr45
	s_branch .LBB1361_489
.LBB1361_492:
	s_or_b64 exec, exec, s[34:35]
	s_xor_b64 s[0:1], s[36:37], -1
	s_branch .LBB1361_494
.LBB1361_493:
	s_mov_b64 s[0:1], -1
.LBB1361_494:
	s_and_b64 s[0:1], s[0:1], exec
.LBB1361_495:
	s_or_b64 exec, exec, s[28:29]
	s_orn2_b64 s[28:29], s[0:1], exec
.LBB1361_496:
	s_or_b64 exec, exec, s[30:31]
	v_cndmask_b32_e64 v2, v19, v22, s[28:29]
	v_add_u32_e32 v6, 1, v2
	v_cndmask_b32_e64 v2, v18, v8, s[28:29]
	v_min_u32_e32 v2, v6, v2
	v_lshlrev_b32_e32 v2, 3, v2
	ds_read_b64 v[2:3], v2
	v_cndmask_b32_e64 v19, v6, v19, s[28:29]
	v_cndmask_b32_e64 v18, v22, v6, s[28:29]
	v_cmp_gt_u32_e32 vcc, s7, v19
	s_mov_b64 s[0:1], -1
	s_waitcnt lgkmcnt(0)
	v_cndmask_b32_e64 v16, v3, v9, s[28:29]
	v_cndmask_b32_e64 v17, v2, v10, s[28:29]
	;; [unrolled: 1-line block ×4, first 2 shown]
	s_and_saveexec_b64 s[30:31], vcc
	s_cbranch_execz .LBB1361_507
; %bb.497:
	v_cmp_lt_u32_e32 vcc, v18, v14
	s_mov_b64 s[0:1], 0
	s_and_saveexec_b64 s[34:35], vcc
	s_cbranch_execz .LBB1361_506
; %bb.498:
	s_andn2_b64 vcc, exec, s[24:25]
	s_cbranch_vccnz .LBB1361_504
; %bb.499:
	v_mul_lo_u32 v6, v16, s16
	v_mul_lo_u32 v7, v17, s17
	v_mad_u64_u32 v[2:3], s[0:1], v17, s16, 0
	v_add3_u32 v3, v3, v7, v6
	v_lshlrev_b64 v[2:3], 1, v[2:3]
	v_mov_b32_e32 v6, s19
	v_add_co_u32_e32 v2, vcc, s18, v2
	v_addc_co_u32_e32 v3, vcc, v6, v3, vcc
	v_mul_lo_u32 v22, v20, s16
	v_mul_lo_u32 v23, v21, s17
	v_mad_u64_u32 v[6:7], s[0:1], v21, s16, 0
	v_add3_u32 v7, v7, v23, v22
	v_lshlrev_b64 v[6:7], 1, v[6:7]
	v_mov_b32_e32 v22, s19
	v_add_co_u32_e32 v6, vcc, s18, v6
	v_addc_co_u32_e32 v7, vcc, v22, v7, vcc
	s_mov_b64 s[36:37], 0
	s_mov_b64 s[44:45], s[16:17]
                                        ; implicit-def: $sgpr38_sgpr39
                                        ; implicit-def: $sgpr40_sgpr41
                                        ; implicit-def: $sgpr0_sgpr1
                                        ; implicit-def: $sgpr42_sgpr43
                                        ; implicit-def: $sgpr46_sgpr47
	s_branch .LBB1361_501
.LBB1361_500:                           ;   in Loop: Header=BB1361_501 Depth=1
	s_or_b64 exec, exec, s[48:49]
	s_and_b64 s[2:3], exec, s[40:41]
	s_or_b64 s[36:37], s[2:3], s[36:37]
	s_andn2_b64 s[2:3], s[46:47], exec
	s_and_b64 s[46:47], s[42:43], exec
	s_or_b64 s[46:47], s[2:3], s[46:47]
	s_andn2_b64 s[2:3], s[38:39], exec
	s_and_b64 s[38:39], s[0:1], exec
	s_or_b64 s[38:39], s[2:3], s[38:39]
	s_andn2_b64 exec, exec, s[36:37]
	s_cbranch_execz .LBB1361_503
.LBB1361_501:                           ; =>This Inner Loop Header: Depth=1
	global_load_ushort v22, v[2:3], off
	global_load_ushort v23, v[6:7], off
	s_andn2_b64 s[48:49], s[0:1], exec
	s_andn2_b64 s[42:43], s[42:43], exec
	s_or_b64 s[40:41], s[40:41], exec
	s_waitcnt vmcnt(0)
	v_cmp_le_u16_e64 s[0:1], v22, v23
	v_cmp_lt_u16_e32 vcc, v22, v23
	s_and_b64 s[0:1], s[0:1], s[46:47]
	s_or_b64 s[50:51], vcc, s[0:1]
	s_and_b64 s[0:1], s[50:51], exec
	v_cmp_eq_u16_e64 s[2:3], v22, v23
	s_or_b64 s[0:1], s[48:49], s[0:1]
	s_and_saveexec_b64 s[48:49], s[2:3]
	s_cbranch_execz .LBB1361_500
; %bb.502:                              ;   in Loop: Header=BB1361_501 Depth=1
	s_add_u32 s44, s44, -1
	s_addc_u32 s45, s45, -1
	v_add_co_u32_e32 v2, vcc, 2, v2
	s_cmp_eq_u64 s[44:45], 0
	v_addc_co_u32_e32 v3, vcc, 0, v3, vcc
	s_cselect_b64 s[2:3], -1, 0
	v_add_co_u32_e32 v6, vcc, 2, v6
	s_andn2_b64 s[42:43], s[42:43], exec
	s_and_b64 s[46:47], s[50:51], exec
	s_andn2_b64 s[40:41], s[40:41], exec
	s_and_b64 s[2:3], s[2:3], exec
	v_addc_co_u32_e32 v7, vcc, 0, v7, vcc
	s_or_b64 s[42:43], s[42:43], s[46:47]
	s_andn2_b64 s[0:1], s[0:1], exec
	s_or_b64 s[40:41], s[40:41], s[2:3]
                                        ; implicit-def: $sgpr46_sgpr47
	s_branch .LBB1361_500
.LBB1361_503:
	s_or_b64 exec, exec, s[36:37]
	s_xor_b64 s[0:1], s[38:39], -1
	s_branch .LBB1361_505
.LBB1361_504:
	s_mov_b64 s[0:1], -1
.LBB1361_505:
	s_and_b64 s[0:1], s[0:1], exec
.LBB1361_506:
	s_or_b64 exec, exec, s[34:35]
	s_orn2_b64 s[0:1], s[0:1], exec
.LBB1361_507:
	s_or_b64 exec, exec, s[30:31]
	v_cndmask_b32_e64 v6, v19, v18, s[0:1]
	v_cndmask_b32_e64 v2, v10, v15, s[28:29]
	v_add_u32_e32 v10, 1, v6
	v_mov_b32_e32 v6, 0x3ff
	v_cndmask_b32_e64 v6, v6, v8, s[0:1]
	v_min_u32_e32 v6, v10, v6
	v_lshlrev_b32_e32 v6, 3, v6
	v_cndmask_b32_e64 v3, v9, v11, s[28:29]
	ds_read_b64 v[8:9], v6
	v_cndmask_b32_e64 v11, v10, v19, s[0:1]
	s_movk_i32 s2, 0x400
	v_cndmask_b32_e64 v1, v5, v1, s[26:27]
	v_cndmask_b32_e64 v0, v4, v0, s[26:27]
	;; [unrolled: 1-line block ×4, first 2 shown]
	s_waitcnt lgkmcnt(0)
	v_cndmask_b32_e64 v7, v20, v9, s[0:1]
	v_cndmask_b32_e64 v6, v21, v8, s[0:1]
	v_cmp_gt_u32_e32 vcc, s2, v11
	s_and_saveexec_b64 s[26:27], vcc
	s_cbranch_execz .LBB1361_517
; %bb.508:
	v_cndmask_b32_e64 v10, v18, v10, s[0:1]
	v_cndmask_b32_e64 v9, v9, v16, s[0:1]
	;; [unrolled: 1-line block ×3, first 2 shown]
	v_cmp_lt_u32_e32 vcc, v10, v14
	s_and_saveexec_b64 s[28:29], vcc
	s_cbranch_execz .LBB1361_516
; %bb.509:
	s_andn2_b64 vcc, exec, s[24:25]
	s_cbranch_vccnz .LBB1361_515
; %bb.510:
	v_mul_lo_u32 v14, v9, s16
	v_mul_lo_u32 v15, v8, s17
	v_mad_u64_u32 v[10:11], s[0:1], v8, s16, 0
	v_add3_u32 v11, v11, v15, v14
	v_lshlrev_b64 v[10:11], 1, v[10:11]
	v_mov_b32_e32 v14, s19
	v_add_co_u32_e32 v10, vcc, s18, v10
	v_addc_co_u32_e32 v11, vcc, v14, v11, vcc
	v_mul_lo_u32 v16, v7, s16
	v_mul_lo_u32 v17, v6, s17
	v_mad_u64_u32 v[14:15], s[0:1], v6, s16, 0
	v_add3_u32 v15, v15, v17, v16
	v_lshlrev_b64 v[14:15], 1, v[14:15]
	v_mov_b32_e32 v16, s19
	v_add_co_u32_e32 v14, vcc, s18, v14
	v_addc_co_u32_e32 v15, vcc, v16, v15, vcc
	s_mov_b64 s[24:25], 0
	s_mov_b64 s[38:39], s[16:17]
                                        ; implicit-def: $sgpr30_sgpr31
                                        ; implicit-def: $sgpr34_sgpr35
                                        ; implicit-def: $sgpr0_sgpr1
                                        ; implicit-def: $sgpr36_sgpr37
                                        ; implicit-def: $sgpr40_sgpr41
	s_branch .LBB1361_512
.LBB1361_511:                           ;   in Loop: Header=BB1361_512 Depth=1
	s_or_b64 exec, exec, s[42:43]
	s_and_b64 s[2:3], exec, s[34:35]
	s_or_b64 s[24:25], s[2:3], s[24:25]
	s_andn2_b64 s[2:3], s[40:41], exec
	s_and_b64 s[40:41], s[36:37], exec
	s_or_b64 s[40:41], s[2:3], s[40:41]
	s_andn2_b64 s[2:3], s[30:31], exec
	s_and_b64 s[30:31], s[0:1], exec
	s_or_b64 s[30:31], s[2:3], s[30:31]
	s_andn2_b64 exec, exec, s[24:25]
	s_cbranch_execz .LBB1361_514
.LBB1361_512:                           ; =>This Inner Loop Header: Depth=1
	global_load_ushort v16, v[10:11], off
	global_load_ushort v17, v[14:15], off
	s_andn2_b64 s[42:43], s[0:1], exec
	s_andn2_b64 s[36:37], s[36:37], exec
	s_or_b64 s[34:35], s[34:35], exec
	s_waitcnt vmcnt(0)
	v_cmp_le_u16_e64 s[0:1], v16, v17
	v_cmp_lt_u16_e32 vcc, v16, v17
	s_and_b64 s[0:1], s[0:1], s[40:41]
	s_or_b64 s[44:45], vcc, s[0:1]
	s_and_b64 s[0:1], s[44:45], exec
	v_cmp_eq_u16_e64 s[2:3], v16, v17
	s_or_b64 s[0:1], s[42:43], s[0:1]
	s_and_saveexec_b64 s[42:43], s[2:3]
	s_cbranch_execz .LBB1361_511
; %bb.513:                              ;   in Loop: Header=BB1361_512 Depth=1
	s_add_u32 s38, s38, -1
	s_addc_u32 s39, s39, -1
	v_add_co_u32_e32 v10, vcc, 2, v10
	s_cmp_eq_u64 s[38:39], 0
	v_addc_co_u32_e32 v11, vcc, 0, v11, vcc
	s_cselect_b64 s[2:3], -1, 0
	v_add_co_u32_e32 v14, vcc, 2, v14
	s_andn2_b64 s[36:37], s[36:37], exec
	s_and_b64 s[40:41], s[44:45], exec
	s_andn2_b64 s[34:35], s[34:35], exec
	s_and_b64 s[2:3], s[2:3], exec
	v_addc_co_u32_e32 v15, vcc, 0, v15, vcc
	s_or_b64 s[36:37], s[36:37], s[40:41]
	s_andn2_b64 s[0:1], s[0:1], exec
	s_or_b64 s[34:35], s[34:35], s[2:3]
                                        ; implicit-def: $sgpr40_sgpr41
	s_branch .LBB1361_511
.LBB1361_514:
	s_or_b64 exec, exec, s[24:25]
	v_cndmask_b32_e64 v7, v7, v9, s[30:31]
	v_cndmask_b32_e64 v6, v6, v8, s[30:31]
.LBB1361_515:
	v_pk_mov_b32 v[8:9], v[6:7], v[6:7] op_sel:[0,1]
.LBB1361_516:
	s_or_b64 exec, exec, s[28:29]
	v_pk_mov_b32 v[6:7], v[8:9], v[8:9] op_sel:[0,1]
.LBB1361_517:
	s_or_b64 exec, exec, s[26:27]
.LBB1361_518:
	s_or_b64 exec, exec, s[4:5]
	s_barrier
	s_barrier
	ds_write2_b64 v33, v[0:1], v[2:3] offset1:1
	ds_write2_b64 v33, v[4:5], v[6:7] offset0:2 offset1:3
	s_waitcnt lgkmcnt(0)
	s_barrier
	ds_read_b64 v[2:3], v32
	ds_read_b64 v[4:5], v34 offset:2048
	ds_read_b64 v[6:7], v35 offset:4096
	;; [unrolled: 1-line block ×3, first 2 shown]
	v_mov_b32_e32 v8, s21
	v_add_co_u32_e32 v9, vcc, s20, v26
	v_addc_co_u32_e32 v8, vcc, 0, v8, vcc
	s_waitcnt lgkmcnt(3)
	global_store_dwordx2 v26, v[2:3], s[20:21]
	s_waitcnt lgkmcnt(2)
	global_store_dwordx2 v26, v[4:5], s[20:21] offset:2048
	v_add_co_u32_e32 v2, vcc, 0x1000, v9
	v_addc_co_u32_e32 v3, vcc, 0, v8, vcc
	s_waitcnt lgkmcnt(1)
	global_store_dwordx2 v[2:3], v[6:7], off
	s_mov_b64 s[24:25], -1
	s_branch .LBB1361_874
.LBB1361_519:
	s_lshl_b64 s[0:1], s[14:15], 10
	s_sub_i32 s33, s22, s0
	v_cmp_gt_u32_e64 s[0:1], s33, v12
                                        ; implicit-def: $vgpr0_vgpr1_vgpr2_vgpr3_vgpr4_vgpr5_vgpr6_vgpr7
	s_and_saveexec_b64 s[2:3], s[0:1]
	s_cbranch_execz .LBB1361_521
; %bb.520:
	s_waitcnt lgkmcnt(0)
	global_load_dwordx2 v[0:1], v26, s[8:9]
.LBB1361_521:
	s_or_b64 exec, exec, s[2:3]
	v_add_u32_e32 v8, 0x100, v12
	v_cmp_gt_u32_e64 s[2:3], s33, v8
	s_and_saveexec_b64 s[4:5], s[2:3]
	s_cbranch_execz .LBB1361_523
; %bb.522:
	global_load_dwordx2 v[2:3], v26, s[8:9] offset:2048
.LBB1361_523:
	s_or_b64 exec, exec, s[4:5]
	v_add_u32_e32 v9, 0x200, v12
	v_cmp_gt_u32_e64 s[4:5], s33, v9
	s_and_saveexec_b64 s[14:15], s[4:5]
	s_cbranch_execz .LBB1361_525
; %bb.524:
	v_lshlrev_b32_e32 v4, 3, v9
	global_load_dwordx2 v[4:5], v4, s[8:9]
.LBB1361_525:
	s_or_b64 exec, exec, s[14:15]
	v_add_u32_e32 v10, 0x300, v12
	v_cmp_gt_u32_e64 s[24:25], s33, v10
	s_and_saveexec_b64 s[14:15], s[24:25]
	s_cbranch_execz .LBB1361_527
; %bb.526:
	v_lshlrev_b32_e32 v6, 3, v10
	global_load_dwordx2 v[6:7], v6, s[8:9]
.LBB1361_527:
	s_or_b64 exec, exec, s[14:15]
	v_and_b32_e32 v11, 0xf8, v31
	v_add_u32_e32 v14, v11, v26
	s_waitcnt vmcnt(0) lgkmcnt(0)
	ds_write_b64 v14, v[0:1]
	v_lshrrev_b32_e32 v0, 2, v8
	v_and_b32_e32 v0, 0x1f8, v0
	v_add_u32_e32 v13, v0, v26
	v_lshrrev_b32_e32 v0, 2, v9
	v_and_b32_e32 v0, 0x1f8, v0
	v_add_u32_e32 v15, v0, v26
	;; [unrolled: 3-line block ×3, first 2 shown]
	v_add_lshl_u32 v17, v30, v27, 3
	ds_write_b64 v13, v[2:3] offset:2048
	ds_write_b64 v15, v[4:5] offset:4096
	;; [unrolled: 1-line block ×3, first 2 shown]
	s_waitcnt lgkmcnt(0)
	s_barrier
	ds_read2_b64 v[0:3], v17 offset1:1
	ds_read2_b64 v[4:7], v17 offset0:2 offset1:3
	s_waitcnt lgkmcnt(0)
	s_barrier
	s_load_dword s7, s[10:11], 0xc
	v_mov_b32_e32 v8, 0
	v_cmp_gt_i64_e64 s[22:23], s[16:17], 0
	s_waitcnt lgkmcnt(0)
	s_lshr_b32 s8, s7, 16
	s_cmp_lt_u32 s6, s12
	s_cselect_b32 s6, 12, 18
	s_add_u32 s6, s10, s6
	s_addc_u32 s7, s11, 0
	global_load_ushort v8, v8, s[6:7]
	v_mad_u32_u24 v9, v29, s8, v28
	s_waitcnt vmcnt(0)
	v_mul_lo_u32 v8, v9, v8
	v_add_lshl_u32 v18, v8, v12, 2
	v_sub_u32_e64 v19, s33, v18 clamp
	v_cmp_lt_u32_e64 s[6:7], 1, v19
	s_and_saveexec_b64 s[12:13], s[6:7]
	s_cbranch_execz .LBB1361_536
; %bb.528:
	s_andn2_b64 vcc, exec, s[22:23]
	s_cbranch_vccnz .LBB1361_536
; %bb.529:
	v_mul_lo_u32 v10, v3, s16
	v_mul_lo_u32 v11, v2, s17
	v_mad_u64_u32 v[8:9], s[8:9], v2, s16, 0
	v_add3_u32 v9, v9, v11, v10
	v_lshlrev_b64 v[8:9], 1, v[8:9]
	v_mov_b32_e32 v10, s19
	v_add_co_u32_e32 v8, vcc, s18, v8
	v_addc_co_u32_e32 v9, vcc, v10, v9, vcc
	v_mul_lo_u32 v20, v1, s16
	v_mul_lo_u32 v21, v0, s17
	v_mad_u64_u32 v[10:11], s[8:9], v0, s16, 0
	v_add3_u32 v11, v11, v21, v20
	v_lshlrev_b64 v[10:11], 1, v[10:11]
	v_mov_b32_e32 v20, s19
	v_add_co_u32_e32 v10, vcc, s18, v10
	v_addc_co_u32_e32 v11, vcc, v20, v11, vcc
	s_mov_b64 s[26:27], 0
	s_mov_b64 s[38:39], s[16:17]
                                        ; implicit-def: $sgpr14_sgpr15
                                        ; implicit-def: $sgpr28_sgpr29
                                        ; implicit-def: $sgpr34_sgpr35
                                        ; implicit-def: $sgpr30_sgpr31
                                        ; implicit-def: $sgpr36_sgpr37
                                        ; implicit-def: $sgpr40_sgpr41
	s_branch .LBB1361_531
.LBB1361_530:                           ;   in Loop: Header=BB1361_531 Depth=1
	s_or_b64 exec, exec, s[42:43]
	s_and_b64 s[10:11], exec, s[34:35]
	s_or_b64 s[26:27], s[10:11], s[26:27]
	s_andn2_b64 s[10:11], s[40:41], exec
	s_and_b64 s[40:41], s[36:37], exec
	s_or_b64 s[40:41], s[10:11], s[40:41]
	s_andn2_b64 s[10:11], s[28:29], exec
	s_and_b64 s[28:29], s[30:31], exec
	;; [unrolled: 3-line block ×3, first 2 shown]
	s_or_b64 s[14:15], s[10:11], s[8:9]
	s_andn2_b64 exec, exec, s[26:27]
	s_cbranch_execz .LBB1361_533
.LBB1361_531:                           ; =>This Inner Loop Header: Depth=1
	global_load_ushort v20, v[8:9], off
	global_load_ushort v21, v[10:11], off
	s_andn2_b64 s[36:37], s[36:37], exec
	s_or_b64 s[30:31], s[30:31], exec
	s_or_b64 s[34:35], s[34:35], exec
	s_waitcnt vmcnt(0)
	v_cmp_le_u16_e64 s[8:9], v20, v21
	v_cmp_lt_u16_e32 vcc, v20, v21
	s_and_b64 s[8:9], s[8:9], s[40:41]
	v_cmp_eq_u16_e64 s[10:11], v20, v21
	s_or_b64 s[8:9], vcc, s[8:9]
	s_and_saveexec_b64 s[42:43], s[10:11]
	s_cbranch_execz .LBB1361_530
; %bb.532:                              ;   in Loop: Header=BB1361_531 Depth=1
	s_add_u32 s38, s38, -1
	s_addc_u32 s39, s39, -1
	v_add_co_u32_e32 v8, vcc, 2, v8
	s_cmp_eq_u64 s[38:39], 0
	v_addc_co_u32_e32 v9, vcc, 0, v9, vcc
	s_cselect_b64 s[10:11], -1, 0
	v_add_co_u32_e32 v10, vcc, 2, v10
	s_andn2_b64 s[36:37], s[36:37], exec
	s_and_b64 s[40:41], s[8:9], exec
	s_andn2_b64 s[34:35], s[34:35], exec
	s_and_b64 s[10:11], s[10:11], exec
	v_addc_co_u32_e32 v11, vcc, 0, v11, vcc
	s_or_b64 s[36:37], s[36:37], s[40:41]
	s_andn2_b64 s[30:31], s[30:31], exec
	s_or_b64 s[34:35], s[34:35], s[10:11]
                                        ; implicit-def: $sgpr40_sgpr41
	s_branch .LBB1361_530
.LBB1361_533:
	s_or_b64 exec, exec, s[26:27]
	s_and_saveexec_b64 s[8:9], s[28:29]
	s_xor_b64 s[8:9], exec, s[8:9]
	s_cbranch_execz .LBB1361_535
; %bb.534:
	v_cndmask_b32_e64 v29, v1, v3, s[14:15]
	v_cndmask_b32_e64 v28, v0, v2, s[14:15]
	;; [unrolled: 1-line block ×4, first 2 shown]
	v_mov_b32_e32 v32, v4
	v_mov_b32_e32 v33, v5
	;; [unrolled: 1-line block ×4, first 2 shown]
	v_pk_mov_b32 v[0:1], v[28:29], v[28:29] op_sel:[0,1]
	v_pk_mov_b32 v[2:3], v[30:31], v[30:31] op_sel:[0,1]
	v_pk_mov_b32 v[4:5], v[32:33], v[32:33] op_sel:[0,1]
	v_pk_mov_b32 v[6:7], v[34:35], v[34:35] op_sel:[0,1]
.LBB1361_535:
	s_or_b64 exec, exec, s[8:9]
.LBB1361_536:
	s_or_b64 exec, exec, s[12:13]
	v_cmp_lt_u32_e64 s[8:9], 3, v19
	s_and_saveexec_b64 s[14:15], s[8:9]
	s_cbranch_execz .LBB1361_545
; %bb.537:
	s_andn2_b64 vcc, exec, s[22:23]
	s_cbranch_vccnz .LBB1361_545
; %bb.538:
	v_mul_lo_u32 v10, v7, s16
	v_mul_lo_u32 v11, v6, s17
	v_mad_u64_u32 v[8:9], s[10:11], v6, s16, 0
	v_add3_u32 v9, v9, v11, v10
	v_lshlrev_b64 v[8:9], 1, v[8:9]
	v_mov_b32_e32 v10, s19
	v_add_co_u32_e32 v8, vcc, s18, v8
	v_addc_co_u32_e32 v9, vcc, v10, v9, vcc
	v_mul_lo_u32 v20, v5, s16
	v_mul_lo_u32 v21, v4, s17
	v_mad_u64_u32 v[10:11], s[10:11], v4, s16, 0
	v_add3_u32 v11, v11, v21, v20
	v_lshlrev_b64 v[10:11], 1, v[10:11]
	v_mov_b32_e32 v20, s19
	v_add_co_u32_e32 v10, vcc, s18, v10
	v_addc_co_u32_e32 v11, vcc, v20, v11, vcc
	s_mov_b64 s[28:29], 0
	s_mov_b64 s[40:41], s[16:17]
                                        ; implicit-def: $sgpr26_sgpr27
                                        ; implicit-def: $sgpr30_sgpr31
                                        ; implicit-def: $sgpr36_sgpr37
                                        ; implicit-def: $sgpr34_sgpr35
                                        ; implicit-def: $sgpr38_sgpr39
                                        ; implicit-def: $sgpr42_sgpr43
	s_branch .LBB1361_540
.LBB1361_539:                           ;   in Loop: Header=BB1361_540 Depth=1
	s_or_b64 exec, exec, s[44:45]
	s_and_b64 s[12:13], exec, s[36:37]
	s_or_b64 s[28:29], s[12:13], s[28:29]
	s_andn2_b64 s[12:13], s[42:43], exec
	s_and_b64 s[42:43], s[38:39], exec
	s_or_b64 s[42:43], s[12:13], s[42:43]
	s_andn2_b64 s[12:13], s[30:31], exec
	s_and_b64 s[30:31], s[34:35], exec
	;; [unrolled: 3-line block ×3, first 2 shown]
	s_or_b64 s[26:27], s[12:13], s[10:11]
	s_andn2_b64 exec, exec, s[28:29]
	s_cbranch_execz .LBB1361_542
.LBB1361_540:                           ; =>This Inner Loop Header: Depth=1
	global_load_ushort v20, v[8:9], off
	global_load_ushort v21, v[10:11], off
	s_andn2_b64 s[38:39], s[38:39], exec
	s_or_b64 s[34:35], s[34:35], exec
	s_or_b64 s[36:37], s[36:37], exec
	s_waitcnt vmcnt(0)
	v_cmp_le_u16_e64 s[10:11], v20, v21
	v_cmp_lt_u16_e32 vcc, v20, v21
	s_and_b64 s[10:11], s[10:11], s[42:43]
	v_cmp_eq_u16_e64 s[12:13], v20, v21
	s_or_b64 s[10:11], vcc, s[10:11]
	s_and_saveexec_b64 s[44:45], s[12:13]
	s_cbranch_execz .LBB1361_539
; %bb.541:                              ;   in Loop: Header=BB1361_540 Depth=1
	s_add_u32 s40, s40, -1
	s_addc_u32 s41, s41, -1
	v_add_co_u32_e32 v8, vcc, 2, v8
	s_cmp_eq_u64 s[40:41], 0
	v_addc_co_u32_e32 v9, vcc, 0, v9, vcc
	s_cselect_b64 s[12:13], -1, 0
	v_add_co_u32_e32 v10, vcc, 2, v10
	s_andn2_b64 s[38:39], s[38:39], exec
	s_and_b64 s[42:43], s[10:11], exec
	s_andn2_b64 s[36:37], s[36:37], exec
	s_and_b64 s[12:13], s[12:13], exec
	v_addc_co_u32_e32 v11, vcc, 0, v11, vcc
	s_or_b64 s[38:39], s[38:39], s[42:43]
	s_andn2_b64 s[34:35], s[34:35], exec
	s_or_b64 s[36:37], s[36:37], s[12:13]
                                        ; implicit-def: $sgpr42_sgpr43
	s_branch .LBB1361_539
.LBB1361_542:
	s_or_b64 exec, exec, s[28:29]
	s_and_saveexec_b64 s[10:11], s[30:31]
	s_xor_b64 s[10:11], exec, s[10:11]
; %bb.543:
	v_cndmask_b32_e64 v8, v7, v5, s[26:27]
	v_cndmask_b32_e64 v9, v6, v4, s[26:27]
	;; [unrolled: 1-line block ×4, first 2 shown]
	v_mov_b32_e32 v6, v9
	v_mov_b32_e32 v7, v8
; %bb.544:
	s_or_b64 exec, exec, s[10:11]
.LBB1361_545:
	s_or_b64 exec, exec, s[14:15]
	v_cmp_lt_u32_e64 s[10:11], 2, v19
	s_and_saveexec_b64 s[12:13], s[10:11]
	s_xor_b64 s[26:27], exec, s[12:13]
	s_cbranch_execz .LBB1361_554
; %bb.546:
	s_andn2_b64 vcc, exec, s[22:23]
	s_cbranch_vccnz .LBB1361_554
; %bb.547:
	v_mul_lo_u32 v10, v5, s16
	v_mul_lo_u32 v11, v4, s17
	v_mad_u64_u32 v[8:9], s[12:13], v4, s16, 0
	v_add3_u32 v9, v9, v11, v10
	v_lshlrev_b64 v[8:9], 1, v[8:9]
	v_mov_b32_e32 v10, s19
	v_add_co_u32_e32 v8, vcc, s18, v8
	v_addc_co_u32_e32 v9, vcc, v10, v9, vcc
	v_mul_lo_u32 v19, v3, s16
	v_mul_lo_u32 v20, v2, s17
	v_mad_u64_u32 v[10:11], s[12:13], v2, s16, 0
	v_add3_u32 v11, v11, v20, v19
	v_lshlrev_b64 v[10:11], 1, v[10:11]
	v_mov_b32_e32 v19, s19
	v_add_co_u32_e32 v10, vcc, s18, v10
	v_addc_co_u32_e32 v11, vcc, v19, v11, vcc
	s_mov_b64 s[30:31], 0
	s_mov_b64 s[42:43], s[16:17]
                                        ; implicit-def: $sgpr28_sgpr29
                                        ; implicit-def: $sgpr34_sgpr35
                                        ; implicit-def: $sgpr38_sgpr39
                                        ; implicit-def: $sgpr36_sgpr37
                                        ; implicit-def: $sgpr40_sgpr41
                                        ; implicit-def: $sgpr44_sgpr45
	s_branch .LBB1361_549
.LBB1361_548:                           ;   in Loop: Header=BB1361_549 Depth=1
	s_or_b64 exec, exec, s[46:47]
	s_and_b64 s[14:15], exec, s[38:39]
	s_or_b64 s[30:31], s[14:15], s[30:31]
	s_andn2_b64 s[14:15], s[44:45], exec
	s_and_b64 s[44:45], s[40:41], exec
	s_or_b64 s[44:45], s[14:15], s[44:45]
	s_andn2_b64 s[14:15], s[34:35], exec
	s_and_b64 s[34:35], s[36:37], exec
	;; [unrolled: 3-line block ×3, first 2 shown]
	s_or_b64 s[28:29], s[14:15], s[12:13]
	s_andn2_b64 exec, exec, s[30:31]
	s_cbranch_execz .LBB1361_551
.LBB1361_549:                           ; =>This Inner Loop Header: Depth=1
	global_load_ushort v19, v[8:9], off
	global_load_ushort v20, v[10:11], off
	s_andn2_b64 s[40:41], s[40:41], exec
	s_or_b64 s[36:37], s[36:37], exec
	s_or_b64 s[38:39], s[38:39], exec
	s_waitcnt vmcnt(0)
	v_cmp_le_u16_e64 s[12:13], v19, v20
	v_cmp_lt_u16_e32 vcc, v19, v20
	s_and_b64 s[12:13], s[12:13], s[44:45]
	v_cmp_eq_u16_e64 s[14:15], v19, v20
	s_or_b64 s[12:13], vcc, s[12:13]
	s_and_saveexec_b64 s[46:47], s[14:15]
	s_cbranch_execz .LBB1361_548
; %bb.550:                              ;   in Loop: Header=BB1361_549 Depth=1
	s_add_u32 s42, s42, -1
	s_addc_u32 s43, s43, -1
	v_add_co_u32_e32 v8, vcc, 2, v8
	s_cmp_eq_u64 s[42:43], 0
	v_addc_co_u32_e32 v9, vcc, 0, v9, vcc
	s_cselect_b64 s[14:15], -1, 0
	v_add_co_u32_e32 v10, vcc, 2, v10
	s_andn2_b64 s[40:41], s[40:41], exec
	s_and_b64 s[44:45], s[12:13], exec
	s_andn2_b64 s[38:39], s[38:39], exec
	s_and_b64 s[14:15], s[14:15], exec
	v_addc_co_u32_e32 v11, vcc, 0, v11, vcc
	s_or_b64 s[40:41], s[40:41], s[44:45]
	s_andn2_b64 s[36:37], s[36:37], exec
	s_or_b64 s[38:39], s[38:39], s[14:15]
                                        ; implicit-def: $sgpr44_sgpr45
	s_branch .LBB1361_548
.LBB1361_551:
	s_or_b64 exec, exec, s[30:31]
	s_and_saveexec_b64 s[12:13], s[34:35]
	s_xor_b64 s[12:13], exec, s[12:13]
; %bb.552:
	v_cndmask_b32_e64 v8, v5, v3, s[28:29]
	v_cndmask_b32_e64 v9, v4, v2, s[28:29]
	;; [unrolled: 1-line block ×4, first 2 shown]
	v_mov_b32_e32 v4, v9
	v_mov_b32_e32 v5, v8
; %bb.553:
	s_or_b64 exec, exec, s[12:13]
.LBB1361_554:
	s_or_b64 exec, exec, s[26:27]
	s_and_saveexec_b64 s[14:15], s[6:7]
	s_cbranch_execz .LBB1361_563
; %bb.555:
	s_andn2_b64 vcc, exec, s[22:23]
	s_cbranch_vccnz .LBB1361_563
; %bb.556:
	v_mul_lo_u32 v10, v3, s16
	v_mul_lo_u32 v11, v2, s17
	v_mad_u64_u32 v[8:9], s[6:7], v2, s16, 0
	v_add3_u32 v9, v9, v11, v10
	v_lshlrev_b64 v[8:9], 1, v[8:9]
	v_mov_b32_e32 v10, s19
	v_add_co_u32_e32 v8, vcc, s18, v8
	v_addc_co_u32_e32 v9, vcc, v10, v9, vcc
	v_mul_lo_u32 v19, v1, s16
	v_mul_lo_u32 v20, v0, s17
	v_mad_u64_u32 v[10:11], s[6:7], v0, s16, 0
	v_add3_u32 v11, v11, v20, v19
	v_lshlrev_b64 v[10:11], 1, v[10:11]
	v_mov_b32_e32 v19, s19
	v_add_co_u32_e32 v10, vcc, s18, v10
	v_addc_co_u32_e32 v11, vcc, v19, v11, vcc
	s_mov_b64 s[28:29], 0
	s_mov_b64 s[40:41], s[16:17]
                                        ; implicit-def: $sgpr26_sgpr27
                                        ; implicit-def: $sgpr30_sgpr31
                                        ; implicit-def: $sgpr36_sgpr37
                                        ; implicit-def: $sgpr34_sgpr35
                                        ; implicit-def: $sgpr38_sgpr39
                                        ; implicit-def: $sgpr42_sgpr43
	s_branch .LBB1361_558
.LBB1361_557:                           ;   in Loop: Header=BB1361_558 Depth=1
	s_or_b64 exec, exec, s[44:45]
	s_and_b64 s[12:13], exec, s[36:37]
	s_or_b64 s[28:29], s[12:13], s[28:29]
	s_andn2_b64 s[12:13], s[42:43], exec
	s_and_b64 s[42:43], s[38:39], exec
	s_or_b64 s[42:43], s[12:13], s[42:43]
	s_andn2_b64 s[12:13], s[30:31], exec
	s_and_b64 s[30:31], s[34:35], exec
	;; [unrolled: 3-line block ×3, first 2 shown]
	s_or_b64 s[26:27], s[12:13], s[6:7]
	s_andn2_b64 exec, exec, s[28:29]
	s_cbranch_execz .LBB1361_560
.LBB1361_558:                           ; =>This Inner Loop Header: Depth=1
	global_load_ushort v19, v[8:9], off
	global_load_ushort v20, v[10:11], off
	s_andn2_b64 s[38:39], s[38:39], exec
	s_or_b64 s[34:35], s[34:35], exec
	s_or_b64 s[36:37], s[36:37], exec
	s_waitcnt vmcnt(0)
	v_cmp_le_u16_e64 s[6:7], v19, v20
	v_cmp_lt_u16_e32 vcc, v19, v20
	s_and_b64 s[6:7], s[6:7], s[42:43]
	v_cmp_eq_u16_e64 s[12:13], v19, v20
	s_or_b64 s[6:7], vcc, s[6:7]
	s_and_saveexec_b64 s[44:45], s[12:13]
	s_cbranch_execz .LBB1361_557
; %bb.559:                              ;   in Loop: Header=BB1361_558 Depth=1
	s_add_u32 s40, s40, -1
	s_addc_u32 s41, s41, -1
	v_add_co_u32_e32 v8, vcc, 2, v8
	s_cmp_eq_u64 s[40:41], 0
	v_addc_co_u32_e32 v9, vcc, 0, v9, vcc
	s_cselect_b64 s[12:13], -1, 0
	v_add_co_u32_e32 v10, vcc, 2, v10
	s_andn2_b64 s[38:39], s[38:39], exec
	s_and_b64 s[42:43], s[6:7], exec
	s_andn2_b64 s[36:37], s[36:37], exec
	s_and_b64 s[12:13], s[12:13], exec
	v_addc_co_u32_e32 v11, vcc, 0, v11, vcc
	s_or_b64 s[38:39], s[38:39], s[42:43]
	s_andn2_b64 s[34:35], s[34:35], exec
	s_or_b64 s[36:37], s[36:37], s[12:13]
                                        ; implicit-def: $sgpr42_sgpr43
	s_branch .LBB1361_557
.LBB1361_560:
	s_or_b64 exec, exec, s[28:29]
	s_and_saveexec_b64 s[6:7], s[30:31]
	s_xor_b64 s[6:7], exec, s[6:7]
	s_cbranch_execz .LBB1361_562
; %bb.561:
	v_cndmask_b32_e64 v29, v1, v3, s[26:27]
	v_cndmask_b32_e64 v28, v0, v2, s[26:27]
	;; [unrolled: 1-line block ×4, first 2 shown]
	v_mov_b32_e32 v32, v4
	v_mov_b32_e32 v33, v5
	;; [unrolled: 1-line block ×4, first 2 shown]
	v_pk_mov_b32 v[0:1], v[28:29], v[28:29] op_sel:[0,1]
	v_pk_mov_b32 v[2:3], v[30:31], v[30:31] op_sel:[0,1]
	;; [unrolled: 1-line block ×4, first 2 shown]
.LBB1361_562:
	s_or_b64 exec, exec, s[6:7]
.LBB1361_563:
	s_or_b64 exec, exec, s[14:15]
	s_and_saveexec_b64 s[12:13], s[8:9]
	s_cbranch_execz .LBB1361_572
; %bb.564:
	s_andn2_b64 vcc, exec, s[22:23]
	s_cbranch_vccnz .LBB1361_572
; %bb.565:
	v_mul_lo_u32 v10, v7, s16
	v_mul_lo_u32 v11, v6, s17
	v_mad_u64_u32 v[8:9], s[6:7], v6, s16, 0
	v_add3_u32 v9, v9, v11, v10
	v_lshlrev_b64 v[8:9], 1, v[8:9]
	v_mov_b32_e32 v10, s19
	v_add_co_u32_e32 v8, vcc, s18, v8
	v_addc_co_u32_e32 v9, vcc, v10, v9, vcc
	v_mul_lo_u32 v19, v5, s16
	v_mul_lo_u32 v20, v4, s17
	v_mad_u64_u32 v[10:11], s[6:7], v4, s16, 0
	v_add3_u32 v11, v11, v20, v19
	v_lshlrev_b64 v[10:11], 1, v[10:11]
	v_mov_b32_e32 v19, s19
	v_add_co_u32_e32 v10, vcc, s18, v10
	v_addc_co_u32_e32 v11, vcc, v19, v11, vcc
	s_mov_b64 s[26:27], 0
	s_mov_b64 s[38:39], s[16:17]
                                        ; implicit-def: $sgpr14_sgpr15
                                        ; implicit-def: $sgpr28_sgpr29
                                        ; implicit-def: $sgpr34_sgpr35
                                        ; implicit-def: $sgpr30_sgpr31
                                        ; implicit-def: $sgpr36_sgpr37
                                        ; implicit-def: $sgpr40_sgpr41
	s_branch .LBB1361_567
.LBB1361_566:                           ;   in Loop: Header=BB1361_567 Depth=1
	s_or_b64 exec, exec, s[42:43]
	s_and_b64 s[8:9], exec, s[34:35]
	s_or_b64 s[26:27], s[8:9], s[26:27]
	s_andn2_b64 s[8:9], s[40:41], exec
	s_and_b64 s[40:41], s[36:37], exec
	s_or_b64 s[40:41], s[8:9], s[40:41]
	s_andn2_b64 s[8:9], s[28:29], exec
	s_and_b64 s[28:29], s[30:31], exec
	s_or_b64 s[28:29], s[8:9], s[28:29]
	s_andn2_b64 s[8:9], s[14:15], exec
	s_and_b64 s[6:7], s[6:7], exec
	s_or_b64 s[14:15], s[8:9], s[6:7]
	s_andn2_b64 exec, exec, s[26:27]
	s_cbranch_execz .LBB1361_569
.LBB1361_567:                           ; =>This Inner Loop Header: Depth=1
	global_load_ushort v19, v[8:9], off
	global_load_ushort v20, v[10:11], off
	s_andn2_b64 s[36:37], s[36:37], exec
	s_or_b64 s[30:31], s[30:31], exec
	s_or_b64 s[34:35], s[34:35], exec
	s_waitcnt vmcnt(0)
	v_cmp_le_u16_e64 s[6:7], v19, v20
	v_cmp_lt_u16_e32 vcc, v19, v20
	s_and_b64 s[6:7], s[6:7], s[40:41]
	v_cmp_eq_u16_e64 s[8:9], v19, v20
	s_or_b64 s[6:7], vcc, s[6:7]
	s_and_saveexec_b64 s[42:43], s[8:9]
	s_cbranch_execz .LBB1361_566
; %bb.568:                              ;   in Loop: Header=BB1361_567 Depth=1
	s_add_u32 s38, s38, -1
	s_addc_u32 s39, s39, -1
	v_add_co_u32_e32 v8, vcc, 2, v8
	s_cmp_eq_u64 s[38:39], 0
	v_addc_co_u32_e32 v9, vcc, 0, v9, vcc
	s_cselect_b64 s[8:9], -1, 0
	v_add_co_u32_e32 v10, vcc, 2, v10
	s_andn2_b64 s[36:37], s[36:37], exec
	s_and_b64 s[40:41], s[6:7], exec
	s_andn2_b64 s[34:35], s[34:35], exec
	s_and_b64 s[8:9], s[8:9], exec
	v_addc_co_u32_e32 v11, vcc, 0, v11, vcc
	s_or_b64 s[36:37], s[36:37], s[40:41]
	s_andn2_b64 s[30:31], s[30:31], exec
	s_or_b64 s[34:35], s[34:35], s[8:9]
                                        ; implicit-def: $sgpr40_sgpr41
	s_branch .LBB1361_566
.LBB1361_569:
	s_or_b64 exec, exec, s[26:27]
	s_and_saveexec_b64 s[6:7], s[28:29]
	s_xor_b64 s[6:7], exec, s[6:7]
; %bb.570:
	v_cndmask_b32_e64 v8, v7, v5, s[14:15]
	v_cndmask_b32_e64 v9, v6, v4, s[14:15]
	;; [unrolled: 1-line block ×4, first 2 shown]
	v_mov_b32_e32 v6, v9
	v_mov_b32_e32 v7, v8
; %bb.571:
	s_or_b64 exec, exec, s[6:7]
.LBB1361_572:
	s_or_b64 exec, exec, s[12:13]
	s_and_saveexec_b64 s[12:13], s[10:11]
	s_cbranch_execz .LBB1361_581
; %bb.573:
	s_andn2_b64 vcc, exec, s[22:23]
	s_cbranch_vccnz .LBB1361_581
; %bb.574:
	v_mul_lo_u32 v10, v5, s16
	v_mul_lo_u32 v11, v4, s17
	v_mad_u64_u32 v[8:9], s[6:7], v4, s16, 0
	v_add3_u32 v9, v9, v11, v10
	v_lshlrev_b64 v[8:9], 1, v[8:9]
	v_mov_b32_e32 v10, s19
	v_add_co_u32_e32 v8, vcc, s18, v8
	v_addc_co_u32_e32 v9, vcc, v10, v9, vcc
	v_mul_lo_u32 v19, v3, s16
	v_mul_lo_u32 v20, v2, s17
	v_mad_u64_u32 v[10:11], s[6:7], v2, s16, 0
	v_add3_u32 v11, v11, v20, v19
	v_lshlrev_b64 v[10:11], 1, v[10:11]
	v_mov_b32_e32 v19, s19
	v_add_co_u32_e32 v10, vcc, s18, v10
	v_addc_co_u32_e32 v11, vcc, v19, v11, vcc
	s_mov_b64 s[14:15], 0
	s_mov_b64 s[36:37], s[16:17]
                                        ; implicit-def: $sgpr10_sgpr11
                                        ; implicit-def: $sgpr26_sgpr27
                                        ; implicit-def: $sgpr30_sgpr31
                                        ; implicit-def: $sgpr28_sgpr29
                                        ; implicit-def: $sgpr34_sgpr35
                                        ; implicit-def: $sgpr38_sgpr39
	s_branch .LBB1361_576
.LBB1361_575:                           ;   in Loop: Header=BB1361_576 Depth=1
	s_or_b64 exec, exec, s[40:41]
	s_and_b64 s[8:9], exec, s[30:31]
	s_or_b64 s[14:15], s[8:9], s[14:15]
	s_andn2_b64 s[8:9], s[38:39], exec
	s_and_b64 s[38:39], s[34:35], exec
	s_or_b64 s[38:39], s[8:9], s[38:39]
	s_andn2_b64 s[8:9], s[26:27], exec
	s_and_b64 s[26:27], s[28:29], exec
	;; [unrolled: 3-line block ×3, first 2 shown]
	s_or_b64 s[10:11], s[8:9], s[6:7]
	s_andn2_b64 exec, exec, s[14:15]
	s_cbranch_execz .LBB1361_578
.LBB1361_576:                           ; =>This Inner Loop Header: Depth=1
	global_load_ushort v19, v[8:9], off
	global_load_ushort v20, v[10:11], off
	s_andn2_b64 s[34:35], s[34:35], exec
	s_or_b64 s[28:29], s[28:29], exec
	s_or_b64 s[30:31], s[30:31], exec
	s_waitcnt vmcnt(0)
	v_cmp_le_u16_e64 s[6:7], v19, v20
	v_cmp_lt_u16_e32 vcc, v19, v20
	s_and_b64 s[6:7], s[6:7], s[38:39]
	v_cmp_eq_u16_e64 s[8:9], v19, v20
	s_or_b64 s[6:7], vcc, s[6:7]
	s_and_saveexec_b64 s[40:41], s[8:9]
	s_cbranch_execz .LBB1361_575
; %bb.577:                              ;   in Loop: Header=BB1361_576 Depth=1
	s_add_u32 s36, s36, -1
	s_addc_u32 s37, s37, -1
	v_add_co_u32_e32 v8, vcc, 2, v8
	s_cmp_eq_u64 s[36:37], 0
	v_addc_co_u32_e32 v9, vcc, 0, v9, vcc
	s_cselect_b64 s[8:9], -1, 0
	v_add_co_u32_e32 v10, vcc, 2, v10
	s_andn2_b64 s[34:35], s[34:35], exec
	s_and_b64 s[38:39], s[6:7], exec
	s_andn2_b64 s[30:31], s[30:31], exec
	s_and_b64 s[8:9], s[8:9], exec
	v_addc_co_u32_e32 v11, vcc, 0, v11, vcc
	s_or_b64 s[34:35], s[34:35], s[38:39]
	s_andn2_b64 s[28:29], s[28:29], exec
	s_or_b64 s[30:31], s[30:31], s[8:9]
                                        ; implicit-def: $sgpr38_sgpr39
	s_branch .LBB1361_575
.LBB1361_578:
	s_or_b64 exec, exec, s[14:15]
	s_and_saveexec_b64 s[6:7], s[26:27]
	s_xor_b64 s[6:7], exec, s[6:7]
; %bb.579:
	v_cndmask_b32_e64 v8, v5, v3, s[10:11]
	v_cndmask_b32_e64 v9, v4, v2, s[10:11]
	;; [unrolled: 1-line block ×4, first 2 shown]
	v_mov_b32_e32 v4, v9
	v_mov_b32_e32 v5, v8
; %bb.580:
	s_or_b64 exec, exec, s[6:7]
.LBB1361_581:
	s_or_b64 exec, exec, s[12:13]
	v_mbcnt_lo_u32_b32 v8, -1, 0
	v_mbcnt_hi_u32_b32 v8, -1, v8
	v_and_b32_e32 v9, 0xffffff00, v18
	v_lshlrev_b32_e32 v18, 3, v9
	v_lshlrev_b32_e32 v20, 2, v8
	v_sub_u32_e64 v19, s33, v9 clamp
	v_lshl_add_u32 v21, v8, 5, v18
	v_or_b32_e32 v8, 4, v20
	v_min_u32_e32 v22, v19, v8
	v_add_u32_e32 v8, 4, v22
	v_and_b32_e32 v28, 0x1f8, v20
	v_min_u32_e32 v23, v19, v8
	v_and_b32_e32 v8, 4, v20
	v_min_u32_e32 v29, v19, v8
	v_sub_u32_e32 v8, v22, v28
	v_sub_u32_e32 v9, v23, v22
	v_sub_u32_e64 v25, v29, v9 clamp
	v_min_u32_e32 v30, v29, v8
	v_lshl_add_u32 v24, v28, 3, v18
	v_cmp_lt_u32_e32 vcc, v25, v30
	ds_write_b128 v21, v[0:3]
	ds_write_b128 v21, v[4:7] offset:16
	; wave barrier
	s_and_saveexec_b64 s[12:13], vcc
	s_cbranch_execz .LBB1361_591
; %bb.582:
	v_lshlrev_b32_e32 v8, 3, v22
	v_lshlrev_b32_e32 v9, 3, v29
	v_add3_u32 v31, v18, v8, v9
	v_cndmask_b32_e64 v8, 0, 1, s[22:23]
	s_lshl_b64 s[26:27], s[16:17], 1
	s_mov_b64 s[14:15], 0
	v_cmp_ne_u32_e64 s[6:7], 1, v8
	s_branch .LBB1361_585
.LBB1361_583:                           ;   in Loop: Header=BB1361_585 Depth=1
	s_or_b64 exec, exec, s[30:31]
.LBB1361_584:                           ;   in Loop: Header=BB1361_585 Depth=1
	v_add_u32_e32 v8, 1, v32
	v_cndmask_b32_e64 v30, v30, v32, s[28:29]
	v_cndmask_b32_e64 v25, v8, v25, s[28:29]
	v_cmp_ge_u32_e32 vcc, v25, v30
	s_or_b64 s[14:15], vcc, s[14:15]
	s_andn2_b64 exec, exec, s[14:15]
	s_cbranch_execz .LBB1361_590
.LBB1361_585:                           ; =>This Loop Header: Depth=1
                                        ;     Child Loop BB1361_588 Depth 2
	v_add_u32_e32 v8, v30, v25
	v_lshrrev_b32_e32 v32, 1, v8
	s_and_b64 vcc, exec, s[6:7]
	s_mov_b64 s[28:29], 0
	s_cbranch_vccnz .LBB1361_584
; %bb.586:                              ;   in Loop: Header=BB1361_585 Depth=1
	v_not_b32_e32 v8, v32
	v_lshl_add_u32 v8, v8, 3, v31
	ds_read_b64 v[8:9], v8
	v_lshl_add_u32 v33, v32, 3, v24
	ds_read_b64 v[34:35], v33
	v_pk_mov_b32 v[10:11], s[18:19], s[18:19] op_sel:[0,1]
	s_mov_b64 s[30:31], 0
	s_waitcnt lgkmcnt(1)
	v_mul_lo_u32 v33, s26, v9
	v_mul_lo_u32 v36, s27, v8
	v_mad_u64_u32 v[8:9], s[8:9], s26, v8, v[10:11]
	v_add3_u32 v9, v36, v9, v33
	s_waitcnt lgkmcnt(0)
	v_mul_lo_u32 v33, s26, v35
	v_mul_lo_u32 v35, s27, v34
	v_mad_u64_u32 v[10:11], s[8:9], s26, v34, v[10:11]
	v_add3_u32 v11, v35, v11, v33
	s_mov_b64 s[38:39], s[16:17]
                                        ; implicit-def: $sgpr28_sgpr29
                                        ; implicit-def: $sgpr34_sgpr35
                                        ; implicit-def: $sgpr36_sgpr37
                                        ; implicit-def: $sgpr8_sgpr9
                                        ; implicit-def: $sgpr40_sgpr41
	s_branch .LBB1361_588
.LBB1361_587:                           ;   in Loop: Header=BB1361_588 Depth=2
	s_or_b64 exec, exec, s[42:43]
	s_and_b64 s[10:11], exec, s[34:35]
	s_or_b64 s[30:31], s[10:11], s[30:31]
	s_andn2_b64 s[10:11], s[40:41], exec
	s_and_b64 s[40:41], s[36:37], exec
	s_or_b64 s[40:41], s[10:11], s[40:41]
	s_andn2_b64 s[10:11], s[28:29], exec
	s_and_b64 s[28:29], s[8:9], exec
	s_or_b64 s[28:29], s[10:11], s[28:29]
	s_andn2_b64 exec, exec, s[30:31]
	s_cbranch_execz .LBB1361_583
.LBB1361_588:                           ;   Parent Loop BB1361_585 Depth=1
                                        ; =>  This Inner Loop Header: Depth=2
	global_load_ushort v33, v[8:9], off
	global_load_ushort v34, v[10:11], off
	s_andn2_b64 s[42:43], s[8:9], exec
	s_andn2_b64 s[36:37], s[36:37], exec
	s_or_b64 s[34:35], s[34:35], exec
	s_waitcnt vmcnt(0)
	v_cmp_le_u16_e64 s[8:9], v33, v34
	v_cmp_lt_u16_e32 vcc, v33, v34
	s_and_b64 s[8:9], s[8:9], s[40:41]
	s_or_b64 s[44:45], vcc, s[8:9]
	s_and_b64 s[8:9], s[44:45], exec
	v_cmp_eq_u16_e64 s[10:11], v33, v34
	s_or_b64 s[8:9], s[42:43], s[8:9]
	s_and_saveexec_b64 s[42:43], s[10:11]
	s_cbranch_execz .LBB1361_587
; %bb.589:                              ;   in Loop: Header=BB1361_588 Depth=2
	s_add_u32 s38, s38, -1
	s_addc_u32 s39, s39, -1
	v_add_co_u32_e32 v8, vcc, 2, v8
	s_cmp_eq_u64 s[38:39], 0
	v_addc_co_u32_e32 v9, vcc, 0, v9, vcc
	s_cselect_b64 s[10:11], -1, 0
	v_add_co_u32_e32 v10, vcc, 2, v10
	s_andn2_b64 s[36:37], s[36:37], exec
	s_and_b64 s[40:41], s[44:45], exec
	s_andn2_b64 s[34:35], s[34:35], exec
	s_and_b64 s[10:11], s[10:11], exec
	v_addc_co_u32_e32 v11, vcc, 0, v11, vcc
	s_andn2_b64 s[8:9], s[8:9], exec
	s_or_b64 s[36:37], s[36:37], s[40:41]
	s_or_b64 s[34:35], s[34:35], s[10:11]
                                        ; implicit-def: $sgpr40_sgpr41
	s_branch .LBB1361_587
.LBB1361_590:
	s_or_b64 exec, exec, s[14:15]
.LBB1361_591:
	s_or_b64 exec, exec, s[12:13]
	v_add_u32_e32 v9, v22, v29
	v_add_u32_e32 v8, v25, v28
	v_sub_u32_e32 v9, v9, v25
	v_cmp_le_u32_e32 vcc, v8, v22
	v_cmp_le_u32_e64 s[6:7], v9, v23
	s_or_b64 s[6:7], vcc, s[6:7]
	s_and_saveexec_b64 s[10:11], s[6:7]
	s_cbranch_execz .LBB1361_638
; %bb.592:
	v_cmp_ge_u32_e32 vcc, v8, v22
	v_cmp_lt_u32_e64 s[6:7], v8, v22
                                        ; implicit-def: $vgpr0_vgpr1
	s_and_saveexec_b64 s[8:9], s[6:7]
	s_cbranch_execz .LBB1361_594
; %bb.593:
	v_lshl_add_u32 v0, v25, 3, v24
	ds_read_b64 v[0:1], v0
.LBB1361_594:
	s_or_b64 exec, exec, s[8:9]
	v_cmp_ge_u32_e64 s[12:13], v9, v23
	v_cmp_lt_u32_e64 s[6:7], v9, v23
                                        ; implicit-def: $vgpr2_vgpr3
	s_and_saveexec_b64 s[8:9], s[6:7]
	s_cbranch_execz .LBB1361_596
; %bb.595:
	v_lshl_add_u32 v2, v9, 3, v18
	ds_read_b64 v[2:3], v2
.LBB1361_596:
	s_or_b64 exec, exec, s[8:9]
	s_or_b64 s[6:7], vcc, s[12:13]
	s_mov_b64 s[14:15], -1
	s_xor_b64 s[6:7], s[6:7], -1
	s_and_saveexec_b64 s[26:27], s[6:7]
	s_cbranch_execz .LBB1361_605
; %bb.597:
	s_andn2_b64 vcc, exec, s[22:23]
	s_cbranch_vccnz .LBB1361_603
; %bb.598:
	s_waitcnt lgkmcnt(0)
	v_mul_lo_u32 v6, v3, s16
	v_mul_lo_u32 v7, v2, s17
	v_mad_u64_u32 v[4:5], s[6:7], v2, s16, 0
	v_add3_u32 v5, v5, v7, v6
	v_lshlrev_b64 v[4:5], 1, v[4:5]
	v_mov_b32_e32 v6, s19
	v_add_co_u32_e32 v4, vcc, s18, v4
	v_addc_co_u32_e32 v5, vcc, v6, v5, vcc
	v_mul_lo_u32 v10, v1, s16
	v_mul_lo_u32 v11, v0, s17
	v_mad_u64_u32 v[6:7], s[6:7], v0, s16, 0
	v_add3_u32 v7, v7, v11, v10
	v_lshlrev_b64 v[6:7], 1, v[6:7]
	v_mov_b32_e32 v10, s19
	v_add_co_u32_e32 v6, vcc, s18, v6
	v_addc_co_u32_e32 v7, vcc, v10, v7, vcc
	s_mov_b64 s[28:29], 0
	s_mov_b64 s[38:39], s[16:17]
                                        ; implicit-def: $sgpr30_sgpr31
                                        ; implicit-def: $sgpr34_sgpr35
                                        ; implicit-def: $sgpr6_sgpr7
                                        ; implicit-def: $sgpr36_sgpr37
                                        ; implicit-def: $sgpr40_sgpr41
	s_branch .LBB1361_600
.LBB1361_599:                           ;   in Loop: Header=BB1361_600 Depth=1
	s_or_b64 exec, exec, s[42:43]
	s_and_b64 s[8:9], exec, s[34:35]
	s_or_b64 s[28:29], s[8:9], s[28:29]
	s_andn2_b64 s[8:9], s[40:41], exec
	s_and_b64 s[40:41], s[36:37], exec
	s_or_b64 s[40:41], s[8:9], s[40:41]
	s_andn2_b64 s[8:9], s[30:31], exec
	s_and_b64 s[30:31], s[6:7], exec
	s_or_b64 s[30:31], s[8:9], s[30:31]
	s_andn2_b64 exec, exec, s[28:29]
	s_cbranch_execz .LBB1361_602
.LBB1361_600:                           ; =>This Inner Loop Header: Depth=1
	global_load_ushort v10, v[4:5], off
	global_load_ushort v11, v[6:7], off
	s_andn2_b64 s[42:43], s[6:7], exec
	s_andn2_b64 s[36:37], s[36:37], exec
	s_or_b64 s[34:35], s[34:35], exec
	s_waitcnt vmcnt(0)
	v_cmp_le_u16_e64 s[6:7], v10, v11
	v_cmp_lt_u16_e32 vcc, v10, v11
	s_and_b64 s[6:7], s[6:7], s[40:41]
	s_or_b64 s[44:45], vcc, s[6:7]
	s_and_b64 s[6:7], s[44:45], exec
	v_cmp_eq_u16_e64 s[8:9], v10, v11
	s_or_b64 s[6:7], s[42:43], s[6:7]
	s_and_saveexec_b64 s[42:43], s[8:9]
	s_cbranch_execz .LBB1361_599
; %bb.601:                              ;   in Loop: Header=BB1361_600 Depth=1
	s_add_u32 s38, s38, -1
	s_addc_u32 s39, s39, -1
	v_add_co_u32_e32 v4, vcc, 2, v4
	s_cmp_eq_u64 s[38:39], 0
	v_addc_co_u32_e32 v5, vcc, 0, v5, vcc
	s_cselect_b64 s[8:9], -1, 0
	v_add_co_u32_e32 v6, vcc, 2, v6
	s_andn2_b64 s[36:37], s[36:37], exec
	s_and_b64 s[40:41], s[44:45], exec
	s_andn2_b64 s[34:35], s[34:35], exec
	s_and_b64 s[8:9], s[8:9], exec
	v_addc_co_u32_e32 v7, vcc, 0, v7, vcc
	s_or_b64 s[36:37], s[36:37], s[40:41]
	s_andn2_b64 s[6:7], s[6:7], exec
	s_or_b64 s[34:35], s[34:35], s[8:9]
                                        ; implicit-def: $sgpr40_sgpr41
	s_branch .LBB1361_599
.LBB1361_602:
	s_or_b64 exec, exec, s[28:29]
	s_xor_b64 s[6:7], s[30:31], -1
	s_branch .LBB1361_604
.LBB1361_603:
	s_mov_b64 s[6:7], -1
.LBB1361_604:
	s_andn2_b64 s[8:9], s[12:13], exec
	s_and_b64 s[6:7], s[6:7], exec
	s_or_b64 s[12:13], s[8:9], s[6:7]
.LBB1361_605:
	s_or_b64 exec, exec, s[26:27]
	v_cndmask_b32_e64 v4, v9, v8, s[12:13]
	v_cndmask_b32_e64 v5, v23, v22, s[12:13]
	v_add_u32_e32 v6, 1, v4
	v_add_u32_e32 v4, -1, v5
	v_min_u32_e32 v4, v6, v4
	v_lshl_add_u32 v4, v4, 3, v18
	ds_read_b64 v[4:5], v4
	v_cndmask_b32_e64 v9, v6, v9, s[12:13]
	v_cndmask_b32_e64 v8, v8, v6, s[12:13]
	v_cmp_lt_u32_e32 vcc, v9, v23
	s_waitcnt lgkmcnt(0)
	v_cndmask_b32_e64 v24, v5, v3, s[12:13]
	v_cndmask_b32_e64 v25, v4, v2, s[12:13]
	;; [unrolled: 1-line block ×4, first 2 shown]
	s_and_saveexec_b64 s[26:27], vcc
	s_cbranch_execz .LBB1361_616
; %bb.606:
	v_cmp_lt_u32_e32 vcc, v8, v22
	s_mov_b64 s[6:7], 0
	s_and_saveexec_b64 s[14:15], vcc
	s_cbranch_execz .LBB1361_615
; %bb.607:
	s_andn2_b64 vcc, exec, s[22:23]
	s_cbranch_vccnz .LBB1361_613
; %bb.608:
	v_mul_lo_u32 v6, v24, s16
	v_mul_lo_u32 v7, v25, s17
	v_mad_u64_u32 v[4:5], s[6:7], v25, s16, 0
	v_add3_u32 v5, v5, v7, v6
	v_lshlrev_b64 v[4:5], 1, v[4:5]
	v_mov_b32_e32 v6, s19
	v_add_co_u32_e32 v4, vcc, s18, v4
	v_addc_co_u32_e32 v5, vcc, v6, v5, vcc
	v_mul_lo_u32 v10, v28, s16
	v_mul_lo_u32 v11, v29, s17
	v_mad_u64_u32 v[6:7], s[6:7], v29, s16, 0
	v_add3_u32 v7, v7, v11, v10
	v_lshlrev_b64 v[6:7], 1, v[6:7]
	v_mov_b32_e32 v10, s19
	v_add_co_u32_e32 v6, vcc, s18, v6
	v_addc_co_u32_e32 v7, vcc, v10, v7, vcc
	s_mov_b64 s[28:29], 0
	s_mov_b64 s[38:39], s[16:17]
                                        ; implicit-def: $sgpr30_sgpr31
                                        ; implicit-def: $sgpr34_sgpr35
                                        ; implicit-def: $sgpr6_sgpr7
                                        ; implicit-def: $sgpr36_sgpr37
                                        ; implicit-def: $sgpr40_sgpr41
	s_branch .LBB1361_610
.LBB1361_609:                           ;   in Loop: Header=BB1361_610 Depth=1
	s_or_b64 exec, exec, s[42:43]
	s_and_b64 s[8:9], exec, s[34:35]
	s_or_b64 s[28:29], s[8:9], s[28:29]
	s_andn2_b64 s[8:9], s[40:41], exec
	s_and_b64 s[40:41], s[36:37], exec
	s_or_b64 s[40:41], s[8:9], s[40:41]
	s_andn2_b64 s[8:9], s[30:31], exec
	s_and_b64 s[30:31], s[6:7], exec
	s_or_b64 s[30:31], s[8:9], s[30:31]
	s_andn2_b64 exec, exec, s[28:29]
	s_cbranch_execz .LBB1361_612
.LBB1361_610:                           ; =>This Inner Loop Header: Depth=1
	global_load_ushort v10, v[4:5], off
	global_load_ushort v11, v[6:7], off
	s_andn2_b64 s[42:43], s[6:7], exec
	s_andn2_b64 s[36:37], s[36:37], exec
	s_or_b64 s[34:35], s[34:35], exec
	s_waitcnt vmcnt(0)
	v_cmp_le_u16_e64 s[6:7], v10, v11
	v_cmp_lt_u16_e32 vcc, v10, v11
	s_and_b64 s[6:7], s[6:7], s[40:41]
	s_or_b64 s[44:45], vcc, s[6:7]
	s_and_b64 s[6:7], s[44:45], exec
	v_cmp_eq_u16_e64 s[8:9], v10, v11
	s_or_b64 s[6:7], s[42:43], s[6:7]
	s_and_saveexec_b64 s[42:43], s[8:9]
	s_cbranch_execz .LBB1361_609
; %bb.611:                              ;   in Loop: Header=BB1361_610 Depth=1
	s_add_u32 s38, s38, -1
	s_addc_u32 s39, s39, -1
	v_add_co_u32_e32 v4, vcc, 2, v4
	s_cmp_eq_u64 s[38:39], 0
	v_addc_co_u32_e32 v5, vcc, 0, v5, vcc
	s_cselect_b64 s[8:9], -1, 0
	v_add_co_u32_e32 v6, vcc, 2, v6
	s_andn2_b64 s[36:37], s[36:37], exec
	s_and_b64 s[40:41], s[44:45], exec
	s_andn2_b64 s[34:35], s[34:35], exec
	s_and_b64 s[8:9], s[8:9], exec
	v_addc_co_u32_e32 v7, vcc, 0, v7, vcc
	s_or_b64 s[36:37], s[36:37], s[40:41]
	s_andn2_b64 s[6:7], s[6:7], exec
	s_or_b64 s[34:35], s[34:35], s[8:9]
                                        ; implicit-def: $sgpr40_sgpr41
	s_branch .LBB1361_609
.LBB1361_612:
	s_or_b64 exec, exec, s[28:29]
	s_xor_b64 s[6:7], s[30:31], -1
	s_branch .LBB1361_614
.LBB1361_613:
	s_mov_b64 s[6:7], -1
.LBB1361_614:
	s_and_b64 s[6:7], s[6:7], exec
.LBB1361_615:
	s_or_b64 exec, exec, s[14:15]
	s_orn2_b64 s[14:15], s[6:7], exec
.LBB1361_616:
	s_or_b64 exec, exec, s[26:27]
	v_cndmask_b32_e64 v4, v9, v8, s[14:15]
	v_cndmask_b32_e64 v5, v23, v22, s[14:15]
	v_add_u32_e32 v6, 1, v4
	v_add_u32_e32 v4, -1, v5
	v_min_u32_e32 v4, v6, v4
	v_lshl_add_u32 v4, v4, 3, v18
	ds_read_b64 v[4:5], v4
	v_cndmask_b32_e64 v9, v6, v9, s[14:15]
	v_cndmask_b32_e64 v8, v8, v6, s[14:15]
	v_cmp_lt_u32_e32 vcc, v9, v23
	s_mov_b64 s[26:27], -1
	s_waitcnt lgkmcnt(0)
	v_cndmask_b32_e64 v30, v5, v24, s[14:15]
	v_cndmask_b32_e64 v31, v4, v25, s[14:15]
	;; [unrolled: 1-line block ×4, first 2 shown]
	s_and_saveexec_b64 s[28:29], vcc
	s_cbranch_execz .LBB1361_627
; %bb.617:
	v_cmp_lt_u32_e32 vcc, v8, v22
	s_mov_b64 s[6:7], 0
	s_and_saveexec_b64 s[26:27], vcc
	s_cbranch_execz .LBB1361_626
; %bb.618:
	s_andn2_b64 vcc, exec, s[22:23]
	s_cbranch_vccnz .LBB1361_624
; %bb.619:
	v_mul_lo_u32 v6, v30, s16
	v_mul_lo_u32 v7, v31, s17
	v_mad_u64_u32 v[4:5], s[6:7], v31, s16, 0
	v_add3_u32 v5, v5, v7, v6
	v_lshlrev_b64 v[4:5], 1, v[4:5]
	v_mov_b32_e32 v6, s19
	v_add_co_u32_e32 v4, vcc, s18, v4
	v_addc_co_u32_e32 v5, vcc, v6, v5, vcc
	v_mul_lo_u32 v10, v32, s16
	v_mul_lo_u32 v11, v33, s17
	v_mad_u64_u32 v[6:7], s[6:7], v33, s16, 0
	v_add3_u32 v7, v7, v11, v10
	v_lshlrev_b64 v[6:7], 1, v[6:7]
	v_mov_b32_e32 v10, s19
	v_add_co_u32_e32 v6, vcc, s18, v6
	v_addc_co_u32_e32 v7, vcc, v10, v7, vcc
	s_mov_b64 s[30:31], 0
	s_mov_b64 s[40:41], s[16:17]
                                        ; implicit-def: $sgpr34_sgpr35
                                        ; implicit-def: $sgpr36_sgpr37
                                        ; implicit-def: $sgpr6_sgpr7
                                        ; implicit-def: $sgpr38_sgpr39
                                        ; implicit-def: $sgpr42_sgpr43
	s_branch .LBB1361_621
.LBB1361_620:                           ;   in Loop: Header=BB1361_621 Depth=1
	s_or_b64 exec, exec, s[44:45]
	s_and_b64 s[8:9], exec, s[36:37]
	s_or_b64 s[30:31], s[8:9], s[30:31]
	s_andn2_b64 s[8:9], s[42:43], exec
	s_and_b64 s[42:43], s[38:39], exec
	s_or_b64 s[42:43], s[8:9], s[42:43]
	s_andn2_b64 s[8:9], s[34:35], exec
	s_and_b64 s[34:35], s[6:7], exec
	s_or_b64 s[34:35], s[8:9], s[34:35]
	s_andn2_b64 exec, exec, s[30:31]
	s_cbranch_execz .LBB1361_623
.LBB1361_621:                           ; =>This Inner Loop Header: Depth=1
	global_load_ushort v10, v[4:5], off
	global_load_ushort v11, v[6:7], off
	s_andn2_b64 s[44:45], s[6:7], exec
	s_andn2_b64 s[38:39], s[38:39], exec
	s_or_b64 s[36:37], s[36:37], exec
	s_waitcnt vmcnt(0)
	v_cmp_le_u16_e64 s[6:7], v10, v11
	v_cmp_lt_u16_e32 vcc, v10, v11
	s_and_b64 s[6:7], s[6:7], s[42:43]
	s_or_b64 s[46:47], vcc, s[6:7]
	s_and_b64 s[6:7], s[46:47], exec
	v_cmp_eq_u16_e64 s[8:9], v10, v11
	s_or_b64 s[6:7], s[44:45], s[6:7]
	s_and_saveexec_b64 s[44:45], s[8:9]
	s_cbranch_execz .LBB1361_620
; %bb.622:                              ;   in Loop: Header=BB1361_621 Depth=1
	s_add_u32 s40, s40, -1
	s_addc_u32 s41, s41, -1
	v_add_co_u32_e32 v4, vcc, 2, v4
	s_cmp_eq_u64 s[40:41], 0
	v_addc_co_u32_e32 v5, vcc, 0, v5, vcc
	s_cselect_b64 s[8:9], -1, 0
	v_add_co_u32_e32 v6, vcc, 2, v6
	s_andn2_b64 s[38:39], s[38:39], exec
	s_and_b64 s[42:43], s[46:47], exec
	s_andn2_b64 s[36:37], s[36:37], exec
	s_and_b64 s[8:9], s[8:9], exec
	v_addc_co_u32_e32 v7, vcc, 0, v7, vcc
	s_or_b64 s[38:39], s[38:39], s[42:43]
	s_andn2_b64 s[6:7], s[6:7], exec
	s_or_b64 s[36:37], s[36:37], s[8:9]
                                        ; implicit-def: $sgpr42_sgpr43
	s_branch .LBB1361_620
.LBB1361_623:
	s_or_b64 exec, exec, s[30:31]
	s_xor_b64 s[6:7], s[34:35], -1
	s_branch .LBB1361_625
.LBB1361_624:
	s_mov_b64 s[6:7], -1
.LBB1361_625:
	s_and_b64 s[6:7], s[6:7], exec
.LBB1361_626:
	s_or_b64 exec, exec, s[26:27]
	s_orn2_b64 s[26:27], s[6:7], exec
.LBB1361_627:
	s_or_b64 exec, exec, s[28:29]
	v_cndmask_b32_e64 v4, v9, v8, s[26:27]
	v_cndmask_b32_e64 v5, v23, v22, s[26:27]
	v_add_u32_e32 v10, 1, v4
	v_add_u32_e32 v4, -1, v5
	v_min_u32_e32 v4, v10, v4
	v_lshl_add_u32 v4, v4, 3, v18
	ds_read_b64 v[4:5], v4
	v_cndmask_b32_e64 v9, v10, v9, s[26:27]
	v_cmp_lt_u32_e32 vcc, v9, v23
	s_waitcnt lgkmcnt(0)
	v_cndmask_b32_e64 v7, v32, v5, s[26:27]
	v_cndmask_b32_e64 v6, v33, v4, s[26:27]
	s_and_saveexec_b64 s[28:29], vcc
	s_cbranch_execz .LBB1361_637
; %bb.628:
	v_cndmask_b32_e64 v8, v8, v10, s[26:27]
	v_cndmask_b32_e64 v5, v5, v30, s[26:27]
	;; [unrolled: 1-line block ×3, first 2 shown]
	v_cmp_lt_u32_e32 vcc, v8, v22
	s_and_saveexec_b64 s[30:31], vcc
	s_cbranch_execz .LBB1361_636
; %bb.629:
	s_andn2_b64 vcc, exec, s[22:23]
	s_cbranch_vccnz .LBB1361_635
; %bb.630:
	v_mul_lo_u32 v10, v5, s16
	v_mul_lo_u32 v11, v4, s17
	v_mad_u64_u32 v[8:9], s[6:7], v4, s16, 0
	v_add3_u32 v9, v9, v11, v10
	v_lshlrev_b64 v[8:9], 1, v[8:9]
	v_mov_b32_e32 v10, s19
	v_add_co_u32_e32 v8, vcc, s18, v8
	v_addc_co_u32_e32 v9, vcc, v10, v9, vcc
	v_mul_lo_u32 v22, v7, s16
	v_mul_lo_u32 v23, v6, s17
	v_mad_u64_u32 v[10:11], s[6:7], v6, s16, 0
	v_add3_u32 v11, v11, v23, v22
	v_lshlrev_b64 v[10:11], 1, v[10:11]
	v_mov_b32_e32 v22, s19
	v_add_co_u32_e32 v10, vcc, s18, v10
	v_addc_co_u32_e32 v11, vcc, v22, v11, vcc
	s_mov_b64 s[34:35], 0
	s_mov_b64 s[42:43], s[16:17]
                                        ; implicit-def: $sgpr36_sgpr37
                                        ; implicit-def: $sgpr38_sgpr39
                                        ; implicit-def: $sgpr6_sgpr7
                                        ; implicit-def: $sgpr40_sgpr41
                                        ; implicit-def: $sgpr44_sgpr45
	s_branch .LBB1361_632
.LBB1361_631:                           ;   in Loop: Header=BB1361_632 Depth=1
	s_or_b64 exec, exec, s[46:47]
	s_and_b64 s[8:9], exec, s[38:39]
	s_or_b64 s[34:35], s[8:9], s[34:35]
	s_andn2_b64 s[8:9], s[44:45], exec
	s_and_b64 s[44:45], s[40:41], exec
	s_or_b64 s[44:45], s[8:9], s[44:45]
	s_andn2_b64 s[8:9], s[36:37], exec
	s_and_b64 s[36:37], s[6:7], exec
	s_or_b64 s[36:37], s[8:9], s[36:37]
	s_andn2_b64 exec, exec, s[34:35]
	s_cbranch_execz .LBB1361_634
.LBB1361_632:                           ; =>This Inner Loop Header: Depth=1
	global_load_ushort v22, v[8:9], off
	global_load_ushort v23, v[10:11], off
	s_andn2_b64 s[46:47], s[6:7], exec
	s_andn2_b64 s[40:41], s[40:41], exec
	s_or_b64 s[38:39], s[38:39], exec
	s_waitcnt vmcnt(0)
	v_cmp_le_u16_e64 s[6:7], v22, v23
	v_cmp_lt_u16_e32 vcc, v22, v23
	s_and_b64 s[6:7], s[6:7], s[44:45]
	s_or_b64 s[48:49], vcc, s[6:7]
	s_and_b64 s[6:7], s[48:49], exec
	v_cmp_eq_u16_e64 s[8:9], v22, v23
	s_or_b64 s[6:7], s[46:47], s[6:7]
	s_and_saveexec_b64 s[46:47], s[8:9]
	s_cbranch_execz .LBB1361_631
; %bb.633:                              ;   in Loop: Header=BB1361_632 Depth=1
	s_add_u32 s42, s42, -1
	s_addc_u32 s43, s43, -1
	v_add_co_u32_e32 v8, vcc, 2, v8
	s_cmp_eq_u64 s[42:43], 0
	v_addc_co_u32_e32 v9, vcc, 0, v9, vcc
	s_cselect_b64 s[8:9], -1, 0
	v_add_co_u32_e32 v10, vcc, 2, v10
	s_andn2_b64 s[40:41], s[40:41], exec
	s_and_b64 s[44:45], s[48:49], exec
	s_andn2_b64 s[38:39], s[38:39], exec
	s_and_b64 s[8:9], s[8:9], exec
	v_addc_co_u32_e32 v11, vcc, 0, v11, vcc
	s_or_b64 s[40:41], s[40:41], s[44:45]
	s_andn2_b64 s[6:7], s[6:7], exec
	s_or_b64 s[38:39], s[38:39], s[8:9]
                                        ; implicit-def: $sgpr44_sgpr45
	s_branch .LBB1361_631
.LBB1361_634:
	s_or_b64 exec, exec, s[34:35]
	v_cndmask_b32_e64 v7, v7, v5, s[36:37]
	v_cndmask_b32_e64 v6, v6, v4, s[36:37]
.LBB1361_635:
	v_pk_mov_b32 v[4:5], v[6:7], v[6:7] op_sel:[0,1]
.LBB1361_636:
	s_or_b64 exec, exec, s[30:31]
	v_pk_mov_b32 v[6:7], v[4:5], v[4:5] op_sel:[0,1]
.LBB1361_637:
	s_or_b64 exec, exec, s[28:29]
	v_cndmask_b32_e64 v1, v3, v1, s[12:13]
	v_cndmask_b32_e64 v0, v2, v0, s[12:13]
	;; [unrolled: 1-line block ×6, first 2 shown]
.LBB1361_638:
	s_or_b64 exec, exec, s[10:11]
	v_and_b32_e32 v28, 0x1f0, v20
	v_or_b32_e32 v8, 8, v28
	v_min_u32_e32 v22, v19, v8
	v_add_u32_e32 v8, 8, v22
	v_min_u32_e32 v23, v19, v8
	v_and_b32_e32 v8, 12, v20
	v_min_u32_e32 v29, v19, v8
	v_sub_u32_e32 v8, v22, v28
	v_sub_u32_e32 v9, v23, v22
	v_sub_u32_e64 v25, v29, v9 clamp
	v_min_u32_e32 v30, v29, v8
	v_lshl_add_u32 v24, v28, 3, v18
	v_cmp_lt_u32_e32 vcc, v25, v30
	; wave barrier
	ds_write_b128 v21, v[0:3]
	ds_write_b128 v21, v[4:7] offset:16
	; wave barrier
	s_and_saveexec_b64 s[12:13], vcc
	s_cbranch_execz .LBB1361_648
; %bb.639:
	v_lshlrev_b32_e32 v8, 3, v22
	v_lshlrev_b32_e32 v9, 3, v29
	v_add3_u32 v31, v18, v8, v9
	v_cndmask_b32_e64 v8, 0, 1, s[22:23]
	s_lshl_b64 s[26:27], s[16:17], 1
	s_mov_b64 s[14:15], 0
	v_cmp_ne_u32_e64 s[6:7], 1, v8
	s_branch .LBB1361_642
.LBB1361_640:                           ;   in Loop: Header=BB1361_642 Depth=1
	s_or_b64 exec, exec, s[30:31]
.LBB1361_641:                           ;   in Loop: Header=BB1361_642 Depth=1
	v_add_u32_e32 v8, 1, v32
	v_cndmask_b32_e64 v30, v30, v32, s[28:29]
	v_cndmask_b32_e64 v25, v8, v25, s[28:29]
	v_cmp_ge_u32_e32 vcc, v25, v30
	s_or_b64 s[14:15], vcc, s[14:15]
	s_andn2_b64 exec, exec, s[14:15]
	s_cbranch_execz .LBB1361_647
.LBB1361_642:                           ; =>This Loop Header: Depth=1
                                        ;     Child Loop BB1361_645 Depth 2
	v_add_u32_e32 v8, v30, v25
	v_lshrrev_b32_e32 v32, 1, v8
	s_and_b64 vcc, exec, s[6:7]
	s_mov_b64 s[28:29], 0
	s_cbranch_vccnz .LBB1361_641
; %bb.643:                              ;   in Loop: Header=BB1361_642 Depth=1
	v_not_b32_e32 v8, v32
	v_lshl_add_u32 v8, v8, 3, v31
	ds_read_b64 v[8:9], v8
	v_lshl_add_u32 v33, v32, 3, v24
	ds_read_b64 v[34:35], v33
	v_pk_mov_b32 v[10:11], s[18:19], s[18:19] op_sel:[0,1]
	s_mov_b64 s[30:31], 0
	s_waitcnt lgkmcnt(1)
	v_mul_lo_u32 v33, s26, v9
	v_mul_lo_u32 v36, s27, v8
	v_mad_u64_u32 v[8:9], s[8:9], s26, v8, v[10:11]
	v_add3_u32 v9, v36, v9, v33
	s_waitcnt lgkmcnt(0)
	v_mul_lo_u32 v33, s26, v35
	v_mul_lo_u32 v35, s27, v34
	v_mad_u64_u32 v[10:11], s[8:9], s26, v34, v[10:11]
	v_add3_u32 v11, v35, v11, v33
	s_mov_b64 s[38:39], s[16:17]
                                        ; implicit-def: $sgpr28_sgpr29
                                        ; implicit-def: $sgpr34_sgpr35
                                        ; implicit-def: $sgpr36_sgpr37
                                        ; implicit-def: $sgpr8_sgpr9
                                        ; implicit-def: $sgpr40_sgpr41
	s_branch .LBB1361_645
.LBB1361_644:                           ;   in Loop: Header=BB1361_645 Depth=2
	s_or_b64 exec, exec, s[42:43]
	s_and_b64 s[10:11], exec, s[34:35]
	s_or_b64 s[30:31], s[10:11], s[30:31]
	s_andn2_b64 s[10:11], s[40:41], exec
	s_and_b64 s[40:41], s[36:37], exec
	s_or_b64 s[40:41], s[10:11], s[40:41]
	s_andn2_b64 s[10:11], s[28:29], exec
	s_and_b64 s[28:29], s[8:9], exec
	s_or_b64 s[28:29], s[10:11], s[28:29]
	s_andn2_b64 exec, exec, s[30:31]
	s_cbranch_execz .LBB1361_640
.LBB1361_645:                           ;   Parent Loop BB1361_642 Depth=1
                                        ; =>  This Inner Loop Header: Depth=2
	global_load_ushort v33, v[8:9], off
	global_load_ushort v34, v[10:11], off
	s_andn2_b64 s[42:43], s[8:9], exec
	s_andn2_b64 s[36:37], s[36:37], exec
	s_or_b64 s[34:35], s[34:35], exec
	s_waitcnt vmcnt(0)
	v_cmp_le_u16_e64 s[8:9], v33, v34
	v_cmp_lt_u16_e32 vcc, v33, v34
	s_and_b64 s[8:9], s[8:9], s[40:41]
	s_or_b64 s[44:45], vcc, s[8:9]
	s_and_b64 s[8:9], s[44:45], exec
	v_cmp_eq_u16_e64 s[10:11], v33, v34
	s_or_b64 s[8:9], s[42:43], s[8:9]
	s_and_saveexec_b64 s[42:43], s[10:11]
	s_cbranch_execz .LBB1361_644
; %bb.646:                              ;   in Loop: Header=BB1361_645 Depth=2
	s_add_u32 s38, s38, -1
	s_addc_u32 s39, s39, -1
	v_add_co_u32_e32 v8, vcc, 2, v8
	s_cmp_eq_u64 s[38:39], 0
	v_addc_co_u32_e32 v9, vcc, 0, v9, vcc
	s_cselect_b64 s[10:11], -1, 0
	v_add_co_u32_e32 v10, vcc, 2, v10
	s_andn2_b64 s[36:37], s[36:37], exec
	s_and_b64 s[40:41], s[44:45], exec
	s_andn2_b64 s[34:35], s[34:35], exec
	s_and_b64 s[10:11], s[10:11], exec
	v_addc_co_u32_e32 v11, vcc, 0, v11, vcc
	s_andn2_b64 s[8:9], s[8:9], exec
	s_or_b64 s[36:37], s[36:37], s[40:41]
	s_or_b64 s[34:35], s[34:35], s[10:11]
                                        ; implicit-def: $sgpr40_sgpr41
	s_branch .LBB1361_644
.LBB1361_647:
	s_or_b64 exec, exec, s[14:15]
.LBB1361_648:
	s_or_b64 exec, exec, s[12:13]
	v_add_u32_e32 v9, v22, v29
	v_add_u32_e32 v8, v25, v28
	v_sub_u32_e32 v9, v9, v25
	v_cmp_le_u32_e32 vcc, v8, v22
	v_cmp_le_u32_e64 s[6:7], v9, v23
	s_or_b64 s[6:7], vcc, s[6:7]
	s_and_saveexec_b64 s[10:11], s[6:7]
	s_cbranch_execz .LBB1361_695
; %bb.649:
	v_cmp_ge_u32_e32 vcc, v8, v22
	v_cmp_lt_u32_e64 s[6:7], v8, v22
                                        ; implicit-def: $vgpr0_vgpr1
	s_and_saveexec_b64 s[8:9], s[6:7]
	s_cbranch_execz .LBB1361_651
; %bb.650:
	v_lshl_add_u32 v0, v25, 3, v24
	ds_read_b64 v[0:1], v0
.LBB1361_651:
	s_or_b64 exec, exec, s[8:9]
	v_cmp_ge_u32_e64 s[12:13], v9, v23
	v_cmp_lt_u32_e64 s[6:7], v9, v23
                                        ; implicit-def: $vgpr2_vgpr3
	s_and_saveexec_b64 s[8:9], s[6:7]
	s_cbranch_execz .LBB1361_653
; %bb.652:
	v_lshl_add_u32 v2, v9, 3, v18
	ds_read_b64 v[2:3], v2
.LBB1361_653:
	s_or_b64 exec, exec, s[8:9]
	s_or_b64 s[6:7], vcc, s[12:13]
	s_mov_b64 s[14:15], -1
	s_xor_b64 s[6:7], s[6:7], -1
	s_and_saveexec_b64 s[26:27], s[6:7]
	s_cbranch_execz .LBB1361_662
; %bb.654:
	s_andn2_b64 vcc, exec, s[22:23]
	s_cbranch_vccnz .LBB1361_660
; %bb.655:
	s_waitcnt lgkmcnt(0)
	v_mul_lo_u32 v6, v3, s16
	v_mul_lo_u32 v7, v2, s17
	v_mad_u64_u32 v[4:5], s[6:7], v2, s16, 0
	v_add3_u32 v5, v5, v7, v6
	v_lshlrev_b64 v[4:5], 1, v[4:5]
	v_mov_b32_e32 v6, s19
	v_add_co_u32_e32 v4, vcc, s18, v4
	v_addc_co_u32_e32 v5, vcc, v6, v5, vcc
	v_mul_lo_u32 v10, v1, s16
	v_mul_lo_u32 v11, v0, s17
	v_mad_u64_u32 v[6:7], s[6:7], v0, s16, 0
	v_add3_u32 v7, v7, v11, v10
	v_lshlrev_b64 v[6:7], 1, v[6:7]
	v_mov_b32_e32 v10, s19
	v_add_co_u32_e32 v6, vcc, s18, v6
	v_addc_co_u32_e32 v7, vcc, v10, v7, vcc
	s_mov_b64 s[28:29], 0
	s_mov_b64 s[38:39], s[16:17]
                                        ; implicit-def: $sgpr30_sgpr31
                                        ; implicit-def: $sgpr34_sgpr35
                                        ; implicit-def: $sgpr6_sgpr7
                                        ; implicit-def: $sgpr36_sgpr37
                                        ; implicit-def: $sgpr40_sgpr41
	s_branch .LBB1361_657
.LBB1361_656:                           ;   in Loop: Header=BB1361_657 Depth=1
	s_or_b64 exec, exec, s[42:43]
	s_and_b64 s[8:9], exec, s[34:35]
	s_or_b64 s[28:29], s[8:9], s[28:29]
	s_andn2_b64 s[8:9], s[40:41], exec
	s_and_b64 s[40:41], s[36:37], exec
	s_or_b64 s[40:41], s[8:9], s[40:41]
	s_andn2_b64 s[8:9], s[30:31], exec
	s_and_b64 s[30:31], s[6:7], exec
	s_or_b64 s[30:31], s[8:9], s[30:31]
	s_andn2_b64 exec, exec, s[28:29]
	s_cbranch_execz .LBB1361_659
.LBB1361_657:                           ; =>This Inner Loop Header: Depth=1
	global_load_ushort v10, v[4:5], off
	global_load_ushort v11, v[6:7], off
	s_andn2_b64 s[42:43], s[6:7], exec
	s_andn2_b64 s[36:37], s[36:37], exec
	s_or_b64 s[34:35], s[34:35], exec
	s_waitcnt vmcnt(0)
	v_cmp_le_u16_e64 s[6:7], v10, v11
	v_cmp_lt_u16_e32 vcc, v10, v11
	s_and_b64 s[6:7], s[6:7], s[40:41]
	s_or_b64 s[44:45], vcc, s[6:7]
	s_and_b64 s[6:7], s[44:45], exec
	v_cmp_eq_u16_e64 s[8:9], v10, v11
	s_or_b64 s[6:7], s[42:43], s[6:7]
	s_and_saveexec_b64 s[42:43], s[8:9]
	s_cbranch_execz .LBB1361_656
; %bb.658:                              ;   in Loop: Header=BB1361_657 Depth=1
	s_add_u32 s38, s38, -1
	s_addc_u32 s39, s39, -1
	v_add_co_u32_e32 v4, vcc, 2, v4
	s_cmp_eq_u64 s[38:39], 0
	v_addc_co_u32_e32 v5, vcc, 0, v5, vcc
	s_cselect_b64 s[8:9], -1, 0
	v_add_co_u32_e32 v6, vcc, 2, v6
	s_andn2_b64 s[36:37], s[36:37], exec
	s_and_b64 s[40:41], s[44:45], exec
	s_andn2_b64 s[34:35], s[34:35], exec
	s_and_b64 s[8:9], s[8:9], exec
	v_addc_co_u32_e32 v7, vcc, 0, v7, vcc
	s_or_b64 s[36:37], s[36:37], s[40:41]
	s_andn2_b64 s[6:7], s[6:7], exec
	s_or_b64 s[34:35], s[34:35], s[8:9]
                                        ; implicit-def: $sgpr40_sgpr41
	s_branch .LBB1361_656
.LBB1361_659:
	s_or_b64 exec, exec, s[28:29]
	s_xor_b64 s[6:7], s[30:31], -1
	s_branch .LBB1361_661
.LBB1361_660:
	s_mov_b64 s[6:7], -1
.LBB1361_661:
	s_andn2_b64 s[8:9], s[12:13], exec
	s_and_b64 s[6:7], s[6:7], exec
	s_or_b64 s[12:13], s[8:9], s[6:7]
.LBB1361_662:
	s_or_b64 exec, exec, s[26:27]
	v_cndmask_b32_e64 v4, v9, v8, s[12:13]
	v_cndmask_b32_e64 v5, v23, v22, s[12:13]
	v_add_u32_e32 v6, 1, v4
	v_add_u32_e32 v4, -1, v5
	v_min_u32_e32 v4, v6, v4
	v_lshl_add_u32 v4, v4, 3, v18
	ds_read_b64 v[4:5], v4
	v_cndmask_b32_e64 v9, v6, v9, s[12:13]
	v_cndmask_b32_e64 v8, v8, v6, s[12:13]
	v_cmp_lt_u32_e32 vcc, v9, v23
	s_waitcnt lgkmcnt(0)
	v_cndmask_b32_e64 v24, v5, v3, s[12:13]
	v_cndmask_b32_e64 v25, v4, v2, s[12:13]
	;; [unrolled: 1-line block ×4, first 2 shown]
	s_and_saveexec_b64 s[26:27], vcc
	s_cbranch_execz .LBB1361_673
; %bb.663:
	v_cmp_lt_u32_e32 vcc, v8, v22
	s_mov_b64 s[6:7], 0
	s_and_saveexec_b64 s[14:15], vcc
	s_cbranch_execz .LBB1361_672
; %bb.664:
	s_andn2_b64 vcc, exec, s[22:23]
	s_cbranch_vccnz .LBB1361_670
; %bb.665:
	v_mul_lo_u32 v6, v24, s16
	v_mul_lo_u32 v7, v25, s17
	v_mad_u64_u32 v[4:5], s[6:7], v25, s16, 0
	v_add3_u32 v5, v5, v7, v6
	v_lshlrev_b64 v[4:5], 1, v[4:5]
	v_mov_b32_e32 v6, s19
	v_add_co_u32_e32 v4, vcc, s18, v4
	v_addc_co_u32_e32 v5, vcc, v6, v5, vcc
	v_mul_lo_u32 v10, v28, s16
	v_mul_lo_u32 v11, v29, s17
	v_mad_u64_u32 v[6:7], s[6:7], v29, s16, 0
	v_add3_u32 v7, v7, v11, v10
	v_lshlrev_b64 v[6:7], 1, v[6:7]
	v_mov_b32_e32 v10, s19
	v_add_co_u32_e32 v6, vcc, s18, v6
	v_addc_co_u32_e32 v7, vcc, v10, v7, vcc
	s_mov_b64 s[28:29], 0
	s_mov_b64 s[38:39], s[16:17]
                                        ; implicit-def: $sgpr30_sgpr31
                                        ; implicit-def: $sgpr34_sgpr35
                                        ; implicit-def: $sgpr6_sgpr7
                                        ; implicit-def: $sgpr36_sgpr37
                                        ; implicit-def: $sgpr40_sgpr41
	s_branch .LBB1361_667
.LBB1361_666:                           ;   in Loop: Header=BB1361_667 Depth=1
	s_or_b64 exec, exec, s[42:43]
	s_and_b64 s[8:9], exec, s[34:35]
	s_or_b64 s[28:29], s[8:9], s[28:29]
	s_andn2_b64 s[8:9], s[40:41], exec
	s_and_b64 s[40:41], s[36:37], exec
	s_or_b64 s[40:41], s[8:9], s[40:41]
	s_andn2_b64 s[8:9], s[30:31], exec
	s_and_b64 s[30:31], s[6:7], exec
	s_or_b64 s[30:31], s[8:9], s[30:31]
	s_andn2_b64 exec, exec, s[28:29]
	s_cbranch_execz .LBB1361_669
.LBB1361_667:                           ; =>This Inner Loop Header: Depth=1
	global_load_ushort v10, v[4:5], off
	global_load_ushort v11, v[6:7], off
	s_andn2_b64 s[42:43], s[6:7], exec
	s_andn2_b64 s[36:37], s[36:37], exec
	s_or_b64 s[34:35], s[34:35], exec
	s_waitcnt vmcnt(0)
	v_cmp_le_u16_e64 s[6:7], v10, v11
	v_cmp_lt_u16_e32 vcc, v10, v11
	s_and_b64 s[6:7], s[6:7], s[40:41]
	s_or_b64 s[44:45], vcc, s[6:7]
	s_and_b64 s[6:7], s[44:45], exec
	v_cmp_eq_u16_e64 s[8:9], v10, v11
	s_or_b64 s[6:7], s[42:43], s[6:7]
	s_and_saveexec_b64 s[42:43], s[8:9]
	s_cbranch_execz .LBB1361_666
; %bb.668:                              ;   in Loop: Header=BB1361_667 Depth=1
	s_add_u32 s38, s38, -1
	s_addc_u32 s39, s39, -1
	v_add_co_u32_e32 v4, vcc, 2, v4
	s_cmp_eq_u64 s[38:39], 0
	v_addc_co_u32_e32 v5, vcc, 0, v5, vcc
	s_cselect_b64 s[8:9], -1, 0
	v_add_co_u32_e32 v6, vcc, 2, v6
	s_andn2_b64 s[36:37], s[36:37], exec
	s_and_b64 s[40:41], s[44:45], exec
	s_andn2_b64 s[34:35], s[34:35], exec
	s_and_b64 s[8:9], s[8:9], exec
	v_addc_co_u32_e32 v7, vcc, 0, v7, vcc
	s_or_b64 s[36:37], s[36:37], s[40:41]
	s_andn2_b64 s[6:7], s[6:7], exec
	s_or_b64 s[34:35], s[34:35], s[8:9]
                                        ; implicit-def: $sgpr40_sgpr41
	s_branch .LBB1361_666
.LBB1361_669:
	s_or_b64 exec, exec, s[28:29]
	s_xor_b64 s[6:7], s[30:31], -1
	s_branch .LBB1361_671
.LBB1361_670:
	s_mov_b64 s[6:7], -1
.LBB1361_671:
	s_and_b64 s[6:7], s[6:7], exec
.LBB1361_672:
	s_or_b64 exec, exec, s[14:15]
	s_orn2_b64 s[14:15], s[6:7], exec
.LBB1361_673:
	s_or_b64 exec, exec, s[26:27]
	v_cndmask_b32_e64 v4, v9, v8, s[14:15]
	v_cndmask_b32_e64 v5, v23, v22, s[14:15]
	v_add_u32_e32 v6, 1, v4
	v_add_u32_e32 v4, -1, v5
	v_min_u32_e32 v4, v6, v4
	v_lshl_add_u32 v4, v4, 3, v18
	ds_read_b64 v[4:5], v4
	v_cndmask_b32_e64 v9, v6, v9, s[14:15]
	v_cndmask_b32_e64 v8, v8, v6, s[14:15]
	v_cmp_lt_u32_e32 vcc, v9, v23
	s_mov_b64 s[26:27], -1
	s_waitcnt lgkmcnt(0)
	v_cndmask_b32_e64 v30, v5, v24, s[14:15]
	v_cndmask_b32_e64 v31, v4, v25, s[14:15]
	;; [unrolled: 1-line block ×4, first 2 shown]
	s_and_saveexec_b64 s[28:29], vcc
	s_cbranch_execz .LBB1361_684
; %bb.674:
	v_cmp_lt_u32_e32 vcc, v8, v22
	s_mov_b64 s[6:7], 0
	s_and_saveexec_b64 s[26:27], vcc
	s_cbranch_execz .LBB1361_683
; %bb.675:
	s_andn2_b64 vcc, exec, s[22:23]
	s_cbranch_vccnz .LBB1361_681
; %bb.676:
	v_mul_lo_u32 v6, v30, s16
	v_mul_lo_u32 v7, v31, s17
	v_mad_u64_u32 v[4:5], s[6:7], v31, s16, 0
	v_add3_u32 v5, v5, v7, v6
	v_lshlrev_b64 v[4:5], 1, v[4:5]
	v_mov_b32_e32 v6, s19
	v_add_co_u32_e32 v4, vcc, s18, v4
	v_addc_co_u32_e32 v5, vcc, v6, v5, vcc
	v_mul_lo_u32 v10, v32, s16
	v_mul_lo_u32 v11, v33, s17
	v_mad_u64_u32 v[6:7], s[6:7], v33, s16, 0
	v_add3_u32 v7, v7, v11, v10
	v_lshlrev_b64 v[6:7], 1, v[6:7]
	v_mov_b32_e32 v10, s19
	v_add_co_u32_e32 v6, vcc, s18, v6
	v_addc_co_u32_e32 v7, vcc, v10, v7, vcc
	s_mov_b64 s[30:31], 0
	s_mov_b64 s[40:41], s[16:17]
                                        ; implicit-def: $sgpr34_sgpr35
                                        ; implicit-def: $sgpr36_sgpr37
                                        ; implicit-def: $sgpr6_sgpr7
                                        ; implicit-def: $sgpr38_sgpr39
                                        ; implicit-def: $sgpr42_sgpr43
	s_branch .LBB1361_678
.LBB1361_677:                           ;   in Loop: Header=BB1361_678 Depth=1
	s_or_b64 exec, exec, s[44:45]
	s_and_b64 s[8:9], exec, s[36:37]
	s_or_b64 s[30:31], s[8:9], s[30:31]
	s_andn2_b64 s[8:9], s[42:43], exec
	s_and_b64 s[42:43], s[38:39], exec
	s_or_b64 s[42:43], s[8:9], s[42:43]
	s_andn2_b64 s[8:9], s[34:35], exec
	s_and_b64 s[34:35], s[6:7], exec
	s_or_b64 s[34:35], s[8:9], s[34:35]
	s_andn2_b64 exec, exec, s[30:31]
	s_cbranch_execz .LBB1361_680
.LBB1361_678:                           ; =>This Inner Loop Header: Depth=1
	global_load_ushort v10, v[4:5], off
	global_load_ushort v11, v[6:7], off
	s_andn2_b64 s[44:45], s[6:7], exec
	s_andn2_b64 s[38:39], s[38:39], exec
	s_or_b64 s[36:37], s[36:37], exec
	s_waitcnt vmcnt(0)
	v_cmp_le_u16_e64 s[6:7], v10, v11
	v_cmp_lt_u16_e32 vcc, v10, v11
	s_and_b64 s[6:7], s[6:7], s[42:43]
	s_or_b64 s[46:47], vcc, s[6:7]
	s_and_b64 s[6:7], s[46:47], exec
	v_cmp_eq_u16_e64 s[8:9], v10, v11
	s_or_b64 s[6:7], s[44:45], s[6:7]
	s_and_saveexec_b64 s[44:45], s[8:9]
	s_cbranch_execz .LBB1361_677
; %bb.679:                              ;   in Loop: Header=BB1361_678 Depth=1
	s_add_u32 s40, s40, -1
	s_addc_u32 s41, s41, -1
	v_add_co_u32_e32 v4, vcc, 2, v4
	s_cmp_eq_u64 s[40:41], 0
	v_addc_co_u32_e32 v5, vcc, 0, v5, vcc
	s_cselect_b64 s[8:9], -1, 0
	v_add_co_u32_e32 v6, vcc, 2, v6
	s_andn2_b64 s[38:39], s[38:39], exec
	s_and_b64 s[42:43], s[46:47], exec
	s_andn2_b64 s[36:37], s[36:37], exec
	s_and_b64 s[8:9], s[8:9], exec
	v_addc_co_u32_e32 v7, vcc, 0, v7, vcc
	s_or_b64 s[38:39], s[38:39], s[42:43]
	s_andn2_b64 s[6:7], s[6:7], exec
	s_or_b64 s[36:37], s[36:37], s[8:9]
                                        ; implicit-def: $sgpr42_sgpr43
	s_branch .LBB1361_677
.LBB1361_680:
	s_or_b64 exec, exec, s[30:31]
	s_xor_b64 s[6:7], s[34:35], -1
	s_branch .LBB1361_682
.LBB1361_681:
	s_mov_b64 s[6:7], -1
.LBB1361_682:
	s_and_b64 s[6:7], s[6:7], exec
.LBB1361_683:
	s_or_b64 exec, exec, s[26:27]
	s_orn2_b64 s[26:27], s[6:7], exec
.LBB1361_684:
	s_or_b64 exec, exec, s[28:29]
	v_cndmask_b32_e64 v4, v9, v8, s[26:27]
	v_cndmask_b32_e64 v5, v23, v22, s[26:27]
	v_add_u32_e32 v10, 1, v4
	v_add_u32_e32 v4, -1, v5
	v_min_u32_e32 v4, v10, v4
	v_lshl_add_u32 v4, v4, 3, v18
	ds_read_b64 v[4:5], v4
	v_cndmask_b32_e64 v9, v10, v9, s[26:27]
	v_cmp_lt_u32_e32 vcc, v9, v23
	s_waitcnt lgkmcnt(0)
	v_cndmask_b32_e64 v7, v32, v5, s[26:27]
	v_cndmask_b32_e64 v6, v33, v4, s[26:27]
	s_and_saveexec_b64 s[28:29], vcc
	s_cbranch_execz .LBB1361_694
; %bb.685:
	v_cndmask_b32_e64 v8, v8, v10, s[26:27]
	v_cndmask_b32_e64 v5, v5, v30, s[26:27]
	;; [unrolled: 1-line block ×3, first 2 shown]
	v_cmp_lt_u32_e32 vcc, v8, v22
	s_and_saveexec_b64 s[30:31], vcc
	s_cbranch_execz .LBB1361_693
; %bb.686:
	s_andn2_b64 vcc, exec, s[22:23]
	s_cbranch_vccnz .LBB1361_692
; %bb.687:
	v_mul_lo_u32 v10, v5, s16
	v_mul_lo_u32 v11, v4, s17
	v_mad_u64_u32 v[8:9], s[6:7], v4, s16, 0
	v_add3_u32 v9, v9, v11, v10
	v_lshlrev_b64 v[8:9], 1, v[8:9]
	v_mov_b32_e32 v10, s19
	v_add_co_u32_e32 v8, vcc, s18, v8
	v_addc_co_u32_e32 v9, vcc, v10, v9, vcc
	v_mul_lo_u32 v22, v7, s16
	v_mul_lo_u32 v23, v6, s17
	v_mad_u64_u32 v[10:11], s[6:7], v6, s16, 0
	v_add3_u32 v11, v11, v23, v22
	v_lshlrev_b64 v[10:11], 1, v[10:11]
	v_mov_b32_e32 v22, s19
	v_add_co_u32_e32 v10, vcc, s18, v10
	v_addc_co_u32_e32 v11, vcc, v22, v11, vcc
	s_mov_b64 s[34:35], 0
	s_mov_b64 s[42:43], s[16:17]
                                        ; implicit-def: $sgpr36_sgpr37
                                        ; implicit-def: $sgpr38_sgpr39
                                        ; implicit-def: $sgpr6_sgpr7
                                        ; implicit-def: $sgpr40_sgpr41
                                        ; implicit-def: $sgpr44_sgpr45
	s_branch .LBB1361_689
.LBB1361_688:                           ;   in Loop: Header=BB1361_689 Depth=1
	s_or_b64 exec, exec, s[46:47]
	s_and_b64 s[8:9], exec, s[38:39]
	s_or_b64 s[34:35], s[8:9], s[34:35]
	s_andn2_b64 s[8:9], s[44:45], exec
	s_and_b64 s[44:45], s[40:41], exec
	s_or_b64 s[44:45], s[8:9], s[44:45]
	s_andn2_b64 s[8:9], s[36:37], exec
	s_and_b64 s[36:37], s[6:7], exec
	s_or_b64 s[36:37], s[8:9], s[36:37]
	s_andn2_b64 exec, exec, s[34:35]
	s_cbranch_execz .LBB1361_691
.LBB1361_689:                           ; =>This Inner Loop Header: Depth=1
	global_load_ushort v22, v[8:9], off
	global_load_ushort v23, v[10:11], off
	s_andn2_b64 s[46:47], s[6:7], exec
	s_andn2_b64 s[40:41], s[40:41], exec
	s_or_b64 s[38:39], s[38:39], exec
	s_waitcnt vmcnt(0)
	v_cmp_le_u16_e64 s[6:7], v22, v23
	v_cmp_lt_u16_e32 vcc, v22, v23
	s_and_b64 s[6:7], s[6:7], s[44:45]
	s_or_b64 s[48:49], vcc, s[6:7]
	s_and_b64 s[6:7], s[48:49], exec
	v_cmp_eq_u16_e64 s[8:9], v22, v23
	s_or_b64 s[6:7], s[46:47], s[6:7]
	s_and_saveexec_b64 s[46:47], s[8:9]
	s_cbranch_execz .LBB1361_688
; %bb.690:                              ;   in Loop: Header=BB1361_689 Depth=1
	s_add_u32 s42, s42, -1
	s_addc_u32 s43, s43, -1
	v_add_co_u32_e32 v8, vcc, 2, v8
	s_cmp_eq_u64 s[42:43], 0
	v_addc_co_u32_e32 v9, vcc, 0, v9, vcc
	s_cselect_b64 s[8:9], -1, 0
	v_add_co_u32_e32 v10, vcc, 2, v10
	s_andn2_b64 s[40:41], s[40:41], exec
	s_and_b64 s[44:45], s[48:49], exec
	s_andn2_b64 s[38:39], s[38:39], exec
	s_and_b64 s[8:9], s[8:9], exec
	v_addc_co_u32_e32 v11, vcc, 0, v11, vcc
	s_or_b64 s[40:41], s[40:41], s[44:45]
	s_andn2_b64 s[6:7], s[6:7], exec
	s_or_b64 s[38:39], s[38:39], s[8:9]
                                        ; implicit-def: $sgpr44_sgpr45
	s_branch .LBB1361_688
.LBB1361_691:
	s_or_b64 exec, exec, s[34:35]
	v_cndmask_b32_e64 v7, v7, v5, s[36:37]
	v_cndmask_b32_e64 v6, v6, v4, s[36:37]
.LBB1361_692:
	v_pk_mov_b32 v[4:5], v[6:7], v[6:7] op_sel:[0,1]
.LBB1361_693:
	s_or_b64 exec, exec, s[30:31]
	v_pk_mov_b32 v[6:7], v[4:5], v[4:5] op_sel:[0,1]
.LBB1361_694:
	s_or_b64 exec, exec, s[28:29]
	v_cndmask_b32_e64 v1, v3, v1, s[12:13]
	v_cndmask_b32_e64 v0, v2, v0, s[12:13]
	v_cndmask_b32_e64 v3, v24, v28, s[14:15]
	v_cndmask_b32_e64 v2, v25, v29, s[14:15]
	v_cndmask_b32_e64 v5, v30, v32, s[26:27]
	v_cndmask_b32_e64 v4, v31, v33, s[26:27]
.LBB1361_695:
	s_or_b64 exec, exec, s[10:11]
	v_and_b32_e32 v28, 0x1e0, v20
	v_or_b32_e32 v8, 16, v28
	v_min_u32_e32 v22, v19, v8
	v_add_u32_e32 v8, 16, v22
	v_min_u32_e32 v23, v19, v8
	v_and_b32_e32 v8, 28, v20
	v_min_u32_e32 v29, v19, v8
	v_sub_u32_e32 v8, v22, v28
	v_sub_u32_e32 v9, v23, v22
	v_sub_u32_e64 v25, v29, v9 clamp
	v_min_u32_e32 v30, v29, v8
	v_lshl_add_u32 v24, v28, 3, v18
	v_cmp_lt_u32_e32 vcc, v25, v30
	; wave barrier
	ds_write_b128 v21, v[0:3]
	ds_write_b128 v21, v[4:7] offset:16
	; wave barrier
	s_and_saveexec_b64 s[12:13], vcc
	s_cbranch_execz .LBB1361_705
; %bb.696:
	v_lshlrev_b32_e32 v8, 3, v22
	v_lshlrev_b32_e32 v9, 3, v29
	v_add3_u32 v31, v18, v8, v9
	v_cndmask_b32_e64 v8, 0, 1, s[22:23]
	s_lshl_b64 s[26:27], s[16:17], 1
	s_mov_b64 s[14:15], 0
	v_cmp_ne_u32_e64 s[6:7], 1, v8
	s_branch .LBB1361_699
.LBB1361_697:                           ;   in Loop: Header=BB1361_699 Depth=1
	s_or_b64 exec, exec, s[30:31]
.LBB1361_698:                           ;   in Loop: Header=BB1361_699 Depth=1
	v_add_u32_e32 v8, 1, v32
	v_cndmask_b32_e64 v30, v30, v32, s[28:29]
	v_cndmask_b32_e64 v25, v8, v25, s[28:29]
	v_cmp_ge_u32_e32 vcc, v25, v30
	s_or_b64 s[14:15], vcc, s[14:15]
	s_andn2_b64 exec, exec, s[14:15]
	s_cbranch_execz .LBB1361_704
.LBB1361_699:                           ; =>This Loop Header: Depth=1
                                        ;     Child Loop BB1361_702 Depth 2
	v_add_u32_e32 v8, v30, v25
	v_lshrrev_b32_e32 v32, 1, v8
	s_and_b64 vcc, exec, s[6:7]
	s_mov_b64 s[28:29], 0
	s_cbranch_vccnz .LBB1361_698
; %bb.700:                              ;   in Loop: Header=BB1361_699 Depth=1
	v_not_b32_e32 v8, v32
	v_lshl_add_u32 v8, v8, 3, v31
	ds_read_b64 v[8:9], v8
	v_lshl_add_u32 v33, v32, 3, v24
	ds_read_b64 v[34:35], v33
	v_pk_mov_b32 v[10:11], s[18:19], s[18:19] op_sel:[0,1]
	s_mov_b64 s[30:31], 0
	s_waitcnt lgkmcnt(1)
	v_mul_lo_u32 v33, s26, v9
	v_mul_lo_u32 v36, s27, v8
	v_mad_u64_u32 v[8:9], s[8:9], s26, v8, v[10:11]
	v_add3_u32 v9, v36, v9, v33
	s_waitcnt lgkmcnt(0)
	v_mul_lo_u32 v33, s26, v35
	v_mul_lo_u32 v35, s27, v34
	v_mad_u64_u32 v[10:11], s[8:9], s26, v34, v[10:11]
	v_add3_u32 v11, v35, v11, v33
	s_mov_b64 s[38:39], s[16:17]
                                        ; implicit-def: $sgpr28_sgpr29
                                        ; implicit-def: $sgpr34_sgpr35
                                        ; implicit-def: $sgpr36_sgpr37
                                        ; implicit-def: $sgpr8_sgpr9
                                        ; implicit-def: $sgpr40_sgpr41
	s_branch .LBB1361_702
.LBB1361_701:                           ;   in Loop: Header=BB1361_702 Depth=2
	s_or_b64 exec, exec, s[42:43]
	s_and_b64 s[10:11], exec, s[34:35]
	s_or_b64 s[30:31], s[10:11], s[30:31]
	s_andn2_b64 s[10:11], s[40:41], exec
	s_and_b64 s[40:41], s[36:37], exec
	s_or_b64 s[40:41], s[10:11], s[40:41]
	s_andn2_b64 s[10:11], s[28:29], exec
	s_and_b64 s[28:29], s[8:9], exec
	s_or_b64 s[28:29], s[10:11], s[28:29]
	s_andn2_b64 exec, exec, s[30:31]
	s_cbranch_execz .LBB1361_697
.LBB1361_702:                           ;   Parent Loop BB1361_699 Depth=1
                                        ; =>  This Inner Loop Header: Depth=2
	global_load_ushort v33, v[8:9], off
	global_load_ushort v34, v[10:11], off
	s_andn2_b64 s[42:43], s[8:9], exec
	s_andn2_b64 s[36:37], s[36:37], exec
	s_or_b64 s[34:35], s[34:35], exec
	s_waitcnt vmcnt(0)
	v_cmp_le_u16_e64 s[8:9], v33, v34
	v_cmp_lt_u16_e32 vcc, v33, v34
	s_and_b64 s[8:9], s[8:9], s[40:41]
	s_or_b64 s[44:45], vcc, s[8:9]
	s_and_b64 s[8:9], s[44:45], exec
	v_cmp_eq_u16_e64 s[10:11], v33, v34
	s_or_b64 s[8:9], s[42:43], s[8:9]
	s_and_saveexec_b64 s[42:43], s[10:11]
	s_cbranch_execz .LBB1361_701
; %bb.703:                              ;   in Loop: Header=BB1361_702 Depth=2
	s_add_u32 s38, s38, -1
	s_addc_u32 s39, s39, -1
	v_add_co_u32_e32 v8, vcc, 2, v8
	s_cmp_eq_u64 s[38:39], 0
	v_addc_co_u32_e32 v9, vcc, 0, v9, vcc
	s_cselect_b64 s[10:11], -1, 0
	v_add_co_u32_e32 v10, vcc, 2, v10
	s_andn2_b64 s[36:37], s[36:37], exec
	s_and_b64 s[40:41], s[44:45], exec
	s_andn2_b64 s[34:35], s[34:35], exec
	s_and_b64 s[10:11], s[10:11], exec
	v_addc_co_u32_e32 v11, vcc, 0, v11, vcc
	s_andn2_b64 s[8:9], s[8:9], exec
	s_or_b64 s[36:37], s[36:37], s[40:41]
	s_or_b64 s[34:35], s[34:35], s[10:11]
                                        ; implicit-def: $sgpr40_sgpr41
	s_branch .LBB1361_701
.LBB1361_704:
	s_or_b64 exec, exec, s[14:15]
.LBB1361_705:
	s_or_b64 exec, exec, s[12:13]
	v_add_u32_e32 v9, v22, v29
	v_add_u32_e32 v8, v25, v28
	v_sub_u32_e32 v9, v9, v25
	v_cmp_le_u32_e32 vcc, v8, v22
	v_cmp_le_u32_e64 s[6:7], v9, v23
	s_or_b64 s[6:7], vcc, s[6:7]
	s_and_saveexec_b64 s[10:11], s[6:7]
	s_cbranch_execz .LBB1361_752
; %bb.706:
	v_cmp_ge_u32_e32 vcc, v8, v22
	v_cmp_lt_u32_e64 s[6:7], v8, v22
                                        ; implicit-def: $vgpr0_vgpr1
	s_and_saveexec_b64 s[8:9], s[6:7]
	s_cbranch_execz .LBB1361_708
; %bb.707:
	v_lshl_add_u32 v0, v25, 3, v24
	ds_read_b64 v[0:1], v0
.LBB1361_708:
	s_or_b64 exec, exec, s[8:9]
	v_cmp_ge_u32_e64 s[12:13], v9, v23
	v_cmp_lt_u32_e64 s[6:7], v9, v23
                                        ; implicit-def: $vgpr2_vgpr3
	s_and_saveexec_b64 s[8:9], s[6:7]
	s_cbranch_execz .LBB1361_710
; %bb.709:
	v_lshl_add_u32 v2, v9, 3, v18
	ds_read_b64 v[2:3], v2
.LBB1361_710:
	s_or_b64 exec, exec, s[8:9]
	s_or_b64 s[6:7], vcc, s[12:13]
	s_mov_b64 s[14:15], -1
	s_xor_b64 s[6:7], s[6:7], -1
	s_and_saveexec_b64 s[26:27], s[6:7]
	s_cbranch_execz .LBB1361_719
; %bb.711:
	s_andn2_b64 vcc, exec, s[22:23]
	s_cbranch_vccnz .LBB1361_717
; %bb.712:
	s_waitcnt lgkmcnt(0)
	v_mul_lo_u32 v6, v3, s16
	v_mul_lo_u32 v7, v2, s17
	v_mad_u64_u32 v[4:5], s[6:7], v2, s16, 0
	v_add3_u32 v5, v5, v7, v6
	v_lshlrev_b64 v[4:5], 1, v[4:5]
	v_mov_b32_e32 v6, s19
	v_add_co_u32_e32 v4, vcc, s18, v4
	v_addc_co_u32_e32 v5, vcc, v6, v5, vcc
	v_mul_lo_u32 v10, v1, s16
	v_mul_lo_u32 v11, v0, s17
	v_mad_u64_u32 v[6:7], s[6:7], v0, s16, 0
	v_add3_u32 v7, v7, v11, v10
	v_lshlrev_b64 v[6:7], 1, v[6:7]
	v_mov_b32_e32 v10, s19
	v_add_co_u32_e32 v6, vcc, s18, v6
	v_addc_co_u32_e32 v7, vcc, v10, v7, vcc
	s_mov_b64 s[28:29], 0
	s_mov_b64 s[38:39], s[16:17]
                                        ; implicit-def: $sgpr30_sgpr31
                                        ; implicit-def: $sgpr34_sgpr35
                                        ; implicit-def: $sgpr6_sgpr7
                                        ; implicit-def: $sgpr36_sgpr37
                                        ; implicit-def: $sgpr40_sgpr41
	s_branch .LBB1361_714
.LBB1361_713:                           ;   in Loop: Header=BB1361_714 Depth=1
	s_or_b64 exec, exec, s[42:43]
	s_and_b64 s[8:9], exec, s[34:35]
	s_or_b64 s[28:29], s[8:9], s[28:29]
	s_andn2_b64 s[8:9], s[40:41], exec
	s_and_b64 s[40:41], s[36:37], exec
	s_or_b64 s[40:41], s[8:9], s[40:41]
	s_andn2_b64 s[8:9], s[30:31], exec
	s_and_b64 s[30:31], s[6:7], exec
	s_or_b64 s[30:31], s[8:9], s[30:31]
	s_andn2_b64 exec, exec, s[28:29]
	s_cbranch_execz .LBB1361_716
.LBB1361_714:                           ; =>This Inner Loop Header: Depth=1
	global_load_ushort v10, v[4:5], off
	global_load_ushort v11, v[6:7], off
	s_andn2_b64 s[42:43], s[6:7], exec
	s_andn2_b64 s[36:37], s[36:37], exec
	s_or_b64 s[34:35], s[34:35], exec
	s_waitcnt vmcnt(0)
	v_cmp_le_u16_e64 s[6:7], v10, v11
	v_cmp_lt_u16_e32 vcc, v10, v11
	s_and_b64 s[6:7], s[6:7], s[40:41]
	s_or_b64 s[44:45], vcc, s[6:7]
	s_and_b64 s[6:7], s[44:45], exec
	v_cmp_eq_u16_e64 s[8:9], v10, v11
	s_or_b64 s[6:7], s[42:43], s[6:7]
	s_and_saveexec_b64 s[42:43], s[8:9]
	s_cbranch_execz .LBB1361_713
; %bb.715:                              ;   in Loop: Header=BB1361_714 Depth=1
	s_add_u32 s38, s38, -1
	s_addc_u32 s39, s39, -1
	v_add_co_u32_e32 v4, vcc, 2, v4
	s_cmp_eq_u64 s[38:39], 0
	v_addc_co_u32_e32 v5, vcc, 0, v5, vcc
	s_cselect_b64 s[8:9], -1, 0
	v_add_co_u32_e32 v6, vcc, 2, v6
	s_andn2_b64 s[36:37], s[36:37], exec
	s_and_b64 s[40:41], s[44:45], exec
	s_andn2_b64 s[34:35], s[34:35], exec
	s_and_b64 s[8:9], s[8:9], exec
	v_addc_co_u32_e32 v7, vcc, 0, v7, vcc
	s_or_b64 s[36:37], s[36:37], s[40:41]
	s_andn2_b64 s[6:7], s[6:7], exec
	s_or_b64 s[34:35], s[34:35], s[8:9]
                                        ; implicit-def: $sgpr40_sgpr41
	s_branch .LBB1361_713
.LBB1361_716:
	s_or_b64 exec, exec, s[28:29]
	s_xor_b64 s[6:7], s[30:31], -1
	s_branch .LBB1361_718
.LBB1361_717:
	s_mov_b64 s[6:7], -1
.LBB1361_718:
	s_andn2_b64 s[8:9], s[12:13], exec
	s_and_b64 s[6:7], s[6:7], exec
	s_or_b64 s[12:13], s[8:9], s[6:7]
.LBB1361_719:
	s_or_b64 exec, exec, s[26:27]
	v_cndmask_b32_e64 v4, v9, v8, s[12:13]
	v_cndmask_b32_e64 v5, v23, v22, s[12:13]
	v_add_u32_e32 v6, 1, v4
	v_add_u32_e32 v4, -1, v5
	v_min_u32_e32 v4, v6, v4
	v_lshl_add_u32 v4, v4, 3, v18
	ds_read_b64 v[4:5], v4
	v_cndmask_b32_e64 v9, v6, v9, s[12:13]
	v_cndmask_b32_e64 v8, v8, v6, s[12:13]
	v_cmp_lt_u32_e32 vcc, v9, v23
	s_waitcnt lgkmcnt(0)
	v_cndmask_b32_e64 v24, v5, v3, s[12:13]
	v_cndmask_b32_e64 v25, v4, v2, s[12:13]
	;; [unrolled: 1-line block ×4, first 2 shown]
	s_and_saveexec_b64 s[26:27], vcc
	s_cbranch_execz .LBB1361_730
; %bb.720:
	v_cmp_lt_u32_e32 vcc, v8, v22
	s_mov_b64 s[6:7], 0
	s_and_saveexec_b64 s[14:15], vcc
	s_cbranch_execz .LBB1361_729
; %bb.721:
	s_andn2_b64 vcc, exec, s[22:23]
	s_cbranch_vccnz .LBB1361_727
; %bb.722:
	v_mul_lo_u32 v6, v24, s16
	v_mul_lo_u32 v7, v25, s17
	v_mad_u64_u32 v[4:5], s[6:7], v25, s16, 0
	v_add3_u32 v5, v5, v7, v6
	v_lshlrev_b64 v[4:5], 1, v[4:5]
	v_mov_b32_e32 v6, s19
	v_add_co_u32_e32 v4, vcc, s18, v4
	v_addc_co_u32_e32 v5, vcc, v6, v5, vcc
	v_mul_lo_u32 v10, v28, s16
	v_mul_lo_u32 v11, v29, s17
	v_mad_u64_u32 v[6:7], s[6:7], v29, s16, 0
	v_add3_u32 v7, v7, v11, v10
	v_lshlrev_b64 v[6:7], 1, v[6:7]
	v_mov_b32_e32 v10, s19
	v_add_co_u32_e32 v6, vcc, s18, v6
	v_addc_co_u32_e32 v7, vcc, v10, v7, vcc
	s_mov_b64 s[28:29], 0
	s_mov_b64 s[38:39], s[16:17]
                                        ; implicit-def: $sgpr30_sgpr31
                                        ; implicit-def: $sgpr34_sgpr35
                                        ; implicit-def: $sgpr6_sgpr7
                                        ; implicit-def: $sgpr36_sgpr37
                                        ; implicit-def: $sgpr40_sgpr41
	s_branch .LBB1361_724
.LBB1361_723:                           ;   in Loop: Header=BB1361_724 Depth=1
	s_or_b64 exec, exec, s[42:43]
	s_and_b64 s[8:9], exec, s[34:35]
	s_or_b64 s[28:29], s[8:9], s[28:29]
	s_andn2_b64 s[8:9], s[40:41], exec
	s_and_b64 s[40:41], s[36:37], exec
	s_or_b64 s[40:41], s[8:9], s[40:41]
	s_andn2_b64 s[8:9], s[30:31], exec
	s_and_b64 s[30:31], s[6:7], exec
	s_or_b64 s[30:31], s[8:9], s[30:31]
	s_andn2_b64 exec, exec, s[28:29]
	s_cbranch_execz .LBB1361_726
.LBB1361_724:                           ; =>This Inner Loop Header: Depth=1
	global_load_ushort v10, v[4:5], off
	global_load_ushort v11, v[6:7], off
	s_andn2_b64 s[42:43], s[6:7], exec
	s_andn2_b64 s[36:37], s[36:37], exec
	s_or_b64 s[34:35], s[34:35], exec
	s_waitcnt vmcnt(0)
	v_cmp_le_u16_e64 s[6:7], v10, v11
	v_cmp_lt_u16_e32 vcc, v10, v11
	s_and_b64 s[6:7], s[6:7], s[40:41]
	s_or_b64 s[44:45], vcc, s[6:7]
	s_and_b64 s[6:7], s[44:45], exec
	v_cmp_eq_u16_e64 s[8:9], v10, v11
	s_or_b64 s[6:7], s[42:43], s[6:7]
	s_and_saveexec_b64 s[42:43], s[8:9]
	s_cbranch_execz .LBB1361_723
; %bb.725:                              ;   in Loop: Header=BB1361_724 Depth=1
	s_add_u32 s38, s38, -1
	s_addc_u32 s39, s39, -1
	v_add_co_u32_e32 v4, vcc, 2, v4
	s_cmp_eq_u64 s[38:39], 0
	v_addc_co_u32_e32 v5, vcc, 0, v5, vcc
	s_cselect_b64 s[8:9], -1, 0
	v_add_co_u32_e32 v6, vcc, 2, v6
	s_andn2_b64 s[36:37], s[36:37], exec
	s_and_b64 s[40:41], s[44:45], exec
	s_andn2_b64 s[34:35], s[34:35], exec
	s_and_b64 s[8:9], s[8:9], exec
	v_addc_co_u32_e32 v7, vcc, 0, v7, vcc
	s_or_b64 s[36:37], s[36:37], s[40:41]
	s_andn2_b64 s[6:7], s[6:7], exec
	s_or_b64 s[34:35], s[34:35], s[8:9]
                                        ; implicit-def: $sgpr40_sgpr41
	s_branch .LBB1361_723
.LBB1361_726:
	s_or_b64 exec, exec, s[28:29]
	s_xor_b64 s[6:7], s[30:31], -1
	s_branch .LBB1361_728
.LBB1361_727:
	s_mov_b64 s[6:7], -1
.LBB1361_728:
	s_and_b64 s[6:7], s[6:7], exec
.LBB1361_729:
	s_or_b64 exec, exec, s[14:15]
	s_orn2_b64 s[14:15], s[6:7], exec
.LBB1361_730:
	s_or_b64 exec, exec, s[26:27]
	v_cndmask_b32_e64 v4, v9, v8, s[14:15]
	v_cndmask_b32_e64 v5, v23, v22, s[14:15]
	v_add_u32_e32 v6, 1, v4
	v_add_u32_e32 v4, -1, v5
	v_min_u32_e32 v4, v6, v4
	v_lshl_add_u32 v4, v4, 3, v18
	ds_read_b64 v[4:5], v4
	v_cndmask_b32_e64 v9, v6, v9, s[14:15]
	v_cndmask_b32_e64 v8, v8, v6, s[14:15]
	v_cmp_lt_u32_e32 vcc, v9, v23
	s_mov_b64 s[26:27], -1
	s_waitcnt lgkmcnt(0)
	v_cndmask_b32_e64 v30, v5, v24, s[14:15]
	v_cndmask_b32_e64 v31, v4, v25, s[14:15]
	v_cndmask_b32_e64 v32, v28, v5, s[14:15]
	v_cndmask_b32_e64 v33, v29, v4, s[14:15]
	s_and_saveexec_b64 s[28:29], vcc
	s_cbranch_execz .LBB1361_741
; %bb.731:
	v_cmp_lt_u32_e32 vcc, v8, v22
	s_mov_b64 s[6:7], 0
	s_and_saveexec_b64 s[26:27], vcc
	s_cbranch_execz .LBB1361_740
; %bb.732:
	s_andn2_b64 vcc, exec, s[22:23]
	s_cbranch_vccnz .LBB1361_738
; %bb.733:
	v_mul_lo_u32 v6, v30, s16
	v_mul_lo_u32 v7, v31, s17
	v_mad_u64_u32 v[4:5], s[6:7], v31, s16, 0
	v_add3_u32 v5, v5, v7, v6
	v_lshlrev_b64 v[4:5], 1, v[4:5]
	v_mov_b32_e32 v6, s19
	v_add_co_u32_e32 v4, vcc, s18, v4
	v_addc_co_u32_e32 v5, vcc, v6, v5, vcc
	v_mul_lo_u32 v10, v32, s16
	v_mul_lo_u32 v11, v33, s17
	v_mad_u64_u32 v[6:7], s[6:7], v33, s16, 0
	v_add3_u32 v7, v7, v11, v10
	v_lshlrev_b64 v[6:7], 1, v[6:7]
	v_mov_b32_e32 v10, s19
	v_add_co_u32_e32 v6, vcc, s18, v6
	v_addc_co_u32_e32 v7, vcc, v10, v7, vcc
	s_mov_b64 s[30:31], 0
	s_mov_b64 s[40:41], s[16:17]
                                        ; implicit-def: $sgpr34_sgpr35
                                        ; implicit-def: $sgpr36_sgpr37
                                        ; implicit-def: $sgpr6_sgpr7
                                        ; implicit-def: $sgpr38_sgpr39
                                        ; implicit-def: $sgpr42_sgpr43
	s_branch .LBB1361_735
.LBB1361_734:                           ;   in Loop: Header=BB1361_735 Depth=1
	s_or_b64 exec, exec, s[44:45]
	s_and_b64 s[8:9], exec, s[36:37]
	s_or_b64 s[30:31], s[8:9], s[30:31]
	s_andn2_b64 s[8:9], s[42:43], exec
	s_and_b64 s[42:43], s[38:39], exec
	s_or_b64 s[42:43], s[8:9], s[42:43]
	s_andn2_b64 s[8:9], s[34:35], exec
	s_and_b64 s[34:35], s[6:7], exec
	s_or_b64 s[34:35], s[8:9], s[34:35]
	s_andn2_b64 exec, exec, s[30:31]
	s_cbranch_execz .LBB1361_737
.LBB1361_735:                           ; =>This Inner Loop Header: Depth=1
	global_load_ushort v10, v[4:5], off
	global_load_ushort v11, v[6:7], off
	s_andn2_b64 s[44:45], s[6:7], exec
	s_andn2_b64 s[38:39], s[38:39], exec
	s_or_b64 s[36:37], s[36:37], exec
	s_waitcnt vmcnt(0)
	v_cmp_le_u16_e64 s[6:7], v10, v11
	v_cmp_lt_u16_e32 vcc, v10, v11
	s_and_b64 s[6:7], s[6:7], s[42:43]
	s_or_b64 s[46:47], vcc, s[6:7]
	s_and_b64 s[6:7], s[46:47], exec
	v_cmp_eq_u16_e64 s[8:9], v10, v11
	s_or_b64 s[6:7], s[44:45], s[6:7]
	s_and_saveexec_b64 s[44:45], s[8:9]
	s_cbranch_execz .LBB1361_734
; %bb.736:                              ;   in Loop: Header=BB1361_735 Depth=1
	s_add_u32 s40, s40, -1
	s_addc_u32 s41, s41, -1
	v_add_co_u32_e32 v4, vcc, 2, v4
	s_cmp_eq_u64 s[40:41], 0
	v_addc_co_u32_e32 v5, vcc, 0, v5, vcc
	s_cselect_b64 s[8:9], -1, 0
	v_add_co_u32_e32 v6, vcc, 2, v6
	s_andn2_b64 s[38:39], s[38:39], exec
	s_and_b64 s[42:43], s[46:47], exec
	s_andn2_b64 s[36:37], s[36:37], exec
	s_and_b64 s[8:9], s[8:9], exec
	v_addc_co_u32_e32 v7, vcc, 0, v7, vcc
	s_or_b64 s[38:39], s[38:39], s[42:43]
	s_andn2_b64 s[6:7], s[6:7], exec
	s_or_b64 s[36:37], s[36:37], s[8:9]
                                        ; implicit-def: $sgpr42_sgpr43
	s_branch .LBB1361_734
.LBB1361_737:
	s_or_b64 exec, exec, s[30:31]
	s_xor_b64 s[6:7], s[34:35], -1
	s_branch .LBB1361_739
.LBB1361_738:
	s_mov_b64 s[6:7], -1
.LBB1361_739:
	s_and_b64 s[6:7], s[6:7], exec
.LBB1361_740:
	s_or_b64 exec, exec, s[26:27]
	s_orn2_b64 s[26:27], s[6:7], exec
.LBB1361_741:
	s_or_b64 exec, exec, s[28:29]
	v_cndmask_b32_e64 v4, v9, v8, s[26:27]
	v_cndmask_b32_e64 v5, v23, v22, s[26:27]
	v_add_u32_e32 v10, 1, v4
	v_add_u32_e32 v4, -1, v5
	v_min_u32_e32 v4, v10, v4
	v_lshl_add_u32 v4, v4, 3, v18
	ds_read_b64 v[4:5], v4
	v_cndmask_b32_e64 v9, v10, v9, s[26:27]
	v_cmp_lt_u32_e32 vcc, v9, v23
	s_waitcnt lgkmcnt(0)
	v_cndmask_b32_e64 v7, v32, v5, s[26:27]
	v_cndmask_b32_e64 v6, v33, v4, s[26:27]
	s_and_saveexec_b64 s[28:29], vcc
	s_cbranch_execz .LBB1361_751
; %bb.742:
	v_cndmask_b32_e64 v8, v8, v10, s[26:27]
	v_cndmask_b32_e64 v5, v5, v30, s[26:27]
	;; [unrolled: 1-line block ×3, first 2 shown]
	v_cmp_lt_u32_e32 vcc, v8, v22
	s_and_saveexec_b64 s[30:31], vcc
	s_cbranch_execz .LBB1361_750
; %bb.743:
	s_andn2_b64 vcc, exec, s[22:23]
	s_cbranch_vccnz .LBB1361_749
; %bb.744:
	v_mul_lo_u32 v10, v5, s16
	v_mul_lo_u32 v11, v4, s17
	v_mad_u64_u32 v[8:9], s[6:7], v4, s16, 0
	v_add3_u32 v9, v9, v11, v10
	v_lshlrev_b64 v[8:9], 1, v[8:9]
	v_mov_b32_e32 v10, s19
	v_add_co_u32_e32 v8, vcc, s18, v8
	v_addc_co_u32_e32 v9, vcc, v10, v9, vcc
	v_mul_lo_u32 v22, v7, s16
	v_mul_lo_u32 v23, v6, s17
	v_mad_u64_u32 v[10:11], s[6:7], v6, s16, 0
	v_add3_u32 v11, v11, v23, v22
	v_lshlrev_b64 v[10:11], 1, v[10:11]
	v_mov_b32_e32 v22, s19
	v_add_co_u32_e32 v10, vcc, s18, v10
	v_addc_co_u32_e32 v11, vcc, v22, v11, vcc
	s_mov_b64 s[34:35], 0
	s_mov_b64 s[42:43], s[16:17]
                                        ; implicit-def: $sgpr36_sgpr37
                                        ; implicit-def: $sgpr38_sgpr39
                                        ; implicit-def: $sgpr6_sgpr7
                                        ; implicit-def: $sgpr40_sgpr41
                                        ; implicit-def: $sgpr44_sgpr45
	s_branch .LBB1361_746
.LBB1361_745:                           ;   in Loop: Header=BB1361_746 Depth=1
	s_or_b64 exec, exec, s[46:47]
	s_and_b64 s[8:9], exec, s[38:39]
	s_or_b64 s[34:35], s[8:9], s[34:35]
	s_andn2_b64 s[8:9], s[44:45], exec
	s_and_b64 s[44:45], s[40:41], exec
	s_or_b64 s[44:45], s[8:9], s[44:45]
	s_andn2_b64 s[8:9], s[36:37], exec
	s_and_b64 s[36:37], s[6:7], exec
	s_or_b64 s[36:37], s[8:9], s[36:37]
	s_andn2_b64 exec, exec, s[34:35]
	s_cbranch_execz .LBB1361_748
.LBB1361_746:                           ; =>This Inner Loop Header: Depth=1
	global_load_ushort v22, v[8:9], off
	global_load_ushort v23, v[10:11], off
	s_andn2_b64 s[46:47], s[6:7], exec
	s_andn2_b64 s[40:41], s[40:41], exec
	s_or_b64 s[38:39], s[38:39], exec
	s_waitcnt vmcnt(0)
	v_cmp_le_u16_e64 s[6:7], v22, v23
	v_cmp_lt_u16_e32 vcc, v22, v23
	s_and_b64 s[6:7], s[6:7], s[44:45]
	s_or_b64 s[48:49], vcc, s[6:7]
	s_and_b64 s[6:7], s[48:49], exec
	v_cmp_eq_u16_e64 s[8:9], v22, v23
	s_or_b64 s[6:7], s[46:47], s[6:7]
	s_and_saveexec_b64 s[46:47], s[8:9]
	s_cbranch_execz .LBB1361_745
; %bb.747:                              ;   in Loop: Header=BB1361_746 Depth=1
	s_add_u32 s42, s42, -1
	s_addc_u32 s43, s43, -1
	v_add_co_u32_e32 v8, vcc, 2, v8
	s_cmp_eq_u64 s[42:43], 0
	v_addc_co_u32_e32 v9, vcc, 0, v9, vcc
	s_cselect_b64 s[8:9], -1, 0
	v_add_co_u32_e32 v10, vcc, 2, v10
	s_andn2_b64 s[40:41], s[40:41], exec
	s_and_b64 s[44:45], s[48:49], exec
	s_andn2_b64 s[38:39], s[38:39], exec
	s_and_b64 s[8:9], s[8:9], exec
	v_addc_co_u32_e32 v11, vcc, 0, v11, vcc
	s_or_b64 s[40:41], s[40:41], s[44:45]
	s_andn2_b64 s[6:7], s[6:7], exec
	s_or_b64 s[38:39], s[38:39], s[8:9]
                                        ; implicit-def: $sgpr44_sgpr45
	s_branch .LBB1361_745
.LBB1361_748:
	s_or_b64 exec, exec, s[34:35]
	v_cndmask_b32_e64 v7, v7, v5, s[36:37]
	v_cndmask_b32_e64 v6, v6, v4, s[36:37]
.LBB1361_749:
	v_pk_mov_b32 v[4:5], v[6:7], v[6:7] op_sel:[0,1]
.LBB1361_750:
	s_or_b64 exec, exec, s[30:31]
	v_pk_mov_b32 v[6:7], v[4:5], v[4:5] op_sel:[0,1]
.LBB1361_751:
	s_or_b64 exec, exec, s[28:29]
	v_cndmask_b32_e64 v1, v3, v1, s[12:13]
	v_cndmask_b32_e64 v0, v2, v0, s[12:13]
	;; [unrolled: 1-line block ×6, first 2 shown]
.LBB1361_752:
	s_or_b64 exec, exec, s[10:11]
	v_and_b32_e32 v23, 0x1c0, v20
	v_or_b32_e32 v8, 32, v23
	; wave barrier
	ds_write_b128 v21, v[0:3]
	ds_write_b128 v21, v[4:7] offset:16
	v_min_u32_e32 v21, v19, v8
	v_add_u32_e32 v8, 32, v21
	v_min_u32_e32 v22, v19, v8
	v_and_b32_e32 v8, 60, v20
	v_min_u32_e32 v24, v19, v8
	v_sub_u32_e32 v8, v21, v23
	v_sub_u32_e32 v9, v22, v21
	v_sub_u32_e64 v20, v24, v9 clamp
	v_min_u32_e32 v25, v24, v8
	v_lshl_add_u32 v19, v23, 3, v18
	v_cmp_lt_u32_e32 vcc, v20, v25
	; wave barrier
	s_and_saveexec_b64 s[12:13], vcc
	s_cbranch_execz .LBB1361_762
; %bb.753:
	v_lshlrev_b32_e32 v8, 3, v21
	v_lshlrev_b32_e32 v9, 3, v24
	v_add3_u32 v28, v18, v8, v9
	v_cndmask_b32_e64 v8, 0, 1, s[22:23]
	s_lshl_b64 s[26:27], s[16:17], 1
	s_mov_b64 s[14:15], 0
	v_cmp_ne_u32_e64 s[6:7], 1, v8
	s_branch .LBB1361_756
.LBB1361_754:                           ;   in Loop: Header=BB1361_756 Depth=1
	s_or_b64 exec, exec, s[30:31]
.LBB1361_755:                           ;   in Loop: Header=BB1361_756 Depth=1
	v_add_u32_e32 v8, 1, v29
	v_cndmask_b32_e64 v25, v25, v29, s[28:29]
	v_cndmask_b32_e64 v20, v8, v20, s[28:29]
	v_cmp_ge_u32_e32 vcc, v20, v25
	s_or_b64 s[14:15], vcc, s[14:15]
	s_andn2_b64 exec, exec, s[14:15]
	s_cbranch_execz .LBB1361_761
.LBB1361_756:                           ; =>This Loop Header: Depth=1
                                        ;     Child Loop BB1361_759 Depth 2
	v_add_u32_e32 v8, v25, v20
	v_lshrrev_b32_e32 v29, 1, v8
	s_and_b64 vcc, exec, s[6:7]
	s_mov_b64 s[28:29], 0
	s_cbranch_vccnz .LBB1361_755
; %bb.757:                              ;   in Loop: Header=BB1361_756 Depth=1
	v_not_b32_e32 v8, v29
	v_lshl_add_u32 v8, v8, 3, v28
	ds_read_b64 v[8:9], v8
	v_lshl_add_u32 v30, v29, 3, v19
	ds_read_b64 v[30:31], v30
	v_pk_mov_b32 v[10:11], s[18:19], s[18:19] op_sel:[0,1]
	s_mov_b64 s[30:31], 0
	s_waitcnt lgkmcnt(1)
	v_mul_lo_u32 v32, s26, v9
	v_mul_lo_u32 v33, s27, v8
	v_mad_u64_u32 v[8:9], s[8:9], s26, v8, v[10:11]
	v_add3_u32 v9, v33, v9, v32
	s_waitcnt lgkmcnt(0)
	v_mul_lo_u32 v31, s26, v31
	v_mul_lo_u32 v32, s27, v30
	v_mad_u64_u32 v[10:11], s[8:9], s26, v30, v[10:11]
	v_add3_u32 v11, v32, v11, v31
	s_mov_b64 s[38:39], s[16:17]
                                        ; implicit-def: $sgpr28_sgpr29
                                        ; implicit-def: $sgpr34_sgpr35
                                        ; implicit-def: $sgpr36_sgpr37
                                        ; implicit-def: $sgpr8_sgpr9
                                        ; implicit-def: $sgpr40_sgpr41
	s_branch .LBB1361_759
.LBB1361_758:                           ;   in Loop: Header=BB1361_759 Depth=2
	s_or_b64 exec, exec, s[42:43]
	s_and_b64 s[10:11], exec, s[34:35]
	s_or_b64 s[30:31], s[10:11], s[30:31]
	s_andn2_b64 s[10:11], s[40:41], exec
	s_and_b64 s[40:41], s[36:37], exec
	s_or_b64 s[40:41], s[10:11], s[40:41]
	s_andn2_b64 s[10:11], s[28:29], exec
	s_and_b64 s[28:29], s[8:9], exec
	s_or_b64 s[28:29], s[10:11], s[28:29]
	s_andn2_b64 exec, exec, s[30:31]
	s_cbranch_execz .LBB1361_754
.LBB1361_759:                           ;   Parent Loop BB1361_756 Depth=1
                                        ; =>  This Inner Loop Header: Depth=2
	global_load_ushort v30, v[8:9], off
	global_load_ushort v31, v[10:11], off
	s_andn2_b64 s[42:43], s[8:9], exec
	s_andn2_b64 s[36:37], s[36:37], exec
	s_or_b64 s[34:35], s[34:35], exec
	s_waitcnt vmcnt(0)
	v_cmp_le_u16_e64 s[8:9], v30, v31
	v_cmp_lt_u16_e32 vcc, v30, v31
	s_and_b64 s[8:9], s[8:9], s[40:41]
	s_or_b64 s[44:45], vcc, s[8:9]
	s_and_b64 s[8:9], s[44:45], exec
	v_cmp_eq_u16_e64 s[10:11], v30, v31
	s_or_b64 s[8:9], s[42:43], s[8:9]
	s_and_saveexec_b64 s[42:43], s[10:11]
	s_cbranch_execz .LBB1361_758
; %bb.760:                              ;   in Loop: Header=BB1361_759 Depth=2
	s_add_u32 s38, s38, -1
	s_addc_u32 s39, s39, -1
	v_add_co_u32_e32 v8, vcc, 2, v8
	s_cmp_eq_u64 s[38:39], 0
	v_addc_co_u32_e32 v9, vcc, 0, v9, vcc
	s_cselect_b64 s[10:11], -1, 0
	v_add_co_u32_e32 v10, vcc, 2, v10
	s_andn2_b64 s[36:37], s[36:37], exec
	s_and_b64 s[40:41], s[44:45], exec
	s_andn2_b64 s[34:35], s[34:35], exec
	s_and_b64 s[10:11], s[10:11], exec
	v_addc_co_u32_e32 v11, vcc, 0, v11, vcc
	s_andn2_b64 s[8:9], s[8:9], exec
	s_or_b64 s[36:37], s[36:37], s[40:41]
	s_or_b64 s[34:35], s[34:35], s[10:11]
                                        ; implicit-def: $sgpr40_sgpr41
	s_branch .LBB1361_758
.LBB1361_761:
	s_or_b64 exec, exec, s[14:15]
.LBB1361_762:
	s_or_b64 exec, exec, s[12:13]
	v_add_u32_e32 v9, v21, v24
	v_add_u32_e32 v8, v20, v23
	v_sub_u32_e32 v9, v9, v20
	v_cmp_le_u32_e32 vcc, v8, v21
	v_cmp_le_u32_e64 s[6:7], v9, v22
	s_or_b64 s[6:7], vcc, s[6:7]
	s_and_saveexec_b64 s[10:11], s[6:7]
	s_cbranch_execz .LBB1361_809
; %bb.763:
	v_cmp_ge_u32_e32 vcc, v8, v21
	v_cmp_lt_u32_e64 s[6:7], v8, v21
                                        ; implicit-def: $vgpr0_vgpr1
	s_and_saveexec_b64 s[8:9], s[6:7]
	s_cbranch_execz .LBB1361_765
; %bb.764:
	v_lshl_add_u32 v0, v20, 3, v19
	ds_read_b64 v[0:1], v0
.LBB1361_765:
	s_or_b64 exec, exec, s[8:9]
	v_cmp_ge_u32_e64 s[12:13], v9, v22
	v_cmp_lt_u32_e64 s[6:7], v9, v22
                                        ; implicit-def: $vgpr2_vgpr3
	s_and_saveexec_b64 s[8:9], s[6:7]
	s_cbranch_execz .LBB1361_767
; %bb.766:
	v_lshl_add_u32 v2, v9, 3, v18
	ds_read_b64 v[2:3], v2
.LBB1361_767:
	s_or_b64 exec, exec, s[8:9]
	s_or_b64 s[6:7], vcc, s[12:13]
	s_mov_b64 s[14:15], -1
	s_xor_b64 s[6:7], s[6:7], -1
	s_and_saveexec_b64 s[26:27], s[6:7]
	s_cbranch_execz .LBB1361_776
; %bb.768:
	s_andn2_b64 vcc, exec, s[22:23]
	s_cbranch_vccnz .LBB1361_774
; %bb.769:
	s_waitcnt lgkmcnt(0)
	v_mul_lo_u32 v6, v3, s16
	v_mul_lo_u32 v7, v2, s17
	v_mad_u64_u32 v[4:5], s[6:7], v2, s16, 0
	v_add3_u32 v5, v5, v7, v6
	v_lshlrev_b64 v[4:5], 1, v[4:5]
	v_mov_b32_e32 v6, s19
	v_add_co_u32_e32 v4, vcc, s18, v4
	v_addc_co_u32_e32 v5, vcc, v6, v5, vcc
	v_mul_lo_u32 v10, v1, s16
	v_mul_lo_u32 v11, v0, s17
	v_mad_u64_u32 v[6:7], s[6:7], v0, s16, 0
	v_add3_u32 v7, v7, v11, v10
	v_lshlrev_b64 v[6:7], 1, v[6:7]
	v_mov_b32_e32 v10, s19
	v_add_co_u32_e32 v6, vcc, s18, v6
	v_addc_co_u32_e32 v7, vcc, v10, v7, vcc
	s_mov_b64 s[28:29], 0
	s_mov_b64 s[38:39], s[16:17]
                                        ; implicit-def: $sgpr30_sgpr31
                                        ; implicit-def: $sgpr34_sgpr35
                                        ; implicit-def: $sgpr6_sgpr7
                                        ; implicit-def: $sgpr36_sgpr37
                                        ; implicit-def: $sgpr40_sgpr41
	s_branch .LBB1361_771
.LBB1361_770:                           ;   in Loop: Header=BB1361_771 Depth=1
	s_or_b64 exec, exec, s[42:43]
	s_and_b64 s[8:9], exec, s[34:35]
	s_or_b64 s[28:29], s[8:9], s[28:29]
	s_andn2_b64 s[8:9], s[40:41], exec
	s_and_b64 s[40:41], s[36:37], exec
	s_or_b64 s[40:41], s[8:9], s[40:41]
	s_andn2_b64 s[8:9], s[30:31], exec
	s_and_b64 s[30:31], s[6:7], exec
	s_or_b64 s[30:31], s[8:9], s[30:31]
	s_andn2_b64 exec, exec, s[28:29]
	s_cbranch_execz .LBB1361_773
.LBB1361_771:                           ; =>This Inner Loop Header: Depth=1
	global_load_ushort v10, v[4:5], off
	global_load_ushort v11, v[6:7], off
	s_andn2_b64 s[42:43], s[6:7], exec
	s_andn2_b64 s[36:37], s[36:37], exec
	s_or_b64 s[34:35], s[34:35], exec
	s_waitcnt vmcnt(0)
	v_cmp_le_u16_e64 s[6:7], v10, v11
	v_cmp_lt_u16_e32 vcc, v10, v11
	s_and_b64 s[6:7], s[6:7], s[40:41]
	s_or_b64 s[44:45], vcc, s[6:7]
	s_and_b64 s[6:7], s[44:45], exec
	v_cmp_eq_u16_e64 s[8:9], v10, v11
	s_or_b64 s[6:7], s[42:43], s[6:7]
	s_and_saveexec_b64 s[42:43], s[8:9]
	s_cbranch_execz .LBB1361_770
; %bb.772:                              ;   in Loop: Header=BB1361_771 Depth=1
	s_add_u32 s38, s38, -1
	s_addc_u32 s39, s39, -1
	v_add_co_u32_e32 v4, vcc, 2, v4
	s_cmp_eq_u64 s[38:39], 0
	v_addc_co_u32_e32 v5, vcc, 0, v5, vcc
	s_cselect_b64 s[8:9], -1, 0
	v_add_co_u32_e32 v6, vcc, 2, v6
	s_andn2_b64 s[36:37], s[36:37], exec
	s_and_b64 s[40:41], s[44:45], exec
	s_andn2_b64 s[34:35], s[34:35], exec
	s_and_b64 s[8:9], s[8:9], exec
	v_addc_co_u32_e32 v7, vcc, 0, v7, vcc
	s_or_b64 s[36:37], s[36:37], s[40:41]
	s_andn2_b64 s[6:7], s[6:7], exec
	s_or_b64 s[34:35], s[34:35], s[8:9]
                                        ; implicit-def: $sgpr40_sgpr41
	s_branch .LBB1361_770
.LBB1361_773:
	s_or_b64 exec, exec, s[28:29]
	s_xor_b64 s[6:7], s[30:31], -1
	s_branch .LBB1361_775
.LBB1361_774:
	s_mov_b64 s[6:7], -1
.LBB1361_775:
	s_andn2_b64 s[8:9], s[12:13], exec
	s_and_b64 s[6:7], s[6:7], exec
	s_or_b64 s[12:13], s[8:9], s[6:7]
.LBB1361_776:
	s_or_b64 exec, exec, s[26:27]
	v_cndmask_b32_e64 v4, v9, v8, s[12:13]
	v_cndmask_b32_e64 v5, v22, v21, s[12:13]
	v_add_u32_e32 v6, 1, v4
	v_add_u32_e32 v4, -1, v5
	v_min_u32_e32 v4, v6, v4
	v_lshl_add_u32 v4, v4, 3, v18
	ds_read_b64 v[4:5], v4
	v_cndmask_b32_e64 v9, v6, v9, s[12:13]
	v_cndmask_b32_e64 v8, v8, v6, s[12:13]
	v_cmp_lt_u32_e32 vcc, v9, v22
	s_waitcnt lgkmcnt(0)
	v_cndmask_b32_e64 v19, v5, v3, s[12:13]
	v_cndmask_b32_e64 v20, v4, v2, s[12:13]
	;; [unrolled: 1-line block ×4, first 2 shown]
	s_and_saveexec_b64 s[26:27], vcc
	s_cbranch_execz .LBB1361_787
; %bb.777:
	v_cmp_lt_u32_e32 vcc, v8, v21
	s_mov_b64 s[6:7], 0
	s_and_saveexec_b64 s[14:15], vcc
	s_cbranch_execz .LBB1361_786
; %bb.778:
	s_andn2_b64 vcc, exec, s[22:23]
	s_cbranch_vccnz .LBB1361_784
; %bb.779:
	v_mul_lo_u32 v6, v19, s16
	v_mul_lo_u32 v7, v20, s17
	v_mad_u64_u32 v[4:5], s[6:7], v20, s16, 0
	v_add3_u32 v5, v5, v7, v6
	v_lshlrev_b64 v[4:5], 1, v[4:5]
	v_mov_b32_e32 v6, s19
	v_add_co_u32_e32 v4, vcc, s18, v4
	v_addc_co_u32_e32 v5, vcc, v6, v5, vcc
	v_mul_lo_u32 v10, v23, s16
	v_mul_lo_u32 v11, v24, s17
	v_mad_u64_u32 v[6:7], s[6:7], v24, s16, 0
	v_add3_u32 v7, v7, v11, v10
	v_lshlrev_b64 v[6:7], 1, v[6:7]
	v_mov_b32_e32 v10, s19
	v_add_co_u32_e32 v6, vcc, s18, v6
	v_addc_co_u32_e32 v7, vcc, v10, v7, vcc
	s_mov_b64 s[28:29], 0
	s_mov_b64 s[38:39], s[16:17]
                                        ; implicit-def: $sgpr30_sgpr31
                                        ; implicit-def: $sgpr34_sgpr35
                                        ; implicit-def: $sgpr6_sgpr7
                                        ; implicit-def: $sgpr36_sgpr37
                                        ; implicit-def: $sgpr40_sgpr41
	s_branch .LBB1361_781
.LBB1361_780:                           ;   in Loop: Header=BB1361_781 Depth=1
	s_or_b64 exec, exec, s[42:43]
	s_and_b64 s[8:9], exec, s[34:35]
	s_or_b64 s[28:29], s[8:9], s[28:29]
	s_andn2_b64 s[8:9], s[40:41], exec
	s_and_b64 s[40:41], s[36:37], exec
	s_or_b64 s[40:41], s[8:9], s[40:41]
	s_andn2_b64 s[8:9], s[30:31], exec
	s_and_b64 s[30:31], s[6:7], exec
	s_or_b64 s[30:31], s[8:9], s[30:31]
	s_andn2_b64 exec, exec, s[28:29]
	s_cbranch_execz .LBB1361_783
.LBB1361_781:                           ; =>This Inner Loop Header: Depth=1
	global_load_ushort v10, v[4:5], off
	global_load_ushort v11, v[6:7], off
	s_andn2_b64 s[42:43], s[6:7], exec
	s_andn2_b64 s[36:37], s[36:37], exec
	s_or_b64 s[34:35], s[34:35], exec
	s_waitcnt vmcnt(0)
	v_cmp_le_u16_e64 s[6:7], v10, v11
	v_cmp_lt_u16_e32 vcc, v10, v11
	s_and_b64 s[6:7], s[6:7], s[40:41]
	s_or_b64 s[44:45], vcc, s[6:7]
	s_and_b64 s[6:7], s[44:45], exec
	v_cmp_eq_u16_e64 s[8:9], v10, v11
	s_or_b64 s[6:7], s[42:43], s[6:7]
	s_and_saveexec_b64 s[42:43], s[8:9]
	s_cbranch_execz .LBB1361_780
; %bb.782:                              ;   in Loop: Header=BB1361_781 Depth=1
	s_add_u32 s38, s38, -1
	s_addc_u32 s39, s39, -1
	v_add_co_u32_e32 v4, vcc, 2, v4
	s_cmp_eq_u64 s[38:39], 0
	v_addc_co_u32_e32 v5, vcc, 0, v5, vcc
	s_cselect_b64 s[8:9], -1, 0
	v_add_co_u32_e32 v6, vcc, 2, v6
	s_andn2_b64 s[36:37], s[36:37], exec
	s_and_b64 s[40:41], s[44:45], exec
	s_andn2_b64 s[34:35], s[34:35], exec
	s_and_b64 s[8:9], s[8:9], exec
	v_addc_co_u32_e32 v7, vcc, 0, v7, vcc
	s_or_b64 s[36:37], s[36:37], s[40:41]
	s_andn2_b64 s[6:7], s[6:7], exec
	s_or_b64 s[34:35], s[34:35], s[8:9]
                                        ; implicit-def: $sgpr40_sgpr41
	s_branch .LBB1361_780
.LBB1361_783:
	s_or_b64 exec, exec, s[28:29]
	s_xor_b64 s[6:7], s[30:31], -1
	s_branch .LBB1361_785
.LBB1361_784:
	s_mov_b64 s[6:7], -1
.LBB1361_785:
	s_and_b64 s[6:7], s[6:7], exec
.LBB1361_786:
	s_or_b64 exec, exec, s[14:15]
	s_orn2_b64 s[14:15], s[6:7], exec
.LBB1361_787:
	s_or_b64 exec, exec, s[26:27]
	v_cndmask_b32_e64 v4, v9, v8, s[14:15]
	v_cndmask_b32_e64 v5, v22, v21, s[14:15]
	v_add_u32_e32 v6, 1, v4
	v_add_u32_e32 v4, -1, v5
	v_min_u32_e32 v4, v6, v4
	v_lshl_add_u32 v4, v4, 3, v18
	ds_read_b64 v[4:5], v4
	v_cndmask_b32_e64 v9, v6, v9, s[14:15]
	v_cndmask_b32_e64 v8, v8, v6, s[14:15]
	v_cmp_lt_u32_e32 vcc, v9, v22
	s_mov_b64 s[26:27], -1
	s_waitcnt lgkmcnt(0)
	v_cndmask_b32_e64 v25, v5, v19, s[14:15]
	v_cndmask_b32_e64 v28, v4, v20, s[14:15]
	v_cndmask_b32_e64 v29, v23, v5, s[14:15]
	v_cndmask_b32_e64 v30, v24, v4, s[14:15]
	s_and_saveexec_b64 s[28:29], vcc
	s_cbranch_execz .LBB1361_798
; %bb.788:
	v_cmp_lt_u32_e32 vcc, v8, v21
	s_mov_b64 s[6:7], 0
	s_and_saveexec_b64 s[26:27], vcc
	s_cbranch_execz .LBB1361_797
; %bb.789:
	s_andn2_b64 vcc, exec, s[22:23]
	s_cbranch_vccnz .LBB1361_795
; %bb.790:
	v_mul_lo_u32 v6, v25, s16
	v_mul_lo_u32 v7, v28, s17
	v_mad_u64_u32 v[4:5], s[6:7], v28, s16, 0
	v_add3_u32 v5, v5, v7, v6
	v_lshlrev_b64 v[4:5], 1, v[4:5]
	v_mov_b32_e32 v6, s19
	v_add_co_u32_e32 v4, vcc, s18, v4
	v_addc_co_u32_e32 v5, vcc, v6, v5, vcc
	v_mul_lo_u32 v10, v29, s16
	v_mul_lo_u32 v11, v30, s17
	v_mad_u64_u32 v[6:7], s[6:7], v30, s16, 0
	v_add3_u32 v7, v7, v11, v10
	v_lshlrev_b64 v[6:7], 1, v[6:7]
	v_mov_b32_e32 v10, s19
	v_add_co_u32_e32 v6, vcc, s18, v6
	v_addc_co_u32_e32 v7, vcc, v10, v7, vcc
	s_mov_b64 s[30:31], 0
	s_mov_b64 s[40:41], s[16:17]
                                        ; implicit-def: $sgpr34_sgpr35
                                        ; implicit-def: $sgpr36_sgpr37
                                        ; implicit-def: $sgpr6_sgpr7
                                        ; implicit-def: $sgpr38_sgpr39
                                        ; implicit-def: $sgpr42_sgpr43
	s_branch .LBB1361_792
.LBB1361_791:                           ;   in Loop: Header=BB1361_792 Depth=1
	s_or_b64 exec, exec, s[44:45]
	s_and_b64 s[8:9], exec, s[36:37]
	s_or_b64 s[30:31], s[8:9], s[30:31]
	s_andn2_b64 s[8:9], s[42:43], exec
	s_and_b64 s[42:43], s[38:39], exec
	s_or_b64 s[42:43], s[8:9], s[42:43]
	s_andn2_b64 s[8:9], s[34:35], exec
	s_and_b64 s[34:35], s[6:7], exec
	s_or_b64 s[34:35], s[8:9], s[34:35]
	s_andn2_b64 exec, exec, s[30:31]
	s_cbranch_execz .LBB1361_794
.LBB1361_792:                           ; =>This Inner Loop Header: Depth=1
	global_load_ushort v10, v[4:5], off
	global_load_ushort v11, v[6:7], off
	s_andn2_b64 s[44:45], s[6:7], exec
	s_andn2_b64 s[38:39], s[38:39], exec
	s_or_b64 s[36:37], s[36:37], exec
	s_waitcnt vmcnt(0)
	v_cmp_le_u16_e64 s[6:7], v10, v11
	v_cmp_lt_u16_e32 vcc, v10, v11
	s_and_b64 s[6:7], s[6:7], s[42:43]
	s_or_b64 s[46:47], vcc, s[6:7]
	s_and_b64 s[6:7], s[46:47], exec
	v_cmp_eq_u16_e64 s[8:9], v10, v11
	s_or_b64 s[6:7], s[44:45], s[6:7]
	s_and_saveexec_b64 s[44:45], s[8:9]
	s_cbranch_execz .LBB1361_791
; %bb.793:                              ;   in Loop: Header=BB1361_792 Depth=1
	s_add_u32 s40, s40, -1
	s_addc_u32 s41, s41, -1
	v_add_co_u32_e32 v4, vcc, 2, v4
	s_cmp_eq_u64 s[40:41], 0
	v_addc_co_u32_e32 v5, vcc, 0, v5, vcc
	s_cselect_b64 s[8:9], -1, 0
	v_add_co_u32_e32 v6, vcc, 2, v6
	s_andn2_b64 s[38:39], s[38:39], exec
	s_and_b64 s[42:43], s[46:47], exec
	s_andn2_b64 s[36:37], s[36:37], exec
	s_and_b64 s[8:9], s[8:9], exec
	v_addc_co_u32_e32 v7, vcc, 0, v7, vcc
	s_or_b64 s[38:39], s[38:39], s[42:43]
	s_andn2_b64 s[6:7], s[6:7], exec
	s_or_b64 s[36:37], s[36:37], s[8:9]
                                        ; implicit-def: $sgpr42_sgpr43
	s_branch .LBB1361_791
.LBB1361_794:
	s_or_b64 exec, exec, s[30:31]
	s_xor_b64 s[6:7], s[34:35], -1
	s_branch .LBB1361_796
.LBB1361_795:
	s_mov_b64 s[6:7], -1
.LBB1361_796:
	s_and_b64 s[6:7], s[6:7], exec
.LBB1361_797:
	s_or_b64 exec, exec, s[26:27]
	s_orn2_b64 s[26:27], s[6:7], exec
.LBB1361_798:
	s_or_b64 exec, exec, s[28:29]
	v_cndmask_b32_e64 v4, v9, v8, s[26:27]
	v_cndmask_b32_e64 v5, v22, v21, s[26:27]
	v_add_u32_e32 v10, 1, v4
	v_add_u32_e32 v4, -1, v5
	v_min_u32_e32 v4, v10, v4
	v_lshl_add_u32 v4, v4, 3, v18
	ds_read_b64 v[4:5], v4
	v_cndmask_b32_e64 v9, v10, v9, s[26:27]
	v_cmp_lt_u32_e32 vcc, v9, v22
	s_waitcnt lgkmcnt(0)
	v_cndmask_b32_e64 v7, v29, v5, s[26:27]
	v_cndmask_b32_e64 v6, v30, v4, s[26:27]
	s_and_saveexec_b64 s[28:29], vcc
	s_cbranch_execz .LBB1361_808
; %bb.799:
	v_cndmask_b32_e64 v8, v8, v10, s[26:27]
	v_cndmask_b32_e64 v5, v5, v25, s[26:27]
	;; [unrolled: 1-line block ×3, first 2 shown]
	v_cmp_lt_u32_e32 vcc, v8, v21
	s_and_saveexec_b64 s[30:31], vcc
	s_cbranch_execz .LBB1361_807
; %bb.800:
	s_andn2_b64 vcc, exec, s[22:23]
	s_cbranch_vccnz .LBB1361_806
; %bb.801:
	v_mul_lo_u32 v10, v5, s16
	v_mul_lo_u32 v11, v4, s17
	v_mad_u64_u32 v[8:9], s[6:7], v4, s16, 0
	v_add3_u32 v9, v9, v11, v10
	v_lshlrev_b64 v[8:9], 1, v[8:9]
	v_mov_b32_e32 v10, s19
	v_add_co_u32_e32 v8, vcc, s18, v8
	v_addc_co_u32_e32 v9, vcc, v10, v9, vcc
	v_mul_lo_u32 v18, v7, s16
	v_mul_lo_u32 v21, v6, s17
	v_mad_u64_u32 v[10:11], s[6:7], v6, s16, 0
	v_add3_u32 v11, v11, v21, v18
	v_lshlrev_b64 v[10:11], 1, v[10:11]
	v_mov_b32_e32 v18, s19
	v_add_co_u32_e32 v10, vcc, s18, v10
	v_addc_co_u32_e32 v11, vcc, v18, v11, vcc
	s_mov_b64 s[34:35], 0
	s_mov_b64 s[42:43], s[16:17]
                                        ; implicit-def: $sgpr36_sgpr37
                                        ; implicit-def: $sgpr38_sgpr39
                                        ; implicit-def: $sgpr6_sgpr7
                                        ; implicit-def: $sgpr40_sgpr41
                                        ; implicit-def: $sgpr44_sgpr45
	s_branch .LBB1361_803
.LBB1361_802:                           ;   in Loop: Header=BB1361_803 Depth=1
	s_or_b64 exec, exec, s[46:47]
	s_and_b64 s[8:9], exec, s[38:39]
	s_or_b64 s[34:35], s[8:9], s[34:35]
	s_andn2_b64 s[8:9], s[44:45], exec
	s_and_b64 s[44:45], s[40:41], exec
	s_or_b64 s[44:45], s[8:9], s[44:45]
	s_andn2_b64 s[8:9], s[36:37], exec
	s_and_b64 s[36:37], s[6:7], exec
	s_or_b64 s[36:37], s[8:9], s[36:37]
	s_andn2_b64 exec, exec, s[34:35]
	s_cbranch_execz .LBB1361_805
.LBB1361_803:                           ; =>This Inner Loop Header: Depth=1
	global_load_ushort v18, v[8:9], off
	global_load_ushort v21, v[10:11], off
	s_andn2_b64 s[46:47], s[6:7], exec
	s_andn2_b64 s[40:41], s[40:41], exec
	s_or_b64 s[38:39], s[38:39], exec
	s_waitcnt vmcnt(0)
	v_cmp_le_u16_e64 s[6:7], v18, v21
	v_cmp_lt_u16_e32 vcc, v18, v21
	s_and_b64 s[6:7], s[6:7], s[44:45]
	s_or_b64 s[48:49], vcc, s[6:7]
	s_and_b64 s[6:7], s[48:49], exec
	v_cmp_eq_u16_e64 s[8:9], v18, v21
	s_or_b64 s[6:7], s[46:47], s[6:7]
	s_and_saveexec_b64 s[46:47], s[8:9]
	s_cbranch_execz .LBB1361_802
; %bb.804:                              ;   in Loop: Header=BB1361_803 Depth=1
	s_add_u32 s42, s42, -1
	s_addc_u32 s43, s43, -1
	v_add_co_u32_e32 v8, vcc, 2, v8
	s_cmp_eq_u64 s[42:43], 0
	v_addc_co_u32_e32 v9, vcc, 0, v9, vcc
	s_cselect_b64 s[8:9], -1, 0
	v_add_co_u32_e32 v10, vcc, 2, v10
	s_andn2_b64 s[40:41], s[40:41], exec
	s_and_b64 s[44:45], s[48:49], exec
	s_andn2_b64 s[38:39], s[38:39], exec
	s_and_b64 s[8:9], s[8:9], exec
	v_addc_co_u32_e32 v11, vcc, 0, v11, vcc
	s_or_b64 s[40:41], s[40:41], s[44:45]
	s_andn2_b64 s[6:7], s[6:7], exec
	s_or_b64 s[38:39], s[38:39], s[8:9]
                                        ; implicit-def: $sgpr44_sgpr45
	s_branch .LBB1361_802
.LBB1361_805:
	s_or_b64 exec, exec, s[34:35]
	v_cndmask_b32_e64 v7, v7, v5, s[36:37]
	v_cndmask_b32_e64 v6, v6, v4, s[36:37]
.LBB1361_806:
	v_pk_mov_b32 v[4:5], v[6:7], v[6:7] op_sel:[0,1]
.LBB1361_807:
	s_or_b64 exec, exec, s[30:31]
	v_pk_mov_b32 v[6:7], v[4:5], v[4:5] op_sel:[0,1]
.LBB1361_808:
	s_or_b64 exec, exec, s[28:29]
	v_cndmask_b32_e64 v1, v3, v1, s[12:13]
	v_cndmask_b32_e64 v0, v2, v0, s[12:13]
	;; [unrolled: 1-line block ×6, first 2 shown]
.LBB1361_809:
	s_or_b64 exec, exec, s[10:11]
	s_cmpk_lt_u32 s33, 0x41
	; wave barrier
	s_waitcnt lgkmcnt(0)
	s_barrier
	s_cbranch_scc1 .LBB1361_869
; %bb.810:
	v_cndmask_b32_e64 v8, 0, 1, s[22:23]
	v_lshlrev_b32_e32 v18, 3, v27
	s_lshl_b64 s[12:13], s[16:17], 1
	s_mov_b32 s52, 64
	v_cmp_ne_u32_e64 s[6:7], 1, v8
	s_branch .LBB1361_816
.LBB1361_811:                           ;   in Loop: Header=BB1361_816 Depth=1
	s_or_b64 exec, exec, s[36:37]
	v_cndmask_b32_e64 v7, v7, v5, s[38:39]
	v_cndmask_b32_e64 v6, v6, v4, s[38:39]
.LBB1361_812:                           ;   in Loop: Header=BB1361_816 Depth=1
	v_pk_mov_b32 v[4:5], v[6:7], v[6:7] op_sel:[0,1]
.LBB1361_813:                           ;   in Loop: Header=BB1361_816 Depth=1
	s_or_b64 exec, exec, s[34:35]
	v_pk_mov_b32 v[6:7], v[4:5], v[4:5] op_sel:[0,1]
.LBB1361_814:                           ;   in Loop: Header=BB1361_816 Depth=1
	s_or_b64 exec, exec, s[30:31]
	v_cndmask_b32_e64 v1, v3, v1, s[22:23]
	v_cndmask_b32_e64 v0, v2, v0, s[22:23]
	;; [unrolled: 1-line block ×6, first 2 shown]
.LBB1361_815:                           ;   in Loop: Header=BB1361_816 Depth=1
	s_or_b64 exec, exec, s[14:15]
	s_cmp_lt_u32 s52, s33
	s_barrier
	s_cbranch_scc0 .LBB1361_869
.LBB1361_816:                           ; =>This Loop Header: Depth=1
                                        ;     Child Loop BB1361_820 Depth 2
                                        ;       Child Loop BB1361_823 Depth 3
                                        ;     Child Loop BB1361_835 Depth 2
                                        ;     Child Loop BB1361_845 Depth 2
	;; [unrolled: 1-line block ×4, first 2 shown]
	s_mov_b32 s8, s52
	s_lshl_b32 s52, s52, 1
	s_sub_i32 s10, 0, s52
	v_and_b32_e32 v23, s10, v27
	v_add_u32_e32 v8, s8, v23
	v_min_u32_e32 v19, s33, v8
	s_add_i32 s9, s52, -1
	v_add_u32_e32 v8, s8, v19
	v_min_u32_e32 v20, s33, v8
	v_and_b32_e32 v8, s9, v27
	v_min_u32_e32 v24, s33, v8
	v_sub_u32_e32 v8, v19, v23
	v_sub_u32_e32 v9, v20, v19
	v_sub_u32_e64 v22, v24, v9 clamp
	v_min_u32_e32 v25, v24, v8
	v_lshlrev_b32_e32 v21, 3, v23
	v_cmp_lt_u32_e32 vcc, v22, v25
	ds_write_b128 v18, v[0:3]
	ds_write_b128 v18, v[4:7] offset:16
	s_waitcnt lgkmcnt(0)
	s_barrier
	s_and_saveexec_b64 s[14:15], vcc
	s_cbranch_execz .LBB1361_826
; %bb.817:                              ;   in Loop: Header=BB1361_816 Depth=1
	v_lshlrev_b32_e32 v8, 3, v24
	v_lshl_add_u32 v28, v19, 3, v8
	s_mov_b64 s[22:23], 0
	s_branch .LBB1361_820
.LBB1361_818:                           ;   in Loop: Header=BB1361_820 Depth=2
	s_or_b64 exec, exec, s[28:29]
.LBB1361_819:                           ;   in Loop: Header=BB1361_820 Depth=2
	v_add_u32_e32 v8, 1, v29
	v_cndmask_b32_e64 v25, v25, v29, s[26:27]
	v_cndmask_b32_e64 v22, v8, v22, s[26:27]
	v_cmp_ge_u32_e32 vcc, v22, v25
	s_or_b64 s[22:23], vcc, s[22:23]
	s_andn2_b64 exec, exec, s[22:23]
	s_cbranch_execz .LBB1361_825
.LBB1361_820:                           ;   Parent Loop BB1361_816 Depth=1
                                        ; =>  This Loop Header: Depth=2
                                        ;       Child Loop BB1361_823 Depth 3
	v_add_u32_e32 v8, v25, v22
	v_lshrrev_b32_e32 v29, 1, v8
	s_and_b64 vcc, exec, s[6:7]
	s_mov_b64 s[26:27], 0
	s_cbranch_vccnz .LBB1361_819
; %bb.821:                              ;   in Loop: Header=BB1361_820 Depth=2
	v_not_b32_e32 v8, v29
	v_lshl_add_u32 v8, v8, 3, v28
	ds_read_b64 v[8:9], v8
	v_lshl_add_u32 v30, v29, 3, v21
	ds_read_b64 v[30:31], v30
	v_pk_mov_b32 v[10:11], s[18:19], s[18:19] op_sel:[0,1]
	s_mov_b64 s[28:29], 0
	s_waitcnt lgkmcnt(1)
	v_mul_lo_u32 v32, s12, v9
	v_mul_lo_u32 v33, s13, v8
	v_mad_u64_u32 v[8:9], s[8:9], s12, v8, v[10:11]
	v_add3_u32 v9, v33, v9, v32
	s_waitcnt lgkmcnt(0)
	v_mul_lo_u32 v31, s12, v31
	v_mul_lo_u32 v32, s13, v30
	v_mad_u64_u32 v[10:11], s[8:9], s12, v30, v[10:11]
	v_add3_u32 v11, v32, v11, v31
	s_mov_b64 s[36:37], s[16:17]
                                        ; implicit-def: $sgpr26_sgpr27
                                        ; implicit-def: $sgpr30_sgpr31
                                        ; implicit-def: $sgpr34_sgpr35
                                        ; implicit-def: $sgpr8_sgpr9
                                        ; implicit-def: $sgpr38_sgpr39
	s_branch .LBB1361_823
.LBB1361_822:                           ;   in Loop: Header=BB1361_823 Depth=3
	s_or_b64 exec, exec, s[40:41]
	s_and_b64 s[10:11], exec, s[30:31]
	s_or_b64 s[28:29], s[10:11], s[28:29]
	s_andn2_b64 s[10:11], s[38:39], exec
	s_and_b64 s[38:39], s[34:35], exec
	s_or_b64 s[38:39], s[10:11], s[38:39]
	s_andn2_b64 s[10:11], s[26:27], exec
	s_and_b64 s[26:27], s[8:9], exec
	s_or_b64 s[26:27], s[10:11], s[26:27]
	s_andn2_b64 exec, exec, s[28:29]
	s_cbranch_execz .LBB1361_818
.LBB1361_823:                           ;   Parent Loop BB1361_816 Depth=1
                                        ;     Parent Loop BB1361_820 Depth=2
                                        ; =>    This Inner Loop Header: Depth=3
	global_load_ushort v30, v[8:9], off
	global_load_ushort v31, v[10:11], off
	s_andn2_b64 s[40:41], s[8:9], exec
	s_andn2_b64 s[34:35], s[34:35], exec
	s_or_b64 s[30:31], s[30:31], exec
	s_waitcnt vmcnt(0)
	v_cmp_le_u16_e64 s[8:9], v30, v31
	v_cmp_lt_u16_e32 vcc, v30, v31
	s_and_b64 s[8:9], s[8:9], s[38:39]
	s_or_b64 s[42:43], vcc, s[8:9]
	s_and_b64 s[8:9], s[42:43], exec
	v_cmp_eq_u16_e64 s[10:11], v30, v31
	s_or_b64 s[8:9], s[40:41], s[8:9]
	s_and_saveexec_b64 s[40:41], s[10:11]
	s_cbranch_execz .LBB1361_822
; %bb.824:                              ;   in Loop: Header=BB1361_823 Depth=3
	s_add_u32 s36, s36, -1
	s_addc_u32 s37, s37, -1
	v_add_co_u32_e32 v8, vcc, 2, v8
	s_cmp_eq_u64 s[36:37], 0
	v_addc_co_u32_e32 v9, vcc, 0, v9, vcc
	s_cselect_b64 s[10:11], -1, 0
	v_add_co_u32_e32 v10, vcc, 2, v10
	s_andn2_b64 s[34:35], s[34:35], exec
	s_and_b64 s[38:39], s[42:43], exec
	s_andn2_b64 s[30:31], s[30:31], exec
	s_and_b64 s[10:11], s[10:11], exec
	v_addc_co_u32_e32 v11, vcc, 0, v11, vcc
	s_andn2_b64 s[8:9], s[8:9], exec
	s_or_b64 s[34:35], s[34:35], s[38:39]
	s_or_b64 s[30:31], s[30:31], s[10:11]
                                        ; implicit-def: $sgpr38_sgpr39
	s_branch .LBB1361_822
.LBB1361_825:                           ;   in Loop: Header=BB1361_816 Depth=1
	s_or_b64 exec, exec, s[22:23]
.LBB1361_826:                           ;   in Loop: Header=BB1361_816 Depth=1
	s_or_b64 exec, exec, s[14:15]
	v_sub_u32_e32 v9, v24, v22
	v_add_u32_e32 v8, v22, v23
	v_add_u32_e32 v9, v9, v19
	v_cmp_le_u32_e32 vcc, v8, v19
	v_cmp_le_u32_e64 s[8:9], v9, v20
	s_or_b64 s[8:9], vcc, s[8:9]
	s_and_saveexec_b64 s[14:15], s[8:9]
	s_cbranch_execz .LBB1361_815
; %bb.827:                              ;   in Loop: Header=BB1361_816 Depth=1
	v_cmp_ge_u32_e32 vcc, v8, v19
	v_cmp_lt_u32_e64 s[8:9], v8, v19
                                        ; implicit-def: $vgpr0_vgpr1
	s_and_saveexec_b64 s[10:11], s[8:9]
	s_cbranch_execz .LBB1361_829
; %bb.828:                              ;   in Loop: Header=BB1361_816 Depth=1
	v_lshl_add_u32 v0, v22, 3, v21
	ds_read_b64 v[0:1], v0
.LBB1361_829:                           ;   in Loop: Header=BB1361_816 Depth=1
	s_or_b64 exec, exec, s[10:11]
	v_cmp_ge_u32_e64 s[22:23], v9, v20
	v_cmp_lt_u32_e64 s[8:9], v9, v20
                                        ; implicit-def: $vgpr2_vgpr3
	s_and_saveexec_b64 s[10:11], s[8:9]
	s_cbranch_execz .LBB1361_831
; %bb.830:                              ;   in Loop: Header=BB1361_816 Depth=1
	v_lshlrev_b32_e32 v2, 3, v9
	ds_read_b64 v[2:3], v2
.LBB1361_831:                           ;   in Loop: Header=BB1361_816 Depth=1
	s_or_b64 exec, exec, s[10:11]
	s_or_b64 s[8:9], vcc, s[22:23]
	s_xor_b64 s[8:9], s[8:9], -1
	s_and_saveexec_b64 s[26:27], s[8:9]
	s_cbranch_execz .LBB1361_840
; %bb.832:                              ;   in Loop: Header=BB1361_816 Depth=1
	s_and_b64 vcc, exec, s[6:7]
	s_cbranch_vccnz .LBB1361_838
; %bb.833:                              ;   in Loop: Header=BB1361_816 Depth=1
	v_pk_mov_b32 v[6:7], s[18:19], s[18:19] op_sel:[0,1]
	s_waitcnt lgkmcnt(0)
	v_mad_u64_u32 v[4:5], s[8:9], s12, v2, v[6:7]
	v_mul_lo_u32 v10, s12, v3
	v_mul_lo_u32 v11, s13, v2
	v_add3_u32 v5, v11, v5, v10
	v_mad_u64_u32 v[6:7], s[8:9], s12, v0, v[6:7]
	v_mul_lo_u32 v10, s12, v1
	v_mul_lo_u32 v11, s13, v0
	v_add3_u32 v7, v11, v7, v10
	s_mov_b64 s[28:29], 0
	s_mov_b64 s[38:39], s[16:17]
                                        ; implicit-def: $sgpr30_sgpr31
                                        ; implicit-def: $sgpr34_sgpr35
                                        ; implicit-def: $sgpr8_sgpr9
                                        ; implicit-def: $sgpr36_sgpr37
                                        ; implicit-def: $sgpr40_sgpr41
	s_branch .LBB1361_835
.LBB1361_834:                           ;   in Loop: Header=BB1361_835 Depth=2
	s_or_b64 exec, exec, s[42:43]
	s_and_b64 s[10:11], exec, s[34:35]
	s_or_b64 s[28:29], s[10:11], s[28:29]
	s_andn2_b64 s[10:11], s[40:41], exec
	s_and_b64 s[40:41], s[36:37], exec
	s_or_b64 s[40:41], s[10:11], s[40:41]
	s_andn2_b64 s[10:11], s[30:31], exec
	s_and_b64 s[30:31], s[8:9], exec
	s_or_b64 s[30:31], s[10:11], s[30:31]
	s_andn2_b64 exec, exec, s[28:29]
	s_cbranch_execz .LBB1361_837
.LBB1361_835:                           ;   Parent Loop BB1361_816 Depth=1
                                        ; =>  This Inner Loop Header: Depth=2
	global_load_ushort v10, v[4:5], off
	global_load_ushort v11, v[6:7], off
	s_andn2_b64 s[42:43], s[8:9], exec
	s_andn2_b64 s[36:37], s[36:37], exec
	s_or_b64 s[34:35], s[34:35], exec
	s_waitcnt vmcnt(0)
	v_cmp_le_u16_e64 s[8:9], v10, v11
	v_cmp_lt_u16_e32 vcc, v10, v11
	s_and_b64 s[8:9], s[8:9], s[40:41]
	s_or_b64 s[44:45], vcc, s[8:9]
	s_and_b64 s[8:9], s[44:45], exec
	v_cmp_eq_u16_e64 s[10:11], v10, v11
	s_or_b64 s[8:9], s[42:43], s[8:9]
	s_and_saveexec_b64 s[42:43], s[10:11]
	s_cbranch_execz .LBB1361_834
; %bb.836:                              ;   in Loop: Header=BB1361_835 Depth=2
	s_add_u32 s38, s38, -1
	s_addc_u32 s39, s39, -1
	v_add_co_u32_e32 v4, vcc, 2, v4
	s_cmp_eq_u64 s[38:39], 0
	v_addc_co_u32_e32 v5, vcc, 0, v5, vcc
	s_cselect_b64 s[10:11], -1, 0
	v_add_co_u32_e32 v6, vcc, 2, v6
	s_andn2_b64 s[36:37], s[36:37], exec
	s_and_b64 s[40:41], s[44:45], exec
	s_andn2_b64 s[34:35], s[34:35], exec
	s_and_b64 s[10:11], s[10:11], exec
	v_addc_co_u32_e32 v7, vcc, 0, v7, vcc
	s_or_b64 s[36:37], s[36:37], s[40:41]
	s_andn2_b64 s[8:9], s[8:9], exec
	s_or_b64 s[34:35], s[34:35], s[10:11]
                                        ; implicit-def: $sgpr40_sgpr41
	s_branch .LBB1361_834
.LBB1361_837:                           ;   in Loop: Header=BB1361_816 Depth=1
	s_or_b64 exec, exec, s[28:29]
	s_xor_b64 s[8:9], s[30:31], -1
	s_branch .LBB1361_839
.LBB1361_838:                           ;   in Loop: Header=BB1361_816 Depth=1
	s_mov_b64 s[8:9], -1
.LBB1361_839:                           ;   in Loop: Header=BB1361_816 Depth=1
	s_andn2_b64 s[10:11], s[22:23], exec
	s_and_b64 s[8:9], s[8:9], exec
	s_or_b64 s[22:23], s[10:11], s[8:9]
.LBB1361_840:                           ;   in Loop: Header=BB1361_816 Depth=1
	s_or_b64 exec, exec, s[26:27]
	v_cndmask_b32_e64 v4, v9, v8, s[22:23]
	v_cndmask_b32_e64 v5, v20, v19, s[22:23]
	v_add_u32_e32 v6, 1, v4
	v_add_u32_e32 v4, -1, v5
	v_min_u32_e32 v4, v6, v4
	v_lshlrev_b32_e32 v4, 3, v4
	ds_read_b64 v[4:5], v4
	v_cndmask_b32_e64 v9, v6, v9, s[22:23]
	v_cndmask_b32_e64 v8, v8, v6, s[22:23]
	v_cmp_lt_u32_e32 vcc, v9, v20
	s_mov_b64 s[26:27], -1
	s_waitcnt lgkmcnt(0)
	v_cndmask_b32_e64 v21, v5, v3, s[22:23]
	v_cndmask_b32_e64 v22, v4, v2, s[22:23]
	;; [unrolled: 1-line block ×4, first 2 shown]
	s_mov_b64 s[28:29], -1
	s_and_saveexec_b64 s[30:31], vcc
	s_cbranch_execz .LBB1361_851
; %bb.841:                              ;   in Loop: Header=BB1361_816 Depth=1
	v_cmp_lt_u32_e32 vcc, v8, v19
	s_mov_b64 s[8:9], 0
	s_and_saveexec_b64 s[28:29], vcc
	s_cbranch_execz .LBB1361_850
; %bb.842:                              ;   in Loop: Header=BB1361_816 Depth=1
	s_and_b64 vcc, exec, s[6:7]
	s_cbranch_vccnz .LBB1361_848
; %bb.843:                              ;   in Loop: Header=BB1361_816 Depth=1
	v_pk_mov_b32 v[6:7], s[18:19], s[18:19] op_sel:[0,1]
	v_mad_u64_u32 v[4:5], s[8:9], s12, v22, v[6:7]
	v_mul_lo_u32 v10, s12, v21
	v_mul_lo_u32 v11, s13, v22
	v_add3_u32 v5, v11, v5, v10
	v_mad_u64_u32 v[6:7], s[8:9], s12, v24, v[6:7]
	v_mul_lo_u32 v10, s12, v23
	v_mul_lo_u32 v11, s13, v24
	v_add3_u32 v7, v11, v7, v10
	s_mov_b64 s[34:35], 0
	s_mov_b64 s[42:43], s[16:17]
                                        ; implicit-def: $sgpr36_sgpr37
                                        ; implicit-def: $sgpr38_sgpr39
                                        ; implicit-def: $sgpr8_sgpr9
                                        ; implicit-def: $sgpr40_sgpr41
                                        ; implicit-def: $sgpr44_sgpr45
	s_branch .LBB1361_845
.LBB1361_844:                           ;   in Loop: Header=BB1361_845 Depth=2
	s_or_b64 exec, exec, s[46:47]
	s_and_b64 s[10:11], exec, s[38:39]
	s_or_b64 s[34:35], s[10:11], s[34:35]
	s_andn2_b64 s[10:11], s[44:45], exec
	s_and_b64 s[44:45], s[40:41], exec
	s_or_b64 s[44:45], s[10:11], s[44:45]
	s_andn2_b64 s[10:11], s[36:37], exec
	s_and_b64 s[36:37], s[8:9], exec
	s_or_b64 s[36:37], s[10:11], s[36:37]
	s_andn2_b64 exec, exec, s[34:35]
	s_cbranch_execz .LBB1361_847
.LBB1361_845:                           ;   Parent Loop BB1361_816 Depth=1
                                        ; =>  This Inner Loop Header: Depth=2
	global_load_ushort v10, v[4:5], off
	global_load_ushort v11, v[6:7], off
	s_andn2_b64 s[46:47], s[8:9], exec
	s_andn2_b64 s[40:41], s[40:41], exec
	s_or_b64 s[38:39], s[38:39], exec
	s_waitcnt vmcnt(0)
	v_cmp_le_u16_e64 s[8:9], v10, v11
	v_cmp_lt_u16_e32 vcc, v10, v11
	s_and_b64 s[8:9], s[8:9], s[44:45]
	s_or_b64 s[48:49], vcc, s[8:9]
	s_and_b64 s[8:9], s[48:49], exec
	v_cmp_eq_u16_e64 s[10:11], v10, v11
	s_or_b64 s[8:9], s[46:47], s[8:9]
	s_and_saveexec_b64 s[46:47], s[10:11]
	s_cbranch_execz .LBB1361_844
; %bb.846:                              ;   in Loop: Header=BB1361_845 Depth=2
	s_add_u32 s42, s42, -1
	s_addc_u32 s43, s43, -1
	v_add_co_u32_e32 v4, vcc, 2, v4
	s_cmp_eq_u64 s[42:43], 0
	v_addc_co_u32_e32 v5, vcc, 0, v5, vcc
	s_cselect_b64 s[10:11], -1, 0
	v_add_co_u32_e32 v6, vcc, 2, v6
	s_andn2_b64 s[40:41], s[40:41], exec
	s_and_b64 s[44:45], s[48:49], exec
	s_andn2_b64 s[38:39], s[38:39], exec
	s_and_b64 s[10:11], s[10:11], exec
	v_addc_co_u32_e32 v7, vcc, 0, v7, vcc
	s_or_b64 s[40:41], s[40:41], s[44:45]
	s_andn2_b64 s[8:9], s[8:9], exec
	s_or_b64 s[38:39], s[38:39], s[10:11]
                                        ; implicit-def: $sgpr44_sgpr45
	s_branch .LBB1361_844
.LBB1361_847:                           ;   in Loop: Header=BB1361_816 Depth=1
	s_or_b64 exec, exec, s[34:35]
	s_xor_b64 s[8:9], s[36:37], -1
	s_branch .LBB1361_849
.LBB1361_848:                           ;   in Loop: Header=BB1361_816 Depth=1
	s_mov_b64 s[8:9], -1
.LBB1361_849:                           ;   in Loop: Header=BB1361_816 Depth=1
	s_and_b64 s[8:9], s[8:9], exec
.LBB1361_850:                           ;   in Loop: Header=BB1361_816 Depth=1
	s_or_b64 exec, exec, s[28:29]
	s_orn2_b64 s[28:29], s[8:9], exec
.LBB1361_851:                           ;   in Loop: Header=BB1361_816 Depth=1
	s_or_b64 exec, exec, s[30:31]
	v_cndmask_b32_e64 v4, v9, v8, s[28:29]
	v_cndmask_b32_e64 v5, v20, v19, s[28:29]
	v_add_u32_e32 v6, 1, v4
	v_add_u32_e32 v4, -1, v5
	v_min_u32_e32 v4, v6, v4
	v_lshlrev_b32_e32 v4, 3, v4
	ds_read_b64 v[4:5], v4
	v_cndmask_b32_e64 v9, v6, v9, s[28:29]
	v_cndmask_b32_e64 v8, v8, v6, s[28:29]
	v_cmp_lt_u32_e32 vcc, v9, v20
	s_waitcnt lgkmcnt(0)
	v_cndmask_b32_e64 v25, v5, v21, s[28:29]
	v_cndmask_b32_e64 v28, v4, v22, s[28:29]
	v_cndmask_b32_e64 v29, v23, v5, s[28:29]
	v_cndmask_b32_e64 v30, v24, v4, s[28:29]
	s_and_saveexec_b64 s[30:31], vcc
	s_cbranch_execz .LBB1361_862
; %bb.852:                              ;   in Loop: Header=BB1361_816 Depth=1
	v_cmp_lt_u32_e32 vcc, v8, v19
	s_mov_b64 s[8:9], 0
	s_and_saveexec_b64 s[26:27], vcc
	s_cbranch_execz .LBB1361_861
; %bb.853:                              ;   in Loop: Header=BB1361_816 Depth=1
	s_and_b64 vcc, exec, s[6:7]
	s_cbranch_vccnz .LBB1361_859
; %bb.854:                              ;   in Loop: Header=BB1361_816 Depth=1
	v_pk_mov_b32 v[6:7], s[18:19], s[18:19] op_sel:[0,1]
	v_mad_u64_u32 v[4:5], s[8:9], s12, v28, v[6:7]
	v_mul_lo_u32 v10, s12, v25
	v_mul_lo_u32 v11, s13, v28
	v_add3_u32 v5, v11, v5, v10
	v_mad_u64_u32 v[6:7], s[8:9], s12, v30, v[6:7]
	v_mul_lo_u32 v10, s12, v29
	v_mul_lo_u32 v11, s13, v30
	v_add3_u32 v7, v11, v7, v10
	s_mov_b64 s[34:35], 0
	s_mov_b64 s[42:43], s[16:17]
                                        ; implicit-def: $sgpr36_sgpr37
                                        ; implicit-def: $sgpr38_sgpr39
                                        ; implicit-def: $sgpr8_sgpr9
                                        ; implicit-def: $sgpr40_sgpr41
                                        ; implicit-def: $sgpr44_sgpr45
	s_branch .LBB1361_856
.LBB1361_855:                           ;   in Loop: Header=BB1361_856 Depth=2
	s_or_b64 exec, exec, s[46:47]
	s_and_b64 s[10:11], exec, s[38:39]
	s_or_b64 s[34:35], s[10:11], s[34:35]
	s_andn2_b64 s[10:11], s[44:45], exec
	s_and_b64 s[44:45], s[40:41], exec
	s_or_b64 s[44:45], s[10:11], s[44:45]
	s_andn2_b64 s[10:11], s[36:37], exec
	s_and_b64 s[36:37], s[8:9], exec
	s_or_b64 s[36:37], s[10:11], s[36:37]
	s_andn2_b64 exec, exec, s[34:35]
	s_cbranch_execz .LBB1361_858
.LBB1361_856:                           ;   Parent Loop BB1361_816 Depth=1
                                        ; =>  This Inner Loop Header: Depth=2
	global_load_ushort v10, v[4:5], off
	global_load_ushort v11, v[6:7], off
	s_andn2_b64 s[46:47], s[8:9], exec
	s_andn2_b64 s[40:41], s[40:41], exec
	s_or_b64 s[38:39], s[38:39], exec
	s_waitcnt vmcnt(0)
	v_cmp_le_u16_e64 s[8:9], v10, v11
	v_cmp_lt_u16_e32 vcc, v10, v11
	s_and_b64 s[8:9], s[8:9], s[44:45]
	s_or_b64 s[48:49], vcc, s[8:9]
	s_and_b64 s[8:9], s[48:49], exec
	v_cmp_eq_u16_e64 s[10:11], v10, v11
	s_or_b64 s[8:9], s[46:47], s[8:9]
	s_and_saveexec_b64 s[46:47], s[10:11]
	s_cbranch_execz .LBB1361_855
; %bb.857:                              ;   in Loop: Header=BB1361_856 Depth=2
	s_add_u32 s42, s42, -1
	s_addc_u32 s43, s43, -1
	v_add_co_u32_e32 v4, vcc, 2, v4
	s_cmp_eq_u64 s[42:43], 0
	v_addc_co_u32_e32 v5, vcc, 0, v5, vcc
	s_cselect_b64 s[10:11], -1, 0
	v_add_co_u32_e32 v6, vcc, 2, v6
	s_andn2_b64 s[40:41], s[40:41], exec
	s_and_b64 s[44:45], s[48:49], exec
	s_andn2_b64 s[38:39], s[38:39], exec
	s_and_b64 s[10:11], s[10:11], exec
	v_addc_co_u32_e32 v7, vcc, 0, v7, vcc
	s_or_b64 s[40:41], s[40:41], s[44:45]
	s_andn2_b64 s[8:9], s[8:9], exec
	s_or_b64 s[38:39], s[38:39], s[10:11]
                                        ; implicit-def: $sgpr44_sgpr45
	s_branch .LBB1361_855
.LBB1361_858:                           ;   in Loop: Header=BB1361_816 Depth=1
	s_or_b64 exec, exec, s[34:35]
	s_xor_b64 s[8:9], s[36:37], -1
	s_branch .LBB1361_860
.LBB1361_859:                           ;   in Loop: Header=BB1361_816 Depth=1
	s_mov_b64 s[8:9], -1
.LBB1361_860:                           ;   in Loop: Header=BB1361_816 Depth=1
	s_and_b64 s[8:9], s[8:9], exec
.LBB1361_861:                           ;   in Loop: Header=BB1361_816 Depth=1
	s_or_b64 exec, exec, s[26:27]
	s_orn2_b64 s[26:27], s[8:9], exec
.LBB1361_862:                           ;   in Loop: Header=BB1361_816 Depth=1
	s_or_b64 exec, exec, s[30:31]
	v_cndmask_b32_e64 v4, v9, v8, s[26:27]
	v_cndmask_b32_e64 v5, v20, v19, s[26:27]
	v_add_u32_e32 v10, 1, v4
	v_add_u32_e32 v4, -1, v5
	v_min_u32_e32 v4, v10, v4
	v_lshlrev_b32_e32 v4, 3, v4
	ds_read_b64 v[4:5], v4
	v_cndmask_b32_e64 v9, v10, v9, s[26:27]
	v_cmp_lt_u32_e32 vcc, v9, v20
	s_waitcnt lgkmcnt(0)
	v_cndmask_b32_e64 v7, v29, v5, s[26:27]
	v_cndmask_b32_e64 v6, v30, v4, s[26:27]
	s_and_saveexec_b64 s[30:31], vcc
	s_cbranch_execz .LBB1361_814
; %bb.863:                              ;   in Loop: Header=BB1361_816 Depth=1
	v_cndmask_b32_e64 v8, v8, v10, s[26:27]
	v_cndmask_b32_e64 v5, v5, v25, s[26:27]
	;; [unrolled: 1-line block ×3, first 2 shown]
	v_cmp_lt_u32_e32 vcc, v8, v19
	s_and_saveexec_b64 s[34:35], vcc
	s_cbranch_execz .LBB1361_813
; %bb.864:                              ;   in Loop: Header=BB1361_816 Depth=1
	s_and_b64 vcc, exec, s[6:7]
	s_cbranch_vccnz .LBB1361_812
; %bb.865:                              ;   in Loop: Header=BB1361_816 Depth=1
	v_pk_mov_b32 v[10:11], s[18:19], s[18:19] op_sel:[0,1]
	v_mad_u64_u32 v[8:9], s[8:9], s12, v4, v[10:11]
	v_mul_lo_u32 v19, s12, v5
	v_mul_lo_u32 v20, s13, v4
	v_add3_u32 v9, v20, v9, v19
	v_mad_u64_u32 v[10:11], s[8:9], s12, v6, v[10:11]
	v_mul_lo_u32 v19, s12, v7
	v_mul_lo_u32 v20, s13, v6
	v_add3_u32 v11, v20, v11, v19
	s_mov_b64 s[36:37], 0
	s_mov_b64 s[44:45], s[16:17]
                                        ; implicit-def: $sgpr38_sgpr39
                                        ; implicit-def: $sgpr40_sgpr41
                                        ; implicit-def: $sgpr8_sgpr9
                                        ; implicit-def: $sgpr42_sgpr43
                                        ; implicit-def: $sgpr46_sgpr47
	s_branch .LBB1361_867
.LBB1361_866:                           ;   in Loop: Header=BB1361_867 Depth=2
	s_or_b64 exec, exec, s[48:49]
	s_and_b64 s[10:11], exec, s[40:41]
	s_or_b64 s[36:37], s[10:11], s[36:37]
	s_andn2_b64 s[10:11], s[46:47], exec
	s_and_b64 s[46:47], s[42:43], exec
	s_or_b64 s[46:47], s[10:11], s[46:47]
	s_andn2_b64 s[10:11], s[38:39], exec
	s_and_b64 s[38:39], s[8:9], exec
	s_or_b64 s[38:39], s[10:11], s[38:39]
	s_andn2_b64 exec, exec, s[36:37]
	s_cbranch_execz .LBB1361_811
.LBB1361_867:                           ;   Parent Loop BB1361_816 Depth=1
                                        ; =>  This Inner Loop Header: Depth=2
	global_load_ushort v19, v[8:9], off
	global_load_ushort v20, v[10:11], off
	s_andn2_b64 s[48:49], s[8:9], exec
	s_andn2_b64 s[42:43], s[42:43], exec
	s_or_b64 s[40:41], s[40:41], exec
	s_waitcnt vmcnt(0)
	v_cmp_le_u16_e64 s[8:9], v19, v20
	v_cmp_lt_u16_e32 vcc, v19, v20
	s_and_b64 s[8:9], s[8:9], s[46:47]
	s_or_b64 s[50:51], vcc, s[8:9]
	s_and_b64 s[8:9], s[50:51], exec
	v_cmp_eq_u16_e64 s[10:11], v19, v20
	s_or_b64 s[8:9], s[48:49], s[8:9]
	s_and_saveexec_b64 s[48:49], s[10:11]
	s_cbranch_execz .LBB1361_866
; %bb.868:                              ;   in Loop: Header=BB1361_867 Depth=2
	s_add_u32 s44, s44, -1
	s_addc_u32 s45, s45, -1
	v_add_co_u32_e32 v8, vcc, 2, v8
	s_cmp_eq_u64 s[44:45], 0
	v_addc_co_u32_e32 v9, vcc, 0, v9, vcc
	s_cselect_b64 s[10:11], -1, 0
	v_add_co_u32_e32 v10, vcc, 2, v10
	s_andn2_b64 s[42:43], s[42:43], exec
	s_and_b64 s[46:47], s[50:51], exec
	s_andn2_b64 s[40:41], s[40:41], exec
	s_and_b64 s[10:11], s[10:11], exec
	v_addc_co_u32_e32 v11, vcc, 0, v11, vcc
	s_or_b64 s[42:43], s[42:43], s[46:47]
	s_andn2_b64 s[8:9], s[8:9], exec
	s_or_b64 s[40:41], s[40:41], s[10:11]
                                        ; implicit-def: $sgpr46_sgpr47
	s_branch .LBB1361_866
.LBB1361_869:
	s_barrier
	ds_write2_b64 v17, v[0:1], v[2:3] offset1:1
	ds_write2_b64 v17, v[4:5], v[6:7] offset0:2 offset1:3
	s_waitcnt lgkmcnt(0)
	s_barrier
	ds_read_b64 v[6:7], v13 offset:2048
	ds_read_b64 v[2:3], v15 offset:4096
	;; [unrolled: 1-line block ×3, first 2 shown]
	v_mov_b32_e32 v5, s21
	v_add_co_u32_e32 v4, vcc, s20, v26
	v_mov_b32_e32 v13, 0
	v_addc_co_u32_e32 v5, vcc, 0, v5, vcc
	s_and_saveexec_b64 s[6:7], s[0:1]
	s_cbranch_execnz .LBB1361_877
; %bb.870:
	s_or_b64 exec, exec, s[6:7]
	s_and_saveexec_b64 s[0:1], s[2:3]
	s_cbranch_execnz .LBB1361_878
.LBB1361_871:
	s_or_b64 exec, exec, s[0:1]
	s_and_saveexec_b64 s[0:1], s[4:5]
	s_cbranch_execz .LBB1361_873
.LBB1361_872:
	v_add_co_u32_e32 v4, vcc, 0x1000, v4
	v_addc_co_u32_e32 v5, vcc, 0, v5, vcc
	s_waitcnt lgkmcnt(1)
	global_store_dwordx2 v[4:5], v[2:3], off
.LBB1361_873:
	s_or_b64 exec, exec, s[0:1]
.LBB1361_874:
	s_and_saveexec_b64 s[0:1], s[24:25]
	s_cbranch_execz .LBB1361_876
; %bb.875:
	s_waitcnt lgkmcnt(1)
	v_lshlrev_b64 v[2:3], 3, v[12:13]
	v_mov_b32_e32 v4, s21
	v_add_co_u32_e32 v2, vcc, s20, v2
	v_addc_co_u32_e32 v3, vcc, v4, v3, vcc
	v_add_co_u32_e32 v2, vcc, 0x1000, v2
	v_addc_co_u32_e32 v3, vcc, 0, v3, vcc
	s_waitcnt lgkmcnt(0)
	global_store_dwordx2 v[2:3], v[0:1], off offset:2048
.LBB1361_876:
	s_endpgm
.LBB1361_877:
	ds_read_b64 v[8:9], v14
	s_waitcnt lgkmcnt(0)
	global_store_dwordx2 v[4:5], v[8:9], off
	s_or_b64 exec, exec, s[6:7]
	s_and_saveexec_b64 s[0:1], s[2:3]
	s_cbranch_execz .LBB1361_871
.LBB1361_878:
	s_waitcnt lgkmcnt(2)
	global_store_dwordx2 v[4:5], v[6:7], off offset:2048
	s_or_b64 exec, exec, s[0:1]
	s_and_saveexec_b64 s[0:1], s[4:5]
	s_cbranch_execnz .LBB1361_872
	s_branch .LBB1361_873
	.section	.rodata,"a",@progbits
	.p2align	6, 0x0
	.amdhsa_kernel _ZN7rocprim17ROCPRIM_400000_NS6detail17trampoline_kernelINS0_14default_configENS1_37merge_sort_block_sort_config_selectorIlNS0_10empty_typeEEEZNS1_21merge_sort_block_sortIS3_PlS8_PS5_S9_ZN2at6native12_GLOBAL__N_124unique_dim_cuda_templateItEESt5tupleIJNSA_6TensorESF_SF_EERKSF_lbbbEUlllE_EE10hipError_tT0_T1_T2_T3_mRjT4_P12ihipStream_tbNS1_7vsmem_tEEUlT_E_NS1_11comp_targetILNS1_3genE4ELNS1_11target_archE910ELNS1_3gpuE8ELNS1_3repE0EEENS1_30default_config_static_selectorELNS0_4arch9wavefront6targetE1EEEvSM_
		.amdhsa_group_segment_fixed_size 8448
		.amdhsa_private_segment_fixed_size 0
		.amdhsa_kernarg_size 328
		.amdhsa_user_sgpr_count 6
		.amdhsa_user_sgpr_private_segment_buffer 1
		.amdhsa_user_sgpr_dispatch_ptr 0
		.amdhsa_user_sgpr_queue_ptr 0
		.amdhsa_user_sgpr_kernarg_segment_ptr 1
		.amdhsa_user_sgpr_dispatch_id 0
		.amdhsa_user_sgpr_flat_scratch_init 0
		.amdhsa_user_sgpr_kernarg_preload_length 0
		.amdhsa_user_sgpr_kernarg_preload_offset 0
		.amdhsa_user_sgpr_private_segment_size 0
		.amdhsa_uses_dynamic_stack 0
		.amdhsa_system_sgpr_private_segment_wavefront_offset 0
		.amdhsa_system_sgpr_workgroup_id_x 1
		.amdhsa_system_sgpr_workgroup_id_y 1
		.amdhsa_system_sgpr_workgroup_id_z 1
		.amdhsa_system_sgpr_workgroup_info 0
		.amdhsa_system_vgpr_workitem_id 2
		.amdhsa_next_free_vgpr 46
		.amdhsa_next_free_sgpr 54
		.amdhsa_accum_offset 48
		.amdhsa_reserve_vcc 1
		.amdhsa_reserve_flat_scratch 0
		.amdhsa_float_round_mode_32 0
		.amdhsa_float_round_mode_16_64 0
		.amdhsa_float_denorm_mode_32 3
		.amdhsa_float_denorm_mode_16_64 3
		.amdhsa_dx10_clamp 1
		.amdhsa_ieee_mode 1
		.amdhsa_fp16_overflow 0
		.amdhsa_tg_split 0
		.amdhsa_exception_fp_ieee_invalid_op 0
		.amdhsa_exception_fp_denorm_src 0
		.amdhsa_exception_fp_ieee_div_zero 0
		.amdhsa_exception_fp_ieee_overflow 0
		.amdhsa_exception_fp_ieee_underflow 0
		.amdhsa_exception_fp_ieee_inexact 0
		.amdhsa_exception_int_div_zero 0
	.end_amdhsa_kernel
	.section	.text._ZN7rocprim17ROCPRIM_400000_NS6detail17trampoline_kernelINS0_14default_configENS1_37merge_sort_block_sort_config_selectorIlNS0_10empty_typeEEEZNS1_21merge_sort_block_sortIS3_PlS8_PS5_S9_ZN2at6native12_GLOBAL__N_124unique_dim_cuda_templateItEESt5tupleIJNSA_6TensorESF_SF_EERKSF_lbbbEUlllE_EE10hipError_tT0_T1_T2_T3_mRjT4_P12ihipStream_tbNS1_7vsmem_tEEUlT_E_NS1_11comp_targetILNS1_3genE4ELNS1_11target_archE910ELNS1_3gpuE8ELNS1_3repE0EEENS1_30default_config_static_selectorELNS0_4arch9wavefront6targetE1EEEvSM_,"axG",@progbits,_ZN7rocprim17ROCPRIM_400000_NS6detail17trampoline_kernelINS0_14default_configENS1_37merge_sort_block_sort_config_selectorIlNS0_10empty_typeEEEZNS1_21merge_sort_block_sortIS3_PlS8_PS5_S9_ZN2at6native12_GLOBAL__N_124unique_dim_cuda_templateItEESt5tupleIJNSA_6TensorESF_SF_EERKSF_lbbbEUlllE_EE10hipError_tT0_T1_T2_T3_mRjT4_P12ihipStream_tbNS1_7vsmem_tEEUlT_E_NS1_11comp_targetILNS1_3genE4ELNS1_11target_archE910ELNS1_3gpuE8ELNS1_3repE0EEENS1_30default_config_static_selectorELNS0_4arch9wavefront6targetE1EEEvSM_,comdat
.Lfunc_end1361:
	.size	_ZN7rocprim17ROCPRIM_400000_NS6detail17trampoline_kernelINS0_14default_configENS1_37merge_sort_block_sort_config_selectorIlNS0_10empty_typeEEEZNS1_21merge_sort_block_sortIS3_PlS8_PS5_S9_ZN2at6native12_GLOBAL__N_124unique_dim_cuda_templateItEESt5tupleIJNSA_6TensorESF_SF_EERKSF_lbbbEUlllE_EE10hipError_tT0_T1_T2_T3_mRjT4_P12ihipStream_tbNS1_7vsmem_tEEUlT_E_NS1_11comp_targetILNS1_3genE4ELNS1_11target_archE910ELNS1_3gpuE8ELNS1_3repE0EEENS1_30default_config_static_selectorELNS0_4arch9wavefront6targetE1EEEvSM_, .Lfunc_end1361-_ZN7rocprim17ROCPRIM_400000_NS6detail17trampoline_kernelINS0_14default_configENS1_37merge_sort_block_sort_config_selectorIlNS0_10empty_typeEEEZNS1_21merge_sort_block_sortIS3_PlS8_PS5_S9_ZN2at6native12_GLOBAL__N_124unique_dim_cuda_templateItEESt5tupleIJNSA_6TensorESF_SF_EERKSF_lbbbEUlllE_EE10hipError_tT0_T1_T2_T3_mRjT4_P12ihipStream_tbNS1_7vsmem_tEEUlT_E_NS1_11comp_targetILNS1_3genE4ELNS1_11target_archE910ELNS1_3gpuE8ELNS1_3repE0EEENS1_30default_config_static_selectorELNS0_4arch9wavefront6targetE1EEEvSM_
                                        ; -- End function
	.section	.AMDGPU.csdata,"",@progbits
; Kernel info:
; codeLenInByte = 37876
; NumSgprs: 58
; NumVgprs: 46
; NumAgprs: 0
; TotalNumVgprs: 46
; ScratchSize: 0
; MemoryBound: 0
; FloatMode: 240
; IeeeMode: 1
; LDSByteSize: 8448 bytes/workgroup (compile time only)
; SGPRBlocks: 7
; VGPRBlocks: 5
; NumSGPRsForWavesPerEU: 58
; NumVGPRsForWavesPerEU: 46
; AccumOffset: 48
; Occupancy: 7
; WaveLimiterHint : 1
; COMPUTE_PGM_RSRC2:SCRATCH_EN: 0
; COMPUTE_PGM_RSRC2:USER_SGPR: 6
; COMPUTE_PGM_RSRC2:TRAP_HANDLER: 0
; COMPUTE_PGM_RSRC2:TGID_X_EN: 1
; COMPUTE_PGM_RSRC2:TGID_Y_EN: 1
; COMPUTE_PGM_RSRC2:TGID_Z_EN: 1
; COMPUTE_PGM_RSRC2:TIDIG_COMP_CNT: 2
; COMPUTE_PGM_RSRC3_GFX90A:ACCUM_OFFSET: 11
; COMPUTE_PGM_RSRC3_GFX90A:TG_SPLIT: 0
	.section	.text._ZN7rocprim17ROCPRIM_400000_NS6detail17trampoline_kernelINS0_14default_configENS1_37merge_sort_block_sort_config_selectorIlNS0_10empty_typeEEEZNS1_21merge_sort_block_sortIS3_PlS8_PS5_S9_ZN2at6native12_GLOBAL__N_124unique_dim_cuda_templateItEESt5tupleIJNSA_6TensorESF_SF_EERKSF_lbbbEUlllE_EE10hipError_tT0_T1_T2_T3_mRjT4_P12ihipStream_tbNS1_7vsmem_tEEUlT_E_NS1_11comp_targetILNS1_3genE3ELNS1_11target_archE908ELNS1_3gpuE7ELNS1_3repE0EEENS1_30default_config_static_selectorELNS0_4arch9wavefront6targetE1EEEvSM_,"axG",@progbits,_ZN7rocprim17ROCPRIM_400000_NS6detail17trampoline_kernelINS0_14default_configENS1_37merge_sort_block_sort_config_selectorIlNS0_10empty_typeEEEZNS1_21merge_sort_block_sortIS3_PlS8_PS5_S9_ZN2at6native12_GLOBAL__N_124unique_dim_cuda_templateItEESt5tupleIJNSA_6TensorESF_SF_EERKSF_lbbbEUlllE_EE10hipError_tT0_T1_T2_T3_mRjT4_P12ihipStream_tbNS1_7vsmem_tEEUlT_E_NS1_11comp_targetILNS1_3genE3ELNS1_11target_archE908ELNS1_3gpuE7ELNS1_3repE0EEENS1_30default_config_static_selectorELNS0_4arch9wavefront6targetE1EEEvSM_,comdat
	.globl	_ZN7rocprim17ROCPRIM_400000_NS6detail17trampoline_kernelINS0_14default_configENS1_37merge_sort_block_sort_config_selectorIlNS0_10empty_typeEEEZNS1_21merge_sort_block_sortIS3_PlS8_PS5_S9_ZN2at6native12_GLOBAL__N_124unique_dim_cuda_templateItEESt5tupleIJNSA_6TensorESF_SF_EERKSF_lbbbEUlllE_EE10hipError_tT0_T1_T2_T3_mRjT4_P12ihipStream_tbNS1_7vsmem_tEEUlT_E_NS1_11comp_targetILNS1_3genE3ELNS1_11target_archE908ELNS1_3gpuE7ELNS1_3repE0EEENS1_30default_config_static_selectorELNS0_4arch9wavefront6targetE1EEEvSM_ ; -- Begin function _ZN7rocprim17ROCPRIM_400000_NS6detail17trampoline_kernelINS0_14default_configENS1_37merge_sort_block_sort_config_selectorIlNS0_10empty_typeEEEZNS1_21merge_sort_block_sortIS3_PlS8_PS5_S9_ZN2at6native12_GLOBAL__N_124unique_dim_cuda_templateItEESt5tupleIJNSA_6TensorESF_SF_EERKSF_lbbbEUlllE_EE10hipError_tT0_T1_T2_T3_mRjT4_P12ihipStream_tbNS1_7vsmem_tEEUlT_E_NS1_11comp_targetILNS1_3genE3ELNS1_11target_archE908ELNS1_3gpuE7ELNS1_3repE0EEENS1_30default_config_static_selectorELNS0_4arch9wavefront6targetE1EEEvSM_
	.p2align	8
	.type	_ZN7rocprim17ROCPRIM_400000_NS6detail17trampoline_kernelINS0_14default_configENS1_37merge_sort_block_sort_config_selectorIlNS0_10empty_typeEEEZNS1_21merge_sort_block_sortIS3_PlS8_PS5_S9_ZN2at6native12_GLOBAL__N_124unique_dim_cuda_templateItEESt5tupleIJNSA_6TensorESF_SF_EERKSF_lbbbEUlllE_EE10hipError_tT0_T1_T2_T3_mRjT4_P12ihipStream_tbNS1_7vsmem_tEEUlT_E_NS1_11comp_targetILNS1_3genE3ELNS1_11target_archE908ELNS1_3gpuE7ELNS1_3repE0EEENS1_30default_config_static_selectorELNS0_4arch9wavefront6targetE1EEEvSM_,@function
_ZN7rocprim17ROCPRIM_400000_NS6detail17trampoline_kernelINS0_14default_configENS1_37merge_sort_block_sort_config_selectorIlNS0_10empty_typeEEEZNS1_21merge_sort_block_sortIS3_PlS8_PS5_S9_ZN2at6native12_GLOBAL__N_124unique_dim_cuda_templateItEESt5tupleIJNSA_6TensorESF_SF_EERKSF_lbbbEUlllE_EE10hipError_tT0_T1_T2_T3_mRjT4_P12ihipStream_tbNS1_7vsmem_tEEUlT_E_NS1_11comp_targetILNS1_3genE3ELNS1_11target_archE908ELNS1_3gpuE7ELNS1_3repE0EEENS1_30default_config_static_selectorELNS0_4arch9wavefront6targetE1EEEvSM_: ; @_ZN7rocprim17ROCPRIM_400000_NS6detail17trampoline_kernelINS0_14default_configENS1_37merge_sort_block_sort_config_selectorIlNS0_10empty_typeEEEZNS1_21merge_sort_block_sortIS3_PlS8_PS5_S9_ZN2at6native12_GLOBAL__N_124unique_dim_cuda_templateItEESt5tupleIJNSA_6TensorESF_SF_EERKSF_lbbbEUlllE_EE10hipError_tT0_T1_T2_T3_mRjT4_P12ihipStream_tbNS1_7vsmem_tEEUlT_E_NS1_11comp_targetILNS1_3genE3ELNS1_11target_archE908ELNS1_3gpuE7ELNS1_3repE0EEENS1_30default_config_static_selectorELNS0_4arch9wavefront6targetE1EEEvSM_
; %bb.0:
	.section	.rodata,"a",@progbits
	.p2align	6, 0x0
	.amdhsa_kernel _ZN7rocprim17ROCPRIM_400000_NS6detail17trampoline_kernelINS0_14default_configENS1_37merge_sort_block_sort_config_selectorIlNS0_10empty_typeEEEZNS1_21merge_sort_block_sortIS3_PlS8_PS5_S9_ZN2at6native12_GLOBAL__N_124unique_dim_cuda_templateItEESt5tupleIJNSA_6TensorESF_SF_EERKSF_lbbbEUlllE_EE10hipError_tT0_T1_T2_T3_mRjT4_P12ihipStream_tbNS1_7vsmem_tEEUlT_E_NS1_11comp_targetILNS1_3genE3ELNS1_11target_archE908ELNS1_3gpuE7ELNS1_3repE0EEENS1_30default_config_static_selectorELNS0_4arch9wavefront6targetE1EEEvSM_
		.amdhsa_group_segment_fixed_size 0
		.amdhsa_private_segment_fixed_size 0
		.amdhsa_kernarg_size 72
		.amdhsa_user_sgpr_count 6
		.amdhsa_user_sgpr_private_segment_buffer 1
		.amdhsa_user_sgpr_dispatch_ptr 0
		.amdhsa_user_sgpr_queue_ptr 0
		.amdhsa_user_sgpr_kernarg_segment_ptr 1
		.amdhsa_user_sgpr_dispatch_id 0
		.amdhsa_user_sgpr_flat_scratch_init 0
		.amdhsa_user_sgpr_kernarg_preload_length 0
		.amdhsa_user_sgpr_kernarg_preload_offset 0
		.amdhsa_user_sgpr_private_segment_size 0
		.amdhsa_uses_dynamic_stack 0
		.amdhsa_system_sgpr_private_segment_wavefront_offset 0
		.amdhsa_system_sgpr_workgroup_id_x 1
		.amdhsa_system_sgpr_workgroup_id_y 0
		.amdhsa_system_sgpr_workgroup_id_z 0
		.amdhsa_system_sgpr_workgroup_info 0
		.amdhsa_system_vgpr_workitem_id 0
		.amdhsa_next_free_vgpr 1
		.amdhsa_next_free_sgpr 0
		.amdhsa_accum_offset 4
		.amdhsa_reserve_vcc 0
		.amdhsa_reserve_flat_scratch 0
		.amdhsa_float_round_mode_32 0
		.amdhsa_float_round_mode_16_64 0
		.amdhsa_float_denorm_mode_32 3
		.amdhsa_float_denorm_mode_16_64 3
		.amdhsa_dx10_clamp 1
		.amdhsa_ieee_mode 1
		.amdhsa_fp16_overflow 0
		.amdhsa_tg_split 0
		.amdhsa_exception_fp_ieee_invalid_op 0
		.amdhsa_exception_fp_denorm_src 0
		.amdhsa_exception_fp_ieee_div_zero 0
		.amdhsa_exception_fp_ieee_overflow 0
		.amdhsa_exception_fp_ieee_underflow 0
		.amdhsa_exception_fp_ieee_inexact 0
		.amdhsa_exception_int_div_zero 0
	.end_amdhsa_kernel
	.section	.text._ZN7rocprim17ROCPRIM_400000_NS6detail17trampoline_kernelINS0_14default_configENS1_37merge_sort_block_sort_config_selectorIlNS0_10empty_typeEEEZNS1_21merge_sort_block_sortIS3_PlS8_PS5_S9_ZN2at6native12_GLOBAL__N_124unique_dim_cuda_templateItEESt5tupleIJNSA_6TensorESF_SF_EERKSF_lbbbEUlllE_EE10hipError_tT0_T1_T2_T3_mRjT4_P12ihipStream_tbNS1_7vsmem_tEEUlT_E_NS1_11comp_targetILNS1_3genE3ELNS1_11target_archE908ELNS1_3gpuE7ELNS1_3repE0EEENS1_30default_config_static_selectorELNS0_4arch9wavefront6targetE1EEEvSM_,"axG",@progbits,_ZN7rocprim17ROCPRIM_400000_NS6detail17trampoline_kernelINS0_14default_configENS1_37merge_sort_block_sort_config_selectorIlNS0_10empty_typeEEEZNS1_21merge_sort_block_sortIS3_PlS8_PS5_S9_ZN2at6native12_GLOBAL__N_124unique_dim_cuda_templateItEESt5tupleIJNSA_6TensorESF_SF_EERKSF_lbbbEUlllE_EE10hipError_tT0_T1_T2_T3_mRjT4_P12ihipStream_tbNS1_7vsmem_tEEUlT_E_NS1_11comp_targetILNS1_3genE3ELNS1_11target_archE908ELNS1_3gpuE7ELNS1_3repE0EEENS1_30default_config_static_selectorELNS0_4arch9wavefront6targetE1EEEvSM_,comdat
.Lfunc_end1362:
	.size	_ZN7rocprim17ROCPRIM_400000_NS6detail17trampoline_kernelINS0_14default_configENS1_37merge_sort_block_sort_config_selectorIlNS0_10empty_typeEEEZNS1_21merge_sort_block_sortIS3_PlS8_PS5_S9_ZN2at6native12_GLOBAL__N_124unique_dim_cuda_templateItEESt5tupleIJNSA_6TensorESF_SF_EERKSF_lbbbEUlllE_EE10hipError_tT0_T1_T2_T3_mRjT4_P12ihipStream_tbNS1_7vsmem_tEEUlT_E_NS1_11comp_targetILNS1_3genE3ELNS1_11target_archE908ELNS1_3gpuE7ELNS1_3repE0EEENS1_30default_config_static_selectorELNS0_4arch9wavefront6targetE1EEEvSM_, .Lfunc_end1362-_ZN7rocprim17ROCPRIM_400000_NS6detail17trampoline_kernelINS0_14default_configENS1_37merge_sort_block_sort_config_selectorIlNS0_10empty_typeEEEZNS1_21merge_sort_block_sortIS3_PlS8_PS5_S9_ZN2at6native12_GLOBAL__N_124unique_dim_cuda_templateItEESt5tupleIJNSA_6TensorESF_SF_EERKSF_lbbbEUlllE_EE10hipError_tT0_T1_T2_T3_mRjT4_P12ihipStream_tbNS1_7vsmem_tEEUlT_E_NS1_11comp_targetILNS1_3genE3ELNS1_11target_archE908ELNS1_3gpuE7ELNS1_3repE0EEENS1_30default_config_static_selectorELNS0_4arch9wavefront6targetE1EEEvSM_
                                        ; -- End function
	.section	.AMDGPU.csdata,"",@progbits
; Kernel info:
; codeLenInByte = 0
; NumSgprs: 4
; NumVgprs: 0
; NumAgprs: 0
; TotalNumVgprs: 0
; ScratchSize: 0
; MemoryBound: 0
; FloatMode: 240
; IeeeMode: 1
; LDSByteSize: 0 bytes/workgroup (compile time only)
; SGPRBlocks: 0
; VGPRBlocks: 0
; NumSGPRsForWavesPerEU: 4
; NumVGPRsForWavesPerEU: 1
; AccumOffset: 4
; Occupancy: 8
; WaveLimiterHint : 0
; COMPUTE_PGM_RSRC2:SCRATCH_EN: 0
; COMPUTE_PGM_RSRC2:USER_SGPR: 6
; COMPUTE_PGM_RSRC2:TRAP_HANDLER: 0
; COMPUTE_PGM_RSRC2:TGID_X_EN: 1
; COMPUTE_PGM_RSRC2:TGID_Y_EN: 0
; COMPUTE_PGM_RSRC2:TGID_Z_EN: 0
; COMPUTE_PGM_RSRC2:TIDIG_COMP_CNT: 0
; COMPUTE_PGM_RSRC3_GFX90A:ACCUM_OFFSET: 0
; COMPUTE_PGM_RSRC3_GFX90A:TG_SPLIT: 0
	.section	.text._ZN7rocprim17ROCPRIM_400000_NS6detail17trampoline_kernelINS0_14default_configENS1_37merge_sort_block_sort_config_selectorIlNS0_10empty_typeEEEZNS1_21merge_sort_block_sortIS3_PlS8_PS5_S9_ZN2at6native12_GLOBAL__N_124unique_dim_cuda_templateItEESt5tupleIJNSA_6TensorESF_SF_EERKSF_lbbbEUlllE_EE10hipError_tT0_T1_T2_T3_mRjT4_P12ihipStream_tbNS1_7vsmem_tEEUlT_E_NS1_11comp_targetILNS1_3genE2ELNS1_11target_archE906ELNS1_3gpuE6ELNS1_3repE0EEENS1_30default_config_static_selectorELNS0_4arch9wavefront6targetE1EEEvSM_,"axG",@progbits,_ZN7rocprim17ROCPRIM_400000_NS6detail17trampoline_kernelINS0_14default_configENS1_37merge_sort_block_sort_config_selectorIlNS0_10empty_typeEEEZNS1_21merge_sort_block_sortIS3_PlS8_PS5_S9_ZN2at6native12_GLOBAL__N_124unique_dim_cuda_templateItEESt5tupleIJNSA_6TensorESF_SF_EERKSF_lbbbEUlllE_EE10hipError_tT0_T1_T2_T3_mRjT4_P12ihipStream_tbNS1_7vsmem_tEEUlT_E_NS1_11comp_targetILNS1_3genE2ELNS1_11target_archE906ELNS1_3gpuE6ELNS1_3repE0EEENS1_30default_config_static_selectorELNS0_4arch9wavefront6targetE1EEEvSM_,comdat
	.globl	_ZN7rocprim17ROCPRIM_400000_NS6detail17trampoline_kernelINS0_14default_configENS1_37merge_sort_block_sort_config_selectorIlNS0_10empty_typeEEEZNS1_21merge_sort_block_sortIS3_PlS8_PS5_S9_ZN2at6native12_GLOBAL__N_124unique_dim_cuda_templateItEESt5tupleIJNSA_6TensorESF_SF_EERKSF_lbbbEUlllE_EE10hipError_tT0_T1_T2_T3_mRjT4_P12ihipStream_tbNS1_7vsmem_tEEUlT_E_NS1_11comp_targetILNS1_3genE2ELNS1_11target_archE906ELNS1_3gpuE6ELNS1_3repE0EEENS1_30default_config_static_selectorELNS0_4arch9wavefront6targetE1EEEvSM_ ; -- Begin function _ZN7rocprim17ROCPRIM_400000_NS6detail17trampoline_kernelINS0_14default_configENS1_37merge_sort_block_sort_config_selectorIlNS0_10empty_typeEEEZNS1_21merge_sort_block_sortIS3_PlS8_PS5_S9_ZN2at6native12_GLOBAL__N_124unique_dim_cuda_templateItEESt5tupleIJNSA_6TensorESF_SF_EERKSF_lbbbEUlllE_EE10hipError_tT0_T1_T2_T3_mRjT4_P12ihipStream_tbNS1_7vsmem_tEEUlT_E_NS1_11comp_targetILNS1_3genE2ELNS1_11target_archE906ELNS1_3gpuE6ELNS1_3repE0EEENS1_30default_config_static_selectorELNS0_4arch9wavefront6targetE1EEEvSM_
	.p2align	8
	.type	_ZN7rocprim17ROCPRIM_400000_NS6detail17trampoline_kernelINS0_14default_configENS1_37merge_sort_block_sort_config_selectorIlNS0_10empty_typeEEEZNS1_21merge_sort_block_sortIS3_PlS8_PS5_S9_ZN2at6native12_GLOBAL__N_124unique_dim_cuda_templateItEESt5tupleIJNSA_6TensorESF_SF_EERKSF_lbbbEUlllE_EE10hipError_tT0_T1_T2_T3_mRjT4_P12ihipStream_tbNS1_7vsmem_tEEUlT_E_NS1_11comp_targetILNS1_3genE2ELNS1_11target_archE906ELNS1_3gpuE6ELNS1_3repE0EEENS1_30default_config_static_selectorELNS0_4arch9wavefront6targetE1EEEvSM_,@function
_ZN7rocprim17ROCPRIM_400000_NS6detail17trampoline_kernelINS0_14default_configENS1_37merge_sort_block_sort_config_selectorIlNS0_10empty_typeEEEZNS1_21merge_sort_block_sortIS3_PlS8_PS5_S9_ZN2at6native12_GLOBAL__N_124unique_dim_cuda_templateItEESt5tupleIJNSA_6TensorESF_SF_EERKSF_lbbbEUlllE_EE10hipError_tT0_T1_T2_T3_mRjT4_P12ihipStream_tbNS1_7vsmem_tEEUlT_E_NS1_11comp_targetILNS1_3genE2ELNS1_11target_archE906ELNS1_3gpuE6ELNS1_3repE0EEENS1_30default_config_static_selectorELNS0_4arch9wavefront6targetE1EEEvSM_: ; @_ZN7rocprim17ROCPRIM_400000_NS6detail17trampoline_kernelINS0_14default_configENS1_37merge_sort_block_sort_config_selectorIlNS0_10empty_typeEEEZNS1_21merge_sort_block_sortIS3_PlS8_PS5_S9_ZN2at6native12_GLOBAL__N_124unique_dim_cuda_templateItEESt5tupleIJNSA_6TensorESF_SF_EERKSF_lbbbEUlllE_EE10hipError_tT0_T1_T2_T3_mRjT4_P12ihipStream_tbNS1_7vsmem_tEEUlT_E_NS1_11comp_targetILNS1_3genE2ELNS1_11target_archE906ELNS1_3gpuE6ELNS1_3repE0EEENS1_30default_config_static_selectorELNS0_4arch9wavefront6targetE1EEEvSM_
; %bb.0:
	.section	.rodata,"a",@progbits
	.p2align	6, 0x0
	.amdhsa_kernel _ZN7rocprim17ROCPRIM_400000_NS6detail17trampoline_kernelINS0_14default_configENS1_37merge_sort_block_sort_config_selectorIlNS0_10empty_typeEEEZNS1_21merge_sort_block_sortIS3_PlS8_PS5_S9_ZN2at6native12_GLOBAL__N_124unique_dim_cuda_templateItEESt5tupleIJNSA_6TensorESF_SF_EERKSF_lbbbEUlllE_EE10hipError_tT0_T1_T2_T3_mRjT4_P12ihipStream_tbNS1_7vsmem_tEEUlT_E_NS1_11comp_targetILNS1_3genE2ELNS1_11target_archE906ELNS1_3gpuE6ELNS1_3repE0EEENS1_30default_config_static_selectorELNS0_4arch9wavefront6targetE1EEEvSM_
		.amdhsa_group_segment_fixed_size 0
		.amdhsa_private_segment_fixed_size 0
		.amdhsa_kernarg_size 72
		.amdhsa_user_sgpr_count 6
		.amdhsa_user_sgpr_private_segment_buffer 1
		.amdhsa_user_sgpr_dispatch_ptr 0
		.amdhsa_user_sgpr_queue_ptr 0
		.amdhsa_user_sgpr_kernarg_segment_ptr 1
		.amdhsa_user_sgpr_dispatch_id 0
		.amdhsa_user_sgpr_flat_scratch_init 0
		.amdhsa_user_sgpr_kernarg_preload_length 0
		.amdhsa_user_sgpr_kernarg_preload_offset 0
		.amdhsa_user_sgpr_private_segment_size 0
		.amdhsa_uses_dynamic_stack 0
		.amdhsa_system_sgpr_private_segment_wavefront_offset 0
		.amdhsa_system_sgpr_workgroup_id_x 1
		.amdhsa_system_sgpr_workgroup_id_y 0
		.amdhsa_system_sgpr_workgroup_id_z 0
		.amdhsa_system_sgpr_workgroup_info 0
		.amdhsa_system_vgpr_workitem_id 0
		.amdhsa_next_free_vgpr 1
		.amdhsa_next_free_sgpr 0
		.amdhsa_accum_offset 4
		.amdhsa_reserve_vcc 0
		.amdhsa_reserve_flat_scratch 0
		.amdhsa_float_round_mode_32 0
		.amdhsa_float_round_mode_16_64 0
		.amdhsa_float_denorm_mode_32 3
		.amdhsa_float_denorm_mode_16_64 3
		.amdhsa_dx10_clamp 1
		.amdhsa_ieee_mode 1
		.amdhsa_fp16_overflow 0
		.amdhsa_tg_split 0
		.amdhsa_exception_fp_ieee_invalid_op 0
		.amdhsa_exception_fp_denorm_src 0
		.amdhsa_exception_fp_ieee_div_zero 0
		.amdhsa_exception_fp_ieee_overflow 0
		.amdhsa_exception_fp_ieee_underflow 0
		.amdhsa_exception_fp_ieee_inexact 0
		.amdhsa_exception_int_div_zero 0
	.end_amdhsa_kernel
	.section	.text._ZN7rocprim17ROCPRIM_400000_NS6detail17trampoline_kernelINS0_14default_configENS1_37merge_sort_block_sort_config_selectorIlNS0_10empty_typeEEEZNS1_21merge_sort_block_sortIS3_PlS8_PS5_S9_ZN2at6native12_GLOBAL__N_124unique_dim_cuda_templateItEESt5tupleIJNSA_6TensorESF_SF_EERKSF_lbbbEUlllE_EE10hipError_tT0_T1_T2_T3_mRjT4_P12ihipStream_tbNS1_7vsmem_tEEUlT_E_NS1_11comp_targetILNS1_3genE2ELNS1_11target_archE906ELNS1_3gpuE6ELNS1_3repE0EEENS1_30default_config_static_selectorELNS0_4arch9wavefront6targetE1EEEvSM_,"axG",@progbits,_ZN7rocprim17ROCPRIM_400000_NS6detail17trampoline_kernelINS0_14default_configENS1_37merge_sort_block_sort_config_selectorIlNS0_10empty_typeEEEZNS1_21merge_sort_block_sortIS3_PlS8_PS5_S9_ZN2at6native12_GLOBAL__N_124unique_dim_cuda_templateItEESt5tupleIJNSA_6TensorESF_SF_EERKSF_lbbbEUlllE_EE10hipError_tT0_T1_T2_T3_mRjT4_P12ihipStream_tbNS1_7vsmem_tEEUlT_E_NS1_11comp_targetILNS1_3genE2ELNS1_11target_archE906ELNS1_3gpuE6ELNS1_3repE0EEENS1_30default_config_static_selectorELNS0_4arch9wavefront6targetE1EEEvSM_,comdat
.Lfunc_end1363:
	.size	_ZN7rocprim17ROCPRIM_400000_NS6detail17trampoline_kernelINS0_14default_configENS1_37merge_sort_block_sort_config_selectorIlNS0_10empty_typeEEEZNS1_21merge_sort_block_sortIS3_PlS8_PS5_S9_ZN2at6native12_GLOBAL__N_124unique_dim_cuda_templateItEESt5tupleIJNSA_6TensorESF_SF_EERKSF_lbbbEUlllE_EE10hipError_tT0_T1_T2_T3_mRjT4_P12ihipStream_tbNS1_7vsmem_tEEUlT_E_NS1_11comp_targetILNS1_3genE2ELNS1_11target_archE906ELNS1_3gpuE6ELNS1_3repE0EEENS1_30default_config_static_selectorELNS0_4arch9wavefront6targetE1EEEvSM_, .Lfunc_end1363-_ZN7rocprim17ROCPRIM_400000_NS6detail17trampoline_kernelINS0_14default_configENS1_37merge_sort_block_sort_config_selectorIlNS0_10empty_typeEEEZNS1_21merge_sort_block_sortIS3_PlS8_PS5_S9_ZN2at6native12_GLOBAL__N_124unique_dim_cuda_templateItEESt5tupleIJNSA_6TensorESF_SF_EERKSF_lbbbEUlllE_EE10hipError_tT0_T1_T2_T3_mRjT4_P12ihipStream_tbNS1_7vsmem_tEEUlT_E_NS1_11comp_targetILNS1_3genE2ELNS1_11target_archE906ELNS1_3gpuE6ELNS1_3repE0EEENS1_30default_config_static_selectorELNS0_4arch9wavefront6targetE1EEEvSM_
                                        ; -- End function
	.section	.AMDGPU.csdata,"",@progbits
; Kernel info:
; codeLenInByte = 0
; NumSgprs: 4
; NumVgprs: 0
; NumAgprs: 0
; TotalNumVgprs: 0
; ScratchSize: 0
; MemoryBound: 0
; FloatMode: 240
; IeeeMode: 1
; LDSByteSize: 0 bytes/workgroup (compile time only)
; SGPRBlocks: 0
; VGPRBlocks: 0
; NumSGPRsForWavesPerEU: 4
; NumVGPRsForWavesPerEU: 1
; AccumOffset: 4
; Occupancy: 8
; WaveLimiterHint : 0
; COMPUTE_PGM_RSRC2:SCRATCH_EN: 0
; COMPUTE_PGM_RSRC2:USER_SGPR: 6
; COMPUTE_PGM_RSRC2:TRAP_HANDLER: 0
; COMPUTE_PGM_RSRC2:TGID_X_EN: 1
; COMPUTE_PGM_RSRC2:TGID_Y_EN: 0
; COMPUTE_PGM_RSRC2:TGID_Z_EN: 0
; COMPUTE_PGM_RSRC2:TIDIG_COMP_CNT: 0
; COMPUTE_PGM_RSRC3_GFX90A:ACCUM_OFFSET: 0
; COMPUTE_PGM_RSRC3_GFX90A:TG_SPLIT: 0
	.section	.text._ZN7rocprim17ROCPRIM_400000_NS6detail17trampoline_kernelINS0_14default_configENS1_37merge_sort_block_sort_config_selectorIlNS0_10empty_typeEEEZNS1_21merge_sort_block_sortIS3_PlS8_PS5_S9_ZN2at6native12_GLOBAL__N_124unique_dim_cuda_templateItEESt5tupleIJNSA_6TensorESF_SF_EERKSF_lbbbEUlllE_EE10hipError_tT0_T1_T2_T3_mRjT4_P12ihipStream_tbNS1_7vsmem_tEEUlT_E_NS1_11comp_targetILNS1_3genE10ELNS1_11target_archE1201ELNS1_3gpuE5ELNS1_3repE0EEENS1_30default_config_static_selectorELNS0_4arch9wavefront6targetE1EEEvSM_,"axG",@progbits,_ZN7rocprim17ROCPRIM_400000_NS6detail17trampoline_kernelINS0_14default_configENS1_37merge_sort_block_sort_config_selectorIlNS0_10empty_typeEEEZNS1_21merge_sort_block_sortIS3_PlS8_PS5_S9_ZN2at6native12_GLOBAL__N_124unique_dim_cuda_templateItEESt5tupleIJNSA_6TensorESF_SF_EERKSF_lbbbEUlllE_EE10hipError_tT0_T1_T2_T3_mRjT4_P12ihipStream_tbNS1_7vsmem_tEEUlT_E_NS1_11comp_targetILNS1_3genE10ELNS1_11target_archE1201ELNS1_3gpuE5ELNS1_3repE0EEENS1_30default_config_static_selectorELNS0_4arch9wavefront6targetE1EEEvSM_,comdat
	.globl	_ZN7rocprim17ROCPRIM_400000_NS6detail17trampoline_kernelINS0_14default_configENS1_37merge_sort_block_sort_config_selectorIlNS0_10empty_typeEEEZNS1_21merge_sort_block_sortIS3_PlS8_PS5_S9_ZN2at6native12_GLOBAL__N_124unique_dim_cuda_templateItEESt5tupleIJNSA_6TensorESF_SF_EERKSF_lbbbEUlllE_EE10hipError_tT0_T1_T2_T3_mRjT4_P12ihipStream_tbNS1_7vsmem_tEEUlT_E_NS1_11comp_targetILNS1_3genE10ELNS1_11target_archE1201ELNS1_3gpuE5ELNS1_3repE0EEENS1_30default_config_static_selectorELNS0_4arch9wavefront6targetE1EEEvSM_ ; -- Begin function _ZN7rocprim17ROCPRIM_400000_NS6detail17trampoline_kernelINS0_14default_configENS1_37merge_sort_block_sort_config_selectorIlNS0_10empty_typeEEEZNS1_21merge_sort_block_sortIS3_PlS8_PS5_S9_ZN2at6native12_GLOBAL__N_124unique_dim_cuda_templateItEESt5tupleIJNSA_6TensorESF_SF_EERKSF_lbbbEUlllE_EE10hipError_tT0_T1_T2_T3_mRjT4_P12ihipStream_tbNS1_7vsmem_tEEUlT_E_NS1_11comp_targetILNS1_3genE10ELNS1_11target_archE1201ELNS1_3gpuE5ELNS1_3repE0EEENS1_30default_config_static_selectorELNS0_4arch9wavefront6targetE1EEEvSM_
	.p2align	8
	.type	_ZN7rocprim17ROCPRIM_400000_NS6detail17trampoline_kernelINS0_14default_configENS1_37merge_sort_block_sort_config_selectorIlNS0_10empty_typeEEEZNS1_21merge_sort_block_sortIS3_PlS8_PS5_S9_ZN2at6native12_GLOBAL__N_124unique_dim_cuda_templateItEESt5tupleIJNSA_6TensorESF_SF_EERKSF_lbbbEUlllE_EE10hipError_tT0_T1_T2_T3_mRjT4_P12ihipStream_tbNS1_7vsmem_tEEUlT_E_NS1_11comp_targetILNS1_3genE10ELNS1_11target_archE1201ELNS1_3gpuE5ELNS1_3repE0EEENS1_30default_config_static_selectorELNS0_4arch9wavefront6targetE1EEEvSM_,@function
_ZN7rocprim17ROCPRIM_400000_NS6detail17trampoline_kernelINS0_14default_configENS1_37merge_sort_block_sort_config_selectorIlNS0_10empty_typeEEEZNS1_21merge_sort_block_sortIS3_PlS8_PS5_S9_ZN2at6native12_GLOBAL__N_124unique_dim_cuda_templateItEESt5tupleIJNSA_6TensorESF_SF_EERKSF_lbbbEUlllE_EE10hipError_tT0_T1_T2_T3_mRjT4_P12ihipStream_tbNS1_7vsmem_tEEUlT_E_NS1_11comp_targetILNS1_3genE10ELNS1_11target_archE1201ELNS1_3gpuE5ELNS1_3repE0EEENS1_30default_config_static_selectorELNS0_4arch9wavefront6targetE1EEEvSM_: ; @_ZN7rocprim17ROCPRIM_400000_NS6detail17trampoline_kernelINS0_14default_configENS1_37merge_sort_block_sort_config_selectorIlNS0_10empty_typeEEEZNS1_21merge_sort_block_sortIS3_PlS8_PS5_S9_ZN2at6native12_GLOBAL__N_124unique_dim_cuda_templateItEESt5tupleIJNSA_6TensorESF_SF_EERKSF_lbbbEUlllE_EE10hipError_tT0_T1_T2_T3_mRjT4_P12ihipStream_tbNS1_7vsmem_tEEUlT_E_NS1_11comp_targetILNS1_3genE10ELNS1_11target_archE1201ELNS1_3gpuE5ELNS1_3repE0EEENS1_30default_config_static_selectorELNS0_4arch9wavefront6targetE1EEEvSM_
; %bb.0:
	.section	.rodata,"a",@progbits
	.p2align	6, 0x0
	.amdhsa_kernel _ZN7rocprim17ROCPRIM_400000_NS6detail17trampoline_kernelINS0_14default_configENS1_37merge_sort_block_sort_config_selectorIlNS0_10empty_typeEEEZNS1_21merge_sort_block_sortIS3_PlS8_PS5_S9_ZN2at6native12_GLOBAL__N_124unique_dim_cuda_templateItEESt5tupleIJNSA_6TensorESF_SF_EERKSF_lbbbEUlllE_EE10hipError_tT0_T1_T2_T3_mRjT4_P12ihipStream_tbNS1_7vsmem_tEEUlT_E_NS1_11comp_targetILNS1_3genE10ELNS1_11target_archE1201ELNS1_3gpuE5ELNS1_3repE0EEENS1_30default_config_static_selectorELNS0_4arch9wavefront6targetE1EEEvSM_
		.amdhsa_group_segment_fixed_size 0
		.amdhsa_private_segment_fixed_size 0
		.amdhsa_kernarg_size 72
		.amdhsa_user_sgpr_count 6
		.amdhsa_user_sgpr_private_segment_buffer 1
		.amdhsa_user_sgpr_dispatch_ptr 0
		.amdhsa_user_sgpr_queue_ptr 0
		.amdhsa_user_sgpr_kernarg_segment_ptr 1
		.amdhsa_user_sgpr_dispatch_id 0
		.amdhsa_user_sgpr_flat_scratch_init 0
		.amdhsa_user_sgpr_kernarg_preload_length 0
		.amdhsa_user_sgpr_kernarg_preload_offset 0
		.amdhsa_user_sgpr_private_segment_size 0
		.amdhsa_uses_dynamic_stack 0
		.amdhsa_system_sgpr_private_segment_wavefront_offset 0
		.amdhsa_system_sgpr_workgroup_id_x 1
		.amdhsa_system_sgpr_workgroup_id_y 0
		.amdhsa_system_sgpr_workgroup_id_z 0
		.amdhsa_system_sgpr_workgroup_info 0
		.amdhsa_system_vgpr_workitem_id 0
		.amdhsa_next_free_vgpr 1
		.amdhsa_next_free_sgpr 0
		.amdhsa_accum_offset 4
		.amdhsa_reserve_vcc 0
		.amdhsa_reserve_flat_scratch 0
		.amdhsa_float_round_mode_32 0
		.amdhsa_float_round_mode_16_64 0
		.amdhsa_float_denorm_mode_32 3
		.amdhsa_float_denorm_mode_16_64 3
		.amdhsa_dx10_clamp 1
		.amdhsa_ieee_mode 1
		.amdhsa_fp16_overflow 0
		.amdhsa_tg_split 0
		.amdhsa_exception_fp_ieee_invalid_op 0
		.amdhsa_exception_fp_denorm_src 0
		.amdhsa_exception_fp_ieee_div_zero 0
		.amdhsa_exception_fp_ieee_overflow 0
		.amdhsa_exception_fp_ieee_underflow 0
		.amdhsa_exception_fp_ieee_inexact 0
		.amdhsa_exception_int_div_zero 0
	.end_amdhsa_kernel
	.section	.text._ZN7rocprim17ROCPRIM_400000_NS6detail17trampoline_kernelINS0_14default_configENS1_37merge_sort_block_sort_config_selectorIlNS0_10empty_typeEEEZNS1_21merge_sort_block_sortIS3_PlS8_PS5_S9_ZN2at6native12_GLOBAL__N_124unique_dim_cuda_templateItEESt5tupleIJNSA_6TensorESF_SF_EERKSF_lbbbEUlllE_EE10hipError_tT0_T1_T2_T3_mRjT4_P12ihipStream_tbNS1_7vsmem_tEEUlT_E_NS1_11comp_targetILNS1_3genE10ELNS1_11target_archE1201ELNS1_3gpuE5ELNS1_3repE0EEENS1_30default_config_static_selectorELNS0_4arch9wavefront6targetE1EEEvSM_,"axG",@progbits,_ZN7rocprim17ROCPRIM_400000_NS6detail17trampoline_kernelINS0_14default_configENS1_37merge_sort_block_sort_config_selectorIlNS0_10empty_typeEEEZNS1_21merge_sort_block_sortIS3_PlS8_PS5_S9_ZN2at6native12_GLOBAL__N_124unique_dim_cuda_templateItEESt5tupleIJNSA_6TensorESF_SF_EERKSF_lbbbEUlllE_EE10hipError_tT0_T1_T2_T3_mRjT4_P12ihipStream_tbNS1_7vsmem_tEEUlT_E_NS1_11comp_targetILNS1_3genE10ELNS1_11target_archE1201ELNS1_3gpuE5ELNS1_3repE0EEENS1_30default_config_static_selectorELNS0_4arch9wavefront6targetE1EEEvSM_,comdat
.Lfunc_end1364:
	.size	_ZN7rocprim17ROCPRIM_400000_NS6detail17trampoline_kernelINS0_14default_configENS1_37merge_sort_block_sort_config_selectorIlNS0_10empty_typeEEEZNS1_21merge_sort_block_sortIS3_PlS8_PS5_S9_ZN2at6native12_GLOBAL__N_124unique_dim_cuda_templateItEESt5tupleIJNSA_6TensorESF_SF_EERKSF_lbbbEUlllE_EE10hipError_tT0_T1_T2_T3_mRjT4_P12ihipStream_tbNS1_7vsmem_tEEUlT_E_NS1_11comp_targetILNS1_3genE10ELNS1_11target_archE1201ELNS1_3gpuE5ELNS1_3repE0EEENS1_30default_config_static_selectorELNS0_4arch9wavefront6targetE1EEEvSM_, .Lfunc_end1364-_ZN7rocprim17ROCPRIM_400000_NS6detail17trampoline_kernelINS0_14default_configENS1_37merge_sort_block_sort_config_selectorIlNS0_10empty_typeEEEZNS1_21merge_sort_block_sortIS3_PlS8_PS5_S9_ZN2at6native12_GLOBAL__N_124unique_dim_cuda_templateItEESt5tupleIJNSA_6TensorESF_SF_EERKSF_lbbbEUlllE_EE10hipError_tT0_T1_T2_T3_mRjT4_P12ihipStream_tbNS1_7vsmem_tEEUlT_E_NS1_11comp_targetILNS1_3genE10ELNS1_11target_archE1201ELNS1_3gpuE5ELNS1_3repE0EEENS1_30default_config_static_selectorELNS0_4arch9wavefront6targetE1EEEvSM_
                                        ; -- End function
	.section	.AMDGPU.csdata,"",@progbits
; Kernel info:
; codeLenInByte = 0
; NumSgprs: 4
; NumVgprs: 0
; NumAgprs: 0
; TotalNumVgprs: 0
; ScratchSize: 0
; MemoryBound: 0
; FloatMode: 240
; IeeeMode: 1
; LDSByteSize: 0 bytes/workgroup (compile time only)
; SGPRBlocks: 0
; VGPRBlocks: 0
; NumSGPRsForWavesPerEU: 4
; NumVGPRsForWavesPerEU: 1
; AccumOffset: 4
; Occupancy: 8
; WaveLimiterHint : 0
; COMPUTE_PGM_RSRC2:SCRATCH_EN: 0
; COMPUTE_PGM_RSRC2:USER_SGPR: 6
; COMPUTE_PGM_RSRC2:TRAP_HANDLER: 0
; COMPUTE_PGM_RSRC2:TGID_X_EN: 1
; COMPUTE_PGM_RSRC2:TGID_Y_EN: 0
; COMPUTE_PGM_RSRC2:TGID_Z_EN: 0
; COMPUTE_PGM_RSRC2:TIDIG_COMP_CNT: 0
; COMPUTE_PGM_RSRC3_GFX90A:ACCUM_OFFSET: 0
; COMPUTE_PGM_RSRC3_GFX90A:TG_SPLIT: 0
	.section	.text._ZN7rocprim17ROCPRIM_400000_NS6detail17trampoline_kernelINS0_14default_configENS1_37merge_sort_block_sort_config_selectorIlNS0_10empty_typeEEEZNS1_21merge_sort_block_sortIS3_PlS8_PS5_S9_ZN2at6native12_GLOBAL__N_124unique_dim_cuda_templateItEESt5tupleIJNSA_6TensorESF_SF_EERKSF_lbbbEUlllE_EE10hipError_tT0_T1_T2_T3_mRjT4_P12ihipStream_tbNS1_7vsmem_tEEUlT_E_NS1_11comp_targetILNS1_3genE10ELNS1_11target_archE1200ELNS1_3gpuE4ELNS1_3repE0EEENS1_30default_config_static_selectorELNS0_4arch9wavefront6targetE1EEEvSM_,"axG",@progbits,_ZN7rocprim17ROCPRIM_400000_NS6detail17trampoline_kernelINS0_14default_configENS1_37merge_sort_block_sort_config_selectorIlNS0_10empty_typeEEEZNS1_21merge_sort_block_sortIS3_PlS8_PS5_S9_ZN2at6native12_GLOBAL__N_124unique_dim_cuda_templateItEESt5tupleIJNSA_6TensorESF_SF_EERKSF_lbbbEUlllE_EE10hipError_tT0_T1_T2_T3_mRjT4_P12ihipStream_tbNS1_7vsmem_tEEUlT_E_NS1_11comp_targetILNS1_3genE10ELNS1_11target_archE1200ELNS1_3gpuE4ELNS1_3repE0EEENS1_30default_config_static_selectorELNS0_4arch9wavefront6targetE1EEEvSM_,comdat
	.globl	_ZN7rocprim17ROCPRIM_400000_NS6detail17trampoline_kernelINS0_14default_configENS1_37merge_sort_block_sort_config_selectorIlNS0_10empty_typeEEEZNS1_21merge_sort_block_sortIS3_PlS8_PS5_S9_ZN2at6native12_GLOBAL__N_124unique_dim_cuda_templateItEESt5tupleIJNSA_6TensorESF_SF_EERKSF_lbbbEUlllE_EE10hipError_tT0_T1_T2_T3_mRjT4_P12ihipStream_tbNS1_7vsmem_tEEUlT_E_NS1_11comp_targetILNS1_3genE10ELNS1_11target_archE1200ELNS1_3gpuE4ELNS1_3repE0EEENS1_30default_config_static_selectorELNS0_4arch9wavefront6targetE1EEEvSM_ ; -- Begin function _ZN7rocprim17ROCPRIM_400000_NS6detail17trampoline_kernelINS0_14default_configENS1_37merge_sort_block_sort_config_selectorIlNS0_10empty_typeEEEZNS1_21merge_sort_block_sortIS3_PlS8_PS5_S9_ZN2at6native12_GLOBAL__N_124unique_dim_cuda_templateItEESt5tupleIJNSA_6TensorESF_SF_EERKSF_lbbbEUlllE_EE10hipError_tT0_T1_T2_T3_mRjT4_P12ihipStream_tbNS1_7vsmem_tEEUlT_E_NS1_11comp_targetILNS1_3genE10ELNS1_11target_archE1200ELNS1_3gpuE4ELNS1_3repE0EEENS1_30default_config_static_selectorELNS0_4arch9wavefront6targetE1EEEvSM_
	.p2align	8
	.type	_ZN7rocprim17ROCPRIM_400000_NS6detail17trampoline_kernelINS0_14default_configENS1_37merge_sort_block_sort_config_selectorIlNS0_10empty_typeEEEZNS1_21merge_sort_block_sortIS3_PlS8_PS5_S9_ZN2at6native12_GLOBAL__N_124unique_dim_cuda_templateItEESt5tupleIJNSA_6TensorESF_SF_EERKSF_lbbbEUlllE_EE10hipError_tT0_T1_T2_T3_mRjT4_P12ihipStream_tbNS1_7vsmem_tEEUlT_E_NS1_11comp_targetILNS1_3genE10ELNS1_11target_archE1200ELNS1_3gpuE4ELNS1_3repE0EEENS1_30default_config_static_selectorELNS0_4arch9wavefront6targetE1EEEvSM_,@function
_ZN7rocprim17ROCPRIM_400000_NS6detail17trampoline_kernelINS0_14default_configENS1_37merge_sort_block_sort_config_selectorIlNS0_10empty_typeEEEZNS1_21merge_sort_block_sortIS3_PlS8_PS5_S9_ZN2at6native12_GLOBAL__N_124unique_dim_cuda_templateItEESt5tupleIJNSA_6TensorESF_SF_EERKSF_lbbbEUlllE_EE10hipError_tT0_T1_T2_T3_mRjT4_P12ihipStream_tbNS1_7vsmem_tEEUlT_E_NS1_11comp_targetILNS1_3genE10ELNS1_11target_archE1200ELNS1_3gpuE4ELNS1_3repE0EEENS1_30default_config_static_selectorELNS0_4arch9wavefront6targetE1EEEvSM_: ; @_ZN7rocprim17ROCPRIM_400000_NS6detail17trampoline_kernelINS0_14default_configENS1_37merge_sort_block_sort_config_selectorIlNS0_10empty_typeEEEZNS1_21merge_sort_block_sortIS3_PlS8_PS5_S9_ZN2at6native12_GLOBAL__N_124unique_dim_cuda_templateItEESt5tupleIJNSA_6TensorESF_SF_EERKSF_lbbbEUlllE_EE10hipError_tT0_T1_T2_T3_mRjT4_P12ihipStream_tbNS1_7vsmem_tEEUlT_E_NS1_11comp_targetILNS1_3genE10ELNS1_11target_archE1200ELNS1_3gpuE4ELNS1_3repE0EEENS1_30default_config_static_selectorELNS0_4arch9wavefront6targetE1EEEvSM_
; %bb.0:
	.section	.rodata,"a",@progbits
	.p2align	6, 0x0
	.amdhsa_kernel _ZN7rocprim17ROCPRIM_400000_NS6detail17trampoline_kernelINS0_14default_configENS1_37merge_sort_block_sort_config_selectorIlNS0_10empty_typeEEEZNS1_21merge_sort_block_sortIS3_PlS8_PS5_S9_ZN2at6native12_GLOBAL__N_124unique_dim_cuda_templateItEESt5tupleIJNSA_6TensorESF_SF_EERKSF_lbbbEUlllE_EE10hipError_tT0_T1_T2_T3_mRjT4_P12ihipStream_tbNS1_7vsmem_tEEUlT_E_NS1_11comp_targetILNS1_3genE10ELNS1_11target_archE1200ELNS1_3gpuE4ELNS1_3repE0EEENS1_30default_config_static_selectorELNS0_4arch9wavefront6targetE1EEEvSM_
		.amdhsa_group_segment_fixed_size 0
		.amdhsa_private_segment_fixed_size 0
		.amdhsa_kernarg_size 72
		.amdhsa_user_sgpr_count 6
		.amdhsa_user_sgpr_private_segment_buffer 1
		.amdhsa_user_sgpr_dispatch_ptr 0
		.amdhsa_user_sgpr_queue_ptr 0
		.amdhsa_user_sgpr_kernarg_segment_ptr 1
		.amdhsa_user_sgpr_dispatch_id 0
		.amdhsa_user_sgpr_flat_scratch_init 0
		.amdhsa_user_sgpr_kernarg_preload_length 0
		.amdhsa_user_sgpr_kernarg_preload_offset 0
		.amdhsa_user_sgpr_private_segment_size 0
		.amdhsa_uses_dynamic_stack 0
		.amdhsa_system_sgpr_private_segment_wavefront_offset 0
		.amdhsa_system_sgpr_workgroup_id_x 1
		.amdhsa_system_sgpr_workgroup_id_y 0
		.amdhsa_system_sgpr_workgroup_id_z 0
		.amdhsa_system_sgpr_workgroup_info 0
		.amdhsa_system_vgpr_workitem_id 0
		.amdhsa_next_free_vgpr 1
		.amdhsa_next_free_sgpr 0
		.amdhsa_accum_offset 4
		.amdhsa_reserve_vcc 0
		.amdhsa_reserve_flat_scratch 0
		.amdhsa_float_round_mode_32 0
		.amdhsa_float_round_mode_16_64 0
		.amdhsa_float_denorm_mode_32 3
		.amdhsa_float_denorm_mode_16_64 3
		.amdhsa_dx10_clamp 1
		.amdhsa_ieee_mode 1
		.amdhsa_fp16_overflow 0
		.amdhsa_tg_split 0
		.amdhsa_exception_fp_ieee_invalid_op 0
		.amdhsa_exception_fp_denorm_src 0
		.amdhsa_exception_fp_ieee_div_zero 0
		.amdhsa_exception_fp_ieee_overflow 0
		.amdhsa_exception_fp_ieee_underflow 0
		.amdhsa_exception_fp_ieee_inexact 0
		.amdhsa_exception_int_div_zero 0
	.end_amdhsa_kernel
	.section	.text._ZN7rocprim17ROCPRIM_400000_NS6detail17trampoline_kernelINS0_14default_configENS1_37merge_sort_block_sort_config_selectorIlNS0_10empty_typeEEEZNS1_21merge_sort_block_sortIS3_PlS8_PS5_S9_ZN2at6native12_GLOBAL__N_124unique_dim_cuda_templateItEESt5tupleIJNSA_6TensorESF_SF_EERKSF_lbbbEUlllE_EE10hipError_tT0_T1_T2_T3_mRjT4_P12ihipStream_tbNS1_7vsmem_tEEUlT_E_NS1_11comp_targetILNS1_3genE10ELNS1_11target_archE1200ELNS1_3gpuE4ELNS1_3repE0EEENS1_30default_config_static_selectorELNS0_4arch9wavefront6targetE1EEEvSM_,"axG",@progbits,_ZN7rocprim17ROCPRIM_400000_NS6detail17trampoline_kernelINS0_14default_configENS1_37merge_sort_block_sort_config_selectorIlNS0_10empty_typeEEEZNS1_21merge_sort_block_sortIS3_PlS8_PS5_S9_ZN2at6native12_GLOBAL__N_124unique_dim_cuda_templateItEESt5tupleIJNSA_6TensorESF_SF_EERKSF_lbbbEUlllE_EE10hipError_tT0_T1_T2_T3_mRjT4_P12ihipStream_tbNS1_7vsmem_tEEUlT_E_NS1_11comp_targetILNS1_3genE10ELNS1_11target_archE1200ELNS1_3gpuE4ELNS1_3repE0EEENS1_30default_config_static_selectorELNS0_4arch9wavefront6targetE1EEEvSM_,comdat
.Lfunc_end1365:
	.size	_ZN7rocprim17ROCPRIM_400000_NS6detail17trampoline_kernelINS0_14default_configENS1_37merge_sort_block_sort_config_selectorIlNS0_10empty_typeEEEZNS1_21merge_sort_block_sortIS3_PlS8_PS5_S9_ZN2at6native12_GLOBAL__N_124unique_dim_cuda_templateItEESt5tupleIJNSA_6TensorESF_SF_EERKSF_lbbbEUlllE_EE10hipError_tT0_T1_T2_T3_mRjT4_P12ihipStream_tbNS1_7vsmem_tEEUlT_E_NS1_11comp_targetILNS1_3genE10ELNS1_11target_archE1200ELNS1_3gpuE4ELNS1_3repE0EEENS1_30default_config_static_selectorELNS0_4arch9wavefront6targetE1EEEvSM_, .Lfunc_end1365-_ZN7rocprim17ROCPRIM_400000_NS6detail17trampoline_kernelINS0_14default_configENS1_37merge_sort_block_sort_config_selectorIlNS0_10empty_typeEEEZNS1_21merge_sort_block_sortIS3_PlS8_PS5_S9_ZN2at6native12_GLOBAL__N_124unique_dim_cuda_templateItEESt5tupleIJNSA_6TensorESF_SF_EERKSF_lbbbEUlllE_EE10hipError_tT0_T1_T2_T3_mRjT4_P12ihipStream_tbNS1_7vsmem_tEEUlT_E_NS1_11comp_targetILNS1_3genE10ELNS1_11target_archE1200ELNS1_3gpuE4ELNS1_3repE0EEENS1_30default_config_static_selectorELNS0_4arch9wavefront6targetE1EEEvSM_
                                        ; -- End function
	.section	.AMDGPU.csdata,"",@progbits
; Kernel info:
; codeLenInByte = 0
; NumSgprs: 4
; NumVgprs: 0
; NumAgprs: 0
; TotalNumVgprs: 0
; ScratchSize: 0
; MemoryBound: 0
; FloatMode: 240
; IeeeMode: 1
; LDSByteSize: 0 bytes/workgroup (compile time only)
; SGPRBlocks: 0
; VGPRBlocks: 0
; NumSGPRsForWavesPerEU: 4
; NumVGPRsForWavesPerEU: 1
; AccumOffset: 4
; Occupancy: 8
; WaveLimiterHint : 0
; COMPUTE_PGM_RSRC2:SCRATCH_EN: 0
; COMPUTE_PGM_RSRC2:USER_SGPR: 6
; COMPUTE_PGM_RSRC2:TRAP_HANDLER: 0
; COMPUTE_PGM_RSRC2:TGID_X_EN: 1
; COMPUTE_PGM_RSRC2:TGID_Y_EN: 0
; COMPUTE_PGM_RSRC2:TGID_Z_EN: 0
; COMPUTE_PGM_RSRC2:TIDIG_COMP_CNT: 0
; COMPUTE_PGM_RSRC3_GFX90A:ACCUM_OFFSET: 0
; COMPUTE_PGM_RSRC3_GFX90A:TG_SPLIT: 0
	.section	.text._ZN7rocprim17ROCPRIM_400000_NS6detail17trampoline_kernelINS0_14default_configENS1_37merge_sort_block_sort_config_selectorIlNS0_10empty_typeEEEZNS1_21merge_sort_block_sortIS3_PlS8_PS5_S9_ZN2at6native12_GLOBAL__N_124unique_dim_cuda_templateItEESt5tupleIJNSA_6TensorESF_SF_EERKSF_lbbbEUlllE_EE10hipError_tT0_T1_T2_T3_mRjT4_P12ihipStream_tbNS1_7vsmem_tEEUlT_E_NS1_11comp_targetILNS1_3genE9ELNS1_11target_archE1100ELNS1_3gpuE3ELNS1_3repE0EEENS1_30default_config_static_selectorELNS0_4arch9wavefront6targetE1EEEvSM_,"axG",@progbits,_ZN7rocprim17ROCPRIM_400000_NS6detail17trampoline_kernelINS0_14default_configENS1_37merge_sort_block_sort_config_selectorIlNS0_10empty_typeEEEZNS1_21merge_sort_block_sortIS3_PlS8_PS5_S9_ZN2at6native12_GLOBAL__N_124unique_dim_cuda_templateItEESt5tupleIJNSA_6TensorESF_SF_EERKSF_lbbbEUlllE_EE10hipError_tT0_T1_T2_T3_mRjT4_P12ihipStream_tbNS1_7vsmem_tEEUlT_E_NS1_11comp_targetILNS1_3genE9ELNS1_11target_archE1100ELNS1_3gpuE3ELNS1_3repE0EEENS1_30default_config_static_selectorELNS0_4arch9wavefront6targetE1EEEvSM_,comdat
	.globl	_ZN7rocprim17ROCPRIM_400000_NS6detail17trampoline_kernelINS0_14default_configENS1_37merge_sort_block_sort_config_selectorIlNS0_10empty_typeEEEZNS1_21merge_sort_block_sortIS3_PlS8_PS5_S9_ZN2at6native12_GLOBAL__N_124unique_dim_cuda_templateItEESt5tupleIJNSA_6TensorESF_SF_EERKSF_lbbbEUlllE_EE10hipError_tT0_T1_T2_T3_mRjT4_P12ihipStream_tbNS1_7vsmem_tEEUlT_E_NS1_11comp_targetILNS1_3genE9ELNS1_11target_archE1100ELNS1_3gpuE3ELNS1_3repE0EEENS1_30default_config_static_selectorELNS0_4arch9wavefront6targetE1EEEvSM_ ; -- Begin function _ZN7rocprim17ROCPRIM_400000_NS6detail17trampoline_kernelINS0_14default_configENS1_37merge_sort_block_sort_config_selectorIlNS0_10empty_typeEEEZNS1_21merge_sort_block_sortIS3_PlS8_PS5_S9_ZN2at6native12_GLOBAL__N_124unique_dim_cuda_templateItEESt5tupleIJNSA_6TensorESF_SF_EERKSF_lbbbEUlllE_EE10hipError_tT0_T1_T2_T3_mRjT4_P12ihipStream_tbNS1_7vsmem_tEEUlT_E_NS1_11comp_targetILNS1_3genE9ELNS1_11target_archE1100ELNS1_3gpuE3ELNS1_3repE0EEENS1_30default_config_static_selectorELNS0_4arch9wavefront6targetE1EEEvSM_
	.p2align	8
	.type	_ZN7rocprim17ROCPRIM_400000_NS6detail17trampoline_kernelINS0_14default_configENS1_37merge_sort_block_sort_config_selectorIlNS0_10empty_typeEEEZNS1_21merge_sort_block_sortIS3_PlS8_PS5_S9_ZN2at6native12_GLOBAL__N_124unique_dim_cuda_templateItEESt5tupleIJNSA_6TensorESF_SF_EERKSF_lbbbEUlllE_EE10hipError_tT0_T1_T2_T3_mRjT4_P12ihipStream_tbNS1_7vsmem_tEEUlT_E_NS1_11comp_targetILNS1_3genE9ELNS1_11target_archE1100ELNS1_3gpuE3ELNS1_3repE0EEENS1_30default_config_static_selectorELNS0_4arch9wavefront6targetE1EEEvSM_,@function
_ZN7rocprim17ROCPRIM_400000_NS6detail17trampoline_kernelINS0_14default_configENS1_37merge_sort_block_sort_config_selectorIlNS0_10empty_typeEEEZNS1_21merge_sort_block_sortIS3_PlS8_PS5_S9_ZN2at6native12_GLOBAL__N_124unique_dim_cuda_templateItEESt5tupleIJNSA_6TensorESF_SF_EERKSF_lbbbEUlllE_EE10hipError_tT0_T1_T2_T3_mRjT4_P12ihipStream_tbNS1_7vsmem_tEEUlT_E_NS1_11comp_targetILNS1_3genE9ELNS1_11target_archE1100ELNS1_3gpuE3ELNS1_3repE0EEENS1_30default_config_static_selectorELNS0_4arch9wavefront6targetE1EEEvSM_: ; @_ZN7rocprim17ROCPRIM_400000_NS6detail17trampoline_kernelINS0_14default_configENS1_37merge_sort_block_sort_config_selectorIlNS0_10empty_typeEEEZNS1_21merge_sort_block_sortIS3_PlS8_PS5_S9_ZN2at6native12_GLOBAL__N_124unique_dim_cuda_templateItEESt5tupleIJNSA_6TensorESF_SF_EERKSF_lbbbEUlllE_EE10hipError_tT0_T1_T2_T3_mRjT4_P12ihipStream_tbNS1_7vsmem_tEEUlT_E_NS1_11comp_targetILNS1_3genE9ELNS1_11target_archE1100ELNS1_3gpuE3ELNS1_3repE0EEENS1_30default_config_static_selectorELNS0_4arch9wavefront6targetE1EEEvSM_
; %bb.0:
	.section	.rodata,"a",@progbits
	.p2align	6, 0x0
	.amdhsa_kernel _ZN7rocprim17ROCPRIM_400000_NS6detail17trampoline_kernelINS0_14default_configENS1_37merge_sort_block_sort_config_selectorIlNS0_10empty_typeEEEZNS1_21merge_sort_block_sortIS3_PlS8_PS5_S9_ZN2at6native12_GLOBAL__N_124unique_dim_cuda_templateItEESt5tupleIJNSA_6TensorESF_SF_EERKSF_lbbbEUlllE_EE10hipError_tT0_T1_T2_T3_mRjT4_P12ihipStream_tbNS1_7vsmem_tEEUlT_E_NS1_11comp_targetILNS1_3genE9ELNS1_11target_archE1100ELNS1_3gpuE3ELNS1_3repE0EEENS1_30default_config_static_selectorELNS0_4arch9wavefront6targetE1EEEvSM_
		.amdhsa_group_segment_fixed_size 0
		.amdhsa_private_segment_fixed_size 0
		.amdhsa_kernarg_size 72
		.amdhsa_user_sgpr_count 6
		.amdhsa_user_sgpr_private_segment_buffer 1
		.amdhsa_user_sgpr_dispatch_ptr 0
		.amdhsa_user_sgpr_queue_ptr 0
		.amdhsa_user_sgpr_kernarg_segment_ptr 1
		.amdhsa_user_sgpr_dispatch_id 0
		.amdhsa_user_sgpr_flat_scratch_init 0
		.amdhsa_user_sgpr_kernarg_preload_length 0
		.amdhsa_user_sgpr_kernarg_preload_offset 0
		.amdhsa_user_sgpr_private_segment_size 0
		.amdhsa_uses_dynamic_stack 0
		.amdhsa_system_sgpr_private_segment_wavefront_offset 0
		.amdhsa_system_sgpr_workgroup_id_x 1
		.amdhsa_system_sgpr_workgroup_id_y 0
		.amdhsa_system_sgpr_workgroup_id_z 0
		.amdhsa_system_sgpr_workgroup_info 0
		.amdhsa_system_vgpr_workitem_id 0
		.amdhsa_next_free_vgpr 1
		.amdhsa_next_free_sgpr 0
		.amdhsa_accum_offset 4
		.amdhsa_reserve_vcc 0
		.amdhsa_reserve_flat_scratch 0
		.amdhsa_float_round_mode_32 0
		.amdhsa_float_round_mode_16_64 0
		.amdhsa_float_denorm_mode_32 3
		.amdhsa_float_denorm_mode_16_64 3
		.amdhsa_dx10_clamp 1
		.amdhsa_ieee_mode 1
		.amdhsa_fp16_overflow 0
		.amdhsa_tg_split 0
		.amdhsa_exception_fp_ieee_invalid_op 0
		.amdhsa_exception_fp_denorm_src 0
		.amdhsa_exception_fp_ieee_div_zero 0
		.amdhsa_exception_fp_ieee_overflow 0
		.amdhsa_exception_fp_ieee_underflow 0
		.amdhsa_exception_fp_ieee_inexact 0
		.amdhsa_exception_int_div_zero 0
	.end_amdhsa_kernel
	.section	.text._ZN7rocprim17ROCPRIM_400000_NS6detail17trampoline_kernelINS0_14default_configENS1_37merge_sort_block_sort_config_selectorIlNS0_10empty_typeEEEZNS1_21merge_sort_block_sortIS3_PlS8_PS5_S9_ZN2at6native12_GLOBAL__N_124unique_dim_cuda_templateItEESt5tupleIJNSA_6TensorESF_SF_EERKSF_lbbbEUlllE_EE10hipError_tT0_T1_T2_T3_mRjT4_P12ihipStream_tbNS1_7vsmem_tEEUlT_E_NS1_11comp_targetILNS1_3genE9ELNS1_11target_archE1100ELNS1_3gpuE3ELNS1_3repE0EEENS1_30default_config_static_selectorELNS0_4arch9wavefront6targetE1EEEvSM_,"axG",@progbits,_ZN7rocprim17ROCPRIM_400000_NS6detail17trampoline_kernelINS0_14default_configENS1_37merge_sort_block_sort_config_selectorIlNS0_10empty_typeEEEZNS1_21merge_sort_block_sortIS3_PlS8_PS5_S9_ZN2at6native12_GLOBAL__N_124unique_dim_cuda_templateItEESt5tupleIJNSA_6TensorESF_SF_EERKSF_lbbbEUlllE_EE10hipError_tT0_T1_T2_T3_mRjT4_P12ihipStream_tbNS1_7vsmem_tEEUlT_E_NS1_11comp_targetILNS1_3genE9ELNS1_11target_archE1100ELNS1_3gpuE3ELNS1_3repE0EEENS1_30default_config_static_selectorELNS0_4arch9wavefront6targetE1EEEvSM_,comdat
.Lfunc_end1366:
	.size	_ZN7rocprim17ROCPRIM_400000_NS6detail17trampoline_kernelINS0_14default_configENS1_37merge_sort_block_sort_config_selectorIlNS0_10empty_typeEEEZNS1_21merge_sort_block_sortIS3_PlS8_PS5_S9_ZN2at6native12_GLOBAL__N_124unique_dim_cuda_templateItEESt5tupleIJNSA_6TensorESF_SF_EERKSF_lbbbEUlllE_EE10hipError_tT0_T1_T2_T3_mRjT4_P12ihipStream_tbNS1_7vsmem_tEEUlT_E_NS1_11comp_targetILNS1_3genE9ELNS1_11target_archE1100ELNS1_3gpuE3ELNS1_3repE0EEENS1_30default_config_static_selectorELNS0_4arch9wavefront6targetE1EEEvSM_, .Lfunc_end1366-_ZN7rocprim17ROCPRIM_400000_NS6detail17trampoline_kernelINS0_14default_configENS1_37merge_sort_block_sort_config_selectorIlNS0_10empty_typeEEEZNS1_21merge_sort_block_sortIS3_PlS8_PS5_S9_ZN2at6native12_GLOBAL__N_124unique_dim_cuda_templateItEESt5tupleIJNSA_6TensorESF_SF_EERKSF_lbbbEUlllE_EE10hipError_tT0_T1_T2_T3_mRjT4_P12ihipStream_tbNS1_7vsmem_tEEUlT_E_NS1_11comp_targetILNS1_3genE9ELNS1_11target_archE1100ELNS1_3gpuE3ELNS1_3repE0EEENS1_30default_config_static_selectorELNS0_4arch9wavefront6targetE1EEEvSM_
                                        ; -- End function
	.section	.AMDGPU.csdata,"",@progbits
; Kernel info:
; codeLenInByte = 0
; NumSgprs: 4
; NumVgprs: 0
; NumAgprs: 0
; TotalNumVgprs: 0
; ScratchSize: 0
; MemoryBound: 0
; FloatMode: 240
; IeeeMode: 1
; LDSByteSize: 0 bytes/workgroup (compile time only)
; SGPRBlocks: 0
; VGPRBlocks: 0
; NumSGPRsForWavesPerEU: 4
; NumVGPRsForWavesPerEU: 1
; AccumOffset: 4
; Occupancy: 8
; WaveLimiterHint : 0
; COMPUTE_PGM_RSRC2:SCRATCH_EN: 0
; COMPUTE_PGM_RSRC2:USER_SGPR: 6
; COMPUTE_PGM_RSRC2:TRAP_HANDLER: 0
; COMPUTE_PGM_RSRC2:TGID_X_EN: 1
; COMPUTE_PGM_RSRC2:TGID_Y_EN: 0
; COMPUTE_PGM_RSRC2:TGID_Z_EN: 0
; COMPUTE_PGM_RSRC2:TIDIG_COMP_CNT: 0
; COMPUTE_PGM_RSRC3_GFX90A:ACCUM_OFFSET: 0
; COMPUTE_PGM_RSRC3_GFX90A:TG_SPLIT: 0
	.section	.text._ZN7rocprim17ROCPRIM_400000_NS6detail17trampoline_kernelINS0_14default_configENS1_37merge_sort_block_sort_config_selectorIlNS0_10empty_typeEEEZNS1_21merge_sort_block_sortIS3_PlS8_PS5_S9_ZN2at6native12_GLOBAL__N_124unique_dim_cuda_templateItEESt5tupleIJNSA_6TensorESF_SF_EERKSF_lbbbEUlllE_EE10hipError_tT0_T1_T2_T3_mRjT4_P12ihipStream_tbNS1_7vsmem_tEEUlT_E_NS1_11comp_targetILNS1_3genE8ELNS1_11target_archE1030ELNS1_3gpuE2ELNS1_3repE0EEENS1_30default_config_static_selectorELNS0_4arch9wavefront6targetE1EEEvSM_,"axG",@progbits,_ZN7rocprim17ROCPRIM_400000_NS6detail17trampoline_kernelINS0_14default_configENS1_37merge_sort_block_sort_config_selectorIlNS0_10empty_typeEEEZNS1_21merge_sort_block_sortIS3_PlS8_PS5_S9_ZN2at6native12_GLOBAL__N_124unique_dim_cuda_templateItEESt5tupleIJNSA_6TensorESF_SF_EERKSF_lbbbEUlllE_EE10hipError_tT0_T1_T2_T3_mRjT4_P12ihipStream_tbNS1_7vsmem_tEEUlT_E_NS1_11comp_targetILNS1_3genE8ELNS1_11target_archE1030ELNS1_3gpuE2ELNS1_3repE0EEENS1_30default_config_static_selectorELNS0_4arch9wavefront6targetE1EEEvSM_,comdat
	.globl	_ZN7rocprim17ROCPRIM_400000_NS6detail17trampoline_kernelINS0_14default_configENS1_37merge_sort_block_sort_config_selectorIlNS0_10empty_typeEEEZNS1_21merge_sort_block_sortIS3_PlS8_PS5_S9_ZN2at6native12_GLOBAL__N_124unique_dim_cuda_templateItEESt5tupleIJNSA_6TensorESF_SF_EERKSF_lbbbEUlllE_EE10hipError_tT0_T1_T2_T3_mRjT4_P12ihipStream_tbNS1_7vsmem_tEEUlT_E_NS1_11comp_targetILNS1_3genE8ELNS1_11target_archE1030ELNS1_3gpuE2ELNS1_3repE0EEENS1_30default_config_static_selectorELNS0_4arch9wavefront6targetE1EEEvSM_ ; -- Begin function _ZN7rocprim17ROCPRIM_400000_NS6detail17trampoline_kernelINS0_14default_configENS1_37merge_sort_block_sort_config_selectorIlNS0_10empty_typeEEEZNS1_21merge_sort_block_sortIS3_PlS8_PS5_S9_ZN2at6native12_GLOBAL__N_124unique_dim_cuda_templateItEESt5tupleIJNSA_6TensorESF_SF_EERKSF_lbbbEUlllE_EE10hipError_tT0_T1_T2_T3_mRjT4_P12ihipStream_tbNS1_7vsmem_tEEUlT_E_NS1_11comp_targetILNS1_3genE8ELNS1_11target_archE1030ELNS1_3gpuE2ELNS1_3repE0EEENS1_30default_config_static_selectorELNS0_4arch9wavefront6targetE1EEEvSM_
	.p2align	8
	.type	_ZN7rocprim17ROCPRIM_400000_NS6detail17trampoline_kernelINS0_14default_configENS1_37merge_sort_block_sort_config_selectorIlNS0_10empty_typeEEEZNS1_21merge_sort_block_sortIS3_PlS8_PS5_S9_ZN2at6native12_GLOBAL__N_124unique_dim_cuda_templateItEESt5tupleIJNSA_6TensorESF_SF_EERKSF_lbbbEUlllE_EE10hipError_tT0_T1_T2_T3_mRjT4_P12ihipStream_tbNS1_7vsmem_tEEUlT_E_NS1_11comp_targetILNS1_3genE8ELNS1_11target_archE1030ELNS1_3gpuE2ELNS1_3repE0EEENS1_30default_config_static_selectorELNS0_4arch9wavefront6targetE1EEEvSM_,@function
_ZN7rocprim17ROCPRIM_400000_NS6detail17trampoline_kernelINS0_14default_configENS1_37merge_sort_block_sort_config_selectorIlNS0_10empty_typeEEEZNS1_21merge_sort_block_sortIS3_PlS8_PS5_S9_ZN2at6native12_GLOBAL__N_124unique_dim_cuda_templateItEESt5tupleIJNSA_6TensorESF_SF_EERKSF_lbbbEUlllE_EE10hipError_tT0_T1_T2_T3_mRjT4_P12ihipStream_tbNS1_7vsmem_tEEUlT_E_NS1_11comp_targetILNS1_3genE8ELNS1_11target_archE1030ELNS1_3gpuE2ELNS1_3repE0EEENS1_30default_config_static_selectorELNS0_4arch9wavefront6targetE1EEEvSM_: ; @_ZN7rocprim17ROCPRIM_400000_NS6detail17trampoline_kernelINS0_14default_configENS1_37merge_sort_block_sort_config_selectorIlNS0_10empty_typeEEEZNS1_21merge_sort_block_sortIS3_PlS8_PS5_S9_ZN2at6native12_GLOBAL__N_124unique_dim_cuda_templateItEESt5tupleIJNSA_6TensorESF_SF_EERKSF_lbbbEUlllE_EE10hipError_tT0_T1_T2_T3_mRjT4_P12ihipStream_tbNS1_7vsmem_tEEUlT_E_NS1_11comp_targetILNS1_3genE8ELNS1_11target_archE1030ELNS1_3gpuE2ELNS1_3repE0EEENS1_30default_config_static_selectorELNS0_4arch9wavefront6targetE1EEEvSM_
; %bb.0:
	.section	.rodata,"a",@progbits
	.p2align	6, 0x0
	.amdhsa_kernel _ZN7rocprim17ROCPRIM_400000_NS6detail17trampoline_kernelINS0_14default_configENS1_37merge_sort_block_sort_config_selectorIlNS0_10empty_typeEEEZNS1_21merge_sort_block_sortIS3_PlS8_PS5_S9_ZN2at6native12_GLOBAL__N_124unique_dim_cuda_templateItEESt5tupleIJNSA_6TensorESF_SF_EERKSF_lbbbEUlllE_EE10hipError_tT0_T1_T2_T3_mRjT4_P12ihipStream_tbNS1_7vsmem_tEEUlT_E_NS1_11comp_targetILNS1_3genE8ELNS1_11target_archE1030ELNS1_3gpuE2ELNS1_3repE0EEENS1_30default_config_static_selectorELNS0_4arch9wavefront6targetE1EEEvSM_
		.amdhsa_group_segment_fixed_size 0
		.amdhsa_private_segment_fixed_size 0
		.amdhsa_kernarg_size 72
		.amdhsa_user_sgpr_count 6
		.amdhsa_user_sgpr_private_segment_buffer 1
		.amdhsa_user_sgpr_dispatch_ptr 0
		.amdhsa_user_sgpr_queue_ptr 0
		.amdhsa_user_sgpr_kernarg_segment_ptr 1
		.amdhsa_user_sgpr_dispatch_id 0
		.amdhsa_user_sgpr_flat_scratch_init 0
		.amdhsa_user_sgpr_kernarg_preload_length 0
		.amdhsa_user_sgpr_kernarg_preload_offset 0
		.amdhsa_user_sgpr_private_segment_size 0
		.amdhsa_uses_dynamic_stack 0
		.amdhsa_system_sgpr_private_segment_wavefront_offset 0
		.amdhsa_system_sgpr_workgroup_id_x 1
		.amdhsa_system_sgpr_workgroup_id_y 0
		.amdhsa_system_sgpr_workgroup_id_z 0
		.amdhsa_system_sgpr_workgroup_info 0
		.amdhsa_system_vgpr_workitem_id 0
		.amdhsa_next_free_vgpr 1
		.amdhsa_next_free_sgpr 0
		.amdhsa_accum_offset 4
		.amdhsa_reserve_vcc 0
		.amdhsa_reserve_flat_scratch 0
		.amdhsa_float_round_mode_32 0
		.amdhsa_float_round_mode_16_64 0
		.amdhsa_float_denorm_mode_32 3
		.amdhsa_float_denorm_mode_16_64 3
		.amdhsa_dx10_clamp 1
		.amdhsa_ieee_mode 1
		.amdhsa_fp16_overflow 0
		.amdhsa_tg_split 0
		.amdhsa_exception_fp_ieee_invalid_op 0
		.amdhsa_exception_fp_denorm_src 0
		.amdhsa_exception_fp_ieee_div_zero 0
		.amdhsa_exception_fp_ieee_overflow 0
		.amdhsa_exception_fp_ieee_underflow 0
		.amdhsa_exception_fp_ieee_inexact 0
		.amdhsa_exception_int_div_zero 0
	.end_amdhsa_kernel
	.section	.text._ZN7rocprim17ROCPRIM_400000_NS6detail17trampoline_kernelINS0_14default_configENS1_37merge_sort_block_sort_config_selectorIlNS0_10empty_typeEEEZNS1_21merge_sort_block_sortIS3_PlS8_PS5_S9_ZN2at6native12_GLOBAL__N_124unique_dim_cuda_templateItEESt5tupleIJNSA_6TensorESF_SF_EERKSF_lbbbEUlllE_EE10hipError_tT0_T1_T2_T3_mRjT4_P12ihipStream_tbNS1_7vsmem_tEEUlT_E_NS1_11comp_targetILNS1_3genE8ELNS1_11target_archE1030ELNS1_3gpuE2ELNS1_3repE0EEENS1_30default_config_static_selectorELNS0_4arch9wavefront6targetE1EEEvSM_,"axG",@progbits,_ZN7rocprim17ROCPRIM_400000_NS6detail17trampoline_kernelINS0_14default_configENS1_37merge_sort_block_sort_config_selectorIlNS0_10empty_typeEEEZNS1_21merge_sort_block_sortIS3_PlS8_PS5_S9_ZN2at6native12_GLOBAL__N_124unique_dim_cuda_templateItEESt5tupleIJNSA_6TensorESF_SF_EERKSF_lbbbEUlllE_EE10hipError_tT0_T1_T2_T3_mRjT4_P12ihipStream_tbNS1_7vsmem_tEEUlT_E_NS1_11comp_targetILNS1_3genE8ELNS1_11target_archE1030ELNS1_3gpuE2ELNS1_3repE0EEENS1_30default_config_static_selectorELNS0_4arch9wavefront6targetE1EEEvSM_,comdat
.Lfunc_end1367:
	.size	_ZN7rocprim17ROCPRIM_400000_NS6detail17trampoline_kernelINS0_14default_configENS1_37merge_sort_block_sort_config_selectorIlNS0_10empty_typeEEEZNS1_21merge_sort_block_sortIS3_PlS8_PS5_S9_ZN2at6native12_GLOBAL__N_124unique_dim_cuda_templateItEESt5tupleIJNSA_6TensorESF_SF_EERKSF_lbbbEUlllE_EE10hipError_tT0_T1_T2_T3_mRjT4_P12ihipStream_tbNS1_7vsmem_tEEUlT_E_NS1_11comp_targetILNS1_3genE8ELNS1_11target_archE1030ELNS1_3gpuE2ELNS1_3repE0EEENS1_30default_config_static_selectorELNS0_4arch9wavefront6targetE1EEEvSM_, .Lfunc_end1367-_ZN7rocprim17ROCPRIM_400000_NS6detail17trampoline_kernelINS0_14default_configENS1_37merge_sort_block_sort_config_selectorIlNS0_10empty_typeEEEZNS1_21merge_sort_block_sortIS3_PlS8_PS5_S9_ZN2at6native12_GLOBAL__N_124unique_dim_cuda_templateItEESt5tupleIJNSA_6TensorESF_SF_EERKSF_lbbbEUlllE_EE10hipError_tT0_T1_T2_T3_mRjT4_P12ihipStream_tbNS1_7vsmem_tEEUlT_E_NS1_11comp_targetILNS1_3genE8ELNS1_11target_archE1030ELNS1_3gpuE2ELNS1_3repE0EEENS1_30default_config_static_selectorELNS0_4arch9wavefront6targetE1EEEvSM_
                                        ; -- End function
	.section	.AMDGPU.csdata,"",@progbits
; Kernel info:
; codeLenInByte = 0
; NumSgprs: 4
; NumVgprs: 0
; NumAgprs: 0
; TotalNumVgprs: 0
; ScratchSize: 0
; MemoryBound: 0
; FloatMode: 240
; IeeeMode: 1
; LDSByteSize: 0 bytes/workgroup (compile time only)
; SGPRBlocks: 0
; VGPRBlocks: 0
; NumSGPRsForWavesPerEU: 4
; NumVGPRsForWavesPerEU: 1
; AccumOffset: 4
; Occupancy: 8
; WaveLimiterHint : 0
; COMPUTE_PGM_RSRC2:SCRATCH_EN: 0
; COMPUTE_PGM_RSRC2:USER_SGPR: 6
; COMPUTE_PGM_RSRC2:TRAP_HANDLER: 0
; COMPUTE_PGM_RSRC2:TGID_X_EN: 1
; COMPUTE_PGM_RSRC2:TGID_Y_EN: 0
; COMPUTE_PGM_RSRC2:TGID_Z_EN: 0
; COMPUTE_PGM_RSRC2:TIDIG_COMP_CNT: 0
; COMPUTE_PGM_RSRC3_GFX90A:ACCUM_OFFSET: 0
; COMPUTE_PGM_RSRC3_GFX90A:TG_SPLIT: 0
	.section	.text._ZN7rocprim17ROCPRIM_400000_NS6detail17trampoline_kernelINS0_14default_configENS1_38merge_sort_block_merge_config_selectorIlNS0_10empty_typeEEEZZNS1_27merge_sort_block_merge_implIS3_PlPS5_mZN2at6native12_GLOBAL__N_124unique_dim_cuda_templateItEESt5tupleIJNSA_6TensorESF_SF_EERKSF_lbbbEUlllE_EE10hipError_tT0_T1_T2_jT3_P12ihipStream_tbPNSt15iterator_traitsISL_E10value_typeEPNSR_ISM_E10value_typeEPSN_NS1_7vsmem_tEENKUlT_SL_SM_SN_E_clIS8_S8_S9_S9_EESK_S10_SL_SM_SN_EUlS10_E_NS1_11comp_targetILNS1_3genE0ELNS1_11target_archE4294967295ELNS1_3gpuE0ELNS1_3repE0EEENS1_48merge_mergepath_partition_config_static_selectorELNS0_4arch9wavefront6targetE1EEEvSM_,"axG",@progbits,_ZN7rocprim17ROCPRIM_400000_NS6detail17trampoline_kernelINS0_14default_configENS1_38merge_sort_block_merge_config_selectorIlNS0_10empty_typeEEEZZNS1_27merge_sort_block_merge_implIS3_PlPS5_mZN2at6native12_GLOBAL__N_124unique_dim_cuda_templateItEESt5tupleIJNSA_6TensorESF_SF_EERKSF_lbbbEUlllE_EE10hipError_tT0_T1_T2_jT3_P12ihipStream_tbPNSt15iterator_traitsISL_E10value_typeEPNSR_ISM_E10value_typeEPSN_NS1_7vsmem_tEENKUlT_SL_SM_SN_E_clIS8_S8_S9_S9_EESK_S10_SL_SM_SN_EUlS10_E_NS1_11comp_targetILNS1_3genE0ELNS1_11target_archE4294967295ELNS1_3gpuE0ELNS1_3repE0EEENS1_48merge_mergepath_partition_config_static_selectorELNS0_4arch9wavefront6targetE1EEEvSM_,comdat
	.globl	_ZN7rocprim17ROCPRIM_400000_NS6detail17trampoline_kernelINS0_14default_configENS1_38merge_sort_block_merge_config_selectorIlNS0_10empty_typeEEEZZNS1_27merge_sort_block_merge_implIS3_PlPS5_mZN2at6native12_GLOBAL__N_124unique_dim_cuda_templateItEESt5tupleIJNSA_6TensorESF_SF_EERKSF_lbbbEUlllE_EE10hipError_tT0_T1_T2_jT3_P12ihipStream_tbPNSt15iterator_traitsISL_E10value_typeEPNSR_ISM_E10value_typeEPSN_NS1_7vsmem_tEENKUlT_SL_SM_SN_E_clIS8_S8_S9_S9_EESK_S10_SL_SM_SN_EUlS10_E_NS1_11comp_targetILNS1_3genE0ELNS1_11target_archE4294967295ELNS1_3gpuE0ELNS1_3repE0EEENS1_48merge_mergepath_partition_config_static_selectorELNS0_4arch9wavefront6targetE1EEEvSM_ ; -- Begin function _ZN7rocprim17ROCPRIM_400000_NS6detail17trampoline_kernelINS0_14default_configENS1_38merge_sort_block_merge_config_selectorIlNS0_10empty_typeEEEZZNS1_27merge_sort_block_merge_implIS3_PlPS5_mZN2at6native12_GLOBAL__N_124unique_dim_cuda_templateItEESt5tupleIJNSA_6TensorESF_SF_EERKSF_lbbbEUlllE_EE10hipError_tT0_T1_T2_jT3_P12ihipStream_tbPNSt15iterator_traitsISL_E10value_typeEPNSR_ISM_E10value_typeEPSN_NS1_7vsmem_tEENKUlT_SL_SM_SN_E_clIS8_S8_S9_S9_EESK_S10_SL_SM_SN_EUlS10_E_NS1_11comp_targetILNS1_3genE0ELNS1_11target_archE4294967295ELNS1_3gpuE0ELNS1_3repE0EEENS1_48merge_mergepath_partition_config_static_selectorELNS0_4arch9wavefront6targetE1EEEvSM_
	.p2align	8
	.type	_ZN7rocprim17ROCPRIM_400000_NS6detail17trampoline_kernelINS0_14default_configENS1_38merge_sort_block_merge_config_selectorIlNS0_10empty_typeEEEZZNS1_27merge_sort_block_merge_implIS3_PlPS5_mZN2at6native12_GLOBAL__N_124unique_dim_cuda_templateItEESt5tupleIJNSA_6TensorESF_SF_EERKSF_lbbbEUlllE_EE10hipError_tT0_T1_T2_jT3_P12ihipStream_tbPNSt15iterator_traitsISL_E10value_typeEPNSR_ISM_E10value_typeEPSN_NS1_7vsmem_tEENKUlT_SL_SM_SN_E_clIS8_S8_S9_S9_EESK_S10_SL_SM_SN_EUlS10_E_NS1_11comp_targetILNS1_3genE0ELNS1_11target_archE4294967295ELNS1_3gpuE0ELNS1_3repE0EEENS1_48merge_mergepath_partition_config_static_selectorELNS0_4arch9wavefront6targetE1EEEvSM_,@function
_ZN7rocprim17ROCPRIM_400000_NS6detail17trampoline_kernelINS0_14default_configENS1_38merge_sort_block_merge_config_selectorIlNS0_10empty_typeEEEZZNS1_27merge_sort_block_merge_implIS3_PlPS5_mZN2at6native12_GLOBAL__N_124unique_dim_cuda_templateItEESt5tupleIJNSA_6TensorESF_SF_EERKSF_lbbbEUlllE_EE10hipError_tT0_T1_T2_jT3_P12ihipStream_tbPNSt15iterator_traitsISL_E10value_typeEPNSR_ISM_E10value_typeEPSN_NS1_7vsmem_tEENKUlT_SL_SM_SN_E_clIS8_S8_S9_S9_EESK_S10_SL_SM_SN_EUlS10_E_NS1_11comp_targetILNS1_3genE0ELNS1_11target_archE4294967295ELNS1_3gpuE0ELNS1_3repE0EEENS1_48merge_mergepath_partition_config_static_selectorELNS0_4arch9wavefront6targetE1EEEvSM_: ; @_ZN7rocprim17ROCPRIM_400000_NS6detail17trampoline_kernelINS0_14default_configENS1_38merge_sort_block_merge_config_selectorIlNS0_10empty_typeEEEZZNS1_27merge_sort_block_merge_implIS3_PlPS5_mZN2at6native12_GLOBAL__N_124unique_dim_cuda_templateItEESt5tupleIJNSA_6TensorESF_SF_EERKSF_lbbbEUlllE_EE10hipError_tT0_T1_T2_jT3_P12ihipStream_tbPNSt15iterator_traitsISL_E10value_typeEPNSR_ISM_E10value_typeEPSN_NS1_7vsmem_tEENKUlT_SL_SM_SN_E_clIS8_S8_S9_S9_EESK_S10_SL_SM_SN_EUlS10_E_NS1_11comp_targetILNS1_3genE0ELNS1_11target_archE4294967295ELNS1_3gpuE0ELNS1_3repE0EEENS1_48merge_mergepath_partition_config_static_selectorELNS0_4arch9wavefront6targetE1EEEvSM_
; %bb.0:
	.section	.rodata,"a",@progbits
	.p2align	6, 0x0
	.amdhsa_kernel _ZN7rocprim17ROCPRIM_400000_NS6detail17trampoline_kernelINS0_14default_configENS1_38merge_sort_block_merge_config_selectorIlNS0_10empty_typeEEEZZNS1_27merge_sort_block_merge_implIS3_PlPS5_mZN2at6native12_GLOBAL__N_124unique_dim_cuda_templateItEESt5tupleIJNSA_6TensorESF_SF_EERKSF_lbbbEUlllE_EE10hipError_tT0_T1_T2_jT3_P12ihipStream_tbPNSt15iterator_traitsISL_E10value_typeEPNSR_ISM_E10value_typeEPSN_NS1_7vsmem_tEENKUlT_SL_SM_SN_E_clIS8_S8_S9_S9_EESK_S10_SL_SM_SN_EUlS10_E_NS1_11comp_targetILNS1_3genE0ELNS1_11target_archE4294967295ELNS1_3gpuE0ELNS1_3repE0EEENS1_48merge_mergepath_partition_config_static_selectorELNS0_4arch9wavefront6targetE1EEEvSM_
		.amdhsa_group_segment_fixed_size 0
		.amdhsa_private_segment_fixed_size 0
		.amdhsa_kernarg_size 56
		.amdhsa_user_sgpr_count 6
		.amdhsa_user_sgpr_private_segment_buffer 1
		.amdhsa_user_sgpr_dispatch_ptr 0
		.amdhsa_user_sgpr_queue_ptr 0
		.amdhsa_user_sgpr_kernarg_segment_ptr 1
		.amdhsa_user_sgpr_dispatch_id 0
		.amdhsa_user_sgpr_flat_scratch_init 0
		.amdhsa_user_sgpr_kernarg_preload_length 0
		.amdhsa_user_sgpr_kernarg_preload_offset 0
		.amdhsa_user_sgpr_private_segment_size 0
		.amdhsa_uses_dynamic_stack 0
		.amdhsa_system_sgpr_private_segment_wavefront_offset 0
		.amdhsa_system_sgpr_workgroup_id_x 1
		.amdhsa_system_sgpr_workgroup_id_y 0
		.amdhsa_system_sgpr_workgroup_id_z 0
		.amdhsa_system_sgpr_workgroup_info 0
		.amdhsa_system_vgpr_workitem_id 0
		.amdhsa_next_free_vgpr 1
		.amdhsa_next_free_sgpr 0
		.amdhsa_accum_offset 4
		.amdhsa_reserve_vcc 0
		.amdhsa_reserve_flat_scratch 0
		.amdhsa_float_round_mode_32 0
		.amdhsa_float_round_mode_16_64 0
		.amdhsa_float_denorm_mode_32 3
		.amdhsa_float_denorm_mode_16_64 3
		.amdhsa_dx10_clamp 1
		.amdhsa_ieee_mode 1
		.amdhsa_fp16_overflow 0
		.amdhsa_tg_split 0
		.amdhsa_exception_fp_ieee_invalid_op 0
		.amdhsa_exception_fp_denorm_src 0
		.amdhsa_exception_fp_ieee_div_zero 0
		.amdhsa_exception_fp_ieee_overflow 0
		.amdhsa_exception_fp_ieee_underflow 0
		.amdhsa_exception_fp_ieee_inexact 0
		.amdhsa_exception_int_div_zero 0
	.end_amdhsa_kernel
	.section	.text._ZN7rocprim17ROCPRIM_400000_NS6detail17trampoline_kernelINS0_14default_configENS1_38merge_sort_block_merge_config_selectorIlNS0_10empty_typeEEEZZNS1_27merge_sort_block_merge_implIS3_PlPS5_mZN2at6native12_GLOBAL__N_124unique_dim_cuda_templateItEESt5tupleIJNSA_6TensorESF_SF_EERKSF_lbbbEUlllE_EE10hipError_tT0_T1_T2_jT3_P12ihipStream_tbPNSt15iterator_traitsISL_E10value_typeEPNSR_ISM_E10value_typeEPSN_NS1_7vsmem_tEENKUlT_SL_SM_SN_E_clIS8_S8_S9_S9_EESK_S10_SL_SM_SN_EUlS10_E_NS1_11comp_targetILNS1_3genE0ELNS1_11target_archE4294967295ELNS1_3gpuE0ELNS1_3repE0EEENS1_48merge_mergepath_partition_config_static_selectorELNS0_4arch9wavefront6targetE1EEEvSM_,"axG",@progbits,_ZN7rocprim17ROCPRIM_400000_NS6detail17trampoline_kernelINS0_14default_configENS1_38merge_sort_block_merge_config_selectorIlNS0_10empty_typeEEEZZNS1_27merge_sort_block_merge_implIS3_PlPS5_mZN2at6native12_GLOBAL__N_124unique_dim_cuda_templateItEESt5tupleIJNSA_6TensorESF_SF_EERKSF_lbbbEUlllE_EE10hipError_tT0_T1_T2_jT3_P12ihipStream_tbPNSt15iterator_traitsISL_E10value_typeEPNSR_ISM_E10value_typeEPSN_NS1_7vsmem_tEENKUlT_SL_SM_SN_E_clIS8_S8_S9_S9_EESK_S10_SL_SM_SN_EUlS10_E_NS1_11comp_targetILNS1_3genE0ELNS1_11target_archE4294967295ELNS1_3gpuE0ELNS1_3repE0EEENS1_48merge_mergepath_partition_config_static_selectorELNS0_4arch9wavefront6targetE1EEEvSM_,comdat
.Lfunc_end1368:
	.size	_ZN7rocprim17ROCPRIM_400000_NS6detail17trampoline_kernelINS0_14default_configENS1_38merge_sort_block_merge_config_selectorIlNS0_10empty_typeEEEZZNS1_27merge_sort_block_merge_implIS3_PlPS5_mZN2at6native12_GLOBAL__N_124unique_dim_cuda_templateItEESt5tupleIJNSA_6TensorESF_SF_EERKSF_lbbbEUlllE_EE10hipError_tT0_T1_T2_jT3_P12ihipStream_tbPNSt15iterator_traitsISL_E10value_typeEPNSR_ISM_E10value_typeEPSN_NS1_7vsmem_tEENKUlT_SL_SM_SN_E_clIS8_S8_S9_S9_EESK_S10_SL_SM_SN_EUlS10_E_NS1_11comp_targetILNS1_3genE0ELNS1_11target_archE4294967295ELNS1_3gpuE0ELNS1_3repE0EEENS1_48merge_mergepath_partition_config_static_selectorELNS0_4arch9wavefront6targetE1EEEvSM_, .Lfunc_end1368-_ZN7rocprim17ROCPRIM_400000_NS6detail17trampoline_kernelINS0_14default_configENS1_38merge_sort_block_merge_config_selectorIlNS0_10empty_typeEEEZZNS1_27merge_sort_block_merge_implIS3_PlPS5_mZN2at6native12_GLOBAL__N_124unique_dim_cuda_templateItEESt5tupleIJNSA_6TensorESF_SF_EERKSF_lbbbEUlllE_EE10hipError_tT0_T1_T2_jT3_P12ihipStream_tbPNSt15iterator_traitsISL_E10value_typeEPNSR_ISM_E10value_typeEPSN_NS1_7vsmem_tEENKUlT_SL_SM_SN_E_clIS8_S8_S9_S9_EESK_S10_SL_SM_SN_EUlS10_E_NS1_11comp_targetILNS1_3genE0ELNS1_11target_archE4294967295ELNS1_3gpuE0ELNS1_3repE0EEENS1_48merge_mergepath_partition_config_static_selectorELNS0_4arch9wavefront6targetE1EEEvSM_
                                        ; -- End function
	.section	.AMDGPU.csdata,"",@progbits
; Kernel info:
; codeLenInByte = 0
; NumSgprs: 4
; NumVgprs: 0
; NumAgprs: 0
; TotalNumVgprs: 0
; ScratchSize: 0
; MemoryBound: 0
; FloatMode: 240
; IeeeMode: 1
; LDSByteSize: 0 bytes/workgroup (compile time only)
; SGPRBlocks: 0
; VGPRBlocks: 0
; NumSGPRsForWavesPerEU: 4
; NumVGPRsForWavesPerEU: 1
; AccumOffset: 4
; Occupancy: 8
; WaveLimiterHint : 0
; COMPUTE_PGM_RSRC2:SCRATCH_EN: 0
; COMPUTE_PGM_RSRC2:USER_SGPR: 6
; COMPUTE_PGM_RSRC2:TRAP_HANDLER: 0
; COMPUTE_PGM_RSRC2:TGID_X_EN: 1
; COMPUTE_PGM_RSRC2:TGID_Y_EN: 0
; COMPUTE_PGM_RSRC2:TGID_Z_EN: 0
; COMPUTE_PGM_RSRC2:TIDIG_COMP_CNT: 0
; COMPUTE_PGM_RSRC3_GFX90A:ACCUM_OFFSET: 0
; COMPUTE_PGM_RSRC3_GFX90A:TG_SPLIT: 0
	.section	.text._ZN7rocprim17ROCPRIM_400000_NS6detail17trampoline_kernelINS0_14default_configENS1_38merge_sort_block_merge_config_selectorIlNS0_10empty_typeEEEZZNS1_27merge_sort_block_merge_implIS3_PlPS5_mZN2at6native12_GLOBAL__N_124unique_dim_cuda_templateItEESt5tupleIJNSA_6TensorESF_SF_EERKSF_lbbbEUlllE_EE10hipError_tT0_T1_T2_jT3_P12ihipStream_tbPNSt15iterator_traitsISL_E10value_typeEPNSR_ISM_E10value_typeEPSN_NS1_7vsmem_tEENKUlT_SL_SM_SN_E_clIS8_S8_S9_S9_EESK_S10_SL_SM_SN_EUlS10_E_NS1_11comp_targetILNS1_3genE10ELNS1_11target_archE1201ELNS1_3gpuE5ELNS1_3repE0EEENS1_48merge_mergepath_partition_config_static_selectorELNS0_4arch9wavefront6targetE1EEEvSM_,"axG",@progbits,_ZN7rocprim17ROCPRIM_400000_NS6detail17trampoline_kernelINS0_14default_configENS1_38merge_sort_block_merge_config_selectorIlNS0_10empty_typeEEEZZNS1_27merge_sort_block_merge_implIS3_PlPS5_mZN2at6native12_GLOBAL__N_124unique_dim_cuda_templateItEESt5tupleIJNSA_6TensorESF_SF_EERKSF_lbbbEUlllE_EE10hipError_tT0_T1_T2_jT3_P12ihipStream_tbPNSt15iterator_traitsISL_E10value_typeEPNSR_ISM_E10value_typeEPSN_NS1_7vsmem_tEENKUlT_SL_SM_SN_E_clIS8_S8_S9_S9_EESK_S10_SL_SM_SN_EUlS10_E_NS1_11comp_targetILNS1_3genE10ELNS1_11target_archE1201ELNS1_3gpuE5ELNS1_3repE0EEENS1_48merge_mergepath_partition_config_static_selectorELNS0_4arch9wavefront6targetE1EEEvSM_,comdat
	.globl	_ZN7rocprim17ROCPRIM_400000_NS6detail17trampoline_kernelINS0_14default_configENS1_38merge_sort_block_merge_config_selectorIlNS0_10empty_typeEEEZZNS1_27merge_sort_block_merge_implIS3_PlPS5_mZN2at6native12_GLOBAL__N_124unique_dim_cuda_templateItEESt5tupleIJNSA_6TensorESF_SF_EERKSF_lbbbEUlllE_EE10hipError_tT0_T1_T2_jT3_P12ihipStream_tbPNSt15iterator_traitsISL_E10value_typeEPNSR_ISM_E10value_typeEPSN_NS1_7vsmem_tEENKUlT_SL_SM_SN_E_clIS8_S8_S9_S9_EESK_S10_SL_SM_SN_EUlS10_E_NS1_11comp_targetILNS1_3genE10ELNS1_11target_archE1201ELNS1_3gpuE5ELNS1_3repE0EEENS1_48merge_mergepath_partition_config_static_selectorELNS0_4arch9wavefront6targetE1EEEvSM_ ; -- Begin function _ZN7rocprim17ROCPRIM_400000_NS6detail17trampoline_kernelINS0_14default_configENS1_38merge_sort_block_merge_config_selectorIlNS0_10empty_typeEEEZZNS1_27merge_sort_block_merge_implIS3_PlPS5_mZN2at6native12_GLOBAL__N_124unique_dim_cuda_templateItEESt5tupleIJNSA_6TensorESF_SF_EERKSF_lbbbEUlllE_EE10hipError_tT0_T1_T2_jT3_P12ihipStream_tbPNSt15iterator_traitsISL_E10value_typeEPNSR_ISM_E10value_typeEPSN_NS1_7vsmem_tEENKUlT_SL_SM_SN_E_clIS8_S8_S9_S9_EESK_S10_SL_SM_SN_EUlS10_E_NS1_11comp_targetILNS1_3genE10ELNS1_11target_archE1201ELNS1_3gpuE5ELNS1_3repE0EEENS1_48merge_mergepath_partition_config_static_selectorELNS0_4arch9wavefront6targetE1EEEvSM_
	.p2align	8
	.type	_ZN7rocprim17ROCPRIM_400000_NS6detail17trampoline_kernelINS0_14default_configENS1_38merge_sort_block_merge_config_selectorIlNS0_10empty_typeEEEZZNS1_27merge_sort_block_merge_implIS3_PlPS5_mZN2at6native12_GLOBAL__N_124unique_dim_cuda_templateItEESt5tupleIJNSA_6TensorESF_SF_EERKSF_lbbbEUlllE_EE10hipError_tT0_T1_T2_jT3_P12ihipStream_tbPNSt15iterator_traitsISL_E10value_typeEPNSR_ISM_E10value_typeEPSN_NS1_7vsmem_tEENKUlT_SL_SM_SN_E_clIS8_S8_S9_S9_EESK_S10_SL_SM_SN_EUlS10_E_NS1_11comp_targetILNS1_3genE10ELNS1_11target_archE1201ELNS1_3gpuE5ELNS1_3repE0EEENS1_48merge_mergepath_partition_config_static_selectorELNS0_4arch9wavefront6targetE1EEEvSM_,@function
_ZN7rocprim17ROCPRIM_400000_NS6detail17trampoline_kernelINS0_14default_configENS1_38merge_sort_block_merge_config_selectorIlNS0_10empty_typeEEEZZNS1_27merge_sort_block_merge_implIS3_PlPS5_mZN2at6native12_GLOBAL__N_124unique_dim_cuda_templateItEESt5tupleIJNSA_6TensorESF_SF_EERKSF_lbbbEUlllE_EE10hipError_tT0_T1_T2_jT3_P12ihipStream_tbPNSt15iterator_traitsISL_E10value_typeEPNSR_ISM_E10value_typeEPSN_NS1_7vsmem_tEENKUlT_SL_SM_SN_E_clIS8_S8_S9_S9_EESK_S10_SL_SM_SN_EUlS10_E_NS1_11comp_targetILNS1_3genE10ELNS1_11target_archE1201ELNS1_3gpuE5ELNS1_3repE0EEENS1_48merge_mergepath_partition_config_static_selectorELNS0_4arch9wavefront6targetE1EEEvSM_: ; @_ZN7rocprim17ROCPRIM_400000_NS6detail17trampoline_kernelINS0_14default_configENS1_38merge_sort_block_merge_config_selectorIlNS0_10empty_typeEEEZZNS1_27merge_sort_block_merge_implIS3_PlPS5_mZN2at6native12_GLOBAL__N_124unique_dim_cuda_templateItEESt5tupleIJNSA_6TensorESF_SF_EERKSF_lbbbEUlllE_EE10hipError_tT0_T1_T2_jT3_P12ihipStream_tbPNSt15iterator_traitsISL_E10value_typeEPNSR_ISM_E10value_typeEPSN_NS1_7vsmem_tEENKUlT_SL_SM_SN_E_clIS8_S8_S9_S9_EESK_S10_SL_SM_SN_EUlS10_E_NS1_11comp_targetILNS1_3genE10ELNS1_11target_archE1201ELNS1_3gpuE5ELNS1_3repE0EEENS1_48merge_mergepath_partition_config_static_selectorELNS0_4arch9wavefront6targetE1EEEvSM_
; %bb.0:
	.section	.rodata,"a",@progbits
	.p2align	6, 0x0
	.amdhsa_kernel _ZN7rocprim17ROCPRIM_400000_NS6detail17trampoline_kernelINS0_14default_configENS1_38merge_sort_block_merge_config_selectorIlNS0_10empty_typeEEEZZNS1_27merge_sort_block_merge_implIS3_PlPS5_mZN2at6native12_GLOBAL__N_124unique_dim_cuda_templateItEESt5tupleIJNSA_6TensorESF_SF_EERKSF_lbbbEUlllE_EE10hipError_tT0_T1_T2_jT3_P12ihipStream_tbPNSt15iterator_traitsISL_E10value_typeEPNSR_ISM_E10value_typeEPSN_NS1_7vsmem_tEENKUlT_SL_SM_SN_E_clIS8_S8_S9_S9_EESK_S10_SL_SM_SN_EUlS10_E_NS1_11comp_targetILNS1_3genE10ELNS1_11target_archE1201ELNS1_3gpuE5ELNS1_3repE0EEENS1_48merge_mergepath_partition_config_static_selectorELNS0_4arch9wavefront6targetE1EEEvSM_
		.amdhsa_group_segment_fixed_size 0
		.amdhsa_private_segment_fixed_size 0
		.amdhsa_kernarg_size 56
		.amdhsa_user_sgpr_count 6
		.amdhsa_user_sgpr_private_segment_buffer 1
		.amdhsa_user_sgpr_dispatch_ptr 0
		.amdhsa_user_sgpr_queue_ptr 0
		.amdhsa_user_sgpr_kernarg_segment_ptr 1
		.amdhsa_user_sgpr_dispatch_id 0
		.amdhsa_user_sgpr_flat_scratch_init 0
		.amdhsa_user_sgpr_kernarg_preload_length 0
		.amdhsa_user_sgpr_kernarg_preload_offset 0
		.amdhsa_user_sgpr_private_segment_size 0
		.amdhsa_uses_dynamic_stack 0
		.amdhsa_system_sgpr_private_segment_wavefront_offset 0
		.amdhsa_system_sgpr_workgroup_id_x 1
		.amdhsa_system_sgpr_workgroup_id_y 0
		.amdhsa_system_sgpr_workgroup_id_z 0
		.amdhsa_system_sgpr_workgroup_info 0
		.amdhsa_system_vgpr_workitem_id 0
		.amdhsa_next_free_vgpr 1
		.amdhsa_next_free_sgpr 0
		.amdhsa_accum_offset 4
		.amdhsa_reserve_vcc 0
		.amdhsa_reserve_flat_scratch 0
		.amdhsa_float_round_mode_32 0
		.amdhsa_float_round_mode_16_64 0
		.amdhsa_float_denorm_mode_32 3
		.amdhsa_float_denorm_mode_16_64 3
		.amdhsa_dx10_clamp 1
		.amdhsa_ieee_mode 1
		.amdhsa_fp16_overflow 0
		.amdhsa_tg_split 0
		.amdhsa_exception_fp_ieee_invalid_op 0
		.amdhsa_exception_fp_denorm_src 0
		.amdhsa_exception_fp_ieee_div_zero 0
		.amdhsa_exception_fp_ieee_overflow 0
		.amdhsa_exception_fp_ieee_underflow 0
		.amdhsa_exception_fp_ieee_inexact 0
		.amdhsa_exception_int_div_zero 0
	.end_amdhsa_kernel
	.section	.text._ZN7rocprim17ROCPRIM_400000_NS6detail17trampoline_kernelINS0_14default_configENS1_38merge_sort_block_merge_config_selectorIlNS0_10empty_typeEEEZZNS1_27merge_sort_block_merge_implIS3_PlPS5_mZN2at6native12_GLOBAL__N_124unique_dim_cuda_templateItEESt5tupleIJNSA_6TensorESF_SF_EERKSF_lbbbEUlllE_EE10hipError_tT0_T1_T2_jT3_P12ihipStream_tbPNSt15iterator_traitsISL_E10value_typeEPNSR_ISM_E10value_typeEPSN_NS1_7vsmem_tEENKUlT_SL_SM_SN_E_clIS8_S8_S9_S9_EESK_S10_SL_SM_SN_EUlS10_E_NS1_11comp_targetILNS1_3genE10ELNS1_11target_archE1201ELNS1_3gpuE5ELNS1_3repE0EEENS1_48merge_mergepath_partition_config_static_selectorELNS0_4arch9wavefront6targetE1EEEvSM_,"axG",@progbits,_ZN7rocprim17ROCPRIM_400000_NS6detail17trampoline_kernelINS0_14default_configENS1_38merge_sort_block_merge_config_selectorIlNS0_10empty_typeEEEZZNS1_27merge_sort_block_merge_implIS3_PlPS5_mZN2at6native12_GLOBAL__N_124unique_dim_cuda_templateItEESt5tupleIJNSA_6TensorESF_SF_EERKSF_lbbbEUlllE_EE10hipError_tT0_T1_T2_jT3_P12ihipStream_tbPNSt15iterator_traitsISL_E10value_typeEPNSR_ISM_E10value_typeEPSN_NS1_7vsmem_tEENKUlT_SL_SM_SN_E_clIS8_S8_S9_S9_EESK_S10_SL_SM_SN_EUlS10_E_NS1_11comp_targetILNS1_3genE10ELNS1_11target_archE1201ELNS1_3gpuE5ELNS1_3repE0EEENS1_48merge_mergepath_partition_config_static_selectorELNS0_4arch9wavefront6targetE1EEEvSM_,comdat
.Lfunc_end1369:
	.size	_ZN7rocprim17ROCPRIM_400000_NS6detail17trampoline_kernelINS0_14default_configENS1_38merge_sort_block_merge_config_selectorIlNS0_10empty_typeEEEZZNS1_27merge_sort_block_merge_implIS3_PlPS5_mZN2at6native12_GLOBAL__N_124unique_dim_cuda_templateItEESt5tupleIJNSA_6TensorESF_SF_EERKSF_lbbbEUlllE_EE10hipError_tT0_T1_T2_jT3_P12ihipStream_tbPNSt15iterator_traitsISL_E10value_typeEPNSR_ISM_E10value_typeEPSN_NS1_7vsmem_tEENKUlT_SL_SM_SN_E_clIS8_S8_S9_S9_EESK_S10_SL_SM_SN_EUlS10_E_NS1_11comp_targetILNS1_3genE10ELNS1_11target_archE1201ELNS1_3gpuE5ELNS1_3repE0EEENS1_48merge_mergepath_partition_config_static_selectorELNS0_4arch9wavefront6targetE1EEEvSM_, .Lfunc_end1369-_ZN7rocprim17ROCPRIM_400000_NS6detail17trampoline_kernelINS0_14default_configENS1_38merge_sort_block_merge_config_selectorIlNS0_10empty_typeEEEZZNS1_27merge_sort_block_merge_implIS3_PlPS5_mZN2at6native12_GLOBAL__N_124unique_dim_cuda_templateItEESt5tupleIJNSA_6TensorESF_SF_EERKSF_lbbbEUlllE_EE10hipError_tT0_T1_T2_jT3_P12ihipStream_tbPNSt15iterator_traitsISL_E10value_typeEPNSR_ISM_E10value_typeEPSN_NS1_7vsmem_tEENKUlT_SL_SM_SN_E_clIS8_S8_S9_S9_EESK_S10_SL_SM_SN_EUlS10_E_NS1_11comp_targetILNS1_3genE10ELNS1_11target_archE1201ELNS1_3gpuE5ELNS1_3repE0EEENS1_48merge_mergepath_partition_config_static_selectorELNS0_4arch9wavefront6targetE1EEEvSM_
                                        ; -- End function
	.section	.AMDGPU.csdata,"",@progbits
; Kernel info:
; codeLenInByte = 0
; NumSgprs: 4
; NumVgprs: 0
; NumAgprs: 0
; TotalNumVgprs: 0
; ScratchSize: 0
; MemoryBound: 0
; FloatMode: 240
; IeeeMode: 1
; LDSByteSize: 0 bytes/workgroup (compile time only)
; SGPRBlocks: 0
; VGPRBlocks: 0
; NumSGPRsForWavesPerEU: 4
; NumVGPRsForWavesPerEU: 1
; AccumOffset: 4
; Occupancy: 8
; WaveLimiterHint : 0
; COMPUTE_PGM_RSRC2:SCRATCH_EN: 0
; COMPUTE_PGM_RSRC2:USER_SGPR: 6
; COMPUTE_PGM_RSRC2:TRAP_HANDLER: 0
; COMPUTE_PGM_RSRC2:TGID_X_EN: 1
; COMPUTE_PGM_RSRC2:TGID_Y_EN: 0
; COMPUTE_PGM_RSRC2:TGID_Z_EN: 0
; COMPUTE_PGM_RSRC2:TIDIG_COMP_CNT: 0
; COMPUTE_PGM_RSRC3_GFX90A:ACCUM_OFFSET: 0
; COMPUTE_PGM_RSRC3_GFX90A:TG_SPLIT: 0
	.section	.text._ZN7rocprim17ROCPRIM_400000_NS6detail17trampoline_kernelINS0_14default_configENS1_38merge_sort_block_merge_config_selectorIlNS0_10empty_typeEEEZZNS1_27merge_sort_block_merge_implIS3_PlPS5_mZN2at6native12_GLOBAL__N_124unique_dim_cuda_templateItEESt5tupleIJNSA_6TensorESF_SF_EERKSF_lbbbEUlllE_EE10hipError_tT0_T1_T2_jT3_P12ihipStream_tbPNSt15iterator_traitsISL_E10value_typeEPNSR_ISM_E10value_typeEPSN_NS1_7vsmem_tEENKUlT_SL_SM_SN_E_clIS8_S8_S9_S9_EESK_S10_SL_SM_SN_EUlS10_E_NS1_11comp_targetILNS1_3genE5ELNS1_11target_archE942ELNS1_3gpuE9ELNS1_3repE0EEENS1_48merge_mergepath_partition_config_static_selectorELNS0_4arch9wavefront6targetE1EEEvSM_,"axG",@progbits,_ZN7rocprim17ROCPRIM_400000_NS6detail17trampoline_kernelINS0_14default_configENS1_38merge_sort_block_merge_config_selectorIlNS0_10empty_typeEEEZZNS1_27merge_sort_block_merge_implIS3_PlPS5_mZN2at6native12_GLOBAL__N_124unique_dim_cuda_templateItEESt5tupleIJNSA_6TensorESF_SF_EERKSF_lbbbEUlllE_EE10hipError_tT0_T1_T2_jT3_P12ihipStream_tbPNSt15iterator_traitsISL_E10value_typeEPNSR_ISM_E10value_typeEPSN_NS1_7vsmem_tEENKUlT_SL_SM_SN_E_clIS8_S8_S9_S9_EESK_S10_SL_SM_SN_EUlS10_E_NS1_11comp_targetILNS1_3genE5ELNS1_11target_archE942ELNS1_3gpuE9ELNS1_3repE0EEENS1_48merge_mergepath_partition_config_static_selectorELNS0_4arch9wavefront6targetE1EEEvSM_,comdat
	.globl	_ZN7rocprim17ROCPRIM_400000_NS6detail17trampoline_kernelINS0_14default_configENS1_38merge_sort_block_merge_config_selectorIlNS0_10empty_typeEEEZZNS1_27merge_sort_block_merge_implIS3_PlPS5_mZN2at6native12_GLOBAL__N_124unique_dim_cuda_templateItEESt5tupleIJNSA_6TensorESF_SF_EERKSF_lbbbEUlllE_EE10hipError_tT0_T1_T2_jT3_P12ihipStream_tbPNSt15iterator_traitsISL_E10value_typeEPNSR_ISM_E10value_typeEPSN_NS1_7vsmem_tEENKUlT_SL_SM_SN_E_clIS8_S8_S9_S9_EESK_S10_SL_SM_SN_EUlS10_E_NS1_11comp_targetILNS1_3genE5ELNS1_11target_archE942ELNS1_3gpuE9ELNS1_3repE0EEENS1_48merge_mergepath_partition_config_static_selectorELNS0_4arch9wavefront6targetE1EEEvSM_ ; -- Begin function _ZN7rocprim17ROCPRIM_400000_NS6detail17trampoline_kernelINS0_14default_configENS1_38merge_sort_block_merge_config_selectorIlNS0_10empty_typeEEEZZNS1_27merge_sort_block_merge_implIS3_PlPS5_mZN2at6native12_GLOBAL__N_124unique_dim_cuda_templateItEESt5tupleIJNSA_6TensorESF_SF_EERKSF_lbbbEUlllE_EE10hipError_tT0_T1_T2_jT3_P12ihipStream_tbPNSt15iterator_traitsISL_E10value_typeEPNSR_ISM_E10value_typeEPSN_NS1_7vsmem_tEENKUlT_SL_SM_SN_E_clIS8_S8_S9_S9_EESK_S10_SL_SM_SN_EUlS10_E_NS1_11comp_targetILNS1_3genE5ELNS1_11target_archE942ELNS1_3gpuE9ELNS1_3repE0EEENS1_48merge_mergepath_partition_config_static_selectorELNS0_4arch9wavefront6targetE1EEEvSM_
	.p2align	8
	.type	_ZN7rocprim17ROCPRIM_400000_NS6detail17trampoline_kernelINS0_14default_configENS1_38merge_sort_block_merge_config_selectorIlNS0_10empty_typeEEEZZNS1_27merge_sort_block_merge_implIS3_PlPS5_mZN2at6native12_GLOBAL__N_124unique_dim_cuda_templateItEESt5tupleIJNSA_6TensorESF_SF_EERKSF_lbbbEUlllE_EE10hipError_tT0_T1_T2_jT3_P12ihipStream_tbPNSt15iterator_traitsISL_E10value_typeEPNSR_ISM_E10value_typeEPSN_NS1_7vsmem_tEENKUlT_SL_SM_SN_E_clIS8_S8_S9_S9_EESK_S10_SL_SM_SN_EUlS10_E_NS1_11comp_targetILNS1_3genE5ELNS1_11target_archE942ELNS1_3gpuE9ELNS1_3repE0EEENS1_48merge_mergepath_partition_config_static_selectorELNS0_4arch9wavefront6targetE1EEEvSM_,@function
_ZN7rocprim17ROCPRIM_400000_NS6detail17trampoline_kernelINS0_14default_configENS1_38merge_sort_block_merge_config_selectorIlNS0_10empty_typeEEEZZNS1_27merge_sort_block_merge_implIS3_PlPS5_mZN2at6native12_GLOBAL__N_124unique_dim_cuda_templateItEESt5tupleIJNSA_6TensorESF_SF_EERKSF_lbbbEUlllE_EE10hipError_tT0_T1_T2_jT3_P12ihipStream_tbPNSt15iterator_traitsISL_E10value_typeEPNSR_ISM_E10value_typeEPSN_NS1_7vsmem_tEENKUlT_SL_SM_SN_E_clIS8_S8_S9_S9_EESK_S10_SL_SM_SN_EUlS10_E_NS1_11comp_targetILNS1_3genE5ELNS1_11target_archE942ELNS1_3gpuE9ELNS1_3repE0EEENS1_48merge_mergepath_partition_config_static_selectorELNS0_4arch9wavefront6targetE1EEEvSM_: ; @_ZN7rocprim17ROCPRIM_400000_NS6detail17trampoline_kernelINS0_14default_configENS1_38merge_sort_block_merge_config_selectorIlNS0_10empty_typeEEEZZNS1_27merge_sort_block_merge_implIS3_PlPS5_mZN2at6native12_GLOBAL__N_124unique_dim_cuda_templateItEESt5tupleIJNSA_6TensorESF_SF_EERKSF_lbbbEUlllE_EE10hipError_tT0_T1_T2_jT3_P12ihipStream_tbPNSt15iterator_traitsISL_E10value_typeEPNSR_ISM_E10value_typeEPSN_NS1_7vsmem_tEENKUlT_SL_SM_SN_E_clIS8_S8_S9_S9_EESK_S10_SL_SM_SN_EUlS10_E_NS1_11comp_targetILNS1_3genE5ELNS1_11target_archE942ELNS1_3gpuE9ELNS1_3repE0EEENS1_48merge_mergepath_partition_config_static_selectorELNS0_4arch9wavefront6targetE1EEEvSM_
; %bb.0:
	.section	.rodata,"a",@progbits
	.p2align	6, 0x0
	.amdhsa_kernel _ZN7rocprim17ROCPRIM_400000_NS6detail17trampoline_kernelINS0_14default_configENS1_38merge_sort_block_merge_config_selectorIlNS0_10empty_typeEEEZZNS1_27merge_sort_block_merge_implIS3_PlPS5_mZN2at6native12_GLOBAL__N_124unique_dim_cuda_templateItEESt5tupleIJNSA_6TensorESF_SF_EERKSF_lbbbEUlllE_EE10hipError_tT0_T1_T2_jT3_P12ihipStream_tbPNSt15iterator_traitsISL_E10value_typeEPNSR_ISM_E10value_typeEPSN_NS1_7vsmem_tEENKUlT_SL_SM_SN_E_clIS8_S8_S9_S9_EESK_S10_SL_SM_SN_EUlS10_E_NS1_11comp_targetILNS1_3genE5ELNS1_11target_archE942ELNS1_3gpuE9ELNS1_3repE0EEENS1_48merge_mergepath_partition_config_static_selectorELNS0_4arch9wavefront6targetE1EEEvSM_
		.amdhsa_group_segment_fixed_size 0
		.amdhsa_private_segment_fixed_size 0
		.amdhsa_kernarg_size 56
		.amdhsa_user_sgpr_count 6
		.amdhsa_user_sgpr_private_segment_buffer 1
		.amdhsa_user_sgpr_dispatch_ptr 0
		.amdhsa_user_sgpr_queue_ptr 0
		.amdhsa_user_sgpr_kernarg_segment_ptr 1
		.amdhsa_user_sgpr_dispatch_id 0
		.amdhsa_user_sgpr_flat_scratch_init 0
		.amdhsa_user_sgpr_kernarg_preload_length 0
		.amdhsa_user_sgpr_kernarg_preload_offset 0
		.amdhsa_user_sgpr_private_segment_size 0
		.amdhsa_uses_dynamic_stack 0
		.amdhsa_system_sgpr_private_segment_wavefront_offset 0
		.amdhsa_system_sgpr_workgroup_id_x 1
		.amdhsa_system_sgpr_workgroup_id_y 0
		.amdhsa_system_sgpr_workgroup_id_z 0
		.amdhsa_system_sgpr_workgroup_info 0
		.amdhsa_system_vgpr_workitem_id 0
		.amdhsa_next_free_vgpr 1
		.amdhsa_next_free_sgpr 0
		.amdhsa_accum_offset 4
		.amdhsa_reserve_vcc 0
		.amdhsa_reserve_flat_scratch 0
		.amdhsa_float_round_mode_32 0
		.amdhsa_float_round_mode_16_64 0
		.amdhsa_float_denorm_mode_32 3
		.amdhsa_float_denorm_mode_16_64 3
		.amdhsa_dx10_clamp 1
		.amdhsa_ieee_mode 1
		.amdhsa_fp16_overflow 0
		.amdhsa_tg_split 0
		.amdhsa_exception_fp_ieee_invalid_op 0
		.amdhsa_exception_fp_denorm_src 0
		.amdhsa_exception_fp_ieee_div_zero 0
		.amdhsa_exception_fp_ieee_overflow 0
		.amdhsa_exception_fp_ieee_underflow 0
		.amdhsa_exception_fp_ieee_inexact 0
		.amdhsa_exception_int_div_zero 0
	.end_amdhsa_kernel
	.section	.text._ZN7rocprim17ROCPRIM_400000_NS6detail17trampoline_kernelINS0_14default_configENS1_38merge_sort_block_merge_config_selectorIlNS0_10empty_typeEEEZZNS1_27merge_sort_block_merge_implIS3_PlPS5_mZN2at6native12_GLOBAL__N_124unique_dim_cuda_templateItEESt5tupleIJNSA_6TensorESF_SF_EERKSF_lbbbEUlllE_EE10hipError_tT0_T1_T2_jT3_P12ihipStream_tbPNSt15iterator_traitsISL_E10value_typeEPNSR_ISM_E10value_typeEPSN_NS1_7vsmem_tEENKUlT_SL_SM_SN_E_clIS8_S8_S9_S9_EESK_S10_SL_SM_SN_EUlS10_E_NS1_11comp_targetILNS1_3genE5ELNS1_11target_archE942ELNS1_3gpuE9ELNS1_3repE0EEENS1_48merge_mergepath_partition_config_static_selectorELNS0_4arch9wavefront6targetE1EEEvSM_,"axG",@progbits,_ZN7rocprim17ROCPRIM_400000_NS6detail17trampoline_kernelINS0_14default_configENS1_38merge_sort_block_merge_config_selectorIlNS0_10empty_typeEEEZZNS1_27merge_sort_block_merge_implIS3_PlPS5_mZN2at6native12_GLOBAL__N_124unique_dim_cuda_templateItEESt5tupleIJNSA_6TensorESF_SF_EERKSF_lbbbEUlllE_EE10hipError_tT0_T1_T2_jT3_P12ihipStream_tbPNSt15iterator_traitsISL_E10value_typeEPNSR_ISM_E10value_typeEPSN_NS1_7vsmem_tEENKUlT_SL_SM_SN_E_clIS8_S8_S9_S9_EESK_S10_SL_SM_SN_EUlS10_E_NS1_11comp_targetILNS1_3genE5ELNS1_11target_archE942ELNS1_3gpuE9ELNS1_3repE0EEENS1_48merge_mergepath_partition_config_static_selectorELNS0_4arch9wavefront6targetE1EEEvSM_,comdat
.Lfunc_end1370:
	.size	_ZN7rocprim17ROCPRIM_400000_NS6detail17trampoline_kernelINS0_14default_configENS1_38merge_sort_block_merge_config_selectorIlNS0_10empty_typeEEEZZNS1_27merge_sort_block_merge_implIS3_PlPS5_mZN2at6native12_GLOBAL__N_124unique_dim_cuda_templateItEESt5tupleIJNSA_6TensorESF_SF_EERKSF_lbbbEUlllE_EE10hipError_tT0_T1_T2_jT3_P12ihipStream_tbPNSt15iterator_traitsISL_E10value_typeEPNSR_ISM_E10value_typeEPSN_NS1_7vsmem_tEENKUlT_SL_SM_SN_E_clIS8_S8_S9_S9_EESK_S10_SL_SM_SN_EUlS10_E_NS1_11comp_targetILNS1_3genE5ELNS1_11target_archE942ELNS1_3gpuE9ELNS1_3repE0EEENS1_48merge_mergepath_partition_config_static_selectorELNS0_4arch9wavefront6targetE1EEEvSM_, .Lfunc_end1370-_ZN7rocprim17ROCPRIM_400000_NS6detail17trampoline_kernelINS0_14default_configENS1_38merge_sort_block_merge_config_selectorIlNS0_10empty_typeEEEZZNS1_27merge_sort_block_merge_implIS3_PlPS5_mZN2at6native12_GLOBAL__N_124unique_dim_cuda_templateItEESt5tupleIJNSA_6TensorESF_SF_EERKSF_lbbbEUlllE_EE10hipError_tT0_T1_T2_jT3_P12ihipStream_tbPNSt15iterator_traitsISL_E10value_typeEPNSR_ISM_E10value_typeEPSN_NS1_7vsmem_tEENKUlT_SL_SM_SN_E_clIS8_S8_S9_S9_EESK_S10_SL_SM_SN_EUlS10_E_NS1_11comp_targetILNS1_3genE5ELNS1_11target_archE942ELNS1_3gpuE9ELNS1_3repE0EEENS1_48merge_mergepath_partition_config_static_selectorELNS0_4arch9wavefront6targetE1EEEvSM_
                                        ; -- End function
	.section	.AMDGPU.csdata,"",@progbits
; Kernel info:
; codeLenInByte = 0
; NumSgprs: 4
; NumVgprs: 0
; NumAgprs: 0
; TotalNumVgprs: 0
; ScratchSize: 0
; MemoryBound: 0
; FloatMode: 240
; IeeeMode: 1
; LDSByteSize: 0 bytes/workgroup (compile time only)
; SGPRBlocks: 0
; VGPRBlocks: 0
; NumSGPRsForWavesPerEU: 4
; NumVGPRsForWavesPerEU: 1
; AccumOffset: 4
; Occupancy: 8
; WaveLimiterHint : 0
; COMPUTE_PGM_RSRC2:SCRATCH_EN: 0
; COMPUTE_PGM_RSRC2:USER_SGPR: 6
; COMPUTE_PGM_RSRC2:TRAP_HANDLER: 0
; COMPUTE_PGM_RSRC2:TGID_X_EN: 1
; COMPUTE_PGM_RSRC2:TGID_Y_EN: 0
; COMPUTE_PGM_RSRC2:TGID_Z_EN: 0
; COMPUTE_PGM_RSRC2:TIDIG_COMP_CNT: 0
; COMPUTE_PGM_RSRC3_GFX90A:ACCUM_OFFSET: 0
; COMPUTE_PGM_RSRC3_GFX90A:TG_SPLIT: 0
	.section	.text._ZN7rocprim17ROCPRIM_400000_NS6detail17trampoline_kernelINS0_14default_configENS1_38merge_sort_block_merge_config_selectorIlNS0_10empty_typeEEEZZNS1_27merge_sort_block_merge_implIS3_PlPS5_mZN2at6native12_GLOBAL__N_124unique_dim_cuda_templateItEESt5tupleIJNSA_6TensorESF_SF_EERKSF_lbbbEUlllE_EE10hipError_tT0_T1_T2_jT3_P12ihipStream_tbPNSt15iterator_traitsISL_E10value_typeEPNSR_ISM_E10value_typeEPSN_NS1_7vsmem_tEENKUlT_SL_SM_SN_E_clIS8_S8_S9_S9_EESK_S10_SL_SM_SN_EUlS10_E_NS1_11comp_targetILNS1_3genE4ELNS1_11target_archE910ELNS1_3gpuE8ELNS1_3repE0EEENS1_48merge_mergepath_partition_config_static_selectorELNS0_4arch9wavefront6targetE1EEEvSM_,"axG",@progbits,_ZN7rocprim17ROCPRIM_400000_NS6detail17trampoline_kernelINS0_14default_configENS1_38merge_sort_block_merge_config_selectorIlNS0_10empty_typeEEEZZNS1_27merge_sort_block_merge_implIS3_PlPS5_mZN2at6native12_GLOBAL__N_124unique_dim_cuda_templateItEESt5tupleIJNSA_6TensorESF_SF_EERKSF_lbbbEUlllE_EE10hipError_tT0_T1_T2_jT3_P12ihipStream_tbPNSt15iterator_traitsISL_E10value_typeEPNSR_ISM_E10value_typeEPSN_NS1_7vsmem_tEENKUlT_SL_SM_SN_E_clIS8_S8_S9_S9_EESK_S10_SL_SM_SN_EUlS10_E_NS1_11comp_targetILNS1_3genE4ELNS1_11target_archE910ELNS1_3gpuE8ELNS1_3repE0EEENS1_48merge_mergepath_partition_config_static_selectorELNS0_4arch9wavefront6targetE1EEEvSM_,comdat
	.globl	_ZN7rocprim17ROCPRIM_400000_NS6detail17trampoline_kernelINS0_14default_configENS1_38merge_sort_block_merge_config_selectorIlNS0_10empty_typeEEEZZNS1_27merge_sort_block_merge_implIS3_PlPS5_mZN2at6native12_GLOBAL__N_124unique_dim_cuda_templateItEESt5tupleIJNSA_6TensorESF_SF_EERKSF_lbbbEUlllE_EE10hipError_tT0_T1_T2_jT3_P12ihipStream_tbPNSt15iterator_traitsISL_E10value_typeEPNSR_ISM_E10value_typeEPSN_NS1_7vsmem_tEENKUlT_SL_SM_SN_E_clIS8_S8_S9_S9_EESK_S10_SL_SM_SN_EUlS10_E_NS1_11comp_targetILNS1_3genE4ELNS1_11target_archE910ELNS1_3gpuE8ELNS1_3repE0EEENS1_48merge_mergepath_partition_config_static_selectorELNS0_4arch9wavefront6targetE1EEEvSM_ ; -- Begin function _ZN7rocprim17ROCPRIM_400000_NS6detail17trampoline_kernelINS0_14default_configENS1_38merge_sort_block_merge_config_selectorIlNS0_10empty_typeEEEZZNS1_27merge_sort_block_merge_implIS3_PlPS5_mZN2at6native12_GLOBAL__N_124unique_dim_cuda_templateItEESt5tupleIJNSA_6TensorESF_SF_EERKSF_lbbbEUlllE_EE10hipError_tT0_T1_T2_jT3_P12ihipStream_tbPNSt15iterator_traitsISL_E10value_typeEPNSR_ISM_E10value_typeEPSN_NS1_7vsmem_tEENKUlT_SL_SM_SN_E_clIS8_S8_S9_S9_EESK_S10_SL_SM_SN_EUlS10_E_NS1_11comp_targetILNS1_3genE4ELNS1_11target_archE910ELNS1_3gpuE8ELNS1_3repE0EEENS1_48merge_mergepath_partition_config_static_selectorELNS0_4arch9wavefront6targetE1EEEvSM_
	.p2align	8
	.type	_ZN7rocprim17ROCPRIM_400000_NS6detail17trampoline_kernelINS0_14default_configENS1_38merge_sort_block_merge_config_selectorIlNS0_10empty_typeEEEZZNS1_27merge_sort_block_merge_implIS3_PlPS5_mZN2at6native12_GLOBAL__N_124unique_dim_cuda_templateItEESt5tupleIJNSA_6TensorESF_SF_EERKSF_lbbbEUlllE_EE10hipError_tT0_T1_T2_jT3_P12ihipStream_tbPNSt15iterator_traitsISL_E10value_typeEPNSR_ISM_E10value_typeEPSN_NS1_7vsmem_tEENKUlT_SL_SM_SN_E_clIS8_S8_S9_S9_EESK_S10_SL_SM_SN_EUlS10_E_NS1_11comp_targetILNS1_3genE4ELNS1_11target_archE910ELNS1_3gpuE8ELNS1_3repE0EEENS1_48merge_mergepath_partition_config_static_selectorELNS0_4arch9wavefront6targetE1EEEvSM_,@function
_ZN7rocprim17ROCPRIM_400000_NS6detail17trampoline_kernelINS0_14default_configENS1_38merge_sort_block_merge_config_selectorIlNS0_10empty_typeEEEZZNS1_27merge_sort_block_merge_implIS3_PlPS5_mZN2at6native12_GLOBAL__N_124unique_dim_cuda_templateItEESt5tupleIJNSA_6TensorESF_SF_EERKSF_lbbbEUlllE_EE10hipError_tT0_T1_T2_jT3_P12ihipStream_tbPNSt15iterator_traitsISL_E10value_typeEPNSR_ISM_E10value_typeEPSN_NS1_7vsmem_tEENKUlT_SL_SM_SN_E_clIS8_S8_S9_S9_EESK_S10_SL_SM_SN_EUlS10_E_NS1_11comp_targetILNS1_3genE4ELNS1_11target_archE910ELNS1_3gpuE8ELNS1_3repE0EEENS1_48merge_mergepath_partition_config_static_selectorELNS0_4arch9wavefront6targetE1EEEvSM_: ; @_ZN7rocprim17ROCPRIM_400000_NS6detail17trampoline_kernelINS0_14default_configENS1_38merge_sort_block_merge_config_selectorIlNS0_10empty_typeEEEZZNS1_27merge_sort_block_merge_implIS3_PlPS5_mZN2at6native12_GLOBAL__N_124unique_dim_cuda_templateItEESt5tupleIJNSA_6TensorESF_SF_EERKSF_lbbbEUlllE_EE10hipError_tT0_T1_T2_jT3_P12ihipStream_tbPNSt15iterator_traitsISL_E10value_typeEPNSR_ISM_E10value_typeEPSN_NS1_7vsmem_tEENKUlT_SL_SM_SN_E_clIS8_S8_S9_S9_EESK_S10_SL_SM_SN_EUlS10_E_NS1_11comp_targetILNS1_3genE4ELNS1_11target_archE910ELNS1_3gpuE8ELNS1_3repE0EEENS1_48merge_mergepath_partition_config_static_selectorELNS0_4arch9wavefront6targetE1EEEvSM_
; %bb.0:
	s_load_dword s0, s[4:5], 0x0
	v_lshl_or_b32 v0, s6, 7, v0
	s_waitcnt lgkmcnt(0)
	v_cmp_gt_u32_e32 vcc, s0, v0
	s_and_saveexec_b64 s[0:1], vcc
	s_cbranch_execz .LBB1371_12
; %bb.1:
	s_load_dwordx4 s[0:3], s[4:5], 0x8
	s_load_dwordx8 s[8:15], s[4:5], 0x18
	v_mov_b32_e32 v5, 0
	s_waitcnt lgkmcnt(0)
	v_mov_b32_e32 v1, s0
	v_alignbit_b32 v1, s1, v1, 9
	v_and_b32_e32 v1, -2, v1
	v_add_u32_e32 v2, -1, v1
	v_sub_u32_e32 v1, 0, v1
	v_and_b32_e32 v4, v0, v1
	v_lshlrev_b64 v[8:9], 10, v[4:5]
	v_mov_b32_e32 v1, s3
	v_cmp_lt_u64_e32 vcc, s[2:3], v[8:9]
	v_mov_b32_e32 v4, s2
	v_and_b32_e32 v6, v2, v0
	v_cndmask_b32_e32 v3, v9, v1, vcc
	v_cndmask_b32_e32 v2, v8, v4, vcc
	v_mov_b32_e32 v7, s1
	v_add_co_u32_e32 v8, vcc, s0, v8
	v_addc_co_u32_e32 v9, vcc, v9, v7, vcc
	v_cmp_lt_u64_e32 vcc, s[2:3], v[8:9]
	v_cndmask_b32_e32 v8, v8, v4, vcc
	v_cndmask_b32_e32 v9, v9, v1, vcc
	v_add_co_u32_e32 v10, vcc, s0, v8
	v_addc_co_u32_e32 v11, vcc, v9, v7, vcc
	v_cmp_lt_u64_e32 vcc, s[2:3], v[10:11]
	v_cndmask_b32_e32 v12, v10, v4, vcc
	v_cndmask_b32_e32 v1, v11, v1, vcc
	v_sub_co_u32_e32 v10, vcc, v12, v2
	v_mov_b32_e32 v7, v5
	v_subb_co_u32_e32 v11, vcc, v1, v3, vcc
	v_lshlrev_b64 v[4:5], 10, v[6:7]
	v_cmp_lt_u64_e32 vcc, v[10:11], v[4:5]
	v_cndmask_b32_e32 v11, v5, v11, vcc
	v_cndmask_b32_e32 v10, v4, v10, vcc
	v_sub_co_u32_e32 v6, vcc, v8, v2
	v_subb_co_u32_e32 v7, vcc, v9, v3, vcc
	v_sub_co_u32_e32 v4, vcc, v8, v12
	v_subb_co_u32_e32 v1, vcc, v9, v1, vcc
	v_add_co_u32_e32 v4, vcc, v10, v4
	v_addc_co_u32_e32 v5, vcc, v11, v1, vcc
	v_cmp_gt_u64_e32 vcc, v[4:5], v[10:11]
	v_cndmask_b32_e64 v5, v5, 0, vcc
	v_cndmask_b32_e64 v4, v4, 0, vcc
	v_cmp_lt_u64_e32 vcc, v[10:11], v[6:7]
	v_cndmask_b32_e32 v7, v7, v11, vcc
	v_cndmask_b32_e32 v6, v6, v10, vcc
	v_cmp_lt_u64_e32 vcc, v[4:5], v[6:7]
	s_and_saveexec_b64 s[6:7], vcc
	s_cbranch_execz .LBB1371_11
; %bb.2:
	v_lshlrev_b64 v[12:13], 3, v[2:3]
	v_mov_b32_e32 v14, s9
	v_add_co_u32_e32 v1, vcc, s8, v12
	v_addc_co_u32_e32 v14, vcc, v14, v13, vcc
	v_lshlrev_b64 v[8:9], 3, v[8:9]
	v_mov_b32_e32 v12, s9
	v_add_co_u32_e32 v13, vcc, s8, v8
	v_addc_co_u32_e32 v12, vcc, v12, v9, vcc
	v_lshlrev_b64 v[8:9], 3, v[10:11]
	v_cmp_gt_i64_e64 s[0:1], s[10:11], 0
	v_add_co_u32_e32 v15, vcc, v13, v8
	v_cndmask_b32_e64 v8, 0, 1, s[0:1]
	v_addc_co_u32_e32 v16, vcc, v12, v9, vcc
	s_mov_b64 s[8:9], 0
	s_lshl_b64 s[16:17], s[10:11], 1
	v_cmp_ne_u32_e64 s[0:1], 1, v8
	s_branch .LBB1371_5
.LBB1371_3:                             ;   in Loop: Header=BB1371_5 Depth=1
	s_or_b64 exec, exec, s[20:21]
.LBB1371_4:                             ;   in Loop: Header=BB1371_5 Depth=1
	v_add_co_u32_e32 v10, vcc, 1, v8
	v_addc_co_u32_e32 v11, vcc, 0, v9, vcc
	v_cndmask_b32_e64 v7, v7, v9, s[18:19]
	v_cndmask_b32_e64 v6, v6, v8, s[18:19]
	;; [unrolled: 1-line block ×4, first 2 shown]
	v_cmp_ge_u64_e32 vcc, v[4:5], v[6:7]
	s_or_b64 s[8:9], vcc, s[8:9]
	s_andn2_b64 exec, exec, s[8:9]
	s_cbranch_execz .LBB1371_10
.LBB1371_5:                             ; =>This Loop Header: Depth=1
                                        ;     Child Loop BB1371_8 Depth 2
	v_add_co_u32_e32 v8, vcc, v6, v4
	v_addc_co_u32_e32 v9, vcc, v7, v5, vcc
	v_lshrrev_b64 v[8:9], 1, v[8:9]
	s_and_b64 vcc, exec, s[0:1]
	s_mov_b64 s[18:19], 0
	s_cbranch_vccnz .LBB1371_4
; %bb.6:                                ;   in Loop: Header=BB1371_5 Depth=1
	v_not_b32_e32 v11, v9
	v_not_b32_e32 v10, v8
	v_lshlrev_b64 v[10:11], 3, v[10:11]
	v_add_co_u32_e32 v10, vcc, v15, v10
	v_addc_co_u32_e32 v11, vcc, v16, v11, vcc
	v_lshlrev_b64 v[12:13], 3, v[8:9]
	v_add_co_u32_e32 v12, vcc, v1, v12
	v_addc_co_u32_e32 v13, vcc, v14, v13, vcc
	global_load_dwordx2 v[10:11], v[10:11], off
	v_pk_mov_b32 v[18:19], s[12:13], s[12:13] op_sel:[0,1]
	global_load_dwordx2 v[12:13], v[12:13], off
	s_mov_b64 s[20:21], 0
	s_mov_b64 s[26:27], s[10:11]
                                        ; implicit-def: $sgpr18_sgpr19
                                        ; implicit-def: $sgpr22_sgpr23
                                        ; implicit-def: $sgpr24_sgpr25
                                        ; implicit-def: $sgpr2_sgpr3
                                        ; implicit-def: $sgpr28_sgpr29
	s_waitcnt vmcnt(1)
	v_mul_lo_u32 v17, s16, v11
	v_mul_lo_u32 v20, s17, v10
	v_mad_u64_u32 v[10:11], s[4:5], s16, v10, v[18:19]
	s_waitcnt vmcnt(0)
	v_mul_lo_u32 v21, s16, v13
	v_mul_lo_u32 v22, s17, v12
	v_mad_u64_u32 v[12:13], s[4:5], s16, v12, v[18:19]
	v_add3_u32 v11, v20, v11, v17
	v_add3_u32 v13, v22, v13, v21
	s_branch .LBB1371_8
.LBB1371_7:                             ;   in Loop: Header=BB1371_8 Depth=2
	s_or_b64 exec, exec, s[30:31]
	s_and_b64 s[4:5], exec, s[22:23]
	s_or_b64 s[20:21], s[4:5], s[20:21]
	s_andn2_b64 s[4:5], s[28:29], exec
	s_and_b64 s[28:29], s[24:25], exec
	s_or_b64 s[28:29], s[4:5], s[28:29]
	s_andn2_b64 s[4:5], s[18:19], exec
	s_and_b64 s[18:19], s[2:3], exec
	s_or_b64 s[18:19], s[4:5], s[18:19]
	s_andn2_b64 exec, exec, s[20:21]
	s_cbranch_execz .LBB1371_3
.LBB1371_8:                             ;   Parent Loop BB1371_5 Depth=1
                                        ; =>  This Inner Loop Header: Depth=2
	global_load_ushort v17, v[10:11], off
	global_load_ushort v18, v[12:13], off
	s_andn2_b64 s[30:31], s[2:3], exec
	s_andn2_b64 s[24:25], s[24:25], exec
	s_or_b64 s[22:23], s[22:23], exec
	s_waitcnt vmcnt(0)
	v_cmp_le_u16_e64 s[2:3], v17, v18
	v_cmp_lt_u16_e32 vcc, v17, v18
	s_and_b64 s[2:3], s[2:3], s[28:29]
	s_or_b64 s[34:35], vcc, s[2:3]
	s_and_b64 s[2:3], s[34:35], exec
	v_cmp_eq_u16_e64 s[4:5], v17, v18
	s_or_b64 s[2:3], s[30:31], s[2:3]
	s_and_saveexec_b64 s[30:31], s[4:5]
	s_cbranch_execz .LBB1371_7
; %bb.9:                                ;   in Loop: Header=BB1371_8 Depth=2
	s_add_u32 s26, s26, -1
	s_addc_u32 s27, s27, -1
	v_add_co_u32_e32 v10, vcc, 2, v10
	s_cmp_eq_u64 s[26:27], 0
	v_addc_co_u32_e32 v11, vcc, 0, v11, vcc
	s_cselect_b64 s[4:5], -1, 0
	v_add_co_u32_e32 v12, vcc, 2, v12
	s_andn2_b64 s[24:25], s[24:25], exec
	s_and_b64 s[28:29], s[34:35], exec
	s_andn2_b64 s[22:23], s[22:23], exec
	s_and_b64 s[4:5], s[4:5], exec
	v_addc_co_u32_e32 v13, vcc, 0, v13, vcc
	s_andn2_b64 s[2:3], s[2:3], exec
	s_or_b64 s[24:25], s[24:25], s[28:29]
	s_or_b64 s[22:23], s[22:23], s[4:5]
                                        ; implicit-def: $sgpr28_sgpr29
	s_branch .LBB1371_7
.LBB1371_10:
	s_or_b64 exec, exec, s[8:9]
.LBB1371_11:
	s_or_b64 exec, exec, s[6:7]
	v_add_co_u32_e32 v2, vcc, v4, v2
	v_mov_b32_e32 v1, 0
	v_addc_co_u32_e32 v3, vcc, v5, v3, vcc
	v_lshlrev_b64 v[0:1], 3, v[0:1]
	v_mov_b32_e32 v4, s15
	v_add_co_u32_e32 v0, vcc, s14, v0
	v_addc_co_u32_e32 v1, vcc, v4, v1, vcc
	global_store_dwordx2 v[0:1], v[2:3], off
.LBB1371_12:
	s_endpgm
	.section	.rodata,"a",@progbits
	.p2align	6, 0x0
	.amdhsa_kernel _ZN7rocprim17ROCPRIM_400000_NS6detail17trampoline_kernelINS0_14default_configENS1_38merge_sort_block_merge_config_selectorIlNS0_10empty_typeEEEZZNS1_27merge_sort_block_merge_implIS3_PlPS5_mZN2at6native12_GLOBAL__N_124unique_dim_cuda_templateItEESt5tupleIJNSA_6TensorESF_SF_EERKSF_lbbbEUlllE_EE10hipError_tT0_T1_T2_jT3_P12ihipStream_tbPNSt15iterator_traitsISL_E10value_typeEPNSR_ISM_E10value_typeEPSN_NS1_7vsmem_tEENKUlT_SL_SM_SN_E_clIS8_S8_S9_S9_EESK_S10_SL_SM_SN_EUlS10_E_NS1_11comp_targetILNS1_3genE4ELNS1_11target_archE910ELNS1_3gpuE8ELNS1_3repE0EEENS1_48merge_mergepath_partition_config_static_selectorELNS0_4arch9wavefront6targetE1EEEvSM_
		.amdhsa_group_segment_fixed_size 0
		.amdhsa_private_segment_fixed_size 0
		.amdhsa_kernarg_size 56
		.amdhsa_user_sgpr_count 6
		.amdhsa_user_sgpr_private_segment_buffer 1
		.amdhsa_user_sgpr_dispatch_ptr 0
		.amdhsa_user_sgpr_queue_ptr 0
		.amdhsa_user_sgpr_kernarg_segment_ptr 1
		.amdhsa_user_sgpr_dispatch_id 0
		.amdhsa_user_sgpr_flat_scratch_init 0
		.amdhsa_user_sgpr_kernarg_preload_length 0
		.amdhsa_user_sgpr_kernarg_preload_offset 0
		.amdhsa_user_sgpr_private_segment_size 0
		.amdhsa_uses_dynamic_stack 0
		.amdhsa_system_sgpr_private_segment_wavefront_offset 0
		.amdhsa_system_sgpr_workgroup_id_x 1
		.amdhsa_system_sgpr_workgroup_id_y 0
		.amdhsa_system_sgpr_workgroup_id_z 0
		.amdhsa_system_sgpr_workgroup_info 0
		.amdhsa_system_vgpr_workitem_id 0
		.amdhsa_next_free_vgpr 23
		.amdhsa_next_free_sgpr 36
		.amdhsa_accum_offset 24
		.amdhsa_reserve_vcc 1
		.amdhsa_reserve_flat_scratch 0
		.amdhsa_float_round_mode_32 0
		.amdhsa_float_round_mode_16_64 0
		.amdhsa_float_denorm_mode_32 3
		.amdhsa_float_denorm_mode_16_64 3
		.amdhsa_dx10_clamp 1
		.amdhsa_ieee_mode 1
		.amdhsa_fp16_overflow 0
		.amdhsa_tg_split 0
		.amdhsa_exception_fp_ieee_invalid_op 0
		.amdhsa_exception_fp_denorm_src 0
		.amdhsa_exception_fp_ieee_div_zero 0
		.amdhsa_exception_fp_ieee_overflow 0
		.amdhsa_exception_fp_ieee_underflow 0
		.amdhsa_exception_fp_ieee_inexact 0
		.amdhsa_exception_int_div_zero 0
	.end_amdhsa_kernel
	.section	.text._ZN7rocprim17ROCPRIM_400000_NS6detail17trampoline_kernelINS0_14default_configENS1_38merge_sort_block_merge_config_selectorIlNS0_10empty_typeEEEZZNS1_27merge_sort_block_merge_implIS3_PlPS5_mZN2at6native12_GLOBAL__N_124unique_dim_cuda_templateItEESt5tupleIJNSA_6TensorESF_SF_EERKSF_lbbbEUlllE_EE10hipError_tT0_T1_T2_jT3_P12ihipStream_tbPNSt15iterator_traitsISL_E10value_typeEPNSR_ISM_E10value_typeEPSN_NS1_7vsmem_tEENKUlT_SL_SM_SN_E_clIS8_S8_S9_S9_EESK_S10_SL_SM_SN_EUlS10_E_NS1_11comp_targetILNS1_3genE4ELNS1_11target_archE910ELNS1_3gpuE8ELNS1_3repE0EEENS1_48merge_mergepath_partition_config_static_selectorELNS0_4arch9wavefront6targetE1EEEvSM_,"axG",@progbits,_ZN7rocprim17ROCPRIM_400000_NS6detail17trampoline_kernelINS0_14default_configENS1_38merge_sort_block_merge_config_selectorIlNS0_10empty_typeEEEZZNS1_27merge_sort_block_merge_implIS3_PlPS5_mZN2at6native12_GLOBAL__N_124unique_dim_cuda_templateItEESt5tupleIJNSA_6TensorESF_SF_EERKSF_lbbbEUlllE_EE10hipError_tT0_T1_T2_jT3_P12ihipStream_tbPNSt15iterator_traitsISL_E10value_typeEPNSR_ISM_E10value_typeEPSN_NS1_7vsmem_tEENKUlT_SL_SM_SN_E_clIS8_S8_S9_S9_EESK_S10_SL_SM_SN_EUlS10_E_NS1_11comp_targetILNS1_3genE4ELNS1_11target_archE910ELNS1_3gpuE8ELNS1_3repE0EEENS1_48merge_mergepath_partition_config_static_selectorELNS0_4arch9wavefront6targetE1EEEvSM_,comdat
.Lfunc_end1371:
	.size	_ZN7rocprim17ROCPRIM_400000_NS6detail17trampoline_kernelINS0_14default_configENS1_38merge_sort_block_merge_config_selectorIlNS0_10empty_typeEEEZZNS1_27merge_sort_block_merge_implIS3_PlPS5_mZN2at6native12_GLOBAL__N_124unique_dim_cuda_templateItEESt5tupleIJNSA_6TensorESF_SF_EERKSF_lbbbEUlllE_EE10hipError_tT0_T1_T2_jT3_P12ihipStream_tbPNSt15iterator_traitsISL_E10value_typeEPNSR_ISM_E10value_typeEPSN_NS1_7vsmem_tEENKUlT_SL_SM_SN_E_clIS8_S8_S9_S9_EESK_S10_SL_SM_SN_EUlS10_E_NS1_11comp_targetILNS1_3genE4ELNS1_11target_archE910ELNS1_3gpuE8ELNS1_3repE0EEENS1_48merge_mergepath_partition_config_static_selectorELNS0_4arch9wavefront6targetE1EEEvSM_, .Lfunc_end1371-_ZN7rocprim17ROCPRIM_400000_NS6detail17trampoline_kernelINS0_14default_configENS1_38merge_sort_block_merge_config_selectorIlNS0_10empty_typeEEEZZNS1_27merge_sort_block_merge_implIS3_PlPS5_mZN2at6native12_GLOBAL__N_124unique_dim_cuda_templateItEESt5tupleIJNSA_6TensorESF_SF_EERKSF_lbbbEUlllE_EE10hipError_tT0_T1_T2_jT3_P12ihipStream_tbPNSt15iterator_traitsISL_E10value_typeEPNSR_ISM_E10value_typeEPSN_NS1_7vsmem_tEENKUlT_SL_SM_SN_E_clIS8_S8_S9_S9_EESK_S10_SL_SM_SN_EUlS10_E_NS1_11comp_targetILNS1_3genE4ELNS1_11target_archE910ELNS1_3gpuE8ELNS1_3repE0EEENS1_48merge_mergepath_partition_config_static_selectorELNS0_4arch9wavefront6targetE1EEEvSM_
                                        ; -- End function
	.section	.AMDGPU.csdata,"",@progbits
; Kernel info:
; codeLenInByte = 824
; NumSgprs: 40
; NumVgprs: 23
; NumAgprs: 0
; TotalNumVgprs: 23
; ScratchSize: 0
; MemoryBound: 0
; FloatMode: 240
; IeeeMode: 1
; LDSByteSize: 0 bytes/workgroup (compile time only)
; SGPRBlocks: 4
; VGPRBlocks: 2
; NumSGPRsForWavesPerEU: 40
; NumVGPRsForWavesPerEU: 23
; AccumOffset: 24
; Occupancy: 8
; WaveLimiterHint : 0
; COMPUTE_PGM_RSRC2:SCRATCH_EN: 0
; COMPUTE_PGM_RSRC2:USER_SGPR: 6
; COMPUTE_PGM_RSRC2:TRAP_HANDLER: 0
; COMPUTE_PGM_RSRC2:TGID_X_EN: 1
; COMPUTE_PGM_RSRC2:TGID_Y_EN: 0
; COMPUTE_PGM_RSRC2:TGID_Z_EN: 0
; COMPUTE_PGM_RSRC2:TIDIG_COMP_CNT: 0
; COMPUTE_PGM_RSRC3_GFX90A:ACCUM_OFFSET: 5
; COMPUTE_PGM_RSRC3_GFX90A:TG_SPLIT: 0
	.section	.text._ZN7rocprim17ROCPRIM_400000_NS6detail17trampoline_kernelINS0_14default_configENS1_38merge_sort_block_merge_config_selectorIlNS0_10empty_typeEEEZZNS1_27merge_sort_block_merge_implIS3_PlPS5_mZN2at6native12_GLOBAL__N_124unique_dim_cuda_templateItEESt5tupleIJNSA_6TensorESF_SF_EERKSF_lbbbEUlllE_EE10hipError_tT0_T1_T2_jT3_P12ihipStream_tbPNSt15iterator_traitsISL_E10value_typeEPNSR_ISM_E10value_typeEPSN_NS1_7vsmem_tEENKUlT_SL_SM_SN_E_clIS8_S8_S9_S9_EESK_S10_SL_SM_SN_EUlS10_E_NS1_11comp_targetILNS1_3genE3ELNS1_11target_archE908ELNS1_3gpuE7ELNS1_3repE0EEENS1_48merge_mergepath_partition_config_static_selectorELNS0_4arch9wavefront6targetE1EEEvSM_,"axG",@progbits,_ZN7rocprim17ROCPRIM_400000_NS6detail17trampoline_kernelINS0_14default_configENS1_38merge_sort_block_merge_config_selectorIlNS0_10empty_typeEEEZZNS1_27merge_sort_block_merge_implIS3_PlPS5_mZN2at6native12_GLOBAL__N_124unique_dim_cuda_templateItEESt5tupleIJNSA_6TensorESF_SF_EERKSF_lbbbEUlllE_EE10hipError_tT0_T1_T2_jT3_P12ihipStream_tbPNSt15iterator_traitsISL_E10value_typeEPNSR_ISM_E10value_typeEPSN_NS1_7vsmem_tEENKUlT_SL_SM_SN_E_clIS8_S8_S9_S9_EESK_S10_SL_SM_SN_EUlS10_E_NS1_11comp_targetILNS1_3genE3ELNS1_11target_archE908ELNS1_3gpuE7ELNS1_3repE0EEENS1_48merge_mergepath_partition_config_static_selectorELNS0_4arch9wavefront6targetE1EEEvSM_,comdat
	.globl	_ZN7rocprim17ROCPRIM_400000_NS6detail17trampoline_kernelINS0_14default_configENS1_38merge_sort_block_merge_config_selectorIlNS0_10empty_typeEEEZZNS1_27merge_sort_block_merge_implIS3_PlPS5_mZN2at6native12_GLOBAL__N_124unique_dim_cuda_templateItEESt5tupleIJNSA_6TensorESF_SF_EERKSF_lbbbEUlllE_EE10hipError_tT0_T1_T2_jT3_P12ihipStream_tbPNSt15iterator_traitsISL_E10value_typeEPNSR_ISM_E10value_typeEPSN_NS1_7vsmem_tEENKUlT_SL_SM_SN_E_clIS8_S8_S9_S9_EESK_S10_SL_SM_SN_EUlS10_E_NS1_11comp_targetILNS1_3genE3ELNS1_11target_archE908ELNS1_3gpuE7ELNS1_3repE0EEENS1_48merge_mergepath_partition_config_static_selectorELNS0_4arch9wavefront6targetE1EEEvSM_ ; -- Begin function _ZN7rocprim17ROCPRIM_400000_NS6detail17trampoline_kernelINS0_14default_configENS1_38merge_sort_block_merge_config_selectorIlNS0_10empty_typeEEEZZNS1_27merge_sort_block_merge_implIS3_PlPS5_mZN2at6native12_GLOBAL__N_124unique_dim_cuda_templateItEESt5tupleIJNSA_6TensorESF_SF_EERKSF_lbbbEUlllE_EE10hipError_tT0_T1_T2_jT3_P12ihipStream_tbPNSt15iterator_traitsISL_E10value_typeEPNSR_ISM_E10value_typeEPSN_NS1_7vsmem_tEENKUlT_SL_SM_SN_E_clIS8_S8_S9_S9_EESK_S10_SL_SM_SN_EUlS10_E_NS1_11comp_targetILNS1_3genE3ELNS1_11target_archE908ELNS1_3gpuE7ELNS1_3repE0EEENS1_48merge_mergepath_partition_config_static_selectorELNS0_4arch9wavefront6targetE1EEEvSM_
	.p2align	8
	.type	_ZN7rocprim17ROCPRIM_400000_NS6detail17trampoline_kernelINS0_14default_configENS1_38merge_sort_block_merge_config_selectorIlNS0_10empty_typeEEEZZNS1_27merge_sort_block_merge_implIS3_PlPS5_mZN2at6native12_GLOBAL__N_124unique_dim_cuda_templateItEESt5tupleIJNSA_6TensorESF_SF_EERKSF_lbbbEUlllE_EE10hipError_tT0_T1_T2_jT3_P12ihipStream_tbPNSt15iterator_traitsISL_E10value_typeEPNSR_ISM_E10value_typeEPSN_NS1_7vsmem_tEENKUlT_SL_SM_SN_E_clIS8_S8_S9_S9_EESK_S10_SL_SM_SN_EUlS10_E_NS1_11comp_targetILNS1_3genE3ELNS1_11target_archE908ELNS1_3gpuE7ELNS1_3repE0EEENS1_48merge_mergepath_partition_config_static_selectorELNS0_4arch9wavefront6targetE1EEEvSM_,@function
_ZN7rocprim17ROCPRIM_400000_NS6detail17trampoline_kernelINS0_14default_configENS1_38merge_sort_block_merge_config_selectorIlNS0_10empty_typeEEEZZNS1_27merge_sort_block_merge_implIS3_PlPS5_mZN2at6native12_GLOBAL__N_124unique_dim_cuda_templateItEESt5tupleIJNSA_6TensorESF_SF_EERKSF_lbbbEUlllE_EE10hipError_tT0_T1_T2_jT3_P12ihipStream_tbPNSt15iterator_traitsISL_E10value_typeEPNSR_ISM_E10value_typeEPSN_NS1_7vsmem_tEENKUlT_SL_SM_SN_E_clIS8_S8_S9_S9_EESK_S10_SL_SM_SN_EUlS10_E_NS1_11comp_targetILNS1_3genE3ELNS1_11target_archE908ELNS1_3gpuE7ELNS1_3repE0EEENS1_48merge_mergepath_partition_config_static_selectorELNS0_4arch9wavefront6targetE1EEEvSM_: ; @_ZN7rocprim17ROCPRIM_400000_NS6detail17trampoline_kernelINS0_14default_configENS1_38merge_sort_block_merge_config_selectorIlNS0_10empty_typeEEEZZNS1_27merge_sort_block_merge_implIS3_PlPS5_mZN2at6native12_GLOBAL__N_124unique_dim_cuda_templateItEESt5tupleIJNSA_6TensorESF_SF_EERKSF_lbbbEUlllE_EE10hipError_tT0_T1_T2_jT3_P12ihipStream_tbPNSt15iterator_traitsISL_E10value_typeEPNSR_ISM_E10value_typeEPSN_NS1_7vsmem_tEENKUlT_SL_SM_SN_E_clIS8_S8_S9_S9_EESK_S10_SL_SM_SN_EUlS10_E_NS1_11comp_targetILNS1_3genE3ELNS1_11target_archE908ELNS1_3gpuE7ELNS1_3repE0EEENS1_48merge_mergepath_partition_config_static_selectorELNS0_4arch9wavefront6targetE1EEEvSM_
; %bb.0:
	.section	.rodata,"a",@progbits
	.p2align	6, 0x0
	.amdhsa_kernel _ZN7rocprim17ROCPRIM_400000_NS6detail17trampoline_kernelINS0_14default_configENS1_38merge_sort_block_merge_config_selectorIlNS0_10empty_typeEEEZZNS1_27merge_sort_block_merge_implIS3_PlPS5_mZN2at6native12_GLOBAL__N_124unique_dim_cuda_templateItEESt5tupleIJNSA_6TensorESF_SF_EERKSF_lbbbEUlllE_EE10hipError_tT0_T1_T2_jT3_P12ihipStream_tbPNSt15iterator_traitsISL_E10value_typeEPNSR_ISM_E10value_typeEPSN_NS1_7vsmem_tEENKUlT_SL_SM_SN_E_clIS8_S8_S9_S9_EESK_S10_SL_SM_SN_EUlS10_E_NS1_11comp_targetILNS1_3genE3ELNS1_11target_archE908ELNS1_3gpuE7ELNS1_3repE0EEENS1_48merge_mergepath_partition_config_static_selectorELNS0_4arch9wavefront6targetE1EEEvSM_
		.amdhsa_group_segment_fixed_size 0
		.amdhsa_private_segment_fixed_size 0
		.amdhsa_kernarg_size 56
		.amdhsa_user_sgpr_count 6
		.amdhsa_user_sgpr_private_segment_buffer 1
		.amdhsa_user_sgpr_dispatch_ptr 0
		.amdhsa_user_sgpr_queue_ptr 0
		.amdhsa_user_sgpr_kernarg_segment_ptr 1
		.amdhsa_user_sgpr_dispatch_id 0
		.amdhsa_user_sgpr_flat_scratch_init 0
		.amdhsa_user_sgpr_kernarg_preload_length 0
		.amdhsa_user_sgpr_kernarg_preload_offset 0
		.amdhsa_user_sgpr_private_segment_size 0
		.amdhsa_uses_dynamic_stack 0
		.amdhsa_system_sgpr_private_segment_wavefront_offset 0
		.amdhsa_system_sgpr_workgroup_id_x 1
		.amdhsa_system_sgpr_workgroup_id_y 0
		.amdhsa_system_sgpr_workgroup_id_z 0
		.amdhsa_system_sgpr_workgroup_info 0
		.amdhsa_system_vgpr_workitem_id 0
		.amdhsa_next_free_vgpr 1
		.amdhsa_next_free_sgpr 0
		.amdhsa_accum_offset 4
		.amdhsa_reserve_vcc 0
		.amdhsa_reserve_flat_scratch 0
		.amdhsa_float_round_mode_32 0
		.amdhsa_float_round_mode_16_64 0
		.amdhsa_float_denorm_mode_32 3
		.amdhsa_float_denorm_mode_16_64 3
		.amdhsa_dx10_clamp 1
		.amdhsa_ieee_mode 1
		.amdhsa_fp16_overflow 0
		.amdhsa_tg_split 0
		.amdhsa_exception_fp_ieee_invalid_op 0
		.amdhsa_exception_fp_denorm_src 0
		.amdhsa_exception_fp_ieee_div_zero 0
		.amdhsa_exception_fp_ieee_overflow 0
		.amdhsa_exception_fp_ieee_underflow 0
		.amdhsa_exception_fp_ieee_inexact 0
		.amdhsa_exception_int_div_zero 0
	.end_amdhsa_kernel
	.section	.text._ZN7rocprim17ROCPRIM_400000_NS6detail17trampoline_kernelINS0_14default_configENS1_38merge_sort_block_merge_config_selectorIlNS0_10empty_typeEEEZZNS1_27merge_sort_block_merge_implIS3_PlPS5_mZN2at6native12_GLOBAL__N_124unique_dim_cuda_templateItEESt5tupleIJNSA_6TensorESF_SF_EERKSF_lbbbEUlllE_EE10hipError_tT0_T1_T2_jT3_P12ihipStream_tbPNSt15iterator_traitsISL_E10value_typeEPNSR_ISM_E10value_typeEPSN_NS1_7vsmem_tEENKUlT_SL_SM_SN_E_clIS8_S8_S9_S9_EESK_S10_SL_SM_SN_EUlS10_E_NS1_11comp_targetILNS1_3genE3ELNS1_11target_archE908ELNS1_3gpuE7ELNS1_3repE0EEENS1_48merge_mergepath_partition_config_static_selectorELNS0_4arch9wavefront6targetE1EEEvSM_,"axG",@progbits,_ZN7rocprim17ROCPRIM_400000_NS6detail17trampoline_kernelINS0_14default_configENS1_38merge_sort_block_merge_config_selectorIlNS0_10empty_typeEEEZZNS1_27merge_sort_block_merge_implIS3_PlPS5_mZN2at6native12_GLOBAL__N_124unique_dim_cuda_templateItEESt5tupleIJNSA_6TensorESF_SF_EERKSF_lbbbEUlllE_EE10hipError_tT0_T1_T2_jT3_P12ihipStream_tbPNSt15iterator_traitsISL_E10value_typeEPNSR_ISM_E10value_typeEPSN_NS1_7vsmem_tEENKUlT_SL_SM_SN_E_clIS8_S8_S9_S9_EESK_S10_SL_SM_SN_EUlS10_E_NS1_11comp_targetILNS1_3genE3ELNS1_11target_archE908ELNS1_3gpuE7ELNS1_3repE0EEENS1_48merge_mergepath_partition_config_static_selectorELNS0_4arch9wavefront6targetE1EEEvSM_,comdat
.Lfunc_end1372:
	.size	_ZN7rocprim17ROCPRIM_400000_NS6detail17trampoline_kernelINS0_14default_configENS1_38merge_sort_block_merge_config_selectorIlNS0_10empty_typeEEEZZNS1_27merge_sort_block_merge_implIS3_PlPS5_mZN2at6native12_GLOBAL__N_124unique_dim_cuda_templateItEESt5tupleIJNSA_6TensorESF_SF_EERKSF_lbbbEUlllE_EE10hipError_tT0_T1_T2_jT3_P12ihipStream_tbPNSt15iterator_traitsISL_E10value_typeEPNSR_ISM_E10value_typeEPSN_NS1_7vsmem_tEENKUlT_SL_SM_SN_E_clIS8_S8_S9_S9_EESK_S10_SL_SM_SN_EUlS10_E_NS1_11comp_targetILNS1_3genE3ELNS1_11target_archE908ELNS1_3gpuE7ELNS1_3repE0EEENS1_48merge_mergepath_partition_config_static_selectorELNS0_4arch9wavefront6targetE1EEEvSM_, .Lfunc_end1372-_ZN7rocprim17ROCPRIM_400000_NS6detail17trampoline_kernelINS0_14default_configENS1_38merge_sort_block_merge_config_selectorIlNS0_10empty_typeEEEZZNS1_27merge_sort_block_merge_implIS3_PlPS5_mZN2at6native12_GLOBAL__N_124unique_dim_cuda_templateItEESt5tupleIJNSA_6TensorESF_SF_EERKSF_lbbbEUlllE_EE10hipError_tT0_T1_T2_jT3_P12ihipStream_tbPNSt15iterator_traitsISL_E10value_typeEPNSR_ISM_E10value_typeEPSN_NS1_7vsmem_tEENKUlT_SL_SM_SN_E_clIS8_S8_S9_S9_EESK_S10_SL_SM_SN_EUlS10_E_NS1_11comp_targetILNS1_3genE3ELNS1_11target_archE908ELNS1_3gpuE7ELNS1_3repE0EEENS1_48merge_mergepath_partition_config_static_selectorELNS0_4arch9wavefront6targetE1EEEvSM_
                                        ; -- End function
	.section	.AMDGPU.csdata,"",@progbits
; Kernel info:
; codeLenInByte = 0
; NumSgprs: 4
; NumVgprs: 0
; NumAgprs: 0
; TotalNumVgprs: 0
; ScratchSize: 0
; MemoryBound: 0
; FloatMode: 240
; IeeeMode: 1
; LDSByteSize: 0 bytes/workgroup (compile time only)
; SGPRBlocks: 0
; VGPRBlocks: 0
; NumSGPRsForWavesPerEU: 4
; NumVGPRsForWavesPerEU: 1
; AccumOffset: 4
; Occupancy: 8
; WaveLimiterHint : 0
; COMPUTE_PGM_RSRC2:SCRATCH_EN: 0
; COMPUTE_PGM_RSRC2:USER_SGPR: 6
; COMPUTE_PGM_RSRC2:TRAP_HANDLER: 0
; COMPUTE_PGM_RSRC2:TGID_X_EN: 1
; COMPUTE_PGM_RSRC2:TGID_Y_EN: 0
; COMPUTE_PGM_RSRC2:TGID_Z_EN: 0
; COMPUTE_PGM_RSRC2:TIDIG_COMP_CNT: 0
; COMPUTE_PGM_RSRC3_GFX90A:ACCUM_OFFSET: 0
; COMPUTE_PGM_RSRC3_GFX90A:TG_SPLIT: 0
	.section	.text._ZN7rocprim17ROCPRIM_400000_NS6detail17trampoline_kernelINS0_14default_configENS1_38merge_sort_block_merge_config_selectorIlNS0_10empty_typeEEEZZNS1_27merge_sort_block_merge_implIS3_PlPS5_mZN2at6native12_GLOBAL__N_124unique_dim_cuda_templateItEESt5tupleIJNSA_6TensorESF_SF_EERKSF_lbbbEUlllE_EE10hipError_tT0_T1_T2_jT3_P12ihipStream_tbPNSt15iterator_traitsISL_E10value_typeEPNSR_ISM_E10value_typeEPSN_NS1_7vsmem_tEENKUlT_SL_SM_SN_E_clIS8_S8_S9_S9_EESK_S10_SL_SM_SN_EUlS10_E_NS1_11comp_targetILNS1_3genE2ELNS1_11target_archE906ELNS1_3gpuE6ELNS1_3repE0EEENS1_48merge_mergepath_partition_config_static_selectorELNS0_4arch9wavefront6targetE1EEEvSM_,"axG",@progbits,_ZN7rocprim17ROCPRIM_400000_NS6detail17trampoline_kernelINS0_14default_configENS1_38merge_sort_block_merge_config_selectorIlNS0_10empty_typeEEEZZNS1_27merge_sort_block_merge_implIS3_PlPS5_mZN2at6native12_GLOBAL__N_124unique_dim_cuda_templateItEESt5tupleIJNSA_6TensorESF_SF_EERKSF_lbbbEUlllE_EE10hipError_tT0_T1_T2_jT3_P12ihipStream_tbPNSt15iterator_traitsISL_E10value_typeEPNSR_ISM_E10value_typeEPSN_NS1_7vsmem_tEENKUlT_SL_SM_SN_E_clIS8_S8_S9_S9_EESK_S10_SL_SM_SN_EUlS10_E_NS1_11comp_targetILNS1_3genE2ELNS1_11target_archE906ELNS1_3gpuE6ELNS1_3repE0EEENS1_48merge_mergepath_partition_config_static_selectorELNS0_4arch9wavefront6targetE1EEEvSM_,comdat
	.globl	_ZN7rocprim17ROCPRIM_400000_NS6detail17trampoline_kernelINS0_14default_configENS1_38merge_sort_block_merge_config_selectorIlNS0_10empty_typeEEEZZNS1_27merge_sort_block_merge_implIS3_PlPS5_mZN2at6native12_GLOBAL__N_124unique_dim_cuda_templateItEESt5tupleIJNSA_6TensorESF_SF_EERKSF_lbbbEUlllE_EE10hipError_tT0_T1_T2_jT3_P12ihipStream_tbPNSt15iterator_traitsISL_E10value_typeEPNSR_ISM_E10value_typeEPSN_NS1_7vsmem_tEENKUlT_SL_SM_SN_E_clIS8_S8_S9_S9_EESK_S10_SL_SM_SN_EUlS10_E_NS1_11comp_targetILNS1_3genE2ELNS1_11target_archE906ELNS1_3gpuE6ELNS1_3repE0EEENS1_48merge_mergepath_partition_config_static_selectorELNS0_4arch9wavefront6targetE1EEEvSM_ ; -- Begin function _ZN7rocprim17ROCPRIM_400000_NS6detail17trampoline_kernelINS0_14default_configENS1_38merge_sort_block_merge_config_selectorIlNS0_10empty_typeEEEZZNS1_27merge_sort_block_merge_implIS3_PlPS5_mZN2at6native12_GLOBAL__N_124unique_dim_cuda_templateItEESt5tupleIJNSA_6TensorESF_SF_EERKSF_lbbbEUlllE_EE10hipError_tT0_T1_T2_jT3_P12ihipStream_tbPNSt15iterator_traitsISL_E10value_typeEPNSR_ISM_E10value_typeEPSN_NS1_7vsmem_tEENKUlT_SL_SM_SN_E_clIS8_S8_S9_S9_EESK_S10_SL_SM_SN_EUlS10_E_NS1_11comp_targetILNS1_3genE2ELNS1_11target_archE906ELNS1_3gpuE6ELNS1_3repE0EEENS1_48merge_mergepath_partition_config_static_selectorELNS0_4arch9wavefront6targetE1EEEvSM_
	.p2align	8
	.type	_ZN7rocprim17ROCPRIM_400000_NS6detail17trampoline_kernelINS0_14default_configENS1_38merge_sort_block_merge_config_selectorIlNS0_10empty_typeEEEZZNS1_27merge_sort_block_merge_implIS3_PlPS5_mZN2at6native12_GLOBAL__N_124unique_dim_cuda_templateItEESt5tupleIJNSA_6TensorESF_SF_EERKSF_lbbbEUlllE_EE10hipError_tT0_T1_T2_jT3_P12ihipStream_tbPNSt15iterator_traitsISL_E10value_typeEPNSR_ISM_E10value_typeEPSN_NS1_7vsmem_tEENKUlT_SL_SM_SN_E_clIS8_S8_S9_S9_EESK_S10_SL_SM_SN_EUlS10_E_NS1_11comp_targetILNS1_3genE2ELNS1_11target_archE906ELNS1_3gpuE6ELNS1_3repE0EEENS1_48merge_mergepath_partition_config_static_selectorELNS0_4arch9wavefront6targetE1EEEvSM_,@function
_ZN7rocprim17ROCPRIM_400000_NS6detail17trampoline_kernelINS0_14default_configENS1_38merge_sort_block_merge_config_selectorIlNS0_10empty_typeEEEZZNS1_27merge_sort_block_merge_implIS3_PlPS5_mZN2at6native12_GLOBAL__N_124unique_dim_cuda_templateItEESt5tupleIJNSA_6TensorESF_SF_EERKSF_lbbbEUlllE_EE10hipError_tT0_T1_T2_jT3_P12ihipStream_tbPNSt15iterator_traitsISL_E10value_typeEPNSR_ISM_E10value_typeEPSN_NS1_7vsmem_tEENKUlT_SL_SM_SN_E_clIS8_S8_S9_S9_EESK_S10_SL_SM_SN_EUlS10_E_NS1_11comp_targetILNS1_3genE2ELNS1_11target_archE906ELNS1_3gpuE6ELNS1_3repE0EEENS1_48merge_mergepath_partition_config_static_selectorELNS0_4arch9wavefront6targetE1EEEvSM_: ; @_ZN7rocprim17ROCPRIM_400000_NS6detail17trampoline_kernelINS0_14default_configENS1_38merge_sort_block_merge_config_selectorIlNS0_10empty_typeEEEZZNS1_27merge_sort_block_merge_implIS3_PlPS5_mZN2at6native12_GLOBAL__N_124unique_dim_cuda_templateItEESt5tupleIJNSA_6TensorESF_SF_EERKSF_lbbbEUlllE_EE10hipError_tT0_T1_T2_jT3_P12ihipStream_tbPNSt15iterator_traitsISL_E10value_typeEPNSR_ISM_E10value_typeEPSN_NS1_7vsmem_tEENKUlT_SL_SM_SN_E_clIS8_S8_S9_S9_EESK_S10_SL_SM_SN_EUlS10_E_NS1_11comp_targetILNS1_3genE2ELNS1_11target_archE906ELNS1_3gpuE6ELNS1_3repE0EEENS1_48merge_mergepath_partition_config_static_selectorELNS0_4arch9wavefront6targetE1EEEvSM_
; %bb.0:
	.section	.rodata,"a",@progbits
	.p2align	6, 0x0
	.amdhsa_kernel _ZN7rocprim17ROCPRIM_400000_NS6detail17trampoline_kernelINS0_14default_configENS1_38merge_sort_block_merge_config_selectorIlNS0_10empty_typeEEEZZNS1_27merge_sort_block_merge_implIS3_PlPS5_mZN2at6native12_GLOBAL__N_124unique_dim_cuda_templateItEESt5tupleIJNSA_6TensorESF_SF_EERKSF_lbbbEUlllE_EE10hipError_tT0_T1_T2_jT3_P12ihipStream_tbPNSt15iterator_traitsISL_E10value_typeEPNSR_ISM_E10value_typeEPSN_NS1_7vsmem_tEENKUlT_SL_SM_SN_E_clIS8_S8_S9_S9_EESK_S10_SL_SM_SN_EUlS10_E_NS1_11comp_targetILNS1_3genE2ELNS1_11target_archE906ELNS1_3gpuE6ELNS1_3repE0EEENS1_48merge_mergepath_partition_config_static_selectorELNS0_4arch9wavefront6targetE1EEEvSM_
		.amdhsa_group_segment_fixed_size 0
		.amdhsa_private_segment_fixed_size 0
		.amdhsa_kernarg_size 56
		.amdhsa_user_sgpr_count 6
		.amdhsa_user_sgpr_private_segment_buffer 1
		.amdhsa_user_sgpr_dispatch_ptr 0
		.amdhsa_user_sgpr_queue_ptr 0
		.amdhsa_user_sgpr_kernarg_segment_ptr 1
		.amdhsa_user_sgpr_dispatch_id 0
		.amdhsa_user_sgpr_flat_scratch_init 0
		.amdhsa_user_sgpr_kernarg_preload_length 0
		.amdhsa_user_sgpr_kernarg_preload_offset 0
		.amdhsa_user_sgpr_private_segment_size 0
		.amdhsa_uses_dynamic_stack 0
		.amdhsa_system_sgpr_private_segment_wavefront_offset 0
		.amdhsa_system_sgpr_workgroup_id_x 1
		.amdhsa_system_sgpr_workgroup_id_y 0
		.amdhsa_system_sgpr_workgroup_id_z 0
		.amdhsa_system_sgpr_workgroup_info 0
		.amdhsa_system_vgpr_workitem_id 0
		.amdhsa_next_free_vgpr 1
		.amdhsa_next_free_sgpr 0
		.amdhsa_accum_offset 4
		.amdhsa_reserve_vcc 0
		.amdhsa_reserve_flat_scratch 0
		.amdhsa_float_round_mode_32 0
		.amdhsa_float_round_mode_16_64 0
		.amdhsa_float_denorm_mode_32 3
		.amdhsa_float_denorm_mode_16_64 3
		.amdhsa_dx10_clamp 1
		.amdhsa_ieee_mode 1
		.amdhsa_fp16_overflow 0
		.amdhsa_tg_split 0
		.amdhsa_exception_fp_ieee_invalid_op 0
		.amdhsa_exception_fp_denorm_src 0
		.amdhsa_exception_fp_ieee_div_zero 0
		.amdhsa_exception_fp_ieee_overflow 0
		.amdhsa_exception_fp_ieee_underflow 0
		.amdhsa_exception_fp_ieee_inexact 0
		.amdhsa_exception_int_div_zero 0
	.end_amdhsa_kernel
	.section	.text._ZN7rocprim17ROCPRIM_400000_NS6detail17trampoline_kernelINS0_14default_configENS1_38merge_sort_block_merge_config_selectorIlNS0_10empty_typeEEEZZNS1_27merge_sort_block_merge_implIS3_PlPS5_mZN2at6native12_GLOBAL__N_124unique_dim_cuda_templateItEESt5tupleIJNSA_6TensorESF_SF_EERKSF_lbbbEUlllE_EE10hipError_tT0_T1_T2_jT3_P12ihipStream_tbPNSt15iterator_traitsISL_E10value_typeEPNSR_ISM_E10value_typeEPSN_NS1_7vsmem_tEENKUlT_SL_SM_SN_E_clIS8_S8_S9_S9_EESK_S10_SL_SM_SN_EUlS10_E_NS1_11comp_targetILNS1_3genE2ELNS1_11target_archE906ELNS1_3gpuE6ELNS1_3repE0EEENS1_48merge_mergepath_partition_config_static_selectorELNS0_4arch9wavefront6targetE1EEEvSM_,"axG",@progbits,_ZN7rocprim17ROCPRIM_400000_NS6detail17trampoline_kernelINS0_14default_configENS1_38merge_sort_block_merge_config_selectorIlNS0_10empty_typeEEEZZNS1_27merge_sort_block_merge_implIS3_PlPS5_mZN2at6native12_GLOBAL__N_124unique_dim_cuda_templateItEESt5tupleIJNSA_6TensorESF_SF_EERKSF_lbbbEUlllE_EE10hipError_tT0_T1_T2_jT3_P12ihipStream_tbPNSt15iterator_traitsISL_E10value_typeEPNSR_ISM_E10value_typeEPSN_NS1_7vsmem_tEENKUlT_SL_SM_SN_E_clIS8_S8_S9_S9_EESK_S10_SL_SM_SN_EUlS10_E_NS1_11comp_targetILNS1_3genE2ELNS1_11target_archE906ELNS1_3gpuE6ELNS1_3repE0EEENS1_48merge_mergepath_partition_config_static_selectorELNS0_4arch9wavefront6targetE1EEEvSM_,comdat
.Lfunc_end1373:
	.size	_ZN7rocprim17ROCPRIM_400000_NS6detail17trampoline_kernelINS0_14default_configENS1_38merge_sort_block_merge_config_selectorIlNS0_10empty_typeEEEZZNS1_27merge_sort_block_merge_implIS3_PlPS5_mZN2at6native12_GLOBAL__N_124unique_dim_cuda_templateItEESt5tupleIJNSA_6TensorESF_SF_EERKSF_lbbbEUlllE_EE10hipError_tT0_T1_T2_jT3_P12ihipStream_tbPNSt15iterator_traitsISL_E10value_typeEPNSR_ISM_E10value_typeEPSN_NS1_7vsmem_tEENKUlT_SL_SM_SN_E_clIS8_S8_S9_S9_EESK_S10_SL_SM_SN_EUlS10_E_NS1_11comp_targetILNS1_3genE2ELNS1_11target_archE906ELNS1_3gpuE6ELNS1_3repE0EEENS1_48merge_mergepath_partition_config_static_selectorELNS0_4arch9wavefront6targetE1EEEvSM_, .Lfunc_end1373-_ZN7rocprim17ROCPRIM_400000_NS6detail17trampoline_kernelINS0_14default_configENS1_38merge_sort_block_merge_config_selectorIlNS0_10empty_typeEEEZZNS1_27merge_sort_block_merge_implIS3_PlPS5_mZN2at6native12_GLOBAL__N_124unique_dim_cuda_templateItEESt5tupleIJNSA_6TensorESF_SF_EERKSF_lbbbEUlllE_EE10hipError_tT0_T1_T2_jT3_P12ihipStream_tbPNSt15iterator_traitsISL_E10value_typeEPNSR_ISM_E10value_typeEPSN_NS1_7vsmem_tEENKUlT_SL_SM_SN_E_clIS8_S8_S9_S9_EESK_S10_SL_SM_SN_EUlS10_E_NS1_11comp_targetILNS1_3genE2ELNS1_11target_archE906ELNS1_3gpuE6ELNS1_3repE0EEENS1_48merge_mergepath_partition_config_static_selectorELNS0_4arch9wavefront6targetE1EEEvSM_
                                        ; -- End function
	.section	.AMDGPU.csdata,"",@progbits
; Kernel info:
; codeLenInByte = 0
; NumSgprs: 4
; NumVgprs: 0
; NumAgprs: 0
; TotalNumVgprs: 0
; ScratchSize: 0
; MemoryBound: 0
; FloatMode: 240
; IeeeMode: 1
; LDSByteSize: 0 bytes/workgroup (compile time only)
; SGPRBlocks: 0
; VGPRBlocks: 0
; NumSGPRsForWavesPerEU: 4
; NumVGPRsForWavesPerEU: 1
; AccumOffset: 4
; Occupancy: 8
; WaveLimiterHint : 0
; COMPUTE_PGM_RSRC2:SCRATCH_EN: 0
; COMPUTE_PGM_RSRC2:USER_SGPR: 6
; COMPUTE_PGM_RSRC2:TRAP_HANDLER: 0
; COMPUTE_PGM_RSRC2:TGID_X_EN: 1
; COMPUTE_PGM_RSRC2:TGID_Y_EN: 0
; COMPUTE_PGM_RSRC2:TGID_Z_EN: 0
; COMPUTE_PGM_RSRC2:TIDIG_COMP_CNT: 0
; COMPUTE_PGM_RSRC3_GFX90A:ACCUM_OFFSET: 0
; COMPUTE_PGM_RSRC3_GFX90A:TG_SPLIT: 0
	.section	.text._ZN7rocprim17ROCPRIM_400000_NS6detail17trampoline_kernelINS0_14default_configENS1_38merge_sort_block_merge_config_selectorIlNS0_10empty_typeEEEZZNS1_27merge_sort_block_merge_implIS3_PlPS5_mZN2at6native12_GLOBAL__N_124unique_dim_cuda_templateItEESt5tupleIJNSA_6TensorESF_SF_EERKSF_lbbbEUlllE_EE10hipError_tT0_T1_T2_jT3_P12ihipStream_tbPNSt15iterator_traitsISL_E10value_typeEPNSR_ISM_E10value_typeEPSN_NS1_7vsmem_tEENKUlT_SL_SM_SN_E_clIS8_S8_S9_S9_EESK_S10_SL_SM_SN_EUlS10_E_NS1_11comp_targetILNS1_3genE9ELNS1_11target_archE1100ELNS1_3gpuE3ELNS1_3repE0EEENS1_48merge_mergepath_partition_config_static_selectorELNS0_4arch9wavefront6targetE1EEEvSM_,"axG",@progbits,_ZN7rocprim17ROCPRIM_400000_NS6detail17trampoline_kernelINS0_14default_configENS1_38merge_sort_block_merge_config_selectorIlNS0_10empty_typeEEEZZNS1_27merge_sort_block_merge_implIS3_PlPS5_mZN2at6native12_GLOBAL__N_124unique_dim_cuda_templateItEESt5tupleIJNSA_6TensorESF_SF_EERKSF_lbbbEUlllE_EE10hipError_tT0_T1_T2_jT3_P12ihipStream_tbPNSt15iterator_traitsISL_E10value_typeEPNSR_ISM_E10value_typeEPSN_NS1_7vsmem_tEENKUlT_SL_SM_SN_E_clIS8_S8_S9_S9_EESK_S10_SL_SM_SN_EUlS10_E_NS1_11comp_targetILNS1_3genE9ELNS1_11target_archE1100ELNS1_3gpuE3ELNS1_3repE0EEENS1_48merge_mergepath_partition_config_static_selectorELNS0_4arch9wavefront6targetE1EEEvSM_,comdat
	.globl	_ZN7rocprim17ROCPRIM_400000_NS6detail17trampoline_kernelINS0_14default_configENS1_38merge_sort_block_merge_config_selectorIlNS0_10empty_typeEEEZZNS1_27merge_sort_block_merge_implIS3_PlPS5_mZN2at6native12_GLOBAL__N_124unique_dim_cuda_templateItEESt5tupleIJNSA_6TensorESF_SF_EERKSF_lbbbEUlllE_EE10hipError_tT0_T1_T2_jT3_P12ihipStream_tbPNSt15iterator_traitsISL_E10value_typeEPNSR_ISM_E10value_typeEPSN_NS1_7vsmem_tEENKUlT_SL_SM_SN_E_clIS8_S8_S9_S9_EESK_S10_SL_SM_SN_EUlS10_E_NS1_11comp_targetILNS1_3genE9ELNS1_11target_archE1100ELNS1_3gpuE3ELNS1_3repE0EEENS1_48merge_mergepath_partition_config_static_selectorELNS0_4arch9wavefront6targetE1EEEvSM_ ; -- Begin function _ZN7rocprim17ROCPRIM_400000_NS6detail17trampoline_kernelINS0_14default_configENS1_38merge_sort_block_merge_config_selectorIlNS0_10empty_typeEEEZZNS1_27merge_sort_block_merge_implIS3_PlPS5_mZN2at6native12_GLOBAL__N_124unique_dim_cuda_templateItEESt5tupleIJNSA_6TensorESF_SF_EERKSF_lbbbEUlllE_EE10hipError_tT0_T1_T2_jT3_P12ihipStream_tbPNSt15iterator_traitsISL_E10value_typeEPNSR_ISM_E10value_typeEPSN_NS1_7vsmem_tEENKUlT_SL_SM_SN_E_clIS8_S8_S9_S9_EESK_S10_SL_SM_SN_EUlS10_E_NS1_11comp_targetILNS1_3genE9ELNS1_11target_archE1100ELNS1_3gpuE3ELNS1_3repE0EEENS1_48merge_mergepath_partition_config_static_selectorELNS0_4arch9wavefront6targetE1EEEvSM_
	.p2align	8
	.type	_ZN7rocprim17ROCPRIM_400000_NS6detail17trampoline_kernelINS0_14default_configENS1_38merge_sort_block_merge_config_selectorIlNS0_10empty_typeEEEZZNS1_27merge_sort_block_merge_implIS3_PlPS5_mZN2at6native12_GLOBAL__N_124unique_dim_cuda_templateItEESt5tupleIJNSA_6TensorESF_SF_EERKSF_lbbbEUlllE_EE10hipError_tT0_T1_T2_jT3_P12ihipStream_tbPNSt15iterator_traitsISL_E10value_typeEPNSR_ISM_E10value_typeEPSN_NS1_7vsmem_tEENKUlT_SL_SM_SN_E_clIS8_S8_S9_S9_EESK_S10_SL_SM_SN_EUlS10_E_NS1_11comp_targetILNS1_3genE9ELNS1_11target_archE1100ELNS1_3gpuE3ELNS1_3repE0EEENS1_48merge_mergepath_partition_config_static_selectorELNS0_4arch9wavefront6targetE1EEEvSM_,@function
_ZN7rocprim17ROCPRIM_400000_NS6detail17trampoline_kernelINS0_14default_configENS1_38merge_sort_block_merge_config_selectorIlNS0_10empty_typeEEEZZNS1_27merge_sort_block_merge_implIS3_PlPS5_mZN2at6native12_GLOBAL__N_124unique_dim_cuda_templateItEESt5tupleIJNSA_6TensorESF_SF_EERKSF_lbbbEUlllE_EE10hipError_tT0_T1_T2_jT3_P12ihipStream_tbPNSt15iterator_traitsISL_E10value_typeEPNSR_ISM_E10value_typeEPSN_NS1_7vsmem_tEENKUlT_SL_SM_SN_E_clIS8_S8_S9_S9_EESK_S10_SL_SM_SN_EUlS10_E_NS1_11comp_targetILNS1_3genE9ELNS1_11target_archE1100ELNS1_3gpuE3ELNS1_3repE0EEENS1_48merge_mergepath_partition_config_static_selectorELNS0_4arch9wavefront6targetE1EEEvSM_: ; @_ZN7rocprim17ROCPRIM_400000_NS6detail17trampoline_kernelINS0_14default_configENS1_38merge_sort_block_merge_config_selectorIlNS0_10empty_typeEEEZZNS1_27merge_sort_block_merge_implIS3_PlPS5_mZN2at6native12_GLOBAL__N_124unique_dim_cuda_templateItEESt5tupleIJNSA_6TensorESF_SF_EERKSF_lbbbEUlllE_EE10hipError_tT0_T1_T2_jT3_P12ihipStream_tbPNSt15iterator_traitsISL_E10value_typeEPNSR_ISM_E10value_typeEPSN_NS1_7vsmem_tEENKUlT_SL_SM_SN_E_clIS8_S8_S9_S9_EESK_S10_SL_SM_SN_EUlS10_E_NS1_11comp_targetILNS1_3genE9ELNS1_11target_archE1100ELNS1_3gpuE3ELNS1_3repE0EEENS1_48merge_mergepath_partition_config_static_selectorELNS0_4arch9wavefront6targetE1EEEvSM_
; %bb.0:
	.section	.rodata,"a",@progbits
	.p2align	6, 0x0
	.amdhsa_kernel _ZN7rocprim17ROCPRIM_400000_NS6detail17trampoline_kernelINS0_14default_configENS1_38merge_sort_block_merge_config_selectorIlNS0_10empty_typeEEEZZNS1_27merge_sort_block_merge_implIS3_PlPS5_mZN2at6native12_GLOBAL__N_124unique_dim_cuda_templateItEESt5tupleIJNSA_6TensorESF_SF_EERKSF_lbbbEUlllE_EE10hipError_tT0_T1_T2_jT3_P12ihipStream_tbPNSt15iterator_traitsISL_E10value_typeEPNSR_ISM_E10value_typeEPSN_NS1_7vsmem_tEENKUlT_SL_SM_SN_E_clIS8_S8_S9_S9_EESK_S10_SL_SM_SN_EUlS10_E_NS1_11comp_targetILNS1_3genE9ELNS1_11target_archE1100ELNS1_3gpuE3ELNS1_3repE0EEENS1_48merge_mergepath_partition_config_static_selectorELNS0_4arch9wavefront6targetE1EEEvSM_
		.amdhsa_group_segment_fixed_size 0
		.amdhsa_private_segment_fixed_size 0
		.amdhsa_kernarg_size 56
		.amdhsa_user_sgpr_count 6
		.amdhsa_user_sgpr_private_segment_buffer 1
		.amdhsa_user_sgpr_dispatch_ptr 0
		.amdhsa_user_sgpr_queue_ptr 0
		.amdhsa_user_sgpr_kernarg_segment_ptr 1
		.amdhsa_user_sgpr_dispatch_id 0
		.amdhsa_user_sgpr_flat_scratch_init 0
		.amdhsa_user_sgpr_kernarg_preload_length 0
		.amdhsa_user_sgpr_kernarg_preload_offset 0
		.amdhsa_user_sgpr_private_segment_size 0
		.amdhsa_uses_dynamic_stack 0
		.amdhsa_system_sgpr_private_segment_wavefront_offset 0
		.amdhsa_system_sgpr_workgroup_id_x 1
		.amdhsa_system_sgpr_workgroup_id_y 0
		.amdhsa_system_sgpr_workgroup_id_z 0
		.amdhsa_system_sgpr_workgroup_info 0
		.amdhsa_system_vgpr_workitem_id 0
		.amdhsa_next_free_vgpr 1
		.amdhsa_next_free_sgpr 0
		.amdhsa_accum_offset 4
		.amdhsa_reserve_vcc 0
		.amdhsa_reserve_flat_scratch 0
		.amdhsa_float_round_mode_32 0
		.amdhsa_float_round_mode_16_64 0
		.amdhsa_float_denorm_mode_32 3
		.amdhsa_float_denorm_mode_16_64 3
		.amdhsa_dx10_clamp 1
		.amdhsa_ieee_mode 1
		.amdhsa_fp16_overflow 0
		.amdhsa_tg_split 0
		.amdhsa_exception_fp_ieee_invalid_op 0
		.amdhsa_exception_fp_denorm_src 0
		.amdhsa_exception_fp_ieee_div_zero 0
		.amdhsa_exception_fp_ieee_overflow 0
		.amdhsa_exception_fp_ieee_underflow 0
		.amdhsa_exception_fp_ieee_inexact 0
		.amdhsa_exception_int_div_zero 0
	.end_amdhsa_kernel
	.section	.text._ZN7rocprim17ROCPRIM_400000_NS6detail17trampoline_kernelINS0_14default_configENS1_38merge_sort_block_merge_config_selectorIlNS0_10empty_typeEEEZZNS1_27merge_sort_block_merge_implIS3_PlPS5_mZN2at6native12_GLOBAL__N_124unique_dim_cuda_templateItEESt5tupleIJNSA_6TensorESF_SF_EERKSF_lbbbEUlllE_EE10hipError_tT0_T1_T2_jT3_P12ihipStream_tbPNSt15iterator_traitsISL_E10value_typeEPNSR_ISM_E10value_typeEPSN_NS1_7vsmem_tEENKUlT_SL_SM_SN_E_clIS8_S8_S9_S9_EESK_S10_SL_SM_SN_EUlS10_E_NS1_11comp_targetILNS1_3genE9ELNS1_11target_archE1100ELNS1_3gpuE3ELNS1_3repE0EEENS1_48merge_mergepath_partition_config_static_selectorELNS0_4arch9wavefront6targetE1EEEvSM_,"axG",@progbits,_ZN7rocprim17ROCPRIM_400000_NS6detail17trampoline_kernelINS0_14default_configENS1_38merge_sort_block_merge_config_selectorIlNS0_10empty_typeEEEZZNS1_27merge_sort_block_merge_implIS3_PlPS5_mZN2at6native12_GLOBAL__N_124unique_dim_cuda_templateItEESt5tupleIJNSA_6TensorESF_SF_EERKSF_lbbbEUlllE_EE10hipError_tT0_T1_T2_jT3_P12ihipStream_tbPNSt15iterator_traitsISL_E10value_typeEPNSR_ISM_E10value_typeEPSN_NS1_7vsmem_tEENKUlT_SL_SM_SN_E_clIS8_S8_S9_S9_EESK_S10_SL_SM_SN_EUlS10_E_NS1_11comp_targetILNS1_3genE9ELNS1_11target_archE1100ELNS1_3gpuE3ELNS1_3repE0EEENS1_48merge_mergepath_partition_config_static_selectorELNS0_4arch9wavefront6targetE1EEEvSM_,comdat
.Lfunc_end1374:
	.size	_ZN7rocprim17ROCPRIM_400000_NS6detail17trampoline_kernelINS0_14default_configENS1_38merge_sort_block_merge_config_selectorIlNS0_10empty_typeEEEZZNS1_27merge_sort_block_merge_implIS3_PlPS5_mZN2at6native12_GLOBAL__N_124unique_dim_cuda_templateItEESt5tupleIJNSA_6TensorESF_SF_EERKSF_lbbbEUlllE_EE10hipError_tT0_T1_T2_jT3_P12ihipStream_tbPNSt15iterator_traitsISL_E10value_typeEPNSR_ISM_E10value_typeEPSN_NS1_7vsmem_tEENKUlT_SL_SM_SN_E_clIS8_S8_S9_S9_EESK_S10_SL_SM_SN_EUlS10_E_NS1_11comp_targetILNS1_3genE9ELNS1_11target_archE1100ELNS1_3gpuE3ELNS1_3repE0EEENS1_48merge_mergepath_partition_config_static_selectorELNS0_4arch9wavefront6targetE1EEEvSM_, .Lfunc_end1374-_ZN7rocprim17ROCPRIM_400000_NS6detail17trampoline_kernelINS0_14default_configENS1_38merge_sort_block_merge_config_selectorIlNS0_10empty_typeEEEZZNS1_27merge_sort_block_merge_implIS3_PlPS5_mZN2at6native12_GLOBAL__N_124unique_dim_cuda_templateItEESt5tupleIJNSA_6TensorESF_SF_EERKSF_lbbbEUlllE_EE10hipError_tT0_T1_T2_jT3_P12ihipStream_tbPNSt15iterator_traitsISL_E10value_typeEPNSR_ISM_E10value_typeEPSN_NS1_7vsmem_tEENKUlT_SL_SM_SN_E_clIS8_S8_S9_S9_EESK_S10_SL_SM_SN_EUlS10_E_NS1_11comp_targetILNS1_3genE9ELNS1_11target_archE1100ELNS1_3gpuE3ELNS1_3repE0EEENS1_48merge_mergepath_partition_config_static_selectorELNS0_4arch9wavefront6targetE1EEEvSM_
                                        ; -- End function
	.section	.AMDGPU.csdata,"",@progbits
; Kernel info:
; codeLenInByte = 0
; NumSgprs: 4
; NumVgprs: 0
; NumAgprs: 0
; TotalNumVgprs: 0
; ScratchSize: 0
; MemoryBound: 0
; FloatMode: 240
; IeeeMode: 1
; LDSByteSize: 0 bytes/workgroup (compile time only)
; SGPRBlocks: 0
; VGPRBlocks: 0
; NumSGPRsForWavesPerEU: 4
; NumVGPRsForWavesPerEU: 1
; AccumOffset: 4
; Occupancy: 8
; WaveLimiterHint : 0
; COMPUTE_PGM_RSRC2:SCRATCH_EN: 0
; COMPUTE_PGM_RSRC2:USER_SGPR: 6
; COMPUTE_PGM_RSRC2:TRAP_HANDLER: 0
; COMPUTE_PGM_RSRC2:TGID_X_EN: 1
; COMPUTE_PGM_RSRC2:TGID_Y_EN: 0
; COMPUTE_PGM_RSRC2:TGID_Z_EN: 0
; COMPUTE_PGM_RSRC2:TIDIG_COMP_CNT: 0
; COMPUTE_PGM_RSRC3_GFX90A:ACCUM_OFFSET: 0
; COMPUTE_PGM_RSRC3_GFX90A:TG_SPLIT: 0
	.section	.text._ZN7rocprim17ROCPRIM_400000_NS6detail17trampoline_kernelINS0_14default_configENS1_38merge_sort_block_merge_config_selectorIlNS0_10empty_typeEEEZZNS1_27merge_sort_block_merge_implIS3_PlPS5_mZN2at6native12_GLOBAL__N_124unique_dim_cuda_templateItEESt5tupleIJNSA_6TensorESF_SF_EERKSF_lbbbEUlllE_EE10hipError_tT0_T1_T2_jT3_P12ihipStream_tbPNSt15iterator_traitsISL_E10value_typeEPNSR_ISM_E10value_typeEPSN_NS1_7vsmem_tEENKUlT_SL_SM_SN_E_clIS8_S8_S9_S9_EESK_S10_SL_SM_SN_EUlS10_E_NS1_11comp_targetILNS1_3genE8ELNS1_11target_archE1030ELNS1_3gpuE2ELNS1_3repE0EEENS1_48merge_mergepath_partition_config_static_selectorELNS0_4arch9wavefront6targetE1EEEvSM_,"axG",@progbits,_ZN7rocprim17ROCPRIM_400000_NS6detail17trampoline_kernelINS0_14default_configENS1_38merge_sort_block_merge_config_selectorIlNS0_10empty_typeEEEZZNS1_27merge_sort_block_merge_implIS3_PlPS5_mZN2at6native12_GLOBAL__N_124unique_dim_cuda_templateItEESt5tupleIJNSA_6TensorESF_SF_EERKSF_lbbbEUlllE_EE10hipError_tT0_T1_T2_jT3_P12ihipStream_tbPNSt15iterator_traitsISL_E10value_typeEPNSR_ISM_E10value_typeEPSN_NS1_7vsmem_tEENKUlT_SL_SM_SN_E_clIS8_S8_S9_S9_EESK_S10_SL_SM_SN_EUlS10_E_NS1_11comp_targetILNS1_3genE8ELNS1_11target_archE1030ELNS1_3gpuE2ELNS1_3repE0EEENS1_48merge_mergepath_partition_config_static_selectorELNS0_4arch9wavefront6targetE1EEEvSM_,comdat
	.globl	_ZN7rocprim17ROCPRIM_400000_NS6detail17trampoline_kernelINS0_14default_configENS1_38merge_sort_block_merge_config_selectorIlNS0_10empty_typeEEEZZNS1_27merge_sort_block_merge_implIS3_PlPS5_mZN2at6native12_GLOBAL__N_124unique_dim_cuda_templateItEESt5tupleIJNSA_6TensorESF_SF_EERKSF_lbbbEUlllE_EE10hipError_tT0_T1_T2_jT3_P12ihipStream_tbPNSt15iterator_traitsISL_E10value_typeEPNSR_ISM_E10value_typeEPSN_NS1_7vsmem_tEENKUlT_SL_SM_SN_E_clIS8_S8_S9_S9_EESK_S10_SL_SM_SN_EUlS10_E_NS1_11comp_targetILNS1_3genE8ELNS1_11target_archE1030ELNS1_3gpuE2ELNS1_3repE0EEENS1_48merge_mergepath_partition_config_static_selectorELNS0_4arch9wavefront6targetE1EEEvSM_ ; -- Begin function _ZN7rocprim17ROCPRIM_400000_NS6detail17trampoline_kernelINS0_14default_configENS1_38merge_sort_block_merge_config_selectorIlNS0_10empty_typeEEEZZNS1_27merge_sort_block_merge_implIS3_PlPS5_mZN2at6native12_GLOBAL__N_124unique_dim_cuda_templateItEESt5tupleIJNSA_6TensorESF_SF_EERKSF_lbbbEUlllE_EE10hipError_tT0_T1_T2_jT3_P12ihipStream_tbPNSt15iterator_traitsISL_E10value_typeEPNSR_ISM_E10value_typeEPSN_NS1_7vsmem_tEENKUlT_SL_SM_SN_E_clIS8_S8_S9_S9_EESK_S10_SL_SM_SN_EUlS10_E_NS1_11comp_targetILNS1_3genE8ELNS1_11target_archE1030ELNS1_3gpuE2ELNS1_3repE0EEENS1_48merge_mergepath_partition_config_static_selectorELNS0_4arch9wavefront6targetE1EEEvSM_
	.p2align	8
	.type	_ZN7rocprim17ROCPRIM_400000_NS6detail17trampoline_kernelINS0_14default_configENS1_38merge_sort_block_merge_config_selectorIlNS0_10empty_typeEEEZZNS1_27merge_sort_block_merge_implIS3_PlPS5_mZN2at6native12_GLOBAL__N_124unique_dim_cuda_templateItEESt5tupleIJNSA_6TensorESF_SF_EERKSF_lbbbEUlllE_EE10hipError_tT0_T1_T2_jT3_P12ihipStream_tbPNSt15iterator_traitsISL_E10value_typeEPNSR_ISM_E10value_typeEPSN_NS1_7vsmem_tEENKUlT_SL_SM_SN_E_clIS8_S8_S9_S9_EESK_S10_SL_SM_SN_EUlS10_E_NS1_11comp_targetILNS1_3genE8ELNS1_11target_archE1030ELNS1_3gpuE2ELNS1_3repE0EEENS1_48merge_mergepath_partition_config_static_selectorELNS0_4arch9wavefront6targetE1EEEvSM_,@function
_ZN7rocprim17ROCPRIM_400000_NS6detail17trampoline_kernelINS0_14default_configENS1_38merge_sort_block_merge_config_selectorIlNS0_10empty_typeEEEZZNS1_27merge_sort_block_merge_implIS3_PlPS5_mZN2at6native12_GLOBAL__N_124unique_dim_cuda_templateItEESt5tupleIJNSA_6TensorESF_SF_EERKSF_lbbbEUlllE_EE10hipError_tT0_T1_T2_jT3_P12ihipStream_tbPNSt15iterator_traitsISL_E10value_typeEPNSR_ISM_E10value_typeEPSN_NS1_7vsmem_tEENKUlT_SL_SM_SN_E_clIS8_S8_S9_S9_EESK_S10_SL_SM_SN_EUlS10_E_NS1_11comp_targetILNS1_3genE8ELNS1_11target_archE1030ELNS1_3gpuE2ELNS1_3repE0EEENS1_48merge_mergepath_partition_config_static_selectorELNS0_4arch9wavefront6targetE1EEEvSM_: ; @_ZN7rocprim17ROCPRIM_400000_NS6detail17trampoline_kernelINS0_14default_configENS1_38merge_sort_block_merge_config_selectorIlNS0_10empty_typeEEEZZNS1_27merge_sort_block_merge_implIS3_PlPS5_mZN2at6native12_GLOBAL__N_124unique_dim_cuda_templateItEESt5tupleIJNSA_6TensorESF_SF_EERKSF_lbbbEUlllE_EE10hipError_tT0_T1_T2_jT3_P12ihipStream_tbPNSt15iterator_traitsISL_E10value_typeEPNSR_ISM_E10value_typeEPSN_NS1_7vsmem_tEENKUlT_SL_SM_SN_E_clIS8_S8_S9_S9_EESK_S10_SL_SM_SN_EUlS10_E_NS1_11comp_targetILNS1_3genE8ELNS1_11target_archE1030ELNS1_3gpuE2ELNS1_3repE0EEENS1_48merge_mergepath_partition_config_static_selectorELNS0_4arch9wavefront6targetE1EEEvSM_
; %bb.0:
	.section	.rodata,"a",@progbits
	.p2align	6, 0x0
	.amdhsa_kernel _ZN7rocprim17ROCPRIM_400000_NS6detail17trampoline_kernelINS0_14default_configENS1_38merge_sort_block_merge_config_selectorIlNS0_10empty_typeEEEZZNS1_27merge_sort_block_merge_implIS3_PlPS5_mZN2at6native12_GLOBAL__N_124unique_dim_cuda_templateItEESt5tupleIJNSA_6TensorESF_SF_EERKSF_lbbbEUlllE_EE10hipError_tT0_T1_T2_jT3_P12ihipStream_tbPNSt15iterator_traitsISL_E10value_typeEPNSR_ISM_E10value_typeEPSN_NS1_7vsmem_tEENKUlT_SL_SM_SN_E_clIS8_S8_S9_S9_EESK_S10_SL_SM_SN_EUlS10_E_NS1_11comp_targetILNS1_3genE8ELNS1_11target_archE1030ELNS1_3gpuE2ELNS1_3repE0EEENS1_48merge_mergepath_partition_config_static_selectorELNS0_4arch9wavefront6targetE1EEEvSM_
		.amdhsa_group_segment_fixed_size 0
		.amdhsa_private_segment_fixed_size 0
		.amdhsa_kernarg_size 56
		.amdhsa_user_sgpr_count 6
		.amdhsa_user_sgpr_private_segment_buffer 1
		.amdhsa_user_sgpr_dispatch_ptr 0
		.amdhsa_user_sgpr_queue_ptr 0
		.amdhsa_user_sgpr_kernarg_segment_ptr 1
		.amdhsa_user_sgpr_dispatch_id 0
		.amdhsa_user_sgpr_flat_scratch_init 0
		.amdhsa_user_sgpr_kernarg_preload_length 0
		.amdhsa_user_sgpr_kernarg_preload_offset 0
		.amdhsa_user_sgpr_private_segment_size 0
		.amdhsa_uses_dynamic_stack 0
		.amdhsa_system_sgpr_private_segment_wavefront_offset 0
		.amdhsa_system_sgpr_workgroup_id_x 1
		.amdhsa_system_sgpr_workgroup_id_y 0
		.amdhsa_system_sgpr_workgroup_id_z 0
		.amdhsa_system_sgpr_workgroup_info 0
		.amdhsa_system_vgpr_workitem_id 0
		.amdhsa_next_free_vgpr 1
		.amdhsa_next_free_sgpr 0
		.amdhsa_accum_offset 4
		.amdhsa_reserve_vcc 0
		.amdhsa_reserve_flat_scratch 0
		.amdhsa_float_round_mode_32 0
		.amdhsa_float_round_mode_16_64 0
		.amdhsa_float_denorm_mode_32 3
		.amdhsa_float_denorm_mode_16_64 3
		.amdhsa_dx10_clamp 1
		.amdhsa_ieee_mode 1
		.amdhsa_fp16_overflow 0
		.amdhsa_tg_split 0
		.amdhsa_exception_fp_ieee_invalid_op 0
		.amdhsa_exception_fp_denorm_src 0
		.amdhsa_exception_fp_ieee_div_zero 0
		.amdhsa_exception_fp_ieee_overflow 0
		.amdhsa_exception_fp_ieee_underflow 0
		.amdhsa_exception_fp_ieee_inexact 0
		.amdhsa_exception_int_div_zero 0
	.end_amdhsa_kernel
	.section	.text._ZN7rocprim17ROCPRIM_400000_NS6detail17trampoline_kernelINS0_14default_configENS1_38merge_sort_block_merge_config_selectorIlNS0_10empty_typeEEEZZNS1_27merge_sort_block_merge_implIS3_PlPS5_mZN2at6native12_GLOBAL__N_124unique_dim_cuda_templateItEESt5tupleIJNSA_6TensorESF_SF_EERKSF_lbbbEUlllE_EE10hipError_tT0_T1_T2_jT3_P12ihipStream_tbPNSt15iterator_traitsISL_E10value_typeEPNSR_ISM_E10value_typeEPSN_NS1_7vsmem_tEENKUlT_SL_SM_SN_E_clIS8_S8_S9_S9_EESK_S10_SL_SM_SN_EUlS10_E_NS1_11comp_targetILNS1_3genE8ELNS1_11target_archE1030ELNS1_3gpuE2ELNS1_3repE0EEENS1_48merge_mergepath_partition_config_static_selectorELNS0_4arch9wavefront6targetE1EEEvSM_,"axG",@progbits,_ZN7rocprim17ROCPRIM_400000_NS6detail17trampoline_kernelINS0_14default_configENS1_38merge_sort_block_merge_config_selectorIlNS0_10empty_typeEEEZZNS1_27merge_sort_block_merge_implIS3_PlPS5_mZN2at6native12_GLOBAL__N_124unique_dim_cuda_templateItEESt5tupleIJNSA_6TensorESF_SF_EERKSF_lbbbEUlllE_EE10hipError_tT0_T1_T2_jT3_P12ihipStream_tbPNSt15iterator_traitsISL_E10value_typeEPNSR_ISM_E10value_typeEPSN_NS1_7vsmem_tEENKUlT_SL_SM_SN_E_clIS8_S8_S9_S9_EESK_S10_SL_SM_SN_EUlS10_E_NS1_11comp_targetILNS1_3genE8ELNS1_11target_archE1030ELNS1_3gpuE2ELNS1_3repE0EEENS1_48merge_mergepath_partition_config_static_selectorELNS0_4arch9wavefront6targetE1EEEvSM_,comdat
.Lfunc_end1375:
	.size	_ZN7rocprim17ROCPRIM_400000_NS6detail17trampoline_kernelINS0_14default_configENS1_38merge_sort_block_merge_config_selectorIlNS0_10empty_typeEEEZZNS1_27merge_sort_block_merge_implIS3_PlPS5_mZN2at6native12_GLOBAL__N_124unique_dim_cuda_templateItEESt5tupleIJNSA_6TensorESF_SF_EERKSF_lbbbEUlllE_EE10hipError_tT0_T1_T2_jT3_P12ihipStream_tbPNSt15iterator_traitsISL_E10value_typeEPNSR_ISM_E10value_typeEPSN_NS1_7vsmem_tEENKUlT_SL_SM_SN_E_clIS8_S8_S9_S9_EESK_S10_SL_SM_SN_EUlS10_E_NS1_11comp_targetILNS1_3genE8ELNS1_11target_archE1030ELNS1_3gpuE2ELNS1_3repE0EEENS1_48merge_mergepath_partition_config_static_selectorELNS0_4arch9wavefront6targetE1EEEvSM_, .Lfunc_end1375-_ZN7rocprim17ROCPRIM_400000_NS6detail17trampoline_kernelINS0_14default_configENS1_38merge_sort_block_merge_config_selectorIlNS0_10empty_typeEEEZZNS1_27merge_sort_block_merge_implIS3_PlPS5_mZN2at6native12_GLOBAL__N_124unique_dim_cuda_templateItEESt5tupleIJNSA_6TensorESF_SF_EERKSF_lbbbEUlllE_EE10hipError_tT0_T1_T2_jT3_P12ihipStream_tbPNSt15iterator_traitsISL_E10value_typeEPNSR_ISM_E10value_typeEPSN_NS1_7vsmem_tEENKUlT_SL_SM_SN_E_clIS8_S8_S9_S9_EESK_S10_SL_SM_SN_EUlS10_E_NS1_11comp_targetILNS1_3genE8ELNS1_11target_archE1030ELNS1_3gpuE2ELNS1_3repE0EEENS1_48merge_mergepath_partition_config_static_selectorELNS0_4arch9wavefront6targetE1EEEvSM_
                                        ; -- End function
	.section	.AMDGPU.csdata,"",@progbits
; Kernel info:
; codeLenInByte = 0
; NumSgprs: 4
; NumVgprs: 0
; NumAgprs: 0
; TotalNumVgprs: 0
; ScratchSize: 0
; MemoryBound: 0
; FloatMode: 240
; IeeeMode: 1
; LDSByteSize: 0 bytes/workgroup (compile time only)
; SGPRBlocks: 0
; VGPRBlocks: 0
; NumSGPRsForWavesPerEU: 4
; NumVGPRsForWavesPerEU: 1
; AccumOffset: 4
; Occupancy: 8
; WaveLimiterHint : 0
; COMPUTE_PGM_RSRC2:SCRATCH_EN: 0
; COMPUTE_PGM_RSRC2:USER_SGPR: 6
; COMPUTE_PGM_RSRC2:TRAP_HANDLER: 0
; COMPUTE_PGM_RSRC2:TGID_X_EN: 1
; COMPUTE_PGM_RSRC2:TGID_Y_EN: 0
; COMPUTE_PGM_RSRC2:TGID_Z_EN: 0
; COMPUTE_PGM_RSRC2:TIDIG_COMP_CNT: 0
; COMPUTE_PGM_RSRC3_GFX90A:ACCUM_OFFSET: 0
; COMPUTE_PGM_RSRC3_GFX90A:TG_SPLIT: 0
	.section	.text._ZN7rocprim17ROCPRIM_400000_NS6detail17trampoline_kernelINS0_14default_configENS1_38merge_sort_block_merge_config_selectorIlNS0_10empty_typeEEEZZNS1_27merge_sort_block_merge_implIS3_PlPS5_mZN2at6native12_GLOBAL__N_124unique_dim_cuda_templateItEESt5tupleIJNSA_6TensorESF_SF_EERKSF_lbbbEUlllE_EE10hipError_tT0_T1_T2_jT3_P12ihipStream_tbPNSt15iterator_traitsISL_E10value_typeEPNSR_ISM_E10value_typeEPSN_NS1_7vsmem_tEENKUlT_SL_SM_SN_E_clIS8_S8_S9_S9_EESK_S10_SL_SM_SN_EUlS10_E0_NS1_11comp_targetILNS1_3genE0ELNS1_11target_archE4294967295ELNS1_3gpuE0ELNS1_3repE0EEENS1_38merge_mergepath_config_static_selectorELNS0_4arch9wavefront6targetE1EEEvSM_,"axG",@progbits,_ZN7rocprim17ROCPRIM_400000_NS6detail17trampoline_kernelINS0_14default_configENS1_38merge_sort_block_merge_config_selectorIlNS0_10empty_typeEEEZZNS1_27merge_sort_block_merge_implIS3_PlPS5_mZN2at6native12_GLOBAL__N_124unique_dim_cuda_templateItEESt5tupleIJNSA_6TensorESF_SF_EERKSF_lbbbEUlllE_EE10hipError_tT0_T1_T2_jT3_P12ihipStream_tbPNSt15iterator_traitsISL_E10value_typeEPNSR_ISM_E10value_typeEPSN_NS1_7vsmem_tEENKUlT_SL_SM_SN_E_clIS8_S8_S9_S9_EESK_S10_SL_SM_SN_EUlS10_E0_NS1_11comp_targetILNS1_3genE0ELNS1_11target_archE4294967295ELNS1_3gpuE0ELNS1_3repE0EEENS1_38merge_mergepath_config_static_selectorELNS0_4arch9wavefront6targetE1EEEvSM_,comdat
	.globl	_ZN7rocprim17ROCPRIM_400000_NS6detail17trampoline_kernelINS0_14default_configENS1_38merge_sort_block_merge_config_selectorIlNS0_10empty_typeEEEZZNS1_27merge_sort_block_merge_implIS3_PlPS5_mZN2at6native12_GLOBAL__N_124unique_dim_cuda_templateItEESt5tupleIJNSA_6TensorESF_SF_EERKSF_lbbbEUlllE_EE10hipError_tT0_T1_T2_jT3_P12ihipStream_tbPNSt15iterator_traitsISL_E10value_typeEPNSR_ISM_E10value_typeEPSN_NS1_7vsmem_tEENKUlT_SL_SM_SN_E_clIS8_S8_S9_S9_EESK_S10_SL_SM_SN_EUlS10_E0_NS1_11comp_targetILNS1_3genE0ELNS1_11target_archE4294967295ELNS1_3gpuE0ELNS1_3repE0EEENS1_38merge_mergepath_config_static_selectorELNS0_4arch9wavefront6targetE1EEEvSM_ ; -- Begin function _ZN7rocprim17ROCPRIM_400000_NS6detail17trampoline_kernelINS0_14default_configENS1_38merge_sort_block_merge_config_selectorIlNS0_10empty_typeEEEZZNS1_27merge_sort_block_merge_implIS3_PlPS5_mZN2at6native12_GLOBAL__N_124unique_dim_cuda_templateItEESt5tupleIJNSA_6TensorESF_SF_EERKSF_lbbbEUlllE_EE10hipError_tT0_T1_T2_jT3_P12ihipStream_tbPNSt15iterator_traitsISL_E10value_typeEPNSR_ISM_E10value_typeEPSN_NS1_7vsmem_tEENKUlT_SL_SM_SN_E_clIS8_S8_S9_S9_EESK_S10_SL_SM_SN_EUlS10_E0_NS1_11comp_targetILNS1_3genE0ELNS1_11target_archE4294967295ELNS1_3gpuE0ELNS1_3repE0EEENS1_38merge_mergepath_config_static_selectorELNS0_4arch9wavefront6targetE1EEEvSM_
	.p2align	8
	.type	_ZN7rocprim17ROCPRIM_400000_NS6detail17trampoline_kernelINS0_14default_configENS1_38merge_sort_block_merge_config_selectorIlNS0_10empty_typeEEEZZNS1_27merge_sort_block_merge_implIS3_PlPS5_mZN2at6native12_GLOBAL__N_124unique_dim_cuda_templateItEESt5tupleIJNSA_6TensorESF_SF_EERKSF_lbbbEUlllE_EE10hipError_tT0_T1_T2_jT3_P12ihipStream_tbPNSt15iterator_traitsISL_E10value_typeEPNSR_ISM_E10value_typeEPSN_NS1_7vsmem_tEENKUlT_SL_SM_SN_E_clIS8_S8_S9_S9_EESK_S10_SL_SM_SN_EUlS10_E0_NS1_11comp_targetILNS1_3genE0ELNS1_11target_archE4294967295ELNS1_3gpuE0ELNS1_3repE0EEENS1_38merge_mergepath_config_static_selectorELNS0_4arch9wavefront6targetE1EEEvSM_,@function
_ZN7rocprim17ROCPRIM_400000_NS6detail17trampoline_kernelINS0_14default_configENS1_38merge_sort_block_merge_config_selectorIlNS0_10empty_typeEEEZZNS1_27merge_sort_block_merge_implIS3_PlPS5_mZN2at6native12_GLOBAL__N_124unique_dim_cuda_templateItEESt5tupleIJNSA_6TensorESF_SF_EERKSF_lbbbEUlllE_EE10hipError_tT0_T1_T2_jT3_P12ihipStream_tbPNSt15iterator_traitsISL_E10value_typeEPNSR_ISM_E10value_typeEPSN_NS1_7vsmem_tEENKUlT_SL_SM_SN_E_clIS8_S8_S9_S9_EESK_S10_SL_SM_SN_EUlS10_E0_NS1_11comp_targetILNS1_3genE0ELNS1_11target_archE4294967295ELNS1_3gpuE0ELNS1_3repE0EEENS1_38merge_mergepath_config_static_selectorELNS0_4arch9wavefront6targetE1EEEvSM_: ; @_ZN7rocprim17ROCPRIM_400000_NS6detail17trampoline_kernelINS0_14default_configENS1_38merge_sort_block_merge_config_selectorIlNS0_10empty_typeEEEZZNS1_27merge_sort_block_merge_implIS3_PlPS5_mZN2at6native12_GLOBAL__N_124unique_dim_cuda_templateItEESt5tupleIJNSA_6TensorESF_SF_EERKSF_lbbbEUlllE_EE10hipError_tT0_T1_T2_jT3_P12ihipStream_tbPNSt15iterator_traitsISL_E10value_typeEPNSR_ISM_E10value_typeEPSN_NS1_7vsmem_tEENKUlT_SL_SM_SN_E_clIS8_S8_S9_S9_EESK_S10_SL_SM_SN_EUlS10_E0_NS1_11comp_targetILNS1_3genE0ELNS1_11target_archE4294967295ELNS1_3gpuE0ELNS1_3repE0EEENS1_38merge_mergepath_config_static_selectorELNS0_4arch9wavefront6targetE1EEEvSM_
; %bb.0:
	.section	.rodata,"a",@progbits
	.p2align	6, 0x0
	.amdhsa_kernel _ZN7rocprim17ROCPRIM_400000_NS6detail17trampoline_kernelINS0_14default_configENS1_38merge_sort_block_merge_config_selectorIlNS0_10empty_typeEEEZZNS1_27merge_sort_block_merge_implIS3_PlPS5_mZN2at6native12_GLOBAL__N_124unique_dim_cuda_templateItEESt5tupleIJNSA_6TensorESF_SF_EERKSF_lbbbEUlllE_EE10hipError_tT0_T1_T2_jT3_P12ihipStream_tbPNSt15iterator_traitsISL_E10value_typeEPNSR_ISM_E10value_typeEPSN_NS1_7vsmem_tEENKUlT_SL_SM_SN_E_clIS8_S8_S9_S9_EESK_S10_SL_SM_SN_EUlS10_E0_NS1_11comp_targetILNS1_3genE0ELNS1_11target_archE4294967295ELNS1_3gpuE0ELNS1_3repE0EEENS1_38merge_mergepath_config_static_selectorELNS0_4arch9wavefront6targetE1EEEvSM_
		.amdhsa_group_segment_fixed_size 0
		.amdhsa_private_segment_fixed_size 0
		.amdhsa_kernarg_size 88
		.amdhsa_user_sgpr_count 6
		.amdhsa_user_sgpr_private_segment_buffer 1
		.amdhsa_user_sgpr_dispatch_ptr 0
		.amdhsa_user_sgpr_queue_ptr 0
		.amdhsa_user_sgpr_kernarg_segment_ptr 1
		.amdhsa_user_sgpr_dispatch_id 0
		.amdhsa_user_sgpr_flat_scratch_init 0
		.amdhsa_user_sgpr_kernarg_preload_length 0
		.amdhsa_user_sgpr_kernarg_preload_offset 0
		.amdhsa_user_sgpr_private_segment_size 0
		.amdhsa_uses_dynamic_stack 0
		.amdhsa_system_sgpr_private_segment_wavefront_offset 0
		.amdhsa_system_sgpr_workgroup_id_x 1
		.amdhsa_system_sgpr_workgroup_id_y 0
		.amdhsa_system_sgpr_workgroup_id_z 0
		.amdhsa_system_sgpr_workgroup_info 0
		.amdhsa_system_vgpr_workitem_id 0
		.amdhsa_next_free_vgpr 1
		.amdhsa_next_free_sgpr 0
		.amdhsa_accum_offset 4
		.amdhsa_reserve_vcc 0
		.amdhsa_reserve_flat_scratch 0
		.amdhsa_float_round_mode_32 0
		.amdhsa_float_round_mode_16_64 0
		.amdhsa_float_denorm_mode_32 3
		.amdhsa_float_denorm_mode_16_64 3
		.amdhsa_dx10_clamp 1
		.amdhsa_ieee_mode 1
		.amdhsa_fp16_overflow 0
		.amdhsa_tg_split 0
		.amdhsa_exception_fp_ieee_invalid_op 0
		.amdhsa_exception_fp_denorm_src 0
		.amdhsa_exception_fp_ieee_div_zero 0
		.amdhsa_exception_fp_ieee_overflow 0
		.amdhsa_exception_fp_ieee_underflow 0
		.amdhsa_exception_fp_ieee_inexact 0
		.amdhsa_exception_int_div_zero 0
	.end_amdhsa_kernel
	.section	.text._ZN7rocprim17ROCPRIM_400000_NS6detail17trampoline_kernelINS0_14default_configENS1_38merge_sort_block_merge_config_selectorIlNS0_10empty_typeEEEZZNS1_27merge_sort_block_merge_implIS3_PlPS5_mZN2at6native12_GLOBAL__N_124unique_dim_cuda_templateItEESt5tupleIJNSA_6TensorESF_SF_EERKSF_lbbbEUlllE_EE10hipError_tT0_T1_T2_jT3_P12ihipStream_tbPNSt15iterator_traitsISL_E10value_typeEPNSR_ISM_E10value_typeEPSN_NS1_7vsmem_tEENKUlT_SL_SM_SN_E_clIS8_S8_S9_S9_EESK_S10_SL_SM_SN_EUlS10_E0_NS1_11comp_targetILNS1_3genE0ELNS1_11target_archE4294967295ELNS1_3gpuE0ELNS1_3repE0EEENS1_38merge_mergepath_config_static_selectorELNS0_4arch9wavefront6targetE1EEEvSM_,"axG",@progbits,_ZN7rocprim17ROCPRIM_400000_NS6detail17trampoline_kernelINS0_14default_configENS1_38merge_sort_block_merge_config_selectorIlNS0_10empty_typeEEEZZNS1_27merge_sort_block_merge_implIS3_PlPS5_mZN2at6native12_GLOBAL__N_124unique_dim_cuda_templateItEESt5tupleIJNSA_6TensorESF_SF_EERKSF_lbbbEUlllE_EE10hipError_tT0_T1_T2_jT3_P12ihipStream_tbPNSt15iterator_traitsISL_E10value_typeEPNSR_ISM_E10value_typeEPSN_NS1_7vsmem_tEENKUlT_SL_SM_SN_E_clIS8_S8_S9_S9_EESK_S10_SL_SM_SN_EUlS10_E0_NS1_11comp_targetILNS1_3genE0ELNS1_11target_archE4294967295ELNS1_3gpuE0ELNS1_3repE0EEENS1_38merge_mergepath_config_static_selectorELNS0_4arch9wavefront6targetE1EEEvSM_,comdat
.Lfunc_end1376:
	.size	_ZN7rocprim17ROCPRIM_400000_NS6detail17trampoline_kernelINS0_14default_configENS1_38merge_sort_block_merge_config_selectorIlNS0_10empty_typeEEEZZNS1_27merge_sort_block_merge_implIS3_PlPS5_mZN2at6native12_GLOBAL__N_124unique_dim_cuda_templateItEESt5tupleIJNSA_6TensorESF_SF_EERKSF_lbbbEUlllE_EE10hipError_tT0_T1_T2_jT3_P12ihipStream_tbPNSt15iterator_traitsISL_E10value_typeEPNSR_ISM_E10value_typeEPSN_NS1_7vsmem_tEENKUlT_SL_SM_SN_E_clIS8_S8_S9_S9_EESK_S10_SL_SM_SN_EUlS10_E0_NS1_11comp_targetILNS1_3genE0ELNS1_11target_archE4294967295ELNS1_3gpuE0ELNS1_3repE0EEENS1_38merge_mergepath_config_static_selectorELNS0_4arch9wavefront6targetE1EEEvSM_, .Lfunc_end1376-_ZN7rocprim17ROCPRIM_400000_NS6detail17trampoline_kernelINS0_14default_configENS1_38merge_sort_block_merge_config_selectorIlNS0_10empty_typeEEEZZNS1_27merge_sort_block_merge_implIS3_PlPS5_mZN2at6native12_GLOBAL__N_124unique_dim_cuda_templateItEESt5tupleIJNSA_6TensorESF_SF_EERKSF_lbbbEUlllE_EE10hipError_tT0_T1_T2_jT3_P12ihipStream_tbPNSt15iterator_traitsISL_E10value_typeEPNSR_ISM_E10value_typeEPSN_NS1_7vsmem_tEENKUlT_SL_SM_SN_E_clIS8_S8_S9_S9_EESK_S10_SL_SM_SN_EUlS10_E0_NS1_11comp_targetILNS1_3genE0ELNS1_11target_archE4294967295ELNS1_3gpuE0ELNS1_3repE0EEENS1_38merge_mergepath_config_static_selectorELNS0_4arch9wavefront6targetE1EEEvSM_
                                        ; -- End function
	.section	.AMDGPU.csdata,"",@progbits
; Kernel info:
; codeLenInByte = 0
; NumSgprs: 4
; NumVgprs: 0
; NumAgprs: 0
; TotalNumVgprs: 0
; ScratchSize: 0
; MemoryBound: 0
; FloatMode: 240
; IeeeMode: 1
; LDSByteSize: 0 bytes/workgroup (compile time only)
; SGPRBlocks: 0
; VGPRBlocks: 0
; NumSGPRsForWavesPerEU: 4
; NumVGPRsForWavesPerEU: 1
; AccumOffset: 4
; Occupancy: 8
; WaveLimiterHint : 0
; COMPUTE_PGM_RSRC2:SCRATCH_EN: 0
; COMPUTE_PGM_RSRC2:USER_SGPR: 6
; COMPUTE_PGM_RSRC2:TRAP_HANDLER: 0
; COMPUTE_PGM_RSRC2:TGID_X_EN: 1
; COMPUTE_PGM_RSRC2:TGID_Y_EN: 0
; COMPUTE_PGM_RSRC2:TGID_Z_EN: 0
; COMPUTE_PGM_RSRC2:TIDIG_COMP_CNT: 0
; COMPUTE_PGM_RSRC3_GFX90A:ACCUM_OFFSET: 0
; COMPUTE_PGM_RSRC3_GFX90A:TG_SPLIT: 0
	.section	.text._ZN7rocprim17ROCPRIM_400000_NS6detail17trampoline_kernelINS0_14default_configENS1_38merge_sort_block_merge_config_selectorIlNS0_10empty_typeEEEZZNS1_27merge_sort_block_merge_implIS3_PlPS5_mZN2at6native12_GLOBAL__N_124unique_dim_cuda_templateItEESt5tupleIJNSA_6TensorESF_SF_EERKSF_lbbbEUlllE_EE10hipError_tT0_T1_T2_jT3_P12ihipStream_tbPNSt15iterator_traitsISL_E10value_typeEPNSR_ISM_E10value_typeEPSN_NS1_7vsmem_tEENKUlT_SL_SM_SN_E_clIS8_S8_S9_S9_EESK_S10_SL_SM_SN_EUlS10_E0_NS1_11comp_targetILNS1_3genE10ELNS1_11target_archE1201ELNS1_3gpuE5ELNS1_3repE0EEENS1_38merge_mergepath_config_static_selectorELNS0_4arch9wavefront6targetE1EEEvSM_,"axG",@progbits,_ZN7rocprim17ROCPRIM_400000_NS6detail17trampoline_kernelINS0_14default_configENS1_38merge_sort_block_merge_config_selectorIlNS0_10empty_typeEEEZZNS1_27merge_sort_block_merge_implIS3_PlPS5_mZN2at6native12_GLOBAL__N_124unique_dim_cuda_templateItEESt5tupleIJNSA_6TensorESF_SF_EERKSF_lbbbEUlllE_EE10hipError_tT0_T1_T2_jT3_P12ihipStream_tbPNSt15iterator_traitsISL_E10value_typeEPNSR_ISM_E10value_typeEPSN_NS1_7vsmem_tEENKUlT_SL_SM_SN_E_clIS8_S8_S9_S9_EESK_S10_SL_SM_SN_EUlS10_E0_NS1_11comp_targetILNS1_3genE10ELNS1_11target_archE1201ELNS1_3gpuE5ELNS1_3repE0EEENS1_38merge_mergepath_config_static_selectorELNS0_4arch9wavefront6targetE1EEEvSM_,comdat
	.globl	_ZN7rocprim17ROCPRIM_400000_NS6detail17trampoline_kernelINS0_14default_configENS1_38merge_sort_block_merge_config_selectorIlNS0_10empty_typeEEEZZNS1_27merge_sort_block_merge_implIS3_PlPS5_mZN2at6native12_GLOBAL__N_124unique_dim_cuda_templateItEESt5tupleIJNSA_6TensorESF_SF_EERKSF_lbbbEUlllE_EE10hipError_tT0_T1_T2_jT3_P12ihipStream_tbPNSt15iterator_traitsISL_E10value_typeEPNSR_ISM_E10value_typeEPSN_NS1_7vsmem_tEENKUlT_SL_SM_SN_E_clIS8_S8_S9_S9_EESK_S10_SL_SM_SN_EUlS10_E0_NS1_11comp_targetILNS1_3genE10ELNS1_11target_archE1201ELNS1_3gpuE5ELNS1_3repE0EEENS1_38merge_mergepath_config_static_selectorELNS0_4arch9wavefront6targetE1EEEvSM_ ; -- Begin function _ZN7rocprim17ROCPRIM_400000_NS6detail17trampoline_kernelINS0_14default_configENS1_38merge_sort_block_merge_config_selectorIlNS0_10empty_typeEEEZZNS1_27merge_sort_block_merge_implIS3_PlPS5_mZN2at6native12_GLOBAL__N_124unique_dim_cuda_templateItEESt5tupleIJNSA_6TensorESF_SF_EERKSF_lbbbEUlllE_EE10hipError_tT0_T1_T2_jT3_P12ihipStream_tbPNSt15iterator_traitsISL_E10value_typeEPNSR_ISM_E10value_typeEPSN_NS1_7vsmem_tEENKUlT_SL_SM_SN_E_clIS8_S8_S9_S9_EESK_S10_SL_SM_SN_EUlS10_E0_NS1_11comp_targetILNS1_3genE10ELNS1_11target_archE1201ELNS1_3gpuE5ELNS1_3repE0EEENS1_38merge_mergepath_config_static_selectorELNS0_4arch9wavefront6targetE1EEEvSM_
	.p2align	8
	.type	_ZN7rocprim17ROCPRIM_400000_NS6detail17trampoline_kernelINS0_14default_configENS1_38merge_sort_block_merge_config_selectorIlNS0_10empty_typeEEEZZNS1_27merge_sort_block_merge_implIS3_PlPS5_mZN2at6native12_GLOBAL__N_124unique_dim_cuda_templateItEESt5tupleIJNSA_6TensorESF_SF_EERKSF_lbbbEUlllE_EE10hipError_tT0_T1_T2_jT3_P12ihipStream_tbPNSt15iterator_traitsISL_E10value_typeEPNSR_ISM_E10value_typeEPSN_NS1_7vsmem_tEENKUlT_SL_SM_SN_E_clIS8_S8_S9_S9_EESK_S10_SL_SM_SN_EUlS10_E0_NS1_11comp_targetILNS1_3genE10ELNS1_11target_archE1201ELNS1_3gpuE5ELNS1_3repE0EEENS1_38merge_mergepath_config_static_selectorELNS0_4arch9wavefront6targetE1EEEvSM_,@function
_ZN7rocprim17ROCPRIM_400000_NS6detail17trampoline_kernelINS0_14default_configENS1_38merge_sort_block_merge_config_selectorIlNS0_10empty_typeEEEZZNS1_27merge_sort_block_merge_implIS3_PlPS5_mZN2at6native12_GLOBAL__N_124unique_dim_cuda_templateItEESt5tupleIJNSA_6TensorESF_SF_EERKSF_lbbbEUlllE_EE10hipError_tT0_T1_T2_jT3_P12ihipStream_tbPNSt15iterator_traitsISL_E10value_typeEPNSR_ISM_E10value_typeEPSN_NS1_7vsmem_tEENKUlT_SL_SM_SN_E_clIS8_S8_S9_S9_EESK_S10_SL_SM_SN_EUlS10_E0_NS1_11comp_targetILNS1_3genE10ELNS1_11target_archE1201ELNS1_3gpuE5ELNS1_3repE0EEENS1_38merge_mergepath_config_static_selectorELNS0_4arch9wavefront6targetE1EEEvSM_: ; @_ZN7rocprim17ROCPRIM_400000_NS6detail17trampoline_kernelINS0_14default_configENS1_38merge_sort_block_merge_config_selectorIlNS0_10empty_typeEEEZZNS1_27merge_sort_block_merge_implIS3_PlPS5_mZN2at6native12_GLOBAL__N_124unique_dim_cuda_templateItEESt5tupleIJNSA_6TensorESF_SF_EERKSF_lbbbEUlllE_EE10hipError_tT0_T1_T2_jT3_P12ihipStream_tbPNSt15iterator_traitsISL_E10value_typeEPNSR_ISM_E10value_typeEPSN_NS1_7vsmem_tEENKUlT_SL_SM_SN_E_clIS8_S8_S9_S9_EESK_S10_SL_SM_SN_EUlS10_E0_NS1_11comp_targetILNS1_3genE10ELNS1_11target_archE1201ELNS1_3gpuE5ELNS1_3repE0EEENS1_38merge_mergepath_config_static_selectorELNS0_4arch9wavefront6targetE1EEEvSM_
; %bb.0:
	.section	.rodata,"a",@progbits
	.p2align	6, 0x0
	.amdhsa_kernel _ZN7rocprim17ROCPRIM_400000_NS6detail17trampoline_kernelINS0_14default_configENS1_38merge_sort_block_merge_config_selectorIlNS0_10empty_typeEEEZZNS1_27merge_sort_block_merge_implIS3_PlPS5_mZN2at6native12_GLOBAL__N_124unique_dim_cuda_templateItEESt5tupleIJNSA_6TensorESF_SF_EERKSF_lbbbEUlllE_EE10hipError_tT0_T1_T2_jT3_P12ihipStream_tbPNSt15iterator_traitsISL_E10value_typeEPNSR_ISM_E10value_typeEPSN_NS1_7vsmem_tEENKUlT_SL_SM_SN_E_clIS8_S8_S9_S9_EESK_S10_SL_SM_SN_EUlS10_E0_NS1_11comp_targetILNS1_3genE10ELNS1_11target_archE1201ELNS1_3gpuE5ELNS1_3repE0EEENS1_38merge_mergepath_config_static_selectorELNS0_4arch9wavefront6targetE1EEEvSM_
		.amdhsa_group_segment_fixed_size 0
		.amdhsa_private_segment_fixed_size 0
		.amdhsa_kernarg_size 88
		.amdhsa_user_sgpr_count 6
		.amdhsa_user_sgpr_private_segment_buffer 1
		.amdhsa_user_sgpr_dispatch_ptr 0
		.amdhsa_user_sgpr_queue_ptr 0
		.amdhsa_user_sgpr_kernarg_segment_ptr 1
		.amdhsa_user_sgpr_dispatch_id 0
		.amdhsa_user_sgpr_flat_scratch_init 0
		.amdhsa_user_sgpr_kernarg_preload_length 0
		.amdhsa_user_sgpr_kernarg_preload_offset 0
		.amdhsa_user_sgpr_private_segment_size 0
		.amdhsa_uses_dynamic_stack 0
		.amdhsa_system_sgpr_private_segment_wavefront_offset 0
		.amdhsa_system_sgpr_workgroup_id_x 1
		.amdhsa_system_sgpr_workgroup_id_y 0
		.amdhsa_system_sgpr_workgroup_id_z 0
		.amdhsa_system_sgpr_workgroup_info 0
		.amdhsa_system_vgpr_workitem_id 0
		.amdhsa_next_free_vgpr 1
		.amdhsa_next_free_sgpr 0
		.amdhsa_accum_offset 4
		.amdhsa_reserve_vcc 0
		.amdhsa_reserve_flat_scratch 0
		.amdhsa_float_round_mode_32 0
		.amdhsa_float_round_mode_16_64 0
		.amdhsa_float_denorm_mode_32 3
		.amdhsa_float_denorm_mode_16_64 3
		.amdhsa_dx10_clamp 1
		.amdhsa_ieee_mode 1
		.amdhsa_fp16_overflow 0
		.amdhsa_tg_split 0
		.amdhsa_exception_fp_ieee_invalid_op 0
		.amdhsa_exception_fp_denorm_src 0
		.amdhsa_exception_fp_ieee_div_zero 0
		.amdhsa_exception_fp_ieee_overflow 0
		.amdhsa_exception_fp_ieee_underflow 0
		.amdhsa_exception_fp_ieee_inexact 0
		.amdhsa_exception_int_div_zero 0
	.end_amdhsa_kernel
	.section	.text._ZN7rocprim17ROCPRIM_400000_NS6detail17trampoline_kernelINS0_14default_configENS1_38merge_sort_block_merge_config_selectorIlNS0_10empty_typeEEEZZNS1_27merge_sort_block_merge_implIS3_PlPS5_mZN2at6native12_GLOBAL__N_124unique_dim_cuda_templateItEESt5tupleIJNSA_6TensorESF_SF_EERKSF_lbbbEUlllE_EE10hipError_tT0_T1_T2_jT3_P12ihipStream_tbPNSt15iterator_traitsISL_E10value_typeEPNSR_ISM_E10value_typeEPSN_NS1_7vsmem_tEENKUlT_SL_SM_SN_E_clIS8_S8_S9_S9_EESK_S10_SL_SM_SN_EUlS10_E0_NS1_11comp_targetILNS1_3genE10ELNS1_11target_archE1201ELNS1_3gpuE5ELNS1_3repE0EEENS1_38merge_mergepath_config_static_selectorELNS0_4arch9wavefront6targetE1EEEvSM_,"axG",@progbits,_ZN7rocprim17ROCPRIM_400000_NS6detail17trampoline_kernelINS0_14default_configENS1_38merge_sort_block_merge_config_selectorIlNS0_10empty_typeEEEZZNS1_27merge_sort_block_merge_implIS3_PlPS5_mZN2at6native12_GLOBAL__N_124unique_dim_cuda_templateItEESt5tupleIJNSA_6TensorESF_SF_EERKSF_lbbbEUlllE_EE10hipError_tT0_T1_T2_jT3_P12ihipStream_tbPNSt15iterator_traitsISL_E10value_typeEPNSR_ISM_E10value_typeEPSN_NS1_7vsmem_tEENKUlT_SL_SM_SN_E_clIS8_S8_S9_S9_EESK_S10_SL_SM_SN_EUlS10_E0_NS1_11comp_targetILNS1_3genE10ELNS1_11target_archE1201ELNS1_3gpuE5ELNS1_3repE0EEENS1_38merge_mergepath_config_static_selectorELNS0_4arch9wavefront6targetE1EEEvSM_,comdat
.Lfunc_end1377:
	.size	_ZN7rocprim17ROCPRIM_400000_NS6detail17trampoline_kernelINS0_14default_configENS1_38merge_sort_block_merge_config_selectorIlNS0_10empty_typeEEEZZNS1_27merge_sort_block_merge_implIS3_PlPS5_mZN2at6native12_GLOBAL__N_124unique_dim_cuda_templateItEESt5tupleIJNSA_6TensorESF_SF_EERKSF_lbbbEUlllE_EE10hipError_tT0_T1_T2_jT3_P12ihipStream_tbPNSt15iterator_traitsISL_E10value_typeEPNSR_ISM_E10value_typeEPSN_NS1_7vsmem_tEENKUlT_SL_SM_SN_E_clIS8_S8_S9_S9_EESK_S10_SL_SM_SN_EUlS10_E0_NS1_11comp_targetILNS1_3genE10ELNS1_11target_archE1201ELNS1_3gpuE5ELNS1_3repE0EEENS1_38merge_mergepath_config_static_selectorELNS0_4arch9wavefront6targetE1EEEvSM_, .Lfunc_end1377-_ZN7rocprim17ROCPRIM_400000_NS6detail17trampoline_kernelINS0_14default_configENS1_38merge_sort_block_merge_config_selectorIlNS0_10empty_typeEEEZZNS1_27merge_sort_block_merge_implIS3_PlPS5_mZN2at6native12_GLOBAL__N_124unique_dim_cuda_templateItEESt5tupleIJNSA_6TensorESF_SF_EERKSF_lbbbEUlllE_EE10hipError_tT0_T1_T2_jT3_P12ihipStream_tbPNSt15iterator_traitsISL_E10value_typeEPNSR_ISM_E10value_typeEPSN_NS1_7vsmem_tEENKUlT_SL_SM_SN_E_clIS8_S8_S9_S9_EESK_S10_SL_SM_SN_EUlS10_E0_NS1_11comp_targetILNS1_3genE10ELNS1_11target_archE1201ELNS1_3gpuE5ELNS1_3repE0EEENS1_38merge_mergepath_config_static_selectorELNS0_4arch9wavefront6targetE1EEEvSM_
                                        ; -- End function
	.section	.AMDGPU.csdata,"",@progbits
; Kernel info:
; codeLenInByte = 0
; NumSgprs: 4
; NumVgprs: 0
; NumAgprs: 0
; TotalNumVgprs: 0
; ScratchSize: 0
; MemoryBound: 0
; FloatMode: 240
; IeeeMode: 1
; LDSByteSize: 0 bytes/workgroup (compile time only)
; SGPRBlocks: 0
; VGPRBlocks: 0
; NumSGPRsForWavesPerEU: 4
; NumVGPRsForWavesPerEU: 1
; AccumOffset: 4
; Occupancy: 8
; WaveLimiterHint : 0
; COMPUTE_PGM_RSRC2:SCRATCH_EN: 0
; COMPUTE_PGM_RSRC2:USER_SGPR: 6
; COMPUTE_PGM_RSRC2:TRAP_HANDLER: 0
; COMPUTE_PGM_RSRC2:TGID_X_EN: 1
; COMPUTE_PGM_RSRC2:TGID_Y_EN: 0
; COMPUTE_PGM_RSRC2:TGID_Z_EN: 0
; COMPUTE_PGM_RSRC2:TIDIG_COMP_CNT: 0
; COMPUTE_PGM_RSRC3_GFX90A:ACCUM_OFFSET: 0
; COMPUTE_PGM_RSRC3_GFX90A:TG_SPLIT: 0
	.section	.text._ZN7rocprim17ROCPRIM_400000_NS6detail17trampoline_kernelINS0_14default_configENS1_38merge_sort_block_merge_config_selectorIlNS0_10empty_typeEEEZZNS1_27merge_sort_block_merge_implIS3_PlPS5_mZN2at6native12_GLOBAL__N_124unique_dim_cuda_templateItEESt5tupleIJNSA_6TensorESF_SF_EERKSF_lbbbEUlllE_EE10hipError_tT0_T1_T2_jT3_P12ihipStream_tbPNSt15iterator_traitsISL_E10value_typeEPNSR_ISM_E10value_typeEPSN_NS1_7vsmem_tEENKUlT_SL_SM_SN_E_clIS8_S8_S9_S9_EESK_S10_SL_SM_SN_EUlS10_E0_NS1_11comp_targetILNS1_3genE5ELNS1_11target_archE942ELNS1_3gpuE9ELNS1_3repE0EEENS1_38merge_mergepath_config_static_selectorELNS0_4arch9wavefront6targetE1EEEvSM_,"axG",@progbits,_ZN7rocprim17ROCPRIM_400000_NS6detail17trampoline_kernelINS0_14default_configENS1_38merge_sort_block_merge_config_selectorIlNS0_10empty_typeEEEZZNS1_27merge_sort_block_merge_implIS3_PlPS5_mZN2at6native12_GLOBAL__N_124unique_dim_cuda_templateItEESt5tupleIJNSA_6TensorESF_SF_EERKSF_lbbbEUlllE_EE10hipError_tT0_T1_T2_jT3_P12ihipStream_tbPNSt15iterator_traitsISL_E10value_typeEPNSR_ISM_E10value_typeEPSN_NS1_7vsmem_tEENKUlT_SL_SM_SN_E_clIS8_S8_S9_S9_EESK_S10_SL_SM_SN_EUlS10_E0_NS1_11comp_targetILNS1_3genE5ELNS1_11target_archE942ELNS1_3gpuE9ELNS1_3repE0EEENS1_38merge_mergepath_config_static_selectorELNS0_4arch9wavefront6targetE1EEEvSM_,comdat
	.globl	_ZN7rocprim17ROCPRIM_400000_NS6detail17trampoline_kernelINS0_14default_configENS1_38merge_sort_block_merge_config_selectorIlNS0_10empty_typeEEEZZNS1_27merge_sort_block_merge_implIS3_PlPS5_mZN2at6native12_GLOBAL__N_124unique_dim_cuda_templateItEESt5tupleIJNSA_6TensorESF_SF_EERKSF_lbbbEUlllE_EE10hipError_tT0_T1_T2_jT3_P12ihipStream_tbPNSt15iterator_traitsISL_E10value_typeEPNSR_ISM_E10value_typeEPSN_NS1_7vsmem_tEENKUlT_SL_SM_SN_E_clIS8_S8_S9_S9_EESK_S10_SL_SM_SN_EUlS10_E0_NS1_11comp_targetILNS1_3genE5ELNS1_11target_archE942ELNS1_3gpuE9ELNS1_3repE0EEENS1_38merge_mergepath_config_static_selectorELNS0_4arch9wavefront6targetE1EEEvSM_ ; -- Begin function _ZN7rocprim17ROCPRIM_400000_NS6detail17trampoline_kernelINS0_14default_configENS1_38merge_sort_block_merge_config_selectorIlNS0_10empty_typeEEEZZNS1_27merge_sort_block_merge_implIS3_PlPS5_mZN2at6native12_GLOBAL__N_124unique_dim_cuda_templateItEESt5tupleIJNSA_6TensorESF_SF_EERKSF_lbbbEUlllE_EE10hipError_tT0_T1_T2_jT3_P12ihipStream_tbPNSt15iterator_traitsISL_E10value_typeEPNSR_ISM_E10value_typeEPSN_NS1_7vsmem_tEENKUlT_SL_SM_SN_E_clIS8_S8_S9_S9_EESK_S10_SL_SM_SN_EUlS10_E0_NS1_11comp_targetILNS1_3genE5ELNS1_11target_archE942ELNS1_3gpuE9ELNS1_3repE0EEENS1_38merge_mergepath_config_static_selectorELNS0_4arch9wavefront6targetE1EEEvSM_
	.p2align	8
	.type	_ZN7rocprim17ROCPRIM_400000_NS6detail17trampoline_kernelINS0_14default_configENS1_38merge_sort_block_merge_config_selectorIlNS0_10empty_typeEEEZZNS1_27merge_sort_block_merge_implIS3_PlPS5_mZN2at6native12_GLOBAL__N_124unique_dim_cuda_templateItEESt5tupleIJNSA_6TensorESF_SF_EERKSF_lbbbEUlllE_EE10hipError_tT0_T1_T2_jT3_P12ihipStream_tbPNSt15iterator_traitsISL_E10value_typeEPNSR_ISM_E10value_typeEPSN_NS1_7vsmem_tEENKUlT_SL_SM_SN_E_clIS8_S8_S9_S9_EESK_S10_SL_SM_SN_EUlS10_E0_NS1_11comp_targetILNS1_3genE5ELNS1_11target_archE942ELNS1_3gpuE9ELNS1_3repE0EEENS1_38merge_mergepath_config_static_selectorELNS0_4arch9wavefront6targetE1EEEvSM_,@function
_ZN7rocprim17ROCPRIM_400000_NS6detail17trampoline_kernelINS0_14default_configENS1_38merge_sort_block_merge_config_selectorIlNS0_10empty_typeEEEZZNS1_27merge_sort_block_merge_implIS3_PlPS5_mZN2at6native12_GLOBAL__N_124unique_dim_cuda_templateItEESt5tupleIJNSA_6TensorESF_SF_EERKSF_lbbbEUlllE_EE10hipError_tT0_T1_T2_jT3_P12ihipStream_tbPNSt15iterator_traitsISL_E10value_typeEPNSR_ISM_E10value_typeEPSN_NS1_7vsmem_tEENKUlT_SL_SM_SN_E_clIS8_S8_S9_S9_EESK_S10_SL_SM_SN_EUlS10_E0_NS1_11comp_targetILNS1_3genE5ELNS1_11target_archE942ELNS1_3gpuE9ELNS1_3repE0EEENS1_38merge_mergepath_config_static_selectorELNS0_4arch9wavefront6targetE1EEEvSM_: ; @_ZN7rocprim17ROCPRIM_400000_NS6detail17trampoline_kernelINS0_14default_configENS1_38merge_sort_block_merge_config_selectorIlNS0_10empty_typeEEEZZNS1_27merge_sort_block_merge_implIS3_PlPS5_mZN2at6native12_GLOBAL__N_124unique_dim_cuda_templateItEESt5tupleIJNSA_6TensorESF_SF_EERKSF_lbbbEUlllE_EE10hipError_tT0_T1_T2_jT3_P12ihipStream_tbPNSt15iterator_traitsISL_E10value_typeEPNSR_ISM_E10value_typeEPSN_NS1_7vsmem_tEENKUlT_SL_SM_SN_E_clIS8_S8_S9_S9_EESK_S10_SL_SM_SN_EUlS10_E0_NS1_11comp_targetILNS1_3genE5ELNS1_11target_archE942ELNS1_3gpuE9ELNS1_3repE0EEENS1_38merge_mergepath_config_static_selectorELNS0_4arch9wavefront6targetE1EEEvSM_
; %bb.0:
	.section	.rodata,"a",@progbits
	.p2align	6, 0x0
	.amdhsa_kernel _ZN7rocprim17ROCPRIM_400000_NS6detail17trampoline_kernelINS0_14default_configENS1_38merge_sort_block_merge_config_selectorIlNS0_10empty_typeEEEZZNS1_27merge_sort_block_merge_implIS3_PlPS5_mZN2at6native12_GLOBAL__N_124unique_dim_cuda_templateItEESt5tupleIJNSA_6TensorESF_SF_EERKSF_lbbbEUlllE_EE10hipError_tT0_T1_T2_jT3_P12ihipStream_tbPNSt15iterator_traitsISL_E10value_typeEPNSR_ISM_E10value_typeEPSN_NS1_7vsmem_tEENKUlT_SL_SM_SN_E_clIS8_S8_S9_S9_EESK_S10_SL_SM_SN_EUlS10_E0_NS1_11comp_targetILNS1_3genE5ELNS1_11target_archE942ELNS1_3gpuE9ELNS1_3repE0EEENS1_38merge_mergepath_config_static_selectorELNS0_4arch9wavefront6targetE1EEEvSM_
		.amdhsa_group_segment_fixed_size 0
		.amdhsa_private_segment_fixed_size 0
		.amdhsa_kernarg_size 88
		.amdhsa_user_sgpr_count 6
		.amdhsa_user_sgpr_private_segment_buffer 1
		.amdhsa_user_sgpr_dispatch_ptr 0
		.amdhsa_user_sgpr_queue_ptr 0
		.amdhsa_user_sgpr_kernarg_segment_ptr 1
		.amdhsa_user_sgpr_dispatch_id 0
		.amdhsa_user_sgpr_flat_scratch_init 0
		.amdhsa_user_sgpr_kernarg_preload_length 0
		.amdhsa_user_sgpr_kernarg_preload_offset 0
		.amdhsa_user_sgpr_private_segment_size 0
		.amdhsa_uses_dynamic_stack 0
		.amdhsa_system_sgpr_private_segment_wavefront_offset 0
		.amdhsa_system_sgpr_workgroup_id_x 1
		.amdhsa_system_sgpr_workgroup_id_y 0
		.amdhsa_system_sgpr_workgroup_id_z 0
		.amdhsa_system_sgpr_workgroup_info 0
		.amdhsa_system_vgpr_workitem_id 0
		.amdhsa_next_free_vgpr 1
		.amdhsa_next_free_sgpr 0
		.amdhsa_accum_offset 4
		.amdhsa_reserve_vcc 0
		.amdhsa_reserve_flat_scratch 0
		.amdhsa_float_round_mode_32 0
		.amdhsa_float_round_mode_16_64 0
		.amdhsa_float_denorm_mode_32 3
		.amdhsa_float_denorm_mode_16_64 3
		.amdhsa_dx10_clamp 1
		.amdhsa_ieee_mode 1
		.amdhsa_fp16_overflow 0
		.amdhsa_tg_split 0
		.amdhsa_exception_fp_ieee_invalid_op 0
		.amdhsa_exception_fp_denorm_src 0
		.amdhsa_exception_fp_ieee_div_zero 0
		.amdhsa_exception_fp_ieee_overflow 0
		.amdhsa_exception_fp_ieee_underflow 0
		.amdhsa_exception_fp_ieee_inexact 0
		.amdhsa_exception_int_div_zero 0
	.end_amdhsa_kernel
	.section	.text._ZN7rocprim17ROCPRIM_400000_NS6detail17trampoline_kernelINS0_14default_configENS1_38merge_sort_block_merge_config_selectorIlNS0_10empty_typeEEEZZNS1_27merge_sort_block_merge_implIS3_PlPS5_mZN2at6native12_GLOBAL__N_124unique_dim_cuda_templateItEESt5tupleIJNSA_6TensorESF_SF_EERKSF_lbbbEUlllE_EE10hipError_tT0_T1_T2_jT3_P12ihipStream_tbPNSt15iterator_traitsISL_E10value_typeEPNSR_ISM_E10value_typeEPSN_NS1_7vsmem_tEENKUlT_SL_SM_SN_E_clIS8_S8_S9_S9_EESK_S10_SL_SM_SN_EUlS10_E0_NS1_11comp_targetILNS1_3genE5ELNS1_11target_archE942ELNS1_3gpuE9ELNS1_3repE0EEENS1_38merge_mergepath_config_static_selectorELNS0_4arch9wavefront6targetE1EEEvSM_,"axG",@progbits,_ZN7rocprim17ROCPRIM_400000_NS6detail17trampoline_kernelINS0_14default_configENS1_38merge_sort_block_merge_config_selectorIlNS0_10empty_typeEEEZZNS1_27merge_sort_block_merge_implIS3_PlPS5_mZN2at6native12_GLOBAL__N_124unique_dim_cuda_templateItEESt5tupleIJNSA_6TensorESF_SF_EERKSF_lbbbEUlllE_EE10hipError_tT0_T1_T2_jT3_P12ihipStream_tbPNSt15iterator_traitsISL_E10value_typeEPNSR_ISM_E10value_typeEPSN_NS1_7vsmem_tEENKUlT_SL_SM_SN_E_clIS8_S8_S9_S9_EESK_S10_SL_SM_SN_EUlS10_E0_NS1_11comp_targetILNS1_3genE5ELNS1_11target_archE942ELNS1_3gpuE9ELNS1_3repE0EEENS1_38merge_mergepath_config_static_selectorELNS0_4arch9wavefront6targetE1EEEvSM_,comdat
.Lfunc_end1378:
	.size	_ZN7rocprim17ROCPRIM_400000_NS6detail17trampoline_kernelINS0_14default_configENS1_38merge_sort_block_merge_config_selectorIlNS0_10empty_typeEEEZZNS1_27merge_sort_block_merge_implIS3_PlPS5_mZN2at6native12_GLOBAL__N_124unique_dim_cuda_templateItEESt5tupleIJNSA_6TensorESF_SF_EERKSF_lbbbEUlllE_EE10hipError_tT0_T1_T2_jT3_P12ihipStream_tbPNSt15iterator_traitsISL_E10value_typeEPNSR_ISM_E10value_typeEPSN_NS1_7vsmem_tEENKUlT_SL_SM_SN_E_clIS8_S8_S9_S9_EESK_S10_SL_SM_SN_EUlS10_E0_NS1_11comp_targetILNS1_3genE5ELNS1_11target_archE942ELNS1_3gpuE9ELNS1_3repE0EEENS1_38merge_mergepath_config_static_selectorELNS0_4arch9wavefront6targetE1EEEvSM_, .Lfunc_end1378-_ZN7rocprim17ROCPRIM_400000_NS6detail17trampoline_kernelINS0_14default_configENS1_38merge_sort_block_merge_config_selectorIlNS0_10empty_typeEEEZZNS1_27merge_sort_block_merge_implIS3_PlPS5_mZN2at6native12_GLOBAL__N_124unique_dim_cuda_templateItEESt5tupleIJNSA_6TensorESF_SF_EERKSF_lbbbEUlllE_EE10hipError_tT0_T1_T2_jT3_P12ihipStream_tbPNSt15iterator_traitsISL_E10value_typeEPNSR_ISM_E10value_typeEPSN_NS1_7vsmem_tEENKUlT_SL_SM_SN_E_clIS8_S8_S9_S9_EESK_S10_SL_SM_SN_EUlS10_E0_NS1_11comp_targetILNS1_3genE5ELNS1_11target_archE942ELNS1_3gpuE9ELNS1_3repE0EEENS1_38merge_mergepath_config_static_selectorELNS0_4arch9wavefront6targetE1EEEvSM_
                                        ; -- End function
	.section	.AMDGPU.csdata,"",@progbits
; Kernel info:
; codeLenInByte = 0
; NumSgprs: 4
; NumVgprs: 0
; NumAgprs: 0
; TotalNumVgprs: 0
; ScratchSize: 0
; MemoryBound: 0
; FloatMode: 240
; IeeeMode: 1
; LDSByteSize: 0 bytes/workgroup (compile time only)
; SGPRBlocks: 0
; VGPRBlocks: 0
; NumSGPRsForWavesPerEU: 4
; NumVGPRsForWavesPerEU: 1
; AccumOffset: 4
; Occupancy: 8
; WaveLimiterHint : 0
; COMPUTE_PGM_RSRC2:SCRATCH_EN: 0
; COMPUTE_PGM_RSRC2:USER_SGPR: 6
; COMPUTE_PGM_RSRC2:TRAP_HANDLER: 0
; COMPUTE_PGM_RSRC2:TGID_X_EN: 1
; COMPUTE_PGM_RSRC2:TGID_Y_EN: 0
; COMPUTE_PGM_RSRC2:TGID_Z_EN: 0
; COMPUTE_PGM_RSRC2:TIDIG_COMP_CNT: 0
; COMPUTE_PGM_RSRC3_GFX90A:ACCUM_OFFSET: 0
; COMPUTE_PGM_RSRC3_GFX90A:TG_SPLIT: 0
	.section	.text._ZN7rocprim17ROCPRIM_400000_NS6detail17trampoline_kernelINS0_14default_configENS1_38merge_sort_block_merge_config_selectorIlNS0_10empty_typeEEEZZNS1_27merge_sort_block_merge_implIS3_PlPS5_mZN2at6native12_GLOBAL__N_124unique_dim_cuda_templateItEESt5tupleIJNSA_6TensorESF_SF_EERKSF_lbbbEUlllE_EE10hipError_tT0_T1_T2_jT3_P12ihipStream_tbPNSt15iterator_traitsISL_E10value_typeEPNSR_ISM_E10value_typeEPSN_NS1_7vsmem_tEENKUlT_SL_SM_SN_E_clIS8_S8_S9_S9_EESK_S10_SL_SM_SN_EUlS10_E0_NS1_11comp_targetILNS1_3genE4ELNS1_11target_archE910ELNS1_3gpuE8ELNS1_3repE0EEENS1_38merge_mergepath_config_static_selectorELNS0_4arch9wavefront6targetE1EEEvSM_,"axG",@progbits,_ZN7rocprim17ROCPRIM_400000_NS6detail17trampoline_kernelINS0_14default_configENS1_38merge_sort_block_merge_config_selectorIlNS0_10empty_typeEEEZZNS1_27merge_sort_block_merge_implIS3_PlPS5_mZN2at6native12_GLOBAL__N_124unique_dim_cuda_templateItEESt5tupleIJNSA_6TensorESF_SF_EERKSF_lbbbEUlllE_EE10hipError_tT0_T1_T2_jT3_P12ihipStream_tbPNSt15iterator_traitsISL_E10value_typeEPNSR_ISM_E10value_typeEPSN_NS1_7vsmem_tEENKUlT_SL_SM_SN_E_clIS8_S8_S9_S9_EESK_S10_SL_SM_SN_EUlS10_E0_NS1_11comp_targetILNS1_3genE4ELNS1_11target_archE910ELNS1_3gpuE8ELNS1_3repE0EEENS1_38merge_mergepath_config_static_selectorELNS0_4arch9wavefront6targetE1EEEvSM_,comdat
	.globl	_ZN7rocprim17ROCPRIM_400000_NS6detail17trampoline_kernelINS0_14default_configENS1_38merge_sort_block_merge_config_selectorIlNS0_10empty_typeEEEZZNS1_27merge_sort_block_merge_implIS3_PlPS5_mZN2at6native12_GLOBAL__N_124unique_dim_cuda_templateItEESt5tupleIJNSA_6TensorESF_SF_EERKSF_lbbbEUlllE_EE10hipError_tT0_T1_T2_jT3_P12ihipStream_tbPNSt15iterator_traitsISL_E10value_typeEPNSR_ISM_E10value_typeEPSN_NS1_7vsmem_tEENKUlT_SL_SM_SN_E_clIS8_S8_S9_S9_EESK_S10_SL_SM_SN_EUlS10_E0_NS1_11comp_targetILNS1_3genE4ELNS1_11target_archE910ELNS1_3gpuE8ELNS1_3repE0EEENS1_38merge_mergepath_config_static_selectorELNS0_4arch9wavefront6targetE1EEEvSM_ ; -- Begin function _ZN7rocprim17ROCPRIM_400000_NS6detail17trampoline_kernelINS0_14default_configENS1_38merge_sort_block_merge_config_selectorIlNS0_10empty_typeEEEZZNS1_27merge_sort_block_merge_implIS3_PlPS5_mZN2at6native12_GLOBAL__N_124unique_dim_cuda_templateItEESt5tupleIJNSA_6TensorESF_SF_EERKSF_lbbbEUlllE_EE10hipError_tT0_T1_T2_jT3_P12ihipStream_tbPNSt15iterator_traitsISL_E10value_typeEPNSR_ISM_E10value_typeEPSN_NS1_7vsmem_tEENKUlT_SL_SM_SN_E_clIS8_S8_S9_S9_EESK_S10_SL_SM_SN_EUlS10_E0_NS1_11comp_targetILNS1_3genE4ELNS1_11target_archE910ELNS1_3gpuE8ELNS1_3repE0EEENS1_38merge_mergepath_config_static_selectorELNS0_4arch9wavefront6targetE1EEEvSM_
	.p2align	8
	.type	_ZN7rocprim17ROCPRIM_400000_NS6detail17trampoline_kernelINS0_14default_configENS1_38merge_sort_block_merge_config_selectorIlNS0_10empty_typeEEEZZNS1_27merge_sort_block_merge_implIS3_PlPS5_mZN2at6native12_GLOBAL__N_124unique_dim_cuda_templateItEESt5tupleIJNSA_6TensorESF_SF_EERKSF_lbbbEUlllE_EE10hipError_tT0_T1_T2_jT3_P12ihipStream_tbPNSt15iterator_traitsISL_E10value_typeEPNSR_ISM_E10value_typeEPSN_NS1_7vsmem_tEENKUlT_SL_SM_SN_E_clIS8_S8_S9_S9_EESK_S10_SL_SM_SN_EUlS10_E0_NS1_11comp_targetILNS1_3genE4ELNS1_11target_archE910ELNS1_3gpuE8ELNS1_3repE0EEENS1_38merge_mergepath_config_static_selectorELNS0_4arch9wavefront6targetE1EEEvSM_,@function
_ZN7rocprim17ROCPRIM_400000_NS6detail17trampoline_kernelINS0_14default_configENS1_38merge_sort_block_merge_config_selectorIlNS0_10empty_typeEEEZZNS1_27merge_sort_block_merge_implIS3_PlPS5_mZN2at6native12_GLOBAL__N_124unique_dim_cuda_templateItEESt5tupleIJNSA_6TensorESF_SF_EERKSF_lbbbEUlllE_EE10hipError_tT0_T1_T2_jT3_P12ihipStream_tbPNSt15iterator_traitsISL_E10value_typeEPNSR_ISM_E10value_typeEPSN_NS1_7vsmem_tEENKUlT_SL_SM_SN_E_clIS8_S8_S9_S9_EESK_S10_SL_SM_SN_EUlS10_E0_NS1_11comp_targetILNS1_3genE4ELNS1_11target_archE910ELNS1_3gpuE8ELNS1_3repE0EEENS1_38merge_mergepath_config_static_selectorELNS0_4arch9wavefront6targetE1EEEvSM_: ; @_ZN7rocprim17ROCPRIM_400000_NS6detail17trampoline_kernelINS0_14default_configENS1_38merge_sort_block_merge_config_selectorIlNS0_10empty_typeEEEZZNS1_27merge_sort_block_merge_implIS3_PlPS5_mZN2at6native12_GLOBAL__N_124unique_dim_cuda_templateItEESt5tupleIJNSA_6TensorESF_SF_EERKSF_lbbbEUlllE_EE10hipError_tT0_T1_T2_jT3_P12ihipStream_tbPNSt15iterator_traitsISL_E10value_typeEPNSR_ISM_E10value_typeEPSN_NS1_7vsmem_tEENKUlT_SL_SM_SN_E_clIS8_S8_S9_S9_EESK_S10_SL_SM_SN_EUlS10_E0_NS1_11comp_targetILNS1_3genE4ELNS1_11target_archE910ELNS1_3gpuE8ELNS1_3repE0EEENS1_38merge_mergepath_config_static_selectorELNS0_4arch9wavefront6targetE1EEEvSM_
; %bb.0:
	s_load_dwordx2 s[22:23], s[4:5], 0x58
	s_load_dword s0, s[4:5], 0x38
	s_add_u32 s16, s4, 0x58
	s_addc_u32 s17, s5, 0
	s_waitcnt lgkmcnt(0)
	s_mul_i32 s1, s23, s8
	s_add_i32 s1, s1, s7
	s_mul_i32 s1, s1, s22
	s_add_i32 s18, s1, s6
	s_cmp_ge_u32 s18, s0
	s_cbranch_scc1 .LBB1379_82
; %bb.1:
	s_load_dwordx2 s[0:1], s[4:5], 0x50
	s_load_dwordx4 s[12:15], s[4:5], 0x8
	s_load_dwordx4 s[8:11], s[4:5], 0x28
	s_mov_b32 s19, 0
	s_lshl_b64 s[2:3], s[18:19], 3
	s_waitcnt lgkmcnt(0)
	s_add_u32 s0, s0, s2
	s_addc_u32 s1, s1, s3
	v_mov_b32_e32 v1, s10
	v_alignbit_b32 v1, s11, v1, 9
	v_readfirstlane_b32 s7, v1
	s_and_b32 s7, s7, -2
	s_sub_i32 s33, 0, s7
	s_and_b32 s26, s18, s33
	s_mov_b32 s27, s19
	s_lshl_b64 s[24:25], s[26:27], 10
	s_lshl_b64 s[20:21], s[18:19], 10
	s_sub_u32 s7, s20, s24
	s_load_dwordx4 s[0:3], s[0:1], 0x0
	s_subb_u32 s23, s21, s25
	s_lshl_b64 s[26:27], s[26:27], 11
	s_add_u32 s26, s26, s10
	s_addc_u32 s27, s27, s11
	s_add_u32 s7, s26, s7
	s_addc_u32 s23, s27, s23
	s_waitcnt lgkmcnt(0)
	s_sub_u32 s28, s7, s2
	s_subb_u32 s3, s23, s3
	s_add_u32 s28, s28, 0x400
	s_addc_u32 s29, s3, 0
	v_pk_mov_b32 v[2:3], s[28:29], s[28:29] op_sel:[0,1]
	v_cmp_lt_u64_e32 vcc, s[8:9], v[2:3]
	s_and_b64 s[30:31], vcc, exec
	s_cselect_b32 s3, s8, s28
	s_or_b32 s28, s18, s33
	s_cmp_lg_u32 s28, -1
	s_cbranch_scc1 .LBB1379_3
; %bb.2:
	s_sub_u32 s24, s26, s24
	s_subb_u32 s25, s27, s25
	v_pk_mov_b32 v[2:3], s[24:25], s[24:25] op_sel:[0,1]
	v_cmp_lt_u64_e32 vcc, s[8:9], v[2:3]
	s_and_b64 s[2:3], vcc, exec
	s_cselect_b32 s2, s8, s24
	s_add_u32 s10, s24, s10
	s_addc_u32 s11, s25, s11
	v_pk_mov_b32 v[2:3], s[10:11], s[10:11] op_sel:[0,1]
	v_cmp_lt_u64_e32 vcc, s[8:9], v[2:3]
	s_and_b64 s[24:25], vcc, exec
	s_cselect_b32 s3, s8, s10
.LBB1379_3:
	s_lshr_b64 s[26:27], s[8:9], 10
	s_cmp_lg_u64 s[26:27], s[18:19]
	s_cselect_b64 s[10:11], -1, 0
	s_sub_u32 s24, s7, s0
	s_subb_u32 s25, s23, s1
	v_pk_mov_b32 v[2:3], s[24:25], s[24:25] op_sel:[0,1]
	v_cmp_lt_u64_e32 vcc, s[8:9], v[2:3]
	s_and_b64 s[28:29], vcc, exec
	s_cselect_b32 s28, s8, s24
	s_cselect_b32 s29, s9, s25
	s_sub_i32 s9, s2, s0
	s_sub_i32 s7, s3, s28
	s_lshl_b64 s[0:1], s[0:1], 3
	s_add_u32 s23, s12, s0
	s_addc_u32 s24, s13, s1
	s_lshl_b64 s[0:1], s[28:29], 3
	s_add_u32 s12, s12, s0
	s_addc_u32 s13, s13, s1
	s_cmp_lt_u32 s6, s22
	v_mov_b32_e32 v9, 0
	s_cselect_b32 s0, 12, 18
	global_load_dword v1, v9, s[16:17] offset:14
	s_add_u32 s0, s16, s0
	s_addc_u32 s1, s17, 0
	global_load_ushort v2, v9, s[0:1]
	s_cmp_eq_u64 s[26:27], s[18:19]
	s_waitcnt vmcnt(1)
	v_lshrrev_b32_e32 v3, 16, v1
	v_and_b32_e32 v1, 0xffff, v1
	v_mul_lo_u32 v1, v1, v3
	s_waitcnt vmcnt(0)
	v_mul_lo_u32 v12, v1, v2
	v_lshlrev_b32_e32 v1, 3, v0
	s_cbranch_scc1 .LBB1379_5
; %bb.4:
	v_mov_b32_e32 v2, s24
	v_add_co_u32_e32 v4, vcc, s23, v1
	v_subrev_u32_e32 v8, s9, v0
	v_addc_co_u32_e32 v5, vcc, 0, v2, vcc
	v_lshlrev_b64 v[2:3], 3, v[8:9]
	v_mov_b32_e32 v6, s13
	v_add_co_u32_e32 v2, vcc, s12, v2
	v_addc_co_u32_e32 v3, vcc, v6, v3, vcc
	v_cmp_gt_u32_e32 vcc, s9, v0
	v_add_u32_e32 v8, v12, v0
	v_cndmask_b32_e32 v3, v3, v5, vcc
	v_cndmask_b32_e32 v2, v2, v4, vcc
	v_lshlrev_b64 v[4:5], 3, v[8:9]
	v_mov_b32_e32 v6, s24
	v_add_co_u32_e32 v7, vcc, s23, v4
	v_addc_co_u32_e32 v6, vcc, v6, v5, vcc
	v_subrev_u32_e32 v4, s9, v8
	v_mov_b32_e32 v5, v9
	v_lshlrev_b64 v[4:5], 3, v[4:5]
	v_mov_b32_e32 v10, s13
	v_add_co_u32_e32 v4, vcc, s12, v4
	v_addc_co_u32_e32 v5, vcc, v10, v5, vcc
	v_cmp_gt_u32_e32 vcc, s9, v8
	v_add_u32_e32 v8, v8, v12
	v_cndmask_b32_e32 v5, v5, v6, vcc
	v_cndmask_b32_e32 v4, v4, v7, vcc
	v_lshlrev_b64 v[6:7], 3, v[8:9]
	v_mov_b32_e32 v10, s24
	v_add_co_u32_e32 v11, vcc, s23, v6
	v_addc_co_u32_e32 v10, vcc, v10, v7, vcc
	v_subrev_u32_e32 v6, s9, v8
	v_mov_b32_e32 v7, v9
	v_lshlrev_b64 v[6:7], 3, v[6:7]
	v_mov_b32_e32 v13, s13
	v_add_co_u32_e32 v6, vcc, s12, v6
	v_addc_co_u32_e32 v7, vcc, v13, v7, vcc
	v_cmp_gt_u32_e32 vcc, s9, v8
	v_add_u32_e32 v8, v8, v12
	v_cndmask_b32_e32 v7, v7, v10, vcc
	v_cndmask_b32_e32 v6, v6, v11, vcc
	v_lshlrev_b64 v[10:11], 3, v[8:9]
	v_mov_b32_e32 v13, s24
	v_add_co_u32_e32 v10, vcc, s23, v10
	v_addc_co_u32_e32 v11, vcc, v13, v11, vcc
	v_cmp_gt_u32_e32 vcc, s9, v8
	v_subrev_u32_e32 v8, s9, v8
	v_lshlrev_b64 v[8:9], 3, v[8:9]
	v_mov_b32_e32 v13, s13
	v_add_co_u32_e64 v8, s[0:1], s12, v8
	v_addc_co_u32_e64 v9, s[0:1], v13, v9, s[0:1]
	v_cndmask_b32_e32 v9, v9, v11, vcc
	v_cndmask_b32_e32 v8, v8, v10, vcc
	global_load_dwordx2 v[2:3], v[2:3], off
	s_add_i32 s33, s9, s7
	global_load_dwordx2 v[4:5], v[4:5], off
	s_nop 0
	global_load_dwordx2 v[6:7], v[6:7], off
	s_nop 0
	global_load_dwordx2 v[8:9], v[8:9], off
	s_cbranch_execz .LBB1379_6
	s_branch .LBB1379_15
.LBB1379_5:
                                        ; implicit-def: $vgpr2_vgpr3_vgpr4_vgpr5_vgpr6_vgpr7_vgpr8_vgpr9
                                        ; implicit-def: $sgpr33
.LBB1379_6:
	s_add_i32 s33, s9, s7
	v_cmp_gt_u32_e32 vcc, s33, v0
                                        ; implicit-def: $vgpr2_vgpr3_vgpr4_vgpr5_vgpr6_vgpr7_vgpr8_vgpr9
	s_and_saveexec_b64 s[0:1], vcc
	s_cbranch_execz .LBB1379_8
; %bb.7:
	s_waitcnt vmcnt(3)
	v_mov_b32_e32 v2, s24
	s_waitcnt vmcnt(2)
	v_add_co_u32_e32 v4, vcc, s23, v1
	v_mov_b32_e32 v3, 0
	v_addc_co_u32_e32 v5, vcc, 0, v2, vcc
	v_subrev_u32_e32 v2, s9, v0
	v_lshlrev_b64 v[2:3], 3, v[2:3]
	s_waitcnt vmcnt(1)
	v_mov_b32_e32 v6, s13
	v_add_co_u32_e32 v2, vcc, s12, v2
	v_addc_co_u32_e32 v3, vcc, v6, v3, vcc
	v_cmp_gt_u32_e32 vcc, s9, v0
	v_cndmask_b32_e32 v3, v3, v5, vcc
	v_cndmask_b32_e32 v2, v2, v4, vcc
	global_load_dwordx2 v[2:3], v[2:3], off
.LBB1379_8:
	s_or_b64 exec, exec, s[0:1]
	v_add_u32_e32 v10, v12, v0
	v_cmp_gt_u32_e32 vcc, s33, v10
	s_and_saveexec_b64 s[0:1], vcc
	s_cbranch_execz .LBB1379_10
; %bb.9:
	v_mov_b32_e32 v11, 0
	s_waitcnt vmcnt(2)
	v_lshlrev_b64 v[4:5], 3, v[10:11]
	v_mov_b32_e32 v13, s24
	v_add_co_u32_e32 v14, vcc, s23, v4
	v_addc_co_u32_e32 v13, vcc, v13, v5, vcc
	v_subrev_u32_e32 v4, s9, v10
	v_mov_b32_e32 v5, v11
	v_lshlrev_b64 v[4:5], 3, v[4:5]
	v_mov_b32_e32 v11, s13
	v_add_co_u32_e32 v4, vcc, s12, v4
	v_addc_co_u32_e32 v5, vcc, v11, v5, vcc
	v_cmp_gt_u32_e32 vcc, s9, v10
	v_cndmask_b32_e32 v5, v5, v13, vcc
	v_cndmask_b32_e32 v4, v4, v14, vcc
	global_load_dwordx2 v[4:5], v[4:5], off
.LBB1379_10:
	s_or_b64 exec, exec, s[0:1]
	v_add_u32_e32 v10, v10, v12
	v_cmp_gt_u32_e32 vcc, s33, v10
	s_and_saveexec_b64 s[0:1], vcc
	s_cbranch_execz .LBB1379_12
; %bb.11:
	v_mov_b32_e32 v11, 0
	s_waitcnt vmcnt(1)
	v_lshlrev_b64 v[6:7], 3, v[10:11]
	v_mov_b32_e32 v13, s24
	v_add_co_u32_e32 v14, vcc, s23, v6
	v_addc_co_u32_e32 v13, vcc, v13, v7, vcc
	v_subrev_u32_e32 v6, s9, v10
	v_mov_b32_e32 v7, v11
	v_lshlrev_b64 v[6:7], 3, v[6:7]
	v_mov_b32_e32 v11, s13
	v_add_co_u32_e32 v6, vcc, s12, v6
	v_addc_co_u32_e32 v7, vcc, v11, v7, vcc
	v_cmp_gt_u32_e32 vcc, s9, v10
	v_cndmask_b32_e32 v7, v7, v13, vcc
	v_cndmask_b32_e32 v6, v6, v14, vcc
	global_load_dwordx2 v[6:7], v[6:7], off
.LBB1379_12:
	s_or_b64 exec, exec, s[0:1]
	v_add_u32_e32 v10, v10, v12
	v_cmp_gt_u32_e32 vcc, s33, v10
	s_and_saveexec_b64 s[2:3], vcc
	s_cbranch_execz .LBB1379_14
; %bb.13:
	v_mov_b32_e32 v11, 0
	s_waitcnt vmcnt(0)
	v_lshlrev_b64 v[8:9], 3, v[10:11]
	v_mov_b32_e32 v12, s24
	v_add_co_u32_e32 v13, vcc, s23, v8
	v_addc_co_u32_e32 v12, vcc, v12, v9, vcc
	v_cmp_gt_u32_e32 vcc, s9, v10
	v_subrev_u32_e32 v10, s9, v10
	v_lshlrev_b64 v[8:9], 3, v[10:11]
	v_mov_b32_e32 v10, s13
	v_add_co_u32_e64 v8, s[0:1], s12, v8
	v_addc_co_u32_e64 v9, s[0:1], v10, v9, s[0:1]
	v_cndmask_b32_e32 v9, v9, v12, vcc
	v_cndmask_b32_e32 v8, v8, v13, vcc
	global_load_dwordx2 v[8:9], v[8:9], off
.LBB1379_14:
	s_or_b64 exec, exec, s[2:3]
.LBB1379_15:
	s_load_dwordx4 s[16:19], s[4:5], 0x40
	v_lshlrev_b32_e32 v16, 2, v0
	v_min_u32_e32 v15, s33, v16
	v_sub_u32_e64 v14, v15, s7 clamp
	v_min_u32_e32 v17, s9, v15
	v_cmp_lt_u32_e32 vcc, v14, v17
	s_waitcnt vmcnt(0)
	ds_write2st64_b64 v1, v[2:3], v[4:5] offset1:4
	ds_write2st64_b64 v1, v[6:7], v[8:9] offset0:8 offset1:12
	s_waitcnt lgkmcnt(0)
	s_barrier
	s_and_saveexec_b64 s[6:7], vcc
	s_cbranch_execz .LBB1379_25
; %bb.16:
	v_lshlrev_b32_e32 v10, 3, v15
	v_cmp_gt_i64_e64 s[0:1], s[16:17], 0
	v_lshl_add_u32 v18, s9, 3, v10
	v_cndmask_b32_e64 v10, 0, 1, s[0:1]
	s_mov_b64 s[12:13], 0
	s_lshl_b64 s[22:23], s[16:17], 1
	v_cmp_ne_u32_e64 s[0:1], 1, v10
	s_branch .LBB1379_19
.LBB1379_17:                            ;   in Loop: Header=BB1379_19 Depth=1
	s_or_b64 exec, exec, s[26:27]
.LBB1379_18:                            ;   in Loop: Header=BB1379_19 Depth=1
	v_add_u32_e32 v10, 1, v19
	v_cndmask_b32_e64 v17, v17, v19, s[24:25]
	v_cndmask_b32_e64 v14, v10, v14, s[24:25]
	v_cmp_ge_u32_e32 vcc, v14, v17
	s_or_b64 s[12:13], vcc, s[12:13]
	s_andn2_b64 exec, exec, s[12:13]
	s_cbranch_execz .LBB1379_24
.LBB1379_19:                            ; =>This Loop Header: Depth=1
                                        ;     Child Loop BB1379_22 Depth 2
	v_add_u32_e32 v10, v17, v14
	v_lshrrev_b32_e32 v19, 1, v10
	s_and_b64 vcc, exec, s[0:1]
	s_mov_b64 s[24:25], 0
	s_cbranch_vccnz .LBB1379_18
; %bb.20:                               ;   in Loop: Header=BB1379_19 Depth=1
	v_not_b32_e32 v10, v19
	v_lshl_add_u32 v10, v10, 3, v18
	ds_read_b64 v[10:11], v10
	v_lshlrev_b32_e32 v20, 3, v19
	ds_read_b64 v[20:21], v20
	v_pk_mov_b32 v[12:13], s[18:19], s[18:19] op_sel:[0,1]
	s_mov_b64 s[26:27], 0
	s_waitcnt lgkmcnt(1)
	v_mul_lo_u32 v22, s22, v11
	v_mul_lo_u32 v23, s23, v10
	v_mad_u64_u32 v[10:11], s[2:3], s22, v10, v[12:13]
	v_add3_u32 v11, v23, v11, v22
	s_waitcnt lgkmcnt(0)
	v_mul_lo_u32 v21, s22, v21
	v_mul_lo_u32 v22, s23, v20
	v_mad_u64_u32 v[12:13], s[2:3], s22, v20, v[12:13]
	v_add3_u32 v13, v22, v13, v21
	s_mov_b64 s[34:35], s[16:17]
                                        ; implicit-def: $sgpr24_sgpr25
                                        ; implicit-def: $sgpr28_sgpr29
                                        ; implicit-def: $sgpr30_sgpr31
                                        ; implicit-def: $sgpr2_sgpr3
                                        ; implicit-def: $sgpr36_sgpr37
	s_branch .LBB1379_22
.LBB1379_21:                            ;   in Loop: Header=BB1379_22 Depth=2
	s_or_b64 exec, exec, s[38:39]
	s_and_b64 s[4:5], exec, s[28:29]
	s_or_b64 s[26:27], s[4:5], s[26:27]
	s_andn2_b64 s[4:5], s[36:37], exec
	s_and_b64 s[36:37], s[30:31], exec
	s_or_b64 s[36:37], s[4:5], s[36:37]
	s_andn2_b64 s[4:5], s[24:25], exec
	s_and_b64 s[24:25], s[2:3], exec
	s_or_b64 s[24:25], s[4:5], s[24:25]
	s_andn2_b64 exec, exec, s[26:27]
	s_cbranch_execz .LBB1379_17
.LBB1379_22:                            ;   Parent Loop BB1379_19 Depth=1
                                        ; =>  This Inner Loop Header: Depth=2
	global_load_ushort v20, v[10:11], off
	global_load_ushort v21, v[12:13], off
	s_andn2_b64 s[38:39], s[2:3], exec
	s_andn2_b64 s[30:31], s[30:31], exec
	s_or_b64 s[28:29], s[28:29], exec
	s_waitcnt vmcnt(0)
	v_cmp_le_u16_e64 s[2:3], v20, v21
	v_cmp_lt_u16_e32 vcc, v20, v21
	s_and_b64 s[2:3], s[2:3], s[36:37]
	s_or_b64 s[40:41], vcc, s[2:3]
	s_and_b64 s[2:3], s[40:41], exec
	v_cmp_eq_u16_e64 s[4:5], v20, v21
	s_or_b64 s[2:3], s[38:39], s[2:3]
	s_and_saveexec_b64 s[38:39], s[4:5]
	s_cbranch_execz .LBB1379_21
; %bb.23:                               ;   in Loop: Header=BB1379_22 Depth=2
	s_add_u32 s34, s34, -1
	s_addc_u32 s35, s35, -1
	v_add_co_u32_e32 v10, vcc, 2, v10
	s_cmp_eq_u64 s[34:35], 0
	v_addc_co_u32_e32 v11, vcc, 0, v11, vcc
	s_cselect_b64 s[4:5], -1, 0
	v_add_co_u32_e32 v12, vcc, 2, v12
	s_andn2_b64 s[30:31], s[30:31], exec
	s_and_b64 s[36:37], s[40:41], exec
	s_andn2_b64 s[28:29], s[28:29], exec
	s_and_b64 s[4:5], s[4:5], exec
	v_addc_co_u32_e32 v13, vcc, 0, v13, vcc
	s_andn2_b64 s[2:3], s[2:3], exec
	s_or_b64 s[30:31], s[30:31], s[36:37]
	s_or_b64 s[28:29], s[28:29], s[4:5]
                                        ; implicit-def: $sgpr36_sgpr37
	s_branch .LBB1379_21
.LBB1379_24:
	s_or_b64 exec, exec, s[12:13]
.LBB1379_25:
	s_or_b64 exec, exec, s[6:7]
	v_sub_u32_e32 v10, v15, v14
	v_add_u32_e32 v15, s9, v10
	v_cmp_ge_u32_e32 vcc, s9, v14
	v_cmp_ge_u32_e64 s[0:1], s33, v15
	s_or_b64 s[0:1], vcc, s[0:1]
	s_and_saveexec_b64 s[4:5], s[0:1]
	s_cbranch_execz .LBB1379_72
; %bb.26:
	v_cmp_le_u32_e32 vcc, s9, v14
	v_cmp_gt_u32_e64 s[0:1], s9, v14
                                        ; implicit-def: $vgpr2_vgpr3
	s_and_saveexec_b64 s[2:3], s[0:1]
	s_cbranch_execz .LBB1379_28
; %bb.27:
	v_lshlrev_b32_e32 v2, 3, v14
	ds_read_b64 v[2:3], v2
.LBB1379_28:
	s_or_b64 exec, exec, s[2:3]
	v_cmp_le_u32_e64 s[12:13], s33, v15
	v_cmp_gt_u32_e64 s[0:1], s33, v15
                                        ; implicit-def: $vgpr6_vgpr7
	s_and_saveexec_b64 s[2:3], s[0:1]
	s_cbranch_execz .LBB1379_30
; %bb.29:
	v_lshlrev_b32_e32 v4, 3, v15
	ds_read_b64 v[6:7], v4
.LBB1379_30:
	s_or_b64 exec, exec, s[2:3]
	s_or_b64 s[0:1], vcc, s[12:13]
	v_cmp_gt_i64_e64 s[6:7], s[16:17], 0
	s_mov_b64 s[22:23], -1
	s_xor_b64 s[0:1], s[0:1], -1
	s_and_saveexec_b64 s[24:25], s[0:1]
	s_cbranch_execz .LBB1379_39
; %bb.31:
	s_andn2_b64 vcc, exec, s[6:7]
	s_cbranch_vccnz .LBB1379_37
; %bb.32:
	s_waitcnt lgkmcnt(0)
	v_mul_lo_u32 v8, v7, s16
	v_mul_lo_u32 v9, v6, s17
	v_mad_u64_u32 v[4:5], s[0:1], v6, s16, 0
	v_add3_u32 v5, v5, v9, v8
	v_lshlrev_b64 v[4:5], 1, v[4:5]
	v_mov_b32_e32 v8, s19
	v_add_co_u32_e32 v4, vcc, s18, v4
	v_addc_co_u32_e32 v5, vcc, v8, v5, vcc
	v_mul_lo_u32 v10, v3, s16
	v_mul_lo_u32 v11, v2, s17
	v_mad_u64_u32 v[8:9], s[0:1], v2, s16, 0
	v_add3_u32 v9, v9, v11, v10
	v_lshlrev_b64 v[8:9], 1, v[8:9]
	v_mov_b32_e32 v10, s19
	v_add_co_u32_e32 v8, vcc, s18, v8
	v_addc_co_u32_e32 v9, vcc, v10, v9, vcc
	s_mov_b64 s[26:27], 0
	s_mov_b64 s[36:37], s[16:17]
                                        ; implicit-def: $sgpr28_sgpr29
                                        ; implicit-def: $sgpr30_sgpr31
                                        ; implicit-def: $sgpr0_sgpr1
                                        ; implicit-def: $sgpr34_sgpr35
                                        ; implicit-def: $sgpr38_sgpr39
	s_branch .LBB1379_34
.LBB1379_33:                            ;   in Loop: Header=BB1379_34 Depth=1
	s_or_b64 exec, exec, s[40:41]
	s_and_b64 s[2:3], exec, s[30:31]
	s_or_b64 s[26:27], s[2:3], s[26:27]
	s_andn2_b64 s[2:3], s[38:39], exec
	s_and_b64 s[38:39], s[34:35], exec
	s_or_b64 s[38:39], s[2:3], s[38:39]
	s_andn2_b64 s[2:3], s[28:29], exec
	s_and_b64 s[28:29], s[0:1], exec
	s_or_b64 s[28:29], s[2:3], s[28:29]
	s_andn2_b64 exec, exec, s[26:27]
	s_cbranch_execz .LBB1379_36
.LBB1379_34:                            ; =>This Inner Loop Header: Depth=1
	global_load_ushort v10, v[4:5], off
	global_load_ushort v11, v[8:9], off
	s_andn2_b64 s[40:41], s[0:1], exec
	s_andn2_b64 s[34:35], s[34:35], exec
	s_or_b64 s[30:31], s[30:31], exec
	s_waitcnt vmcnt(0)
	v_cmp_le_u16_e64 s[0:1], v10, v11
	v_cmp_lt_u16_e32 vcc, v10, v11
	s_and_b64 s[0:1], s[0:1], s[38:39]
	s_or_b64 s[42:43], vcc, s[0:1]
	s_and_b64 s[0:1], s[42:43], exec
	v_cmp_eq_u16_e64 s[2:3], v10, v11
	s_or_b64 s[0:1], s[40:41], s[0:1]
	s_and_saveexec_b64 s[40:41], s[2:3]
	s_cbranch_execz .LBB1379_33
; %bb.35:                               ;   in Loop: Header=BB1379_34 Depth=1
	s_add_u32 s36, s36, -1
	s_addc_u32 s37, s37, -1
	v_add_co_u32_e32 v4, vcc, 2, v4
	s_cmp_eq_u64 s[36:37], 0
	v_addc_co_u32_e32 v5, vcc, 0, v5, vcc
	s_cselect_b64 s[2:3], -1, 0
	v_add_co_u32_e32 v8, vcc, 2, v8
	s_andn2_b64 s[34:35], s[34:35], exec
	s_and_b64 s[38:39], s[42:43], exec
	s_andn2_b64 s[30:31], s[30:31], exec
	s_and_b64 s[2:3], s[2:3], exec
	v_addc_co_u32_e32 v9, vcc, 0, v9, vcc
	s_or_b64 s[34:35], s[34:35], s[38:39]
	s_andn2_b64 s[0:1], s[0:1], exec
	s_or_b64 s[30:31], s[30:31], s[2:3]
                                        ; implicit-def: $sgpr38_sgpr39
	s_branch .LBB1379_33
.LBB1379_36:
	s_or_b64 exec, exec, s[26:27]
	s_xor_b64 s[0:1], s[28:29], -1
	s_branch .LBB1379_38
.LBB1379_37:
	s_mov_b64 s[0:1], -1
.LBB1379_38:
	s_andn2_b64 s[2:3], s[12:13], exec
	s_and_b64 s[0:1], s[0:1], exec
	s_or_b64 s[12:13], s[2:3], s[0:1]
.LBB1379_39:
	s_or_b64 exec, exec, s[24:25]
	v_mov_b32_e32 v5, s33
	v_mov_b32_e32 v8, s9
	v_cndmask_b32_e64 v4, v15, v14, s[12:13]
	v_cndmask_b32_e64 v5, v5, v8, s[12:13]
	v_add_u32_e32 v8, 1, v4
	v_add_u32_e32 v4, -1, v5
	v_min_u32_e32 v4, v8, v4
	v_lshlrev_b32_e32 v4, 3, v4
	ds_read_b64 v[4:5], v4
	v_cndmask_b32_e64 v17, v8, v15, s[12:13]
	v_cndmask_b32_e64 v21, v14, v8, s[12:13]
	v_cmp_gt_u32_e32 vcc, s33, v17
	s_waitcnt lgkmcnt(0)
	v_cndmask_b32_e64 v10, v5, v7, s[12:13]
	v_cndmask_b32_e64 v11, v4, v6, s[12:13]
	;; [unrolled: 1-line block ×4, first 2 shown]
	s_and_saveexec_b64 s[24:25], vcc
	s_cbranch_execz .LBB1379_50
; %bb.40:
	v_cmp_gt_u32_e32 vcc, s9, v21
	s_mov_b64 s[0:1], 0
	s_and_saveexec_b64 s[22:23], vcc
	s_cbranch_execz .LBB1379_49
; %bb.41:
	s_andn2_b64 vcc, exec, s[6:7]
	s_cbranch_vccnz .LBB1379_47
; %bb.42:
	v_mul_lo_u32 v8, v10, s16
	v_mul_lo_u32 v9, v11, s17
	v_mad_u64_u32 v[4:5], s[0:1], v11, s16, 0
	v_add3_u32 v5, v5, v9, v8
	v_lshlrev_b64 v[4:5], 1, v[4:5]
	v_mov_b32_e32 v8, s19
	v_add_co_u32_e32 v4, vcc, s18, v4
	v_addc_co_u32_e32 v5, vcc, v8, v5, vcc
	v_mul_lo_u32 v14, v12, s16
	v_mul_lo_u32 v15, v13, s17
	v_mad_u64_u32 v[8:9], s[0:1], v13, s16, 0
	v_add3_u32 v9, v9, v15, v14
	v_lshlrev_b64 v[8:9], 1, v[8:9]
	v_mov_b32_e32 v14, s19
	v_add_co_u32_e32 v8, vcc, s18, v8
	v_addc_co_u32_e32 v9, vcc, v14, v9, vcc
	s_mov_b64 s[26:27], 0
	s_mov_b64 s[36:37], s[16:17]
                                        ; implicit-def: $sgpr28_sgpr29
                                        ; implicit-def: $sgpr30_sgpr31
                                        ; implicit-def: $sgpr0_sgpr1
                                        ; implicit-def: $sgpr34_sgpr35
                                        ; implicit-def: $sgpr38_sgpr39
	s_branch .LBB1379_44
.LBB1379_43:                            ;   in Loop: Header=BB1379_44 Depth=1
	s_or_b64 exec, exec, s[40:41]
	s_and_b64 s[2:3], exec, s[30:31]
	s_or_b64 s[26:27], s[2:3], s[26:27]
	s_andn2_b64 s[2:3], s[38:39], exec
	s_and_b64 s[38:39], s[34:35], exec
	s_or_b64 s[38:39], s[2:3], s[38:39]
	s_andn2_b64 s[2:3], s[28:29], exec
	s_and_b64 s[28:29], s[0:1], exec
	s_or_b64 s[28:29], s[2:3], s[28:29]
	s_andn2_b64 exec, exec, s[26:27]
	s_cbranch_execz .LBB1379_46
.LBB1379_44:                            ; =>This Inner Loop Header: Depth=1
	global_load_ushort v14, v[4:5], off
	global_load_ushort v15, v[8:9], off
	s_andn2_b64 s[40:41], s[0:1], exec
	s_andn2_b64 s[34:35], s[34:35], exec
	s_or_b64 s[30:31], s[30:31], exec
	s_waitcnt vmcnt(0)
	v_cmp_le_u16_e64 s[0:1], v14, v15
	v_cmp_lt_u16_e32 vcc, v14, v15
	s_and_b64 s[0:1], s[0:1], s[38:39]
	s_or_b64 s[42:43], vcc, s[0:1]
	s_and_b64 s[0:1], s[42:43], exec
	v_cmp_eq_u16_e64 s[2:3], v14, v15
	s_or_b64 s[0:1], s[40:41], s[0:1]
	s_and_saveexec_b64 s[40:41], s[2:3]
	s_cbranch_execz .LBB1379_43
; %bb.45:                               ;   in Loop: Header=BB1379_44 Depth=1
	s_add_u32 s36, s36, -1
	s_addc_u32 s37, s37, -1
	v_add_co_u32_e32 v4, vcc, 2, v4
	s_cmp_eq_u64 s[36:37], 0
	v_addc_co_u32_e32 v5, vcc, 0, v5, vcc
	s_cselect_b64 s[2:3], -1, 0
	v_add_co_u32_e32 v8, vcc, 2, v8
	s_andn2_b64 s[34:35], s[34:35], exec
	s_and_b64 s[38:39], s[42:43], exec
	s_andn2_b64 s[30:31], s[30:31], exec
	s_and_b64 s[2:3], s[2:3], exec
	v_addc_co_u32_e32 v9, vcc, 0, v9, vcc
	s_or_b64 s[34:35], s[34:35], s[38:39]
	s_andn2_b64 s[0:1], s[0:1], exec
	s_or_b64 s[30:31], s[30:31], s[2:3]
                                        ; implicit-def: $sgpr38_sgpr39
	s_branch .LBB1379_43
.LBB1379_46:
	s_or_b64 exec, exec, s[26:27]
	s_xor_b64 s[0:1], s[28:29], -1
	s_branch .LBB1379_48
.LBB1379_47:
	s_mov_b64 s[0:1], -1
.LBB1379_48:
	s_and_b64 s[0:1], s[0:1], exec
.LBB1379_49:
	s_or_b64 exec, exec, s[22:23]
	s_orn2_b64 s[22:23], s[0:1], exec
.LBB1379_50:
	s_or_b64 exec, exec, s[24:25]
	v_mov_b32_e32 v5, s33
	v_mov_b32_e32 v8, s9
	v_cndmask_b32_e64 v4, v17, v21, s[22:23]
	v_cndmask_b32_e64 v5, v5, v8, s[22:23]
	v_add_u32_e32 v8, 1, v4
	v_add_u32_e32 v4, -1, v5
	v_min_u32_e32 v4, v8, v4
	v_lshlrev_b32_e32 v4, 3, v4
	ds_read_b64 v[4:5], v4
	v_cndmask_b32_e64 v18, v8, v17, s[22:23]
	v_cndmask_b32_e64 v17, v21, v8, s[22:23]
	v_cmp_gt_u32_e32 vcc, s33, v18
	s_mov_b64 s[0:1], -1
	s_waitcnt lgkmcnt(0)
	v_cndmask_b32_e64 v14, v5, v10, s[22:23]
	v_cndmask_b32_e64 v15, v4, v11, s[22:23]
	;; [unrolled: 1-line block ×4, first 2 shown]
	s_and_saveexec_b64 s[24:25], vcc
	s_cbranch_execz .LBB1379_61
; %bb.51:
	v_cmp_gt_u32_e32 vcc, s9, v17
	s_mov_b64 s[0:1], 0
	s_and_saveexec_b64 s[26:27], vcc
	s_cbranch_execz .LBB1379_60
; %bb.52:
	s_andn2_b64 vcc, exec, s[6:7]
	s_cbranch_vccnz .LBB1379_58
; %bb.53:
	v_mul_lo_u32 v8, v14, s16
	v_mul_lo_u32 v9, v15, s17
	v_mad_u64_u32 v[4:5], s[0:1], v15, s16, 0
	v_add3_u32 v5, v5, v9, v8
	v_lshlrev_b64 v[4:5], 1, v[4:5]
	v_mov_b32_e32 v8, s19
	v_add_co_u32_e32 v4, vcc, s18, v4
	v_addc_co_u32_e32 v5, vcc, v8, v5, vcc
	v_mul_lo_u32 v21, v19, s16
	v_mul_lo_u32 v22, v20, s17
	v_mad_u64_u32 v[8:9], s[0:1], v20, s16, 0
	v_add3_u32 v9, v9, v22, v21
	v_lshlrev_b64 v[8:9], 1, v[8:9]
	v_mov_b32_e32 v21, s19
	v_add_co_u32_e32 v8, vcc, s18, v8
	v_addc_co_u32_e32 v9, vcc, v21, v9, vcc
	s_mov_b64 s[28:29], 0
	s_mov_b64 s[38:39], s[16:17]
                                        ; implicit-def: $sgpr30_sgpr31
                                        ; implicit-def: $sgpr34_sgpr35
                                        ; implicit-def: $sgpr0_sgpr1
                                        ; implicit-def: $sgpr36_sgpr37
                                        ; implicit-def: $sgpr40_sgpr41
	s_branch .LBB1379_55
.LBB1379_54:                            ;   in Loop: Header=BB1379_55 Depth=1
	s_or_b64 exec, exec, s[42:43]
	s_and_b64 s[2:3], exec, s[34:35]
	s_or_b64 s[28:29], s[2:3], s[28:29]
	s_andn2_b64 s[2:3], s[40:41], exec
	s_and_b64 s[40:41], s[36:37], exec
	s_or_b64 s[40:41], s[2:3], s[40:41]
	s_andn2_b64 s[2:3], s[30:31], exec
	s_and_b64 s[30:31], s[0:1], exec
	s_or_b64 s[30:31], s[2:3], s[30:31]
	s_andn2_b64 exec, exec, s[28:29]
	s_cbranch_execz .LBB1379_57
.LBB1379_55:                            ; =>This Inner Loop Header: Depth=1
	global_load_ushort v21, v[4:5], off
	global_load_ushort v22, v[8:9], off
	s_andn2_b64 s[42:43], s[0:1], exec
	s_andn2_b64 s[36:37], s[36:37], exec
	s_or_b64 s[34:35], s[34:35], exec
	s_waitcnt vmcnt(0)
	v_cmp_le_u16_e64 s[0:1], v21, v22
	v_cmp_lt_u16_e32 vcc, v21, v22
	s_and_b64 s[0:1], s[0:1], s[40:41]
	s_or_b64 s[44:45], vcc, s[0:1]
	s_and_b64 s[0:1], s[44:45], exec
	v_cmp_eq_u16_e64 s[2:3], v21, v22
	s_or_b64 s[0:1], s[42:43], s[0:1]
	s_and_saveexec_b64 s[42:43], s[2:3]
	s_cbranch_execz .LBB1379_54
; %bb.56:                               ;   in Loop: Header=BB1379_55 Depth=1
	s_add_u32 s38, s38, -1
	s_addc_u32 s39, s39, -1
	v_add_co_u32_e32 v4, vcc, 2, v4
	s_cmp_eq_u64 s[38:39], 0
	v_addc_co_u32_e32 v5, vcc, 0, v5, vcc
	s_cselect_b64 s[2:3], -1, 0
	v_add_co_u32_e32 v8, vcc, 2, v8
	s_andn2_b64 s[36:37], s[36:37], exec
	s_and_b64 s[40:41], s[44:45], exec
	s_andn2_b64 s[34:35], s[34:35], exec
	s_and_b64 s[2:3], s[2:3], exec
	v_addc_co_u32_e32 v9, vcc, 0, v9, vcc
	s_or_b64 s[36:37], s[36:37], s[40:41]
	s_andn2_b64 s[0:1], s[0:1], exec
	s_or_b64 s[34:35], s[34:35], s[2:3]
                                        ; implicit-def: $sgpr40_sgpr41
	s_branch .LBB1379_54
.LBB1379_57:
	s_or_b64 exec, exec, s[28:29]
	s_xor_b64 s[0:1], s[30:31], -1
	s_branch .LBB1379_59
.LBB1379_58:
	s_mov_b64 s[0:1], -1
.LBB1379_59:
	s_and_b64 s[0:1], s[0:1], exec
.LBB1379_60:
	s_or_b64 exec, exec, s[26:27]
	s_orn2_b64 s[0:1], s[0:1], exec
.LBB1379_61:
	s_or_b64 exec, exec, s[24:25]
	v_cndmask_b32_e64 v5, v10, v12, s[22:23]
	v_mov_b32_e32 v9, s33
	v_mov_b32_e32 v10, s9
	v_cndmask_b32_e64 v8, v18, v17, s[0:1]
	v_cndmask_b32_e64 v9, v9, v10, s[0:1]
	v_add_u32_e32 v12, 1, v8
	v_add_u32_e32 v8, -1, v9
	v_min_u32_e32 v8, v12, v8
	v_lshlrev_b32_e32 v8, 3, v8
	v_cndmask_b32_e64 v4, v11, v13, s[22:23]
	ds_read_b64 v[10:11], v8
	v_cndmask_b32_e64 v13, v12, v18, s[0:1]
	v_cndmask_b32_e64 v3, v7, v3, s[12:13]
	;; [unrolled: 1-line block ×5, first 2 shown]
	s_waitcnt lgkmcnt(0)
	v_cndmask_b32_e64 v9, v19, v11, s[0:1]
	v_cndmask_b32_e64 v8, v20, v10, s[0:1]
	v_cmp_gt_u32_e32 vcc, s33, v13
	s_and_saveexec_b64 s[12:13], vcc
	s_cbranch_execz .LBB1379_71
; %bb.62:
	v_cndmask_b32_e64 v12, v17, v12, s[0:1]
	v_cndmask_b32_e64 v11, v11, v14, s[0:1]
	;; [unrolled: 1-line block ×3, first 2 shown]
	v_cmp_gt_u32_e32 vcc, s9, v12
	s_and_saveexec_b64 s[22:23], vcc
	s_cbranch_execz .LBB1379_70
; %bb.63:
	s_andn2_b64 vcc, exec, s[6:7]
	s_cbranch_vccnz .LBB1379_69
; %bb.64:
	v_mul_lo_u32 v14, v11, s16
	v_mul_lo_u32 v15, v10, s17
	v_mad_u64_u32 v[12:13], s[0:1], v10, s16, 0
	v_add3_u32 v13, v13, v15, v14
	v_lshlrev_b64 v[12:13], 1, v[12:13]
	v_mov_b32_e32 v14, s19
	v_add_co_u32_e32 v12, vcc, s18, v12
	v_addc_co_u32_e32 v13, vcc, v14, v13, vcc
	v_mul_lo_u32 v17, v9, s16
	v_mul_lo_u32 v18, v8, s17
	v_mad_u64_u32 v[14:15], s[0:1], v8, s16, 0
	v_add3_u32 v15, v15, v18, v17
	v_lshlrev_b64 v[14:15], 1, v[14:15]
	v_mov_b32_e32 v17, s19
	v_add_co_u32_e32 v14, vcc, s18, v14
	v_addc_co_u32_e32 v15, vcc, v17, v15, vcc
	s_mov_b64 s[6:7], 0
                                        ; implicit-def: $sgpr18_sgpr19
                                        ; implicit-def: $sgpr24_sgpr25
                                        ; implicit-def: $sgpr0_sgpr1
                                        ; implicit-def: $sgpr26_sgpr27
                                        ; implicit-def: $sgpr28_sgpr29
	s_branch .LBB1379_66
.LBB1379_65:                            ;   in Loop: Header=BB1379_66 Depth=1
	s_or_b64 exec, exec, s[30:31]
	s_and_b64 s[2:3], exec, s[24:25]
	s_or_b64 s[6:7], s[2:3], s[6:7]
	s_andn2_b64 s[2:3], s[28:29], exec
	s_and_b64 s[28:29], s[26:27], exec
	s_or_b64 s[28:29], s[2:3], s[28:29]
	s_andn2_b64 s[2:3], s[18:19], exec
	s_and_b64 s[18:19], s[0:1], exec
	s_or_b64 s[18:19], s[2:3], s[18:19]
	s_andn2_b64 exec, exec, s[6:7]
	s_cbranch_execz .LBB1379_68
.LBB1379_66:                            ; =>This Inner Loop Header: Depth=1
	global_load_ushort v17, v[12:13], off
	global_load_ushort v18, v[14:15], off
	s_andn2_b64 s[30:31], s[0:1], exec
	s_andn2_b64 s[26:27], s[26:27], exec
	s_or_b64 s[24:25], s[24:25], exec
	s_waitcnt vmcnt(0)
	v_cmp_le_u16_e64 s[0:1], v17, v18
	v_cmp_lt_u16_e32 vcc, v17, v18
	s_and_b64 s[0:1], s[0:1], s[28:29]
	s_or_b64 s[34:35], vcc, s[0:1]
	s_and_b64 s[0:1], s[34:35], exec
	v_cmp_eq_u16_e64 s[2:3], v17, v18
	s_or_b64 s[0:1], s[30:31], s[0:1]
	s_and_saveexec_b64 s[30:31], s[2:3]
	s_cbranch_execz .LBB1379_65
; %bb.67:                               ;   in Loop: Header=BB1379_66 Depth=1
	s_add_u32 s16, s16, -1
	s_addc_u32 s17, s17, -1
	v_add_co_u32_e32 v12, vcc, 2, v12
	s_cmp_eq_u64 s[16:17], 0
	v_addc_co_u32_e32 v13, vcc, 0, v13, vcc
	s_cselect_b64 s[2:3], -1, 0
	v_add_co_u32_e32 v14, vcc, 2, v14
	s_andn2_b64 s[26:27], s[26:27], exec
	s_and_b64 s[28:29], s[34:35], exec
	s_andn2_b64 s[24:25], s[24:25], exec
	s_and_b64 s[2:3], s[2:3], exec
	v_addc_co_u32_e32 v15, vcc, 0, v15, vcc
	s_or_b64 s[26:27], s[26:27], s[28:29]
	s_andn2_b64 s[0:1], s[0:1], exec
	s_or_b64 s[24:25], s[24:25], s[2:3]
                                        ; implicit-def: $sgpr28_sgpr29
	s_branch .LBB1379_65
.LBB1379_68:
	s_or_b64 exec, exec, s[6:7]
	v_cndmask_b32_e64 v9, v9, v11, s[18:19]
	v_cndmask_b32_e64 v8, v8, v10, s[18:19]
.LBB1379_69:
	v_pk_mov_b32 v[10:11], v[8:9], v[8:9] op_sel:[0,1]
.LBB1379_70:
	s_or_b64 exec, exec, s[22:23]
	v_pk_mov_b32 v[8:9], v[10:11], v[10:11] op_sel:[0,1]
.LBB1379_71:
	s_or_b64 exec, exec, s[12:13]
.LBB1379_72:
	s_or_b64 exec, exec, s[4:5]
	v_and_b32_e32 v10, 0xf8, v0
	v_lshl_add_u32 v10, v16, 3, v10
	s_barrier
	s_barrier
	ds_write2_b64 v10, v[2:3], v[4:5] offset1:1
	ds_write2_b64 v10, v[6:7], v[8:9] offset0:2 offset1:3
	v_lshrrev_b32_e32 v2, 2, v0
	v_and_b32_e32 v2, 56, v2
	v_or_b32_e32 v12, 0x100, v0
	v_add_u32_e32 v13, v1, v2
	v_lshrrev_b32_e32 v2, 2, v12
	v_and_b32_e32 v2, 0x78, v2
	v_or_b32_e32 v11, 0x200, v0
	v_add_u32_e32 v6, v1, v2
	v_lshrrev_b32_e32 v2, 2, v11
	s_lshl_b64 s[0:1], s[20:21], 3
	v_and_b32_e32 v2, 0xb8, v2
	v_or_b32_e32 v10, 0x300, v0
	s_add_u32 s0, s14, s0
	v_add_u32_e32 v7, v1, v2
	v_lshrrev_b32_e32 v2, 2, v10
	s_addc_u32 s1, s15, s1
	v_and_b32_e32 v2, 0xf8, v2
	v_add_u32_e32 v14, v1, v2
	v_mov_b32_e32 v3, s1
	v_add_co_u32_e32 v2, vcc, s0, v1
	v_addc_co_u32_e32 v3, vcc, 0, v3, vcc
	s_and_b64 vcc, exec, s[10:11]
	s_waitcnt lgkmcnt(0)
	s_cbranch_vccz .LBB1379_74
; %bb.73:
	s_barrier
	ds_read_b64 v[8:9], v13
	ds_read_b64 v[16:17], v6 offset:2048
	ds_read_b64 v[18:19], v7 offset:4096
	;; [unrolled: 1-line block ×3, first 2 shown]
	s_waitcnt lgkmcnt(3)
	global_store_dwordx2 v[2:3], v[8:9], off
	s_waitcnt lgkmcnt(2)
	global_store_dwordx2 v[2:3], v[16:17], off offset:2048
	v_add_co_u32_e32 v8, vcc, 0x1000, v2
	v_addc_co_u32_e32 v9, vcc, 0, v3, vcc
	s_waitcnt lgkmcnt(1)
	global_store_dwordx2 v[8:9], v[18:19], off
	s_mov_b64 s[0:1], -1
	s_cbranch_execz .LBB1379_75
	s_branch .LBB1379_80
.LBB1379_74:
	s_mov_b64 s[0:1], 0
                                        ; implicit-def: $vgpr4_vgpr5
.LBB1379_75:
	s_barrier
	s_waitcnt lgkmcnt(0)
	ds_read_b64 v[8:9], v6 offset:2048
	ds_read_b64 v[6:7], v7 offset:4096
	;; [unrolled: 1-line block ×3, first 2 shown]
	s_sub_i32 s2, s8, s20
	v_cmp_gt_u32_e32 vcc, s2, v0
	s_and_saveexec_b64 s[0:1], vcc
	s_cbranch_execnz .LBB1379_83
; %bb.76:
	s_or_b64 exec, exec, s[0:1]
	v_cmp_gt_u32_e32 vcc, s2, v12
	s_and_saveexec_b64 s[0:1], vcc
	s_cbranch_execnz .LBB1379_84
.LBB1379_77:
	s_or_b64 exec, exec, s[0:1]
	v_cmp_gt_u32_e32 vcc, s2, v11
	s_and_saveexec_b64 s[0:1], vcc
	s_cbranch_execz .LBB1379_79
.LBB1379_78:
	v_add_co_u32_e32 v0, vcc, 0x1000, v2
	v_addc_co_u32_e32 v1, vcc, 0, v3, vcc
	s_waitcnt lgkmcnt(1)
	global_store_dwordx2 v[0:1], v[6:7], off
.LBB1379_79:
	s_or_b64 exec, exec, s[0:1]
	v_cmp_gt_u32_e64 s[0:1], s2, v10
.LBB1379_80:
	s_and_saveexec_b64 s[2:3], s[0:1]
	s_cbranch_execz .LBB1379_82
; %bb.81:
	v_add_co_u32_e32 v0, vcc, 0x1000, v2
	v_addc_co_u32_e32 v1, vcc, 0, v3, vcc
	s_waitcnt lgkmcnt(0)
	global_store_dwordx2 v[0:1], v[4:5], off offset:2048
.LBB1379_82:
	s_endpgm
.LBB1379_83:
	ds_read_b64 v[0:1], v13
	s_waitcnt lgkmcnt(0)
	global_store_dwordx2 v[2:3], v[0:1], off
	s_or_b64 exec, exec, s[0:1]
	v_cmp_gt_u32_e32 vcc, s2, v12
	s_and_saveexec_b64 s[0:1], vcc
	s_cbranch_execz .LBB1379_77
.LBB1379_84:
	s_waitcnt lgkmcnt(2)
	global_store_dwordx2 v[2:3], v[8:9], off offset:2048
	s_or_b64 exec, exec, s[0:1]
	v_cmp_gt_u32_e32 vcc, s2, v11
	s_and_saveexec_b64 s[0:1], vcc
	s_cbranch_execnz .LBB1379_78
	s_branch .LBB1379_79
	.section	.rodata,"a",@progbits
	.p2align	6, 0x0
	.amdhsa_kernel _ZN7rocprim17ROCPRIM_400000_NS6detail17trampoline_kernelINS0_14default_configENS1_38merge_sort_block_merge_config_selectorIlNS0_10empty_typeEEEZZNS1_27merge_sort_block_merge_implIS3_PlPS5_mZN2at6native12_GLOBAL__N_124unique_dim_cuda_templateItEESt5tupleIJNSA_6TensorESF_SF_EERKSF_lbbbEUlllE_EE10hipError_tT0_T1_T2_jT3_P12ihipStream_tbPNSt15iterator_traitsISL_E10value_typeEPNSR_ISM_E10value_typeEPSN_NS1_7vsmem_tEENKUlT_SL_SM_SN_E_clIS8_S8_S9_S9_EESK_S10_SL_SM_SN_EUlS10_E0_NS1_11comp_targetILNS1_3genE4ELNS1_11target_archE910ELNS1_3gpuE8ELNS1_3repE0EEENS1_38merge_mergepath_config_static_selectorELNS0_4arch9wavefront6targetE1EEEvSM_
		.amdhsa_group_segment_fixed_size 8448
		.amdhsa_private_segment_fixed_size 0
		.amdhsa_kernarg_size 344
		.amdhsa_user_sgpr_count 6
		.amdhsa_user_sgpr_private_segment_buffer 1
		.amdhsa_user_sgpr_dispatch_ptr 0
		.amdhsa_user_sgpr_queue_ptr 0
		.amdhsa_user_sgpr_kernarg_segment_ptr 1
		.amdhsa_user_sgpr_dispatch_id 0
		.amdhsa_user_sgpr_flat_scratch_init 0
		.amdhsa_user_sgpr_kernarg_preload_length 0
		.amdhsa_user_sgpr_kernarg_preload_offset 0
		.amdhsa_user_sgpr_private_segment_size 0
		.amdhsa_uses_dynamic_stack 0
		.amdhsa_system_sgpr_private_segment_wavefront_offset 0
		.amdhsa_system_sgpr_workgroup_id_x 1
		.amdhsa_system_sgpr_workgroup_id_y 1
		.amdhsa_system_sgpr_workgroup_id_z 1
		.amdhsa_system_sgpr_workgroup_info 0
		.amdhsa_system_vgpr_workitem_id 0
		.amdhsa_next_free_vgpr 24
		.amdhsa_next_free_sgpr 46
		.amdhsa_accum_offset 24
		.amdhsa_reserve_vcc 1
		.amdhsa_reserve_flat_scratch 0
		.amdhsa_float_round_mode_32 0
		.amdhsa_float_round_mode_16_64 0
		.amdhsa_float_denorm_mode_32 3
		.amdhsa_float_denorm_mode_16_64 3
		.amdhsa_dx10_clamp 1
		.amdhsa_ieee_mode 1
		.amdhsa_fp16_overflow 0
		.amdhsa_tg_split 0
		.amdhsa_exception_fp_ieee_invalid_op 0
		.amdhsa_exception_fp_denorm_src 0
		.amdhsa_exception_fp_ieee_div_zero 0
		.amdhsa_exception_fp_ieee_overflow 0
		.amdhsa_exception_fp_ieee_underflow 0
		.amdhsa_exception_fp_ieee_inexact 0
		.amdhsa_exception_int_div_zero 0
	.end_amdhsa_kernel
	.section	.text._ZN7rocprim17ROCPRIM_400000_NS6detail17trampoline_kernelINS0_14default_configENS1_38merge_sort_block_merge_config_selectorIlNS0_10empty_typeEEEZZNS1_27merge_sort_block_merge_implIS3_PlPS5_mZN2at6native12_GLOBAL__N_124unique_dim_cuda_templateItEESt5tupleIJNSA_6TensorESF_SF_EERKSF_lbbbEUlllE_EE10hipError_tT0_T1_T2_jT3_P12ihipStream_tbPNSt15iterator_traitsISL_E10value_typeEPNSR_ISM_E10value_typeEPSN_NS1_7vsmem_tEENKUlT_SL_SM_SN_E_clIS8_S8_S9_S9_EESK_S10_SL_SM_SN_EUlS10_E0_NS1_11comp_targetILNS1_3genE4ELNS1_11target_archE910ELNS1_3gpuE8ELNS1_3repE0EEENS1_38merge_mergepath_config_static_selectorELNS0_4arch9wavefront6targetE1EEEvSM_,"axG",@progbits,_ZN7rocprim17ROCPRIM_400000_NS6detail17trampoline_kernelINS0_14default_configENS1_38merge_sort_block_merge_config_selectorIlNS0_10empty_typeEEEZZNS1_27merge_sort_block_merge_implIS3_PlPS5_mZN2at6native12_GLOBAL__N_124unique_dim_cuda_templateItEESt5tupleIJNSA_6TensorESF_SF_EERKSF_lbbbEUlllE_EE10hipError_tT0_T1_T2_jT3_P12ihipStream_tbPNSt15iterator_traitsISL_E10value_typeEPNSR_ISM_E10value_typeEPSN_NS1_7vsmem_tEENKUlT_SL_SM_SN_E_clIS8_S8_S9_S9_EESK_S10_SL_SM_SN_EUlS10_E0_NS1_11comp_targetILNS1_3genE4ELNS1_11target_archE910ELNS1_3gpuE8ELNS1_3repE0EEENS1_38merge_mergepath_config_static_selectorELNS0_4arch9wavefront6targetE1EEEvSM_,comdat
.Lfunc_end1379:
	.size	_ZN7rocprim17ROCPRIM_400000_NS6detail17trampoline_kernelINS0_14default_configENS1_38merge_sort_block_merge_config_selectorIlNS0_10empty_typeEEEZZNS1_27merge_sort_block_merge_implIS3_PlPS5_mZN2at6native12_GLOBAL__N_124unique_dim_cuda_templateItEESt5tupleIJNSA_6TensorESF_SF_EERKSF_lbbbEUlllE_EE10hipError_tT0_T1_T2_jT3_P12ihipStream_tbPNSt15iterator_traitsISL_E10value_typeEPNSR_ISM_E10value_typeEPSN_NS1_7vsmem_tEENKUlT_SL_SM_SN_E_clIS8_S8_S9_S9_EESK_S10_SL_SM_SN_EUlS10_E0_NS1_11comp_targetILNS1_3genE4ELNS1_11target_archE910ELNS1_3gpuE8ELNS1_3repE0EEENS1_38merge_mergepath_config_static_selectorELNS0_4arch9wavefront6targetE1EEEvSM_, .Lfunc_end1379-_ZN7rocprim17ROCPRIM_400000_NS6detail17trampoline_kernelINS0_14default_configENS1_38merge_sort_block_merge_config_selectorIlNS0_10empty_typeEEEZZNS1_27merge_sort_block_merge_implIS3_PlPS5_mZN2at6native12_GLOBAL__N_124unique_dim_cuda_templateItEESt5tupleIJNSA_6TensorESF_SF_EERKSF_lbbbEUlllE_EE10hipError_tT0_T1_T2_jT3_P12ihipStream_tbPNSt15iterator_traitsISL_E10value_typeEPNSR_ISM_E10value_typeEPSN_NS1_7vsmem_tEENKUlT_SL_SM_SN_E_clIS8_S8_S9_S9_EESK_S10_SL_SM_SN_EUlS10_E0_NS1_11comp_targetILNS1_3genE4ELNS1_11target_archE910ELNS1_3gpuE8ELNS1_3repE0EEENS1_38merge_mergepath_config_static_selectorELNS0_4arch9wavefront6targetE1EEEvSM_
                                        ; -- End function
	.section	.AMDGPU.csdata,"",@progbits
; Kernel info:
; codeLenInByte = 4044
; NumSgprs: 50
; NumVgprs: 24
; NumAgprs: 0
; TotalNumVgprs: 24
; ScratchSize: 0
; MemoryBound: 0
; FloatMode: 240
; IeeeMode: 1
; LDSByteSize: 8448 bytes/workgroup (compile time only)
; SGPRBlocks: 6
; VGPRBlocks: 2
; NumSGPRsForWavesPerEU: 50
; NumVGPRsForWavesPerEU: 24
; AccumOffset: 24
; Occupancy: 7
; WaveLimiterHint : 1
; COMPUTE_PGM_RSRC2:SCRATCH_EN: 0
; COMPUTE_PGM_RSRC2:USER_SGPR: 6
; COMPUTE_PGM_RSRC2:TRAP_HANDLER: 0
; COMPUTE_PGM_RSRC2:TGID_X_EN: 1
; COMPUTE_PGM_RSRC2:TGID_Y_EN: 1
; COMPUTE_PGM_RSRC2:TGID_Z_EN: 1
; COMPUTE_PGM_RSRC2:TIDIG_COMP_CNT: 0
; COMPUTE_PGM_RSRC3_GFX90A:ACCUM_OFFSET: 5
; COMPUTE_PGM_RSRC3_GFX90A:TG_SPLIT: 0
	.section	.text._ZN7rocprim17ROCPRIM_400000_NS6detail17trampoline_kernelINS0_14default_configENS1_38merge_sort_block_merge_config_selectorIlNS0_10empty_typeEEEZZNS1_27merge_sort_block_merge_implIS3_PlPS5_mZN2at6native12_GLOBAL__N_124unique_dim_cuda_templateItEESt5tupleIJNSA_6TensorESF_SF_EERKSF_lbbbEUlllE_EE10hipError_tT0_T1_T2_jT3_P12ihipStream_tbPNSt15iterator_traitsISL_E10value_typeEPNSR_ISM_E10value_typeEPSN_NS1_7vsmem_tEENKUlT_SL_SM_SN_E_clIS8_S8_S9_S9_EESK_S10_SL_SM_SN_EUlS10_E0_NS1_11comp_targetILNS1_3genE3ELNS1_11target_archE908ELNS1_3gpuE7ELNS1_3repE0EEENS1_38merge_mergepath_config_static_selectorELNS0_4arch9wavefront6targetE1EEEvSM_,"axG",@progbits,_ZN7rocprim17ROCPRIM_400000_NS6detail17trampoline_kernelINS0_14default_configENS1_38merge_sort_block_merge_config_selectorIlNS0_10empty_typeEEEZZNS1_27merge_sort_block_merge_implIS3_PlPS5_mZN2at6native12_GLOBAL__N_124unique_dim_cuda_templateItEESt5tupleIJNSA_6TensorESF_SF_EERKSF_lbbbEUlllE_EE10hipError_tT0_T1_T2_jT3_P12ihipStream_tbPNSt15iterator_traitsISL_E10value_typeEPNSR_ISM_E10value_typeEPSN_NS1_7vsmem_tEENKUlT_SL_SM_SN_E_clIS8_S8_S9_S9_EESK_S10_SL_SM_SN_EUlS10_E0_NS1_11comp_targetILNS1_3genE3ELNS1_11target_archE908ELNS1_3gpuE7ELNS1_3repE0EEENS1_38merge_mergepath_config_static_selectorELNS0_4arch9wavefront6targetE1EEEvSM_,comdat
	.globl	_ZN7rocprim17ROCPRIM_400000_NS6detail17trampoline_kernelINS0_14default_configENS1_38merge_sort_block_merge_config_selectorIlNS0_10empty_typeEEEZZNS1_27merge_sort_block_merge_implIS3_PlPS5_mZN2at6native12_GLOBAL__N_124unique_dim_cuda_templateItEESt5tupleIJNSA_6TensorESF_SF_EERKSF_lbbbEUlllE_EE10hipError_tT0_T1_T2_jT3_P12ihipStream_tbPNSt15iterator_traitsISL_E10value_typeEPNSR_ISM_E10value_typeEPSN_NS1_7vsmem_tEENKUlT_SL_SM_SN_E_clIS8_S8_S9_S9_EESK_S10_SL_SM_SN_EUlS10_E0_NS1_11comp_targetILNS1_3genE3ELNS1_11target_archE908ELNS1_3gpuE7ELNS1_3repE0EEENS1_38merge_mergepath_config_static_selectorELNS0_4arch9wavefront6targetE1EEEvSM_ ; -- Begin function _ZN7rocprim17ROCPRIM_400000_NS6detail17trampoline_kernelINS0_14default_configENS1_38merge_sort_block_merge_config_selectorIlNS0_10empty_typeEEEZZNS1_27merge_sort_block_merge_implIS3_PlPS5_mZN2at6native12_GLOBAL__N_124unique_dim_cuda_templateItEESt5tupleIJNSA_6TensorESF_SF_EERKSF_lbbbEUlllE_EE10hipError_tT0_T1_T2_jT3_P12ihipStream_tbPNSt15iterator_traitsISL_E10value_typeEPNSR_ISM_E10value_typeEPSN_NS1_7vsmem_tEENKUlT_SL_SM_SN_E_clIS8_S8_S9_S9_EESK_S10_SL_SM_SN_EUlS10_E0_NS1_11comp_targetILNS1_3genE3ELNS1_11target_archE908ELNS1_3gpuE7ELNS1_3repE0EEENS1_38merge_mergepath_config_static_selectorELNS0_4arch9wavefront6targetE1EEEvSM_
	.p2align	8
	.type	_ZN7rocprim17ROCPRIM_400000_NS6detail17trampoline_kernelINS0_14default_configENS1_38merge_sort_block_merge_config_selectorIlNS0_10empty_typeEEEZZNS1_27merge_sort_block_merge_implIS3_PlPS5_mZN2at6native12_GLOBAL__N_124unique_dim_cuda_templateItEESt5tupleIJNSA_6TensorESF_SF_EERKSF_lbbbEUlllE_EE10hipError_tT0_T1_T2_jT3_P12ihipStream_tbPNSt15iterator_traitsISL_E10value_typeEPNSR_ISM_E10value_typeEPSN_NS1_7vsmem_tEENKUlT_SL_SM_SN_E_clIS8_S8_S9_S9_EESK_S10_SL_SM_SN_EUlS10_E0_NS1_11comp_targetILNS1_3genE3ELNS1_11target_archE908ELNS1_3gpuE7ELNS1_3repE0EEENS1_38merge_mergepath_config_static_selectorELNS0_4arch9wavefront6targetE1EEEvSM_,@function
_ZN7rocprim17ROCPRIM_400000_NS6detail17trampoline_kernelINS0_14default_configENS1_38merge_sort_block_merge_config_selectorIlNS0_10empty_typeEEEZZNS1_27merge_sort_block_merge_implIS3_PlPS5_mZN2at6native12_GLOBAL__N_124unique_dim_cuda_templateItEESt5tupleIJNSA_6TensorESF_SF_EERKSF_lbbbEUlllE_EE10hipError_tT0_T1_T2_jT3_P12ihipStream_tbPNSt15iterator_traitsISL_E10value_typeEPNSR_ISM_E10value_typeEPSN_NS1_7vsmem_tEENKUlT_SL_SM_SN_E_clIS8_S8_S9_S9_EESK_S10_SL_SM_SN_EUlS10_E0_NS1_11comp_targetILNS1_3genE3ELNS1_11target_archE908ELNS1_3gpuE7ELNS1_3repE0EEENS1_38merge_mergepath_config_static_selectorELNS0_4arch9wavefront6targetE1EEEvSM_: ; @_ZN7rocprim17ROCPRIM_400000_NS6detail17trampoline_kernelINS0_14default_configENS1_38merge_sort_block_merge_config_selectorIlNS0_10empty_typeEEEZZNS1_27merge_sort_block_merge_implIS3_PlPS5_mZN2at6native12_GLOBAL__N_124unique_dim_cuda_templateItEESt5tupleIJNSA_6TensorESF_SF_EERKSF_lbbbEUlllE_EE10hipError_tT0_T1_T2_jT3_P12ihipStream_tbPNSt15iterator_traitsISL_E10value_typeEPNSR_ISM_E10value_typeEPSN_NS1_7vsmem_tEENKUlT_SL_SM_SN_E_clIS8_S8_S9_S9_EESK_S10_SL_SM_SN_EUlS10_E0_NS1_11comp_targetILNS1_3genE3ELNS1_11target_archE908ELNS1_3gpuE7ELNS1_3repE0EEENS1_38merge_mergepath_config_static_selectorELNS0_4arch9wavefront6targetE1EEEvSM_
; %bb.0:
	.section	.rodata,"a",@progbits
	.p2align	6, 0x0
	.amdhsa_kernel _ZN7rocprim17ROCPRIM_400000_NS6detail17trampoline_kernelINS0_14default_configENS1_38merge_sort_block_merge_config_selectorIlNS0_10empty_typeEEEZZNS1_27merge_sort_block_merge_implIS3_PlPS5_mZN2at6native12_GLOBAL__N_124unique_dim_cuda_templateItEESt5tupleIJNSA_6TensorESF_SF_EERKSF_lbbbEUlllE_EE10hipError_tT0_T1_T2_jT3_P12ihipStream_tbPNSt15iterator_traitsISL_E10value_typeEPNSR_ISM_E10value_typeEPSN_NS1_7vsmem_tEENKUlT_SL_SM_SN_E_clIS8_S8_S9_S9_EESK_S10_SL_SM_SN_EUlS10_E0_NS1_11comp_targetILNS1_3genE3ELNS1_11target_archE908ELNS1_3gpuE7ELNS1_3repE0EEENS1_38merge_mergepath_config_static_selectorELNS0_4arch9wavefront6targetE1EEEvSM_
		.amdhsa_group_segment_fixed_size 0
		.amdhsa_private_segment_fixed_size 0
		.amdhsa_kernarg_size 88
		.amdhsa_user_sgpr_count 6
		.amdhsa_user_sgpr_private_segment_buffer 1
		.amdhsa_user_sgpr_dispatch_ptr 0
		.amdhsa_user_sgpr_queue_ptr 0
		.amdhsa_user_sgpr_kernarg_segment_ptr 1
		.amdhsa_user_sgpr_dispatch_id 0
		.amdhsa_user_sgpr_flat_scratch_init 0
		.amdhsa_user_sgpr_kernarg_preload_length 0
		.amdhsa_user_sgpr_kernarg_preload_offset 0
		.amdhsa_user_sgpr_private_segment_size 0
		.amdhsa_uses_dynamic_stack 0
		.amdhsa_system_sgpr_private_segment_wavefront_offset 0
		.amdhsa_system_sgpr_workgroup_id_x 1
		.amdhsa_system_sgpr_workgroup_id_y 0
		.amdhsa_system_sgpr_workgroup_id_z 0
		.amdhsa_system_sgpr_workgroup_info 0
		.amdhsa_system_vgpr_workitem_id 0
		.amdhsa_next_free_vgpr 1
		.amdhsa_next_free_sgpr 0
		.amdhsa_accum_offset 4
		.amdhsa_reserve_vcc 0
		.amdhsa_reserve_flat_scratch 0
		.amdhsa_float_round_mode_32 0
		.amdhsa_float_round_mode_16_64 0
		.amdhsa_float_denorm_mode_32 3
		.amdhsa_float_denorm_mode_16_64 3
		.amdhsa_dx10_clamp 1
		.amdhsa_ieee_mode 1
		.amdhsa_fp16_overflow 0
		.amdhsa_tg_split 0
		.amdhsa_exception_fp_ieee_invalid_op 0
		.amdhsa_exception_fp_denorm_src 0
		.amdhsa_exception_fp_ieee_div_zero 0
		.amdhsa_exception_fp_ieee_overflow 0
		.amdhsa_exception_fp_ieee_underflow 0
		.amdhsa_exception_fp_ieee_inexact 0
		.amdhsa_exception_int_div_zero 0
	.end_amdhsa_kernel
	.section	.text._ZN7rocprim17ROCPRIM_400000_NS6detail17trampoline_kernelINS0_14default_configENS1_38merge_sort_block_merge_config_selectorIlNS0_10empty_typeEEEZZNS1_27merge_sort_block_merge_implIS3_PlPS5_mZN2at6native12_GLOBAL__N_124unique_dim_cuda_templateItEESt5tupleIJNSA_6TensorESF_SF_EERKSF_lbbbEUlllE_EE10hipError_tT0_T1_T2_jT3_P12ihipStream_tbPNSt15iterator_traitsISL_E10value_typeEPNSR_ISM_E10value_typeEPSN_NS1_7vsmem_tEENKUlT_SL_SM_SN_E_clIS8_S8_S9_S9_EESK_S10_SL_SM_SN_EUlS10_E0_NS1_11comp_targetILNS1_3genE3ELNS1_11target_archE908ELNS1_3gpuE7ELNS1_3repE0EEENS1_38merge_mergepath_config_static_selectorELNS0_4arch9wavefront6targetE1EEEvSM_,"axG",@progbits,_ZN7rocprim17ROCPRIM_400000_NS6detail17trampoline_kernelINS0_14default_configENS1_38merge_sort_block_merge_config_selectorIlNS0_10empty_typeEEEZZNS1_27merge_sort_block_merge_implIS3_PlPS5_mZN2at6native12_GLOBAL__N_124unique_dim_cuda_templateItEESt5tupleIJNSA_6TensorESF_SF_EERKSF_lbbbEUlllE_EE10hipError_tT0_T1_T2_jT3_P12ihipStream_tbPNSt15iterator_traitsISL_E10value_typeEPNSR_ISM_E10value_typeEPSN_NS1_7vsmem_tEENKUlT_SL_SM_SN_E_clIS8_S8_S9_S9_EESK_S10_SL_SM_SN_EUlS10_E0_NS1_11comp_targetILNS1_3genE3ELNS1_11target_archE908ELNS1_3gpuE7ELNS1_3repE0EEENS1_38merge_mergepath_config_static_selectorELNS0_4arch9wavefront6targetE1EEEvSM_,comdat
.Lfunc_end1380:
	.size	_ZN7rocprim17ROCPRIM_400000_NS6detail17trampoline_kernelINS0_14default_configENS1_38merge_sort_block_merge_config_selectorIlNS0_10empty_typeEEEZZNS1_27merge_sort_block_merge_implIS3_PlPS5_mZN2at6native12_GLOBAL__N_124unique_dim_cuda_templateItEESt5tupleIJNSA_6TensorESF_SF_EERKSF_lbbbEUlllE_EE10hipError_tT0_T1_T2_jT3_P12ihipStream_tbPNSt15iterator_traitsISL_E10value_typeEPNSR_ISM_E10value_typeEPSN_NS1_7vsmem_tEENKUlT_SL_SM_SN_E_clIS8_S8_S9_S9_EESK_S10_SL_SM_SN_EUlS10_E0_NS1_11comp_targetILNS1_3genE3ELNS1_11target_archE908ELNS1_3gpuE7ELNS1_3repE0EEENS1_38merge_mergepath_config_static_selectorELNS0_4arch9wavefront6targetE1EEEvSM_, .Lfunc_end1380-_ZN7rocprim17ROCPRIM_400000_NS6detail17trampoline_kernelINS0_14default_configENS1_38merge_sort_block_merge_config_selectorIlNS0_10empty_typeEEEZZNS1_27merge_sort_block_merge_implIS3_PlPS5_mZN2at6native12_GLOBAL__N_124unique_dim_cuda_templateItEESt5tupleIJNSA_6TensorESF_SF_EERKSF_lbbbEUlllE_EE10hipError_tT0_T1_T2_jT3_P12ihipStream_tbPNSt15iterator_traitsISL_E10value_typeEPNSR_ISM_E10value_typeEPSN_NS1_7vsmem_tEENKUlT_SL_SM_SN_E_clIS8_S8_S9_S9_EESK_S10_SL_SM_SN_EUlS10_E0_NS1_11comp_targetILNS1_3genE3ELNS1_11target_archE908ELNS1_3gpuE7ELNS1_3repE0EEENS1_38merge_mergepath_config_static_selectorELNS0_4arch9wavefront6targetE1EEEvSM_
                                        ; -- End function
	.section	.AMDGPU.csdata,"",@progbits
; Kernel info:
; codeLenInByte = 0
; NumSgprs: 4
; NumVgprs: 0
; NumAgprs: 0
; TotalNumVgprs: 0
; ScratchSize: 0
; MemoryBound: 0
; FloatMode: 240
; IeeeMode: 1
; LDSByteSize: 0 bytes/workgroup (compile time only)
; SGPRBlocks: 0
; VGPRBlocks: 0
; NumSGPRsForWavesPerEU: 4
; NumVGPRsForWavesPerEU: 1
; AccumOffset: 4
; Occupancy: 8
; WaveLimiterHint : 0
; COMPUTE_PGM_RSRC2:SCRATCH_EN: 0
; COMPUTE_PGM_RSRC2:USER_SGPR: 6
; COMPUTE_PGM_RSRC2:TRAP_HANDLER: 0
; COMPUTE_PGM_RSRC2:TGID_X_EN: 1
; COMPUTE_PGM_RSRC2:TGID_Y_EN: 0
; COMPUTE_PGM_RSRC2:TGID_Z_EN: 0
; COMPUTE_PGM_RSRC2:TIDIG_COMP_CNT: 0
; COMPUTE_PGM_RSRC3_GFX90A:ACCUM_OFFSET: 0
; COMPUTE_PGM_RSRC3_GFX90A:TG_SPLIT: 0
	.section	.text._ZN7rocprim17ROCPRIM_400000_NS6detail17trampoline_kernelINS0_14default_configENS1_38merge_sort_block_merge_config_selectorIlNS0_10empty_typeEEEZZNS1_27merge_sort_block_merge_implIS3_PlPS5_mZN2at6native12_GLOBAL__N_124unique_dim_cuda_templateItEESt5tupleIJNSA_6TensorESF_SF_EERKSF_lbbbEUlllE_EE10hipError_tT0_T1_T2_jT3_P12ihipStream_tbPNSt15iterator_traitsISL_E10value_typeEPNSR_ISM_E10value_typeEPSN_NS1_7vsmem_tEENKUlT_SL_SM_SN_E_clIS8_S8_S9_S9_EESK_S10_SL_SM_SN_EUlS10_E0_NS1_11comp_targetILNS1_3genE2ELNS1_11target_archE906ELNS1_3gpuE6ELNS1_3repE0EEENS1_38merge_mergepath_config_static_selectorELNS0_4arch9wavefront6targetE1EEEvSM_,"axG",@progbits,_ZN7rocprim17ROCPRIM_400000_NS6detail17trampoline_kernelINS0_14default_configENS1_38merge_sort_block_merge_config_selectorIlNS0_10empty_typeEEEZZNS1_27merge_sort_block_merge_implIS3_PlPS5_mZN2at6native12_GLOBAL__N_124unique_dim_cuda_templateItEESt5tupleIJNSA_6TensorESF_SF_EERKSF_lbbbEUlllE_EE10hipError_tT0_T1_T2_jT3_P12ihipStream_tbPNSt15iterator_traitsISL_E10value_typeEPNSR_ISM_E10value_typeEPSN_NS1_7vsmem_tEENKUlT_SL_SM_SN_E_clIS8_S8_S9_S9_EESK_S10_SL_SM_SN_EUlS10_E0_NS1_11comp_targetILNS1_3genE2ELNS1_11target_archE906ELNS1_3gpuE6ELNS1_3repE0EEENS1_38merge_mergepath_config_static_selectorELNS0_4arch9wavefront6targetE1EEEvSM_,comdat
	.globl	_ZN7rocprim17ROCPRIM_400000_NS6detail17trampoline_kernelINS0_14default_configENS1_38merge_sort_block_merge_config_selectorIlNS0_10empty_typeEEEZZNS1_27merge_sort_block_merge_implIS3_PlPS5_mZN2at6native12_GLOBAL__N_124unique_dim_cuda_templateItEESt5tupleIJNSA_6TensorESF_SF_EERKSF_lbbbEUlllE_EE10hipError_tT0_T1_T2_jT3_P12ihipStream_tbPNSt15iterator_traitsISL_E10value_typeEPNSR_ISM_E10value_typeEPSN_NS1_7vsmem_tEENKUlT_SL_SM_SN_E_clIS8_S8_S9_S9_EESK_S10_SL_SM_SN_EUlS10_E0_NS1_11comp_targetILNS1_3genE2ELNS1_11target_archE906ELNS1_3gpuE6ELNS1_3repE0EEENS1_38merge_mergepath_config_static_selectorELNS0_4arch9wavefront6targetE1EEEvSM_ ; -- Begin function _ZN7rocprim17ROCPRIM_400000_NS6detail17trampoline_kernelINS0_14default_configENS1_38merge_sort_block_merge_config_selectorIlNS0_10empty_typeEEEZZNS1_27merge_sort_block_merge_implIS3_PlPS5_mZN2at6native12_GLOBAL__N_124unique_dim_cuda_templateItEESt5tupleIJNSA_6TensorESF_SF_EERKSF_lbbbEUlllE_EE10hipError_tT0_T1_T2_jT3_P12ihipStream_tbPNSt15iterator_traitsISL_E10value_typeEPNSR_ISM_E10value_typeEPSN_NS1_7vsmem_tEENKUlT_SL_SM_SN_E_clIS8_S8_S9_S9_EESK_S10_SL_SM_SN_EUlS10_E0_NS1_11comp_targetILNS1_3genE2ELNS1_11target_archE906ELNS1_3gpuE6ELNS1_3repE0EEENS1_38merge_mergepath_config_static_selectorELNS0_4arch9wavefront6targetE1EEEvSM_
	.p2align	8
	.type	_ZN7rocprim17ROCPRIM_400000_NS6detail17trampoline_kernelINS0_14default_configENS1_38merge_sort_block_merge_config_selectorIlNS0_10empty_typeEEEZZNS1_27merge_sort_block_merge_implIS3_PlPS5_mZN2at6native12_GLOBAL__N_124unique_dim_cuda_templateItEESt5tupleIJNSA_6TensorESF_SF_EERKSF_lbbbEUlllE_EE10hipError_tT0_T1_T2_jT3_P12ihipStream_tbPNSt15iterator_traitsISL_E10value_typeEPNSR_ISM_E10value_typeEPSN_NS1_7vsmem_tEENKUlT_SL_SM_SN_E_clIS8_S8_S9_S9_EESK_S10_SL_SM_SN_EUlS10_E0_NS1_11comp_targetILNS1_3genE2ELNS1_11target_archE906ELNS1_3gpuE6ELNS1_3repE0EEENS1_38merge_mergepath_config_static_selectorELNS0_4arch9wavefront6targetE1EEEvSM_,@function
_ZN7rocprim17ROCPRIM_400000_NS6detail17trampoline_kernelINS0_14default_configENS1_38merge_sort_block_merge_config_selectorIlNS0_10empty_typeEEEZZNS1_27merge_sort_block_merge_implIS3_PlPS5_mZN2at6native12_GLOBAL__N_124unique_dim_cuda_templateItEESt5tupleIJNSA_6TensorESF_SF_EERKSF_lbbbEUlllE_EE10hipError_tT0_T1_T2_jT3_P12ihipStream_tbPNSt15iterator_traitsISL_E10value_typeEPNSR_ISM_E10value_typeEPSN_NS1_7vsmem_tEENKUlT_SL_SM_SN_E_clIS8_S8_S9_S9_EESK_S10_SL_SM_SN_EUlS10_E0_NS1_11comp_targetILNS1_3genE2ELNS1_11target_archE906ELNS1_3gpuE6ELNS1_3repE0EEENS1_38merge_mergepath_config_static_selectorELNS0_4arch9wavefront6targetE1EEEvSM_: ; @_ZN7rocprim17ROCPRIM_400000_NS6detail17trampoline_kernelINS0_14default_configENS1_38merge_sort_block_merge_config_selectorIlNS0_10empty_typeEEEZZNS1_27merge_sort_block_merge_implIS3_PlPS5_mZN2at6native12_GLOBAL__N_124unique_dim_cuda_templateItEESt5tupleIJNSA_6TensorESF_SF_EERKSF_lbbbEUlllE_EE10hipError_tT0_T1_T2_jT3_P12ihipStream_tbPNSt15iterator_traitsISL_E10value_typeEPNSR_ISM_E10value_typeEPSN_NS1_7vsmem_tEENKUlT_SL_SM_SN_E_clIS8_S8_S9_S9_EESK_S10_SL_SM_SN_EUlS10_E0_NS1_11comp_targetILNS1_3genE2ELNS1_11target_archE906ELNS1_3gpuE6ELNS1_3repE0EEENS1_38merge_mergepath_config_static_selectorELNS0_4arch9wavefront6targetE1EEEvSM_
; %bb.0:
	.section	.rodata,"a",@progbits
	.p2align	6, 0x0
	.amdhsa_kernel _ZN7rocprim17ROCPRIM_400000_NS6detail17trampoline_kernelINS0_14default_configENS1_38merge_sort_block_merge_config_selectorIlNS0_10empty_typeEEEZZNS1_27merge_sort_block_merge_implIS3_PlPS5_mZN2at6native12_GLOBAL__N_124unique_dim_cuda_templateItEESt5tupleIJNSA_6TensorESF_SF_EERKSF_lbbbEUlllE_EE10hipError_tT0_T1_T2_jT3_P12ihipStream_tbPNSt15iterator_traitsISL_E10value_typeEPNSR_ISM_E10value_typeEPSN_NS1_7vsmem_tEENKUlT_SL_SM_SN_E_clIS8_S8_S9_S9_EESK_S10_SL_SM_SN_EUlS10_E0_NS1_11comp_targetILNS1_3genE2ELNS1_11target_archE906ELNS1_3gpuE6ELNS1_3repE0EEENS1_38merge_mergepath_config_static_selectorELNS0_4arch9wavefront6targetE1EEEvSM_
		.amdhsa_group_segment_fixed_size 0
		.amdhsa_private_segment_fixed_size 0
		.amdhsa_kernarg_size 88
		.amdhsa_user_sgpr_count 6
		.amdhsa_user_sgpr_private_segment_buffer 1
		.amdhsa_user_sgpr_dispatch_ptr 0
		.amdhsa_user_sgpr_queue_ptr 0
		.amdhsa_user_sgpr_kernarg_segment_ptr 1
		.amdhsa_user_sgpr_dispatch_id 0
		.amdhsa_user_sgpr_flat_scratch_init 0
		.amdhsa_user_sgpr_kernarg_preload_length 0
		.amdhsa_user_sgpr_kernarg_preload_offset 0
		.amdhsa_user_sgpr_private_segment_size 0
		.amdhsa_uses_dynamic_stack 0
		.amdhsa_system_sgpr_private_segment_wavefront_offset 0
		.amdhsa_system_sgpr_workgroup_id_x 1
		.amdhsa_system_sgpr_workgroup_id_y 0
		.amdhsa_system_sgpr_workgroup_id_z 0
		.amdhsa_system_sgpr_workgroup_info 0
		.amdhsa_system_vgpr_workitem_id 0
		.amdhsa_next_free_vgpr 1
		.amdhsa_next_free_sgpr 0
		.amdhsa_accum_offset 4
		.amdhsa_reserve_vcc 0
		.amdhsa_reserve_flat_scratch 0
		.amdhsa_float_round_mode_32 0
		.amdhsa_float_round_mode_16_64 0
		.amdhsa_float_denorm_mode_32 3
		.amdhsa_float_denorm_mode_16_64 3
		.amdhsa_dx10_clamp 1
		.amdhsa_ieee_mode 1
		.amdhsa_fp16_overflow 0
		.amdhsa_tg_split 0
		.amdhsa_exception_fp_ieee_invalid_op 0
		.amdhsa_exception_fp_denorm_src 0
		.amdhsa_exception_fp_ieee_div_zero 0
		.amdhsa_exception_fp_ieee_overflow 0
		.amdhsa_exception_fp_ieee_underflow 0
		.amdhsa_exception_fp_ieee_inexact 0
		.amdhsa_exception_int_div_zero 0
	.end_amdhsa_kernel
	.section	.text._ZN7rocprim17ROCPRIM_400000_NS6detail17trampoline_kernelINS0_14default_configENS1_38merge_sort_block_merge_config_selectorIlNS0_10empty_typeEEEZZNS1_27merge_sort_block_merge_implIS3_PlPS5_mZN2at6native12_GLOBAL__N_124unique_dim_cuda_templateItEESt5tupleIJNSA_6TensorESF_SF_EERKSF_lbbbEUlllE_EE10hipError_tT0_T1_T2_jT3_P12ihipStream_tbPNSt15iterator_traitsISL_E10value_typeEPNSR_ISM_E10value_typeEPSN_NS1_7vsmem_tEENKUlT_SL_SM_SN_E_clIS8_S8_S9_S9_EESK_S10_SL_SM_SN_EUlS10_E0_NS1_11comp_targetILNS1_3genE2ELNS1_11target_archE906ELNS1_3gpuE6ELNS1_3repE0EEENS1_38merge_mergepath_config_static_selectorELNS0_4arch9wavefront6targetE1EEEvSM_,"axG",@progbits,_ZN7rocprim17ROCPRIM_400000_NS6detail17trampoline_kernelINS0_14default_configENS1_38merge_sort_block_merge_config_selectorIlNS0_10empty_typeEEEZZNS1_27merge_sort_block_merge_implIS3_PlPS5_mZN2at6native12_GLOBAL__N_124unique_dim_cuda_templateItEESt5tupleIJNSA_6TensorESF_SF_EERKSF_lbbbEUlllE_EE10hipError_tT0_T1_T2_jT3_P12ihipStream_tbPNSt15iterator_traitsISL_E10value_typeEPNSR_ISM_E10value_typeEPSN_NS1_7vsmem_tEENKUlT_SL_SM_SN_E_clIS8_S8_S9_S9_EESK_S10_SL_SM_SN_EUlS10_E0_NS1_11comp_targetILNS1_3genE2ELNS1_11target_archE906ELNS1_3gpuE6ELNS1_3repE0EEENS1_38merge_mergepath_config_static_selectorELNS0_4arch9wavefront6targetE1EEEvSM_,comdat
.Lfunc_end1381:
	.size	_ZN7rocprim17ROCPRIM_400000_NS6detail17trampoline_kernelINS0_14default_configENS1_38merge_sort_block_merge_config_selectorIlNS0_10empty_typeEEEZZNS1_27merge_sort_block_merge_implIS3_PlPS5_mZN2at6native12_GLOBAL__N_124unique_dim_cuda_templateItEESt5tupleIJNSA_6TensorESF_SF_EERKSF_lbbbEUlllE_EE10hipError_tT0_T1_T2_jT3_P12ihipStream_tbPNSt15iterator_traitsISL_E10value_typeEPNSR_ISM_E10value_typeEPSN_NS1_7vsmem_tEENKUlT_SL_SM_SN_E_clIS8_S8_S9_S9_EESK_S10_SL_SM_SN_EUlS10_E0_NS1_11comp_targetILNS1_3genE2ELNS1_11target_archE906ELNS1_3gpuE6ELNS1_3repE0EEENS1_38merge_mergepath_config_static_selectorELNS0_4arch9wavefront6targetE1EEEvSM_, .Lfunc_end1381-_ZN7rocprim17ROCPRIM_400000_NS6detail17trampoline_kernelINS0_14default_configENS1_38merge_sort_block_merge_config_selectorIlNS0_10empty_typeEEEZZNS1_27merge_sort_block_merge_implIS3_PlPS5_mZN2at6native12_GLOBAL__N_124unique_dim_cuda_templateItEESt5tupleIJNSA_6TensorESF_SF_EERKSF_lbbbEUlllE_EE10hipError_tT0_T1_T2_jT3_P12ihipStream_tbPNSt15iterator_traitsISL_E10value_typeEPNSR_ISM_E10value_typeEPSN_NS1_7vsmem_tEENKUlT_SL_SM_SN_E_clIS8_S8_S9_S9_EESK_S10_SL_SM_SN_EUlS10_E0_NS1_11comp_targetILNS1_3genE2ELNS1_11target_archE906ELNS1_3gpuE6ELNS1_3repE0EEENS1_38merge_mergepath_config_static_selectorELNS0_4arch9wavefront6targetE1EEEvSM_
                                        ; -- End function
	.section	.AMDGPU.csdata,"",@progbits
; Kernel info:
; codeLenInByte = 0
; NumSgprs: 4
; NumVgprs: 0
; NumAgprs: 0
; TotalNumVgprs: 0
; ScratchSize: 0
; MemoryBound: 0
; FloatMode: 240
; IeeeMode: 1
; LDSByteSize: 0 bytes/workgroup (compile time only)
; SGPRBlocks: 0
; VGPRBlocks: 0
; NumSGPRsForWavesPerEU: 4
; NumVGPRsForWavesPerEU: 1
; AccumOffset: 4
; Occupancy: 8
; WaveLimiterHint : 0
; COMPUTE_PGM_RSRC2:SCRATCH_EN: 0
; COMPUTE_PGM_RSRC2:USER_SGPR: 6
; COMPUTE_PGM_RSRC2:TRAP_HANDLER: 0
; COMPUTE_PGM_RSRC2:TGID_X_EN: 1
; COMPUTE_PGM_RSRC2:TGID_Y_EN: 0
; COMPUTE_PGM_RSRC2:TGID_Z_EN: 0
; COMPUTE_PGM_RSRC2:TIDIG_COMP_CNT: 0
; COMPUTE_PGM_RSRC3_GFX90A:ACCUM_OFFSET: 0
; COMPUTE_PGM_RSRC3_GFX90A:TG_SPLIT: 0
	.section	.text._ZN7rocprim17ROCPRIM_400000_NS6detail17trampoline_kernelINS0_14default_configENS1_38merge_sort_block_merge_config_selectorIlNS0_10empty_typeEEEZZNS1_27merge_sort_block_merge_implIS3_PlPS5_mZN2at6native12_GLOBAL__N_124unique_dim_cuda_templateItEESt5tupleIJNSA_6TensorESF_SF_EERKSF_lbbbEUlllE_EE10hipError_tT0_T1_T2_jT3_P12ihipStream_tbPNSt15iterator_traitsISL_E10value_typeEPNSR_ISM_E10value_typeEPSN_NS1_7vsmem_tEENKUlT_SL_SM_SN_E_clIS8_S8_S9_S9_EESK_S10_SL_SM_SN_EUlS10_E0_NS1_11comp_targetILNS1_3genE9ELNS1_11target_archE1100ELNS1_3gpuE3ELNS1_3repE0EEENS1_38merge_mergepath_config_static_selectorELNS0_4arch9wavefront6targetE1EEEvSM_,"axG",@progbits,_ZN7rocprim17ROCPRIM_400000_NS6detail17trampoline_kernelINS0_14default_configENS1_38merge_sort_block_merge_config_selectorIlNS0_10empty_typeEEEZZNS1_27merge_sort_block_merge_implIS3_PlPS5_mZN2at6native12_GLOBAL__N_124unique_dim_cuda_templateItEESt5tupleIJNSA_6TensorESF_SF_EERKSF_lbbbEUlllE_EE10hipError_tT0_T1_T2_jT3_P12ihipStream_tbPNSt15iterator_traitsISL_E10value_typeEPNSR_ISM_E10value_typeEPSN_NS1_7vsmem_tEENKUlT_SL_SM_SN_E_clIS8_S8_S9_S9_EESK_S10_SL_SM_SN_EUlS10_E0_NS1_11comp_targetILNS1_3genE9ELNS1_11target_archE1100ELNS1_3gpuE3ELNS1_3repE0EEENS1_38merge_mergepath_config_static_selectorELNS0_4arch9wavefront6targetE1EEEvSM_,comdat
	.globl	_ZN7rocprim17ROCPRIM_400000_NS6detail17trampoline_kernelINS0_14default_configENS1_38merge_sort_block_merge_config_selectorIlNS0_10empty_typeEEEZZNS1_27merge_sort_block_merge_implIS3_PlPS5_mZN2at6native12_GLOBAL__N_124unique_dim_cuda_templateItEESt5tupleIJNSA_6TensorESF_SF_EERKSF_lbbbEUlllE_EE10hipError_tT0_T1_T2_jT3_P12ihipStream_tbPNSt15iterator_traitsISL_E10value_typeEPNSR_ISM_E10value_typeEPSN_NS1_7vsmem_tEENKUlT_SL_SM_SN_E_clIS8_S8_S9_S9_EESK_S10_SL_SM_SN_EUlS10_E0_NS1_11comp_targetILNS1_3genE9ELNS1_11target_archE1100ELNS1_3gpuE3ELNS1_3repE0EEENS1_38merge_mergepath_config_static_selectorELNS0_4arch9wavefront6targetE1EEEvSM_ ; -- Begin function _ZN7rocprim17ROCPRIM_400000_NS6detail17trampoline_kernelINS0_14default_configENS1_38merge_sort_block_merge_config_selectorIlNS0_10empty_typeEEEZZNS1_27merge_sort_block_merge_implIS3_PlPS5_mZN2at6native12_GLOBAL__N_124unique_dim_cuda_templateItEESt5tupleIJNSA_6TensorESF_SF_EERKSF_lbbbEUlllE_EE10hipError_tT0_T1_T2_jT3_P12ihipStream_tbPNSt15iterator_traitsISL_E10value_typeEPNSR_ISM_E10value_typeEPSN_NS1_7vsmem_tEENKUlT_SL_SM_SN_E_clIS8_S8_S9_S9_EESK_S10_SL_SM_SN_EUlS10_E0_NS1_11comp_targetILNS1_3genE9ELNS1_11target_archE1100ELNS1_3gpuE3ELNS1_3repE0EEENS1_38merge_mergepath_config_static_selectorELNS0_4arch9wavefront6targetE1EEEvSM_
	.p2align	8
	.type	_ZN7rocprim17ROCPRIM_400000_NS6detail17trampoline_kernelINS0_14default_configENS1_38merge_sort_block_merge_config_selectorIlNS0_10empty_typeEEEZZNS1_27merge_sort_block_merge_implIS3_PlPS5_mZN2at6native12_GLOBAL__N_124unique_dim_cuda_templateItEESt5tupleIJNSA_6TensorESF_SF_EERKSF_lbbbEUlllE_EE10hipError_tT0_T1_T2_jT3_P12ihipStream_tbPNSt15iterator_traitsISL_E10value_typeEPNSR_ISM_E10value_typeEPSN_NS1_7vsmem_tEENKUlT_SL_SM_SN_E_clIS8_S8_S9_S9_EESK_S10_SL_SM_SN_EUlS10_E0_NS1_11comp_targetILNS1_3genE9ELNS1_11target_archE1100ELNS1_3gpuE3ELNS1_3repE0EEENS1_38merge_mergepath_config_static_selectorELNS0_4arch9wavefront6targetE1EEEvSM_,@function
_ZN7rocprim17ROCPRIM_400000_NS6detail17trampoline_kernelINS0_14default_configENS1_38merge_sort_block_merge_config_selectorIlNS0_10empty_typeEEEZZNS1_27merge_sort_block_merge_implIS3_PlPS5_mZN2at6native12_GLOBAL__N_124unique_dim_cuda_templateItEESt5tupleIJNSA_6TensorESF_SF_EERKSF_lbbbEUlllE_EE10hipError_tT0_T1_T2_jT3_P12ihipStream_tbPNSt15iterator_traitsISL_E10value_typeEPNSR_ISM_E10value_typeEPSN_NS1_7vsmem_tEENKUlT_SL_SM_SN_E_clIS8_S8_S9_S9_EESK_S10_SL_SM_SN_EUlS10_E0_NS1_11comp_targetILNS1_3genE9ELNS1_11target_archE1100ELNS1_3gpuE3ELNS1_3repE0EEENS1_38merge_mergepath_config_static_selectorELNS0_4arch9wavefront6targetE1EEEvSM_: ; @_ZN7rocprim17ROCPRIM_400000_NS6detail17trampoline_kernelINS0_14default_configENS1_38merge_sort_block_merge_config_selectorIlNS0_10empty_typeEEEZZNS1_27merge_sort_block_merge_implIS3_PlPS5_mZN2at6native12_GLOBAL__N_124unique_dim_cuda_templateItEESt5tupleIJNSA_6TensorESF_SF_EERKSF_lbbbEUlllE_EE10hipError_tT0_T1_T2_jT3_P12ihipStream_tbPNSt15iterator_traitsISL_E10value_typeEPNSR_ISM_E10value_typeEPSN_NS1_7vsmem_tEENKUlT_SL_SM_SN_E_clIS8_S8_S9_S9_EESK_S10_SL_SM_SN_EUlS10_E0_NS1_11comp_targetILNS1_3genE9ELNS1_11target_archE1100ELNS1_3gpuE3ELNS1_3repE0EEENS1_38merge_mergepath_config_static_selectorELNS0_4arch9wavefront6targetE1EEEvSM_
; %bb.0:
	.section	.rodata,"a",@progbits
	.p2align	6, 0x0
	.amdhsa_kernel _ZN7rocprim17ROCPRIM_400000_NS6detail17trampoline_kernelINS0_14default_configENS1_38merge_sort_block_merge_config_selectorIlNS0_10empty_typeEEEZZNS1_27merge_sort_block_merge_implIS3_PlPS5_mZN2at6native12_GLOBAL__N_124unique_dim_cuda_templateItEESt5tupleIJNSA_6TensorESF_SF_EERKSF_lbbbEUlllE_EE10hipError_tT0_T1_T2_jT3_P12ihipStream_tbPNSt15iterator_traitsISL_E10value_typeEPNSR_ISM_E10value_typeEPSN_NS1_7vsmem_tEENKUlT_SL_SM_SN_E_clIS8_S8_S9_S9_EESK_S10_SL_SM_SN_EUlS10_E0_NS1_11comp_targetILNS1_3genE9ELNS1_11target_archE1100ELNS1_3gpuE3ELNS1_3repE0EEENS1_38merge_mergepath_config_static_selectorELNS0_4arch9wavefront6targetE1EEEvSM_
		.amdhsa_group_segment_fixed_size 0
		.amdhsa_private_segment_fixed_size 0
		.amdhsa_kernarg_size 88
		.amdhsa_user_sgpr_count 6
		.amdhsa_user_sgpr_private_segment_buffer 1
		.amdhsa_user_sgpr_dispatch_ptr 0
		.amdhsa_user_sgpr_queue_ptr 0
		.amdhsa_user_sgpr_kernarg_segment_ptr 1
		.amdhsa_user_sgpr_dispatch_id 0
		.amdhsa_user_sgpr_flat_scratch_init 0
		.amdhsa_user_sgpr_kernarg_preload_length 0
		.amdhsa_user_sgpr_kernarg_preload_offset 0
		.amdhsa_user_sgpr_private_segment_size 0
		.amdhsa_uses_dynamic_stack 0
		.amdhsa_system_sgpr_private_segment_wavefront_offset 0
		.amdhsa_system_sgpr_workgroup_id_x 1
		.amdhsa_system_sgpr_workgroup_id_y 0
		.amdhsa_system_sgpr_workgroup_id_z 0
		.amdhsa_system_sgpr_workgroup_info 0
		.amdhsa_system_vgpr_workitem_id 0
		.amdhsa_next_free_vgpr 1
		.amdhsa_next_free_sgpr 0
		.amdhsa_accum_offset 4
		.amdhsa_reserve_vcc 0
		.amdhsa_reserve_flat_scratch 0
		.amdhsa_float_round_mode_32 0
		.amdhsa_float_round_mode_16_64 0
		.amdhsa_float_denorm_mode_32 3
		.amdhsa_float_denorm_mode_16_64 3
		.amdhsa_dx10_clamp 1
		.amdhsa_ieee_mode 1
		.amdhsa_fp16_overflow 0
		.amdhsa_tg_split 0
		.amdhsa_exception_fp_ieee_invalid_op 0
		.amdhsa_exception_fp_denorm_src 0
		.amdhsa_exception_fp_ieee_div_zero 0
		.amdhsa_exception_fp_ieee_overflow 0
		.amdhsa_exception_fp_ieee_underflow 0
		.amdhsa_exception_fp_ieee_inexact 0
		.amdhsa_exception_int_div_zero 0
	.end_amdhsa_kernel
	.section	.text._ZN7rocprim17ROCPRIM_400000_NS6detail17trampoline_kernelINS0_14default_configENS1_38merge_sort_block_merge_config_selectorIlNS0_10empty_typeEEEZZNS1_27merge_sort_block_merge_implIS3_PlPS5_mZN2at6native12_GLOBAL__N_124unique_dim_cuda_templateItEESt5tupleIJNSA_6TensorESF_SF_EERKSF_lbbbEUlllE_EE10hipError_tT0_T1_T2_jT3_P12ihipStream_tbPNSt15iterator_traitsISL_E10value_typeEPNSR_ISM_E10value_typeEPSN_NS1_7vsmem_tEENKUlT_SL_SM_SN_E_clIS8_S8_S9_S9_EESK_S10_SL_SM_SN_EUlS10_E0_NS1_11comp_targetILNS1_3genE9ELNS1_11target_archE1100ELNS1_3gpuE3ELNS1_3repE0EEENS1_38merge_mergepath_config_static_selectorELNS0_4arch9wavefront6targetE1EEEvSM_,"axG",@progbits,_ZN7rocprim17ROCPRIM_400000_NS6detail17trampoline_kernelINS0_14default_configENS1_38merge_sort_block_merge_config_selectorIlNS0_10empty_typeEEEZZNS1_27merge_sort_block_merge_implIS3_PlPS5_mZN2at6native12_GLOBAL__N_124unique_dim_cuda_templateItEESt5tupleIJNSA_6TensorESF_SF_EERKSF_lbbbEUlllE_EE10hipError_tT0_T1_T2_jT3_P12ihipStream_tbPNSt15iterator_traitsISL_E10value_typeEPNSR_ISM_E10value_typeEPSN_NS1_7vsmem_tEENKUlT_SL_SM_SN_E_clIS8_S8_S9_S9_EESK_S10_SL_SM_SN_EUlS10_E0_NS1_11comp_targetILNS1_3genE9ELNS1_11target_archE1100ELNS1_3gpuE3ELNS1_3repE0EEENS1_38merge_mergepath_config_static_selectorELNS0_4arch9wavefront6targetE1EEEvSM_,comdat
.Lfunc_end1382:
	.size	_ZN7rocprim17ROCPRIM_400000_NS6detail17trampoline_kernelINS0_14default_configENS1_38merge_sort_block_merge_config_selectorIlNS0_10empty_typeEEEZZNS1_27merge_sort_block_merge_implIS3_PlPS5_mZN2at6native12_GLOBAL__N_124unique_dim_cuda_templateItEESt5tupleIJNSA_6TensorESF_SF_EERKSF_lbbbEUlllE_EE10hipError_tT0_T1_T2_jT3_P12ihipStream_tbPNSt15iterator_traitsISL_E10value_typeEPNSR_ISM_E10value_typeEPSN_NS1_7vsmem_tEENKUlT_SL_SM_SN_E_clIS8_S8_S9_S9_EESK_S10_SL_SM_SN_EUlS10_E0_NS1_11comp_targetILNS1_3genE9ELNS1_11target_archE1100ELNS1_3gpuE3ELNS1_3repE0EEENS1_38merge_mergepath_config_static_selectorELNS0_4arch9wavefront6targetE1EEEvSM_, .Lfunc_end1382-_ZN7rocprim17ROCPRIM_400000_NS6detail17trampoline_kernelINS0_14default_configENS1_38merge_sort_block_merge_config_selectorIlNS0_10empty_typeEEEZZNS1_27merge_sort_block_merge_implIS3_PlPS5_mZN2at6native12_GLOBAL__N_124unique_dim_cuda_templateItEESt5tupleIJNSA_6TensorESF_SF_EERKSF_lbbbEUlllE_EE10hipError_tT0_T1_T2_jT3_P12ihipStream_tbPNSt15iterator_traitsISL_E10value_typeEPNSR_ISM_E10value_typeEPSN_NS1_7vsmem_tEENKUlT_SL_SM_SN_E_clIS8_S8_S9_S9_EESK_S10_SL_SM_SN_EUlS10_E0_NS1_11comp_targetILNS1_3genE9ELNS1_11target_archE1100ELNS1_3gpuE3ELNS1_3repE0EEENS1_38merge_mergepath_config_static_selectorELNS0_4arch9wavefront6targetE1EEEvSM_
                                        ; -- End function
	.section	.AMDGPU.csdata,"",@progbits
; Kernel info:
; codeLenInByte = 0
; NumSgprs: 4
; NumVgprs: 0
; NumAgprs: 0
; TotalNumVgprs: 0
; ScratchSize: 0
; MemoryBound: 0
; FloatMode: 240
; IeeeMode: 1
; LDSByteSize: 0 bytes/workgroup (compile time only)
; SGPRBlocks: 0
; VGPRBlocks: 0
; NumSGPRsForWavesPerEU: 4
; NumVGPRsForWavesPerEU: 1
; AccumOffset: 4
; Occupancy: 8
; WaveLimiterHint : 0
; COMPUTE_PGM_RSRC2:SCRATCH_EN: 0
; COMPUTE_PGM_RSRC2:USER_SGPR: 6
; COMPUTE_PGM_RSRC2:TRAP_HANDLER: 0
; COMPUTE_PGM_RSRC2:TGID_X_EN: 1
; COMPUTE_PGM_RSRC2:TGID_Y_EN: 0
; COMPUTE_PGM_RSRC2:TGID_Z_EN: 0
; COMPUTE_PGM_RSRC2:TIDIG_COMP_CNT: 0
; COMPUTE_PGM_RSRC3_GFX90A:ACCUM_OFFSET: 0
; COMPUTE_PGM_RSRC3_GFX90A:TG_SPLIT: 0
	.section	.text._ZN7rocprim17ROCPRIM_400000_NS6detail17trampoline_kernelINS0_14default_configENS1_38merge_sort_block_merge_config_selectorIlNS0_10empty_typeEEEZZNS1_27merge_sort_block_merge_implIS3_PlPS5_mZN2at6native12_GLOBAL__N_124unique_dim_cuda_templateItEESt5tupleIJNSA_6TensorESF_SF_EERKSF_lbbbEUlllE_EE10hipError_tT0_T1_T2_jT3_P12ihipStream_tbPNSt15iterator_traitsISL_E10value_typeEPNSR_ISM_E10value_typeEPSN_NS1_7vsmem_tEENKUlT_SL_SM_SN_E_clIS8_S8_S9_S9_EESK_S10_SL_SM_SN_EUlS10_E0_NS1_11comp_targetILNS1_3genE8ELNS1_11target_archE1030ELNS1_3gpuE2ELNS1_3repE0EEENS1_38merge_mergepath_config_static_selectorELNS0_4arch9wavefront6targetE1EEEvSM_,"axG",@progbits,_ZN7rocprim17ROCPRIM_400000_NS6detail17trampoline_kernelINS0_14default_configENS1_38merge_sort_block_merge_config_selectorIlNS0_10empty_typeEEEZZNS1_27merge_sort_block_merge_implIS3_PlPS5_mZN2at6native12_GLOBAL__N_124unique_dim_cuda_templateItEESt5tupleIJNSA_6TensorESF_SF_EERKSF_lbbbEUlllE_EE10hipError_tT0_T1_T2_jT3_P12ihipStream_tbPNSt15iterator_traitsISL_E10value_typeEPNSR_ISM_E10value_typeEPSN_NS1_7vsmem_tEENKUlT_SL_SM_SN_E_clIS8_S8_S9_S9_EESK_S10_SL_SM_SN_EUlS10_E0_NS1_11comp_targetILNS1_3genE8ELNS1_11target_archE1030ELNS1_3gpuE2ELNS1_3repE0EEENS1_38merge_mergepath_config_static_selectorELNS0_4arch9wavefront6targetE1EEEvSM_,comdat
	.globl	_ZN7rocprim17ROCPRIM_400000_NS6detail17trampoline_kernelINS0_14default_configENS1_38merge_sort_block_merge_config_selectorIlNS0_10empty_typeEEEZZNS1_27merge_sort_block_merge_implIS3_PlPS5_mZN2at6native12_GLOBAL__N_124unique_dim_cuda_templateItEESt5tupleIJNSA_6TensorESF_SF_EERKSF_lbbbEUlllE_EE10hipError_tT0_T1_T2_jT3_P12ihipStream_tbPNSt15iterator_traitsISL_E10value_typeEPNSR_ISM_E10value_typeEPSN_NS1_7vsmem_tEENKUlT_SL_SM_SN_E_clIS8_S8_S9_S9_EESK_S10_SL_SM_SN_EUlS10_E0_NS1_11comp_targetILNS1_3genE8ELNS1_11target_archE1030ELNS1_3gpuE2ELNS1_3repE0EEENS1_38merge_mergepath_config_static_selectorELNS0_4arch9wavefront6targetE1EEEvSM_ ; -- Begin function _ZN7rocprim17ROCPRIM_400000_NS6detail17trampoline_kernelINS0_14default_configENS1_38merge_sort_block_merge_config_selectorIlNS0_10empty_typeEEEZZNS1_27merge_sort_block_merge_implIS3_PlPS5_mZN2at6native12_GLOBAL__N_124unique_dim_cuda_templateItEESt5tupleIJNSA_6TensorESF_SF_EERKSF_lbbbEUlllE_EE10hipError_tT0_T1_T2_jT3_P12ihipStream_tbPNSt15iterator_traitsISL_E10value_typeEPNSR_ISM_E10value_typeEPSN_NS1_7vsmem_tEENKUlT_SL_SM_SN_E_clIS8_S8_S9_S9_EESK_S10_SL_SM_SN_EUlS10_E0_NS1_11comp_targetILNS1_3genE8ELNS1_11target_archE1030ELNS1_3gpuE2ELNS1_3repE0EEENS1_38merge_mergepath_config_static_selectorELNS0_4arch9wavefront6targetE1EEEvSM_
	.p2align	8
	.type	_ZN7rocprim17ROCPRIM_400000_NS6detail17trampoline_kernelINS0_14default_configENS1_38merge_sort_block_merge_config_selectorIlNS0_10empty_typeEEEZZNS1_27merge_sort_block_merge_implIS3_PlPS5_mZN2at6native12_GLOBAL__N_124unique_dim_cuda_templateItEESt5tupleIJNSA_6TensorESF_SF_EERKSF_lbbbEUlllE_EE10hipError_tT0_T1_T2_jT3_P12ihipStream_tbPNSt15iterator_traitsISL_E10value_typeEPNSR_ISM_E10value_typeEPSN_NS1_7vsmem_tEENKUlT_SL_SM_SN_E_clIS8_S8_S9_S9_EESK_S10_SL_SM_SN_EUlS10_E0_NS1_11comp_targetILNS1_3genE8ELNS1_11target_archE1030ELNS1_3gpuE2ELNS1_3repE0EEENS1_38merge_mergepath_config_static_selectorELNS0_4arch9wavefront6targetE1EEEvSM_,@function
_ZN7rocprim17ROCPRIM_400000_NS6detail17trampoline_kernelINS0_14default_configENS1_38merge_sort_block_merge_config_selectorIlNS0_10empty_typeEEEZZNS1_27merge_sort_block_merge_implIS3_PlPS5_mZN2at6native12_GLOBAL__N_124unique_dim_cuda_templateItEESt5tupleIJNSA_6TensorESF_SF_EERKSF_lbbbEUlllE_EE10hipError_tT0_T1_T2_jT3_P12ihipStream_tbPNSt15iterator_traitsISL_E10value_typeEPNSR_ISM_E10value_typeEPSN_NS1_7vsmem_tEENKUlT_SL_SM_SN_E_clIS8_S8_S9_S9_EESK_S10_SL_SM_SN_EUlS10_E0_NS1_11comp_targetILNS1_3genE8ELNS1_11target_archE1030ELNS1_3gpuE2ELNS1_3repE0EEENS1_38merge_mergepath_config_static_selectorELNS0_4arch9wavefront6targetE1EEEvSM_: ; @_ZN7rocprim17ROCPRIM_400000_NS6detail17trampoline_kernelINS0_14default_configENS1_38merge_sort_block_merge_config_selectorIlNS0_10empty_typeEEEZZNS1_27merge_sort_block_merge_implIS3_PlPS5_mZN2at6native12_GLOBAL__N_124unique_dim_cuda_templateItEESt5tupleIJNSA_6TensorESF_SF_EERKSF_lbbbEUlllE_EE10hipError_tT0_T1_T2_jT3_P12ihipStream_tbPNSt15iterator_traitsISL_E10value_typeEPNSR_ISM_E10value_typeEPSN_NS1_7vsmem_tEENKUlT_SL_SM_SN_E_clIS8_S8_S9_S9_EESK_S10_SL_SM_SN_EUlS10_E0_NS1_11comp_targetILNS1_3genE8ELNS1_11target_archE1030ELNS1_3gpuE2ELNS1_3repE0EEENS1_38merge_mergepath_config_static_selectorELNS0_4arch9wavefront6targetE1EEEvSM_
; %bb.0:
	.section	.rodata,"a",@progbits
	.p2align	6, 0x0
	.amdhsa_kernel _ZN7rocprim17ROCPRIM_400000_NS6detail17trampoline_kernelINS0_14default_configENS1_38merge_sort_block_merge_config_selectorIlNS0_10empty_typeEEEZZNS1_27merge_sort_block_merge_implIS3_PlPS5_mZN2at6native12_GLOBAL__N_124unique_dim_cuda_templateItEESt5tupleIJNSA_6TensorESF_SF_EERKSF_lbbbEUlllE_EE10hipError_tT0_T1_T2_jT3_P12ihipStream_tbPNSt15iterator_traitsISL_E10value_typeEPNSR_ISM_E10value_typeEPSN_NS1_7vsmem_tEENKUlT_SL_SM_SN_E_clIS8_S8_S9_S9_EESK_S10_SL_SM_SN_EUlS10_E0_NS1_11comp_targetILNS1_3genE8ELNS1_11target_archE1030ELNS1_3gpuE2ELNS1_3repE0EEENS1_38merge_mergepath_config_static_selectorELNS0_4arch9wavefront6targetE1EEEvSM_
		.amdhsa_group_segment_fixed_size 0
		.amdhsa_private_segment_fixed_size 0
		.amdhsa_kernarg_size 88
		.amdhsa_user_sgpr_count 6
		.amdhsa_user_sgpr_private_segment_buffer 1
		.amdhsa_user_sgpr_dispatch_ptr 0
		.amdhsa_user_sgpr_queue_ptr 0
		.amdhsa_user_sgpr_kernarg_segment_ptr 1
		.amdhsa_user_sgpr_dispatch_id 0
		.amdhsa_user_sgpr_flat_scratch_init 0
		.amdhsa_user_sgpr_kernarg_preload_length 0
		.amdhsa_user_sgpr_kernarg_preload_offset 0
		.amdhsa_user_sgpr_private_segment_size 0
		.amdhsa_uses_dynamic_stack 0
		.amdhsa_system_sgpr_private_segment_wavefront_offset 0
		.amdhsa_system_sgpr_workgroup_id_x 1
		.amdhsa_system_sgpr_workgroup_id_y 0
		.amdhsa_system_sgpr_workgroup_id_z 0
		.amdhsa_system_sgpr_workgroup_info 0
		.amdhsa_system_vgpr_workitem_id 0
		.amdhsa_next_free_vgpr 1
		.amdhsa_next_free_sgpr 0
		.amdhsa_accum_offset 4
		.amdhsa_reserve_vcc 0
		.amdhsa_reserve_flat_scratch 0
		.amdhsa_float_round_mode_32 0
		.amdhsa_float_round_mode_16_64 0
		.amdhsa_float_denorm_mode_32 3
		.amdhsa_float_denorm_mode_16_64 3
		.amdhsa_dx10_clamp 1
		.amdhsa_ieee_mode 1
		.amdhsa_fp16_overflow 0
		.amdhsa_tg_split 0
		.amdhsa_exception_fp_ieee_invalid_op 0
		.amdhsa_exception_fp_denorm_src 0
		.amdhsa_exception_fp_ieee_div_zero 0
		.amdhsa_exception_fp_ieee_overflow 0
		.amdhsa_exception_fp_ieee_underflow 0
		.amdhsa_exception_fp_ieee_inexact 0
		.amdhsa_exception_int_div_zero 0
	.end_amdhsa_kernel
	.section	.text._ZN7rocprim17ROCPRIM_400000_NS6detail17trampoline_kernelINS0_14default_configENS1_38merge_sort_block_merge_config_selectorIlNS0_10empty_typeEEEZZNS1_27merge_sort_block_merge_implIS3_PlPS5_mZN2at6native12_GLOBAL__N_124unique_dim_cuda_templateItEESt5tupleIJNSA_6TensorESF_SF_EERKSF_lbbbEUlllE_EE10hipError_tT0_T1_T2_jT3_P12ihipStream_tbPNSt15iterator_traitsISL_E10value_typeEPNSR_ISM_E10value_typeEPSN_NS1_7vsmem_tEENKUlT_SL_SM_SN_E_clIS8_S8_S9_S9_EESK_S10_SL_SM_SN_EUlS10_E0_NS1_11comp_targetILNS1_3genE8ELNS1_11target_archE1030ELNS1_3gpuE2ELNS1_3repE0EEENS1_38merge_mergepath_config_static_selectorELNS0_4arch9wavefront6targetE1EEEvSM_,"axG",@progbits,_ZN7rocprim17ROCPRIM_400000_NS6detail17trampoline_kernelINS0_14default_configENS1_38merge_sort_block_merge_config_selectorIlNS0_10empty_typeEEEZZNS1_27merge_sort_block_merge_implIS3_PlPS5_mZN2at6native12_GLOBAL__N_124unique_dim_cuda_templateItEESt5tupleIJNSA_6TensorESF_SF_EERKSF_lbbbEUlllE_EE10hipError_tT0_T1_T2_jT3_P12ihipStream_tbPNSt15iterator_traitsISL_E10value_typeEPNSR_ISM_E10value_typeEPSN_NS1_7vsmem_tEENKUlT_SL_SM_SN_E_clIS8_S8_S9_S9_EESK_S10_SL_SM_SN_EUlS10_E0_NS1_11comp_targetILNS1_3genE8ELNS1_11target_archE1030ELNS1_3gpuE2ELNS1_3repE0EEENS1_38merge_mergepath_config_static_selectorELNS0_4arch9wavefront6targetE1EEEvSM_,comdat
.Lfunc_end1383:
	.size	_ZN7rocprim17ROCPRIM_400000_NS6detail17trampoline_kernelINS0_14default_configENS1_38merge_sort_block_merge_config_selectorIlNS0_10empty_typeEEEZZNS1_27merge_sort_block_merge_implIS3_PlPS5_mZN2at6native12_GLOBAL__N_124unique_dim_cuda_templateItEESt5tupleIJNSA_6TensorESF_SF_EERKSF_lbbbEUlllE_EE10hipError_tT0_T1_T2_jT3_P12ihipStream_tbPNSt15iterator_traitsISL_E10value_typeEPNSR_ISM_E10value_typeEPSN_NS1_7vsmem_tEENKUlT_SL_SM_SN_E_clIS8_S8_S9_S9_EESK_S10_SL_SM_SN_EUlS10_E0_NS1_11comp_targetILNS1_3genE8ELNS1_11target_archE1030ELNS1_3gpuE2ELNS1_3repE0EEENS1_38merge_mergepath_config_static_selectorELNS0_4arch9wavefront6targetE1EEEvSM_, .Lfunc_end1383-_ZN7rocprim17ROCPRIM_400000_NS6detail17trampoline_kernelINS0_14default_configENS1_38merge_sort_block_merge_config_selectorIlNS0_10empty_typeEEEZZNS1_27merge_sort_block_merge_implIS3_PlPS5_mZN2at6native12_GLOBAL__N_124unique_dim_cuda_templateItEESt5tupleIJNSA_6TensorESF_SF_EERKSF_lbbbEUlllE_EE10hipError_tT0_T1_T2_jT3_P12ihipStream_tbPNSt15iterator_traitsISL_E10value_typeEPNSR_ISM_E10value_typeEPSN_NS1_7vsmem_tEENKUlT_SL_SM_SN_E_clIS8_S8_S9_S9_EESK_S10_SL_SM_SN_EUlS10_E0_NS1_11comp_targetILNS1_3genE8ELNS1_11target_archE1030ELNS1_3gpuE2ELNS1_3repE0EEENS1_38merge_mergepath_config_static_selectorELNS0_4arch9wavefront6targetE1EEEvSM_
                                        ; -- End function
	.section	.AMDGPU.csdata,"",@progbits
; Kernel info:
; codeLenInByte = 0
; NumSgprs: 4
; NumVgprs: 0
; NumAgprs: 0
; TotalNumVgprs: 0
; ScratchSize: 0
; MemoryBound: 0
; FloatMode: 240
; IeeeMode: 1
; LDSByteSize: 0 bytes/workgroup (compile time only)
; SGPRBlocks: 0
; VGPRBlocks: 0
; NumSGPRsForWavesPerEU: 4
; NumVGPRsForWavesPerEU: 1
; AccumOffset: 4
; Occupancy: 8
; WaveLimiterHint : 0
; COMPUTE_PGM_RSRC2:SCRATCH_EN: 0
; COMPUTE_PGM_RSRC2:USER_SGPR: 6
; COMPUTE_PGM_RSRC2:TRAP_HANDLER: 0
; COMPUTE_PGM_RSRC2:TGID_X_EN: 1
; COMPUTE_PGM_RSRC2:TGID_Y_EN: 0
; COMPUTE_PGM_RSRC2:TGID_Z_EN: 0
; COMPUTE_PGM_RSRC2:TIDIG_COMP_CNT: 0
; COMPUTE_PGM_RSRC3_GFX90A:ACCUM_OFFSET: 0
; COMPUTE_PGM_RSRC3_GFX90A:TG_SPLIT: 0
	.section	.text._ZN7rocprim17ROCPRIM_400000_NS6detail17trampoline_kernelINS0_14default_configENS1_38merge_sort_block_merge_config_selectorIlNS0_10empty_typeEEEZZNS1_27merge_sort_block_merge_implIS3_PlPS5_mZN2at6native12_GLOBAL__N_124unique_dim_cuda_templateItEESt5tupleIJNSA_6TensorESF_SF_EERKSF_lbbbEUlllE_EE10hipError_tT0_T1_T2_jT3_P12ihipStream_tbPNSt15iterator_traitsISL_E10value_typeEPNSR_ISM_E10value_typeEPSN_NS1_7vsmem_tEENKUlT_SL_SM_SN_E_clIS8_S8_S9_S9_EESK_S10_SL_SM_SN_EUlS10_E1_NS1_11comp_targetILNS1_3genE0ELNS1_11target_archE4294967295ELNS1_3gpuE0ELNS1_3repE0EEENS1_36merge_oddeven_config_static_selectorELNS0_4arch9wavefront6targetE1EEEvSM_,"axG",@progbits,_ZN7rocprim17ROCPRIM_400000_NS6detail17trampoline_kernelINS0_14default_configENS1_38merge_sort_block_merge_config_selectorIlNS0_10empty_typeEEEZZNS1_27merge_sort_block_merge_implIS3_PlPS5_mZN2at6native12_GLOBAL__N_124unique_dim_cuda_templateItEESt5tupleIJNSA_6TensorESF_SF_EERKSF_lbbbEUlllE_EE10hipError_tT0_T1_T2_jT3_P12ihipStream_tbPNSt15iterator_traitsISL_E10value_typeEPNSR_ISM_E10value_typeEPSN_NS1_7vsmem_tEENKUlT_SL_SM_SN_E_clIS8_S8_S9_S9_EESK_S10_SL_SM_SN_EUlS10_E1_NS1_11comp_targetILNS1_3genE0ELNS1_11target_archE4294967295ELNS1_3gpuE0ELNS1_3repE0EEENS1_36merge_oddeven_config_static_selectorELNS0_4arch9wavefront6targetE1EEEvSM_,comdat
	.globl	_ZN7rocprim17ROCPRIM_400000_NS6detail17trampoline_kernelINS0_14default_configENS1_38merge_sort_block_merge_config_selectorIlNS0_10empty_typeEEEZZNS1_27merge_sort_block_merge_implIS3_PlPS5_mZN2at6native12_GLOBAL__N_124unique_dim_cuda_templateItEESt5tupleIJNSA_6TensorESF_SF_EERKSF_lbbbEUlllE_EE10hipError_tT0_T1_T2_jT3_P12ihipStream_tbPNSt15iterator_traitsISL_E10value_typeEPNSR_ISM_E10value_typeEPSN_NS1_7vsmem_tEENKUlT_SL_SM_SN_E_clIS8_S8_S9_S9_EESK_S10_SL_SM_SN_EUlS10_E1_NS1_11comp_targetILNS1_3genE0ELNS1_11target_archE4294967295ELNS1_3gpuE0ELNS1_3repE0EEENS1_36merge_oddeven_config_static_selectorELNS0_4arch9wavefront6targetE1EEEvSM_ ; -- Begin function _ZN7rocprim17ROCPRIM_400000_NS6detail17trampoline_kernelINS0_14default_configENS1_38merge_sort_block_merge_config_selectorIlNS0_10empty_typeEEEZZNS1_27merge_sort_block_merge_implIS3_PlPS5_mZN2at6native12_GLOBAL__N_124unique_dim_cuda_templateItEESt5tupleIJNSA_6TensorESF_SF_EERKSF_lbbbEUlllE_EE10hipError_tT0_T1_T2_jT3_P12ihipStream_tbPNSt15iterator_traitsISL_E10value_typeEPNSR_ISM_E10value_typeEPSN_NS1_7vsmem_tEENKUlT_SL_SM_SN_E_clIS8_S8_S9_S9_EESK_S10_SL_SM_SN_EUlS10_E1_NS1_11comp_targetILNS1_3genE0ELNS1_11target_archE4294967295ELNS1_3gpuE0ELNS1_3repE0EEENS1_36merge_oddeven_config_static_selectorELNS0_4arch9wavefront6targetE1EEEvSM_
	.p2align	8
	.type	_ZN7rocprim17ROCPRIM_400000_NS6detail17trampoline_kernelINS0_14default_configENS1_38merge_sort_block_merge_config_selectorIlNS0_10empty_typeEEEZZNS1_27merge_sort_block_merge_implIS3_PlPS5_mZN2at6native12_GLOBAL__N_124unique_dim_cuda_templateItEESt5tupleIJNSA_6TensorESF_SF_EERKSF_lbbbEUlllE_EE10hipError_tT0_T1_T2_jT3_P12ihipStream_tbPNSt15iterator_traitsISL_E10value_typeEPNSR_ISM_E10value_typeEPSN_NS1_7vsmem_tEENKUlT_SL_SM_SN_E_clIS8_S8_S9_S9_EESK_S10_SL_SM_SN_EUlS10_E1_NS1_11comp_targetILNS1_3genE0ELNS1_11target_archE4294967295ELNS1_3gpuE0ELNS1_3repE0EEENS1_36merge_oddeven_config_static_selectorELNS0_4arch9wavefront6targetE1EEEvSM_,@function
_ZN7rocprim17ROCPRIM_400000_NS6detail17trampoline_kernelINS0_14default_configENS1_38merge_sort_block_merge_config_selectorIlNS0_10empty_typeEEEZZNS1_27merge_sort_block_merge_implIS3_PlPS5_mZN2at6native12_GLOBAL__N_124unique_dim_cuda_templateItEESt5tupleIJNSA_6TensorESF_SF_EERKSF_lbbbEUlllE_EE10hipError_tT0_T1_T2_jT3_P12ihipStream_tbPNSt15iterator_traitsISL_E10value_typeEPNSR_ISM_E10value_typeEPSN_NS1_7vsmem_tEENKUlT_SL_SM_SN_E_clIS8_S8_S9_S9_EESK_S10_SL_SM_SN_EUlS10_E1_NS1_11comp_targetILNS1_3genE0ELNS1_11target_archE4294967295ELNS1_3gpuE0ELNS1_3repE0EEENS1_36merge_oddeven_config_static_selectorELNS0_4arch9wavefront6targetE1EEEvSM_: ; @_ZN7rocprim17ROCPRIM_400000_NS6detail17trampoline_kernelINS0_14default_configENS1_38merge_sort_block_merge_config_selectorIlNS0_10empty_typeEEEZZNS1_27merge_sort_block_merge_implIS3_PlPS5_mZN2at6native12_GLOBAL__N_124unique_dim_cuda_templateItEESt5tupleIJNSA_6TensorESF_SF_EERKSF_lbbbEUlllE_EE10hipError_tT0_T1_T2_jT3_P12ihipStream_tbPNSt15iterator_traitsISL_E10value_typeEPNSR_ISM_E10value_typeEPSN_NS1_7vsmem_tEENKUlT_SL_SM_SN_E_clIS8_S8_S9_S9_EESK_S10_SL_SM_SN_EUlS10_E1_NS1_11comp_targetILNS1_3genE0ELNS1_11target_archE4294967295ELNS1_3gpuE0ELNS1_3repE0EEENS1_36merge_oddeven_config_static_selectorELNS0_4arch9wavefront6targetE1EEEvSM_
; %bb.0:
	.section	.rodata,"a",@progbits
	.p2align	6, 0x0
	.amdhsa_kernel _ZN7rocprim17ROCPRIM_400000_NS6detail17trampoline_kernelINS0_14default_configENS1_38merge_sort_block_merge_config_selectorIlNS0_10empty_typeEEEZZNS1_27merge_sort_block_merge_implIS3_PlPS5_mZN2at6native12_GLOBAL__N_124unique_dim_cuda_templateItEESt5tupleIJNSA_6TensorESF_SF_EERKSF_lbbbEUlllE_EE10hipError_tT0_T1_T2_jT3_P12ihipStream_tbPNSt15iterator_traitsISL_E10value_typeEPNSR_ISM_E10value_typeEPSN_NS1_7vsmem_tEENKUlT_SL_SM_SN_E_clIS8_S8_S9_S9_EESK_S10_SL_SM_SN_EUlS10_E1_NS1_11comp_targetILNS1_3genE0ELNS1_11target_archE4294967295ELNS1_3gpuE0ELNS1_3repE0EEENS1_36merge_oddeven_config_static_selectorELNS0_4arch9wavefront6targetE1EEEvSM_
		.amdhsa_group_segment_fixed_size 0
		.amdhsa_private_segment_fixed_size 0
		.amdhsa_kernarg_size 64
		.amdhsa_user_sgpr_count 6
		.amdhsa_user_sgpr_private_segment_buffer 1
		.amdhsa_user_sgpr_dispatch_ptr 0
		.amdhsa_user_sgpr_queue_ptr 0
		.amdhsa_user_sgpr_kernarg_segment_ptr 1
		.amdhsa_user_sgpr_dispatch_id 0
		.amdhsa_user_sgpr_flat_scratch_init 0
		.amdhsa_user_sgpr_kernarg_preload_length 0
		.amdhsa_user_sgpr_kernarg_preload_offset 0
		.amdhsa_user_sgpr_private_segment_size 0
		.amdhsa_uses_dynamic_stack 0
		.amdhsa_system_sgpr_private_segment_wavefront_offset 0
		.amdhsa_system_sgpr_workgroup_id_x 1
		.amdhsa_system_sgpr_workgroup_id_y 0
		.amdhsa_system_sgpr_workgroup_id_z 0
		.amdhsa_system_sgpr_workgroup_info 0
		.amdhsa_system_vgpr_workitem_id 0
		.amdhsa_next_free_vgpr 1
		.amdhsa_next_free_sgpr 0
		.amdhsa_accum_offset 4
		.amdhsa_reserve_vcc 0
		.amdhsa_reserve_flat_scratch 0
		.amdhsa_float_round_mode_32 0
		.amdhsa_float_round_mode_16_64 0
		.amdhsa_float_denorm_mode_32 3
		.amdhsa_float_denorm_mode_16_64 3
		.amdhsa_dx10_clamp 1
		.amdhsa_ieee_mode 1
		.amdhsa_fp16_overflow 0
		.amdhsa_tg_split 0
		.amdhsa_exception_fp_ieee_invalid_op 0
		.amdhsa_exception_fp_denorm_src 0
		.amdhsa_exception_fp_ieee_div_zero 0
		.amdhsa_exception_fp_ieee_overflow 0
		.amdhsa_exception_fp_ieee_underflow 0
		.amdhsa_exception_fp_ieee_inexact 0
		.amdhsa_exception_int_div_zero 0
	.end_amdhsa_kernel
	.section	.text._ZN7rocprim17ROCPRIM_400000_NS6detail17trampoline_kernelINS0_14default_configENS1_38merge_sort_block_merge_config_selectorIlNS0_10empty_typeEEEZZNS1_27merge_sort_block_merge_implIS3_PlPS5_mZN2at6native12_GLOBAL__N_124unique_dim_cuda_templateItEESt5tupleIJNSA_6TensorESF_SF_EERKSF_lbbbEUlllE_EE10hipError_tT0_T1_T2_jT3_P12ihipStream_tbPNSt15iterator_traitsISL_E10value_typeEPNSR_ISM_E10value_typeEPSN_NS1_7vsmem_tEENKUlT_SL_SM_SN_E_clIS8_S8_S9_S9_EESK_S10_SL_SM_SN_EUlS10_E1_NS1_11comp_targetILNS1_3genE0ELNS1_11target_archE4294967295ELNS1_3gpuE0ELNS1_3repE0EEENS1_36merge_oddeven_config_static_selectorELNS0_4arch9wavefront6targetE1EEEvSM_,"axG",@progbits,_ZN7rocprim17ROCPRIM_400000_NS6detail17trampoline_kernelINS0_14default_configENS1_38merge_sort_block_merge_config_selectorIlNS0_10empty_typeEEEZZNS1_27merge_sort_block_merge_implIS3_PlPS5_mZN2at6native12_GLOBAL__N_124unique_dim_cuda_templateItEESt5tupleIJNSA_6TensorESF_SF_EERKSF_lbbbEUlllE_EE10hipError_tT0_T1_T2_jT3_P12ihipStream_tbPNSt15iterator_traitsISL_E10value_typeEPNSR_ISM_E10value_typeEPSN_NS1_7vsmem_tEENKUlT_SL_SM_SN_E_clIS8_S8_S9_S9_EESK_S10_SL_SM_SN_EUlS10_E1_NS1_11comp_targetILNS1_3genE0ELNS1_11target_archE4294967295ELNS1_3gpuE0ELNS1_3repE0EEENS1_36merge_oddeven_config_static_selectorELNS0_4arch9wavefront6targetE1EEEvSM_,comdat
.Lfunc_end1384:
	.size	_ZN7rocprim17ROCPRIM_400000_NS6detail17trampoline_kernelINS0_14default_configENS1_38merge_sort_block_merge_config_selectorIlNS0_10empty_typeEEEZZNS1_27merge_sort_block_merge_implIS3_PlPS5_mZN2at6native12_GLOBAL__N_124unique_dim_cuda_templateItEESt5tupleIJNSA_6TensorESF_SF_EERKSF_lbbbEUlllE_EE10hipError_tT0_T1_T2_jT3_P12ihipStream_tbPNSt15iterator_traitsISL_E10value_typeEPNSR_ISM_E10value_typeEPSN_NS1_7vsmem_tEENKUlT_SL_SM_SN_E_clIS8_S8_S9_S9_EESK_S10_SL_SM_SN_EUlS10_E1_NS1_11comp_targetILNS1_3genE0ELNS1_11target_archE4294967295ELNS1_3gpuE0ELNS1_3repE0EEENS1_36merge_oddeven_config_static_selectorELNS0_4arch9wavefront6targetE1EEEvSM_, .Lfunc_end1384-_ZN7rocprim17ROCPRIM_400000_NS6detail17trampoline_kernelINS0_14default_configENS1_38merge_sort_block_merge_config_selectorIlNS0_10empty_typeEEEZZNS1_27merge_sort_block_merge_implIS3_PlPS5_mZN2at6native12_GLOBAL__N_124unique_dim_cuda_templateItEESt5tupleIJNSA_6TensorESF_SF_EERKSF_lbbbEUlllE_EE10hipError_tT0_T1_T2_jT3_P12ihipStream_tbPNSt15iterator_traitsISL_E10value_typeEPNSR_ISM_E10value_typeEPSN_NS1_7vsmem_tEENKUlT_SL_SM_SN_E_clIS8_S8_S9_S9_EESK_S10_SL_SM_SN_EUlS10_E1_NS1_11comp_targetILNS1_3genE0ELNS1_11target_archE4294967295ELNS1_3gpuE0ELNS1_3repE0EEENS1_36merge_oddeven_config_static_selectorELNS0_4arch9wavefront6targetE1EEEvSM_
                                        ; -- End function
	.section	.AMDGPU.csdata,"",@progbits
; Kernel info:
; codeLenInByte = 0
; NumSgprs: 4
; NumVgprs: 0
; NumAgprs: 0
; TotalNumVgprs: 0
; ScratchSize: 0
; MemoryBound: 0
; FloatMode: 240
; IeeeMode: 1
; LDSByteSize: 0 bytes/workgroup (compile time only)
; SGPRBlocks: 0
; VGPRBlocks: 0
; NumSGPRsForWavesPerEU: 4
; NumVGPRsForWavesPerEU: 1
; AccumOffset: 4
; Occupancy: 8
; WaveLimiterHint : 0
; COMPUTE_PGM_RSRC2:SCRATCH_EN: 0
; COMPUTE_PGM_RSRC2:USER_SGPR: 6
; COMPUTE_PGM_RSRC2:TRAP_HANDLER: 0
; COMPUTE_PGM_RSRC2:TGID_X_EN: 1
; COMPUTE_PGM_RSRC2:TGID_Y_EN: 0
; COMPUTE_PGM_RSRC2:TGID_Z_EN: 0
; COMPUTE_PGM_RSRC2:TIDIG_COMP_CNT: 0
; COMPUTE_PGM_RSRC3_GFX90A:ACCUM_OFFSET: 0
; COMPUTE_PGM_RSRC3_GFX90A:TG_SPLIT: 0
	.section	.text._ZN7rocprim17ROCPRIM_400000_NS6detail17trampoline_kernelINS0_14default_configENS1_38merge_sort_block_merge_config_selectorIlNS0_10empty_typeEEEZZNS1_27merge_sort_block_merge_implIS3_PlPS5_mZN2at6native12_GLOBAL__N_124unique_dim_cuda_templateItEESt5tupleIJNSA_6TensorESF_SF_EERKSF_lbbbEUlllE_EE10hipError_tT0_T1_T2_jT3_P12ihipStream_tbPNSt15iterator_traitsISL_E10value_typeEPNSR_ISM_E10value_typeEPSN_NS1_7vsmem_tEENKUlT_SL_SM_SN_E_clIS8_S8_S9_S9_EESK_S10_SL_SM_SN_EUlS10_E1_NS1_11comp_targetILNS1_3genE10ELNS1_11target_archE1201ELNS1_3gpuE5ELNS1_3repE0EEENS1_36merge_oddeven_config_static_selectorELNS0_4arch9wavefront6targetE1EEEvSM_,"axG",@progbits,_ZN7rocprim17ROCPRIM_400000_NS6detail17trampoline_kernelINS0_14default_configENS1_38merge_sort_block_merge_config_selectorIlNS0_10empty_typeEEEZZNS1_27merge_sort_block_merge_implIS3_PlPS5_mZN2at6native12_GLOBAL__N_124unique_dim_cuda_templateItEESt5tupleIJNSA_6TensorESF_SF_EERKSF_lbbbEUlllE_EE10hipError_tT0_T1_T2_jT3_P12ihipStream_tbPNSt15iterator_traitsISL_E10value_typeEPNSR_ISM_E10value_typeEPSN_NS1_7vsmem_tEENKUlT_SL_SM_SN_E_clIS8_S8_S9_S9_EESK_S10_SL_SM_SN_EUlS10_E1_NS1_11comp_targetILNS1_3genE10ELNS1_11target_archE1201ELNS1_3gpuE5ELNS1_3repE0EEENS1_36merge_oddeven_config_static_selectorELNS0_4arch9wavefront6targetE1EEEvSM_,comdat
	.globl	_ZN7rocprim17ROCPRIM_400000_NS6detail17trampoline_kernelINS0_14default_configENS1_38merge_sort_block_merge_config_selectorIlNS0_10empty_typeEEEZZNS1_27merge_sort_block_merge_implIS3_PlPS5_mZN2at6native12_GLOBAL__N_124unique_dim_cuda_templateItEESt5tupleIJNSA_6TensorESF_SF_EERKSF_lbbbEUlllE_EE10hipError_tT0_T1_T2_jT3_P12ihipStream_tbPNSt15iterator_traitsISL_E10value_typeEPNSR_ISM_E10value_typeEPSN_NS1_7vsmem_tEENKUlT_SL_SM_SN_E_clIS8_S8_S9_S9_EESK_S10_SL_SM_SN_EUlS10_E1_NS1_11comp_targetILNS1_3genE10ELNS1_11target_archE1201ELNS1_3gpuE5ELNS1_3repE0EEENS1_36merge_oddeven_config_static_selectorELNS0_4arch9wavefront6targetE1EEEvSM_ ; -- Begin function _ZN7rocprim17ROCPRIM_400000_NS6detail17trampoline_kernelINS0_14default_configENS1_38merge_sort_block_merge_config_selectorIlNS0_10empty_typeEEEZZNS1_27merge_sort_block_merge_implIS3_PlPS5_mZN2at6native12_GLOBAL__N_124unique_dim_cuda_templateItEESt5tupleIJNSA_6TensorESF_SF_EERKSF_lbbbEUlllE_EE10hipError_tT0_T1_T2_jT3_P12ihipStream_tbPNSt15iterator_traitsISL_E10value_typeEPNSR_ISM_E10value_typeEPSN_NS1_7vsmem_tEENKUlT_SL_SM_SN_E_clIS8_S8_S9_S9_EESK_S10_SL_SM_SN_EUlS10_E1_NS1_11comp_targetILNS1_3genE10ELNS1_11target_archE1201ELNS1_3gpuE5ELNS1_3repE0EEENS1_36merge_oddeven_config_static_selectorELNS0_4arch9wavefront6targetE1EEEvSM_
	.p2align	8
	.type	_ZN7rocprim17ROCPRIM_400000_NS6detail17trampoline_kernelINS0_14default_configENS1_38merge_sort_block_merge_config_selectorIlNS0_10empty_typeEEEZZNS1_27merge_sort_block_merge_implIS3_PlPS5_mZN2at6native12_GLOBAL__N_124unique_dim_cuda_templateItEESt5tupleIJNSA_6TensorESF_SF_EERKSF_lbbbEUlllE_EE10hipError_tT0_T1_T2_jT3_P12ihipStream_tbPNSt15iterator_traitsISL_E10value_typeEPNSR_ISM_E10value_typeEPSN_NS1_7vsmem_tEENKUlT_SL_SM_SN_E_clIS8_S8_S9_S9_EESK_S10_SL_SM_SN_EUlS10_E1_NS1_11comp_targetILNS1_3genE10ELNS1_11target_archE1201ELNS1_3gpuE5ELNS1_3repE0EEENS1_36merge_oddeven_config_static_selectorELNS0_4arch9wavefront6targetE1EEEvSM_,@function
_ZN7rocprim17ROCPRIM_400000_NS6detail17trampoline_kernelINS0_14default_configENS1_38merge_sort_block_merge_config_selectorIlNS0_10empty_typeEEEZZNS1_27merge_sort_block_merge_implIS3_PlPS5_mZN2at6native12_GLOBAL__N_124unique_dim_cuda_templateItEESt5tupleIJNSA_6TensorESF_SF_EERKSF_lbbbEUlllE_EE10hipError_tT0_T1_T2_jT3_P12ihipStream_tbPNSt15iterator_traitsISL_E10value_typeEPNSR_ISM_E10value_typeEPSN_NS1_7vsmem_tEENKUlT_SL_SM_SN_E_clIS8_S8_S9_S9_EESK_S10_SL_SM_SN_EUlS10_E1_NS1_11comp_targetILNS1_3genE10ELNS1_11target_archE1201ELNS1_3gpuE5ELNS1_3repE0EEENS1_36merge_oddeven_config_static_selectorELNS0_4arch9wavefront6targetE1EEEvSM_: ; @_ZN7rocprim17ROCPRIM_400000_NS6detail17trampoline_kernelINS0_14default_configENS1_38merge_sort_block_merge_config_selectorIlNS0_10empty_typeEEEZZNS1_27merge_sort_block_merge_implIS3_PlPS5_mZN2at6native12_GLOBAL__N_124unique_dim_cuda_templateItEESt5tupleIJNSA_6TensorESF_SF_EERKSF_lbbbEUlllE_EE10hipError_tT0_T1_T2_jT3_P12ihipStream_tbPNSt15iterator_traitsISL_E10value_typeEPNSR_ISM_E10value_typeEPSN_NS1_7vsmem_tEENKUlT_SL_SM_SN_E_clIS8_S8_S9_S9_EESK_S10_SL_SM_SN_EUlS10_E1_NS1_11comp_targetILNS1_3genE10ELNS1_11target_archE1201ELNS1_3gpuE5ELNS1_3repE0EEENS1_36merge_oddeven_config_static_selectorELNS0_4arch9wavefront6targetE1EEEvSM_
; %bb.0:
	.section	.rodata,"a",@progbits
	.p2align	6, 0x0
	.amdhsa_kernel _ZN7rocprim17ROCPRIM_400000_NS6detail17trampoline_kernelINS0_14default_configENS1_38merge_sort_block_merge_config_selectorIlNS0_10empty_typeEEEZZNS1_27merge_sort_block_merge_implIS3_PlPS5_mZN2at6native12_GLOBAL__N_124unique_dim_cuda_templateItEESt5tupleIJNSA_6TensorESF_SF_EERKSF_lbbbEUlllE_EE10hipError_tT0_T1_T2_jT3_P12ihipStream_tbPNSt15iterator_traitsISL_E10value_typeEPNSR_ISM_E10value_typeEPSN_NS1_7vsmem_tEENKUlT_SL_SM_SN_E_clIS8_S8_S9_S9_EESK_S10_SL_SM_SN_EUlS10_E1_NS1_11comp_targetILNS1_3genE10ELNS1_11target_archE1201ELNS1_3gpuE5ELNS1_3repE0EEENS1_36merge_oddeven_config_static_selectorELNS0_4arch9wavefront6targetE1EEEvSM_
		.amdhsa_group_segment_fixed_size 0
		.amdhsa_private_segment_fixed_size 0
		.amdhsa_kernarg_size 64
		.amdhsa_user_sgpr_count 6
		.amdhsa_user_sgpr_private_segment_buffer 1
		.amdhsa_user_sgpr_dispatch_ptr 0
		.amdhsa_user_sgpr_queue_ptr 0
		.amdhsa_user_sgpr_kernarg_segment_ptr 1
		.amdhsa_user_sgpr_dispatch_id 0
		.amdhsa_user_sgpr_flat_scratch_init 0
		.amdhsa_user_sgpr_kernarg_preload_length 0
		.amdhsa_user_sgpr_kernarg_preload_offset 0
		.amdhsa_user_sgpr_private_segment_size 0
		.amdhsa_uses_dynamic_stack 0
		.amdhsa_system_sgpr_private_segment_wavefront_offset 0
		.amdhsa_system_sgpr_workgroup_id_x 1
		.amdhsa_system_sgpr_workgroup_id_y 0
		.amdhsa_system_sgpr_workgroup_id_z 0
		.amdhsa_system_sgpr_workgroup_info 0
		.amdhsa_system_vgpr_workitem_id 0
		.amdhsa_next_free_vgpr 1
		.amdhsa_next_free_sgpr 0
		.amdhsa_accum_offset 4
		.amdhsa_reserve_vcc 0
		.amdhsa_reserve_flat_scratch 0
		.amdhsa_float_round_mode_32 0
		.amdhsa_float_round_mode_16_64 0
		.amdhsa_float_denorm_mode_32 3
		.amdhsa_float_denorm_mode_16_64 3
		.amdhsa_dx10_clamp 1
		.amdhsa_ieee_mode 1
		.amdhsa_fp16_overflow 0
		.amdhsa_tg_split 0
		.amdhsa_exception_fp_ieee_invalid_op 0
		.amdhsa_exception_fp_denorm_src 0
		.amdhsa_exception_fp_ieee_div_zero 0
		.amdhsa_exception_fp_ieee_overflow 0
		.amdhsa_exception_fp_ieee_underflow 0
		.amdhsa_exception_fp_ieee_inexact 0
		.amdhsa_exception_int_div_zero 0
	.end_amdhsa_kernel
	.section	.text._ZN7rocprim17ROCPRIM_400000_NS6detail17trampoline_kernelINS0_14default_configENS1_38merge_sort_block_merge_config_selectorIlNS0_10empty_typeEEEZZNS1_27merge_sort_block_merge_implIS3_PlPS5_mZN2at6native12_GLOBAL__N_124unique_dim_cuda_templateItEESt5tupleIJNSA_6TensorESF_SF_EERKSF_lbbbEUlllE_EE10hipError_tT0_T1_T2_jT3_P12ihipStream_tbPNSt15iterator_traitsISL_E10value_typeEPNSR_ISM_E10value_typeEPSN_NS1_7vsmem_tEENKUlT_SL_SM_SN_E_clIS8_S8_S9_S9_EESK_S10_SL_SM_SN_EUlS10_E1_NS1_11comp_targetILNS1_3genE10ELNS1_11target_archE1201ELNS1_3gpuE5ELNS1_3repE0EEENS1_36merge_oddeven_config_static_selectorELNS0_4arch9wavefront6targetE1EEEvSM_,"axG",@progbits,_ZN7rocprim17ROCPRIM_400000_NS6detail17trampoline_kernelINS0_14default_configENS1_38merge_sort_block_merge_config_selectorIlNS0_10empty_typeEEEZZNS1_27merge_sort_block_merge_implIS3_PlPS5_mZN2at6native12_GLOBAL__N_124unique_dim_cuda_templateItEESt5tupleIJNSA_6TensorESF_SF_EERKSF_lbbbEUlllE_EE10hipError_tT0_T1_T2_jT3_P12ihipStream_tbPNSt15iterator_traitsISL_E10value_typeEPNSR_ISM_E10value_typeEPSN_NS1_7vsmem_tEENKUlT_SL_SM_SN_E_clIS8_S8_S9_S9_EESK_S10_SL_SM_SN_EUlS10_E1_NS1_11comp_targetILNS1_3genE10ELNS1_11target_archE1201ELNS1_3gpuE5ELNS1_3repE0EEENS1_36merge_oddeven_config_static_selectorELNS0_4arch9wavefront6targetE1EEEvSM_,comdat
.Lfunc_end1385:
	.size	_ZN7rocprim17ROCPRIM_400000_NS6detail17trampoline_kernelINS0_14default_configENS1_38merge_sort_block_merge_config_selectorIlNS0_10empty_typeEEEZZNS1_27merge_sort_block_merge_implIS3_PlPS5_mZN2at6native12_GLOBAL__N_124unique_dim_cuda_templateItEESt5tupleIJNSA_6TensorESF_SF_EERKSF_lbbbEUlllE_EE10hipError_tT0_T1_T2_jT3_P12ihipStream_tbPNSt15iterator_traitsISL_E10value_typeEPNSR_ISM_E10value_typeEPSN_NS1_7vsmem_tEENKUlT_SL_SM_SN_E_clIS8_S8_S9_S9_EESK_S10_SL_SM_SN_EUlS10_E1_NS1_11comp_targetILNS1_3genE10ELNS1_11target_archE1201ELNS1_3gpuE5ELNS1_3repE0EEENS1_36merge_oddeven_config_static_selectorELNS0_4arch9wavefront6targetE1EEEvSM_, .Lfunc_end1385-_ZN7rocprim17ROCPRIM_400000_NS6detail17trampoline_kernelINS0_14default_configENS1_38merge_sort_block_merge_config_selectorIlNS0_10empty_typeEEEZZNS1_27merge_sort_block_merge_implIS3_PlPS5_mZN2at6native12_GLOBAL__N_124unique_dim_cuda_templateItEESt5tupleIJNSA_6TensorESF_SF_EERKSF_lbbbEUlllE_EE10hipError_tT0_T1_T2_jT3_P12ihipStream_tbPNSt15iterator_traitsISL_E10value_typeEPNSR_ISM_E10value_typeEPSN_NS1_7vsmem_tEENKUlT_SL_SM_SN_E_clIS8_S8_S9_S9_EESK_S10_SL_SM_SN_EUlS10_E1_NS1_11comp_targetILNS1_3genE10ELNS1_11target_archE1201ELNS1_3gpuE5ELNS1_3repE0EEENS1_36merge_oddeven_config_static_selectorELNS0_4arch9wavefront6targetE1EEEvSM_
                                        ; -- End function
	.section	.AMDGPU.csdata,"",@progbits
; Kernel info:
; codeLenInByte = 0
; NumSgprs: 4
; NumVgprs: 0
; NumAgprs: 0
; TotalNumVgprs: 0
; ScratchSize: 0
; MemoryBound: 0
; FloatMode: 240
; IeeeMode: 1
; LDSByteSize: 0 bytes/workgroup (compile time only)
; SGPRBlocks: 0
; VGPRBlocks: 0
; NumSGPRsForWavesPerEU: 4
; NumVGPRsForWavesPerEU: 1
; AccumOffset: 4
; Occupancy: 8
; WaveLimiterHint : 0
; COMPUTE_PGM_RSRC2:SCRATCH_EN: 0
; COMPUTE_PGM_RSRC2:USER_SGPR: 6
; COMPUTE_PGM_RSRC2:TRAP_HANDLER: 0
; COMPUTE_PGM_RSRC2:TGID_X_EN: 1
; COMPUTE_PGM_RSRC2:TGID_Y_EN: 0
; COMPUTE_PGM_RSRC2:TGID_Z_EN: 0
; COMPUTE_PGM_RSRC2:TIDIG_COMP_CNT: 0
; COMPUTE_PGM_RSRC3_GFX90A:ACCUM_OFFSET: 0
; COMPUTE_PGM_RSRC3_GFX90A:TG_SPLIT: 0
	.section	.text._ZN7rocprim17ROCPRIM_400000_NS6detail17trampoline_kernelINS0_14default_configENS1_38merge_sort_block_merge_config_selectorIlNS0_10empty_typeEEEZZNS1_27merge_sort_block_merge_implIS3_PlPS5_mZN2at6native12_GLOBAL__N_124unique_dim_cuda_templateItEESt5tupleIJNSA_6TensorESF_SF_EERKSF_lbbbEUlllE_EE10hipError_tT0_T1_T2_jT3_P12ihipStream_tbPNSt15iterator_traitsISL_E10value_typeEPNSR_ISM_E10value_typeEPSN_NS1_7vsmem_tEENKUlT_SL_SM_SN_E_clIS8_S8_S9_S9_EESK_S10_SL_SM_SN_EUlS10_E1_NS1_11comp_targetILNS1_3genE5ELNS1_11target_archE942ELNS1_3gpuE9ELNS1_3repE0EEENS1_36merge_oddeven_config_static_selectorELNS0_4arch9wavefront6targetE1EEEvSM_,"axG",@progbits,_ZN7rocprim17ROCPRIM_400000_NS6detail17trampoline_kernelINS0_14default_configENS1_38merge_sort_block_merge_config_selectorIlNS0_10empty_typeEEEZZNS1_27merge_sort_block_merge_implIS3_PlPS5_mZN2at6native12_GLOBAL__N_124unique_dim_cuda_templateItEESt5tupleIJNSA_6TensorESF_SF_EERKSF_lbbbEUlllE_EE10hipError_tT0_T1_T2_jT3_P12ihipStream_tbPNSt15iterator_traitsISL_E10value_typeEPNSR_ISM_E10value_typeEPSN_NS1_7vsmem_tEENKUlT_SL_SM_SN_E_clIS8_S8_S9_S9_EESK_S10_SL_SM_SN_EUlS10_E1_NS1_11comp_targetILNS1_3genE5ELNS1_11target_archE942ELNS1_3gpuE9ELNS1_3repE0EEENS1_36merge_oddeven_config_static_selectorELNS0_4arch9wavefront6targetE1EEEvSM_,comdat
	.globl	_ZN7rocprim17ROCPRIM_400000_NS6detail17trampoline_kernelINS0_14default_configENS1_38merge_sort_block_merge_config_selectorIlNS0_10empty_typeEEEZZNS1_27merge_sort_block_merge_implIS3_PlPS5_mZN2at6native12_GLOBAL__N_124unique_dim_cuda_templateItEESt5tupleIJNSA_6TensorESF_SF_EERKSF_lbbbEUlllE_EE10hipError_tT0_T1_T2_jT3_P12ihipStream_tbPNSt15iterator_traitsISL_E10value_typeEPNSR_ISM_E10value_typeEPSN_NS1_7vsmem_tEENKUlT_SL_SM_SN_E_clIS8_S8_S9_S9_EESK_S10_SL_SM_SN_EUlS10_E1_NS1_11comp_targetILNS1_3genE5ELNS1_11target_archE942ELNS1_3gpuE9ELNS1_3repE0EEENS1_36merge_oddeven_config_static_selectorELNS0_4arch9wavefront6targetE1EEEvSM_ ; -- Begin function _ZN7rocprim17ROCPRIM_400000_NS6detail17trampoline_kernelINS0_14default_configENS1_38merge_sort_block_merge_config_selectorIlNS0_10empty_typeEEEZZNS1_27merge_sort_block_merge_implIS3_PlPS5_mZN2at6native12_GLOBAL__N_124unique_dim_cuda_templateItEESt5tupleIJNSA_6TensorESF_SF_EERKSF_lbbbEUlllE_EE10hipError_tT0_T1_T2_jT3_P12ihipStream_tbPNSt15iterator_traitsISL_E10value_typeEPNSR_ISM_E10value_typeEPSN_NS1_7vsmem_tEENKUlT_SL_SM_SN_E_clIS8_S8_S9_S9_EESK_S10_SL_SM_SN_EUlS10_E1_NS1_11comp_targetILNS1_3genE5ELNS1_11target_archE942ELNS1_3gpuE9ELNS1_3repE0EEENS1_36merge_oddeven_config_static_selectorELNS0_4arch9wavefront6targetE1EEEvSM_
	.p2align	8
	.type	_ZN7rocprim17ROCPRIM_400000_NS6detail17trampoline_kernelINS0_14default_configENS1_38merge_sort_block_merge_config_selectorIlNS0_10empty_typeEEEZZNS1_27merge_sort_block_merge_implIS3_PlPS5_mZN2at6native12_GLOBAL__N_124unique_dim_cuda_templateItEESt5tupleIJNSA_6TensorESF_SF_EERKSF_lbbbEUlllE_EE10hipError_tT0_T1_T2_jT3_P12ihipStream_tbPNSt15iterator_traitsISL_E10value_typeEPNSR_ISM_E10value_typeEPSN_NS1_7vsmem_tEENKUlT_SL_SM_SN_E_clIS8_S8_S9_S9_EESK_S10_SL_SM_SN_EUlS10_E1_NS1_11comp_targetILNS1_3genE5ELNS1_11target_archE942ELNS1_3gpuE9ELNS1_3repE0EEENS1_36merge_oddeven_config_static_selectorELNS0_4arch9wavefront6targetE1EEEvSM_,@function
_ZN7rocprim17ROCPRIM_400000_NS6detail17trampoline_kernelINS0_14default_configENS1_38merge_sort_block_merge_config_selectorIlNS0_10empty_typeEEEZZNS1_27merge_sort_block_merge_implIS3_PlPS5_mZN2at6native12_GLOBAL__N_124unique_dim_cuda_templateItEESt5tupleIJNSA_6TensorESF_SF_EERKSF_lbbbEUlllE_EE10hipError_tT0_T1_T2_jT3_P12ihipStream_tbPNSt15iterator_traitsISL_E10value_typeEPNSR_ISM_E10value_typeEPSN_NS1_7vsmem_tEENKUlT_SL_SM_SN_E_clIS8_S8_S9_S9_EESK_S10_SL_SM_SN_EUlS10_E1_NS1_11comp_targetILNS1_3genE5ELNS1_11target_archE942ELNS1_3gpuE9ELNS1_3repE0EEENS1_36merge_oddeven_config_static_selectorELNS0_4arch9wavefront6targetE1EEEvSM_: ; @_ZN7rocprim17ROCPRIM_400000_NS6detail17trampoline_kernelINS0_14default_configENS1_38merge_sort_block_merge_config_selectorIlNS0_10empty_typeEEEZZNS1_27merge_sort_block_merge_implIS3_PlPS5_mZN2at6native12_GLOBAL__N_124unique_dim_cuda_templateItEESt5tupleIJNSA_6TensorESF_SF_EERKSF_lbbbEUlllE_EE10hipError_tT0_T1_T2_jT3_P12ihipStream_tbPNSt15iterator_traitsISL_E10value_typeEPNSR_ISM_E10value_typeEPSN_NS1_7vsmem_tEENKUlT_SL_SM_SN_E_clIS8_S8_S9_S9_EESK_S10_SL_SM_SN_EUlS10_E1_NS1_11comp_targetILNS1_3genE5ELNS1_11target_archE942ELNS1_3gpuE9ELNS1_3repE0EEENS1_36merge_oddeven_config_static_selectorELNS0_4arch9wavefront6targetE1EEEvSM_
; %bb.0:
	.section	.rodata,"a",@progbits
	.p2align	6, 0x0
	.amdhsa_kernel _ZN7rocprim17ROCPRIM_400000_NS6detail17trampoline_kernelINS0_14default_configENS1_38merge_sort_block_merge_config_selectorIlNS0_10empty_typeEEEZZNS1_27merge_sort_block_merge_implIS3_PlPS5_mZN2at6native12_GLOBAL__N_124unique_dim_cuda_templateItEESt5tupleIJNSA_6TensorESF_SF_EERKSF_lbbbEUlllE_EE10hipError_tT0_T1_T2_jT3_P12ihipStream_tbPNSt15iterator_traitsISL_E10value_typeEPNSR_ISM_E10value_typeEPSN_NS1_7vsmem_tEENKUlT_SL_SM_SN_E_clIS8_S8_S9_S9_EESK_S10_SL_SM_SN_EUlS10_E1_NS1_11comp_targetILNS1_3genE5ELNS1_11target_archE942ELNS1_3gpuE9ELNS1_3repE0EEENS1_36merge_oddeven_config_static_selectorELNS0_4arch9wavefront6targetE1EEEvSM_
		.amdhsa_group_segment_fixed_size 0
		.amdhsa_private_segment_fixed_size 0
		.amdhsa_kernarg_size 64
		.amdhsa_user_sgpr_count 6
		.amdhsa_user_sgpr_private_segment_buffer 1
		.amdhsa_user_sgpr_dispatch_ptr 0
		.amdhsa_user_sgpr_queue_ptr 0
		.amdhsa_user_sgpr_kernarg_segment_ptr 1
		.amdhsa_user_sgpr_dispatch_id 0
		.amdhsa_user_sgpr_flat_scratch_init 0
		.amdhsa_user_sgpr_kernarg_preload_length 0
		.amdhsa_user_sgpr_kernarg_preload_offset 0
		.amdhsa_user_sgpr_private_segment_size 0
		.amdhsa_uses_dynamic_stack 0
		.amdhsa_system_sgpr_private_segment_wavefront_offset 0
		.amdhsa_system_sgpr_workgroup_id_x 1
		.amdhsa_system_sgpr_workgroup_id_y 0
		.amdhsa_system_sgpr_workgroup_id_z 0
		.amdhsa_system_sgpr_workgroup_info 0
		.amdhsa_system_vgpr_workitem_id 0
		.amdhsa_next_free_vgpr 1
		.amdhsa_next_free_sgpr 0
		.amdhsa_accum_offset 4
		.amdhsa_reserve_vcc 0
		.amdhsa_reserve_flat_scratch 0
		.amdhsa_float_round_mode_32 0
		.amdhsa_float_round_mode_16_64 0
		.amdhsa_float_denorm_mode_32 3
		.amdhsa_float_denorm_mode_16_64 3
		.amdhsa_dx10_clamp 1
		.amdhsa_ieee_mode 1
		.amdhsa_fp16_overflow 0
		.amdhsa_tg_split 0
		.amdhsa_exception_fp_ieee_invalid_op 0
		.amdhsa_exception_fp_denorm_src 0
		.amdhsa_exception_fp_ieee_div_zero 0
		.amdhsa_exception_fp_ieee_overflow 0
		.amdhsa_exception_fp_ieee_underflow 0
		.amdhsa_exception_fp_ieee_inexact 0
		.amdhsa_exception_int_div_zero 0
	.end_amdhsa_kernel
	.section	.text._ZN7rocprim17ROCPRIM_400000_NS6detail17trampoline_kernelINS0_14default_configENS1_38merge_sort_block_merge_config_selectorIlNS0_10empty_typeEEEZZNS1_27merge_sort_block_merge_implIS3_PlPS5_mZN2at6native12_GLOBAL__N_124unique_dim_cuda_templateItEESt5tupleIJNSA_6TensorESF_SF_EERKSF_lbbbEUlllE_EE10hipError_tT0_T1_T2_jT3_P12ihipStream_tbPNSt15iterator_traitsISL_E10value_typeEPNSR_ISM_E10value_typeEPSN_NS1_7vsmem_tEENKUlT_SL_SM_SN_E_clIS8_S8_S9_S9_EESK_S10_SL_SM_SN_EUlS10_E1_NS1_11comp_targetILNS1_3genE5ELNS1_11target_archE942ELNS1_3gpuE9ELNS1_3repE0EEENS1_36merge_oddeven_config_static_selectorELNS0_4arch9wavefront6targetE1EEEvSM_,"axG",@progbits,_ZN7rocprim17ROCPRIM_400000_NS6detail17trampoline_kernelINS0_14default_configENS1_38merge_sort_block_merge_config_selectorIlNS0_10empty_typeEEEZZNS1_27merge_sort_block_merge_implIS3_PlPS5_mZN2at6native12_GLOBAL__N_124unique_dim_cuda_templateItEESt5tupleIJNSA_6TensorESF_SF_EERKSF_lbbbEUlllE_EE10hipError_tT0_T1_T2_jT3_P12ihipStream_tbPNSt15iterator_traitsISL_E10value_typeEPNSR_ISM_E10value_typeEPSN_NS1_7vsmem_tEENKUlT_SL_SM_SN_E_clIS8_S8_S9_S9_EESK_S10_SL_SM_SN_EUlS10_E1_NS1_11comp_targetILNS1_3genE5ELNS1_11target_archE942ELNS1_3gpuE9ELNS1_3repE0EEENS1_36merge_oddeven_config_static_selectorELNS0_4arch9wavefront6targetE1EEEvSM_,comdat
.Lfunc_end1386:
	.size	_ZN7rocprim17ROCPRIM_400000_NS6detail17trampoline_kernelINS0_14default_configENS1_38merge_sort_block_merge_config_selectorIlNS0_10empty_typeEEEZZNS1_27merge_sort_block_merge_implIS3_PlPS5_mZN2at6native12_GLOBAL__N_124unique_dim_cuda_templateItEESt5tupleIJNSA_6TensorESF_SF_EERKSF_lbbbEUlllE_EE10hipError_tT0_T1_T2_jT3_P12ihipStream_tbPNSt15iterator_traitsISL_E10value_typeEPNSR_ISM_E10value_typeEPSN_NS1_7vsmem_tEENKUlT_SL_SM_SN_E_clIS8_S8_S9_S9_EESK_S10_SL_SM_SN_EUlS10_E1_NS1_11comp_targetILNS1_3genE5ELNS1_11target_archE942ELNS1_3gpuE9ELNS1_3repE0EEENS1_36merge_oddeven_config_static_selectorELNS0_4arch9wavefront6targetE1EEEvSM_, .Lfunc_end1386-_ZN7rocprim17ROCPRIM_400000_NS6detail17trampoline_kernelINS0_14default_configENS1_38merge_sort_block_merge_config_selectorIlNS0_10empty_typeEEEZZNS1_27merge_sort_block_merge_implIS3_PlPS5_mZN2at6native12_GLOBAL__N_124unique_dim_cuda_templateItEESt5tupleIJNSA_6TensorESF_SF_EERKSF_lbbbEUlllE_EE10hipError_tT0_T1_T2_jT3_P12ihipStream_tbPNSt15iterator_traitsISL_E10value_typeEPNSR_ISM_E10value_typeEPSN_NS1_7vsmem_tEENKUlT_SL_SM_SN_E_clIS8_S8_S9_S9_EESK_S10_SL_SM_SN_EUlS10_E1_NS1_11comp_targetILNS1_3genE5ELNS1_11target_archE942ELNS1_3gpuE9ELNS1_3repE0EEENS1_36merge_oddeven_config_static_selectorELNS0_4arch9wavefront6targetE1EEEvSM_
                                        ; -- End function
	.section	.AMDGPU.csdata,"",@progbits
; Kernel info:
; codeLenInByte = 0
; NumSgprs: 4
; NumVgprs: 0
; NumAgprs: 0
; TotalNumVgprs: 0
; ScratchSize: 0
; MemoryBound: 0
; FloatMode: 240
; IeeeMode: 1
; LDSByteSize: 0 bytes/workgroup (compile time only)
; SGPRBlocks: 0
; VGPRBlocks: 0
; NumSGPRsForWavesPerEU: 4
; NumVGPRsForWavesPerEU: 1
; AccumOffset: 4
; Occupancy: 8
; WaveLimiterHint : 0
; COMPUTE_PGM_RSRC2:SCRATCH_EN: 0
; COMPUTE_PGM_RSRC2:USER_SGPR: 6
; COMPUTE_PGM_RSRC2:TRAP_HANDLER: 0
; COMPUTE_PGM_RSRC2:TGID_X_EN: 1
; COMPUTE_PGM_RSRC2:TGID_Y_EN: 0
; COMPUTE_PGM_RSRC2:TGID_Z_EN: 0
; COMPUTE_PGM_RSRC2:TIDIG_COMP_CNT: 0
; COMPUTE_PGM_RSRC3_GFX90A:ACCUM_OFFSET: 0
; COMPUTE_PGM_RSRC3_GFX90A:TG_SPLIT: 0
	.section	.text._ZN7rocprim17ROCPRIM_400000_NS6detail17trampoline_kernelINS0_14default_configENS1_38merge_sort_block_merge_config_selectorIlNS0_10empty_typeEEEZZNS1_27merge_sort_block_merge_implIS3_PlPS5_mZN2at6native12_GLOBAL__N_124unique_dim_cuda_templateItEESt5tupleIJNSA_6TensorESF_SF_EERKSF_lbbbEUlllE_EE10hipError_tT0_T1_T2_jT3_P12ihipStream_tbPNSt15iterator_traitsISL_E10value_typeEPNSR_ISM_E10value_typeEPSN_NS1_7vsmem_tEENKUlT_SL_SM_SN_E_clIS8_S8_S9_S9_EESK_S10_SL_SM_SN_EUlS10_E1_NS1_11comp_targetILNS1_3genE4ELNS1_11target_archE910ELNS1_3gpuE8ELNS1_3repE0EEENS1_36merge_oddeven_config_static_selectorELNS0_4arch9wavefront6targetE1EEEvSM_,"axG",@progbits,_ZN7rocprim17ROCPRIM_400000_NS6detail17trampoline_kernelINS0_14default_configENS1_38merge_sort_block_merge_config_selectorIlNS0_10empty_typeEEEZZNS1_27merge_sort_block_merge_implIS3_PlPS5_mZN2at6native12_GLOBAL__N_124unique_dim_cuda_templateItEESt5tupleIJNSA_6TensorESF_SF_EERKSF_lbbbEUlllE_EE10hipError_tT0_T1_T2_jT3_P12ihipStream_tbPNSt15iterator_traitsISL_E10value_typeEPNSR_ISM_E10value_typeEPSN_NS1_7vsmem_tEENKUlT_SL_SM_SN_E_clIS8_S8_S9_S9_EESK_S10_SL_SM_SN_EUlS10_E1_NS1_11comp_targetILNS1_3genE4ELNS1_11target_archE910ELNS1_3gpuE8ELNS1_3repE0EEENS1_36merge_oddeven_config_static_selectorELNS0_4arch9wavefront6targetE1EEEvSM_,comdat
	.globl	_ZN7rocprim17ROCPRIM_400000_NS6detail17trampoline_kernelINS0_14default_configENS1_38merge_sort_block_merge_config_selectorIlNS0_10empty_typeEEEZZNS1_27merge_sort_block_merge_implIS3_PlPS5_mZN2at6native12_GLOBAL__N_124unique_dim_cuda_templateItEESt5tupleIJNSA_6TensorESF_SF_EERKSF_lbbbEUlllE_EE10hipError_tT0_T1_T2_jT3_P12ihipStream_tbPNSt15iterator_traitsISL_E10value_typeEPNSR_ISM_E10value_typeEPSN_NS1_7vsmem_tEENKUlT_SL_SM_SN_E_clIS8_S8_S9_S9_EESK_S10_SL_SM_SN_EUlS10_E1_NS1_11comp_targetILNS1_3genE4ELNS1_11target_archE910ELNS1_3gpuE8ELNS1_3repE0EEENS1_36merge_oddeven_config_static_selectorELNS0_4arch9wavefront6targetE1EEEvSM_ ; -- Begin function _ZN7rocprim17ROCPRIM_400000_NS6detail17trampoline_kernelINS0_14default_configENS1_38merge_sort_block_merge_config_selectorIlNS0_10empty_typeEEEZZNS1_27merge_sort_block_merge_implIS3_PlPS5_mZN2at6native12_GLOBAL__N_124unique_dim_cuda_templateItEESt5tupleIJNSA_6TensorESF_SF_EERKSF_lbbbEUlllE_EE10hipError_tT0_T1_T2_jT3_P12ihipStream_tbPNSt15iterator_traitsISL_E10value_typeEPNSR_ISM_E10value_typeEPSN_NS1_7vsmem_tEENKUlT_SL_SM_SN_E_clIS8_S8_S9_S9_EESK_S10_SL_SM_SN_EUlS10_E1_NS1_11comp_targetILNS1_3genE4ELNS1_11target_archE910ELNS1_3gpuE8ELNS1_3repE0EEENS1_36merge_oddeven_config_static_selectorELNS0_4arch9wavefront6targetE1EEEvSM_
	.p2align	8
	.type	_ZN7rocprim17ROCPRIM_400000_NS6detail17trampoline_kernelINS0_14default_configENS1_38merge_sort_block_merge_config_selectorIlNS0_10empty_typeEEEZZNS1_27merge_sort_block_merge_implIS3_PlPS5_mZN2at6native12_GLOBAL__N_124unique_dim_cuda_templateItEESt5tupleIJNSA_6TensorESF_SF_EERKSF_lbbbEUlllE_EE10hipError_tT0_T1_T2_jT3_P12ihipStream_tbPNSt15iterator_traitsISL_E10value_typeEPNSR_ISM_E10value_typeEPSN_NS1_7vsmem_tEENKUlT_SL_SM_SN_E_clIS8_S8_S9_S9_EESK_S10_SL_SM_SN_EUlS10_E1_NS1_11comp_targetILNS1_3genE4ELNS1_11target_archE910ELNS1_3gpuE8ELNS1_3repE0EEENS1_36merge_oddeven_config_static_selectorELNS0_4arch9wavefront6targetE1EEEvSM_,@function
_ZN7rocprim17ROCPRIM_400000_NS6detail17trampoline_kernelINS0_14default_configENS1_38merge_sort_block_merge_config_selectorIlNS0_10empty_typeEEEZZNS1_27merge_sort_block_merge_implIS3_PlPS5_mZN2at6native12_GLOBAL__N_124unique_dim_cuda_templateItEESt5tupleIJNSA_6TensorESF_SF_EERKSF_lbbbEUlllE_EE10hipError_tT0_T1_T2_jT3_P12ihipStream_tbPNSt15iterator_traitsISL_E10value_typeEPNSR_ISM_E10value_typeEPSN_NS1_7vsmem_tEENKUlT_SL_SM_SN_E_clIS8_S8_S9_S9_EESK_S10_SL_SM_SN_EUlS10_E1_NS1_11comp_targetILNS1_3genE4ELNS1_11target_archE910ELNS1_3gpuE8ELNS1_3repE0EEENS1_36merge_oddeven_config_static_selectorELNS0_4arch9wavefront6targetE1EEEvSM_: ; @_ZN7rocprim17ROCPRIM_400000_NS6detail17trampoline_kernelINS0_14default_configENS1_38merge_sort_block_merge_config_selectorIlNS0_10empty_typeEEEZZNS1_27merge_sort_block_merge_implIS3_PlPS5_mZN2at6native12_GLOBAL__N_124unique_dim_cuda_templateItEESt5tupleIJNSA_6TensorESF_SF_EERKSF_lbbbEUlllE_EE10hipError_tT0_T1_T2_jT3_P12ihipStream_tbPNSt15iterator_traitsISL_E10value_typeEPNSR_ISM_E10value_typeEPSN_NS1_7vsmem_tEENKUlT_SL_SM_SN_E_clIS8_S8_S9_S9_EESK_S10_SL_SM_SN_EUlS10_E1_NS1_11comp_targetILNS1_3genE4ELNS1_11target_archE910ELNS1_3gpuE8ELNS1_3repE0EEENS1_36merge_oddeven_config_static_selectorELNS0_4arch9wavefront6targetE1EEEvSM_
; %bb.0:
	s_load_dword s22, s[4:5], 0x20
	s_waitcnt lgkmcnt(0)
	s_lshr_b32 s0, s22, 8
	s_cmp_lg_u32 s6, s0
	s_cselect_b64 s[12:13], -1, 0
	s_cmp_eq_u32 s6, s0
	s_cselect_b64 s[2:3], -1, 0
	s_lshl_b32 s20, s6, 8
	s_sub_i32 s0, s22, s20
	v_cmp_gt_u32_e64 s[0:1], s0, v0
	s_or_b64 s[8:9], s[12:13], s[0:1]
	s_and_saveexec_b64 s[10:11], s[8:9]
	s_cbranch_execz .LBB1387_54
; %bb.1:
	s_load_dwordx4 s[8:11], s[4:5], 0x0
	s_load_dword s23, s[4:5], 0x28
	s_mov_b32 s21, 0
	s_lshl_b64 s[14:15], s[20:21], 3
	v_lshlrev_b32_e32 v1, 3, v0
	s_waitcnt lgkmcnt(0)
	s_add_u32 s14, s8, s14
	s_addc_u32 s15, s9, s15
	global_load_dwordx2 v[2:3], v1, s[14:15]
	s_lshr_b32 s7, s23, 8
	s_sub_i32 s14, 0, s7
	s_and_b32 s6, s6, s14
	s_and_b32 s7, s6, s7
	s_cmp_lg_u32 s7, 0
	s_cselect_b64 s[16:17], -1, 0
	s_lshl_b32 s21, s6, 8
	s_sub_i32 s6, 0, s23
	s_cmp_eq_u32 s7, 0
	s_cselect_b32 s33, s23, s6
	s_add_i32 s33, s33, s21
	s_cmp_lt_u32 s33, s22
	s_cbranch_scc1 .LBB1387_3
; %bb.2:
	v_add_u32_e32 v4, s20, v0
	v_cmp_gt_u32_e32 vcc, s22, v4
	s_or_b64 s[12:13], vcc, s[12:13]
	s_and_b64 s[18:19], s[12:13], exec
	s_cbranch_execz .LBB1387_4
	s_branch .LBB1387_52
.LBB1387_3:
	s_mov_b64 s[18:19], 0
                                        ; implicit-def: $vgpr4
.LBB1387_4:
	s_load_dwordx4 s[12:15], s[4:5], 0x30
	s_min_u32 s44, s33, s22
	s_add_i32 s4, s44, s23
	s_min_u32 s45, s4, s22
	s_min_u32 s4, s21, s44
	v_add_u32_e32 v0, s20, v0
	s_add_i32 s21, s21, s44
	v_subrev_u32_e32 v0, s21, v0
	v_add_u32_e32 v12, s4, v0
	s_and_b64 vcc, exec, s[2:3]
	s_cbranch_vccz .LBB1387_26
; %bb.5:
                                        ; implicit-def: $vgpr4
	s_and_saveexec_b64 s[20:21], s[0:1]
	s_cbranch_execz .LBB1387_29
; %bb.6:
	s_cmp_ge_u32 s33, s45
	v_mov_b32_e32 v13, s44
	s_cbranch_scc1 .LBB1387_28
; %bb.7:
	s_waitcnt vmcnt(0) lgkmcnt(0)
	v_mul_lo_u32 v4, v3, s12
	v_mul_lo_u32 v5, v2, s13
	v_mad_u64_u32 v[0:1], s[0:1], v2, s12, 0
	v_add3_u32 v1, v1, v5, v4
	v_lshlrev_b64 v[0:1], 1, v[0:1]
	v_mov_b32_e32 v4, s15
	v_add_co_u32_e32 v0, vcc, s14, v0
	v_addc_co_u32_e32 v1, vcc, v4, v1, vcc
	v_cndmask_b32_e64 v4, 0, 1, s[16:17]
	v_cmp_gt_i64_e64 s[2:3], s[12:13], 0
	v_cmp_ne_u32_e64 s[0:1], 1, v4
	v_cndmask_b32_e64 v4, 0, 1, s[2:3]
	s_mov_b64 s[22:23], 0
	s_lshl_b64 s[24:25], s[12:13], 1
	v_mov_b32_e32 v14, s45
	v_mov_b32_e32 v13, s44
	;; [unrolled: 1-line block ×4, first 2 shown]
	v_cmp_ne_u32_e64 s[2:3], 1, v4
	s_branch .LBB1387_10
.LBB1387_8:                             ;   in Loop: Header=BB1387_10 Depth=1
	s_or_b64 exec, exec, s[28:29]
.LBB1387_9:                             ;   in Loop: Header=BB1387_10 Depth=1
	s_waitcnt vmcnt(0)
	v_add_u32_e32 v6, 1, v4
	v_cndmask_b32_e64 v14, v4, v14, s[26:27]
	v_cndmask_b32_e64 v13, v13, v6, s[26:27]
	v_cmp_ge_u32_e32 vcc, v13, v14
	s_or_b64 s[22:23], vcc, s[22:23]
	s_andn2_b64 exec, exec, s[22:23]
	s_cbranch_execz .LBB1387_27
.LBB1387_10:                            ; =>This Loop Header: Depth=1
                                        ;     Child Loop BB1387_14 Depth 2
                                        ;     Child Loop BB1387_23 Depth 2
	v_add_u32_e32 v4, v13, v14
	v_lshrrev_b32_e32 v4, 1, v4
	v_lshlrev_b64 v[6:7], 3, v[4:5]
	v_add_co_u32_e32 v6, vcc, s8, v6
	v_addc_co_u32_e32 v7, vcc, v15, v7, vcc
	global_load_dwordx2 v[6:7], v[6:7], off
	s_and_b64 vcc, exec, s[0:1]
	s_mov_b64 s[4:5], -1
                                        ; implicit-def: $sgpr26_sgpr27
	s_cbranch_vccnz .LBB1387_19
; %bb.11:                               ;   in Loop: Header=BB1387_10 Depth=1
	s_and_b64 vcc, exec, s[2:3]
	s_cbranch_vccnz .LBB1387_17
; %bb.12:                               ;   in Loop: Header=BB1387_10 Depth=1
	v_pk_mov_b32 v[8:9], s[14:15], s[14:15] op_sel:[0,1]
	s_waitcnt vmcnt(0)
	v_mad_u64_u32 v[8:9], s[4:5], s24, v6, v[8:9]
	v_mul_lo_u32 v10, s24, v7
	v_mul_lo_u32 v11, s25, v6
	v_add3_u32 v9, v11, v9, v10
	s_mov_b64 s[28:29], 0
	s_mov_b64 s[36:37], s[12:13]
	v_pk_mov_b32 v[10:11], v[0:1], v[0:1] op_sel:[0,1]
                                        ; implicit-def: $sgpr26_sgpr27
                                        ; implicit-def: $sgpr30_sgpr31
                                        ; implicit-def: $sgpr34_sgpr35
                                        ; implicit-def: $sgpr4_sgpr5
                                        ; implicit-def: $sgpr38_sgpr39
	s_branch .LBB1387_14
.LBB1387_13:                            ;   in Loop: Header=BB1387_14 Depth=2
	s_or_b64 exec, exec, s[40:41]
	s_and_b64 s[6:7], exec, s[30:31]
	s_or_b64 s[28:29], s[6:7], s[28:29]
	s_andn2_b64 s[6:7], s[38:39], exec
	s_and_b64 s[38:39], s[34:35], exec
	s_or_b64 s[38:39], s[6:7], s[38:39]
	s_andn2_b64 s[6:7], s[26:27], exec
	s_and_b64 s[26:27], s[4:5], exec
	s_or_b64 s[26:27], s[6:7], s[26:27]
	s_andn2_b64 exec, exec, s[28:29]
	s_cbranch_execz .LBB1387_16
.LBB1387_14:                            ;   Parent Loop BB1387_10 Depth=1
                                        ; =>  This Inner Loop Header: Depth=2
	global_load_ushort v16, v[10:11], off
	global_load_ushort v17, v[8:9], off
	s_andn2_b64 s[40:41], s[4:5], exec
	s_andn2_b64 s[34:35], s[34:35], exec
	s_or_b64 s[30:31], s[30:31], exec
	s_waitcnt vmcnt(0)
	v_cmp_le_u16_e64 s[4:5], v16, v17
	v_cmp_lt_u16_e32 vcc, v16, v17
	s_and_b64 s[4:5], s[4:5], s[38:39]
	s_or_b64 s[42:43], vcc, s[4:5]
	s_and_b64 s[4:5], s[42:43], exec
	v_cmp_eq_u16_e64 s[6:7], v16, v17
	s_or_b64 s[4:5], s[40:41], s[4:5]
	s_and_saveexec_b64 s[40:41], s[6:7]
	s_cbranch_execz .LBB1387_13
; %bb.15:                               ;   in Loop: Header=BB1387_14 Depth=2
	s_add_u32 s36, s36, -1
	s_addc_u32 s37, s37, -1
	v_add_co_u32_e32 v10, vcc, 2, v10
	s_cmp_eq_u64 s[36:37], 0
	v_addc_co_u32_e32 v11, vcc, 0, v11, vcc
	s_cselect_b64 s[6:7], -1, 0
	v_add_co_u32_e32 v8, vcc, 2, v8
	s_andn2_b64 s[34:35], s[34:35], exec
	s_and_b64 s[38:39], s[42:43], exec
	s_andn2_b64 s[30:31], s[30:31], exec
	s_and_b64 s[6:7], s[6:7], exec
	v_addc_co_u32_e32 v9, vcc, 0, v9, vcc
	s_andn2_b64 s[4:5], s[4:5], exec
	s_or_b64 s[34:35], s[34:35], s[38:39]
	s_or_b64 s[30:31], s[30:31], s[6:7]
                                        ; implicit-def: $sgpr38_sgpr39
	s_branch .LBB1387_13
.LBB1387_16:                            ;   in Loop: Header=BB1387_10 Depth=1
	s_or_b64 exec, exec, s[28:29]
	s_branch .LBB1387_18
.LBB1387_17:                            ;   in Loop: Header=BB1387_10 Depth=1
	s_mov_b64 s[26:27], 0
.LBB1387_18:                            ;   in Loop: Header=BB1387_10 Depth=1
	s_xor_b64 s[26:27], s[26:27], -1
	s_mov_b64 s[4:5], 0
.LBB1387_19:                            ;   in Loop: Header=BB1387_10 Depth=1
	s_and_b64 vcc, exec, s[4:5]
	s_cbranch_vccz .LBB1387_9
; %bb.20:                               ;   in Loop: Header=BB1387_10 Depth=1
	s_and_b64 vcc, exec, s[2:3]
	s_cbranch_vccnz .LBB1387_25
; %bb.21:                               ;   in Loop: Header=BB1387_10 Depth=1
	v_pk_mov_b32 v[8:9], s[14:15], s[14:15] op_sel:[0,1]
	s_waitcnt vmcnt(0)
	v_mad_u64_u32 v[8:9], s[4:5], s24, v6, v[8:9]
	v_mul_lo_u32 v7, s24, v7
	v_mul_lo_u32 v6, s25, v6
	v_add3_u32 v9, v6, v9, v7
	s_mov_b64 s[28:29], 0
	s_mov_b64 s[36:37], s[12:13]
	v_pk_mov_b32 v[6:7], v[0:1], v[0:1] op_sel:[0,1]
                                        ; implicit-def: $sgpr26_sgpr27
                                        ; implicit-def: $sgpr30_sgpr31
                                        ; implicit-def: $sgpr34_sgpr35
                                        ; implicit-def: $sgpr4_sgpr5
                                        ; implicit-def: $sgpr38_sgpr39
	s_branch .LBB1387_23
.LBB1387_22:                            ;   in Loop: Header=BB1387_23 Depth=2
	s_or_b64 exec, exec, s[40:41]
	s_and_b64 s[6:7], exec, s[30:31]
	s_or_b64 s[28:29], s[6:7], s[28:29]
	s_andn2_b64 s[6:7], s[38:39], exec
	s_and_b64 s[38:39], s[34:35], exec
	s_or_b64 s[38:39], s[6:7], s[38:39]
	s_andn2_b64 s[6:7], s[26:27], exec
	s_and_b64 s[26:27], s[4:5], exec
	s_or_b64 s[26:27], s[6:7], s[26:27]
	s_andn2_b64 exec, exec, s[28:29]
	s_cbranch_execz .LBB1387_8
.LBB1387_23:                            ;   Parent Loop BB1387_10 Depth=1
                                        ; =>  This Inner Loop Header: Depth=2
	global_load_ushort v10, v[8:9], off
	global_load_ushort v11, v[6:7], off
	s_andn2_b64 s[40:41], s[4:5], exec
	s_andn2_b64 s[34:35], s[34:35], exec
	s_or_b64 s[30:31], s[30:31], exec
	s_waitcnt vmcnt(0)
	v_cmp_le_u16_e64 s[4:5], v10, v11
	v_cmp_lt_u16_e32 vcc, v10, v11
	s_and_b64 s[4:5], s[4:5], s[38:39]
	s_or_b64 s[42:43], vcc, s[4:5]
	s_and_b64 s[4:5], s[42:43], exec
	v_cmp_eq_u16_e64 s[6:7], v10, v11
	s_or_b64 s[4:5], s[40:41], s[4:5]
	s_and_saveexec_b64 s[40:41], s[6:7]
	s_cbranch_execz .LBB1387_22
; %bb.24:                               ;   in Loop: Header=BB1387_23 Depth=2
	s_add_u32 s36, s36, -1
	s_addc_u32 s37, s37, -1
	v_add_co_u32_e32 v8, vcc, 2, v8
	s_cmp_eq_u64 s[36:37], 0
	v_addc_co_u32_e32 v9, vcc, 0, v9, vcc
	s_cselect_b64 s[6:7], -1, 0
	v_add_co_u32_e32 v6, vcc, 2, v6
	s_andn2_b64 s[34:35], s[34:35], exec
	s_and_b64 s[38:39], s[42:43], exec
	s_andn2_b64 s[30:31], s[30:31], exec
	s_and_b64 s[6:7], s[6:7], exec
	v_addc_co_u32_e32 v7, vcc, 0, v7, vcc
	s_andn2_b64 s[4:5], s[4:5], exec
	s_or_b64 s[34:35], s[34:35], s[38:39]
	s_or_b64 s[30:31], s[30:31], s[6:7]
                                        ; implicit-def: $sgpr38_sgpr39
	s_branch .LBB1387_22
.LBB1387_25:                            ;   in Loop: Header=BB1387_10 Depth=1
	s_mov_b64 s[26:27], 0
	s_branch .LBB1387_9
.LBB1387_26:
                                        ; implicit-def: $vgpr4
	s_cbranch_execnz .LBB1387_30
	s_branch .LBB1387_52
.LBB1387_27:
	s_or_b64 exec, exec, s[22:23]
.LBB1387_28:
	v_add_u32_e32 v4, v13, v12
	s_or_b64 s[18:19], s[18:19], exec
.LBB1387_29:
	s_or_b64 exec, exec, s[20:21]
	s_branch .LBB1387_52
.LBB1387_30:
	s_cmp_ge_u32 s33, s45
	v_mov_b32_e32 v13, s44
	s_cbranch_scc1 .LBB1387_51
; %bb.31:
	s_waitcnt vmcnt(0) lgkmcnt(0)
	v_mul_lo_u32 v4, v3, s12
	v_mul_lo_u32 v5, v2, s13
	v_mad_u64_u32 v[0:1], s[0:1], v2, s12, 0
	v_add3_u32 v1, v1, v5, v4
	v_lshlrev_b64 v[0:1], 1, v[0:1]
	v_mov_b32_e32 v4, s15
	v_add_co_u32_e32 v0, vcc, s14, v0
	v_addc_co_u32_e32 v1, vcc, v4, v1, vcc
	v_cndmask_b32_e64 v4, 0, 1, s[16:17]
	v_cmp_gt_i64_e64 s[2:3], s[12:13], 0
	v_cmp_ne_u32_e64 s[0:1], 1, v4
	v_cndmask_b32_e64 v4, 0, 1, s[2:3]
	s_mov_b64 s[18:19], 0
	s_lshl_b64 s[20:21], s[12:13], 1
	v_mov_b32_e32 v14, s45
	v_mov_b32_e32 v13, s44
	;; [unrolled: 1-line block ×4, first 2 shown]
	v_cmp_ne_u32_e64 s[2:3], 1, v4
	s_branch .LBB1387_34
.LBB1387_32:                            ;   in Loop: Header=BB1387_34 Depth=1
	s_or_b64 exec, exec, s[22:23]
.LBB1387_33:                            ;   in Loop: Header=BB1387_34 Depth=1
	s_waitcnt vmcnt(0)
	v_add_u32_e32 v6, 1, v4
	v_cndmask_b32_e64 v14, v4, v14, s[16:17]
	v_cndmask_b32_e64 v13, v13, v6, s[16:17]
	v_cmp_ge_u32_e32 vcc, v13, v14
	s_or_b64 s[18:19], vcc, s[18:19]
	s_andn2_b64 exec, exec, s[18:19]
	s_cbranch_execz .LBB1387_50
.LBB1387_34:                            ; =>This Loop Header: Depth=1
                                        ;     Child Loop BB1387_38 Depth 2
                                        ;     Child Loop BB1387_47 Depth 2
	v_add_u32_e32 v4, v13, v14
	v_lshrrev_b32_e32 v4, 1, v4
	v_lshlrev_b64 v[6:7], 3, v[4:5]
	v_add_co_u32_e32 v6, vcc, s8, v6
	v_addc_co_u32_e32 v7, vcc, v15, v7, vcc
	global_load_dwordx2 v[6:7], v[6:7], off
	s_and_b64 vcc, exec, s[0:1]
	s_mov_b64 s[4:5], -1
                                        ; implicit-def: $sgpr16_sgpr17
	s_cbranch_vccnz .LBB1387_43
; %bb.35:                               ;   in Loop: Header=BB1387_34 Depth=1
	s_and_b64 vcc, exec, s[2:3]
	s_cbranch_vccnz .LBB1387_41
; %bb.36:                               ;   in Loop: Header=BB1387_34 Depth=1
	v_pk_mov_b32 v[8:9], s[14:15], s[14:15] op_sel:[0,1]
	s_waitcnt vmcnt(0)
	v_mad_u64_u32 v[8:9], s[4:5], s20, v6, v[8:9]
	v_mul_lo_u32 v10, s20, v7
	v_mul_lo_u32 v11, s21, v6
	v_add3_u32 v9, v11, v9, v10
	s_mov_b64 s[22:23], 0
	s_mov_b64 s[28:29], s[12:13]
	v_pk_mov_b32 v[10:11], v[0:1], v[0:1] op_sel:[0,1]
                                        ; implicit-def: $sgpr16_sgpr17
                                        ; implicit-def: $sgpr24_sgpr25
                                        ; implicit-def: $sgpr26_sgpr27
                                        ; implicit-def: $sgpr4_sgpr5
                                        ; implicit-def: $sgpr30_sgpr31
	s_branch .LBB1387_38
.LBB1387_37:                            ;   in Loop: Header=BB1387_38 Depth=2
	s_or_b64 exec, exec, s[34:35]
	s_and_b64 s[6:7], exec, s[24:25]
	s_or_b64 s[22:23], s[6:7], s[22:23]
	s_andn2_b64 s[6:7], s[30:31], exec
	s_and_b64 s[30:31], s[26:27], exec
	s_or_b64 s[30:31], s[6:7], s[30:31]
	s_andn2_b64 s[6:7], s[16:17], exec
	s_and_b64 s[16:17], s[4:5], exec
	s_or_b64 s[16:17], s[6:7], s[16:17]
	s_andn2_b64 exec, exec, s[22:23]
	s_cbranch_execz .LBB1387_40
.LBB1387_38:                            ;   Parent Loop BB1387_34 Depth=1
                                        ; =>  This Inner Loop Header: Depth=2
	global_load_ushort v16, v[10:11], off
	global_load_ushort v17, v[8:9], off
	s_andn2_b64 s[34:35], s[4:5], exec
	s_andn2_b64 s[26:27], s[26:27], exec
	s_or_b64 s[24:25], s[24:25], exec
	s_waitcnt vmcnt(0)
	v_cmp_le_u16_e64 s[4:5], v16, v17
	v_cmp_lt_u16_e32 vcc, v16, v17
	s_and_b64 s[4:5], s[4:5], s[30:31]
	s_or_b64 s[36:37], vcc, s[4:5]
	s_and_b64 s[4:5], s[36:37], exec
	v_cmp_eq_u16_e64 s[6:7], v16, v17
	s_or_b64 s[4:5], s[34:35], s[4:5]
	s_and_saveexec_b64 s[34:35], s[6:7]
	s_cbranch_execz .LBB1387_37
; %bb.39:                               ;   in Loop: Header=BB1387_38 Depth=2
	s_add_u32 s28, s28, -1
	s_addc_u32 s29, s29, -1
	v_add_co_u32_e32 v10, vcc, 2, v10
	s_cmp_eq_u64 s[28:29], 0
	v_addc_co_u32_e32 v11, vcc, 0, v11, vcc
	s_cselect_b64 s[6:7], -1, 0
	v_add_co_u32_e32 v8, vcc, 2, v8
	s_andn2_b64 s[26:27], s[26:27], exec
	s_and_b64 s[30:31], s[36:37], exec
	s_andn2_b64 s[24:25], s[24:25], exec
	s_and_b64 s[6:7], s[6:7], exec
	v_addc_co_u32_e32 v9, vcc, 0, v9, vcc
	s_andn2_b64 s[4:5], s[4:5], exec
	s_or_b64 s[26:27], s[26:27], s[30:31]
	s_or_b64 s[24:25], s[24:25], s[6:7]
                                        ; implicit-def: $sgpr30_sgpr31
	s_branch .LBB1387_37
.LBB1387_40:                            ;   in Loop: Header=BB1387_34 Depth=1
	s_or_b64 exec, exec, s[22:23]
	s_branch .LBB1387_42
.LBB1387_41:                            ;   in Loop: Header=BB1387_34 Depth=1
	s_mov_b64 s[16:17], 0
.LBB1387_42:                            ;   in Loop: Header=BB1387_34 Depth=1
	s_xor_b64 s[16:17], s[16:17], -1
	s_mov_b64 s[4:5], 0
.LBB1387_43:                            ;   in Loop: Header=BB1387_34 Depth=1
	s_and_b64 vcc, exec, s[4:5]
	s_cbranch_vccz .LBB1387_33
; %bb.44:                               ;   in Loop: Header=BB1387_34 Depth=1
	s_and_b64 vcc, exec, s[2:3]
	s_cbranch_vccnz .LBB1387_49
; %bb.45:                               ;   in Loop: Header=BB1387_34 Depth=1
	v_pk_mov_b32 v[8:9], s[14:15], s[14:15] op_sel:[0,1]
	s_waitcnt vmcnt(0)
	v_mad_u64_u32 v[8:9], s[4:5], s20, v6, v[8:9]
	v_mul_lo_u32 v7, s20, v7
	v_mul_lo_u32 v6, s21, v6
	v_add3_u32 v9, v6, v9, v7
	s_mov_b64 s[22:23], 0
	s_mov_b64 s[28:29], s[12:13]
	v_pk_mov_b32 v[6:7], v[0:1], v[0:1] op_sel:[0,1]
                                        ; implicit-def: $sgpr16_sgpr17
                                        ; implicit-def: $sgpr24_sgpr25
                                        ; implicit-def: $sgpr26_sgpr27
                                        ; implicit-def: $sgpr4_sgpr5
                                        ; implicit-def: $sgpr30_sgpr31
	s_branch .LBB1387_47
.LBB1387_46:                            ;   in Loop: Header=BB1387_47 Depth=2
	s_or_b64 exec, exec, s[34:35]
	s_and_b64 s[6:7], exec, s[24:25]
	s_or_b64 s[22:23], s[6:7], s[22:23]
	s_andn2_b64 s[6:7], s[30:31], exec
	s_and_b64 s[30:31], s[26:27], exec
	s_or_b64 s[30:31], s[6:7], s[30:31]
	s_andn2_b64 s[6:7], s[16:17], exec
	s_and_b64 s[16:17], s[4:5], exec
	s_or_b64 s[16:17], s[6:7], s[16:17]
	s_andn2_b64 exec, exec, s[22:23]
	s_cbranch_execz .LBB1387_32
.LBB1387_47:                            ;   Parent Loop BB1387_34 Depth=1
                                        ; =>  This Inner Loop Header: Depth=2
	global_load_ushort v10, v[8:9], off
	global_load_ushort v11, v[6:7], off
	s_andn2_b64 s[34:35], s[4:5], exec
	s_andn2_b64 s[26:27], s[26:27], exec
	s_or_b64 s[24:25], s[24:25], exec
	s_waitcnt vmcnt(0)
	v_cmp_le_u16_e64 s[4:5], v10, v11
	v_cmp_lt_u16_e32 vcc, v10, v11
	s_and_b64 s[4:5], s[4:5], s[30:31]
	s_or_b64 s[36:37], vcc, s[4:5]
	s_and_b64 s[4:5], s[36:37], exec
	v_cmp_eq_u16_e64 s[6:7], v10, v11
	s_or_b64 s[4:5], s[34:35], s[4:5]
	s_and_saveexec_b64 s[34:35], s[6:7]
	s_cbranch_execz .LBB1387_46
; %bb.48:                               ;   in Loop: Header=BB1387_47 Depth=2
	s_add_u32 s28, s28, -1
	s_addc_u32 s29, s29, -1
	v_add_co_u32_e32 v8, vcc, 2, v8
	s_cmp_eq_u64 s[28:29], 0
	v_addc_co_u32_e32 v9, vcc, 0, v9, vcc
	s_cselect_b64 s[6:7], -1, 0
	v_add_co_u32_e32 v6, vcc, 2, v6
	s_andn2_b64 s[26:27], s[26:27], exec
	s_and_b64 s[30:31], s[36:37], exec
	s_andn2_b64 s[24:25], s[24:25], exec
	s_and_b64 s[6:7], s[6:7], exec
	v_addc_co_u32_e32 v7, vcc, 0, v7, vcc
	s_andn2_b64 s[4:5], s[4:5], exec
	s_or_b64 s[26:27], s[26:27], s[30:31]
	s_or_b64 s[24:25], s[24:25], s[6:7]
                                        ; implicit-def: $sgpr30_sgpr31
	s_branch .LBB1387_46
.LBB1387_49:                            ;   in Loop: Header=BB1387_34 Depth=1
	s_mov_b64 s[16:17], 0
	s_branch .LBB1387_33
.LBB1387_50:
	s_or_b64 exec, exec, s[18:19]
.LBB1387_51:
	v_add_u32_e32 v4, v13, v12
	s_mov_b64 s[18:19], -1
.LBB1387_52:
	s_and_b64 exec, exec, s[18:19]
	s_cbranch_execz .LBB1387_54
; %bb.53:
	v_mov_b32_e32 v5, 0
	v_lshlrev_b64 v[0:1], 3, v[4:5]
	v_mov_b32_e32 v4, s11
	v_add_co_u32_e32 v0, vcc, s10, v0
	v_addc_co_u32_e32 v1, vcc, v4, v1, vcc
	s_waitcnt vmcnt(0)
	global_store_dwordx2 v[0:1], v[2:3], off
.LBB1387_54:
	s_endpgm
	.section	.rodata,"a",@progbits
	.p2align	6, 0x0
	.amdhsa_kernel _ZN7rocprim17ROCPRIM_400000_NS6detail17trampoline_kernelINS0_14default_configENS1_38merge_sort_block_merge_config_selectorIlNS0_10empty_typeEEEZZNS1_27merge_sort_block_merge_implIS3_PlPS5_mZN2at6native12_GLOBAL__N_124unique_dim_cuda_templateItEESt5tupleIJNSA_6TensorESF_SF_EERKSF_lbbbEUlllE_EE10hipError_tT0_T1_T2_jT3_P12ihipStream_tbPNSt15iterator_traitsISL_E10value_typeEPNSR_ISM_E10value_typeEPSN_NS1_7vsmem_tEENKUlT_SL_SM_SN_E_clIS8_S8_S9_S9_EESK_S10_SL_SM_SN_EUlS10_E1_NS1_11comp_targetILNS1_3genE4ELNS1_11target_archE910ELNS1_3gpuE8ELNS1_3repE0EEENS1_36merge_oddeven_config_static_selectorELNS0_4arch9wavefront6targetE1EEEvSM_
		.amdhsa_group_segment_fixed_size 0
		.amdhsa_private_segment_fixed_size 0
		.amdhsa_kernarg_size 64
		.amdhsa_user_sgpr_count 6
		.amdhsa_user_sgpr_private_segment_buffer 1
		.amdhsa_user_sgpr_dispatch_ptr 0
		.amdhsa_user_sgpr_queue_ptr 0
		.amdhsa_user_sgpr_kernarg_segment_ptr 1
		.amdhsa_user_sgpr_dispatch_id 0
		.amdhsa_user_sgpr_flat_scratch_init 0
		.amdhsa_user_sgpr_kernarg_preload_length 0
		.amdhsa_user_sgpr_kernarg_preload_offset 0
		.amdhsa_user_sgpr_private_segment_size 0
		.amdhsa_uses_dynamic_stack 0
		.amdhsa_system_sgpr_private_segment_wavefront_offset 0
		.amdhsa_system_sgpr_workgroup_id_x 1
		.amdhsa_system_sgpr_workgroup_id_y 0
		.amdhsa_system_sgpr_workgroup_id_z 0
		.amdhsa_system_sgpr_workgroup_info 0
		.amdhsa_system_vgpr_workitem_id 0
		.amdhsa_next_free_vgpr 18
		.amdhsa_next_free_sgpr 46
		.amdhsa_accum_offset 20
		.amdhsa_reserve_vcc 1
		.amdhsa_reserve_flat_scratch 0
		.amdhsa_float_round_mode_32 0
		.amdhsa_float_round_mode_16_64 0
		.amdhsa_float_denorm_mode_32 3
		.amdhsa_float_denorm_mode_16_64 3
		.amdhsa_dx10_clamp 1
		.amdhsa_ieee_mode 1
		.amdhsa_fp16_overflow 0
		.amdhsa_tg_split 0
		.amdhsa_exception_fp_ieee_invalid_op 0
		.amdhsa_exception_fp_denorm_src 0
		.amdhsa_exception_fp_ieee_div_zero 0
		.amdhsa_exception_fp_ieee_overflow 0
		.amdhsa_exception_fp_ieee_underflow 0
		.amdhsa_exception_fp_ieee_inexact 0
		.amdhsa_exception_int_div_zero 0
	.end_amdhsa_kernel
	.section	.text._ZN7rocprim17ROCPRIM_400000_NS6detail17trampoline_kernelINS0_14default_configENS1_38merge_sort_block_merge_config_selectorIlNS0_10empty_typeEEEZZNS1_27merge_sort_block_merge_implIS3_PlPS5_mZN2at6native12_GLOBAL__N_124unique_dim_cuda_templateItEESt5tupleIJNSA_6TensorESF_SF_EERKSF_lbbbEUlllE_EE10hipError_tT0_T1_T2_jT3_P12ihipStream_tbPNSt15iterator_traitsISL_E10value_typeEPNSR_ISM_E10value_typeEPSN_NS1_7vsmem_tEENKUlT_SL_SM_SN_E_clIS8_S8_S9_S9_EESK_S10_SL_SM_SN_EUlS10_E1_NS1_11comp_targetILNS1_3genE4ELNS1_11target_archE910ELNS1_3gpuE8ELNS1_3repE0EEENS1_36merge_oddeven_config_static_selectorELNS0_4arch9wavefront6targetE1EEEvSM_,"axG",@progbits,_ZN7rocprim17ROCPRIM_400000_NS6detail17trampoline_kernelINS0_14default_configENS1_38merge_sort_block_merge_config_selectorIlNS0_10empty_typeEEEZZNS1_27merge_sort_block_merge_implIS3_PlPS5_mZN2at6native12_GLOBAL__N_124unique_dim_cuda_templateItEESt5tupleIJNSA_6TensorESF_SF_EERKSF_lbbbEUlllE_EE10hipError_tT0_T1_T2_jT3_P12ihipStream_tbPNSt15iterator_traitsISL_E10value_typeEPNSR_ISM_E10value_typeEPSN_NS1_7vsmem_tEENKUlT_SL_SM_SN_E_clIS8_S8_S9_S9_EESK_S10_SL_SM_SN_EUlS10_E1_NS1_11comp_targetILNS1_3genE4ELNS1_11target_archE910ELNS1_3gpuE8ELNS1_3repE0EEENS1_36merge_oddeven_config_static_selectorELNS0_4arch9wavefront6targetE1EEEvSM_,comdat
.Lfunc_end1387:
	.size	_ZN7rocprim17ROCPRIM_400000_NS6detail17trampoline_kernelINS0_14default_configENS1_38merge_sort_block_merge_config_selectorIlNS0_10empty_typeEEEZZNS1_27merge_sort_block_merge_implIS3_PlPS5_mZN2at6native12_GLOBAL__N_124unique_dim_cuda_templateItEESt5tupleIJNSA_6TensorESF_SF_EERKSF_lbbbEUlllE_EE10hipError_tT0_T1_T2_jT3_P12ihipStream_tbPNSt15iterator_traitsISL_E10value_typeEPNSR_ISM_E10value_typeEPSN_NS1_7vsmem_tEENKUlT_SL_SM_SN_E_clIS8_S8_S9_S9_EESK_S10_SL_SM_SN_EUlS10_E1_NS1_11comp_targetILNS1_3genE4ELNS1_11target_archE910ELNS1_3gpuE8ELNS1_3repE0EEENS1_36merge_oddeven_config_static_selectorELNS0_4arch9wavefront6targetE1EEEvSM_, .Lfunc_end1387-_ZN7rocprim17ROCPRIM_400000_NS6detail17trampoline_kernelINS0_14default_configENS1_38merge_sort_block_merge_config_selectorIlNS0_10empty_typeEEEZZNS1_27merge_sort_block_merge_implIS3_PlPS5_mZN2at6native12_GLOBAL__N_124unique_dim_cuda_templateItEESt5tupleIJNSA_6TensorESF_SF_EERKSF_lbbbEUlllE_EE10hipError_tT0_T1_T2_jT3_P12ihipStream_tbPNSt15iterator_traitsISL_E10value_typeEPNSR_ISM_E10value_typeEPSN_NS1_7vsmem_tEENKUlT_SL_SM_SN_E_clIS8_S8_S9_S9_EESK_S10_SL_SM_SN_EUlS10_E1_NS1_11comp_targetILNS1_3genE4ELNS1_11target_archE910ELNS1_3gpuE8ELNS1_3repE0EEENS1_36merge_oddeven_config_static_selectorELNS0_4arch9wavefront6targetE1EEEvSM_
                                        ; -- End function
	.section	.AMDGPU.csdata,"",@progbits
; Kernel info:
; codeLenInByte = 1876
; NumSgprs: 50
; NumVgprs: 18
; NumAgprs: 0
; TotalNumVgprs: 18
; ScratchSize: 0
; MemoryBound: 0
; FloatMode: 240
; IeeeMode: 1
; LDSByteSize: 0 bytes/workgroup (compile time only)
; SGPRBlocks: 6
; VGPRBlocks: 2
; NumSGPRsForWavesPerEU: 50
; NumVGPRsForWavesPerEU: 18
; AccumOffset: 20
; Occupancy: 8
; WaveLimiterHint : 0
; COMPUTE_PGM_RSRC2:SCRATCH_EN: 0
; COMPUTE_PGM_RSRC2:USER_SGPR: 6
; COMPUTE_PGM_RSRC2:TRAP_HANDLER: 0
; COMPUTE_PGM_RSRC2:TGID_X_EN: 1
; COMPUTE_PGM_RSRC2:TGID_Y_EN: 0
; COMPUTE_PGM_RSRC2:TGID_Z_EN: 0
; COMPUTE_PGM_RSRC2:TIDIG_COMP_CNT: 0
; COMPUTE_PGM_RSRC3_GFX90A:ACCUM_OFFSET: 4
; COMPUTE_PGM_RSRC3_GFX90A:TG_SPLIT: 0
	.section	.text._ZN7rocprim17ROCPRIM_400000_NS6detail17trampoline_kernelINS0_14default_configENS1_38merge_sort_block_merge_config_selectorIlNS0_10empty_typeEEEZZNS1_27merge_sort_block_merge_implIS3_PlPS5_mZN2at6native12_GLOBAL__N_124unique_dim_cuda_templateItEESt5tupleIJNSA_6TensorESF_SF_EERKSF_lbbbEUlllE_EE10hipError_tT0_T1_T2_jT3_P12ihipStream_tbPNSt15iterator_traitsISL_E10value_typeEPNSR_ISM_E10value_typeEPSN_NS1_7vsmem_tEENKUlT_SL_SM_SN_E_clIS8_S8_S9_S9_EESK_S10_SL_SM_SN_EUlS10_E1_NS1_11comp_targetILNS1_3genE3ELNS1_11target_archE908ELNS1_3gpuE7ELNS1_3repE0EEENS1_36merge_oddeven_config_static_selectorELNS0_4arch9wavefront6targetE1EEEvSM_,"axG",@progbits,_ZN7rocprim17ROCPRIM_400000_NS6detail17trampoline_kernelINS0_14default_configENS1_38merge_sort_block_merge_config_selectorIlNS0_10empty_typeEEEZZNS1_27merge_sort_block_merge_implIS3_PlPS5_mZN2at6native12_GLOBAL__N_124unique_dim_cuda_templateItEESt5tupleIJNSA_6TensorESF_SF_EERKSF_lbbbEUlllE_EE10hipError_tT0_T1_T2_jT3_P12ihipStream_tbPNSt15iterator_traitsISL_E10value_typeEPNSR_ISM_E10value_typeEPSN_NS1_7vsmem_tEENKUlT_SL_SM_SN_E_clIS8_S8_S9_S9_EESK_S10_SL_SM_SN_EUlS10_E1_NS1_11comp_targetILNS1_3genE3ELNS1_11target_archE908ELNS1_3gpuE7ELNS1_3repE0EEENS1_36merge_oddeven_config_static_selectorELNS0_4arch9wavefront6targetE1EEEvSM_,comdat
	.globl	_ZN7rocprim17ROCPRIM_400000_NS6detail17trampoline_kernelINS0_14default_configENS1_38merge_sort_block_merge_config_selectorIlNS0_10empty_typeEEEZZNS1_27merge_sort_block_merge_implIS3_PlPS5_mZN2at6native12_GLOBAL__N_124unique_dim_cuda_templateItEESt5tupleIJNSA_6TensorESF_SF_EERKSF_lbbbEUlllE_EE10hipError_tT0_T1_T2_jT3_P12ihipStream_tbPNSt15iterator_traitsISL_E10value_typeEPNSR_ISM_E10value_typeEPSN_NS1_7vsmem_tEENKUlT_SL_SM_SN_E_clIS8_S8_S9_S9_EESK_S10_SL_SM_SN_EUlS10_E1_NS1_11comp_targetILNS1_3genE3ELNS1_11target_archE908ELNS1_3gpuE7ELNS1_3repE0EEENS1_36merge_oddeven_config_static_selectorELNS0_4arch9wavefront6targetE1EEEvSM_ ; -- Begin function _ZN7rocprim17ROCPRIM_400000_NS6detail17trampoline_kernelINS0_14default_configENS1_38merge_sort_block_merge_config_selectorIlNS0_10empty_typeEEEZZNS1_27merge_sort_block_merge_implIS3_PlPS5_mZN2at6native12_GLOBAL__N_124unique_dim_cuda_templateItEESt5tupleIJNSA_6TensorESF_SF_EERKSF_lbbbEUlllE_EE10hipError_tT0_T1_T2_jT3_P12ihipStream_tbPNSt15iterator_traitsISL_E10value_typeEPNSR_ISM_E10value_typeEPSN_NS1_7vsmem_tEENKUlT_SL_SM_SN_E_clIS8_S8_S9_S9_EESK_S10_SL_SM_SN_EUlS10_E1_NS1_11comp_targetILNS1_3genE3ELNS1_11target_archE908ELNS1_3gpuE7ELNS1_3repE0EEENS1_36merge_oddeven_config_static_selectorELNS0_4arch9wavefront6targetE1EEEvSM_
	.p2align	8
	.type	_ZN7rocprim17ROCPRIM_400000_NS6detail17trampoline_kernelINS0_14default_configENS1_38merge_sort_block_merge_config_selectorIlNS0_10empty_typeEEEZZNS1_27merge_sort_block_merge_implIS3_PlPS5_mZN2at6native12_GLOBAL__N_124unique_dim_cuda_templateItEESt5tupleIJNSA_6TensorESF_SF_EERKSF_lbbbEUlllE_EE10hipError_tT0_T1_T2_jT3_P12ihipStream_tbPNSt15iterator_traitsISL_E10value_typeEPNSR_ISM_E10value_typeEPSN_NS1_7vsmem_tEENKUlT_SL_SM_SN_E_clIS8_S8_S9_S9_EESK_S10_SL_SM_SN_EUlS10_E1_NS1_11comp_targetILNS1_3genE3ELNS1_11target_archE908ELNS1_3gpuE7ELNS1_3repE0EEENS1_36merge_oddeven_config_static_selectorELNS0_4arch9wavefront6targetE1EEEvSM_,@function
_ZN7rocprim17ROCPRIM_400000_NS6detail17trampoline_kernelINS0_14default_configENS1_38merge_sort_block_merge_config_selectorIlNS0_10empty_typeEEEZZNS1_27merge_sort_block_merge_implIS3_PlPS5_mZN2at6native12_GLOBAL__N_124unique_dim_cuda_templateItEESt5tupleIJNSA_6TensorESF_SF_EERKSF_lbbbEUlllE_EE10hipError_tT0_T1_T2_jT3_P12ihipStream_tbPNSt15iterator_traitsISL_E10value_typeEPNSR_ISM_E10value_typeEPSN_NS1_7vsmem_tEENKUlT_SL_SM_SN_E_clIS8_S8_S9_S9_EESK_S10_SL_SM_SN_EUlS10_E1_NS1_11comp_targetILNS1_3genE3ELNS1_11target_archE908ELNS1_3gpuE7ELNS1_3repE0EEENS1_36merge_oddeven_config_static_selectorELNS0_4arch9wavefront6targetE1EEEvSM_: ; @_ZN7rocprim17ROCPRIM_400000_NS6detail17trampoline_kernelINS0_14default_configENS1_38merge_sort_block_merge_config_selectorIlNS0_10empty_typeEEEZZNS1_27merge_sort_block_merge_implIS3_PlPS5_mZN2at6native12_GLOBAL__N_124unique_dim_cuda_templateItEESt5tupleIJNSA_6TensorESF_SF_EERKSF_lbbbEUlllE_EE10hipError_tT0_T1_T2_jT3_P12ihipStream_tbPNSt15iterator_traitsISL_E10value_typeEPNSR_ISM_E10value_typeEPSN_NS1_7vsmem_tEENKUlT_SL_SM_SN_E_clIS8_S8_S9_S9_EESK_S10_SL_SM_SN_EUlS10_E1_NS1_11comp_targetILNS1_3genE3ELNS1_11target_archE908ELNS1_3gpuE7ELNS1_3repE0EEENS1_36merge_oddeven_config_static_selectorELNS0_4arch9wavefront6targetE1EEEvSM_
; %bb.0:
	.section	.rodata,"a",@progbits
	.p2align	6, 0x0
	.amdhsa_kernel _ZN7rocprim17ROCPRIM_400000_NS6detail17trampoline_kernelINS0_14default_configENS1_38merge_sort_block_merge_config_selectorIlNS0_10empty_typeEEEZZNS1_27merge_sort_block_merge_implIS3_PlPS5_mZN2at6native12_GLOBAL__N_124unique_dim_cuda_templateItEESt5tupleIJNSA_6TensorESF_SF_EERKSF_lbbbEUlllE_EE10hipError_tT0_T1_T2_jT3_P12ihipStream_tbPNSt15iterator_traitsISL_E10value_typeEPNSR_ISM_E10value_typeEPSN_NS1_7vsmem_tEENKUlT_SL_SM_SN_E_clIS8_S8_S9_S9_EESK_S10_SL_SM_SN_EUlS10_E1_NS1_11comp_targetILNS1_3genE3ELNS1_11target_archE908ELNS1_3gpuE7ELNS1_3repE0EEENS1_36merge_oddeven_config_static_selectorELNS0_4arch9wavefront6targetE1EEEvSM_
		.amdhsa_group_segment_fixed_size 0
		.amdhsa_private_segment_fixed_size 0
		.amdhsa_kernarg_size 64
		.amdhsa_user_sgpr_count 6
		.amdhsa_user_sgpr_private_segment_buffer 1
		.amdhsa_user_sgpr_dispatch_ptr 0
		.amdhsa_user_sgpr_queue_ptr 0
		.amdhsa_user_sgpr_kernarg_segment_ptr 1
		.amdhsa_user_sgpr_dispatch_id 0
		.amdhsa_user_sgpr_flat_scratch_init 0
		.amdhsa_user_sgpr_kernarg_preload_length 0
		.amdhsa_user_sgpr_kernarg_preload_offset 0
		.amdhsa_user_sgpr_private_segment_size 0
		.amdhsa_uses_dynamic_stack 0
		.amdhsa_system_sgpr_private_segment_wavefront_offset 0
		.amdhsa_system_sgpr_workgroup_id_x 1
		.amdhsa_system_sgpr_workgroup_id_y 0
		.amdhsa_system_sgpr_workgroup_id_z 0
		.amdhsa_system_sgpr_workgroup_info 0
		.amdhsa_system_vgpr_workitem_id 0
		.amdhsa_next_free_vgpr 1
		.amdhsa_next_free_sgpr 0
		.amdhsa_accum_offset 4
		.amdhsa_reserve_vcc 0
		.amdhsa_reserve_flat_scratch 0
		.amdhsa_float_round_mode_32 0
		.amdhsa_float_round_mode_16_64 0
		.amdhsa_float_denorm_mode_32 3
		.amdhsa_float_denorm_mode_16_64 3
		.amdhsa_dx10_clamp 1
		.amdhsa_ieee_mode 1
		.amdhsa_fp16_overflow 0
		.amdhsa_tg_split 0
		.amdhsa_exception_fp_ieee_invalid_op 0
		.amdhsa_exception_fp_denorm_src 0
		.amdhsa_exception_fp_ieee_div_zero 0
		.amdhsa_exception_fp_ieee_overflow 0
		.amdhsa_exception_fp_ieee_underflow 0
		.amdhsa_exception_fp_ieee_inexact 0
		.amdhsa_exception_int_div_zero 0
	.end_amdhsa_kernel
	.section	.text._ZN7rocprim17ROCPRIM_400000_NS6detail17trampoline_kernelINS0_14default_configENS1_38merge_sort_block_merge_config_selectorIlNS0_10empty_typeEEEZZNS1_27merge_sort_block_merge_implIS3_PlPS5_mZN2at6native12_GLOBAL__N_124unique_dim_cuda_templateItEESt5tupleIJNSA_6TensorESF_SF_EERKSF_lbbbEUlllE_EE10hipError_tT0_T1_T2_jT3_P12ihipStream_tbPNSt15iterator_traitsISL_E10value_typeEPNSR_ISM_E10value_typeEPSN_NS1_7vsmem_tEENKUlT_SL_SM_SN_E_clIS8_S8_S9_S9_EESK_S10_SL_SM_SN_EUlS10_E1_NS1_11comp_targetILNS1_3genE3ELNS1_11target_archE908ELNS1_3gpuE7ELNS1_3repE0EEENS1_36merge_oddeven_config_static_selectorELNS0_4arch9wavefront6targetE1EEEvSM_,"axG",@progbits,_ZN7rocprim17ROCPRIM_400000_NS6detail17trampoline_kernelINS0_14default_configENS1_38merge_sort_block_merge_config_selectorIlNS0_10empty_typeEEEZZNS1_27merge_sort_block_merge_implIS3_PlPS5_mZN2at6native12_GLOBAL__N_124unique_dim_cuda_templateItEESt5tupleIJNSA_6TensorESF_SF_EERKSF_lbbbEUlllE_EE10hipError_tT0_T1_T2_jT3_P12ihipStream_tbPNSt15iterator_traitsISL_E10value_typeEPNSR_ISM_E10value_typeEPSN_NS1_7vsmem_tEENKUlT_SL_SM_SN_E_clIS8_S8_S9_S9_EESK_S10_SL_SM_SN_EUlS10_E1_NS1_11comp_targetILNS1_3genE3ELNS1_11target_archE908ELNS1_3gpuE7ELNS1_3repE0EEENS1_36merge_oddeven_config_static_selectorELNS0_4arch9wavefront6targetE1EEEvSM_,comdat
.Lfunc_end1388:
	.size	_ZN7rocprim17ROCPRIM_400000_NS6detail17trampoline_kernelINS0_14default_configENS1_38merge_sort_block_merge_config_selectorIlNS0_10empty_typeEEEZZNS1_27merge_sort_block_merge_implIS3_PlPS5_mZN2at6native12_GLOBAL__N_124unique_dim_cuda_templateItEESt5tupleIJNSA_6TensorESF_SF_EERKSF_lbbbEUlllE_EE10hipError_tT0_T1_T2_jT3_P12ihipStream_tbPNSt15iterator_traitsISL_E10value_typeEPNSR_ISM_E10value_typeEPSN_NS1_7vsmem_tEENKUlT_SL_SM_SN_E_clIS8_S8_S9_S9_EESK_S10_SL_SM_SN_EUlS10_E1_NS1_11comp_targetILNS1_3genE3ELNS1_11target_archE908ELNS1_3gpuE7ELNS1_3repE0EEENS1_36merge_oddeven_config_static_selectorELNS0_4arch9wavefront6targetE1EEEvSM_, .Lfunc_end1388-_ZN7rocprim17ROCPRIM_400000_NS6detail17trampoline_kernelINS0_14default_configENS1_38merge_sort_block_merge_config_selectorIlNS0_10empty_typeEEEZZNS1_27merge_sort_block_merge_implIS3_PlPS5_mZN2at6native12_GLOBAL__N_124unique_dim_cuda_templateItEESt5tupleIJNSA_6TensorESF_SF_EERKSF_lbbbEUlllE_EE10hipError_tT0_T1_T2_jT3_P12ihipStream_tbPNSt15iterator_traitsISL_E10value_typeEPNSR_ISM_E10value_typeEPSN_NS1_7vsmem_tEENKUlT_SL_SM_SN_E_clIS8_S8_S9_S9_EESK_S10_SL_SM_SN_EUlS10_E1_NS1_11comp_targetILNS1_3genE3ELNS1_11target_archE908ELNS1_3gpuE7ELNS1_3repE0EEENS1_36merge_oddeven_config_static_selectorELNS0_4arch9wavefront6targetE1EEEvSM_
                                        ; -- End function
	.section	.AMDGPU.csdata,"",@progbits
; Kernel info:
; codeLenInByte = 0
; NumSgprs: 4
; NumVgprs: 0
; NumAgprs: 0
; TotalNumVgprs: 0
; ScratchSize: 0
; MemoryBound: 0
; FloatMode: 240
; IeeeMode: 1
; LDSByteSize: 0 bytes/workgroup (compile time only)
; SGPRBlocks: 0
; VGPRBlocks: 0
; NumSGPRsForWavesPerEU: 4
; NumVGPRsForWavesPerEU: 1
; AccumOffset: 4
; Occupancy: 8
; WaveLimiterHint : 0
; COMPUTE_PGM_RSRC2:SCRATCH_EN: 0
; COMPUTE_PGM_RSRC2:USER_SGPR: 6
; COMPUTE_PGM_RSRC2:TRAP_HANDLER: 0
; COMPUTE_PGM_RSRC2:TGID_X_EN: 1
; COMPUTE_PGM_RSRC2:TGID_Y_EN: 0
; COMPUTE_PGM_RSRC2:TGID_Z_EN: 0
; COMPUTE_PGM_RSRC2:TIDIG_COMP_CNT: 0
; COMPUTE_PGM_RSRC3_GFX90A:ACCUM_OFFSET: 0
; COMPUTE_PGM_RSRC3_GFX90A:TG_SPLIT: 0
	.section	.text._ZN7rocprim17ROCPRIM_400000_NS6detail17trampoline_kernelINS0_14default_configENS1_38merge_sort_block_merge_config_selectorIlNS0_10empty_typeEEEZZNS1_27merge_sort_block_merge_implIS3_PlPS5_mZN2at6native12_GLOBAL__N_124unique_dim_cuda_templateItEESt5tupleIJNSA_6TensorESF_SF_EERKSF_lbbbEUlllE_EE10hipError_tT0_T1_T2_jT3_P12ihipStream_tbPNSt15iterator_traitsISL_E10value_typeEPNSR_ISM_E10value_typeEPSN_NS1_7vsmem_tEENKUlT_SL_SM_SN_E_clIS8_S8_S9_S9_EESK_S10_SL_SM_SN_EUlS10_E1_NS1_11comp_targetILNS1_3genE2ELNS1_11target_archE906ELNS1_3gpuE6ELNS1_3repE0EEENS1_36merge_oddeven_config_static_selectorELNS0_4arch9wavefront6targetE1EEEvSM_,"axG",@progbits,_ZN7rocprim17ROCPRIM_400000_NS6detail17trampoline_kernelINS0_14default_configENS1_38merge_sort_block_merge_config_selectorIlNS0_10empty_typeEEEZZNS1_27merge_sort_block_merge_implIS3_PlPS5_mZN2at6native12_GLOBAL__N_124unique_dim_cuda_templateItEESt5tupleIJNSA_6TensorESF_SF_EERKSF_lbbbEUlllE_EE10hipError_tT0_T1_T2_jT3_P12ihipStream_tbPNSt15iterator_traitsISL_E10value_typeEPNSR_ISM_E10value_typeEPSN_NS1_7vsmem_tEENKUlT_SL_SM_SN_E_clIS8_S8_S9_S9_EESK_S10_SL_SM_SN_EUlS10_E1_NS1_11comp_targetILNS1_3genE2ELNS1_11target_archE906ELNS1_3gpuE6ELNS1_3repE0EEENS1_36merge_oddeven_config_static_selectorELNS0_4arch9wavefront6targetE1EEEvSM_,comdat
	.globl	_ZN7rocprim17ROCPRIM_400000_NS6detail17trampoline_kernelINS0_14default_configENS1_38merge_sort_block_merge_config_selectorIlNS0_10empty_typeEEEZZNS1_27merge_sort_block_merge_implIS3_PlPS5_mZN2at6native12_GLOBAL__N_124unique_dim_cuda_templateItEESt5tupleIJNSA_6TensorESF_SF_EERKSF_lbbbEUlllE_EE10hipError_tT0_T1_T2_jT3_P12ihipStream_tbPNSt15iterator_traitsISL_E10value_typeEPNSR_ISM_E10value_typeEPSN_NS1_7vsmem_tEENKUlT_SL_SM_SN_E_clIS8_S8_S9_S9_EESK_S10_SL_SM_SN_EUlS10_E1_NS1_11comp_targetILNS1_3genE2ELNS1_11target_archE906ELNS1_3gpuE6ELNS1_3repE0EEENS1_36merge_oddeven_config_static_selectorELNS0_4arch9wavefront6targetE1EEEvSM_ ; -- Begin function _ZN7rocprim17ROCPRIM_400000_NS6detail17trampoline_kernelINS0_14default_configENS1_38merge_sort_block_merge_config_selectorIlNS0_10empty_typeEEEZZNS1_27merge_sort_block_merge_implIS3_PlPS5_mZN2at6native12_GLOBAL__N_124unique_dim_cuda_templateItEESt5tupleIJNSA_6TensorESF_SF_EERKSF_lbbbEUlllE_EE10hipError_tT0_T1_T2_jT3_P12ihipStream_tbPNSt15iterator_traitsISL_E10value_typeEPNSR_ISM_E10value_typeEPSN_NS1_7vsmem_tEENKUlT_SL_SM_SN_E_clIS8_S8_S9_S9_EESK_S10_SL_SM_SN_EUlS10_E1_NS1_11comp_targetILNS1_3genE2ELNS1_11target_archE906ELNS1_3gpuE6ELNS1_3repE0EEENS1_36merge_oddeven_config_static_selectorELNS0_4arch9wavefront6targetE1EEEvSM_
	.p2align	8
	.type	_ZN7rocprim17ROCPRIM_400000_NS6detail17trampoline_kernelINS0_14default_configENS1_38merge_sort_block_merge_config_selectorIlNS0_10empty_typeEEEZZNS1_27merge_sort_block_merge_implIS3_PlPS5_mZN2at6native12_GLOBAL__N_124unique_dim_cuda_templateItEESt5tupleIJNSA_6TensorESF_SF_EERKSF_lbbbEUlllE_EE10hipError_tT0_T1_T2_jT3_P12ihipStream_tbPNSt15iterator_traitsISL_E10value_typeEPNSR_ISM_E10value_typeEPSN_NS1_7vsmem_tEENKUlT_SL_SM_SN_E_clIS8_S8_S9_S9_EESK_S10_SL_SM_SN_EUlS10_E1_NS1_11comp_targetILNS1_3genE2ELNS1_11target_archE906ELNS1_3gpuE6ELNS1_3repE0EEENS1_36merge_oddeven_config_static_selectorELNS0_4arch9wavefront6targetE1EEEvSM_,@function
_ZN7rocprim17ROCPRIM_400000_NS6detail17trampoline_kernelINS0_14default_configENS1_38merge_sort_block_merge_config_selectorIlNS0_10empty_typeEEEZZNS1_27merge_sort_block_merge_implIS3_PlPS5_mZN2at6native12_GLOBAL__N_124unique_dim_cuda_templateItEESt5tupleIJNSA_6TensorESF_SF_EERKSF_lbbbEUlllE_EE10hipError_tT0_T1_T2_jT3_P12ihipStream_tbPNSt15iterator_traitsISL_E10value_typeEPNSR_ISM_E10value_typeEPSN_NS1_7vsmem_tEENKUlT_SL_SM_SN_E_clIS8_S8_S9_S9_EESK_S10_SL_SM_SN_EUlS10_E1_NS1_11comp_targetILNS1_3genE2ELNS1_11target_archE906ELNS1_3gpuE6ELNS1_3repE0EEENS1_36merge_oddeven_config_static_selectorELNS0_4arch9wavefront6targetE1EEEvSM_: ; @_ZN7rocprim17ROCPRIM_400000_NS6detail17trampoline_kernelINS0_14default_configENS1_38merge_sort_block_merge_config_selectorIlNS0_10empty_typeEEEZZNS1_27merge_sort_block_merge_implIS3_PlPS5_mZN2at6native12_GLOBAL__N_124unique_dim_cuda_templateItEESt5tupleIJNSA_6TensorESF_SF_EERKSF_lbbbEUlllE_EE10hipError_tT0_T1_T2_jT3_P12ihipStream_tbPNSt15iterator_traitsISL_E10value_typeEPNSR_ISM_E10value_typeEPSN_NS1_7vsmem_tEENKUlT_SL_SM_SN_E_clIS8_S8_S9_S9_EESK_S10_SL_SM_SN_EUlS10_E1_NS1_11comp_targetILNS1_3genE2ELNS1_11target_archE906ELNS1_3gpuE6ELNS1_3repE0EEENS1_36merge_oddeven_config_static_selectorELNS0_4arch9wavefront6targetE1EEEvSM_
; %bb.0:
	.section	.rodata,"a",@progbits
	.p2align	6, 0x0
	.amdhsa_kernel _ZN7rocprim17ROCPRIM_400000_NS6detail17trampoline_kernelINS0_14default_configENS1_38merge_sort_block_merge_config_selectorIlNS0_10empty_typeEEEZZNS1_27merge_sort_block_merge_implIS3_PlPS5_mZN2at6native12_GLOBAL__N_124unique_dim_cuda_templateItEESt5tupleIJNSA_6TensorESF_SF_EERKSF_lbbbEUlllE_EE10hipError_tT0_T1_T2_jT3_P12ihipStream_tbPNSt15iterator_traitsISL_E10value_typeEPNSR_ISM_E10value_typeEPSN_NS1_7vsmem_tEENKUlT_SL_SM_SN_E_clIS8_S8_S9_S9_EESK_S10_SL_SM_SN_EUlS10_E1_NS1_11comp_targetILNS1_3genE2ELNS1_11target_archE906ELNS1_3gpuE6ELNS1_3repE0EEENS1_36merge_oddeven_config_static_selectorELNS0_4arch9wavefront6targetE1EEEvSM_
		.amdhsa_group_segment_fixed_size 0
		.amdhsa_private_segment_fixed_size 0
		.amdhsa_kernarg_size 64
		.amdhsa_user_sgpr_count 6
		.amdhsa_user_sgpr_private_segment_buffer 1
		.amdhsa_user_sgpr_dispatch_ptr 0
		.amdhsa_user_sgpr_queue_ptr 0
		.amdhsa_user_sgpr_kernarg_segment_ptr 1
		.amdhsa_user_sgpr_dispatch_id 0
		.amdhsa_user_sgpr_flat_scratch_init 0
		.amdhsa_user_sgpr_kernarg_preload_length 0
		.amdhsa_user_sgpr_kernarg_preload_offset 0
		.amdhsa_user_sgpr_private_segment_size 0
		.amdhsa_uses_dynamic_stack 0
		.amdhsa_system_sgpr_private_segment_wavefront_offset 0
		.amdhsa_system_sgpr_workgroup_id_x 1
		.amdhsa_system_sgpr_workgroup_id_y 0
		.amdhsa_system_sgpr_workgroup_id_z 0
		.amdhsa_system_sgpr_workgroup_info 0
		.amdhsa_system_vgpr_workitem_id 0
		.amdhsa_next_free_vgpr 1
		.amdhsa_next_free_sgpr 0
		.amdhsa_accum_offset 4
		.amdhsa_reserve_vcc 0
		.amdhsa_reserve_flat_scratch 0
		.amdhsa_float_round_mode_32 0
		.amdhsa_float_round_mode_16_64 0
		.amdhsa_float_denorm_mode_32 3
		.amdhsa_float_denorm_mode_16_64 3
		.amdhsa_dx10_clamp 1
		.amdhsa_ieee_mode 1
		.amdhsa_fp16_overflow 0
		.amdhsa_tg_split 0
		.amdhsa_exception_fp_ieee_invalid_op 0
		.amdhsa_exception_fp_denorm_src 0
		.amdhsa_exception_fp_ieee_div_zero 0
		.amdhsa_exception_fp_ieee_overflow 0
		.amdhsa_exception_fp_ieee_underflow 0
		.amdhsa_exception_fp_ieee_inexact 0
		.amdhsa_exception_int_div_zero 0
	.end_amdhsa_kernel
	.section	.text._ZN7rocprim17ROCPRIM_400000_NS6detail17trampoline_kernelINS0_14default_configENS1_38merge_sort_block_merge_config_selectorIlNS0_10empty_typeEEEZZNS1_27merge_sort_block_merge_implIS3_PlPS5_mZN2at6native12_GLOBAL__N_124unique_dim_cuda_templateItEESt5tupleIJNSA_6TensorESF_SF_EERKSF_lbbbEUlllE_EE10hipError_tT0_T1_T2_jT3_P12ihipStream_tbPNSt15iterator_traitsISL_E10value_typeEPNSR_ISM_E10value_typeEPSN_NS1_7vsmem_tEENKUlT_SL_SM_SN_E_clIS8_S8_S9_S9_EESK_S10_SL_SM_SN_EUlS10_E1_NS1_11comp_targetILNS1_3genE2ELNS1_11target_archE906ELNS1_3gpuE6ELNS1_3repE0EEENS1_36merge_oddeven_config_static_selectorELNS0_4arch9wavefront6targetE1EEEvSM_,"axG",@progbits,_ZN7rocprim17ROCPRIM_400000_NS6detail17trampoline_kernelINS0_14default_configENS1_38merge_sort_block_merge_config_selectorIlNS0_10empty_typeEEEZZNS1_27merge_sort_block_merge_implIS3_PlPS5_mZN2at6native12_GLOBAL__N_124unique_dim_cuda_templateItEESt5tupleIJNSA_6TensorESF_SF_EERKSF_lbbbEUlllE_EE10hipError_tT0_T1_T2_jT3_P12ihipStream_tbPNSt15iterator_traitsISL_E10value_typeEPNSR_ISM_E10value_typeEPSN_NS1_7vsmem_tEENKUlT_SL_SM_SN_E_clIS8_S8_S9_S9_EESK_S10_SL_SM_SN_EUlS10_E1_NS1_11comp_targetILNS1_3genE2ELNS1_11target_archE906ELNS1_3gpuE6ELNS1_3repE0EEENS1_36merge_oddeven_config_static_selectorELNS0_4arch9wavefront6targetE1EEEvSM_,comdat
.Lfunc_end1389:
	.size	_ZN7rocprim17ROCPRIM_400000_NS6detail17trampoline_kernelINS0_14default_configENS1_38merge_sort_block_merge_config_selectorIlNS0_10empty_typeEEEZZNS1_27merge_sort_block_merge_implIS3_PlPS5_mZN2at6native12_GLOBAL__N_124unique_dim_cuda_templateItEESt5tupleIJNSA_6TensorESF_SF_EERKSF_lbbbEUlllE_EE10hipError_tT0_T1_T2_jT3_P12ihipStream_tbPNSt15iterator_traitsISL_E10value_typeEPNSR_ISM_E10value_typeEPSN_NS1_7vsmem_tEENKUlT_SL_SM_SN_E_clIS8_S8_S9_S9_EESK_S10_SL_SM_SN_EUlS10_E1_NS1_11comp_targetILNS1_3genE2ELNS1_11target_archE906ELNS1_3gpuE6ELNS1_3repE0EEENS1_36merge_oddeven_config_static_selectorELNS0_4arch9wavefront6targetE1EEEvSM_, .Lfunc_end1389-_ZN7rocprim17ROCPRIM_400000_NS6detail17trampoline_kernelINS0_14default_configENS1_38merge_sort_block_merge_config_selectorIlNS0_10empty_typeEEEZZNS1_27merge_sort_block_merge_implIS3_PlPS5_mZN2at6native12_GLOBAL__N_124unique_dim_cuda_templateItEESt5tupleIJNSA_6TensorESF_SF_EERKSF_lbbbEUlllE_EE10hipError_tT0_T1_T2_jT3_P12ihipStream_tbPNSt15iterator_traitsISL_E10value_typeEPNSR_ISM_E10value_typeEPSN_NS1_7vsmem_tEENKUlT_SL_SM_SN_E_clIS8_S8_S9_S9_EESK_S10_SL_SM_SN_EUlS10_E1_NS1_11comp_targetILNS1_3genE2ELNS1_11target_archE906ELNS1_3gpuE6ELNS1_3repE0EEENS1_36merge_oddeven_config_static_selectorELNS0_4arch9wavefront6targetE1EEEvSM_
                                        ; -- End function
	.section	.AMDGPU.csdata,"",@progbits
; Kernel info:
; codeLenInByte = 0
; NumSgprs: 4
; NumVgprs: 0
; NumAgprs: 0
; TotalNumVgprs: 0
; ScratchSize: 0
; MemoryBound: 0
; FloatMode: 240
; IeeeMode: 1
; LDSByteSize: 0 bytes/workgroup (compile time only)
; SGPRBlocks: 0
; VGPRBlocks: 0
; NumSGPRsForWavesPerEU: 4
; NumVGPRsForWavesPerEU: 1
; AccumOffset: 4
; Occupancy: 8
; WaveLimiterHint : 0
; COMPUTE_PGM_RSRC2:SCRATCH_EN: 0
; COMPUTE_PGM_RSRC2:USER_SGPR: 6
; COMPUTE_PGM_RSRC2:TRAP_HANDLER: 0
; COMPUTE_PGM_RSRC2:TGID_X_EN: 1
; COMPUTE_PGM_RSRC2:TGID_Y_EN: 0
; COMPUTE_PGM_RSRC2:TGID_Z_EN: 0
; COMPUTE_PGM_RSRC2:TIDIG_COMP_CNT: 0
; COMPUTE_PGM_RSRC3_GFX90A:ACCUM_OFFSET: 0
; COMPUTE_PGM_RSRC3_GFX90A:TG_SPLIT: 0
	.section	.text._ZN7rocprim17ROCPRIM_400000_NS6detail17trampoline_kernelINS0_14default_configENS1_38merge_sort_block_merge_config_selectorIlNS0_10empty_typeEEEZZNS1_27merge_sort_block_merge_implIS3_PlPS5_mZN2at6native12_GLOBAL__N_124unique_dim_cuda_templateItEESt5tupleIJNSA_6TensorESF_SF_EERKSF_lbbbEUlllE_EE10hipError_tT0_T1_T2_jT3_P12ihipStream_tbPNSt15iterator_traitsISL_E10value_typeEPNSR_ISM_E10value_typeEPSN_NS1_7vsmem_tEENKUlT_SL_SM_SN_E_clIS8_S8_S9_S9_EESK_S10_SL_SM_SN_EUlS10_E1_NS1_11comp_targetILNS1_3genE9ELNS1_11target_archE1100ELNS1_3gpuE3ELNS1_3repE0EEENS1_36merge_oddeven_config_static_selectorELNS0_4arch9wavefront6targetE1EEEvSM_,"axG",@progbits,_ZN7rocprim17ROCPRIM_400000_NS6detail17trampoline_kernelINS0_14default_configENS1_38merge_sort_block_merge_config_selectorIlNS0_10empty_typeEEEZZNS1_27merge_sort_block_merge_implIS3_PlPS5_mZN2at6native12_GLOBAL__N_124unique_dim_cuda_templateItEESt5tupleIJNSA_6TensorESF_SF_EERKSF_lbbbEUlllE_EE10hipError_tT0_T1_T2_jT3_P12ihipStream_tbPNSt15iterator_traitsISL_E10value_typeEPNSR_ISM_E10value_typeEPSN_NS1_7vsmem_tEENKUlT_SL_SM_SN_E_clIS8_S8_S9_S9_EESK_S10_SL_SM_SN_EUlS10_E1_NS1_11comp_targetILNS1_3genE9ELNS1_11target_archE1100ELNS1_3gpuE3ELNS1_3repE0EEENS1_36merge_oddeven_config_static_selectorELNS0_4arch9wavefront6targetE1EEEvSM_,comdat
	.globl	_ZN7rocprim17ROCPRIM_400000_NS6detail17trampoline_kernelINS0_14default_configENS1_38merge_sort_block_merge_config_selectorIlNS0_10empty_typeEEEZZNS1_27merge_sort_block_merge_implIS3_PlPS5_mZN2at6native12_GLOBAL__N_124unique_dim_cuda_templateItEESt5tupleIJNSA_6TensorESF_SF_EERKSF_lbbbEUlllE_EE10hipError_tT0_T1_T2_jT3_P12ihipStream_tbPNSt15iterator_traitsISL_E10value_typeEPNSR_ISM_E10value_typeEPSN_NS1_7vsmem_tEENKUlT_SL_SM_SN_E_clIS8_S8_S9_S9_EESK_S10_SL_SM_SN_EUlS10_E1_NS1_11comp_targetILNS1_3genE9ELNS1_11target_archE1100ELNS1_3gpuE3ELNS1_3repE0EEENS1_36merge_oddeven_config_static_selectorELNS0_4arch9wavefront6targetE1EEEvSM_ ; -- Begin function _ZN7rocprim17ROCPRIM_400000_NS6detail17trampoline_kernelINS0_14default_configENS1_38merge_sort_block_merge_config_selectorIlNS0_10empty_typeEEEZZNS1_27merge_sort_block_merge_implIS3_PlPS5_mZN2at6native12_GLOBAL__N_124unique_dim_cuda_templateItEESt5tupleIJNSA_6TensorESF_SF_EERKSF_lbbbEUlllE_EE10hipError_tT0_T1_T2_jT3_P12ihipStream_tbPNSt15iterator_traitsISL_E10value_typeEPNSR_ISM_E10value_typeEPSN_NS1_7vsmem_tEENKUlT_SL_SM_SN_E_clIS8_S8_S9_S9_EESK_S10_SL_SM_SN_EUlS10_E1_NS1_11comp_targetILNS1_3genE9ELNS1_11target_archE1100ELNS1_3gpuE3ELNS1_3repE0EEENS1_36merge_oddeven_config_static_selectorELNS0_4arch9wavefront6targetE1EEEvSM_
	.p2align	8
	.type	_ZN7rocprim17ROCPRIM_400000_NS6detail17trampoline_kernelINS0_14default_configENS1_38merge_sort_block_merge_config_selectorIlNS0_10empty_typeEEEZZNS1_27merge_sort_block_merge_implIS3_PlPS5_mZN2at6native12_GLOBAL__N_124unique_dim_cuda_templateItEESt5tupleIJNSA_6TensorESF_SF_EERKSF_lbbbEUlllE_EE10hipError_tT0_T1_T2_jT3_P12ihipStream_tbPNSt15iterator_traitsISL_E10value_typeEPNSR_ISM_E10value_typeEPSN_NS1_7vsmem_tEENKUlT_SL_SM_SN_E_clIS8_S8_S9_S9_EESK_S10_SL_SM_SN_EUlS10_E1_NS1_11comp_targetILNS1_3genE9ELNS1_11target_archE1100ELNS1_3gpuE3ELNS1_3repE0EEENS1_36merge_oddeven_config_static_selectorELNS0_4arch9wavefront6targetE1EEEvSM_,@function
_ZN7rocprim17ROCPRIM_400000_NS6detail17trampoline_kernelINS0_14default_configENS1_38merge_sort_block_merge_config_selectorIlNS0_10empty_typeEEEZZNS1_27merge_sort_block_merge_implIS3_PlPS5_mZN2at6native12_GLOBAL__N_124unique_dim_cuda_templateItEESt5tupleIJNSA_6TensorESF_SF_EERKSF_lbbbEUlllE_EE10hipError_tT0_T1_T2_jT3_P12ihipStream_tbPNSt15iterator_traitsISL_E10value_typeEPNSR_ISM_E10value_typeEPSN_NS1_7vsmem_tEENKUlT_SL_SM_SN_E_clIS8_S8_S9_S9_EESK_S10_SL_SM_SN_EUlS10_E1_NS1_11comp_targetILNS1_3genE9ELNS1_11target_archE1100ELNS1_3gpuE3ELNS1_3repE0EEENS1_36merge_oddeven_config_static_selectorELNS0_4arch9wavefront6targetE1EEEvSM_: ; @_ZN7rocprim17ROCPRIM_400000_NS6detail17trampoline_kernelINS0_14default_configENS1_38merge_sort_block_merge_config_selectorIlNS0_10empty_typeEEEZZNS1_27merge_sort_block_merge_implIS3_PlPS5_mZN2at6native12_GLOBAL__N_124unique_dim_cuda_templateItEESt5tupleIJNSA_6TensorESF_SF_EERKSF_lbbbEUlllE_EE10hipError_tT0_T1_T2_jT3_P12ihipStream_tbPNSt15iterator_traitsISL_E10value_typeEPNSR_ISM_E10value_typeEPSN_NS1_7vsmem_tEENKUlT_SL_SM_SN_E_clIS8_S8_S9_S9_EESK_S10_SL_SM_SN_EUlS10_E1_NS1_11comp_targetILNS1_3genE9ELNS1_11target_archE1100ELNS1_3gpuE3ELNS1_3repE0EEENS1_36merge_oddeven_config_static_selectorELNS0_4arch9wavefront6targetE1EEEvSM_
; %bb.0:
	.section	.rodata,"a",@progbits
	.p2align	6, 0x0
	.amdhsa_kernel _ZN7rocprim17ROCPRIM_400000_NS6detail17trampoline_kernelINS0_14default_configENS1_38merge_sort_block_merge_config_selectorIlNS0_10empty_typeEEEZZNS1_27merge_sort_block_merge_implIS3_PlPS5_mZN2at6native12_GLOBAL__N_124unique_dim_cuda_templateItEESt5tupleIJNSA_6TensorESF_SF_EERKSF_lbbbEUlllE_EE10hipError_tT0_T1_T2_jT3_P12ihipStream_tbPNSt15iterator_traitsISL_E10value_typeEPNSR_ISM_E10value_typeEPSN_NS1_7vsmem_tEENKUlT_SL_SM_SN_E_clIS8_S8_S9_S9_EESK_S10_SL_SM_SN_EUlS10_E1_NS1_11comp_targetILNS1_3genE9ELNS1_11target_archE1100ELNS1_3gpuE3ELNS1_3repE0EEENS1_36merge_oddeven_config_static_selectorELNS0_4arch9wavefront6targetE1EEEvSM_
		.amdhsa_group_segment_fixed_size 0
		.amdhsa_private_segment_fixed_size 0
		.amdhsa_kernarg_size 64
		.amdhsa_user_sgpr_count 6
		.amdhsa_user_sgpr_private_segment_buffer 1
		.amdhsa_user_sgpr_dispatch_ptr 0
		.amdhsa_user_sgpr_queue_ptr 0
		.amdhsa_user_sgpr_kernarg_segment_ptr 1
		.amdhsa_user_sgpr_dispatch_id 0
		.amdhsa_user_sgpr_flat_scratch_init 0
		.amdhsa_user_sgpr_kernarg_preload_length 0
		.amdhsa_user_sgpr_kernarg_preload_offset 0
		.amdhsa_user_sgpr_private_segment_size 0
		.amdhsa_uses_dynamic_stack 0
		.amdhsa_system_sgpr_private_segment_wavefront_offset 0
		.amdhsa_system_sgpr_workgroup_id_x 1
		.amdhsa_system_sgpr_workgroup_id_y 0
		.amdhsa_system_sgpr_workgroup_id_z 0
		.amdhsa_system_sgpr_workgroup_info 0
		.amdhsa_system_vgpr_workitem_id 0
		.amdhsa_next_free_vgpr 1
		.amdhsa_next_free_sgpr 0
		.amdhsa_accum_offset 4
		.amdhsa_reserve_vcc 0
		.amdhsa_reserve_flat_scratch 0
		.amdhsa_float_round_mode_32 0
		.amdhsa_float_round_mode_16_64 0
		.amdhsa_float_denorm_mode_32 3
		.amdhsa_float_denorm_mode_16_64 3
		.amdhsa_dx10_clamp 1
		.amdhsa_ieee_mode 1
		.amdhsa_fp16_overflow 0
		.amdhsa_tg_split 0
		.amdhsa_exception_fp_ieee_invalid_op 0
		.amdhsa_exception_fp_denorm_src 0
		.amdhsa_exception_fp_ieee_div_zero 0
		.amdhsa_exception_fp_ieee_overflow 0
		.amdhsa_exception_fp_ieee_underflow 0
		.amdhsa_exception_fp_ieee_inexact 0
		.amdhsa_exception_int_div_zero 0
	.end_amdhsa_kernel
	.section	.text._ZN7rocprim17ROCPRIM_400000_NS6detail17trampoline_kernelINS0_14default_configENS1_38merge_sort_block_merge_config_selectorIlNS0_10empty_typeEEEZZNS1_27merge_sort_block_merge_implIS3_PlPS5_mZN2at6native12_GLOBAL__N_124unique_dim_cuda_templateItEESt5tupleIJNSA_6TensorESF_SF_EERKSF_lbbbEUlllE_EE10hipError_tT0_T1_T2_jT3_P12ihipStream_tbPNSt15iterator_traitsISL_E10value_typeEPNSR_ISM_E10value_typeEPSN_NS1_7vsmem_tEENKUlT_SL_SM_SN_E_clIS8_S8_S9_S9_EESK_S10_SL_SM_SN_EUlS10_E1_NS1_11comp_targetILNS1_3genE9ELNS1_11target_archE1100ELNS1_3gpuE3ELNS1_3repE0EEENS1_36merge_oddeven_config_static_selectorELNS0_4arch9wavefront6targetE1EEEvSM_,"axG",@progbits,_ZN7rocprim17ROCPRIM_400000_NS6detail17trampoline_kernelINS0_14default_configENS1_38merge_sort_block_merge_config_selectorIlNS0_10empty_typeEEEZZNS1_27merge_sort_block_merge_implIS3_PlPS5_mZN2at6native12_GLOBAL__N_124unique_dim_cuda_templateItEESt5tupleIJNSA_6TensorESF_SF_EERKSF_lbbbEUlllE_EE10hipError_tT0_T1_T2_jT3_P12ihipStream_tbPNSt15iterator_traitsISL_E10value_typeEPNSR_ISM_E10value_typeEPSN_NS1_7vsmem_tEENKUlT_SL_SM_SN_E_clIS8_S8_S9_S9_EESK_S10_SL_SM_SN_EUlS10_E1_NS1_11comp_targetILNS1_3genE9ELNS1_11target_archE1100ELNS1_3gpuE3ELNS1_3repE0EEENS1_36merge_oddeven_config_static_selectorELNS0_4arch9wavefront6targetE1EEEvSM_,comdat
.Lfunc_end1390:
	.size	_ZN7rocprim17ROCPRIM_400000_NS6detail17trampoline_kernelINS0_14default_configENS1_38merge_sort_block_merge_config_selectorIlNS0_10empty_typeEEEZZNS1_27merge_sort_block_merge_implIS3_PlPS5_mZN2at6native12_GLOBAL__N_124unique_dim_cuda_templateItEESt5tupleIJNSA_6TensorESF_SF_EERKSF_lbbbEUlllE_EE10hipError_tT0_T1_T2_jT3_P12ihipStream_tbPNSt15iterator_traitsISL_E10value_typeEPNSR_ISM_E10value_typeEPSN_NS1_7vsmem_tEENKUlT_SL_SM_SN_E_clIS8_S8_S9_S9_EESK_S10_SL_SM_SN_EUlS10_E1_NS1_11comp_targetILNS1_3genE9ELNS1_11target_archE1100ELNS1_3gpuE3ELNS1_3repE0EEENS1_36merge_oddeven_config_static_selectorELNS0_4arch9wavefront6targetE1EEEvSM_, .Lfunc_end1390-_ZN7rocprim17ROCPRIM_400000_NS6detail17trampoline_kernelINS0_14default_configENS1_38merge_sort_block_merge_config_selectorIlNS0_10empty_typeEEEZZNS1_27merge_sort_block_merge_implIS3_PlPS5_mZN2at6native12_GLOBAL__N_124unique_dim_cuda_templateItEESt5tupleIJNSA_6TensorESF_SF_EERKSF_lbbbEUlllE_EE10hipError_tT0_T1_T2_jT3_P12ihipStream_tbPNSt15iterator_traitsISL_E10value_typeEPNSR_ISM_E10value_typeEPSN_NS1_7vsmem_tEENKUlT_SL_SM_SN_E_clIS8_S8_S9_S9_EESK_S10_SL_SM_SN_EUlS10_E1_NS1_11comp_targetILNS1_3genE9ELNS1_11target_archE1100ELNS1_3gpuE3ELNS1_3repE0EEENS1_36merge_oddeven_config_static_selectorELNS0_4arch9wavefront6targetE1EEEvSM_
                                        ; -- End function
	.section	.AMDGPU.csdata,"",@progbits
; Kernel info:
; codeLenInByte = 0
; NumSgprs: 4
; NumVgprs: 0
; NumAgprs: 0
; TotalNumVgprs: 0
; ScratchSize: 0
; MemoryBound: 0
; FloatMode: 240
; IeeeMode: 1
; LDSByteSize: 0 bytes/workgroup (compile time only)
; SGPRBlocks: 0
; VGPRBlocks: 0
; NumSGPRsForWavesPerEU: 4
; NumVGPRsForWavesPerEU: 1
; AccumOffset: 4
; Occupancy: 8
; WaveLimiterHint : 0
; COMPUTE_PGM_RSRC2:SCRATCH_EN: 0
; COMPUTE_PGM_RSRC2:USER_SGPR: 6
; COMPUTE_PGM_RSRC2:TRAP_HANDLER: 0
; COMPUTE_PGM_RSRC2:TGID_X_EN: 1
; COMPUTE_PGM_RSRC2:TGID_Y_EN: 0
; COMPUTE_PGM_RSRC2:TGID_Z_EN: 0
; COMPUTE_PGM_RSRC2:TIDIG_COMP_CNT: 0
; COMPUTE_PGM_RSRC3_GFX90A:ACCUM_OFFSET: 0
; COMPUTE_PGM_RSRC3_GFX90A:TG_SPLIT: 0
	.section	.text._ZN7rocprim17ROCPRIM_400000_NS6detail17trampoline_kernelINS0_14default_configENS1_38merge_sort_block_merge_config_selectorIlNS0_10empty_typeEEEZZNS1_27merge_sort_block_merge_implIS3_PlPS5_mZN2at6native12_GLOBAL__N_124unique_dim_cuda_templateItEESt5tupleIJNSA_6TensorESF_SF_EERKSF_lbbbEUlllE_EE10hipError_tT0_T1_T2_jT3_P12ihipStream_tbPNSt15iterator_traitsISL_E10value_typeEPNSR_ISM_E10value_typeEPSN_NS1_7vsmem_tEENKUlT_SL_SM_SN_E_clIS8_S8_S9_S9_EESK_S10_SL_SM_SN_EUlS10_E1_NS1_11comp_targetILNS1_3genE8ELNS1_11target_archE1030ELNS1_3gpuE2ELNS1_3repE0EEENS1_36merge_oddeven_config_static_selectorELNS0_4arch9wavefront6targetE1EEEvSM_,"axG",@progbits,_ZN7rocprim17ROCPRIM_400000_NS6detail17trampoline_kernelINS0_14default_configENS1_38merge_sort_block_merge_config_selectorIlNS0_10empty_typeEEEZZNS1_27merge_sort_block_merge_implIS3_PlPS5_mZN2at6native12_GLOBAL__N_124unique_dim_cuda_templateItEESt5tupleIJNSA_6TensorESF_SF_EERKSF_lbbbEUlllE_EE10hipError_tT0_T1_T2_jT3_P12ihipStream_tbPNSt15iterator_traitsISL_E10value_typeEPNSR_ISM_E10value_typeEPSN_NS1_7vsmem_tEENKUlT_SL_SM_SN_E_clIS8_S8_S9_S9_EESK_S10_SL_SM_SN_EUlS10_E1_NS1_11comp_targetILNS1_3genE8ELNS1_11target_archE1030ELNS1_3gpuE2ELNS1_3repE0EEENS1_36merge_oddeven_config_static_selectorELNS0_4arch9wavefront6targetE1EEEvSM_,comdat
	.globl	_ZN7rocprim17ROCPRIM_400000_NS6detail17trampoline_kernelINS0_14default_configENS1_38merge_sort_block_merge_config_selectorIlNS0_10empty_typeEEEZZNS1_27merge_sort_block_merge_implIS3_PlPS5_mZN2at6native12_GLOBAL__N_124unique_dim_cuda_templateItEESt5tupleIJNSA_6TensorESF_SF_EERKSF_lbbbEUlllE_EE10hipError_tT0_T1_T2_jT3_P12ihipStream_tbPNSt15iterator_traitsISL_E10value_typeEPNSR_ISM_E10value_typeEPSN_NS1_7vsmem_tEENKUlT_SL_SM_SN_E_clIS8_S8_S9_S9_EESK_S10_SL_SM_SN_EUlS10_E1_NS1_11comp_targetILNS1_3genE8ELNS1_11target_archE1030ELNS1_3gpuE2ELNS1_3repE0EEENS1_36merge_oddeven_config_static_selectorELNS0_4arch9wavefront6targetE1EEEvSM_ ; -- Begin function _ZN7rocprim17ROCPRIM_400000_NS6detail17trampoline_kernelINS0_14default_configENS1_38merge_sort_block_merge_config_selectorIlNS0_10empty_typeEEEZZNS1_27merge_sort_block_merge_implIS3_PlPS5_mZN2at6native12_GLOBAL__N_124unique_dim_cuda_templateItEESt5tupleIJNSA_6TensorESF_SF_EERKSF_lbbbEUlllE_EE10hipError_tT0_T1_T2_jT3_P12ihipStream_tbPNSt15iterator_traitsISL_E10value_typeEPNSR_ISM_E10value_typeEPSN_NS1_7vsmem_tEENKUlT_SL_SM_SN_E_clIS8_S8_S9_S9_EESK_S10_SL_SM_SN_EUlS10_E1_NS1_11comp_targetILNS1_3genE8ELNS1_11target_archE1030ELNS1_3gpuE2ELNS1_3repE0EEENS1_36merge_oddeven_config_static_selectorELNS0_4arch9wavefront6targetE1EEEvSM_
	.p2align	8
	.type	_ZN7rocprim17ROCPRIM_400000_NS6detail17trampoline_kernelINS0_14default_configENS1_38merge_sort_block_merge_config_selectorIlNS0_10empty_typeEEEZZNS1_27merge_sort_block_merge_implIS3_PlPS5_mZN2at6native12_GLOBAL__N_124unique_dim_cuda_templateItEESt5tupleIJNSA_6TensorESF_SF_EERKSF_lbbbEUlllE_EE10hipError_tT0_T1_T2_jT3_P12ihipStream_tbPNSt15iterator_traitsISL_E10value_typeEPNSR_ISM_E10value_typeEPSN_NS1_7vsmem_tEENKUlT_SL_SM_SN_E_clIS8_S8_S9_S9_EESK_S10_SL_SM_SN_EUlS10_E1_NS1_11comp_targetILNS1_3genE8ELNS1_11target_archE1030ELNS1_3gpuE2ELNS1_3repE0EEENS1_36merge_oddeven_config_static_selectorELNS0_4arch9wavefront6targetE1EEEvSM_,@function
_ZN7rocprim17ROCPRIM_400000_NS6detail17trampoline_kernelINS0_14default_configENS1_38merge_sort_block_merge_config_selectorIlNS0_10empty_typeEEEZZNS1_27merge_sort_block_merge_implIS3_PlPS5_mZN2at6native12_GLOBAL__N_124unique_dim_cuda_templateItEESt5tupleIJNSA_6TensorESF_SF_EERKSF_lbbbEUlllE_EE10hipError_tT0_T1_T2_jT3_P12ihipStream_tbPNSt15iterator_traitsISL_E10value_typeEPNSR_ISM_E10value_typeEPSN_NS1_7vsmem_tEENKUlT_SL_SM_SN_E_clIS8_S8_S9_S9_EESK_S10_SL_SM_SN_EUlS10_E1_NS1_11comp_targetILNS1_3genE8ELNS1_11target_archE1030ELNS1_3gpuE2ELNS1_3repE0EEENS1_36merge_oddeven_config_static_selectorELNS0_4arch9wavefront6targetE1EEEvSM_: ; @_ZN7rocprim17ROCPRIM_400000_NS6detail17trampoline_kernelINS0_14default_configENS1_38merge_sort_block_merge_config_selectorIlNS0_10empty_typeEEEZZNS1_27merge_sort_block_merge_implIS3_PlPS5_mZN2at6native12_GLOBAL__N_124unique_dim_cuda_templateItEESt5tupleIJNSA_6TensorESF_SF_EERKSF_lbbbEUlllE_EE10hipError_tT0_T1_T2_jT3_P12ihipStream_tbPNSt15iterator_traitsISL_E10value_typeEPNSR_ISM_E10value_typeEPSN_NS1_7vsmem_tEENKUlT_SL_SM_SN_E_clIS8_S8_S9_S9_EESK_S10_SL_SM_SN_EUlS10_E1_NS1_11comp_targetILNS1_3genE8ELNS1_11target_archE1030ELNS1_3gpuE2ELNS1_3repE0EEENS1_36merge_oddeven_config_static_selectorELNS0_4arch9wavefront6targetE1EEEvSM_
; %bb.0:
	.section	.rodata,"a",@progbits
	.p2align	6, 0x0
	.amdhsa_kernel _ZN7rocprim17ROCPRIM_400000_NS6detail17trampoline_kernelINS0_14default_configENS1_38merge_sort_block_merge_config_selectorIlNS0_10empty_typeEEEZZNS1_27merge_sort_block_merge_implIS3_PlPS5_mZN2at6native12_GLOBAL__N_124unique_dim_cuda_templateItEESt5tupleIJNSA_6TensorESF_SF_EERKSF_lbbbEUlllE_EE10hipError_tT0_T1_T2_jT3_P12ihipStream_tbPNSt15iterator_traitsISL_E10value_typeEPNSR_ISM_E10value_typeEPSN_NS1_7vsmem_tEENKUlT_SL_SM_SN_E_clIS8_S8_S9_S9_EESK_S10_SL_SM_SN_EUlS10_E1_NS1_11comp_targetILNS1_3genE8ELNS1_11target_archE1030ELNS1_3gpuE2ELNS1_3repE0EEENS1_36merge_oddeven_config_static_selectorELNS0_4arch9wavefront6targetE1EEEvSM_
		.amdhsa_group_segment_fixed_size 0
		.amdhsa_private_segment_fixed_size 0
		.amdhsa_kernarg_size 64
		.amdhsa_user_sgpr_count 6
		.amdhsa_user_sgpr_private_segment_buffer 1
		.amdhsa_user_sgpr_dispatch_ptr 0
		.amdhsa_user_sgpr_queue_ptr 0
		.amdhsa_user_sgpr_kernarg_segment_ptr 1
		.amdhsa_user_sgpr_dispatch_id 0
		.amdhsa_user_sgpr_flat_scratch_init 0
		.amdhsa_user_sgpr_kernarg_preload_length 0
		.amdhsa_user_sgpr_kernarg_preload_offset 0
		.amdhsa_user_sgpr_private_segment_size 0
		.amdhsa_uses_dynamic_stack 0
		.amdhsa_system_sgpr_private_segment_wavefront_offset 0
		.amdhsa_system_sgpr_workgroup_id_x 1
		.amdhsa_system_sgpr_workgroup_id_y 0
		.amdhsa_system_sgpr_workgroup_id_z 0
		.amdhsa_system_sgpr_workgroup_info 0
		.amdhsa_system_vgpr_workitem_id 0
		.amdhsa_next_free_vgpr 1
		.amdhsa_next_free_sgpr 0
		.amdhsa_accum_offset 4
		.amdhsa_reserve_vcc 0
		.amdhsa_reserve_flat_scratch 0
		.amdhsa_float_round_mode_32 0
		.amdhsa_float_round_mode_16_64 0
		.amdhsa_float_denorm_mode_32 3
		.amdhsa_float_denorm_mode_16_64 3
		.amdhsa_dx10_clamp 1
		.amdhsa_ieee_mode 1
		.amdhsa_fp16_overflow 0
		.amdhsa_tg_split 0
		.amdhsa_exception_fp_ieee_invalid_op 0
		.amdhsa_exception_fp_denorm_src 0
		.amdhsa_exception_fp_ieee_div_zero 0
		.amdhsa_exception_fp_ieee_overflow 0
		.amdhsa_exception_fp_ieee_underflow 0
		.amdhsa_exception_fp_ieee_inexact 0
		.amdhsa_exception_int_div_zero 0
	.end_amdhsa_kernel
	.section	.text._ZN7rocprim17ROCPRIM_400000_NS6detail17trampoline_kernelINS0_14default_configENS1_38merge_sort_block_merge_config_selectorIlNS0_10empty_typeEEEZZNS1_27merge_sort_block_merge_implIS3_PlPS5_mZN2at6native12_GLOBAL__N_124unique_dim_cuda_templateItEESt5tupleIJNSA_6TensorESF_SF_EERKSF_lbbbEUlllE_EE10hipError_tT0_T1_T2_jT3_P12ihipStream_tbPNSt15iterator_traitsISL_E10value_typeEPNSR_ISM_E10value_typeEPSN_NS1_7vsmem_tEENKUlT_SL_SM_SN_E_clIS8_S8_S9_S9_EESK_S10_SL_SM_SN_EUlS10_E1_NS1_11comp_targetILNS1_3genE8ELNS1_11target_archE1030ELNS1_3gpuE2ELNS1_3repE0EEENS1_36merge_oddeven_config_static_selectorELNS0_4arch9wavefront6targetE1EEEvSM_,"axG",@progbits,_ZN7rocprim17ROCPRIM_400000_NS6detail17trampoline_kernelINS0_14default_configENS1_38merge_sort_block_merge_config_selectorIlNS0_10empty_typeEEEZZNS1_27merge_sort_block_merge_implIS3_PlPS5_mZN2at6native12_GLOBAL__N_124unique_dim_cuda_templateItEESt5tupleIJNSA_6TensorESF_SF_EERKSF_lbbbEUlllE_EE10hipError_tT0_T1_T2_jT3_P12ihipStream_tbPNSt15iterator_traitsISL_E10value_typeEPNSR_ISM_E10value_typeEPSN_NS1_7vsmem_tEENKUlT_SL_SM_SN_E_clIS8_S8_S9_S9_EESK_S10_SL_SM_SN_EUlS10_E1_NS1_11comp_targetILNS1_3genE8ELNS1_11target_archE1030ELNS1_3gpuE2ELNS1_3repE0EEENS1_36merge_oddeven_config_static_selectorELNS0_4arch9wavefront6targetE1EEEvSM_,comdat
.Lfunc_end1391:
	.size	_ZN7rocprim17ROCPRIM_400000_NS6detail17trampoline_kernelINS0_14default_configENS1_38merge_sort_block_merge_config_selectorIlNS0_10empty_typeEEEZZNS1_27merge_sort_block_merge_implIS3_PlPS5_mZN2at6native12_GLOBAL__N_124unique_dim_cuda_templateItEESt5tupleIJNSA_6TensorESF_SF_EERKSF_lbbbEUlllE_EE10hipError_tT0_T1_T2_jT3_P12ihipStream_tbPNSt15iterator_traitsISL_E10value_typeEPNSR_ISM_E10value_typeEPSN_NS1_7vsmem_tEENKUlT_SL_SM_SN_E_clIS8_S8_S9_S9_EESK_S10_SL_SM_SN_EUlS10_E1_NS1_11comp_targetILNS1_3genE8ELNS1_11target_archE1030ELNS1_3gpuE2ELNS1_3repE0EEENS1_36merge_oddeven_config_static_selectorELNS0_4arch9wavefront6targetE1EEEvSM_, .Lfunc_end1391-_ZN7rocprim17ROCPRIM_400000_NS6detail17trampoline_kernelINS0_14default_configENS1_38merge_sort_block_merge_config_selectorIlNS0_10empty_typeEEEZZNS1_27merge_sort_block_merge_implIS3_PlPS5_mZN2at6native12_GLOBAL__N_124unique_dim_cuda_templateItEESt5tupleIJNSA_6TensorESF_SF_EERKSF_lbbbEUlllE_EE10hipError_tT0_T1_T2_jT3_P12ihipStream_tbPNSt15iterator_traitsISL_E10value_typeEPNSR_ISM_E10value_typeEPSN_NS1_7vsmem_tEENKUlT_SL_SM_SN_E_clIS8_S8_S9_S9_EESK_S10_SL_SM_SN_EUlS10_E1_NS1_11comp_targetILNS1_3genE8ELNS1_11target_archE1030ELNS1_3gpuE2ELNS1_3repE0EEENS1_36merge_oddeven_config_static_selectorELNS0_4arch9wavefront6targetE1EEEvSM_
                                        ; -- End function
	.section	.AMDGPU.csdata,"",@progbits
; Kernel info:
; codeLenInByte = 0
; NumSgprs: 4
; NumVgprs: 0
; NumAgprs: 0
; TotalNumVgprs: 0
; ScratchSize: 0
; MemoryBound: 0
; FloatMode: 240
; IeeeMode: 1
; LDSByteSize: 0 bytes/workgroup (compile time only)
; SGPRBlocks: 0
; VGPRBlocks: 0
; NumSGPRsForWavesPerEU: 4
; NumVGPRsForWavesPerEU: 1
; AccumOffset: 4
; Occupancy: 8
; WaveLimiterHint : 0
; COMPUTE_PGM_RSRC2:SCRATCH_EN: 0
; COMPUTE_PGM_RSRC2:USER_SGPR: 6
; COMPUTE_PGM_RSRC2:TRAP_HANDLER: 0
; COMPUTE_PGM_RSRC2:TGID_X_EN: 1
; COMPUTE_PGM_RSRC2:TGID_Y_EN: 0
; COMPUTE_PGM_RSRC2:TGID_Z_EN: 0
; COMPUTE_PGM_RSRC2:TIDIG_COMP_CNT: 0
; COMPUTE_PGM_RSRC3_GFX90A:ACCUM_OFFSET: 0
; COMPUTE_PGM_RSRC3_GFX90A:TG_SPLIT: 0
	.section	.text._ZN7rocprim17ROCPRIM_400000_NS6detail17trampoline_kernelINS0_14default_configENS1_35adjacent_difference_config_selectorILb0ElEEZNS1_24adjacent_difference_implIS3_Lb0ELb0EPlS7_ZN2at6native12_GLOBAL__N_124unique_dim_cuda_templateItEESt5tupleIJNS8_6TensorESD_SD_EERKSD_lbbbEUlllE1_EE10hipError_tPvRmT2_T3_mT4_P12ihipStream_tbEUlT_E_NS1_11comp_targetILNS1_3genE0ELNS1_11target_archE4294967295ELNS1_3gpuE0ELNS1_3repE0EEENS1_30default_config_static_selectorELNS0_4arch9wavefront6targetE1EEEvT1_,"axG",@progbits,_ZN7rocprim17ROCPRIM_400000_NS6detail17trampoline_kernelINS0_14default_configENS1_35adjacent_difference_config_selectorILb0ElEEZNS1_24adjacent_difference_implIS3_Lb0ELb0EPlS7_ZN2at6native12_GLOBAL__N_124unique_dim_cuda_templateItEESt5tupleIJNS8_6TensorESD_SD_EERKSD_lbbbEUlllE1_EE10hipError_tPvRmT2_T3_mT4_P12ihipStream_tbEUlT_E_NS1_11comp_targetILNS1_3genE0ELNS1_11target_archE4294967295ELNS1_3gpuE0ELNS1_3repE0EEENS1_30default_config_static_selectorELNS0_4arch9wavefront6targetE1EEEvT1_,comdat
	.globl	_ZN7rocprim17ROCPRIM_400000_NS6detail17trampoline_kernelINS0_14default_configENS1_35adjacent_difference_config_selectorILb0ElEEZNS1_24adjacent_difference_implIS3_Lb0ELb0EPlS7_ZN2at6native12_GLOBAL__N_124unique_dim_cuda_templateItEESt5tupleIJNS8_6TensorESD_SD_EERKSD_lbbbEUlllE1_EE10hipError_tPvRmT2_T3_mT4_P12ihipStream_tbEUlT_E_NS1_11comp_targetILNS1_3genE0ELNS1_11target_archE4294967295ELNS1_3gpuE0ELNS1_3repE0EEENS1_30default_config_static_selectorELNS0_4arch9wavefront6targetE1EEEvT1_ ; -- Begin function _ZN7rocprim17ROCPRIM_400000_NS6detail17trampoline_kernelINS0_14default_configENS1_35adjacent_difference_config_selectorILb0ElEEZNS1_24adjacent_difference_implIS3_Lb0ELb0EPlS7_ZN2at6native12_GLOBAL__N_124unique_dim_cuda_templateItEESt5tupleIJNS8_6TensorESD_SD_EERKSD_lbbbEUlllE1_EE10hipError_tPvRmT2_T3_mT4_P12ihipStream_tbEUlT_E_NS1_11comp_targetILNS1_3genE0ELNS1_11target_archE4294967295ELNS1_3gpuE0ELNS1_3repE0EEENS1_30default_config_static_selectorELNS0_4arch9wavefront6targetE1EEEvT1_
	.p2align	8
	.type	_ZN7rocprim17ROCPRIM_400000_NS6detail17trampoline_kernelINS0_14default_configENS1_35adjacent_difference_config_selectorILb0ElEEZNS1_24adjacent_difference_implIS3_Lb0ELb0EPlS7_ZN2at6native12_GLOBAL__N_124unique_dim_cuda_templateItEESt5tupleIJNS8_6TensorESD_SD_EERKSD_lbbbEUlllE1_EE10hipError_tPvRmT2_T3_mT4_P12ihipStream_tbEUlT_E_NS1_11comp_targetILNS1_3genE0ELNS1_11target_archE4294967295ELNS1_3gpuE0ELNS1_3repE0EEENS1_30default_config_static_selectorELNS0_4arch9wavefront6targetE1EEEvT1_,@function
_ZN7rocprim17ROCPRIM_400000_NS6detail17trampoline_kernelINS0_14default_configENS1_35adjacent_difference_config_selectorILb0ElEEZNS1_24adjacent_difference_implIS3_Lb0ELb0EPlS7_ZN2at6native12_GLOBAL__N_124unique_dim_cuda_templateItEESt5tupleIJNS8_6TensorESD_SD_EERKSD_lbbbEUlllE1_EE10hipError_tPvRmT2_T3_mT4_P12ihipStream_tbEUlT_E_NS1_11comp_targetILNS1_3genE0ELNS1_11target_archE4294967295ELNS1_3gpuE0ELNS1_3repE0EEENS1_30default_config_static_selectorELNS0_4arch9wavefront6targetE1EEEvT1_: ; @_ZN7rocprim17ROCPRIM_400000_NS6detail17trampoline_kernelINS0_14default_configENS1_35adjacent_difference_config_selectorILb0ElEEZNS1_24adjacent_difference_implIS3_Lb0ELb0EPlS7_ZN2at6native12_GLOBAL__N_124unique_dim_cuda_templateItEESt5tupleIJNS8_6TensorESD_SD_EERKSD_lbbbEUlllE1_EE10hipError_tPvRmT2_T3_mT4_P12ihipStream_tbEUlT_E_NS1_11comp_targetILNS1_3genE0ELNS1_11target_archE4294967295ELNS1_3gpuE0ELNS1_3repE0EEENS1_30default_config_static_selectorELNS0_4arch9wavefront6targetE1EEEvT1_
; %bb.0:
	.section	.rodata,"a",@progbits
	.p2align	6, 0x0
	.amdhsa_kernel _ZN7rocprim17ROCPRIM_400000_NS6detail17trampoline_kernelINS0_14default_configENS1_35adjacent_difference_config_selectorILb0ElEEZNS1_24adjacent_difference_implIS3_Lb0ELb0EPlS7_ZN2at6native12_GLOBAL__N_124unique_dim_cuda_templateItEESt5tupleIJNS8_6TensorESD_SD_EERKSD_lbbbEUlllE1_EE10hipError_tPvRmT2_T3_mT4_P12ihipStream_tbEUlT_E_NS1_11comp_targetILNS1_3genE0ELNS1_11target_archE4294967295ELNS1_3gpuE0ELNS1_3repE0EEENS1_30default_config_static_selectorELNS0_4arch9wavefront6targetE1EEEvT1_
		.amdhsa_group_segment_fixed_size 0
		.amdhsa_private_segment_fixed_size 0
		.amdhsa_kernarg_size 64
		.amdhsa_user_sgpr_count 6
		.amdhsa_user_sgpr_private_segment_buffer 1
		.amdhsa_user_sgpr_dispatch_ptr 0
		.amdhsa_user_sgpr_queue_ptr 0
		.amdhsa_user_sgpr_kernarg_segment_ptr 1
		.amdhsa_user_sgpr_dispatch_id 0
		.amdhsa_user_sgpr_flat_scratch_init 0
		.amdhsa_user_sgpr_kernarg_preload_length 0
		.amdhsa_user_sgpr_kernarg_preload_offset 0
		.amdhsa_user_sgpr_private_segment_size 0
		.amdhsa_uses_dynamic_stack 0
		.amdhsa_system_sgpr_private_segment_wavefront_offset 0
		.amdhsa_system_sgpr_workgroup_id_x 1
		.amdhsa_system_sgpr_workgroup_id_y 0
		.amdhsa_system_sgpr_workgroup_id_z 0
		.amdhsa_system_sgpr_workgroup_info 0
		.amdhsa_system_vgpr_workitem_id 0
		.amdhsa_next_free_vgpr 1
		.amdhsa_next_free_sgpr 0
		.amdhsa_accum_offset 4
		.amdhsa_reserve_vcc 0
		.amdhsa_reserve_flat_scratch 0
		.amdhsa_float_round_mode_32 0
		.amdhsa_float_round_mode_16_64 0
		.amdhsa_float_denorm_mode_32 3
		.amdhsa_float_denorm_mode_16_64 3
		.amdhsa_dx10_clamp 1
		.amdhsa_ieee_mode 1
		.amdhsa_fp16_overflow 0
		.amdhsa_tg_split 0
		.amdhsa_exception_fp_ieee_invalid_op 0
		.amdhsa_exception_fp_denorm_src 0
		.amdhsa_exception_fp_ieee_div_zero 0
		.amdhsa_exception_fp_ieee_overflow 0
		.amdhsa_exception_fp_ieee_underflow 0
		.amdhsa_exception_fp_ieee_inexact 0
		.amdhsa_exception_int_div_zero 0
	.end_amdhsa_kernel
	.section	.text._ZN7rocprim17ROCPRIM_400000_NS6detail17trampoline_kernelINS0_14default_configENS1_35adjacent_difference_config_selectorILb0ElEEZNS1_24adjacent_difference_implIS3_Lb0ELb0EPlS7_ZN2at6native12_GLOBAL__N_124unique_dim_cuda_templateItEESt5tupleIJNS8_6TensorESD_SD_EERKSD_lbbbEUlllE1_EE10hipError_tPvRmT2_T3_mT4_P12ihipStream_tbEUlT_E_NS1_11comp_targetILNS1_3genE0ELNS1_11target_archE4294967295ELNS1_3gpuE0ELNS1_3repE0EEENS1_30default_config_static_selectorELNS0_4arch9wavefront6targetE1EEEvT1_,"axG",@progbits,_ZN7rocprim17ROCPRIM_400000_NS6detail17trampoline_kernelINS0_14default_configENS1_35adjacent_difference_config_selectorILb0ElEEZNS1_24adjacent_difference_implIS3_Lb0ELb0EPlS7_ZN2at6native12_GLOBAL__N_124unique_dim_cuda_templateItEESt5tupleIJNS8_6TensorESD_SD_EERKSD_lbbbEUlllE1_EE10hipError_tPvRmT2_T3_mT4_P12ihipStream_tbEUlT_E_NS1_11comp_targetILNS1_3genE0ELNS1_11target_archE4294967295ELNS1_3gpuE0ELNS1_3repE0EEENS1_30default_config_static_selectorELNS0_4arch9wavefront6targetE1EEEvT1_,comdat
.Lfunc_end1392:
	.size	_ZN7rocprim17ROCPRIM_400000_NS6detail17trampoline_kernelINS0_14default_configENS1_35adjacent_difference_config_selectorILb0ElEEZNS1_24adjacent_difference_implIS3_Lb0ELb0EPlS7_ZN2at6native12_GLOBAL__N_124unique_dim_cuda_templateItEESt5tupleIJNS8_6TensorESD_SD_EERKSD_lbbbEUlllE1_EE10hipError_tPvRmT2_T3_mT4_P12ihipStream_tbEUlT_E_NS1_11comp_targetILNS1_3genE0ELNS1_11target_archE4294967295ELNS1_3gpuE0ELNS1_3repE0EEENS1_30default_config_static_selectorELNS0_4arch9wavefront6targetE1EEEvT1_, .Lfunc_end1392-_ZN7rocprim17ROCPRIM_400000_NS6detail17trampoline_kernelINS0_14default_configENS1_35adjacent_difference_config_selectorILb0ElEEZNS1_24adjacent_difference_implIS3_Lb0ELb0EPlS7_ZN2at6native12_GLOBAL__N_124unique_dim_cuda_templateItEESt5tupleIJNS8_6TensorESD_SD_EERKSD_lbbbEUlllE1_EE10hipError_tPvRmT2_T3_mT4_P12ihipStream_tbEUlT_E_NS1_11comp_targetILNS1_3genE0ELNS1_11target_archE4294967295ELNS1_3gpuE0ELNS1_3repE0EEENS1_30default_config_static_selectorELNS0_4arch9wavefront6targetE1EEEvT1_
                                        ; -- End function
	.section	.AMDGPU.csdata,"",@progbits
; Kernel info:
; codeLenInByte = 0
; NumSgprs: 4
; NumVgprs: 0
; NumAgprs: 0
; TotalNumVgprs: 0
; ScratchSize: 0
; MemoryBound: 0
; FloatMode: 240
; IeeeMode: 1
; LDSByteSize: 0 bytes/workgroup (compile time only)
; SGPRBlocks: 0
; VGPRBlocks: 0
; NumSGPRsForWavesPerEU: 4
; NumVGPRsForWavesPerEU: 1
; AccumOffset: 4
; Occupancy: 8
; WaveLimiterHint : 0
; COMPUTE_PGM_RSRC2:SCRATCH_EN: 0
; COMPUTE_PGM_RSRC2:USER_SGPR: 6
; COMPUTE_PGM_RSRC2:TRAP_HANDLER: 0
; COMPUTE_PGM_RSRC2:TGID_X_EN: 1
; COMPUTE_PGM_RSRC2:TGID_Y_EN: 0
; COMPUTE_PGM_RSRC2:TGID_Z_EN: 0
; COMPUTE_PGM_RSRC2:TIDIG_COMP_CNT: 0
; COMPUTE_PGM_RSRC3_GFX90A:ACCUM_OFFSET: 0
; COMPUTE_PGM_RSRC3_GFX90A:TG_SPLIT: 0
	.section	.text._ZN7rocprim17ROCPRIM_400000_NS6detail17trampoline_kernelINS0_14default_configENS1_35adjacent_difference_config_selectorILb0ElEEZNS1_24adjacent_difference_implIS3_Lb0ELb0EPlS7_ZN2at6native12_GLOBAL__N_124unique_dim_cuda_templateItEESt5tupleIJNS8_6TensorESD_SD_EERKSD_lbbbEUlllE1_EE10hipError_tPvRmT2_T3_mT4_P12ihipStream_tbEUlT_E_NS1_11comp_targetILNS1_3genE10ELNS1_11target_archE1201ELNS1_3gpuE5ELNS1_3repE0EEENS1_30default_config_static_selectorELNS0_4arch9wavefront6targetE1EEEvT1_,"axG",@progbits,_ZN7rocprim17ROCPRIM_400000_NS6detail17trampoline_kernelINS0_14default_configENS1_35adjacent_difference_config_selectorILb0ElEEZNS1_24adjacent_difference_implIS3_Lb0ELb0EPlS7_ZN2at6native12_GLOBAL__N_124unique_dim_cuda_templateItEESt5tupleIJNS8_6TensorESD_SD_EERKSD_lbbbEUlllE1_EE10hipError_tPvRmT2_T3_mT4_P12ihipStream_tbEUlT_E_NS1_11comp_targetILNS1_3genE10ELNS1_11target_archE1201ELNS1_3gpuE5ELNS1_3repE0EEENS1_30default_config_static_selectorELNS0_4arch9wavefront6targetE1EEEvT1_,comdat
	.globl	_ZN7rocprim17ROCPRIM_400000_NS6detail17trampoline_kernelINS0_14default_configENS1_35adjacent_difference_config_selectorILb0ElEEZNS1_24adjacent_difference_implIS3_Lb0ELb0EPlS7_ZN2at6native12_GLOBAL__N_124unique_dim_cuda_templateItEESt5tupleIJNS8_6TensorESD_SD_EERKSD_lbbbEUlllE1_EE10hipError_tPvRmT2_T3_mT4_P12ihipStream_tbEUlT_E_NS1_11comp_targetILNS1_3genE10ELNS1_11target_archE1201ELNS1_3gpuE5ELNS1_3repE0EEENS1_30default_config_static_selectorELNS0_4arch9wavefront6targetE1EEEvT1_ ; -- Begin function _ZN7rocprim17ROCPRIM_400000_NS6detail17trampoline_kernelINS0_14default_configENS1_35adjacent_difference_config_selectorILb0ElEEZNS1_24adjacent_difference_implIS3_Lb0ELb0EPlS7_ZN2at6native12_GLOBAL__N_124unique_dim_cuda_templateItEESt5tupleIJNS8_6TensorESD_SD_EERKSD_lbbbEUlllE1_EE10hipError_tPvRmT2_T3_mT4_P12ihipStream_tbEUlT_E_NS1_11comp_targetILNS1_3genE10ELNS1_11target_archE1201ELNS1_3gpuE5ELNS1_3repE0EEENS1_30default_config_static_selectorELNS0_4arch9wavefront6targetE1EEEvT1_
	.p2align	8
	.type	_ZN7rocprim17ROCPRIM_400000_NS6detail17trampoline_kernelINS0_14default_configENS1_35adjacent_difference_config_selectorILb0ElEEZNS1_24adjacent_difference_implIS3_Lb0ELb0EPlS7_ZN2at6native12_GLOBAL__N_124unique_dim_cuda_templateItEESt5tupleIJNS8_6TensorESD_SD_EERKSD_lbbbEUlllE1_EE10hipError_tPvRmT2_T3_mT4_P12ihipStream_tbEUlT_E_NS1_11comp_targetILNS1_3genE10ELNS1_11target_archE1201ELNS1_3gpuE5ELNS1_3repE0EEENS1_30default_config_static_selectorELNS0_4arch9wavefront6targetE1EEEvT1_,@function
_ZN7rocprim17ROCPRIM_400000_NS6detail17trampoline_kernelINS0_14default_configENS1_35adjacent_difference_config_selectorILb0ElEEZNS1_24adjacent_difference_implIS3_Lb0ELb0EPlS7_ZN2at6native12_GLOBAL__N_124unique_dim_cuda_templateItEESt5tupleIJNS8_6TensorESD_SD_EERKSD_lbbbEUlllE1_EE10hipError_tPvRmT2_T3_mT4_P12ihipStream_tbEUlT_E_NS1_11comp_targetILNS1_3genE10ELNS1_11target_archE1201ELNS1_3gpuE5ELNS1_3repE0EEENS1_30default_config_static_selectorELNS0_4arch9wavefront6targetE1EEEvT1_: ; @_ZN7rocprim17ROCPRIM_400000_NS6detail17trampoline_kernelINS0_14default_configENS1_35adjacent_difference_config_selectorILb0ElEEZNS1_24adjacent_difference_implIS3_Lb0ELb0EPlS7_ZN2at6native12_GLOBAL__N_124unique_dim_cuda_templateItEESt5tupleIJNS8_6TensorESD_SD_EERKSD_lbbbEUlllE1_EE10hipError_tPvRmT2_T3_mT4_P12ihipStream_tbEUlT_E_NS1_11comp_targetILNS1_3genE10ELNS1_11target_archE1201ELNS1_3gpuE5ELNS1_3repE0EEENS1_30default_config_static_selectorELNS0_4arch9wavefront6targetE1EEEvT1_
; %bb.0:
	.section	.rodata,"a",@progbits
	.p2align	6, 0x0
	.amdhsa_kernel _ZN7rocprim17ROCPRIM_400000_NS6detail17trampoline_kernelINS0_14default_configENS1_35adjacent_difference_config_selectorILb0ElEEZNS1_24adjacent_difference_implIS3_Lb0ELb0EPlS7_ZN2at6native12_GLOBAL__N_124unique_dim_cuda_templateItEESt5tupleIJNS8_6TensorESD_SD_EERKSD_lbbbEUlllE1_EE10hipError_tPvRmT2_T3_mT4_P12ihipStream_tbEUlT_E_NS1_11comp_targetILNS1_3genE10ELNS1_11target_archE1201ELNS1_3gpuE5ELNS1_3repE0EEENS1_30default_config_static_selectorELNS0_4arch9wavefront6targetE1EEEvT1_
		.amdhsa_group_segment_fixed_size 0
		.amdhsa_private_segment_fixed_size 0
		.amdhsa_kernarg_size 64
		.amdhsa_user_sgpr_count 6
		.amdhsa_user_sgpr_private_segment_buffer 1
		.amdhsa_user_sgpr_dispatch_ptr 0
		.amdhsa_user_sgpr_queue_ptr 0
		.amdhsa_user_sgpr_kernarg_segment_ptr 1
		.amdhsa_user_sgpr_dispatch_id 0
		.amdhsa_user_sgpr_flat_scratch_init 0
		.amdhsa_user_sgpr_kernarg_preload_length 0
		.amdhsa_user_sgpr_kernarg_preload_offset 0
		.amdhsa_user_sgpr_private_segment_size 0
		.amdhsa_uses_dynamic_stack 0
		.amdhsa_system_sgpr_private_segment_wavefront_offset 0
		.amdhsa_system_sgpr_workgroup_id_x 1
		.amdhsa_system_sgpr_workgroup_id_y 0
		.amdhsa_system_sgpr_workgroup_id_z 0
		.amdhsa_system_sgpr_workgroup_info 0
		.amdhsa_system_vgpr_workitem_id 0
		.amdhsa_next_free_vgpr 1
		.amdhsa_next_free_sgpr 0
		.amdhsa_accum_offset 4
		.amdhsa_reserve_vcc 0
		.amdhsa_reserve_flat_scratch 0
		.amdhsa_float_round_mode_32 0
		.amdhsa_float_round_mode_16_64 0
		.amdhsa_float_denorm_mode_32 3
		.amdhsa_float_denorm_mode_16_64 3
		.amdhsa_dx10_clamp 1
		.amdhsa_ieee_mode 1
		.amdhsa_fp16_overflow 0
		.amdhsa_tg_split 0
		.amdhsa_exception_fp_ieee_invalid_op 0
		.amdhsa_exception_fp_denorm_src 0
		.amdhsa_exception_fp_ieee_div_zero 0
		.amdhsa_exception_fp_ieee_overflow 0
		.amdhsa_exception_fp_ieee_underflow 0
		.amdhsa_exception_fp_ieee_inexact 0
		.amdhsa_exception_int_div_zero 0
	.end_amdhsa_kernel
	.section	.text._ZN7rocprim17ROCPRIM_400000_NS6detail17trampoline_kernelINS0_14default_configENS1_35adjacent_difference_config_selectorILb0ElEEZNS1_24adjacent_difference_implIS3_Lb0ELb0EPlS7_ZN2at6native12_GLOBAL__N_124unique_dim_cuda_templateItEESt5tupleIJNS8_6TensorESD_SD_EERKSD_lbbbEUlllE1_EE10hipError_tPvRmT2_T3_mT4_P12ihipStream_tbEUlT_E_NS1_11comp_targetILNS1_3genE10ELNS1_11target_archE1201ELNS1_3gpuE5ELNS1_3repE0EEENS1_30default_config_static_selectorELNS0_4arch9wavefront6targetE1EEEvT1_,"axG",@progbits,_ZN7rocprim17ROCPRIM_400000_NS6detail17trampoline_kernelINS0_14default_configENS1_35adjacent_difference_config_selectorILb0ElEEZNS1_24adjacent_difference_implIS3_Lb0ELb0EPlS7_ZN2at6native12_GLOBAL__N_124unique_dim_cuda_templateItEESt5tupleIJNS8_6TensorESD_SD_EERKSD_lbbbEUlllE1_EE10hipError_tPvRmT2_T3_mT4_P12ihipStream_tbEUlT_E_NS1_11comp_targetILNS1_3genE10ELNS1_11target_archE1201ELNS1_3gpuE5ELNS1_3repE0EEENS1_30default_config_static_selectorELNS0_4arch9wavefront6targetE1EEEvT1_,comdat
.Lfunc_end1393:
	.size	_ZN7rocprim17ROCPRIM_400000_NS6detail17trampoline_kernelINS0_14default_configENS1_35adjacent_difference_config_selectorILb0ElEEZNS1_24adjacent_difference_implIS3_Lb0ELb0EPlS7_ZN2at6native12_GLOBAL__N_124unique_dim_cuda_templateItEESt5tupleIJNS8_6TensorESD_SD_EERKSD_lbbbEUlllE1_EE10hipError_tPvRmT2_T3_mT4_P12ihipStream_tbEUlT_E_NS1_11comp_targetILNS1_3genE10ELNS1_11target_archE1201ELNS1_3gpuE5ELNS1_3repE0EEENS1_30default_config_static_selectorELNS0_4arch9wavefront6targetE1EEEvT1_, .Lfunc_end1393-_ZN7rocprim17ROCPRIM_400000_NS6detail17trampoline_kernelINS0_14default_configENS1_35adjacent_difference_config_selectorILb0ElEEZNS1_24adjacent_difference_implIS3_Lb0ELb0EPlS7_ZN2at6native12_GLOBAL__N_124unique_dim_cuda_templateItEESt5tupleIJNS8_6TensorESD_SD_EERKSD_lbbbEUlllE1_EE10hipError_tPvRmT2_T3_mT4_P12ihipStream_tbEUlT_E_NS1_11comp_targetILNS1_3genE10ELNS1_11target_archE1201ELNS1_3gpuE5ELNS1_3repE0EEENS1_30default_config_static_selectorELNS0_4arch9wavefront6targetE1EEEvT1_
                                        ; -- End function
	.section	.AMDGPU.csdata,"",@progbits
; Kernel info:
; codeLenInByte = 0
; NumSgprs: 4
; NumVgprs: 0
; NumAgprs: 0
; TotalNumVgprs: 0
; ScratchSize: 0
; MemoryBound: 0
; FloatMode: 240
; IeeeMode: 1
; LDSByteSize: 0 bytes/workgroup (compile time only)
; SGPRBlocks: 0
; VGPRBlocks: 0
; NumSGPRsForWavesPerEU: 4
; NumVGPRsForWavesPerEU: 1
; AccumOffset: 4
; Occupancy: 8
; WaveLimiterHint : 0
; COMPUTE_PGM_RSRC2:SCRATCH_EN: 0
; COMPUTE_PGM_RSRC2:USER_SGPR: 6
; COMPUTE_PGM_RSRC2:TRAP_HANDLER: 0
; COMPUTE_PGM_RSRC2:TGID_X_EN: 1
; COMPUTE_PGM_RSRC2:TGID_Y_EN: 0
; COMPUTE_PGM_RSRC2:TGID_Z_EN: 0
; COMPUTE_PGM_RSRC2:TIDIG_COMP_CNT: 0
; COMPUTE_PGM_RSRC3_GFX90A:ACCUM_OFFSET: 0
; COMPUTE_PGM_RSRC3_GFX90A:TG_SPLIT: 0
	.section	.text._ZN7rocprim17ROCPRIM_400000_NS6detail17trampoline_kernelINS0_14default_configENS1_35adjacent_difference_config_selectorILb0ElEEZNS1_24adjacent_difference_implIS3_Lb0ELb0EPlS7_ZN2at6native12_GLOBAL__N_124unique_dim_cuda_templateItEESt5tupleIJNS8_6TensorESD_SD_EERKSD_lbbbEUlllE1_EE10hipError_tPvRmT2_T3_mT4_P12ihipStream_tbEUlT_E_NS1_11comp_targetILNS1_3genE5ELNS1_11target_archE942ELNS1_3gpuE9ELNS1_3repE0EEENS1_30default_config_static_selectorELNS0_4arch9wavefront6targetE1EEEvT1_,"axG",@progbits,_ZN7rocprim17ROCPRIM_400000_NS6detail17trampoline_kernelINS0_14default_configENS1_35adjacent_difference_config_selectorILb0ElEEZNS1_24adjacent_difference_implIS3_Lb0ELb0EPlS7_ZN2at6native12_GLOBAL__N_124unique_dim_cuda_templateItEESt5tupleIJNS8_6TensorESD_SD_EERKSD_lbbbEUlllE1_EE10hipError_tPvRmT2_T3_mT4_P12ihipStream_tbEUlT_E_NS1_11comp_targetILNS1_3genE5ELNS1_11target_archE942ELNS1_3gpuE9ELNS1_3repE0EEENS1_30default_config_static_selectorELNS0_4arch9wavefront6targetE1EEEvT1_,comdat
	.globl	_ZN7rocprim17ROCPRIM_400000_NS6detail17trampoline_kernelINS0_14default_configENS1_35adjacent_difference_config_selectorILb0ElEEZNS1_24adjacent_difference_implIS3_Lb0ELb0EPlS7_ZN2at6native12_GLOBAL__N_124unique_dim_cuda_templateItEESt5tupleIJNS8_6TensorESD_SD_EERKSD_lbbbEUlllE1_EE10hipError_tPvRmT2_T3_mT4_P12ihipStream_tbEUlT_E_NS1_11comp_targetILNS1_3genE5ELNS1_11target_archE942ELNS1_3gpuE9ELNS1_3repE0EEENS1_30default_config_static_selectorELNS0_4arch9wavefront6targetE1EEEvT1_ ; -- Begin function _ZN7rocprim17ROCPRIM_400000_NS6detail17trampoline_kernelINS0_14default_configENS1_35adjacent_difference_config_selectorILb0ElEEZNS1_24adjacent_difference_implIS3_Lb0ELb0EPlS7_ZN2at6native12_GLOBAL__N_124unique_dim_cuda_templateItEESt5tupleIJNS8_6TensorESD_SD_EERKSD_lbbbEUlllE1_EE10hipError_tPvRmT2_T3_mT4_P12ihipStream_tbEUlT_E_NS1_11comp_targetILNS1_3genE5ELNS1_11target_archE942ELNS1_3gpuE9ELNS1_3repE0EEENS1_30default_config_static_selectorELNS0_4arch9wavefront6targetE1EEEvT1_
	.p2align	8
	.type	_ZN7rocprim17ROCPRIM_400000_NS6detail17trampoline_kernelINS0_14default_configENS1_35adjacent_difference_config_selectorILb0ElEEZNS1_24adjacent_difference_implIS3_Lb0ELb0EPlS7_ZN2at6native12_GLOBAL__N_124unique_dim_cuda_templateItEESt5tupleIJNS8_6TensorESD_SD_EERKSD_lbbbEUlllE1_EE10hipError_tPvRmT2_T3_mT4_P12ihipStream_tbEUlT_E_NS1_11comp_targetILNS1_3genE5ELNS1_11target_archE942ELNS1_3gpuE9ELNS1_3repE0EEENS1_30default_config_static_selectorELNS0_4arch9wavefront6targetE1EEEvT1_,@function
_ZN7rocprim17ROCPRIM_400000_NS6detail17trampoline_kernelINS0_14default_configENS1_35adjacent_difference_config_selectorILb0ElEEZNS1_24adjacent_difference_implIS3_Lb0ELb0EPlS7_ZN2at6native12_GLOBAL__N_124unique_dim_cuda_templateItEESt5tupleIJNS8_6TensorESD_SD_EERKSD_lbbbEUlllE1_EE10hipError_tPvRmT2_T3_mT4_P12ihipStream_tbEUlT_E_NS1_11comp_targetILNS1_3genE5ELNS1_11target_archE942ELNS1_3gpuE9ELNS1_3repE0EEENS1_30default_config_static_selectorELNS0_4arch9wavefront6targetE1EEEvT1_: ; @_ZN7rocprim17ROCPRIM_400000_NS6detail17trampoline_kernelINS0_14default_configENS1_35adjacent_difference_config_selectorILb0ElEEZNS1_24adjacent_difference_implIS3_Lb0ELb0EPlS7_ZN2at6native12_GLOBAL__N_124unique_dim_cuda_templateItEESt5tupleIJNS8_6TensorESD_SD_EERKSD_lbbbEUlllE1_EE10hipError_tPvRmT2_T3_mT4_P12ihipStream_tbEUlT_E_NS1_11comp_targetILNS1_3genE5ELNS1_11target_archE942ELNS1_3gpuE9ELNS1_3repE0EEENS1_30default_config_static_selectorELNS0_4arch9wavefront6targetE1EEEvT1_
; %bb.0:
	.section	.rodata,"a",@progbits
	.p2align	6, 0x0
	.amdhsa_kernel _ZN7rocprim17ROCPRIM_400000_NS6detail17trampoline_kernelINS0_14default_configENS1_35adjacent_difference_config_selectorILb0ElEEZNS1_24adjacent_difference_implIS3_Lb0ELb0EPlS7_ZN2at6native12_GLOBAL__N_124unique_dim_cuda_templateItEESt5tupleIJNS8_6TensorESD_SD_EERKSD_lbbbEUlllE1_EE10hipError_tPvRmT2_T3_mT4_P12ihipStream_tbEUlT_E_NS1_11comp_targetILNS1_3genE5ELNS1_11target_archE942ELNS1_3gpuE9ELNS1_3repE0EEENS1_30default_config_static_selectorELNS0_4arch9wavefront6targetE1EEEvT1_
		.amdhsa_group_segment_fixed_size 0
		.amdhsa_private_segment_fixed_size 0
		.amdhsa_kernarg_size 64
		.amdhsa_user_sgpr_count 6
		.amdhsa_user_sgpr_private_segment_buffer 1
		.amdhsa_user_sgpr_dispatch_ptr 0
		.amdhsa_user_sgpr_queue_ptr 0
		.amdhsa_user_sgpr_kernarg_segment_ptr 1
		.amdhsa_user_sgpr_dispatch_id 0
		.amdhsa_user_sgpr_flat_scratch_init 0
		.amdhsa_user_sgpr_kernarg_preload_length 0
		.amdhsa_user_sgpr_kernarg_preload_offset 0
		.amdhsa_user_sgpr_private_segment_size 0
		.amdhsa_uses_dynamic_stack 0
		.amdhsa_system_sgpr_private_segment_wavefront_offset 0
		.amdhsa_system_sgpr_workgroup_id_x 1
		.amdhsa_system_sgpr_workgroup_id_y 0
		.amdhsa_system_sgpr_workgroup_id_z 0
		.amdhsa_system_sgpr_workgroup_info 0
		.amdhsa_system_vgpr_workitem_id 0
		.amdhsa_next_free_vgpr 1
		.amdhsa_next_free_sgpr 0
		.amdhsa_accum_offset 4
		.amdhsa_reserve_vcc 0
		.amdhsa_reserve_flat_scratch 0
		.amdhsa_float_round_mode_32 0
		.amdhsa_float_round_mode_16_64 0
		.amdhsa_float_denorm_mode_32 3
		.amdhsa_float_denorm_mode_16_64 3
		.amdhsa_dx10_clamp 1
		.amdhsa_ieee_mode 1
		.amdhsa_fp16_overflow 0
		.amdhsa_tg_split 0
		.amdhsa_exception_fp_ieee_invalid_op 0
		.amdhsa_exception_fp_denorm_src 0
		.amdhsa_exception_fp_ieee_div_zero 0
		.amdhsa_exception_fp_ieee_overflow 0
		.amdhsa_exception_fp_ieee_underflow 0
		.amdhsa_exception_fp_ieee_inexact 0
		.amdhsa_exception_int_div_zero 0
	.end_amdhsa_kernel
	.section	.text._ZN7rocprim17ROCPRIM_400000_NS6detail17trampoline_kernelINS0_14default_configENS1_35adjacent_difference_config_selectorILb0ElEEZNS1_24adjacent_difference_implIS3_Lb0ELb0EPlS7_ZN2at6native12_GLOBAL__N_124unique_dim_cuda_templateItEESt5tupleIJNS8_6TensorESD_SD_EERKSD_lbbbEUlllE1_EE10hipError_tPvRmT2_T3_mT4_P12ihipStream_tbEUlT_E_NS1_11comp_targetILNS1_3genE5ELNS1_11target_archE942ELNS1_3gpuE9ELNS1_3repE0EEENS1_30default_config_static_selectorELNS0_4arch9wavefront6targetE1EEEvT1_,"axG",@progbits,_ZN7rocprim17ROCPRIM_400000_NS6detail17trampoline_kernelINS0_14default_configENS1_35adjacent_difference_config_selectorILb0ElEEZNS1_24adjacent_difference_implIS3_Lb0ELb0EPlS7_ZN2at6native12_GLOBAL__N_124unique_dim_cuda_templateItEESt5tupleIJNS8_6TensorESD_SD_EERKSD_lbbbEUlllE1_EE10hipError_tPvRmT2_T3_mT4_P12ihipStream_tbEUlT_E_NS1_11comp_targetILNS1_3genE5ELNS1_11target_archE942ELNS1_3gpuE9ELNS1_3repE0EEENS1_30default_config_static_selectorELNS0_4arch9wavefront6targetE1EEEvT1_,comdat
.Lfunc_end1394:
	.size	_ZN7rocprim17ROCPRIM_400000_NS6detail17trampoline_kernelINS0_14default_configENS1_35adjacent_difference_config_selectorILb0ElEEZNS1_24adjacent_difference_implIS3_Lb0ELb0EPlS7_ZN2at6native12_GLOBAL__N_124unique_dim_cuda_templateItEESt5tupleIJNS8_6TensorESD_SD_EERKSD_lbbbEUlllE1_EE10hipError_tPvRmT2_T3_mT4_P12ihipStream_tbEUlT_E_NS1_11comp_targetILNS1_3genE5ELNS1_11target_archE942ELNS1_3gpuE9ELNS1_3repE0EEENS1_30default_config_static_selectorELNS0_4arch9wavefront6targetE1EEEvT1_, .Lfunc_end1394-_ZN7rocprim17ROCPRIM_400000_NS6detail17trampoline_kernelINS0_14default_configENS1_35adjacent_difference_config_selectorILb0ElEEZNS1_24adjacent_difference_implIS3_Lb0ELb0EPlS7_ZN2at6native12_GLOBAL__N_124unique_dim_cuda_templateItEESt5tupleIJNS8_6TensorESD_SD_EERKSD_lbbbEUlllE1_EE10hipError_tPvRmT2_T3_mT4_P12ihipStream_tbEUlT_E_NS1_11comp_targetILNS1_3genE5ELNS1_11target_archE942ELNS1_3gpuE9ELNS1_3repE0EEENS1_30default_config_static_selectorELNS0_4arch9wavefront6targetE1EEEvT1_
                                        ; -- End function
	.section	.AMDGPU.csdata,"",@progbits
; Kernel info:
; codeLenInByte = 0
; NumSgprs: 4
; NumVgprs: 0
; NumAgprs: 0
; TotalNumVgprs: 0
; ScratchSize: 0
; MemoryBound: 0
; FloatMode: 240
; IeeeMode: 1
; LDSByteSize: 0 bytes/workgroup (compile time only)
; SGPRBlocks: 0
; VGPRBlocks: 0
; NumSGPRsForWavesPerEU: 4
; NumVGPRsForWavesPerEU: 1
; AccumOffset: 4
; Occupancy: 8
; WaveLimiterHint : 0
; COMPUTE_PGM_RSRC2:SCRATCH_EN: 0
; COMPUTE_PGM_RSRC2:USER_SGPR: 6
; COMPUTE_PGM_RSRC2:TRAP_HANDLER: 0
; COMPUTE_PGM_RSRC2:TGID_X_EN: 1
; COMPUTE_PGM_RSRC2:TGID_Y_EN: 0
; COMPUTE_PGM_RSRC2:TGID_Z_EN: 0
; COMPUTE_PGM_RSRC2:TIDIG_COMP_CNT: 0
; COMPUTE_PGM_RSRC3_GFX90A:ACCUM_OFFSET: 0
; COMPUTE_PGM_RSRC3_GFX90A:TG_SPLIT: 0
	.section	.text._ZN7rocprim17ROCPRIM_400000_NS6detail17trampoline_kernelINS0_14default_configENS1_35adjacent_difference_config_selectorILb0ElEEZNS1_24adjacent_difference_implIS3_Lb0ELb0EPlS7_ZN2at6native12_GLOBAL__N_124unique_dim_cuda_templateItEESt5tupleIJNS8_6TensorESD_SD_EERKSD_lbbbEUlllE1_EE10hipError_tPvRmT2_T3_mT4_P12ihipStream_tbEUlT_E_NS1_11comp_targetILNS1_3genE4ELNS1_11target_archE910ELNS1_3gpuE8ELNS1_3repE0EEENS1_30default_config_static_selectorELNS0_4arch9wavefront6targetE1EEEvT1_,"axG",@progbits,_ZN7rocprim17ROCPRIM_400000_NS6detail17trampoline_kernelINS0_14default_configENS1_35adjacent_difference_config_selectorILb0ElEEZNS1_24adjacent_difference_implIS3_Lb0ELb0EPlS7_ZN2at6native12_GLOBAL__N_124unique_dim_cuda_templateItEESt5tupleIJNS8_6TensorESD_SD_EERKSD_lbbbEUlllE1_EE10hipError_tPvRmT2_T3_mT4_P12ihipStream_tbEUlT_E_NS1_11comp_targetILNS1_3genE4ELNS1_11target_archE910ELNS1_3gpuE8ELNS1_3repE0EEENS1_30default_config_static_selectorELNS0_4arch9wavefront6targetE1EEEvT1_,comdat
	.globl	_ZN7rocprim17ROCPRIM_400000_NS6detail17trampoline_kernelINS0_14default_configENS1_35adjacent_difference_config_selectorILb0ElEEZNS1_24adjacent_difference_implIS3_Lb0ELb0EPlS7_ZN2at6native12_GLOBAL__N_124unique_dim_cuda_templateItEESt5tupleIJNS8_6TensorESD_SD_EERKSD_lbbbEUlllE1_EE10hipError_tPvRmT2_T3_mT4_P12ihipStream_tbEUlT_E_NS1_11comp_targetILNS1_3genE4ELNS1_11target_archE910ELNS1_3gpuE8ELNS1_3repE0EEENS1_30default_config_static_selectorELNS0_4arch9wavefront6targetE1EEEvT1_ ; -- Begin function _ZN7rocprim17ROCPRIM_400000_NS6detail17trampoline_kernelINS0_14default_configENS1_35adjacent_difference_config_selectorILb0ElEEZNS1_24adjacent_difference_implIS3_Lb0ELb0EPlS7_ZN2at6native12_GLOBAL__N_124unique_dim_cuda_templateItEESt5tupleIJNS8_6TensorESD_SD_EERKSD_lbbbEUlllE1_EE10hipError_tPvRmT2_T3_mT4_P12ihipStream_tbEUlT_E_NS1_11comp_targetILNS1_3genE4ELNS1_11target_archE910ELNS1_3gpuE8ELNS1_3repE0EEENS1_30default_config_static_selectorELNS0_4arch9wavefront6targetE1EEEvT1_
	.p2align	8
	.type	_ZN7rocprim17ROCPRIM_400000_NS6detail17trampoline_kernelINS0_14default_configENS1_35adjacent_difference_config_selectorILb0ElEEZNS1_24adjacent_difference_implIS3_Lb0ELb0EPlS7_ZN2at6native12_GLOBAL__N_124unique_dim_cuda_templateItEESt5tupleIJNS8_6TensorESD_SD_EERKSD_lbbbEUlllE1_EE10hipError_tPvRmT2_T3_mT4_P12ihipStream_tbEUlT_E_NS1_11comp_targetILNS1_3genE4ELNS1_11target_archE910ELNS1_3gpuE8ELNS1_3repE0EEENS1_30default_config_static_selectorELNS0_4arch9wavefront6targetE1EEEvT1_,@function
_ZN7rocprim17ROCPRIM_400000_NS6detail17trampoline_kernelINS0_14default_configENS1_35adjacent_difference_config_selectorILb0ElEEZNS1_24adjacent_difference_implIS3_Lb0ELb0EPlS7_ZN2at6native12_GLOBAL__N_124unique_dim_cuda_templateItEESt5tupleIJNS8_6TensorESD_SD_EERKSD_lbbbEUlllE1_EE10hipError_tPvRmT2_T3_mT4_P12ihipStream_tbEUlT_E_NS1_11comp_targetILNS1_3genE4ELNS1_11target_archE910ELNS1_3gpuE8ELNS1_3repE0EEENS1_30default_config_static_selectorELNS0_4arch9wavefront6targetE1EEEvT1_: ; @_ZN7rocprim17ROCPRIM_400000_NS6detail17trampoline_kernelINS0_14default_configENS1_35adjacent_difference_config_selectorILb0ElEEZNS1_24adjacent_difference_implIS3_Lb0ELb0EPlS7_ZN2at6native12_GLOBAL__N_124unique_dim_cuda_templateItEESt5tupleIJNS8_6TensorESD_SD_EERKSD_lbbbEUlllE1_EE10hipError_tPvRmT2_T3_mT4_P12ihipStream_tbEUlT_E_NS1_11comp_targetILNS1_3genE4ELNS1_11target_archE910ELNS1_3gpuE8ELNS1_3repE0EEENS1_30default_config_static_selectorELNS0_4arch9wavefront6targetE1EEEvT1_
; %bb.0:
	s_load_dwordx8 s[8:15], s[4:5], 0x0
	s_load_dwordx4 s[16:19], s[4:5], 0x20
	s_load_dwordx2 s[0:1], s[4:5], 0x38
	s_waitcnt lgkmcnt(0)
	s_lshl_b64 s[10:11], s[10:11], 3
	s_add_u32 s24, s8, s10
	s_addc_u32 s25, s9, s11
	s_mov_b32 s9, 0
	s_lshl_b32 s8, s6, 9
	s_lshr_b64 s[2:3], s[14:15], 9
	s_and_b32 s4, s14, 0x1ff
	s_mov_b32 s5, s9
	s_cmp_lg_u64 s[4:5], 0
	s_cselect_b64 s[4:5], -1, 0
	v_cndmask_b32_e64 v1, 0, 1, s[4:5]
	v_readfirstlane_b32 s4, v1
	s_add_u32 s22, s2, s4
	s_addc_u32 s23, s3, 0
	s_add_u32 s26, s0, s6
	s_addc_u32 s27, s1, 0
	s_add_u32 s6, s22, -1
	s_addc_u32 s7, s23, -1
	v_pk_mov_b32 v[2:3], s[6:7], s[6:7] op_sel:[0,1]
	v_cmp_ge_u64_e64 s[0:1], s[26:27], v[2:3]
	s_mov_b64 s[2:3], -1
	s_and_b64 vcc, exec, s[0:1]
	s_cbranch_vccz .LBB1395_6
; %bb.1:
	s_lshl_b32 s2, s6, 9
	s_sub_i32 s15, s14, s2
	s_lshl_b64 s[2:3], s[8:9], 3
	s_add_u32 s2, s24, s2
	s_addc_u32 s3, s25, s3
	v_cmp_gt_u32_e32 vcc, s15, v0
                                        ; implicit-def: $vgpr2_vgpr3_vgpr4_vgpr5
	s_and_saveexec_b64 s[4:5], vcc
	s_cbranch_execz .LBB1395_3
; %bb.2:
	v_lshlrev_b32_e32 v1, 3, v0
	global_load_dwordx2 v[2:3], v1, s[2:3]
.LBB1395_3:
	s_or_b64 exec, exec, s[4:5]
	v_or_b32_e32 v1, 0x100, v0
	v_cmp_gt_u32_e32 vcc, s15, v1
	s_and_saveexec_b64 s[4:5], vcc
	s_cbranch_execz .LBB1395_5
; %bb.4:
	v_lshlrev_b32_e32 v4, 3, v0
	global_load_dwordx2 v[4:5], v4, s[2:3] offset:2048
.LBB1395_5:
	s_or_b64 exec, exec, s[4:5]
	v_lshrrev_b32_e32 v6, 2, v0
	v_lshrrev_b32_e32 v1, 2, v1
	v_and_b32_e32 v6, 56, v6
	v_lshlrev_b32_e32 v7, 3, v0
	v_and_b32_e32 v1, 0x78, v1
	v_add_u32_e32 v6, v6, v7
	v_add_u32_e32 v1, v1, v7
	s_mov_b64 s[2:3], 0
	s_waitcnt vmcnt(0)
	ds_write_b64 v6, v[2:3]
	ds_write_b64 v1, v[4:5] offset:2048
	s_waitcnt lgkmcnt(0)
	s_barrier
.LBB1395_6:
	s_and_b64 vcc, exec, s[2:3]
	v_lshlrev_b32_e32 v1, 3, v0
	s_cbranch_vccz .LBB1395_8
; %bb.7:
	s_lshl_b64 s[2:3], s[8:9], 3
	s_add_u32 s2, s24, s2
	s_addc_u32 s3, s25, s3
	global_load_dwordx2 v[2:3], v1, s[2:3]
	global_load_dwordx2 v[4:5], v1, s[2:3] offset:2048
	v_lshrrev_b32_e32 v6, 2, v0
	v_or_b32_e32 v7, 0x100, v0
	v_and_b32_e32 v6, 56, v6
	v_lshrrev_b32_e32 v7, 2, v7
	v_add_u32_e32 v6, v6, v1
	v_and_b32_e32 v7, 0x78, v7
	v_add_u32_e32 v7, v7, v1
	s_waitcnt vmcnt(1)
	ds_write_b64 v6, v[2:3]
	s_waitcnt vmcnt(0)
	ds_write_b64 v7, v[4:5] offset:2048
	s_waitcnt lgkmcnt(0)
	s_barrier
.LBB1395_8:
	v_lshlrev_b32_e32 v2, 1, v0
	v_lshrrev_b32_e32 v3, 4, v0
	v_add_lshl_u32 v2, v3, v2, 3
	ds_read2_b64 v[2:5], v2 offset1:1
	s_cmp_eq_u64 s[26:27], 0
	s_mov_b64 s[20:21], 0
	s_waitcnt lgkmcnt(0)
	s_barrier
	s_cbranch_scc1 .LBB1395_17
; %bb.9:
	s_lshl_b64 s[2:3], s[8:9], 3
	s_add_u32 s2, s24, s2
	s_addc_u32 s3, s25, s3
	s_add_u32 s2, s2, -8
	s_addc_u32 s3, s3, -1
	s_load_dwordx2 s[24:25], s[2:3], 0x0
	s_cmp_lg_u64 s[26:27], s[6:7]
	s_cbranch_scc0 .LBB1395_18
; %bb.10:
	v_cmp_lt_i64_e64 s[2:3], s[16:17], 1
	v_pk_mov_b32 v[8:9], 0, 0
	v_cmp_gt_i64_e64 s[20:21], s[16:17], 0
	s_and_b64 vcc, exec, s[2:3]
	ds_write_b64 v1, v[4:5]
	s_cbranch_vccnz .LBB1395_21
; %bb.11:
	v_mul_lo_u32 v8, v5, s16
	v_mul_lo_u32 v9, v4, s17
	v_mad_u64_u32 v[6:7], s[2:3], v4, s16, 0
	v_add3_u32 v7, v7, v9, v8
	v_mul_lo_u32 v10, v3, s16
	v_mul_lo_u32 v11, v2, s17
	v_mad_u64_u32 v[8:9], s[2:3], v2, s16, 0
	v_add3_u32 v9, v9, v11, v10
	v_lshlrev_b64 v[10:11], 1, v[6:7]
	v_mov_b32_e32 v6, s19
	v_add_co_u32_e32 v12, vcc, s18, v10
	v_addc_co_u32_e64 v13, s[2:3], v6, v11, vcc
	v_lshlrev_b64 v[6:7], 1, v[8:9]
	v_mov_b32_e32 v8, s19
	v_add_co_u32_e64 v14, s[2:3], s18, v6
	v_addc_co_u32_e64 v15, s[4:5], v8, v7, s[2:3]
	global_load_ushort v6, v[12:13], off
	global_load_ushort v8, v[14:15], off
	s_waitcnt vmcnt(0)
	v_cmp_eq_u16_e64 s[4:5], v6, v8
	v_mov_b32_e32 v8, 1
	v_mov_b32_e32 v9, 0
	s_and_saveexec_b64 s[28:29], s[4:5]
	s_cbranch_execz .LBB1395_20
; %bb.12:
	v_mov_b32_e32 v6, s19
	v_addc_co_u32_e64 v7, s[2:3], v7, v6, s[2:3]
	v_add_co_u32_e64 v6, s[2:3], 2, v14
	v_mov_b32_e32 v8, s19
	v_addc_co_u32_e64 v7, s[2:3], 0, v7, s[2:3]
	v_addc_co_u32_e32 v9, vcc, v11, v8, vcc
	v_add_co_u32_e32 v8, vcc, 2, v12
	s_add_u32 s2, s16, -1
	v_addc_co_u32_e32 v9, vcc, 0, v9, vcc
	s_addc_u32 s3, s17, -1
	s_mov_b64 s[4:5], 0
	s_mov_b64 s[34:35], 0
                                        ; implicit-def: $sgpr30_sgpr31
	s_branch .LBB1395_15
.LBB1395_13:                            ;   in Loop: Header=BB1395_15 Depth=1
	global_load_ushort v10, v[8:9], off
	global_load_ushort v11, v[6:7], off
	v_add_co_u32_e32 v6, vcc, 2, v6
	v_addc_co_u32_e32 v7, vcc, 0, v7, vcc
	v_add_co_u32_e32 v8, vcc, 2, v8
	v_addc_co_u32_e32 v9, vcc, 0, v9, vcc
	s_add_u32 s34, s34, 1
	s_addc_u32 s35, s35, 0
	s_andn2_b64 s[30:31], s[30:31], exec
	s_waitcnt vmcnt(0)
	v_cmp_ne_u16_e32 vcc, v10, v11
	s_and_b64 s[36:37], vcc, exec
	s_or_b64 s[30:31], s[30:31], s[36:37]
.LBB1395_14:                            ;   in Loop: Header=BB1395_15 Depth=1
	s_and_b64 s[36:37], exec, s[30:31]
	s_or_b64 s[4:5], s[36:37], s[4:5]
	v_pk_mov_b32 v[10:11], s[34:35], s[34:35] op_sel:[0,1]
	s_andn2_b64 exec, exec, s[4:5]
	s_cbranch_execz .LBB1395_19
.LBB1395_15:                            ; =>This Inner Loop Header: Depth=1
	s_or_b64 s[30:31], s[30:31], exec
	s_cmp_eq_u64 s[2:3], s[34:35]
	s_cbranch_scc0 .LBB1395_13
; %bb.16:                               ;   in Loop: Header=BB1395_15 Depth=1
                                        ; implicit-def: $vgpr6_vgpr7
                                        ; implicit-def: $vgpr8_vgpr9
	s_mov_b64 s[34:35], s[16:17]
	s_branch .LBB1395_14
.LBB1395_17:
                                        ; implicit-def: $sgpr28_sgpr29
                                        ; implicit-def: $vgpr8_vgpr9
	s_cbranch_execnz .LBB1395_60
	s_branch .LBB1395_108
.LBB1395_18:
                                        ; implicit-def: $sgpr28_sgpr29
                                        ; implicit-def: $vgpr8_vgpr9
	s_cbranch_execnz .LBB1395_33
	s_branch .LBB1395_59
.LBB1395_19:
	s_or_b64 exec, exec, s[4:5]
	v_cmp_gt_i64_e32 vcc, s[16:17], v[10:11]
	s_mov_b32 s2, 0
	v_cndmask_b32_e64 v8, 0, 1, vcc
	v_mov_b32_e32 v9, s2
.LBB1395_20:
	s_or_b64 exec, exec, s[28:29]
.LBB1395_21:
	v_cmp_ne_u32_e32 vcc, 0, v0
	s_waitcnt lgkmcnt(0)
	v_pk_mov_b32 v[6:7], s[24:25], s[24:25] op_sel:[0,1]
	s_barrier
	s_and_saveexec_b64 s[2:3], vcc
	s_cbranch_execz .LBB1395_23
; %bb.22:
	v_add_u32_e32 v6, -8, v1
	ds_read_b64 v[6:7], v6
.LBB1395_23:
	s_or_b64 exec, exec, s[2:3]
	s_mov_b64 s[30:31], 0
	s_andn2_b64 vcc, exec, s[20:21]
	s_mov_b64 s[28:29], 0
	s_cbranch_vccnz .LBB1395_32
; %bb.24:
	v_mul_lo_u32 v12, v3, s16
	v_mul_lo_u32 v13, v2, s17
	v_mad_u64_u32 v[10:11], s[2:3], v2, s16, 0
	v_add3_u32 v11, v11, v13, v12
	s_waitcnt lgkmcnt(0)
	v_mul_lo_u32 v12, v7, s16
	v_mul_lo_u32 v13, v6, s17
	v_mad_u64_u32 v[6:7], s[2:3], v6, s16, 0
	v_lshlrev_b64 v[10:11], 1, v[10:11]
	v_add3_u32 v7, v7, v13, v12
	v_mov_b32_e32 v13, s19
	v_add_co_u32_e32 v12, vcc, s18, v10
	v_addc_co_u32_e64 v13, s[2:3], v13, v11, vcc
	v_lshlrev_b64 v[6:7], 1, v[6:7]
	v_mov_b32_e32 v10, s19
	v_add_co_u32_e64 v14, s[2:3], s18, v6
	v_addc_co_u32_e64 v15, s[4:5], v10, v7, s[2:3]
	global_load_ushort v6, v[12:13], off
	global_load_ushort v10, v[14:15], off
	s_mov_b64 s[28:29], -1
	s_waitcnt vmcnt(0)
	v_cmp_eq_u16_e64 s[4:5], v6, v10
	s_and_saveexec_b64 s[20:21], s[4:5]
	s_cbranch_execz .LBB1395_31
; %bb.25:
	v_mov_b32_e32 v6, s19
	v_addc_co_u32_e64 v7, s[2:3], v7, v6, s[2:3]
	v_add_co_u32_e64 v6, s[2:3], 2, v14
	v_mov_b32_e32 v10, s19
	v_addc_co_u32_e64 v7, s[2:3], 0, v7, s[2:3]
	v_addc_co_u32_e32 v11, vcc, v11, v10, vcc
	v_add_co_u32_e32 v10, vcc, 2, v12
	s_add_u32 s2, s16, -1
	v_addc_co_u32_e32 v11, vcc, 0, v11, vcc
	s_addc_u32 s3, s17, -1
	s_mov_b64 s[4:5], 0
	s_mov_b64 s[34:35], 0
                                        ; implicit-def: $sgpr28_sgpr29
	s_branch .LBB1395_28
.LBB1395_26:                            ;   in Loop: Header=BB1395_28 Depth=1
	global_load_ushort v12, v[10:11], off
	global_load_ushort v13, v[6:7], off
	v_add_co_u32_e32 v6, vcc, 2, v6
	v_addc_co_u32_e32 v7, vcc, 0, v7, vcc
	v_add_co_u32_e32 v10, vcc, 2, v10
	v_addc_co_u32_e32 v11, vcc, 0, v11, vcc
	s_add_u32 s34, s34, 1
	s_addc_u32 s35, s35, 0
	s_andn2_b64 s[28:29], s[28:29], exec
	s_waitcnt vmcnt(0)
	v_cmp_ne_u16_e32 vcc, v12, v13
	s_and_b64 s[36:37], vcc, exec
	s_or_b64 s[28:29], s[28:29], s[36:37]
.LBB1395_27:                            ;   in Loop: Header=BB1395_28 Depth=1
	s_and_b64 s[36:37], exec, s[28:29]
	s_or_b64 s[4:5], s[36:37], s[4:5]
	v_pk_mov_b32 v[12:13], s[34:35], s[34:35] op_sel:[0,1]
	s_andn2_b64 exec, exec, s[4:5]
	s_cbranch_execz .LBB1395_30
.LBB1395_28:                            ; =>This Inner Loop Header: Depth=1
	s_or_b64 s[28:29], s[28:29], exec
	s_cmp_eq_u64 s[2:3], s[34:35]
	s_cbranch_scc0 .LBB1395_26
; %bb.29:                               ;   in Loop: Header=BB1395_28 Depth=1
                                        ; implicit-def: $vgpr6_vgpr7
                                        ; implicit-def: $vgpr10_vgpr11
	s_mov_b64 s[34:35], s[16:17]
	s_branch .LBB1395_27
.LBB1395_30:
	s_or_b64 exec, exec, s[4:5]
	v_cmp_gt_i64_e32 vcc, s[16:17], v[12:13]
	s_orn2_b64 s[28:29], vcc, exec
.LBB1395_31:
	s_or_b64 exec, exec, s[20:21]
.LBB1395_32:
	s_mov_b64 s[20:21], -1
	s_and_b64 vcc, exec, s[30:31]
	s_cbranch_vccz .LBB1395_59
.LBB1395_33:
	s_lshl_b32 s2, s26, 9
	v_lshlrev_b32_e32 v16, 1, v0
	s_sub_i32 s7, s14, s2
	s_waitcnt lgkmcnt(0)
	v_or_b32_e32 v6, 1, v16
	v_cmp_gt_u32_e32 vcc, s7, v6
	v_pk_mov_b32 v[8:9], v[4:5], v[4:5] op_sel:[0,1]
	ds_write_b64 v1, v[4:5]
	v_pk_mov_b32 v[6:7], v[2:3], v[2:3] op_sel:[0,1]
	s_and_saveexec_b64 s[26:27], vcc
	s_cbranch_execz .LBB1395_44
; %bb.34:
	v_cmp_lt_i64_e64 s[2:3], s[16:17], 1
	s_and_b64 vcc, exec, s[2:3]
	s_cbranch_vccnz .LBB1395_41
; %bb.35:
	v_mul_lo_u32 v8, v5, s16
	v_mul_lo_u32 v9, v4, s17
	v_mad_u64_u32 v[6:7], s[2:3], v4, s16, 0
	v_add3_u32 v7, v7, v9, v8
	v_mul_lo_u32 v10, v3, s16
	v_mul_lo_u32 v11, v2, s17
	v_mad_u64_u32 v[8:9], s[2:3], v2, s16, 0
	v_add3_u32 v9, v9, v11, v10
	v_lshlrev_b64 v[10:11], 1, v[6:7]
	v_mov_b32_e32 v6, s19
	v_add_co_u32_e32 v12, vcc, s18, v10
	v_addc_co_u32_e64 v13, s[2:3], v6, v11, vcc
	v_lshlrev_b64 v[6:7], 1, v[8:9]
	v_mov_b32_e32 v8, s19
	v_add_co_u32_e64 v14, s[2:3], s18, v6
	v_addc_co_u32_e64 v15, s[4:5], v8, v7, s[2:3]
	global_load_ushort v6, v[12:13], off
	global_load_ushort v8, v[14:15], off
	s_waitcnt vmcnt(0)
	v_cmp_eq_u16_e64 s[4:5], v6, v8
	v_mov_b32_e32 v8, 1
	v_mov_b32_e32 v9, 0
	s_and_saveexec_b64 s[28:29], s[4:5]
	s_cbranch_execz .LBB1395_43
; %bb.36:
	v_mov_b32_e32 v6, s19
	v_addc_co_u32_e64 v7, s[2:3], v7, v6, s[2:3]
	v_add_co_u32_e64 v6, s[2:3], 2, v14
	v_mov_b32_e32 v8, s19
	v_addc_co_u32_e64 v7, s[2:3], 0, v7, s[2:3]
	v_addc_co_u32_e32 v9, vcc, v11, v8, vcc
	v_add_co_u32_e32 v8, vcc, 2, v12
	s_add_u32 s2, s16, -1
	v_addc_co_u32_e32 v9, vcc, 0, v9, vcc
	s_addc_u32 s3, s17, -1
	s_mov_b64 s[4:5], 0
	s_mov_b64 s[34:35], 0
                                        ; implicit-def: $sgpr30_sgpr31
	s_branch .LBB1395_39
.LBB1395_37:                            ;   in Loop: Header=BB1395_39 Depth=1
	global_load_ushort v10, v[8:9], off
	global_load_ushort v11, v[6:7], off
	v_add_co_u32_e32 v6, vcc, 2, v6
	v_addc_co_u32_e32 v7, vcc, 0, v7, vcc
	v_add_co_u32_e32 v8, vcc, 2, v8
	v_addc_co_u32_e32 v9, vcc, 0, v9, vcc
	s_add_u32 s34, s34, 1
	s_addc_u32 s35, s35, 0
	s_andn2_b64 s[30:31], s[30:31], exec
	s_waitcnt vmcnt(0)
	v_cmp_ne_u16_e32 vcc, v10, v11
	s_and_b64 s[36:37], vcc, exec
	s_or_b64 s[30:31], s[30:31], s[36:37]
.LBB1395_38:                            ;   in Loop: Header=BB1395_39 Depth=1
	s_and_b64 s[36:37], exec, s[30:31]
	s_or_b64 s[4:5], s[36:37], s[4:5]
	v_pk_mov_b32 v[10:11], s[34:35], s[34:35] op_sel:[0,1]
	s_andn2_b64 exec, exec, s[4:5]
	s_cbranch_execz .LBB1395_42
.LBB1395_39:                            ; =>This Inner Loop Header: Depth=1
	s_or_b64 s[30:31], s[30:31], exec
	s_cmp_eq_u64 s[2:3], s[34:35]
	s_cbranch_scc0 .LBB1395_37
; %bb.40:                               ;   in Loop: Header=BB1395_39 Depth=1
                                        ; implicit-def: $vgpr6_vgpr7
                                        ; implicit-def: $vgpr8_vgpr9
	s_mov_b64 s[34:35], s[16:17]
	s_branch .LBB1395_38
.LBB1395_41:
	v_pk_mov_b32 v[8:9], 0, 0
	s_branch .LBB1395_44
.LBB1395_42:
	s_or_b64 exec, exec, s[4:5]
	v_cmp_gt_i64_e32 vcc, s[16:17], v[10:11]
	s_mov_b32 s2, 0
	v_cndmask_b32_e64 v8, 0, 1, vcc
	v_mov_b32_e32 v9, s2
.LBB1395_43:
	s_or_b64 exec, exec, s[28:29]
.LBB1395_44:
	s_or_b64 exec, exec, s[26:27]
	v_cmp_ne_u32_e32 vcc, 0, v0
	v_pk_mov_b32 v[6:7], s[24:25], s[24:25] op_sel:[0,1]
	s_waitcnt lgkmcnt(0)
	s_barrier
	s_and_saveexec_b64 s[2:3], vcc
	s_cbranch_execz .LBB1395_46
; %bb.45:
	v_add_u32_e32 v6, -8, v1
	ds_read_b64 v[6:7], v6
.LBB1395_46:
	s_or_b64 exec, exec, s[2:3]
	v_cmp_gt_u32_e32 vcc, s7, v16
                                        ; implicit-def: $sgpr28_sgpr29
	s_and_saveexec_b64 s[24:25], vcc
	s_cbranch_execz .LBB1395_58
; %bb.47:
	v_cmp_lt_i64_e64 s[2:3], s[16:17], 1
	s_and_b64 vcc, exec, s[2:3]
	s_cbranch_vccnz .LBB1395_54
; %bb.48:
	v_mul_lo_u32 v12, v3, s16
	v_mul_lo_u32 v13, v2, s17
	v_mad_u64_u32 v[10:11], s[2:3], v2, s16, 0
	v_add3_u32 v11, v11, v13, v12
	s_waitcnt lgkmcnt(0)
	v_mul_lo_u32 v12, v7, s16
	v_mul_lo_u32 v13, v6, s17
	v_mad_u64_u32 v[6:7], s[2:3], v6, s16, 0
	v_lshlrev_b64 v[10:11], 1, v[10:11]
	v_add3_u32 v7, v7, v13, v12
	v_mov_b32_e32 v13, s19
	v_add_co_u32_e32 v12, vcc, s18, v10
	v_addc_co_u32_e64 v13, s[2:3], v13, v11, vcc
	v_lshlrev_b64 v[6:7], 1, v[6:7]
	v_mov_b32_e32 v10, s19
	v_add_co_u32_e64 v14, s[2:3], s18, v6
	v_addc_co_u32_e64 v15, s[4:5], v10, v7, s[2:3]
	global_load_ushort v6, v[12:13], off
	global_load_ushort v10, v[14:15], off
	s_mov_b64 s[28:29], -1
	s_waitcnt vmcnt(0)
	v_cmp_eq_u16_e64 s[4:5], v6, v10
	s_and_saveexec_b64 s[26:27], s[4:5]
	s_cbranch_execz .LBB1395_56
; %bb.49:
	v_mov_b32_e32 v6, s19
	v_addc_co_u32_e64 v7, s[2:3], v7, v6, s[2:3]
	v_add_co_u32_e64 v6, s[2:3], 2, v14
	v_mov_b32_e32 v10, s19
	v_addc_co_u32_e64 v7, s[2:3], 0, v7, s[2:3]
	v_addc_co_u32_e32 v11, vcc, v11, v10, vcc
	v_add_co_u32_e32 v10, vcc, 2, v12
	s_add_u32 s2, s16, -1
	v_addc_co_u32_e32 v11, vcc, 0, v11, vcc
	s_addc_u32 s3, s17, -1
	s_mov_b64 s[4:5], 0
	s_mov_b64 s[30:31], 0
                                        ; implicit-def: $sgpr28_sgpr29
	s_branch .LBB1395_52
.LBB1395_50:                            ;   in Loop: Header=BB1395_52 Depth=1
	global_load_ushort v12, v[10:11], off
	global_load_ushort v13, v[6:7], off
	v_add_co_u32_e32 v6, vcc, 2, v6
	v_addc_co_u32_e32 v7, vcc, 0, v7, vcc
	v_add_co_u32_e32 v10, vcc, 2, v10
	v_addc_co_u32_e32 v11, vcc, 0, v11, vcc
	s_add_u32 s30, s30, 1
	s_addc_u32 s31, s31, 0
	s_andn2_b64 s[28:29], s[28:29], exec
	s_waitcnt vmcnt(0)
	v_cmp_ne_u16_e32 vcc, v12, v13
	s_and_b64 s[34:35], vcc, exec
	s_or_b64 s[28:29], s[28:29], s[34:35]
.LBB1395_51:                            ;   in Loop: Header=BB1395_52 Depth=1
	s_and_b64 s[34:35], exec, s[28:29]
	s_or_b64 s[4:5], s[34:35], s[4:5]
	v_pk_mov_b32 v[12:13], s[30:31], s[30:31] op_sel:[0,1]
	s_andn2_b64 exec, exec, s[4:5]
	s_cbranch_execz .LBB1395_55
.LBB1395_52:                            ; =>This Inner Loop Header: Depth=1
	s_or_b64 s[28:29], s[28:29], exec
	s_cmp_eq_u64 s[2:3], s[30:31]
	s_cbranch_scc0 .LBB1395_50
; %bb.53:                               ;   in Loop: Header=BB1395_52 Depth=1
                                        ; implicit-def: $vgpr6_vgpr7
                                        ; implicit-def: $vgpr10_vgpr11
	s_mov_b64 s[30:31], s[16:17]
	s_branch .LBB1395_51
.LBB1395_54:
	s_mov_b64 s[28:29], 0
	s_branch .LBB1395_57
.LBB1395_55:
	s_or_b64 exec, exec, s[4:5]
	v_cmp_gt_i64_e32 vcc, s[16:17], v[12:13]
	s_orn2_b64 s[28:29], vcc, exec
.LBB1395_56:
	s_or_b64 exec, exec, s[26:27]
.LBB1395_57:
	s_and_b64 s[28:29], s[28:29], exec
	s_or_b64 s[20:21], s[20:21], exec
.LBB1395_58:
	s_or_b64 exec, exec, s[24:25]
.LBB1395_59:
	s_branch .LBB1395_108
.LBB1395_60:
	s_cmp_lg_u64 s[22:23], 1
	s_cbranch_scc0 .LBB1395_68
; %bb.61:
	v_cmp_lt_i64_e64 s[2:3], s[16:17], 1
	v_pk_mov_b32 v[8:9], 0, 0
	s_waitcnt lgkmcnt(0)
	v_cmp_gt_i64_e64 s[24:25], s[16:17], 0
	s_and_b64 vcc, exec, s[2:3]
	ds_write_b64 v1, v[4:5]
	s_cbranch_vccnz .LBB1395_71
; %bb.62:
	v_mul_lo_u32 v8, v5, s16
	v_mul_lo_u32 v9, v4, s17
	v_mad_u64_u32 v[6:7], s[2:3], v4, s16, 0
	v_add3_u32 v7, v7, v9, v8
	v_mul_lo_u32 v10, v3, s16
	v_mul_lo_u32 v11, v2, s17
	v_mad_u64_u32 v[8:9], s[2:3], v2, s16, 0
	v_add3_u32 v9, v9, v11, v10
	v_lshlrev_b64 v[10:11], 1, v[6:7]
	v_mov_b32_e32 v6, s19
	v_add_co_u32_e32 v12, vcc, s18, v10
	v_addc_co_u32_e64 v13, s[2:3], v6, v11, vcc
	v_lshlrev_b64 v[6:7], 1, v[8:9]
	v_mov_b32_e32 v8, s19
	v_add_co_u32_e64 v14, s[2:3], s18, v6
	v_addc_co_u32_e64 v15, s[4:5], v8, v7, s[2:3]
	global_load_ushort v6, v[12:13], off
	global_load_ushort v8, v[14:15], off
	s_waitcnt vmcnt(0)
	v_cmp_eq_u16_e64 s[4:5], v6, v8
	v_mov_b32_e32 v8, 1
	v_mov_b32_e32 v9, 0
	s_and_saveexec_b64 s[22:23], s[4:5]
	s_cbranch_execz .LBB1395_70
; %bb.63:
	v_mov_b32_e32 v6, s19
	v_addc_co_u32_e64 v7, s[2:3], v7, v6, s[2:3]
	v_add_co_u32_e64 v6, s[2:3], 2, v14
	v_mov_b32_e32 v8, s19
	v_addc_co_u32_e64 v7, s[2:3], 0, v7, s[2:3]
	v_addc_co_u32_e32 v9, vcc, v11, v8, vcc
	v_add_co_u32_e32 v8, vcc, 2, v12
	s_add_u32 s2, s16, -1
	v_addc_co_u32_e32 v9, vcc, 0, v9, vcc
	s_addc_u32 s3, s17, -1
	s_mov_b64 s[4:5], 0
	s_mov_b64 s[28:29], 0
                                        ; implicit-def: $sgpr26_sgpr27
	s_branch .LBB1395_66
.LBB1395_64:                            ;   in Loop: Header=BB1395_66 Depth=1
	global_load_ushort v10, v[8:9], off
	global_load_ushort v11, v[6:7], off
	v_add_co_u32_e32 v6, vcc, 2, v6
	v_addc_co_u32_e32 v7, vcc, 0, v7, vcc
	v_add_co_u32_e32 v8, vcc, 2, v8
	v_addc_co_u32_e32 v9, vcc, 0, v9, vcc
	s_add_u32 s28, s28, 1
	s_addc_u32 s29, s29, 0
	s_andn2_b64 s[26:27], s[26:27], exec
	s_waitcnt vmcnt(0)
	v_cmp_ne_u16_e32 vcc, v10, v11
	s_and_b64 s[30:31], vcc, exec
	s_or_b64 s[26:27], s[26:27], s[30:31]
.LBB1395_65:                            ;   in Loop: Header=BB1395_66 Depth=1
	s_and_b64 s[30:31], exec, s[26:27]
	s_or_b64 s[4:5], s[30:31], s[4:5]
	v_pk_mov_b32 v[10:11], s[28:29], s[28:29] op_sel:[0,1]
	s_andn2_b64 exec, exec, s[4:5]
	s_cbranch_execz .LBB1395_69
.LBB1395_66:                            ; =>This Inner Loop Header: Depth=1
	s_or_b64 s[26:27], s[26:27], exec
	s_cmp_eq_u64 s[2:3], s[28:29]
	s_cbranch_scc0 .LBB1395_64
; %bb.67:                               ;   in Loop: Header=BB1395_66 Depth=1
                                        ; implicit-def: $vgpr6_vgpr7
                                        ; implicit-def: $vgpr8_vgpr9
	s_mov_b64 s[28:29], s[16:17]
	s_branch .LBB1395_65
.LBB1395_68:
                                        ; implicit-def: $sgpr28_sgpr29
                                        ; implicit-def: $vgpr8_vgpr9
	s_cbranch_execnz .LBB1395_84
	s_branch .LBB1395_108
.LBB1395_69:
	s_or_b64 exec, exec, s[4:5]
	v_cmp_gt_i64_e32 vcc, s[16:17], v[10:11]
	s_mov_b32 s2, 0
	v_cndmask_b32_e64 v8, 0, 1, vcc
	v_mov_b32_e32 v9, s2
.LBB1395_70:
	s_or_b64 exec, exec, s[22:23]
.LBB1395_71:
	v_cmp_ne_u32_e32 vcc, 0, v0
	s_waitcnt lgkmcnt(0)
	s_barrier
	s_waitcnt lgkmcnt(0)
                                        ; implicit-def: $sgpr28_sgpr29
	s_and_saveexec_b64 s[22:23], vcc
	s_cbranch_execz .LBB1395_83
; %bb.72:
	s_andn2_b64 vcc, exec, s[24:25]
	s_cbranch_vccnz .LBB1395_79
; %bb.73:
	v_add_u32_e32 v6, -8, v1
	ds_read_b64 v[6:7], v6
	v_mul_lo_u32 v12, v3, s16
	v_mul_lo_u32 v13, v2, s17
	v_mad_u64_u32 v[10:11], s[2:3], v2, s16, 0
	v_add3_u32 v11, v11, v13, v12
	s_waitcnt lgkmcnt(0)
	v_mul_lo_u32 v12, v7, s16
	v_mul_lo_u32 v13, v6, s17
	v_mad_u64_u32 v[6:7], s[2:3], v6, s16, 0
	v_lshlrev_b64 v[10:11], 1, v[10:11]
	v_add3_u32 v7, v7, v13, v12
	v_mov_b32_e32 v13, s19
	v_add_co_u32_e32 v12, vcc, s18, v10
	v_addc_co_u32_e64 v13, s[2:3], v13, v11, vcc
	v_lshlrev_b64 v[6:7], 1, v[6:7]
	v_mov_b32_e32 v10, s19
	v_add_co_u32_e64 v14, s[2:3], s18, v6
	v_addc_co_u32_e64 v15, s[4:5], v10, v7, s[2:3]
	global_load_ushort v6, v[12:13], off
	global_load_ushort v10, v[14:15], off
	s_mov_b64 s[26:27], -1
	s_waitcnt vmcnt(0)
	v_cmp_eq_u16_e64 s[4:5], v6, v10
	s_and_saveexec_b64 s[24:25], s[4:5]
	s_cbranch_execz .LBB1395_81
; %bb.74:
	v_mov_b32_e32 v6, s19
	v_addc_co_u32_e64 v7, s[2:3], v7, v6, s[2:3]
	v_add_co_u32_e64 v6, s[2:3], 2, v14
	v_mov_b32_e32 v10, s19
	v_addc_co_u32_e64 v7, s[2:3], 0, v7, s[2:3]
	v_addc_co_u32_e32 v11, vcc, v11, v10, vcc
	v_add_co_u32_e32 v10, vcc, 2, v12
	s_add_u32 s2, s16, -1
	v_addc_co_u32_e32 v11, vcc, 0, v11, vcc
	s_addc_u32 s3, s17, -1
	s_mov_b64 s[4:5], 0
	s_mov_b64 s[28:29], 0
                                        ; implicit-def: $sgpr26_sgpr27
	s_branch .LBB1395_77
.LBB1395_75:                            ;   in Loop: Header=BB1395_77 Depth=1
	global_load_ushort v12, v[10:11], off
	global_load_ushort v13, v[6:7], off
	v_add_co_u32_e32 v6, vcc, 2, v6
	v_addc_co_u32_e32 v7, vcc, 0, v7, vcc
	v_add_co_u32_e32 v10, vcc, 2, v10
	v_addc_co_u32_e32 v11, vcc, 0, v11, vcc
	s_add_u32 s28, s28, 1
	s_addc_u32 s29, s29, 0
	s_andn2_b64 s[26:27], s[26:27], exec
	s_waitcnt vmcnt(0)
	v_cmp_ne_u16_e32 vcc, v12, v13
	s_and_b64 s[30:31], vcc, exec
	s_or_b64 s[26:27], s[26:27], s[30:31]
.LBB1395_76:                            ;   in Loop: Header=BB1395_77 Depth=1
	s_and_b64 s[30:31], exec, s[26:27]
	s_or_b64 s[4:5], s[30:31], s[4:5]
	v_pk_mov_b32 v[12:13], s[28:29], s[28:29] op_sel:[0,1]
	s_andn2_b64 exec, exec, s[4:5]
	s_cbranch_execz .LBB1395_80
.LBB1395_77:                            ; =>This Inner Loop Header: Depth=1
	s_or_b64 s[26:27], s[26:27], exec
	s_cmp_eq_u64 s[2:3], s[28:29]
	s_cbranch_scc0 .LBB1395_75
; %bb.78:                               ;   in Loop: Header=BB1395_77 Depth=1
                                        ; implicit-def: $vgpr6_vgpr7
                                        ; implicit-def: $vgpr10_vgpr11
	s_mov_b64 s[28:29], s[16:17]
	s_branch .LBB1395_76
.LBB1395_79:
	s_mov_b64 s[26:27], 0
	s_branch .LBB1395_82
.LBB1395_80:
	s_or_b64 exec, exec, s[4:5]
	v_cmp_gt_i64_e32 vcc, s[16:17], v[12:13]
	s_orn2_b64 s[26:27], vcc, exec
.LBB1395_81:
	s_or_b64 exec, exec, s[24:25]
.LBB1395_82:
	s_and_b64 s[28:29], s[26:27], exec
	s_or_b64 s[20:21], s[20:21], exec
.LBB1395_83:
	s_or_b64 exec, exec, s[22:23]
	s_branch .LBB1395_108
.LBB1395_84:
	v_lshlrev_b32_e32 v14, 1, v0
	s_waitcnt lgkmcnt(0)
	v_or_b32_e32 v6, 1, v14
	v_cmp_gt_u32_e32 vcc, s14, v6
	v_cmp_lt_i64_e64 s[22:23], s[16:17], 1
	v_pk_mov_b32 v[8:9], v[4:5], v[4:5] op_sel:[0,1]
	ds_write_b64 v1, v[4:5]
	v_pk_mov_b32 v[6:7], v[2:3], v[2:3] op_sel:[0,1]
	s_and_saveexec_b64 s[24:25], vcc
	s_cbranch_execz .LBB1395_95
; %bb.85:
	s_and_b64 vcc, exec, s[22:23]
	s_cbranch_vccnz .LBB1395_92
; %bb.86:
	v_mul_lo_u32 v6, v5, s16
	v_mul_lo_u32 v7, v4, s17
	v_mad_u64_u32 v[4:5], s[2:3], v4, s16, 0
	v_add3_u32 v5, v5, v7, v6
	v_mul_lo_u32 v6, v3, s16
	v_mul_lo_u32 v7, v2, s17
	v_mad_u64_u32 v[8:9], s[2:3], v2, s16, 0
	v_add3_u32 v9, v9, v7, v6
	v_lshlrev_b64 v[6:7], 1, v[4:5]
	v_mov_b32_e32 v4, s19
	v_add_co_u32_e32 v10, vcc, s18, v6
	v_addc_co_u32_e64 v11, s[2:3], v4, v7, vcc
	v_lshlrev_b64 v[4:5], 1, v[8:9]
	v_mov_b32_e32 v6, s19
	v_add_co_u32_e64 v12, s[2:3], s18, v4
	v_addc_co_u32_e64 v13, s[4:5], v6, v5, s[2:3]
	global_load_ushort v4, v[10:11], off
	global_load_ushort v6, v[12:13], off
	v_mov_b32_e32 v8, 1
	v_mov_b32_e32 v9, 0
	s_waitcnt vmcnt(0)
	v_cmp_eq_u16_e64 s[4:5], v4, v6
	s_and_saveexec_b64 s[26:27], s[4:5]
	s_cbranch_execz .LBB1395_94
; %bb.87:
	v_mov_b32_e32 v4, s19
	v_addc_co_u32_e64 v5, s[2:3], v5, v4, s[2:3]
	v_add_co_u32_e64 v4, s[2:3], 2, v12
	v_mov_b32_e32 v6, s19
	v_addc_co_u32_e64 v5, s[2:3], 0, v5, s[2:3]
	v_addc_co_u32_e32 v7, vcc, v7, v6, vcc
	v_add_co_u32_e32 v6, vcc, 2, v10
	s_add_u32 s2, s16, -1
	v_addc_co_u32_e32 v7, vcc, 0, v7, vcc
	s_addc_u32 s3, s17, -1
	s_mov_b64 s[4:5], 0
	s_mov_b64 s[30:31], 0
                                        ; implicit-def: $sgpr28_sgpr29
	s_branch .LBB1395_90
.LBB1395_88:                            ;   in Loop: Header=BB1395_90 Depth=1
	global_load_ushort v8, v[6:7], off
	global_load_ushort v9, v[4:5], off
	v_add_co_u32_e32 v4, vcc, 2, v4
	v_addc_co_u32_e32 v5, vcc, 0, v5, vcc
	v_add_co_u32_e32 v6, vcc, 2, v6
	v_addc_co_u32_e32 v7, vcc, 0, v7, vcc
	s_add_u32 s30, s30, 1
	s_addc_u32 s31, s31, 0
	s_andn2_b64 s[28:29], s[28:29], exec
	s_waitcnt vmcnt(0)
	v_cmp_ne_u16_e32 vcc, v8, v9
	s_and_b64 s[34:35], vcc, exec
	s_or_b64 s[28:29], s[28:29], s[34:35]
.LBB1395_89:                            ;   in Loop: Header=BB1395_90 Depth=1
	s_and_b64 s[34:35], exec, s[28:29]
	s_or_b64 s[4:5], s[34:35], s[4:5]
	v_pk_mov_b32 v[8:9], s[30:31], s[30:31] op_sel:[0,1]
	s_andn2_b64 exec, exec, s[4:5]
	s_cbranch_execz .LBB1395_93
.LBB1395_90:                            ; =>This Inner Loop Header: Depth=1
	s_or_b64 s[28:29], s[28:29], exec
	s_cmp_eq_u64 s[2:3], s[30:31]
	s_cbranch_scc0 .LBB1395_88
; %bb.91:                               ;   in Loop: Header=BB1395_90 Depth=1
                                        ; implicit-def: $vgpr4_vgpr5
                                        ; implicit-def: $vgpr6_vgpr7
	s_mov_b64 s[30:31], s[16:17]
	s_branch .LBB1395_89
.LBB1395_92:
	v_pk_mov_b32 v[8:9], 0, 0
	s_branch .LBB1395_95
.LBB1395_93:
	s_or_b64 exec, exec, s[4:5]
	v_cmp_gt_i64_e32 vcc, s[16:17], v[8:9]
	s_mov_b32 s2, 0
	v_cndmask_b32_e64 v8, 0, 1, vcc
	v_mov_b32_e32 v9, s2
.LBB1395_94:
	s_or_b64 exec, exec, s[26:27]
.LBB1395_95:
	s_or_b64 exec, exec, s[24:25]
	v_cmp_ne_u32_e32 vcc, 0, v0
	v_cmp_gt_u32_e64 s[2:3], s14, v14
	s_and_b64 s[2:3], vcc, s[2:3]
	s_waitcnt lgkmcnt(0)
	s_barrier
	s_waitcnt lgkmcnt(0)
                                        ; implicit-def: $sgpr28_sgpr29
	s_and_saveexec_b64 s[24:25], s[2:3]
	s_cbranch_execz .LBB1395_107
; %bb.96:
	s_and_b64 vcc, exec, s[22:23]
	s_cbranch_vccnz .LBB1395_103
; %bb.97:
	v_mul_lo_u32 v6, v3, s16
	v_add_u32_e32 v3, -8, v1
	ds_read_b64 v[4:5], v3
	v_mul_lo_u32 v7, v2, s17
	v_mad_u64_u32 v[2:3], s[2:3], v2, s16, 0
	v_add3_u32 v3, v3, v7, v6
	s_waitcnt lgkmcnt(0)
	v_mul_lo_u32 v5, v5, s16
	v_mul_lo_u32 v6, v4, s17
	v_mad_u64_u32 v[10:11], s[2:3], v4, s16, 0
	v_add3_u32 v11, v11, v6, v5
	v_lshlrev_b64 v[4:5], 1, v[2:3]
	v_mov_b32_e32 v2, s19
	v_add_co_u32_e32 v6, vcc, s18, v4
	v_addc_co_u32_e64 v7, s[2:3], v2, v5, vcc
	v_lshlrev_b64 v[2:3], 1, v[10:11]
	v_mov_b32_e32 v4, s19
	v_add_co_u32_e64 v10, s[2:3], s18, v2
	v_addc_co_u32_e64 v11, s[4:5], v4, v3, s[2:3]
	global_load_ushort v2, v[6:7], off
	global_load_ushort v4, v[10:11], off
	s_mov_b64 s[26:27], -1
	s_waitcnt vmcnt(0)
	v_cmp_eq_u16_e64 s[4:5], v2, v4
	s_and_saveexec_b64 s[22:23], s[4:5]
	s_cbranch_execz .LBB1395_105
; %bb.98:
	v_mov_b32_e32 v2, s19
	v_addc_co_u32_e64 v3, s[2:3], v3, v2, s[2:3]
	v_add_co_u32_e64 v2, s[2:3], 2, v10
	v_mov_b32_e32 v4, s19
	v_addc_co_u32_e64 v3, s[2:3], 0, v3, s[2:3]
	v_addc_co_u32_e32 v5, vcc, v5, v4, vcc
	v_add_co_u32_e32 v4, vcc, 2, v6
	s_add_u32 s2, s16, -1
	v_addc_co_u32_e32 v5, vcc, 0, v5, vcc
	s_addc_u32 s3, s17, -1
	s_mov_b64 s[4:5], 0
	s_mov_b64 s[26:27], 0
                                        ; implicit-def: $sgpr18_sgpr19
	s_branch .LBB1395_101
.LBB1395_99:                            ;   in Loop: Header=BB1395_101 Depth=1
	global_load_ushort v6, v[4:5], off
	global_load_ushort v7, v[2:3], off
	v_add_co_u32_e32 v2, vcc, 2, v2
	v_addc_co_u32_e32 v3, vcc, 0, v3, vcc
	v_add_co_u32_e32 v4, vcc, 2, v4
	v_addc_co_u32_e32 v5, vcc, 0, v5, vcc
	s_add_u32 s26, s26, 1
	s_addc_u32 s27, s27, 0
	s_andn2_b64 s[18:19], s[18:19], exec
	s_waitcnt vmcnt(0)
	v_cmp_ne_u16_e32 vcc, v6, v7
	s_and_b64 s[28:29], vcc, exec
	s_or_b64 s[18:19], s[18:19], s[28:29]
.LBB1395_100:                           ;   in Loop: Header=BB1395_101 Depth=1
	s_and_b64 s[28:29], exec, s[18:19]
	s_or_b64 s[4:5], s[28:29], s[4:5]
	v_pk_mov_b32 v[6:7], s[26:27], s[26:27] op_sel:[0,1]
	s_andn2_b64 exec, exec, s[4:5]
	s_cbranch_execz .LBB1395_104
.LBB1395_101:                           ; =>This Inner Loop Header: Depth=1
	s_or_b64 s[18:19], s[18:19], exec
	s_cmp_eq_u64 s[2:3], s[26:27]
	s_cbranch_scc0 .LBB1395_99
; %bb.102:                              ;   in Loop: Header=BB1395_101 Depth=1
                                        ; implicit-def: $vgpr2_vgpr3
                                        ; implicit-def: $vgpr4_vgpr5
	s_mov_b64 s[26:27], s[16:17]
	s_branch .LBB1395_100
.LBB1395_103:
	s_mov_b64 s[26:27], 0
	s_branch .LBB1395_106
.LBB1395_104:
	s_or_b64 exec, exec, s[4:5]
	v_cmp_gt_i64_e32 vcc, s[16:17], v[6:7]
	s_orn2_b64 s[26:27], vcc, exec
.LBB1395_105:
	s_or_b64 exec, exec, s[22:23]
.LBB1395_106:
	s_and_b64 s[28:29], s[26:27], exec
	s_or_b64 s[20:21], s[20:21], exec
                                        ; implicit-def: $vgpr2_vgpr3
.LBB1395_107:
	s_or_b64 exec, exec, s[24:25]
.LBB1395_108:
	s_and_saveexec_b64 s[2:3], s[20:21]
; %bb.109:
	s_mov_b32 s4, 0
	v_cndmask_b32_e64 v2, 0, 1, s[28:29]
	v_mov_b32_e32 v3, s4
; %bb.110:
	s_or_b64 exec, exec, s[2:3]
	s_add_u32 s4, s12, s10
	s_addc_u32 s5, s13, s11
	s_and_b64 vcc, exec, s[0:1]
	v_lshrrev_b32_e32 v10, 1, v0
	s_waitcnt lgkmcnt(0)
	s_barrier
	s_cbranch_vccz .LBB1395_114
; %bb.111:
	v_and_b32_e32 v4, 0x78, v10
	v_lshl_add_u32 v6, v0, 4, v4
	v_mov_b32_e32 v4, v8
	v_mov_b32_e32 v5, v9
	v_or_b32_e32 v11, 0x100, v0
	s_lshl_b32 s0, s6, 9
	s_mov_b32 s9, 0
	ds_write2_b64 v6, v[2:3], v[4:5] offset1:1
	v_lshrrev_b32_e32 v4, 5, v11
	s_sub_i32 s2, s14, s0
	s_lshl_b64 s[0:1], s[8:9], 3
	v_add_lshl_u32 v4, v4, v0, 3
	s_add_u32 s0, s4, s0
	s_waitcnt lgkmcnt(0)
	s_barrier
	ds_read_b64 v[4:5], v4 offset:2048
	s_addc_u32 s1, s5, s1
	v_mov_b32_e32 v7, s1
	v_add_co_u32_e32 v6, vcc, s0, v1
	v_addc_co_u32_e32 v7, vcc, 0, v7, vcc
	v_cmp_gt_u32_e32 vcc, s2, v0
	s_and_saveexec_b64 s[0:1], vcc
	s_cbranch_execz .LBB1395_113
; %bb.112:
	v_lshrrev_b32_e32 v12, 5, v0
	v_add_lshl_u32 v12, v12, v0, 3
	ds_read_b64 v[12:13], v12
	s_waitcnt lgkmcnt(0)
	global_store_dwordx2 v[6:7], v[12:13], off
.LBB1395_113:
	s_or_b64 exec, exec, s[0:1]
	v_cmp_gt_u32_e64 s[0:1], s2, v11
	s_branch .LBB1395_116
.LBB1395_114:
	s_mov_b64 s[0:1], 0
                                        ; implicit-def: $vgpr4_vgpr5
                                        ; implicit-def: $vgpr6_vgpr7
	s_cbranch_execz .LBB1395_116
; %bb.115:
	s_waitcnt lgkmcnt(0)
	v_and_b32_e32 v4, 0x78, v10
	v_lshl_add_u32 v6, v0, 4, v4
	v_mov_b32_e32 v4, v8
	v_mov_b32_e32 v5, v9
	s_mov_b32 s9, 0
	ds_write2_b64 v6, v[2:3], v[4:5] offset1:1
	v_lshrrev_b32_e32 v2, 5, v0
	v_or_b32_e32 v3, 0x100, v0
	s_lshl_b64 s[2:3], s[8:9], 3
	v_add_lshl_u32 v2, v2, v0, 3
	v_lshrrev_b32_e32 v3, 5, v3
	s_add_u32 s2, s4, s2
	s_waitcnt lgkmcnt(0)
	s_barrier
	v_add_lshl_u32 v0, v3, v0, 3
	ds_read_b64 v[2:3], v2
	ds_read_b64 v[4:5], v0 offset:2048
	s_addc_u32 s3, s5, s3
	v_mov_b32_e32 v0, s3
	v_add_co_u32_e32 v6, vcc, s2, v1
	v_addc_co_u32_e32 v7, vcc, 0, v0, vcc
	s_or_b64 s[0:1], s[0:1], exec
	s_waitcnt lgkmcnt(1)
	global_store_dwordx2 v1, v[2:3], s[2:3]
.LBB1395_116:
	s_and_saveexec_b64 s[2:3], s[0:1]
	s_cbranch_execnz .LBB1395_118
; %bb.117:
	s_endpgm
.LBB1395_118:
	s_waitcnt lgkmcnt(0)
	global_store_dwordx2 v[6:7], v[4:5], off offset:2048
	s_endpgm
	.section	.rodata,"a",@progbits
	.p2align	6, 0x0
	.amdhsa_kernel _ZN7rocprim17ROCPRIM_400000_NS6detail17trampoline_kernelINS0_14default_configENS1_35adjacent_difference_config_selectorILb0ElEEZNS1_24adjacent_difference_implIS3_Lb0ELb0EPlS7_ZN2at6native12_GLOBAL__N_124unique_dim_cuda_templateItEESt5tupleIJNS8_6TensorESD_SD_EERKSD_lbbbEUlllE1_EE10hipError_tPvRmT2_T3_mT4_P12ihipStream_tbEUlT_E_NS1_11comp_targetILNS1_3genE4ELNS1_11target_archE910ELNS1_3gpuE8ELNS1_3repE0EEENS1_30default_config_static_selectorELNS0_4arch9wavefront6targetE1EEEvT1_
		.amdhsa_group_segment_fixed_size 4224
		.amdhsa_private_segment_fixed_size 0
		.amdhsa_kernarg_size 64
		.amdhsa_user_sgpr_count 6
		.amdhsa_user_sgpr_private_segment_buffer 1
		.amdhsa_user_sgpr_dispatch_ptr 0
		.amdhsa_user_sgpr_queue_ptr 0
		.amdhsa_user_sgpr_kernarg_segment_ptr 1
		.amdhsa_user_sgpr_dispatch_id 0
		.amdhsa_user_sgpr_flat_scratch_init 0
		.amdhsa_user_sgpr_kernarg_preload_length 0
		.amdhsa_user_sgpr_kernarg_preload_offset 0
		.amdhsa_user_sgpr_private_segment_size 0
		.amdhsa_uses_dynamic_stack 0
		.amdhsa_system_sgpr_private_segment_wavefront_offset 0
		.amdhsa_system_sgpr_workgroup_id_x 1
		.amdhsa_system_sgpr_workgroup_id_y 0
		.amdhsa_system_sgpr_workgroup_id_z 0
		.amdhsa_system_sgpr_workgroup_info 0
		.amdhsa_system_vgpr_workitem_id 0
		.amdhsa_next_free_vgpr 17
		.amdhsa_next_free_sgpr 38
		.amdhsa_accum_offset 20
		.amdhsa_reserve_vcc 1
		.amdhsa_reserve_flat_scratch 0
		.amdhsa_float_round_mode_32 0
		.amdhsa_float_round_mode_16_64 0
		.amdhsa_float_denorm_mode_32 3
		.amdhsa_float_denorm_mode_16_64 3
		.amdhsa_dx10_clamp 1
		.amdhsa_ieee_mode 1
		.amdhsa_fp16_overflow 0
		.amdhsa_tg_split 0
		.amdhsa_exception_fp_ieee_invalid_op 0
		.amdhsa_exception_fp_denorm_src 0
		.amdhsa_exception_fp_ieee_div_zero 0
		.amdhsa_exception_fp_ieee_overflow 0
		.amdhsa_exception_fp_ieee_underflow 0
		.amdhsa_exception_fp_ieee_inexact 0
		.amdhsa_exception_int_div_zero 0
	.end_amdhsa_kernel
	.section	.text._ZN7rocprim17ROCPRIM_400000_NS6detail17trampoline_kernelINS0_14default_configENS1_35adjacent_difference_config_selectorILb0ElEEZNS1_24adjacent_difference_implIS3_Lb0ELb0EPlS7_ZN2at6native12_GLOBAL__N_124unique_dim_cuda_templateItEESt5tupleIJNS8_6TensorESD_SD_EERKSD_lbbbEUlllE1_EE10hipError_tPvRmT2_T3_mT4_P12ihipStream_tbEUlT_E_NS1_11comp_targetILNS1_3genE4ELNS1_11target_archE910ELNS1_3gpuE8ELNS1_3repE0EEENS1_30default_config_static_selectorELNS0_4arch9wavefront6targetE1EEEvT1_,"axG",@progbits,_ZN7rocprim17ROCPRIM_400000_NS6detail17trampoline_kernelINS0_14default_configENS1_35adjacent_difference_config_selectorILb0ElEEZNS1_24adjacent_difference_implIS3_Lb0ELb0EPlS7_ZN2at6native12_GLOBAL__N_124unique_dim_cuda_templateItEESt5tupleIJNS8_6TensorESD_SD_EERKSD_lbbbEUlllE1_EE10hipError_tPvRmT2_T3_mT4_P12ihipStream_tbEUlT_E_NS1_11comp_targetILNS1_3genE4ELNS1_11target_archE910ELNS1_3gpuE8ELNS1_3repE0EEENS1_30default_config_static_selectorELNS0_4arch9wavefront6targetE1EEEvT1_,comdat
.Lfunc_end1395:
	.size	_ZN7rocprim17ROCPRIM_400000_NS6detail17trampoline_kernelINS0_14default_configENS1_35adjacent_difference_config_selectorILb0ElEEZNS1_24adjacent_difference_implIS3_Lb0ELb0EPlS7_ZN2at6native12_GLOBAL__N_124unique_dim_cuda_templateItEESt5tupleIJNS8_6TensorESD_SD_EERKSD_lbbbEUlllE1_EE10hipError_tPvRmT2_T3_mT4_P12ihipStream_tbEUlT_E_NS1_11comp_targetILNS1_3genE4ELNS1_11target_archE910ELNS1_3gpuE8ELNS1_3repE0EEENS1_30default_config_static_selectorELNS0_4arch9wavefront6targetE1EEEvT1_, .Lfunc_end1395-_ZN7rocprim17ROCPRIM_400000_NS6detail17trampoline_kernelINS0_14default_configENS1_35adjacent_difference_config_selectorILb0ElEEZNS1_24adjacent_difference_implIS3_Lb0ELb0EPlS7_ZN2at6native12_GLOBAL__N_124unique_dim_cuda_templateItEESt5tupleIJNS8_6TensorESD_SD_EERKSD_lbbbEUlllE1_EE10hipError_tPvRmT2_T3_mT4_P12ihipStream_tbEUlT_E_NS1_11comp_targetILNS1_3genE4ELNS1_11target_archE910ELNS1_3gpuE8ELNS1_3repE0EEENS1_30default_config_static_selectorELNS0_4arch9wavefront6targetE1EEEvT1_
                                        ; -- End function
	.section	.AMDGPU.csdata,"",@progbits
; Kernel info:
; codeLenInByte = 4256
; NumSgprs: 42
; NumVgprs: 17
; NumAgprs: 0
; TotalNumVgprs: 17
; ScratchSize: 0
; MemoryBound: 0
; FloatMode: 240
; IeeeMode: 1
; LDSByteSize: 4224 bytes/workgroup (compile time only)
; SGPRBlocks: 5
; VGPRBlocks: 2
; NumSGPRsForWavesPerEU: 42
; NumVGPRsForWavesPerEU: 17
; AccumOffset: 20
; Occupancy: 8
; WaveLimiterHint : 1
; COMPUTE_PGM_RSRC2:SCRATCH_EN: 0
; COMPUTE_PGM_RSRC2:USER_SGPR: 6
; COMPUTE_PGM_RSRC2:TRAP_HANDLER: 0
; COMPUTE_PGM_RSRC2:TGID_X_EN: 1
; COMPUTE_PGM_RSRC2:TGID_Y_EN: 0
; COMPUTE_PGM_RSRC2:TGID_Z_EN: 0
; COMPUTE_PGM_RSRC2:TIDIG_COMP_CNT: 0
; COMPUTE_PGM_RSRC3_GFX90A:ACCUM_OFFSET: 4
; COMPUTE_PGM_RSRC3_GFX90A:TG_SPLIT: 0
	.section	.text._ZN7rocprim17ROCPRIM_400000_NS6detail17trampoline_kernelINS0_14default_configENS1_35adjacent_difference_config_selectorILb0ElEEZNS1_24adjacent_difference_implIS3_Lb0ELb0EPlS7_ZN2at6native12_GLOBAL__N_124unique_dim_cuda_templateItEESt5tupleIJNS8_6TensorESD_SD_EERKSD_lbbbEUlllE1_EE10hipError_tPvRmT2_T3_mT4_P12ihipStream_tbEUlT_E_NS1_11comp_targetILNS1_3genE3ELNS1_11target_archE908ELNS1_3gpuE7ELNS1_3repE0EEENS1_30default_config_static_selectorELNS0_4arch9wavefront6targetE1EEEvT1_,"axG",@progbits,_ZN7rocprim17ROCPRIM_400000_NS6detail17trampoline_kernelINS0_14default_configENS1_35adjacent_difference_config_selectorILb0ElEEZNS1_24adjacent_difference_implIS3_Lb0ELb0EPlS7_ZN2at6native12_GLOBAL__N_124unique_dim_cuda_templateItEESt5tupleIJNS8_6TensorESD_SD_EERKSD_lbbbEUlllE1_EE10hipError_tPvRmT2_T3_mT4_P12ihipStream_tbEUlT_E_NS1_11comp_targetILNS1_3genE3ELNS1_11target_archE908ELNS1_3gpuE7ELNS1_3repE0EEENS1_30default_config_static_selectorELNS0_4arch9wavefront6targetE1EEEvT1_,comdat
	.globl	_ZN7rocprim17ROCPRIM_400000_NS6detail17trampoline_kernelINS0_14default_configENS1_35adjacent_difference_config_selectorILb0ElEEZNS1_24adjacent_difference_implIS3_Lb0ELb0EPlS7_ZN2at6native12_GLOBAL__N_124unique_dim_cuda_templateItEESt5tupleIJNS8_6TensorESD_SD_EERKSD_lbbbEUlllE1_EE10hipError_tPvRmT2_T3_mT4_P12ihipStream_tbEUlT_E_NS1_11comp_targetILNS1_3genE3ELNS1_11target_archE908ELNS1_3gpuE7ELNS1_3repE0EEENS1_30default_config_static_selectorELNS0_4arch9wavefront6targetE1EEEvT1_ ; -- Begin function _ZN7rocprim17ROCPRIM_400000_NS6detail17trampoline_kernelINS0_14default_configENS1_35adjacent_difference_config_selectorILb0ElEEZNS1_24adjacent_difference_implIS3_Lb0ELb0EPlS7_ZN2at6native12_GLOBAL__N_124unique_dim_cuda_templateItEESt5tupleIJNS8_6TensorESD_SD_EERKSD_lbbbEUlllE1_EE10hipError_tPvRmT2_T3_mT4_P12ihipStream_tbEUlT_E_NS1_11comp_targetILNS1_3genE3ELNS1_11target_archE908ELNS1_3gpuE7ELNS1_3repE0EEENS1_30default_config_static_selectorELNS0_4arch9wavefront6targetE1EEEvT1_
	.p2align	8
	.type	_ZN7rocprim17ROCPRIM_400000_NS6detail17trampoline_kernelINS0_14default_configENS1_35adjacent_difference_config_selectorILb0ElEEZNS1_24adjacent_difference_implIS3_Lb0ELb0EPlS7_ZN2at6native12_GLOBAL__N_124unique_dim_cuda_templateItEESt5tupleIJNS8_6TensorESD_SD_EERKSD_lbbbEUlllE1_EE10hipError_tPvRmT2_T3_mT4_P12ihipStream_tbEUlT_E_NS1_11comp_targetILNS1_3genE3ELNS1_11target_archE908ELNS1_3gpuE7ELNS1_3repE0EEENS1_30default_config_static_selectorELNS0_4arch9wavefront6targetE1EEEvT1_,@function
_ZN7rocprim17ROCPRIM_400000_NS6detail17trampoline_kernelINS0_14default_configENS1_35adjacent_difference_config_selectorILb0ElEEZNS1_24adjacent_difference_implIS3_Lb0ELb0EPlS7_ZN2at6native12_GLOBAL__N_124unique_dim_cuda_templateItEESt5tupleIJNS8_6TensorESD_SD_EERKSD_lbbbEUlllE1_EE10hipError_tPvRmT2_T3_mT4_P12ihipStream_tbEUlT_E_NS1_11comp_targetILNS1_3genE3ELNS1_11target_archE908ELNS1_3gpuE7ELNS1_3repE0EEENS1_30default_config_static_selectorELNS0_4arch9wavefront6targetE1EEEvT1_: ; @_ZN7rocprim17ROCPRIM_400000_NS6detail17trampoline_kernelINS0_14default_configENS1_35adjacent_difference_config_selectorILb0ElEEZNS1_24adjacent_difference_implIS3_Lb0ELb0EPlS7_ZN2at6native12_GLOBAL__N_124unique_dim_cuda_templateItEESt5tupleIJNS8_6TensorESD_SD_EERKSD_lbbbEUlllE1_EE10hipError_tPvRmT2_T3_mT4_P12ihipStream_tbEUlT_E_NS1_11comp_targetILNS1_3genE3ELNS1_11target_archE908ELNS1_3gpuE7ELNS1_3repE0EEENS1_30default_config_static_selectorELNS0_4arch9wavefront6targetE1EEEvT1_
; %bb.0:
	.section	.rodata,"a",@progbits
	.p2align	6, 0x0
	.amdhsa_kernel _ZN7rocprim17ROCPRIM_400000_NS6detail17trampoline_kernelINS0_14default_configENS1_35adjacent_difference_config_selectorILb0ElEEZNS1_24adjacent_difference_implIS3_Lb0ELb0EPlS7_ZN2at6native12_GLOBAL__N_124unique_dim_cuda_templateItEESt5tupleIJNS8_6TensorESD_SD_EERKSD_lbbbEUlllE1_EE10hipError_tPvRmT2_T3_mT4_P12ihipStream_tbEUlT_E_NS1_11comp_targetILNS1_3genE3ELNS1_11target_archE908ELNS1_3gpuE7ELNS1_3repE0EEENS1_30default_config_static_selectorELNS0_4arch9wavefront6targetE1EEEvT1_
		.amdhsa_group_segment_fixed_size 0
		.amdhsa_private_segment_fixed_size 0
		.amdhsa_kernarg_size 64
		.amdhsa_user_sgpr_count 6
		.amdhsa_user_sgpr_private_segment_buffer 1
		.amdhsa_user_sgpr_dispatch_ptr 0
		.amdhsa_user_sgpr_queue_ptr 0
		.amdhsa_user_sgpr_kernarg_segment_ptr 1
		.amdhsa_user_sgpr_dispatch_id 0
		.amdhsa_user_sgpr_flat_scratch_init 0
		.amdhsa_user_sgpr_kernarg_preload_length 0
		.amdhsa_user_sgpr_kernarg_preload_offset 0
		.amdhsa_user_sgpr_private_segment_size 0
		.amdhsa_uses_dynamic_stack 0
		.amdhsa_system_sgpr_private_segment_wavefront_offset 0
		.amdhsa_system_sgpr_workgroup_id_x 1
		.amdhsa_system_sgpr_workgroup_id_y 0
		.amdhsa_system_sgpr_workgroup_id_z 0
		.amdhsa_system_sgpr_workgroup_info 0
		.amdhsa_system_vgpr_workitem_id 0
		.amdhsa_next_free_vgpr 1
		.amdhsa_next_free_sgpr 0
		.amdhsa_accum_offset 4
		.amdhsa_reserve_vcc 0
		.amdhsa_reserve_flat_scratch 0
		.amdhsa_float_round_mode_32 0
		.amdhsa_float_round_mode_16_64 0
		.amdhsa_float_denorm_mode_32 3
		.amdhsa_float_denorm_mode_16_64 3
		.amdhsa_dx10_clamp 1
		.amdhsa_ieee_mode 1
		.amdhsa_fp16_overflow 0
		.amdhsa_tg_split 0
		.amdhsa_exception_fp_ieee_invalid_op 0
		.amdhsa_exception_fp_denorm_src 0
		.amdhsa_exception_fp_ieee_div_zero 0
		.amdhsa_exception_fp_ieee_overflow 0
		.amdhsa_exception_fp_ieee_underflow 0
		.amdhsa_exception_fp_ieee_inexact 0
		.amdhsa_exception_int_div_zero 0
	.end_amdhsa_kernel
	.section	.text._ZN7rocprim17ROCPRIM_400000_NS6detail17trampoline_kernelINS0_14default_configENS1_35adjacent_difference_config_selectorILb0ElEEZNS1_24adjacent_difference_implIS3_Lb0ELb0EPlS7_ZN2at6native12_GLOBAL__N_124unique_dim_cuda_templateItEESt5tupleIJNS8_6TensorESD_SD_EERKSD_lbbbEUlllE1_EE10hipError_tPvRmT2_T3_mT4_P12ihipStream_tbEUlT_E_NS1_11comp_targetILNS1_3genE3ELNS1_11target_archE908ELNS1_3gpuE7ELNS1_3repE0EEENS1_30default_config_static_selectorELNS0_4arch9wavefront6targetE1EEEvT1_,"axG",@progbits,_ZN7rocprim17ROCPRIM_400000_NS6detail17trampoline_kernelINS0_14default_configENS1_35adjacent_difference_config_selectorILb0ElEEZNS1_24adjacent_difference_implIS3_Lb0ELb0EPlS7_ZN2at6native12_GLOBAL__N_124unique_dim_cuda_templateItEESt5tupleIJNS8_6TensorESD_SD_EERKSD_lbbbEUlllE1_EE10hipError_tPvRmT2_T3_mT4_P12ihipStream_tbEUlT_E_NS1_11comp_targetILNS1_3genE3ELNS1_11target_archE908ELNS1_3gpuE7ELNS1_3repE0EEENS1_30default_config_static_selectorELNS0_4arch9wavefront6targetE1EEEvT1_,comdat
.Lfunc_end1396:
	.size	_ZN7rocprim17ROCPRIM_400000_NS6detail17trampoline_kernelINS0_14default_configENS1_35adjacent_difference_config_selectorILb0ElEEZNS1_24adjacent_difference_implIS3_Lb0ELb0EPlS7_ZN2at6native12_GLOBAL__N_124unique_dim_cuda_templateItEESt5tupleIJNS8_6TensorESD_SD_EERKSD_lbbbEUlllE1_EE10hipError_tPvRmT2_T3_mT4_P12ihipStream_tbEUlT_E_NS1_11comp_targetILNS1_3genE3ELNS1_11target_archE908ELNS1_3gpuE7ELNS1_3repE0EEENS1_30default_config_static_selectorELNS0_4arch9wavefront6targetE1EEEvT1_, .Lfunc_end1396-_ZN7rocprim17ROCPRIM_400000_NS6detail17trampoline_kernelINS0_14default_configENS1_35adjacent_difference_config_selectorILb0ElEEZNS1_24adjacent_difference_implIS3_Lb0ELb0EPlS7_ZN2at6native12_GLOBAL__N_124unique_dim_cuda_templateItEESt5tupleIJNS8_6TensorESD_SD_EERKSD_lbbbEUlllE1_EE10hipError_tPvRmT2_T3_mT4_P12ihipStream_tbEUlT_E_NS1_11comp_targetILNS1_3genE3ELNS1_11target_archE908ELNS1_3gpuE7ELNS1_3repE0EEENS1_30default_config_static_selectorELNS0_4arch9wavefront6targetE1EEEvT1_
                                        ; -- End function
	.section	.AMDGPU.csdata,"",@progbits
; Kernel info:
; codeLenInByte = 0
; NumSgprs: 4
; NumVgprs: 0
; NumAgprs: 0
; TotalNumVgprs: 0
; ScratchSize: 0
; MemoryBound: 0
; FloatMode: 240
; IeeeMode: 1
; LDSByteSize: 0 bytes/workgroup (compile time only)
; SGPRBlocks: 0
; VGPRBlocks: 0
; NumSGPRsForWavesPerEU: 4
; NumVGPRsForWavesPerEU: 1
; AccumOffset: 4
; Occupancy: 8
; WaveLimiterHint : 0
; COMPUTE_PGM_RSRC2:SCRATCH_EN: 0
; COMPUTE_PGM_RSRC2:USER_SGPR: 6
; COMPUTE_PGM_RSRC2:TRAP_HANDLER: 0
; COMPUTE_PGM_RSRC2:TGID_X_EN: 1
; COMPUTE_PGM_RSRC2:TGID_Y_EN: 0
; COMPUTE_PGM_RSRC2:TGID_Z_EN: 0
; COMPUTE_PGM_RSRC2:TIDIG_COMP_CNT: 0
; COMPUTE_PGM_RSRC3_GFX90A:ACCUM_OFFSET: 0
; COMPUTE_PGM_RSRC3_GFX90A:TG_SPLIT: 0
	.section	.text._ZN7rocprim17ROCPRIM_400000_NS6detail17trampoline_kernelINS0_14default_configENS1_35adjacent_difference_config_selectorILb0ElEEZNS1_24adjacent_difference_implIS3_Lb0ELb0EPlS7_ZN2at6native12_GLOBAL__N_124unique_dim_cuda_templateItEESt5tupleIJNS8_6TensorESD_SD_EERKSD_lbbbEUlllE1_EE10hipError_tPvRmT2_T3_mT4_P12ihipStream_tbEUlT_E_NS1_11comp_targetILNS1_3genE2ELNS1_11target_archE906ELNS1_3gpuE6ELNS1_3repE0EEENS1_30default_config_static_selectorELNS0_4arch9wavefront6targetE1EEEvT1_,"axG",@progbits,_ZN7rocprim17ROCPRIM_400000_NS6detail17trampoline_kernelINS0_14default_configENS1_35adjacent_difference_config_selectorILb0ElEEZNS1_24adjacent_difference_implIS3_Lb0ELb0EPlS7_ZN2at6native12_GLOBAL__N_124unique_dim_cuda_templateItEESt5tupleIJNS8_6TensorESD_SD_EERKSD_lbbbEUlllE1_EE10hipError_tPvRmT2_T3_mT4_P12ihipStream_tbEUlT_E_NS1_11comp_targetILNS1_3genE2ELNS1_11target_archE906ELNS1_3gpuE6ELNS1_3repE0EEENS1_30default_config_static_selectorELNS0_4arch9wavefront6targetE1EEEvT1_,comdat
	.globl	_ZN7rocprim17ROCPRIM_400000_NS6detail17trampoline_kernelINS0_14default_configENS1_35adjacent_difference_config_selectorILb0ElEEZNS1_24adjacent_difference_implIS3_Lb0ELb0EPlS7_ZN2at6native12_GLOBAL__N_124unique_dim_cuda_templateItEESt5tupleIJNS8_6TensorESD_SD_EERKSD_lbbbEUlllE1_EE10hipError_tPvRmT2_T3_mT4_P12ihipStream_tbEUlT_E_NS1_11comp_targetILNS1_3genE2ELNS1_11target_archE906ELNS1_3gpuE6ELNS1_3repE0EEENS1_30default_config_static_selectorELNS0_4arch9wavefront6targetE1EEEvT1_ ; -- Begin function _ZN7rocprim17ROCPRIM_400000_NS6detail17trampoline_kernelINS0_14default_configENS1_35adjacent_difference_config_selectorILb0ElEEZNS1_24adjacent_difference_implIS3_Lb0ELb0EPlS7_ZN2at6native12_GLOBAL__N_124unique_dim_cuda_templateItEESt5tupleIJNS8_6TensorESD_SD_EERKSD_lbbbEUlllE1_EE10hipError_tPvRmT2_T3_mT4_P12ihipStream_tbEUlT_E_NS1_11comp_targetILNS1_3genE2ELNS1_11target_archE906ELNS1_3gpuE6ELNS1_3repE0EEENS1_30default_config_static_selectorELNS0_4arch9wavefront6targetE1EEEvT1_
	.p2align	8
	.type	_ZN7rocprim17ROCPRIM_400000_NS6detail17trampoline_kernelINS0_14default_configENS1_35adjacent_difference_config_selectorILb0ElEEZNS1_24adjacent_difference_implIS3_Lb0ELb0EPlS7_ZN2at6native12_GLOBAL__N_124unique_dim_cuda_templateItEESt5tupleIJNS8_6TensorESD_SD_EERKSD_lbbbEUlllE1_EE10hipError_tPvRmT2_T3_mT4_P12ihipStream_tbEUlT_E_NS1_11comp_targetILNS1_3genE2ELNS1_11target_archE906ELNS1_3gpuE6ELNS1_3repE0EEENS1_30default_config_static_selectorELNS0_4arch9wavefront6targetE1EEEvT1_,@function
_ZN7rocprim17ROCPRIM_400000_NS6detail17trampoline_kernelINS0_14default_configENS1_35adjacent_difference_config_selectorILb0ElEEZNS1_24adjacent_difference_implIS3_Lb0ELb0EPlS7_ZN2at6native12_GLOBAL__N_124unique_dim_cuda_templateItEESt5tupleIJNS8_6TensorESD_SD_EERKSD_lbbbEUlllE1_EE10hipError_tPvRmT2_T3_mT4_P12ihipStream_tbEUlT_E_NS1_11comp_targetILNS1_3genE2ELNS1_11target_archE906ELNS1_3gpuE6ELNS1_3repE0EEENS1_30default_config_static_selectorELNS0_4arch9wavefront6targetE1EEEvT1_: ; @_ZN7rocprim17ROCPRIM_400000_NS6detail17trampoline_kernelINS0_14default_configENS1_35adjacent_difference_config_selectorILb0ElEEZNS1_24adjacent_difference_implIS3_Lb0ELb0EPlS7_ZN2at6native12_GLOBAL__N_124unique_dim_cuda_templateItEESt5tupleIJNS8_6TensorESD_SD_EERKSD_lbbbEUlllE1_EE10hipError_tPvRmT2_T3_mT4_P12ihipStream_tbEUlT_E_NS1_11comp_targetILNS1_3genE2ELNS1_11target_archE906ELNS1_3gpuE6ELNS1_3repE0EEENS1_30default_config_static_selectorELNS0_4arch9wavefront6targetE1EEEvT1_
; %bb.0:
	.section	.rodata,"a",@progbits
	.p2align	6, 0x0
	.amdhsa_kernel _ZN7rocprim17ROCPRIM_400000_NS6detail17trampoline_kernelINS0_14default_configENS1_35adjacent_difference_config_selectorILb0ElEEZNS1_24adjacent_difference_implIS3_Lb0ELb0EPlS7_ZN2at6native12_GLOBAL__N_124unique_dim_cuda_templateItEESt5tupleIJNS8_6TensorESD_SD_EERKSD_lbbbEUlllE1_EE10hipError_tPvRmT2_T3_mT4_P12ihipStream_tbEUlT_E_NS1_11comp_targetILNS1_3genE2ELNS1_11target_archE906ELNS1_3gpuE6ELNS1_3repE0EEENS1_30default_config_static_selectorELNS0_4arch9wavefront6targetE1EEEvT1_
		.amdhsa_group_segment_fixed_size 0
		.amdhsa_private_segment_fixed_size 0
		.amdhsa_kernarg_size 64
		.amdhsa_user_sgpr_count 6
		.amdhsa_user_sgpr_private_segment_buffer 1
		.amdhsa_user_sgpr_dispatch_ptr 0
		.amdhsa_user_sgpr_queue_ptr 0
		.amdhsa_user_sgpr_kernarg_segment_ptr 1
		.amdhsa_user_sgpr_dispatch_id 0
		.amdhsa_user_sgpr_flat_scratch_init 0
		.amdhsa_user_sgpr_kernarg_preload_length 0
		.amdhsa_user_sgpr_kernarg_preload_offset 0
		.amdhsa_user_sgpr_private_segment_size 0
		.amdhsa_uses_dynamic_stack 0
		.amdhsa_system_sgpr_private_segment_wavefront_offset 0
		.amdhsa_system_sgpr_workgroup_id_x 1
		.amdhsa_system_sgpr_workgroup_id_y 0
		.amdhsa_system_sgpr_workgroup_id_z 0
		.amdhsa_system_sgpr_workgroup_info 0
		.amdhsa_system_vgpr_workitem_id 0
		.amdhsa_next_free_vgpr 1
		.amdhsa_next_free_sgpr 0
		.amdhsa_accum_offset 4
		.amdhsa_reserve_vcc 0
		.amdhsa_reserve_flat_scratch 0
		.amdhsa_float_round_mode_32 0
		.amdhsa_float_round_mode_16_64 0
		.amdhsa_float_denorm_mode_32 3
		.amdhsa_float_denorm_mode_16_64 3
		.amdhsa_dx10_clamp 1
		.amdhsa_ieee_mode 1
		.amdhsa_fp16_overflow 0
		.amdhsa_tg_split 0
		.amdhsa_exception_fp_ieee_invalid_op 0
		.amdhsa_exception_fp_denorm_src 0
		.amdhsa_exception_fp_ieee_div_zero 0
		.amdhsa_exception_fp_ieee_overflow 0
		.amdhsa_exception_fp_ieee_underflow 0
		.amdhsa_exception_fp_ieee_inexact 0
		.amdhsa_exception_int_div_zero 0
	.end_amdhsa_kernel
	.section	.text._ZN7rocprim17ROCPRIM_400000_NS6detail17trampoline_kernelINS0_14default_configENS1_35adjacent_difference_config_selectorILb0ElEEZNS1_24adjacent_difference_implIS3_Lb0ELb0EPlS7_ZN2at6native12_GLOBAL__N_124unique_dim_cuda_templateItEESt5tupleIJNS8_6TensorESD_SD_EERKSD_lbbbEUlllE1_EE10hipError_tPvRmT2_T3_mT4_P12ihipStream_tbEUlT_E_NS1_11comp_targetILNS1_3genE2ELNS1_11target_archE906ELNS1_3gpuE6ELNS1_3repE0EEENS1_30default_config_static_selectorELNS0_4arch9wavefront6targetE1EEEvT1_,"axG",@progbits,_ZN7rocprim17ROCPRIM_400000_NS6detail17trampoline_kernelINS0_14default_configENS1_35adjacent_difference_config_selectorILb0ElEEZNS1_24adjacent_difference_implIS3_Lb0ELb0EPlS7_ZN2at6native12_GLOBAL__N_124unique_dim_cuda_templateItEESt5tupleIJNS8_6TensorESD_SD_EERKSD_lbbbEUlllE1_EE10hipError_tPvRmT2_T3_mT4_P12ihipStream_tbEUlT_E_NS1_11comp_targetILNS1_3genE2ELNS1_11target_archE906ELNS1_3gpuE6ELNS1_3repE0EEENS1_30default_config_static_selectorELNS0_4arch9wavefront6targetE1EEEvT1_,comdat
.Lfunc_end1397:
	.size	_ZN7rocprim17ROCPRIM_400000_NS6detail17trampoline_kernelINS0_14default_configENS1_35adjacent_difference_config_selectorILb0ElEEZNS1_24adjacent_difference_implIS3_Lb0ELb0EPlS7_ZN2at6native12_GLOBAL__N_124unique_dim_cuda_templateItEESt5tupleIJNS8_6TensorESD_SD_EERKSD_lbbbEUlllE1_EE10hipError_tPvRmT2_T3_mT4_P12ihipStream_tbEUlT_E_NS1_11comp_targetILNS1_3genE2ELNS1_11target_archE906ELNS1_3gpuE6ELNS1_3repE0EEENS1_30default_config_static_selectorELNS0_4arch9wavefront6targetE1EEEvT1_, .Lfunc_end1397-_ZN7rocprim17ROCPRIM_400000_NS6detail17trampoline_kernelINS0_14default_configENS1_35adjacent_difference_config_selectorILb0ElEEZNS1_24adjacent_difference_implIS3_Lb0ELb0EPlS7_ZN2at6native12_GLOBAL__N_124unique_dim_cuda_templateItEESt5tupleIJNS8_6TensorESD_SD_EERKSD_lbbbEUlllE1_EE10hipError_tPvRmT2_T3_mT4_P12ihipStream_tbEUlT_E_NS1_11comp_targetILNS1_3genE2ELNS1_11target_archE906ELNS1_3gpuE6ELNS1_3repE0EEENS1_30default_config_static_selectorELNS0_4arch9wavefront6targetE1EEEvT1_
                                        ; -- End function
	.section	.AMDGPU.csdata,"",@progbits
; Kernel info:
; codeLenInByte = 0
; NumSgprs: 4
; NumVgprs: 0
; NumAgprs: 0
; TotalNumVgprs: 0
; ScratchSize: 0
; MemoryBound: 0
; FloatMode: 240
; IeeeMode: 1
; LDSByteSize: 0 bytes/workgroup (compile time only)
; SGPRBlocks: 0
; VGPRBlocks: 0
; NumSGPRsForWavesPerEU: 4
; NumVGPRsForWavesPerEU: 1
; AccumOffset: 4
; Occupancy: 8
; WaveLimiterHint : 0
; COMPUTE_PGM_RSRC2:SCRATCH_EN: 0
; COMPUTE_PGM_RSRC2:USER_SGPR: 6
; COMPUTE_PGM_RSRC2:TRAP_HANDLER: 0
; COMPUTE_PGM_RSRC2:TGID_X_EN: 1
; COMPUTE_PGM_RSRC2:TGID_Y_EN: 0
; COMPUTE_PGM_RSRC2:TGID_Z_EN: 0
; COMPUTE_PGM_RSRC2:TIDIG_COMP_CNT: 0
; COMPUTE_PGM_RSRC3_GFX90A:ACCUM_OFFSET: 0
; COMPUTE_PGM_RSRC3_GFX90A:TG_SPLIT: 0
	.section	.text._ZN7rocprim17ROCPRIM_400000_NS6detail17trampoline_kernelINS0_14default_configENS1_35adjacent_difference_config_selectorILb0ElEEZNS1_24adjacent_difference_implIS3_Lb0ELb0EPlS7_ZN2at6native12_GLOBAL__N_124unique_dim_cuda_templateItEESt5tupleIJNS8_6TensorESD_SD_EERKSD_lbbbEUlllE1_EE10hipError_tPvRmT2_T3_mT4_P12ihipStream_tbEUlT_E_NS1_11comp_targetILNS1_3genE9ELNS1_11target_archE1100ELNS1_3gpuE3ELNS1_3repE0EEENS1_30default_config_static_selectorELNS0_4arch9wavefront6targetE1EEEvT1_,"axG",@progbits,_ZN7rocprim17ROCPRIM_400000_NS6detail17trampoline_kernelINS0_14default_configENS1_35adjacent_difference_config_selectorILb0ElEEZNS1_24adjacent_difference_implIS3_Lb0ELb0EPlS7_ZN2at6native12_GLOBAL__N_124unique_dim_cuda_templateItEESt5tupleIJNS8_6TensorESD_SD_EERKSD_lbbbEUlllE1_EE10hipError_tPvRmT2_T3_mT4_P12ihipStream_tbEUlT_E_NS1_11comp_targetILNS1_3genE9ELNS1_11target_archE1100ELNS1_3gpuE3ELNS1_3repE0EEENS1_30default_config_static_selectorELNS0_4arch9wavefront6targetE1EEEvT1_,comdat
	.globl	_ZN7rocprim17ROCPRIM_400000_NS6detail17trampoline_kernelINS0_14default_configENS1_35adjacent_difference_config_selectorILb0ElEEZNS1_24adjacent_difference_implIS3_Lb0ELb0EPlS7_ZN2at6native12_GLOBAL__N_124unique_dim_cuda_templateItEESt5tupleIJNS8_6TensorESD_SD_EERKSD_lbbbEUlllE1_EE10hipError_tPvRmT2_T3_mT4_P12ihipStream_tbEUlT_E_NS1_11comp_targetILNS1_3genE9ELNS1_11target_archE1100ELNS1_3gpuE3ELNS1_3repE0EEENS1_30default_config_static_selectorELNS0_4arch9wavefront6targetE1EEEvT1_ ; -- Begin function _ZN7rocprim17ROCPRIM_400000_NS6detail17trampoline_kernelINS0_14default_configENS1_35adjacent_difference_config_selectorILb0ElEEZNS1_24adjacent_difference_implIS3_Lb0ELb0EPlS7_ZN2at6native12_GLOBAL__N_124unique_dim_cuda_templateItEESt5tupleIJNS8_6TensorESD_SD_EERKSD_lbbbEUlllE1_EE10hipError_tPvRmT2_T3_mT4_P12ihipStream_tbEUlT_E_NS1_11comp_targetILNS1_3genE9ELNS1_11target_archE1100ELNS1_3gpuE3ELNS1_3repE0EEENS1_30default_config_static_selectorELNS0_4arch9wavefront6targetE1EEEvT1_
	.p2align	8
	.type	_ZN7rocprim17ROCPRIM_400000_NS6detail17trampoline_kernelINS0_14default_configENS1_35adjacent_difference_config_selectorILb0ElEEZNS1_24adjacent_difference_implIS3_Lb0ELb0EPlS7_ZN2at6native12_GLOBAL__N_124unique_dim_cuda_templateItEESt5tupleIJNS8_6TensorESD_SD_EERKSD_lbbbEUlllE1_EE10hipError_tPvRmT2_T3_mT4_P12ihipStream_tbEUlT_E_NS1_11comp_targetILNS1_3genE9ELNS1_11target_archE1100ELNS1_3gpuE3ELNS1_3repE0EEENS1_30default_config_static_selectorELNS0_4arch9wavefront6targetE1EEEvT1_,@function
_ZN7rocprim17ROCPRIM_400000_NS6detail17trampoline_kernelINS0_14default_configENS1_35adjacent_difference_config_selectorILb0ElEEZNS1_24adjacent_difference_implIS3_Lb0ELb0EPlS7_ZN2at6native12_GLOBAL__N_124unique_dim_cuda_templateItEESt5tupleIJNS8_6TensorESD_SD_EERKSD_lbbbEUlllE1_EE10hipError_tPvRmT2_T3_mT4_P12ihipStream_tbEUlT_E_NS1_11comp_targetILNS1_3genE9ELNS1_11target_archE1100ELNS1_3gpuE3ELNS1_3repE0EEENS1_30default_config_static_selectorELNS0_4arch9wavefront6targetE1EEEvT1_: ; @_ZN7rocprim17ROCPRIM_400000_NS6detail17trampoline_kernelINS0_14default_configENS1_35adjacent_difference_config_selectorILb0ElEEZNS1_24adjacent_difference_implIS3_Lb0ELb0EPlS7_ZN2at6native12_GLOBAL__N_124unique_dim_cuda_templateItEESt5tupleIJNS8_6TensorESD_SD_EERKSD_lbbbEUlllE1_EE10hipError_tPvRmT2_T3_mT4_P12ihipStream_tbEUlT_E_NS1_11comp_targetILNS1_3genE9ELNS1_11target_archE1100ELNS1_3gpuE3ELNS1_3repE0EEENS1_30default_config_static_selectorELNS0_4arch9wavefront6targetE1EEEvT1_
; %bb.0:
	.section	.rodata,"a",@progbits
	.p2align	6, 0x0
	.amdhsa_kernel _ZN7rocprim17ROCPRIM_400000_NS6detail17trampoline_kernelINS0_14default_configENS1_35adjacent_difference_config_selectorILb0ElEEZNS1_24adjacent_difference_implIS3_Lb0ELb0EPlS7_ZN2at6native12_GLOBAL__N_124unique_dim_cuda_templateItEESt5tupleIJNS8_6TensorESD_SD_EERKSD_lbbbEUlllE1_EE10hipError_tPvRmT2_T3_mT4_P12ihipStream_tbEUlT_E_NS1_11comp_targetILNS1_3genE9ELNS1_11target_archE1100ELNS1_3gpuE3ELNS1_3repE0EEENS1_30default_config_static_selectorELNS0_4arch9wavefront6targetE1EEEvT1_
		.amdhsa_group_segment_fixed_size 0
		.amdhsa_private_segment_fixed_size 0
		.amdhsa_kernarg_size 64
		.amdhsa_user_sgpr_count 6
		.amdhsa_user_sgpr_private_segment_buffer 1
		.amdhsa_user_sgpr_dispatch_ptr 0
		.amdhsa_user_sgpr_queue_ptr 0
		.amdhsa_user_sgpr_kernarg_segment_ptr 1
		.amdhsa_user_sgpr_dispatch_id 0
		.amdhsa_user_sgpr_flat_scratch_init 0
		.amdhsa_user_sgpr_kernarg_preload_length 0
		.amdhsa_user_sgpr_kernarg_preload_offset 0
		.amdhsa_user_sgpr_private_segment_size 0
		.amdhsa_uses_dynamic_stack 0
		.amdhsa_system_sgpr_private_segment_wavefront_offset 0
		.amdhsa_system_sgpr_workgroup_id_x 1
		.amdhsa_system_sgpr_workgroup_id_y 0
		.amdhsa_system_sgpr_workgroup_id_z 0
		.amdhsa_system_sgpr_workgroup_info 0
		.amdhsa_system_vgpr_workitem_id 0
		.amdhsa_next_free_vgpr 1
		.amdhsa_next_free_sgpr 0
		.amdhsa_accum_offset 4
		.amdhsa_reserve_vcc 0
		.amdhsa_reserve_flat_scratch 0
		.amdhsa_float_round_mode_32 0
		.amdhsa_float_round_mode_16_64 0
		.amdhsa_float_denorm_mode_32 3
		.amdhsa_float_denorm_mode_16_64 3
		.amdhsa_dx10_clamp 1
		.amdhsa_ieee_mode 1
		.amdhsa_fp16_overflow 0
		.amdhsa_tg_split 0
		.amdhsa_exception_fp_ieee_invalid_op 0
		.amdhsa_exception_fp_denorm_src 0
		.amdhsa_exception_fp_ieee_div_zero 0
		.amdhsa_exception_fp_ieee_overflow 0
		.amdhsa_exception_fp_ieee_underflow 0
		.amdhsa_exception_fp_ieee_inexact 0
		.amdhsa_exception_int_div_zero 0
	.end_amdhsa_kernel
	.section	.text._ZN7rocprim17ROCPRIM_400000_NS6detail17trampoline_kernelINS0_14default_configENS1_35adjacent_difference_config_selectorILb0ElEEZNS1_24adjacent_difference_implIS3_Lb0ELb0EPlS7_ZN2at6native12_GLOBAL__N_124unique_dim_cuda_templateItEESt5tupleIJNS8_6TensorESD_SD_EERKSD_lbbbEUlllE1_EE10hipError_tPvRmT2_T3_mT4_P12ihipStream_tbEUlT_E_NS1_11comp_targetILNS1_3genE9ELNS1_11target_archE1100ELNS1_3gpuE3ELNS1_3repE0EEENS1_30default_config_static_selectorELNS0_4arch9wavefront6targetE1EEEvT1_,"axG",@progbits,_ZN7rocprim17ROCPRIM_400000_NS6detail17trampoline_kernelINS0_14default_configENS1_35adjacent_difference_config_selectorILb0ElEEZNS1_24adjacent_difference_implIS3_Lb0ELb0EPlS7_ZN2at6native12_GLOBAL__N_124unique_dim_cuda_templateItEESt5tupleIJNS8_6TensorESD_SD_EERKSD_lbbbEUlllE1_EE10hipError_tPvRmT2_T3_mT4_P12ihipStream_tbEUlT_E_NS1_11comp_targetILNS1_3genE9ELNS1_11target_archE1100ELNS1_3gpuE3ELNS1_3repE0EEENS1_30default_config_static_selectorELNS0_4arch9wavefront6targetE1EEEvT1_,comdat
.Lfunc_end1398:
	.size	_ZN7rocprim17ROCPRIM_400000_NS6detail17trampoline_kernelINS0_14default_configENS1_35adjacent_difference_config_selectorILb0ElEEZNS1_24adjacent_difference_implIS3_Lb0ELb0EPlS7_ZN2at6native12_GLOBAL__N_124unique_dim_cuda_templateItEESt5tupleIJNS8_6TensorESD_SD_EERKSD_lbbbEUlllE1_EE10hipError_tPvRmT2_T3_mT4_P12ihipStream_tbEUlT_E_NS1_11comp_targetILNS1_3genE9ELNS1_11target_archE1100ELNS1_3gpuE3ELNS1_3repE0EEENS1_30default_config_static_selectorELNS0_4arch9wavefront6targetE1EEEvT1_, .Lfunc_end1398-_ZN7rocprim17ROCPRIM_400000_NS6detail17trampoline_kernelINS0_14default_configENS1_35adjacent_difference_config_selectorILb0ElEEZNS1_24adjacent_difference_implIS3_Lb0ELb0EPlS7_ZN2at6native12_GLOBAL__N_124unique_dim_cuda_templateItEESt5tupleIJNS8_6TensorESD_SD_EERKSD_lbbbEUlllE1_EE10hipError_tPvRmT2_T3_mT4_P12ihipStream_tbEUlT_E_NS1_11comp_targetILNS1_3genE9ELNS1_11target_archE1100ELNS1_3gpuE3ELNS1_3repE0EEENS1_30default_config_static_selectorELNS0_4arch9wavefront6targetE1EEEvT1_
                                        ; -- End function
	.section	.AMDGPU.csdata,"",@progbits
; Kernel info:
; codeLenInByte = 0
; NumSgprs: 4
; NumVgprs: 0
; NumAgprs: 0
; TotalNumVgprs: 0
; ScratchSize: 0
; MemoryBound: 0
; FloatMode: 240
; IeeeMode: 1
; LDSByteSize: 0 bytes/workgroup (compile time only)
; SGPRBlocks: 0
; VGPRBlocks: 0
; NumSGPRsForWavesPerEU: 4
; NumVGPRsForWavesPerEU: 1
; AccumOffset: 4
; Occupancy: 8
; WaveLimiterHint : 0
; COMPUTE_PGM_RSRC2:SCRATCH_EN: 0
; COMPUTE_PGM_RSRC2:USER_SGPR: 6
; COMPUTE_PGM_RSRC2:TRAP_HANDLER: 0
; COMPUTE_PGM_RSRC2:TGID_X_EN: 1
; COMPUTE_PGM_RSRC2:TGID_Y_EN: 0
; COMPUTE_PGM_RSRC2:TGID_Z_EN: 0
; COMPUTE_PGM_RSRC2:TIDIG_COMP_CNT: 0
; COMPUTE_PGM_RSRC3_GFX90A:ACCUM_OFFSET: 0
; COMPUTE_PGM_RSRC3_GFX90A:TG_SPLIT: 0
	.section	.text._ZN7rocprim17ROCPRIM_400000_NS6detail17trampoline_kernelINS0_14default_configENS1_35adjacent_difference_config_selectorILb0ElEEZNS1_24adjacent_difference_implIS3_Lb0ELb0EPlS7_ZN2at6native12_GLOBAL__N_124unique_dim_cuda_templateItEESt5tupleIJNS8_6TensorESD_SD_EERKSD_lbbbEUlllE1_EE10hipError_tPvRmT2_T3_mT4_P12ihipStream_tbEUlT_E_NS1_11comp_targetILNS1_3genE8ELNS1_11target_archE1030ELNS1_3gpuE2ELNS1_3repE0EEENS1_30default_config_static_selectorELNS0_4arch9wavefront6targetE1EEEvT1_,"axG",@progbits,_ZN7rocprim17ROCPRIM_400000_NS6detail17trampoline_kernelINS0_14default_configENS1_35adjacent_difference_config_selectorILb0ElEEZNS1_24adjacent_difference_implIS3_Lb0ELb0EPlS7_ZN2at6native12_GLOBAL__N_124unique_dim_cuda_templateItEESt5tupleIJNS8_6TensorESD_SD_EERKSD_lbbbEUlllE1_EE10hipError_tPvRmT2_T3_mT4_P12ihipStream_tbEUlT_E_NS1_11comp_targetILNS1_3genE8ELNS1_11target_archE1030ELNS1_3gpuE2ELNS1_3repE0EEENS1_30default_config_static_selectorELNS0_4arch9wavefront6targetE1EEEvT1_,comdat
	.globl	_ZN7rocprim17ROCPRIM_400000_NS6detail17trampoline_kernelINS0_14default_configENS1_35adjacent_difference_config_selectorILb0ElEEZNS1_24adjacent_difference_implIS3_Lb0ELb0EPlS7_ZN2at6native12_GLOBAL__N_124unique_dim_cuda_templateItEESt5tupleIJNS8_6TensorESD_SD_EERKSD_lbbbEUlllE1_EE10hipError_tPvRmT2_T3_mT4_P12ihipStream_tbEUlT_E_NS1_11comp_targetILNS1_3genE8ELNS1_11target_archE1030ELNS1_3gpuE2ELNS1_3repE0EEENS1_30default_config_static_selectorELNS0_4arch9wavefront6targetE1EEEvT1_ ; -- Begin function _ZN7rocprim17ROCPRIM_400000_NS6detail17trampoline_kernelINS0_14default_configENS1_35adjacent_difference_config_selectorILb0ElEEZNS1_24adjacent_difference_implIS3_Lb0ELb0EPlS7_ZN2at6native12_GLOBAL__N_124unique_dim_cuda_templateItEESt5tupleIJNS8_6TensorESD_SD_EERKSD_lbbbEUlllE1_EE10hipError_tPvRmT2_T3_mT4_P12ihipStream_tbEUlT_E_NS1_11comp_targetILNS1_3genE8ELNS1_11target_archE1030ELNS1_3gpuE2ELNS1_3repE0EEENS1_30default_config_static_selectorELNS0_4arch9wavefront6targetE1EEEvT1_
	.p2align	8
	.type	_ZN7rocprim17ROCPRIM_400000_NS6detail17trampoline_kernelINS0_14default_configENS1_35adjacent_difference_config_selectorILb0ElEEZNS1_24adjacent_difference_implIS3_Lb0ELb0EPlS7_ZN2at6native12_GLOBAL__N_124unique_dim_cuda_templateItEESt5tupleIJNS8_6TensorESD_SD_EERKSD_lbbbEUlllE1_EE10hipError_tPvRmT2_T3_mT4_P12ihipStream_tbEUlT_E_NS1_11comp_targetILNS1_3genE8ELNS1_11target_archE1030ELNS1_3gpuE2ELNS1_3repE0EEENS1_30default_config_static_selectorELNS0_4arch9wavefront6targetE1EEEvT1_,@function
_ZN7rocprim17ROCPRIM_400000_NS6detail17trampoline_kernelINS0_14default_configENS1_35adjacent_difference_config_selectorILb0ElEEZNS1_24adjacent_difference_implIS3_Lb0ELb0EPlS7_ZN2at6native12_GLOBAL__N_124unique_dim_cuda_templateItEESt5tupleIJNS8_6TensorESD_SD_EERKSD_lbbbEUlllE1_EE10hipError_tPvRmT2_T3_mT4_P12ihipStream_tbEUlT_E_NS1_11comp_targetILNS1_3genE8ELNS1_11target_archE1030ELNS1_3gpuE2ELNS1_3repE0EEENS1_30default_config_static_selectorELNS0_4arch9wavefront6targetE1EEEvT1_: ; @_ZN7rocprim17ROCPRIM_400000_NS6detail17trampoline_kernelINS0_14default_configENS1_35adjacent_difference_config_selectorILb0ElEEZNS1_24adjacent_difference_implIS3_Lb0ELb0EPlS7_ZN2at6native12_GLOBAL__N_124unique_dim_cuda_templateItEESt5tupleIJNS8_6TensorESD_SD_EERKSD_lbbbEUlllE1_EE10hipError_tPvRmT2_T3_mT4_P12ihipStream_tbEUlT_E_NS1_11comp_targetILNS1_3genE8ELNS1_11target_archE1030ELNS1_3gpuE2ELNS1_3repE0EEENS1_30default_config_static_selectorELNS0_4arch9wavefront6targetE1EEEvT1_
; %bb.0:
	.section	.rodata,"a",@progbits
	.p2align	6, 0x0
	.amdhsa_kernel _ZN7rocprim17ROCPRIM_400000_NS6detail17trampoline_kernelINS0_14default_configENS1_35adjacent_difference_config_selectorILb0ElEEZNS1_24adjacent_difference_implIS3_Lb0ELb0EPlS7_ZN2at6native12_GLOBAL__N_124unique_dim_cuda_templateItEESt5tupleIJNS8_6TensorESD_SD_EERKSD_lbbbEUlllE1_EE10hipError_tPvRmT2_T3_mT4_P12ihipStream_tbEUlT_E_NS1_11comp_targetILNS1_3genE8ELNS1_11target_archE1030ELNS1_3gpuE2ELNS1_3repE0EEENS1_30default_config_static_selectorELNS0_4arch9wavefront6targetE1EEEvT1_
		.amdhsa_group_segment_fixed_size 0
		.amdhsa_private_segment_fixed_size 0
		.amdhsa_kernarg_size 64
		.amdhsa_user_sgpr_count 6
		.amdhsa_user_sgpr_private_segment_buffer 1
		.amdhsa_user_sgpr_dispatch_ptr 0
		.amdhsa_user_sgpr_queue_ptr 0
		.amdhsa_user_sgpr_kernarg_segment_ptr 1
		.amdhsa_user_sgpr_dispatch_id 0
		.amdhsa_user_sgpr_flat_scratch_init 0
		.amdhsa_user_sgpr_kernarg_preload_length 0
		.amdhsa_user_sgpr_kernarg_preload_offset 0
		.amdhsa_user_sgpr_private_segment_size 0
		.amdhsa_uses_dynamic_stack 0
		.amdhsa_system_sgpr_private_segment_wavefront_offset 0
		.amdhsa_system_sgpr_workgroup_id_x 1
		.amdhsa_system_sgpr_workgroup_id_y 0
		.amdhsa_system_sgpr_workgroup_id_z 0
		.amdhsa_system_sgpr_workgroup_info 0
		.amdhsa_system_vgpr_workitem_id 0
		.amdhsa_next_free_vgpr 1
		.amdhsa_next_free_sgpr 0
		.amdhsa_accum_offset 4
		.amdhsa_reserve_vcc 0
		.amdhsa_reserve_flat_scratch 0
		.amdhsa_float_round_mode_32 0
		.amdhsa_float_round_mode_16_64 0
		.amdhsa_float_denorm_mode_32 3
		.amdhsa_float_denorm_mode_16_64 3
		.amdhsa_dx10_clamp 1
		.amdhsa_ieee_mode 1
		.amdhsa_fp16_overflow 0
		.amdhsa_tg_split 0
		.amdhsa_exception_fp_ieee_invalid_op 0
		.amdhsa_exception_fp_denorm_src 0
		.amdhsa_exception_fp_ieee_div_zero 0
		.amdhsa_exception_fp_ieee_overflow 0
		.amdhsa_exception_fp_ieee_underflow 0
		.amdhsa_exception_fp_ieee_inexact 0
		.amdhsa_exception_int_div_zero 0
	.end_amdhsa_kernel
	.section	.text._ZN7rocprim17ROCPRIM_400000_NS6detail17trampoline_kernelINS0_14default_configENS1_35adjacent_difference_config_selectorILb0ElEEZNS1_24adjacent_difference_implIS3_Lb0ELb0EPlS7_ZN2at6native12_GLOBAL__N_124unique_dim_cuda_templateItEESt5tupleIJNS8_6TensorESD_SD_EERKSD_lbbbEUlllE1_EE10hipError_tPvRmT2_T3_mT4_P12ihipStream_tbEUlT_E_NS1_11comp_targetILNS1_3genE8ELNS1_11target_archE1030ELNS1_3gpuE2ELNS1_3repE0EEENS1_30default_config_static_selectorELNS0_4arch9wavefront6targetE1EEEvT1_,"axG",@progbits,_ZN7rocprim17ROCPRIM_400000_NS6detail17trampoline_kernelINS0_14default_configENS1_35adjacent_difference_config_selectorILb0ElEEZNS1_24adjacent_difference_implIS3_Lb0ELb0EPlS7_ZN2at6native12_GLOBAL__N_124unique_dim_cuda_templateItEESt5tupleIJNS8_6TensorESD_SD_EERKSD_lbbbEUlllE1_EE10hipError_tPvRmT2_T3_mT4_P12ihipStream_tbEUlT_E_NS1_11comp_targetILNS1_3genE8ELNS1_11target_archE1030ELNS1_3gpuE2ELNS1_3repE0EEENS1_30default_config_static_selectorELNS0_4arch9wavefront6targetE1EEEvT1_,comdat
.Lfunc_end1399:
	.size	_ZN7rocprim17ROCPRIM_400000_NS6detail17trampoline_kernelINS0_14default_configENS1_35adjacent_difference_config_selectorILb0ElEEZNS1_24adjacent_difference_implIS3_Lb0ELb0EPlS7_ZN2at6native12_GLOBAL__N_124unique_dim_cuda_templateItEESt5tupleIJNS8_6TensorESD_SD_EERKSD_lbbbEUlllE1_EE10hipError_tPvRmT2_T3_mT4_P12ihipStream_tbEUlT_E_NS1_11comp_targetILNS1_3genE8ELNS1_11target_archE1030ELNS1_3gpuE2ELNS1_3repE0EEENS1_30default_config_static_selectorELNS0_4arch9wavefront6targetE1EEEvT1_, .Lfunc_end1399-_ZN7rocprim17ROCPRIM_400000_NS6detail17trampoline_kernelINS0_14default_configENS1_35adjacent_difference_config_selectorILb0ElEEZNS1_24adjacent_difference_implIS3_Lb0ELb0EPlS7_ZN2at6native12_GLOBAL__N_124unique_dim_cuda_templateItEESt5tupleIJNS8_6TensorESD_SD_EERKSD_lbbbEUlllE1_EE10hipError_tPvRmT2_T3_mT4_P12ihipStream_tbEUlT_E_NS1_11comp_targetILNS1_3genE8ELNS1_11target_archE1030ELNS1_3gpuE2ELNS1_3repE0EEENS1_30default_config_static_selectorELNS0_4arch9wavefront6targetE1EEEvT1_
                                        ; -- End function
	.section	.AMDGPU.csdata,"",@progbits
; Kernel info:
; codeLenInByte = 0
; NumSgprs: 4
; NumVgprs: 0
; NumAgprs: 0
; TotalNumVgprs: 0
; ScratchSize: 0
; MemoryBound: 0
; FloatMode: 240
; IeeeMode: 1
; LDSByteSize: 0 bytes/workgroup (compile time only)
; SGPRBlocks: 0
; VGPRBlocks: 0
; NumSGPRsForWavesPerEU: 4
; NumVGPRsForWavesPerEU: 1
; AccumOffset: 4
; Occupancy: 8
; WaveLimiterHint : 0
; COMPUTE_PGM_RSRC2:SCRATCH_EN: 0
; COMPUTE_PGM_RSRC2:USER_SGPR: 6
; COMPUTE_PGM_RSRC2:TRAP_HANDLER: 0
; COMPUTE_PGM_RSRC2:TGID_X_EN: 1
; COMPUTE_PGM_RSRC2:TGID_Y_EN: 0
; COMPUTE_PGM_RSRC2:TGID_Z_EN: 0
; COMPUTE_PGM_RSRC2:TIDIG_COMP_CNT: 0
; COMPUTE_PGM_RSRC3_GFX90A:ACCUM_OFFSET: 0
; COMPUTE_PGM_RSRC3_GFX90A:TG_SPLIT: 0
	.section	.text._ZN7rocprim17ROCPRIM_400000_NS6detail17trampoline_kernelINS0_14default_configENS1_25transform_config_selectorIlLb0EEEZNS1_14transform_implILb0ES3_S5_NS0_18transform_iteratorINS0_17counting_iteratorImlEEZNS1_24adjacent_difference_implIS3_Lb1ELb0EPlSB_ZN2at6native12_GLOBAL__N_124unique_dim_cuda_templateItEESt5tupleIJNSC_6TensorESH_SH_EERKSH_lbbbEUlllE1_EE10hipError_tPvRmT2_T3_mT4_P12ihipStream_tbEUlmE_lEESB_NS0_8identityIvEEEESM_SP_SQ_mSR_ST_bEUlT_E_NS1_11comp_targetILNS1_3genE0ELNS1_11target_archE4294967295ELNS1_3gpuE0ELNS1_3repE0EEENS1_30default_config_static_selectorELNS0_4arch9wavefront6targetE1EEEvT1_,"axG",@progbits,_ZN7rocprim17ROCPRIM_400000_NS6detail17trampoline_kernelINS0_14default_configENS1_25transform_config_selectorIlLb0EEEZNS1_14transform_implILb0ES3_S5_NS0_18transform_iteratorINS0_17counting_iteratorImlEEZNS1_24adjacent_difference_implIS3_Lb1ELb0EPlSB_ZN2at6native12_GLOBAL__N_124unique_dim_cuda_templateItEESt5tupleIJNSC_6TensorESH_SH_EERKSH_lbbbEUlllE1_EE10hipError_tPvRmT2_T3_mT4_P12ihipStream_tbEUlmE_lEESB_NS0_8identityIvEEEESM_SP_SQ_mSR_ST_bEUlT_E_NS1_11comp_targetILNS1_3genE0ELNS1_11target_archE4294967295ELNS1_3gpuE0ELNS1_3repE0EEENS1_30default_config_static_selectorELNS0_4arch9wavefront6targetE1EEEvT1_,comdat
	.globl	_ZN7rocprim17ROCPRIM_400000_NS6detail17trampoline_kernelINS0_14default_configENS1_25transform_config_selectorIlLb0EEEZNS1_14transform_implILb0ES3_S5_NS0_18transform_iteratorINS0_17counting_iteratorImlEEZNS1_24adjacent_difference_implIS3_Lb1ELb0EPlSB_ZN2at6native12_GLOBAL__N_124unique_dim_cuda_templateItEESt5tupleIJNSC_6TensorESH_SH_EERKSH_lbbbEUlllE1_EE10hipError_tPvRmT2_T3_mT4_P12ihipStream_tbEUlmE_lEESB_NS0_8identityIvEEEESM_SP_SQ_mSR_ST_bEUlT_E_NS1_11comp_targetILNS1_3genE0ELNS1_11target_archE4294967295ELNS1_3gpuE0ELNS1_3repE0EEENS1_30default_config_static_selectorELNS0_4arch9wavefront6targetE1EEEvT1_ ; -- Begin function _ZN7rocprim17ROCPRIM_400000_NS6detail17trampoline_kernelINS0_14default_configENS1_25transform_config_selectorIlLb0EEEZNS1_14transform_implILb0ES3_S5_NS0_18transform_iteratorINS0_17counting_iteratorImlEEZNS1_24adjacent_difference_implIS3_Lb1ELb0EPlSB_ZN2at6native12_GLOBAL__N_124unique_dim_cuda_templateItEESt5tupleIJNSC_6TensorESH_SH_EERKSH_lbbbEUlllE1_EE10hipError_tPvRmT2_T3_mT4_P12ihipStream_tbEUlmE_lEESB_NS0_8identityIvEEEESM_SP_SQ_mSR_ST_bEUlT_E_NS1_11comp_targetILNS1_3genE0ELNS1_11target_archE4294967295ELNS1_3gpuE0ELNS1_3repE0EEENS1_30default_config_static_selectorELNS0_4arch9wavefront6targetE1EEEvT1_
	.p2align	8
	.type	_ZN7rocprim17ROCPRIM_400000_NS6detail17trampoline_kernelINS0_14default_configENS1_25transform_config_selectorIlLb0EEEZNS1_14transform_implILb0ES3_S5_NS0_18transform_iteratorINS0_17counting_iteratorImlEEZNS1_24adjacent_difference_implIS3_Lb1ELb0EPlSB_ZN2at6native12_GLOBAL__N_124unique_dim_cuda_templateItEESt5tupleIJNSC_6TensorESH_SH_EERKSH_lbbbEUlllE1_EE10hipError_tPvRmT2_T3_mT4_P12ihipStream_tbEUlmE_lEESB_NS0_8identityIvEEEESM_SP_SQ_mSR_ST_bEUlT_E_NS1_11comp_targetILNS1_3genE0ELNS1_11target_archE4294967295ELNS1_3gpuE0ELNS1_3repE0EEENS1_30default_config_static_selectorELNS0_4arch9wavefront6targetE1EEEvT1_,@function
_ZN7rocprim17ROCPRIM_400000_NS6detail17trampoline_kernelINS0_14default_configENS1_25transform_config_selectorIlLb0EEEZNS1_14transform_implILb0ES3_S5_NS0_18transform_iteratorINS0_17counting_iteratorImlEEZNS1_24adjacent_difference_implIS3_Lb1ELb0EPlSB_ZN2at6native12_GLOBAL__N_124unique_dim_cuda_templateItEESt5tupleIJNSC_6TensorESH_SH_EERKSH_lbbbEUlllE1_EE10hipError_tPvRmT2_T3_mT4_P12ihipStream_tbEUlmE_lEESB_NS0_8identityIvEEEESM_SP_SQ_mSR_ST_bEUlT_E_NS1_11comp_targetILNS1_3genE0ELNS1_11target_archE4294967295ELNS1_3gpuE0ELNS1_3repE0EEENS1_30default_config_static_selectorELNS0_4arch9wavefront6targetE1EEEvT1_: ; @_ZN7rocprim17ROCPRIM_400000_NS6detail17trampoline_kernelINS0_14default_configENS1_25transform_config_selectorIlLb0EEEZNS1_14transform_implILb0ES3_S5_NS0_18transform_iteratorINS0_17counting_iteratorImlEEZNS1_24adjacent_difference_implIS3_Lb1ELb0EPlSB_ZN2at6native12_GLOBAL__N_124unique_dim_cuda_templateItEESt5tupleIJNSC_6TensorESH_SH_EERKSH_lbbbEUlllE1_EE10hipError_tPvRmT2_T3_mT4_P12ihipStream_tbEUlmE_lEESB_NS0_8identityIvEEEESM_SP_SQ_mSR_ST_bEUlT_E_NS1_11comp_targetILNS1_3genE0ELNS1_11target_archE4294967295ELNS1_3gpuE0ELNS1_3repE0EEENS1_30default_config_static_selectorELNS0_4arch9wavefront6targetE1EEEvT1_
; %bb.0:
	.section	.rodata,"a",@progbits
	.p2align	6, 0x0
	.amdhsa_kernel _ZN7rocprim17ROCPRIM_400000_NS6detail17trampoline_kernelINS0_14default_configENS1_25transform_config_selectorIlLb0EEEZNS1_14transform_implILb0ES3_S5_NS0_18transform_iteratorINS0_17counting_iteratorImlEEZNS1_24adjacent_difference_implIS3_Lb1ELb0EPlSB_ZN2at6native12_GLOBAL__N_124unique_dim_cuda_templateItEESt5tupleIJNSC_6TensorESH_SH_EERKSH_lbbbEUlllE1_EE10hipError_tPvRmT2_T3_mT4_P12ihipStream_tbEUlmE_lEESB_NS0_8identityIvEEEESM_SP_SQ_mSR_ST_bEUlT_E_NS1_11comp_targetILNS1_3genE0ELNS1_11target_archE4294967295ELNS1_3gpuE0ELNS1_3repE0EEENS1_30default_config_static_selectorELNS0_4arch9wavefront6targetE1EEEvT1_
		.amdhsa_group_segment_fixed_size 0
		.amdhsa_private_segment_fixed_size 0
		.amdhsa_kernarg_size 56
		.amdhsa_user_sgpr_count 6
		.amdhsa_user_sgpr_private_segment_buffer 1
		.amdhsa_user_sgpr_dispatch_ptr 0
		.amdhsa_user_sgpr_queue_ptr 0
		.amdhsa_user_sgpr_kernarg_segment_ptr 1
		.amdhsa_user_sgpr_dispatch_id 0
		.amdhsa_user_sgpr_flat_scratch_init 0
		.amdhsa_user_sgpr_kernarg_preload_length 0
		.amdhsa_user_sgpr_kernarg_preload_offset 0
		.amdhsa_user_sgpr_private_segment_size 0
		.amdhsa_uses_dynamic_stack 0
		.amdhsa_system_sgpr_private_segment_wavefront_offset 0
		.amdhsa_system_sgpr_workgroup_id_x 1
		.amdhsa_system_sgpr_workgroup_id_y 0
		.amdhsa_system_sgpr_workgroup_id_z 0
		.amdhsa_system_sgpr_workgroup_info 0
		.amdhsa_system_vgpr_workitem_id 0
		.amdhsa_next_free_vgpr 1
		.amdhsa_next_free_sgpr 0
		.amdhsa_accum_offset 4
		.amdhsa_reserve_vcc 0
		.amdhsa_reserve_flat_scratch 0
		.amdhsa_float_round_mode_32 0
		.amdhsa_float_round_mode_16_64 0
		.amdhsa_float_denorm_mode_32 3
		.amdhsa_float_denorm_mode_16_64 3
		.amdhsa_dx10_clamp 1
		.amdhsa_ieee_mode 1
		.amdhsa_fp16_overflow 0
		.amdhsa_tg_split 0
		.amdhsa_exception_fp_ieee_invalid_op 0
		.amdhsa_exception_fp_denorm_src 0
		.amdhsa_exception_fp_ieee_div_zero 0
		.amdhsa_exception_fp_ieee_overflow 0
		.amdhsa_exception_fp_ieee_underflow 0
		.amdhsa_exception_fp_ieee_inexact 0
		.amdhsa_exception_int_div_zero 0
	.end_amdhsa_kernel
	.section	.text._ZN7rocprim17ROCPRIM_400000_NS6detail17trampoline_kernelINS0_14default_configENS1_25transform_config_selectorIlLb0EEEZNS1_14transform_implILb0ES3_S5_NS0_18transform_iteratorINS0_17counting_iteratorImlEEZNS1_24adjacent_difference_implIS3_Lb1ELb0EPlSB_ZN2at6native12_GLOBAL__N_124unique_dim_cuda_templateItEESt5tupleIJNSC_6TensorESH_SH_EERKSH_lbbbEUlllE1_EE10hipError_tPvRmT2_T3_mT4_P12ihipStream_tbEUlmE_lEESB_NS0_8identityIvEEEESM_SP_SQ_mSR_ST_bEUlT_E_NS1_11comp_targetILNS1_3genE0ELNS1_11target_archE4294967295ELNS1_3gpuE0ELNS1_3repE0EEENS1_30default_config_static_selectorELNS0_4arch9wavefront6targetE1EEEvT1_,"axG",@progbits,_ZN7rocprim17ROCPRIM_400000_NS6detail17trampoline_kernelINS0_14default_configENS1_25transform_config_selectorIlLb0EEEZNS1_14transform_implILb0ES3_S5_NS0_18transform_iteratorINS0_17counting_iteratorImlEEZNS1_24adjacent_difference_implIS3_Lb1ELb0EPlSB_ZN2at6native12_GLOBAL__N_124unique_dim_cuda_templateItEESt5tupleIJNSC_6TensorESH_SH_EERKSH_lbbbEUlllE1_EE10hipError_tPvRmT2_T3_mT4_P12ihipStream_tbEUlmE_lEESB_NS0_8identityIvEEEESM_SP_SQ_mSR_ST_bEUlT_E_NS1_11comp_targetILNS1_3genE0ELNS1_11target_archE4294967295ELNS1_3gpuE0ELNS1_3repE0EEENS1_30default_config_static_selectorELNS0_4arch9wavefront6targetE1EEEvT1_,comdat
.Lfunc_end1400:
	.size	_ZN7rocprim17ROCPRIM_400000_NS6detail17trampoline_kernelINS0_14default_configENS1_25transform_config_selectorIlLb0EEEZNS1_14transform_implILb0ES3_S5_NS0_18transform_iteratorINS0_17counting_iteratorImlEEZNS1_24adjacent_difference_implIS3_Lb1ELb0EPlSB_ZN2at6native12_GLOBAL__N_124unique_dim_cuda_templateItEESt5tupleIJNSC_6TensorESH_SH_EERKSH_lbbbEUlllE1_EE10hipError_tPvRmT2_T3_mT4_P12ihipStream_tbEUlmE_lEESB_NS0_8identityIvEEEESM_SP_SQ_mSR_ST_bEUlT_E_NS1_11comp_targetILNS1_3genE0ELNS1_11target_archE4294967295ELNS1_3gpuE0ELNS1_3repE0EEENS1_30default_config_static_selectorELNS0_4arch9wavefront6targetE1EEEvT1_, .Lfunc_end1400-_ZN7rocprim17ROCPRIM_400000_NS6detail17trampoline_kernelINS0_14default_configENS1_25transform_config_selectorIlLb0EEEZNS1_14transform_implILb0ES3_S5_NS0_18transform_iteratorINS0_17counting_iteratorImlEEZNS1_24adjacent_difference_implIS3_Lb1ELb0EPlSB_ZN2at6native12_GLOBAL__N_124unique_dim_cuda_templateItEESt5tupleIJNSC_6TensorESH_SH_EERKSH_lbbbEUlllE1_EE10hipError_tPvRmT2_T3_mT4_P12ihipStream_tbEUlmE_lEESB_NS0_8identityIvEEEESM_SP_SQ_mSR_ST_bEUlT_E_NS1_11comp_targetILNS1_3genE0ELNS1_11target_archE4294967295ELNS1_3gpuE0ELNS1_3repE0EEENS1_30default_config_static_selectorELNS0_4arch9wavefront6targetE1EEEvT1_
                                        ; -- End function
	.section	.AMDGPU.csdata,"",@progbits
; Kernel info:
; codeLenInByte = 0
; NumSgprs: 4
; NumVgprs: 0
; NumAgprs: 0
; TotalNumVgprs: 0
; ScratchSize: 0
; MemoryBound: 0
; FloatMode: 240
; IeeeMode: 1
; LDSByteSize: 0 bytes/workgroup (compile time only)
; SGPRBlocks: 0
; VGPRBlocks: 0
; NumSGPRsForWavesPerEU: 4
; NumVGPRsForWavesPerEU: 1
; AccumOffset: 4
; Occupancy: 8
; WaveLimiterHint : 0
; COMPUTE_PGM_RSRC2:SCRATCH_EN: 0
; COMPUTE_PGM_RSRC2:USER_SGPR: 6
; COMPUTE_PGM_RSRC2:TRAP_HANDLER: 0
; COMPUTE_PGM_RSRC2:TGID_X_EN: 1
; COMPUTE_PGM_RSRC2:TGID_Y_EN: 0
; COMPUTE_PGM_RSRC2:TGID_Z_EN: 0
; COMPUTE_PGM_RSRC2:TIDIG_COMP_CNT: 0
; COMPUTE_PGM_RSRC3_GFX90A:ACCUM_OFFSET: 0
; COMPUTE_PGM_RSRC3_GFX90A:TG_SPLIT: 0
	.section	.text._ZN7rocprim17ROCPRIM_400000_NS6detail17trampoline_kernelINS0_14default_configENS1_25transform_config_selectorIlLb0EEEZNS1_14transform_implILb0ES3_S5_NS0_18transform_iteratorINS0_17counting_iteratorImlEEZNS1_24adjacent_difference_implIS3_Lb1ELb0EPlSB_ZN2at6native12_GLOBAL__N_124unique_dim_cuda_templateItEESt5tupleIJNSC_6TensorESH_SH_EERKSH_lbbbEUlllE1_EE10hipError_tPvRmT2_T3_mT4_P12ihipStream_tbEUlmE_lEESB_NS0_8identityIvEEEESM_SP_SQ_mSR_ST_bEUlT_E_NS1_11comp_targetILNS1_3genE5ELNS1_11target_archE942ELNS1_3gpuE9ELNS1_3repE0EEENS1_30default_config_static_selectorELNS0_4arch9wavefront6targetE1EEEvT1_,"axG",@progbits,_ZN7rocprim17ROCPRIM_400000_NS6detail17trampoline_kernelINS0_14default_configENS1_25transform_config_selectorIlLb0EEEZNS1_14transform_implILb0ES3_S5_NS0_18transform_iteratorINS0_17counting_iteratorImlEEZNS1_24adjacent_difference_implIS3_Lb1ELb0EPlSB_ZN2at6native12_GLOBAL__N_124unique_dim_cuda_templateItEESt5tupleIJNSC_6TensorESH_SH_EERKSH_lbbbEUlllE1_EE10hipError_tPvRmT2_T3_mT4_P12ihipStream_tbEUlmE_lEESB_NS0_8identityIvEEEESM_SP_SQ_mSR_ST_bEUlT_E_NS1_11comp_targetILNS1_3genE5ELNS1_11target_archE942ELNS1_3gpuE9ELNS1_3repE0EEENS1_30default_config_static_selectorELNS0_4arch9wavefront6targetE1EEEvT1_,comdat
	.globl	_ZN7rocprim17ROCPRIM_400000_NS6detail17trampoline_kernelINS0_14default_configENS1_25transform_config_selectorIlLb0EEEZNS1_14transform_implILb0ES3_S5_NS0_18transform_iteratorINS0_17counting_iteratorImlEEZNS1_24adjacent_difference_implIS3_Lb1ELb0EPlSB_ZN2at6native12_GLOBAL__N_124unique_dim_cuda_templateItEESt5tupleIJNSC_6TensorESH_SH_EERKSH_lbbbEUlllE1_EE10hipError_tPvRmT2_T3_mT4_P12ihipStream_tbEUlmE_lEESB_NS0_8identityIvEEEESM_SP_SQ_mSR_ST_bEUlT_E_NS1_11comp_targetILNS1_3genE5ELNS1_11target_archE942ELNS1_3gpuE9ELNS1_3repE0EEENS1_30default_config_static_selectorELNS0_4arch9wavefront6targetE1EEEvT1_ ; -- Begin function _ZN7rocprim17ROCPRIM_400000_NS6detail17trampoline_kernelINS0_14default_configENS1_25transform_config_selectorIlLb0EEEZNS1_14transform_implILb0ES3_S5_NS0_18transform_iteratorINS0_17counting_iteratorImlEEZNS1_24adjacent_difference_implIS3_Lb1ELb0EPlSB_ZN2at6native12_GLOBAL__N_124unique_dim_cuda_templateItEESt5tupleIJNSC_6TensorESH_SH_EERKSH_lbbbEUlllE1_EE10hipError_tPvRmT2_T3_mT4_P12ihipStream_tbEUlmE_lEESB_NS0_8identityIvEEEESM_SP_SQ_mSR_ST_bEUlT_E_NS1_11comp_targetILNS1_3genE5ELNS1_11target_archE942ELNS1_3gpuE9ELNS1_3repE0EEENS1_30default_config_static_selectorELNS0_4arch9wavefront6targetE1EEEvT1_
	.p2align	8
	.type	_ZN7rocprim17ROCPRIM_400000_NS6detail17trampoline_kernelINS0_14default_configENS1_25transform_config_selectorIlLb0EEEZNS1_14transform_implILb0ES3_S5_NS0_18transform_iteratorINS0_17counting_iteratorImlEEZNS1_24adjacent_difference_implIS3_Lb1ELb0EPlSB_ZN2at6native12_GLOBAL__N_124unique_dim_cuda_templateItEESt5tupleIJNSC_6TensorESH_SH_EERKSH_lbbbEUlllE1_EE10hipError_tPvRmT2_T3_mT4_P12ihipStream_tbEUlmE_lEESB_NS0_8identityIvEEEESM_SP_SQ_mSR_ST_bEUlT_E_NS1_11comp_targetILNS1_3genE5ELNS1_11target_archE942ELNS1_3gpuE9ELNS1_3repE0EEENS1_30default_config_static_selectorELNS0_4arch9wavefront6targetE1EEEvT1_,@function
_ZN7rocprim17ROCPRIM_400000_NS6detail17trampoline_kernelINS0_14default_configENS1_25transform_config_selectorIlLb0EEEZNS1_14transform_implILb0ES3_S5_NS0_18transform_iteratorINS0_17counting_iteratorImlEEZNS1_24adjacent_difference_implIS3_Lb1ELb0EPlSB_ZN2at6native12_GLOBAL__N_124unique_dim_cuda_templateItEESt5tupleIJNSC_6TensorESH_SH_EERKSH_lbbbEUlllE1_EE10hipError_tPvRmT2_T3_mT4_P12ihipStream_tbEUlmE_lEESB_NS0_8identityIvEEEESM_SP_SQ_mSR_ST_bEUlT_E_NS1_11comp_targetILNS1_3genE5ELNS1_11target_archE942ELNS1_3gpuE9ELNS1_3repE0EEENS1_30default_config_static_selectorELNS0_4arch9wavefront6targetE1EEEvT1_: ; @_ZN7rocprim17ROCPRIM_400000_NS6detail17trampoline_kernelINS0_14default_configENS1_25transform_config_selectorIlLb0EEEZNS1_14transform_implILb0ES3_S5_NS0_18transform_iteratorINS0_17counting_iteratorImlEEZNS1_24adjacent_difference_implIS3_Lb1ELb0EPlSB_ZN2at6native12_GLOBAL__N_124unique_dim_cuda_templateItEESt5tupleIJNSC_6TensorESH_SH_EERKSH_lbbbEUlllE1_EE10hipError_tPvRmT2_T3_mT4_P12ihipStream_tbEUlmE_lEESB_NS0_8identityIvEEEESM_SP_SQ_mSR_ST_bEUlT_E_NS1_11comp_targetILNS1_3genE5ELNS1_11target_archE942ELNS1_3gpuE9ELNS1_3repE0EEENS1_30default_config_static_selectorELNS0_4arch9wavefront6targetE1EEEvT1_
; %bb.0:
	.section	.rodata,"a",@progbits
	.p2align	6, 0x0
	.amdhsa_kernel _ZN7rocprim17ROCPRIM_400000_NS6detail17trampoline_kernelINS0_14default_configENS1_25transform_config_selectorIlLb0EEEZNS1_14transform_implILb0ES3_S5_NS0_18transform_iteratorINS0_17counting_iteratorImlEEZNS1_24adjacent_difference_implIS3_Lb1ELb0EPlSB_ZN2at6native12_GLOBAL__N_124unique_dim_cuda_templateItEESt5tupleIJNSC_6TensorESH_SH_EERKSH_lbbbEUlllE1_EE10hipError_tPvRmT2_T3_mT4_P12ihipStream_tbEUlmE_lEESB_NS0_8identityIvEEEESM_SP_SQ_mSR_ST_bEUlT_E_NS1_11comp_targetILNS1_3genE5ELNS1_11target_archE942ELNS1_3gpuE9ELNS1_3repE0EEENS1_30default_config_static_selectorELNS0_4arch9wavefront6targetE1EEEvT1_
		.amdhsa_group_segment_fixed_size 0
		.amdhsa_private_segment_fixed_size 0
		.amdhsa_kernarg_size 56
		.amdhsa_user_sgpr_count 6
		.amdhsa_user_sgpr_private_segment_buffer 1
		.amdhsa_user_sgpr_dispatch_ptr 0
		.amdhsa_user_sgpr_queue_ptr 0
		.amdhsa_user_sgpr_kernarg_segment_ptr 1
		.amdhsa_user_sgpr_dispatch_id 0
		.amdhsa_user_sgpr_flat_scratch_init 0
		.amdhsa_user_sgpr_kernarg_preload_length 0
		.amdhsa_user_sgpr_kernarg_preload_offset 0
		.amdhsa_user_sgpr_private_segment_size 0
		.amdhsa_uses_dynamic_stack 0
		.amdhsa_system_sgpr_private_segment_wavefront_offset 0
		.amdhsa_system_sgpr_workgroup_id_x 1
		.amdhsa_system_sgpr_workgroup_id_y 0
		.amdhsa_system_sgpr_workgroup_id_z 0
		.amdhsa_system_sgpr_workgroup_info 0
		.amdhsa_system_vgpr_workitem_id 0
		.amdhsa_next_free_vgpr 1
		.amdhsa_next_free_sgpr 0
		.amdhsa_accum_offset 4
		.amdhsa_reserve_vcc 0
		.amdhsa_reserve_flat_scratch 0
		.amdhsa_float_round_mode_32 0
		.amdhsa_float_round_mode_16_64 0
		.amdhsa_float_denorm_mode_32 3
		.amdhsa_float_denorm_mode_16_64 3
		.amdhsa_dx10_clamp 1
		.amdhsa_ieee_mode 1
		.amdhsa_fp16_overflow 0
		.amdhsa_tg_split 0
		.amdhsa_exception_fp_ieee_invalid_op 0
		.amdhsa_exception_fp_denorm_src 0
		.amdhsa_exception_fp_ieee_div_zero 0
		.amdhsa_exception_fp_ieee_overflow 0
		.amdhsa_exception_fp_ieee_underflow 0
		.amdhsa_exception_fp_ieee_inexact 0
		.amdhsa_exception_int_div_zero 0
	.end_amdhsa_kernel
	.section	.text._ZN7rocprim17ROCPRIM_400000_NS6detail17trampoline_kernelINS0_14default_configENS1_25transform_config_selectorIlLb0EEEZNS1_14transform_implILb0ES3_S5_NS0_18transform_iteratorINS0_17counting_iteratorImlEEZNS1_24adjacent_difference_implIS3_Lb1ELb0EPlSB_ZN2at6native12_GLOBAL__N_124unique_dim_cuda_templateItEESt5tupleIJNSC_6TensorESH_SH_EERKSH_lbbbEUlllE1_EE10hipError_tPvRmT2_T3_mT4_P12ihipStream_tbEUlmE_lEESB_NS0_8identityIvEEEESM_SP_SQ_mSR_ST_bEUlT_E_NS1_11comp_targetILNS1_3genE5ELNS1_11target_archE942ELNS1_3gpuE9ELNS1_3repE0EEENS1_30default_config_static_selectorELNS0_4arch9wavefront6targetE1EEEvT1_,"axG",@progbits,_ZN7rocprim17ROCPRIM_400000_NS6detail17trampoline_kernelINS0_14default_configENS1_25transform_config_selectorIlLb0EEEZNS1_14transform_implILb0ES3_S5_NS0_18transform_iteratorINS0_17counting_iteratorImlEEZNS1_24adjacent_difference_implIS3_Lb1ELb0EPlSB_ZN2at6native12_GLOBAL__N_124unique_dim_cuda_templateItEESt5tupleIJNSC_6TensorESH_SH_EERKSH_lbbbEUlllE1_EE10hipError_tPvRmT2_T3_mT4_P12ihipStream_tbEUlmE_lEESB_NS0_8identityIvEEEESM_SP_SQ_mSR_ST_bEUlT_E_NS1_11comp_targetILNS1_3genE5ELNS1_11target_archE942ELNS1_3gpuE9ELNS1_3repE0EEENS1_30default_config_static_selectorELNS0_4arch9wavefront6targetE1EEEvT1_,comdat
.Lfunc_end1401:
	.size	_ZN7rocprim17ROCPRIM_400000_NS6detail17trampoline_kernelINS0_14default_configENS1_25transform_config_selectorIlLb0EEEZNS1_14transform_implILb0ES3_S5_NS0_18transform_iteratorINS0_17counting_iteratorImlEEZNS1_24adjacent_difference_implIS3_Lb1ELb0EPlSB_ZN2at6native12_GLOBAL__N_124unique_dim_cuda_templateItEESt5tupleIJNSC_6TensorESH_SH_EERKSH_lbbbEUlllE1_EE10hipError_tPvRmT2_T3_mT4_P12ihipStream_tbEUlmE_lEESB_NS0_8identityIvEEEESM_SP_SQ_mSR_ST_bEUlT_E_NS1_11comp_targetILNS1_3genE5ELNS1_11target_archE942ELNS1_3gpuE9ELNS1_3repE0EEENS1_30default_config_static_selectorELNS0_4arch9wavefront6targetE1EEEvT1_, .Lfunc_end1401-_ZN7rocprim17ROCPRIM_400000_NS6detail17trampoline_kernelINS0_14default_configENS1_25transform_config_selectorIlLb0EEEZNS1_14transform_implILb0ES3_S5_NS0_18transform_iteratorINS0_17counting_iteratorImlEEZNS1_24adjacent_difference_implIS3_Lb1ELb0EPlSB_ZN2at6native12_GLOBAL__N_124unique_dim_cuda_templateItEESt5tupleIJNSC_6TensorESH_SH_EERKSH_lbbbEUlllE1_EE10hipError_tPvRmT2_T3_mT4_P12ihipStream_tbEUlmE_lEESB_NS0_8identityIvEEEESM_SP_SQ_mSR_ST_bEUlT_E_NS1_11comp_targetILNS1_3genE5ELNS1_11target_archE942ELNS1_3gpuE9ELNS1_3repE0EEENS1_30default_config_static_selectorELNS0_4arch9wavefront6targetE1EEEvT1_
                                        ; -- End function
	.section	.AMDGPU.csdata,"",@progbits
; Kernel info:
; codeLenInByte = 0
; NumSgprs: 4
; NumVgprs: 0
; NumAgprs: 0
; TotalNumVgprs: 0
; ScratchSize: 0
; MemoryBound: 0
; FloatMode: 240
; IeeeMode: 1
; LDSByteSize: 0 bytes/workgroup (compile time only)
; SGPRBlocks: 0
; VGPRBlocks: 0
; NumSGPRsForWavesPerEU: 4
; NumVGPRsForWavesPerEU: 1
; AccumOffset: 4
; Occupancy: 8
; WaveLimiterHint : 0
; COMPUTE_PGM_RSRC2:SCRATCH_EN: 0
; COMPUTE_PGM_RSRC2:USER_SGPR: 6
; COMPUTE_PGM_RSRC2:TRAP_HANDLER: 0
; COMPUTE_PGM_RSRC2:TGID_X_EN: 1
; COMPUTE_PGM_RSRC2:TGID_Y_EN: 0
; COMPUTE_PGM_RSRC2:TGID_Z_EN: 0
; COMPUTE_PGM_RSRC2:TIDIG_COMP_CNT: 0
; COMPUTE_PGM_RSRC3_GFX90A:ACCUM_OFFSET: 0
; COMPUTE_PGM_RSRC3_GFX90A:TG_SPLIT: 0
	.section	.text._ZN7rocprim17ROCPRIM_400000_NS6detail17trampoline_kernelINS0_14default_configENS1_25transform_config_selectorIlLb0EEEZNS1_14transform_implILb0ES3_S5_NS0_18transform_iteratorINS0_17counting_iteratorImlEEZNS1_24adjacent_difference_implIS3_Lb1ELb0EPlSB_ZN2at6native12_GLOBAL__N_124unique_dim_cuda_templateItEESt5tupleIJNSC_6TensorESH_SH_EERKSH_lbbbEUlllE1_EE10hipError_tPvRmT2_T3_mT4_P12ihipStream_tbEUlmE_lEESB_NS0_8identityIvEEEESM_SP_SQ_mSR_ST_bEUlT_E_NS1_11comp_targetILNS1_3genE4ELNS1_11target_archE910ELNS1_3gpuE8ELNS1_3repE0EEENS1_30default_config_static_selectorELNS0_4arch9wavefront6targetE1EEEvT1_,"axG",@progbits,_ZN7rocprim17ROCPRIM_400000_NS6detail17trampoline_kernelINS0_14default_configENS1_25transform_config_selectorIlLb0EEEZNS1_14transform_implILb0ES3_S5_NS0_18transform_iteratorINS0_17counting_iteratorImlEEZNS1_24adjacent_difference_implIS3_Lb1ELb0EPlSB_ZN2at6native12_GLOBAL__N_124unique_dim_cuda_templateItEESt5tupleIJNSC_6TensorESH_SH_EERKSH_lbbbEUlllE1_EE10hipError_tPvRmT2_T3_mT4_P12ihipStream_tbEUlmE_lEESB_NS0_8identityIvEEEESM_SP_SQ_mSR_ST_bEUlT_E_NS1_11comp_targetILNS1_3genE4ELNS1_11target_archE910ELNS1_3gpuE8ELNS1_3repE0EEENS1_30default_config_static_selectorELNS0_4arch9wavefront6targetE1EEEvT1_,comdat
	.globl	_ZN7rocprim17ROCPRIM_400000_NS6detail17trampoline_kernelINS0_14default_configENS1_25transform_config_selectorIlLb0EEEZNS1_14transform_implILb0ES3_S5_NS0_18transform_iteratorINS0_17counting_iteratorImlEEZNS1_24adjacent_difference_implIS3_Lb1ELb0EPlSB_ZN2at6native12_GLOBAL__N_124unique_dim_cuda_templateItEESt5tupleIJNSC_6TensorESH_SH_EERKSH_lbbbEUlllE1_EE10hipError_tPvRmT2_T3_mT4_P12ihipStream_tbEUlmE_lEESB_NS0_8identityIvEEEESM_SP_SQ_mSR_ST_bEUlT_E_NS1_11comp_targetILNS1_3genE4ELNS1_11target_archE910ELNS1_3gpuE8ELNS1_3repE0EEENS1_30default_config_static_selectorELNS0_4arch9wavefront6targetE1EEEvT1_ ; -- Begin function _ZN7rocprim17ROCPRIM_400000_NS6detail17trampoline_kernelINS0_14default_configENS1_25transform_config_selectorIlLb0EEEZNS1_14transform_implILb0ES3_S5_NS0_18transform_iteratorINS0_17counting_iteratorImlEEZNS1_24adjacent_difference_implIS3_Lb1ELb0EPlSB_ZN2at6native12_GLOBAL__N_124unique_dim_cuda_templateItEESt5tupleIJNSC_6TensorESH_SH_EERKSH_lbbbEUlllE1_EE10hipError_tPvRmT2_T3_mT4_P12ihipStream_tbEUlmE_lEESB_NS0_8identityIvEEEESM_SP_SQ_mSR_ST_bEUlT_E_NS1_11comp_targetILNS1_3genE4ELNS1_11target_archE910ELNS1_3gpuE8ELNS1_3repE0EEENS1_30default_config_static_selectorELNS0_4arch9wavefront6targetE1EEEvT1_
	.p2align	8
	.type	_ZN7rocprim17ROCPRIM_400000_NS6detail17trampoline_kernelINS0_14default_configENS1_25transform_config_selectorIlLb0EEEZNS1_14transform_implILb0ES3_S5_NS0_18transform_iteratorINS0_17counting_iteratorImlEEZNS1_24adjacent_difference_implIS3_Lb1ELb0EPlSB_ZN2at6native12_GLOBAL__N_124unique_dim_cuda_templateItEESt5tupleIJNSC_6TensorESH_SH_EERKSH_lbbbEUlllE1_EE10hipError_tPvRmT2_T3_mT4_P12ihipStream_tbEUlmE_lEESB_NS0_8identityIvEEEESM_SP_SQ_mSR_ST_bEUlT_E_NS1_11comp_targetILNS1_3genE4ELNS1_11target_archE910ELNS1_3gpuE8ELNS1_3repE0EEENS1_30default_config_static_selectorELNS0_4arch9wavefront6targetE1EEEvT1_,@function
_ZN7rocprim17ROCPRIM_400000_NS6detail17trampoline_kernelINS0_14default_configENS1_25transform_config_selectorIlLb0EEEZNS1_14transform_implILb0ES3_S5_NS0_18transform_iteratorINS0_17counting_iteratorImlEEZNS1_24adjacent_difference_implIS3_Lb1ELb0EPlSB_ZN2at6native12_GLOBAL__N_124unique_dim_cuda_templateItEESt5tupleIJNSC_6TensorESH_SH_EERKSH_lbbbEUlllE1_EE10hipError_tPvRmT2_T3_mT4_P12ihipStream_tbEUlmE_lEESB_NS0_8identityIvEEEESM_SP_SQ_mSR_ST_bEUlT_E_NS1_11comp_targetILNS1_3genE4ELNS1_11target_archE910ELNS1_3gpuE8ELNS1_3repE0EEENS1_30default_config_static_selectorELNS0_4arch9wavefront6targetE1EEEvT1_: ; @_ZN7rocprim17ROCPRIM_400000_NS6detail17trampoline_kernelINS0_14default_configENS1_25transform_config_selectorIlLb0EEEZNS1_14transform_implILb0ES3_S5_NS0_18transform_iteratorINS0_17counting_iteratorImlEEZNS1_24adjacent_difference_implIS3_Lb1ELb0EPlSB_ZN2at6native12_GLOBAL__N_124unique_dim_cuda_templateItEESt5tupleIJNSC_6TensorESH_SH_EERKSH_lbbbEUlllE1_EE10hipError_tPvRmT2_T3_mT4_P12ihipStream_tbEUlmE_lEESB_NS0_8identityIvEEEESM_SP_SQ_mSR_ST_bEUlT_E_NS1_11comp_targetILNS1_3genE4ELNS1_11target_archE910ELNS1_3gpuE8ELNS1_3repE0EEENS1_30default_config_static_selectorELNS0_4arch9wavefront6targetE1EEEvT1_
; %bb.0:
	s_load_dwordx4 s[0:3], s[4:5], 0x18
	s_load_dwordx2 s[14:15], s[4:5], 0x28
	s_load_dwordx4 s[8:11], s[4:5], 0x0
	s_load_dword s12, s[4:5], 0x10
	s_waitcnt lgkmcnt(0)
	s_load_dword s3, s[4:5], 0x38
                                        ; kill: killed $sgpr4_sgpr5
	s_lshl_b64 s[4:5], s[0:1], 3
	s_add_u32 s14, s14, s4
	s_addc_u32 s15, s15, s5
	s_lshl_b32 s4, s6, 9
	s_waitcnt lgkmcnt(0)
	s_add_i32 s3, s3, -1
	s_add_u32 s7, s8, s4
	s_addc_u32 s8, s9, 0
	s_add_u32 s16, s7, s0
	s_addc_u32 s17, s8, s1
	s_mov_b32 s5, 0
	s_cmp_lg_u32 s6, s3
	v_lshlrev_b32_e32 v1, 3, v0
	s_cbranch_scc0 .LBB1402_2
; %bb.1:
	v_mov_b32_e32 v2, s17
	v_add_co_u32_e32 v3, vcc, s16, v0
	v_addc_co_u32_e32 v5, vcc, 0, v2, vcc
	v_mad_u64_u32 v[2:3], s[0:1], v3, s12, 0
	v_mov_b32_e32 v4, v3
	v_mad_u64_u32 v[4:5], s[0:1], v5, s12, v[4:5]
	v_mov_b32_e32 v3, v4
	v_lshlrev_b64 v[2:3], 3, v[2:3]
	s_mov_b32 s13, s5
	v_mov_b32_e32 v4, s11
	v_add_co_u32_e32 v2, vcc, s10, v2
	v_addc_co_u32_e32 v3, vcc, v4, v3, vcc
	s_lshl_b64 s[0:1], s[12:13], 11
	global_load_dwordx2 v[8:9], v[2:3], off
	v_mov_b32_e32 v4, s1
	v_add_co_u32_e32 v2, vcc, s0, v2
	v_addc_co_u32_e32 v3, vcc, v3, v4, vcc
	global_load_dwordx2 v[4:5], v[2:3], off
	s_lshl_b64 s[6:7], s[4:5], 3
	s_add_u32 s6, s14, s6
	s_addc_u32 s7, s15, s7
	v_mov_b32_e32 v2, s7
	v_add_co_u32_e32 v6, vcc, s6, v1
	v_addc_co_u32_e32 v7, vcc, 0, v2, vcc
	s_waitcnt vmcnt(1)
	global_store_dwordx2 v1, v[8:9], s[6:7]
	s_mov_b64 s[6:7], -1
	s_cbranch_execz .LBB1402_3
	s_branch .LBB1402_12
.LBB1402_2:
	s_mov_b64 s[6:7], 0
                                        ; implicit-def: $vgpr4_vgpr5
                                        ; implicit-def: $vgpr6_vgpr7
.LBB1402_3:
	s_sub_i32 s8, s2, s4
	v_cmp_gt_u32_e32 vcc, s8, v0
                                        ; implicit-def: $vgpr2_vgpr3_vgpr4_vgpr5
	s_and_saveexec_b64 s[2:3], vcc
	s_cbranch_execz .LBB1402_5
; %bb.4:
	v_mov_b32_e32 v2, s17
	v_add_co_u32_e64 v3, s[0:1], s16, v0
	s_waitcnt vmcnt(1)
	v_addc_co_u32_e64 v5, s[0:1], 0, v2, s[0:1]
	v_mad_u64_u32 v[2:3], s[0:1], v3, s12, 0
	v_mov_b32_e32 v4, v3
	v_mad_u64_u32 v[4:5], s[0:1], v5, s12, v[4:5]
	v_mov_b32_e32 v3, v4
	v_lshlrev_b64 v[2:3], 3, v[2:3]
	v_mov_b32_e32 v4, s11
	v_add_co_u32_e64 v2, s[0:1], s10, v2
	v_addc_co_u32_e64 v3, s[0:1], v4, v3, s[0:1]
	global_load_dwordx2 v[2:3], v[2:3], off
.LBB1402_5:
	s_or_b64 exec, exec, s[2:3]
	v_or_b32_e32 v0, 0x100, v0
	v_cmp_gt_u32_e64 s[0:1], s8, v0
	s_and_saveexec_b64 s[8:9], s[0:1]
	s_cbranch_execz .LBB1402_7
; %bb.6:
	s_waitcnt vmcnt(1)
	v_mov_b32_e32 v4, s17
	v_add_co_u32_e64 v0, s[2:3], s16, v0
	v_addc_co_u32_e64 v6, s[2:3], 0, v4, s[2:3]
	v_mad_u64_u32 v[4:5], s[2:3], v0, s12, 0
	v_mov_b32_e32 v0, v5
	v_mad_u64_u32 v[6:7], s[2:3], v6, s12, v[0:1]
	v_mov_b32_e32 v5, v6
	v_lshlrev_b64 v[4:5], 3, v[4:5]
	v_mov_b32_e32 v0, s11
	v_add_co_u32_e64 v4, s[2:3], s10, v4
	v_addc_co_u32_e64 v5, s[2:3], v0, v5, s[2:3]
	global_load_dwordx2 v[4:5], v[4:5], off
.LBB1402_7:
	s_or_b64 exec, exec, s[8:9]
	s_lshl_b64 s[2:3], s[4:5], 3
	s_add_u32 s2, s14, s2
	s_addc_u32 s3, s15, s3
	v_mov_b32_e32 v0, s3
	v_add_co_u32_e64 v6, s[2:3], s2, v1
	v_addc_co_u32_e64 v7, s[2:3], 0, v0, s[2:3]
	s_and_saveexec_b64 s[2:3], vcc
	s_cbranch_execz .LBB1402_9
; %bb.8:
	s_waitcnt vmcnt(0)
	global_store_dwordx2 v[6:7], v[2:3], off
.LBB1402_9:
	s_or_b64 exec, exec, s[2:3]
	s_and_saveexec_b64 s[2:3], s[0:1]
; %bb.10:
	s_or_b64 s[6:7], s[6:7], exec
; %bb.11:
	s_or_b64 exec, exec, s[2:3]
.LBB1402_12:
	s_and_saveexec_b64 s[0:1], s[6:7]
	s_cbranch_execnz .LBB1402_14
; %bb.13:
	s_endpgm
.LBB1402_14:
	s_waitcnt vmcnt(0)
	global_store_dwordx2 v[6:7], v[4:5], off offset:2048
	s_endpgm
	.section	.rodata,"a",@progbits
	.p2align	6, 0x0
	.amdhsa_kernel _ZN7rocprim17ROCPRIM_400000_NS6detail17trampoline_kernelINS0_14default_configENS1_25transform_config_selectorIlLb0EEEZNS1_14transform_implILb0ES3_S5_NS0_18transform_iteratorINS0_17counting_iteratorImlEEZNS1_24adjacent_difference_implIS3_Lb1ELb0EPlSB_ZN2at6native12_GLOBAL__N_124unique_dim_cuda_templateItEESt5tupleIJNSC_6TensorESH_SH_EERKSH_lbbbEUlllE1_EE10hipError_tPvRmT2_T3_mT4_P12ihipStream_tbEUlmE_lEESB_NS0_8identityIvEEEESM_SP_SQ_mSR_ST_bEUlT_E_NS1_11comp_targetILNS1_3genE4ELNS1_11target_archE910ELNS1_3gpuE8ELNS1_3repE0EEENS1_30default_config_static_selectorELNS0_4arch9wavefront6targetE1EEEvT1_
		.amdhsa_group_segment_fixed_size 0
		.amdhsa_private_segment_fixed_size 0
		.amdhsa_kernarg_size 312
		.amdhsa_user_sgpr_count 6
		.amdhsa_user_sgpr_private_segment_buffer 1
		.amdhsa_user_sgpr_dispatch_ptr 0
		.amdhsa_user_sgpr_queue_ptr 0
		.amdhsa_user_sgpr_kernarg_segment_ptr 1
		.amdhsa_user_sgpr_dispatch_id 0
		.amdhsa_user_sgpr_flat_scratch_init 0
		.amdhsa_user_sgpr_kernarg_preload_length 0
		.amdhsa_user_sgpr_kernarg_preload_offset 0
		.amdhsa_user_sgpr_private_segment_size 0
		.amdhsa_uses_dynamic_stack 0
		.amdhsa_system_sgpr_private_segment_wavefront_offset 0
		.amdhsa_system_sgpr_workgroup_id_x 1
		.amdhsa_system_sgpr_workgroup_id_y 0
		.amdhsa_system_sgpr_workgroup_id_z 0
		.amdhsa_system_sgpr_workgroup_info 0
		.amdhsa_system_vgpr_workitem_id 0
		.amdhsa_next_free_vgpr 10
		.amdhsa_next_free_sgpr 18
		.amdhsa_accum_offset 12
		.amdhsa_reserve_vcc 1
		.amdhsa_reserve_flat_scratch 0
		.amdhsa_float_round_mode_32 0
		.amdhsa_float_round_mode_16_64 0
		.amdhsa_float_denorm_mode_32 3
		.amdhsa_float_denorm_mode_16_64 3
		.amdhsa_dx10_clamp 1
		.amdhsa_ieee_mode 1
		.amdhsa_fp16_overflow 0
		.amdhsa_tg_split 0
		.amdhsa_exception_fp_ieee_invalid_op 0
		.amdhsa_exception_fp_denorm_src 0
		.amdhsa_exception_fp_ieee_div_zero 0
		.amdhsa_exception_fp_ieee_overflow 0
		.amdhsa_exception_fp_ieee_underflow 0
		.amdhsa_exception_fp_ieee_inexact 0
		.amdhsa_exception_int_div_zero 0
	.end_amdhsa_kernel
	.section	.text._ZN7rocprim17ROCPRIM_400000_NS6detail17trampoline_kernelINS0_14default_configENS1_25transform_config_selectorIlLb0EEEZNS1_14transform_implILb0ES3_S5_NS0_18transform_iteratorINS0_17counting_iteratorImlEEZNS1_24adjacent_difference_implIS3_Lb1ELb0EPlSB_ZN2at6native12_GLOBAL__N_124unique_dim_cuda_templateItEESt5tupleIJNSC_6TensorESH_SH_EERKSH_lbbbEUlllE1_EE10hipError_tPvRmT2_T3_mT4_P12ihipStream_tbEUlmE_lEESB_NS0_8identityIvEEEESM_SP_SQ_mSR_ST_bEUlT_E_NS1_11comp_targetILNS1_3genE4ELNS1_11target_archE910ELNS1_3gpuE8ELNS1_3repE0EEENS1_30default_config_static_selectorELNS0_4arch9wavefront6targetE1EEEvT1_,"axG",@progbits,_ZN7rocprim17ROCPRIM_400000_NS6detail17trampoline_kernelINS0_14default_configENS1_25transform_config_selectorIlLb0EEEZNS1_14transform_implILb0ES3_S5_NS0_18transform_iteratorINS0_17counting_iteratorImlEEZNS1_24adjacent_difference_implIS3_Lb1ELb0EPlSB_ZN2at6native12_GLOBAL__N_124unique_dim_cuda_templateItEESt5tupleIJNSC_6TensorESH_SH_EERKSH_lbbbEUlllE1_EE10hipError_tPvRmT2_T3_mT4_P12ihipStream_tbEUlmE_lEESB_NS0_8identityIvEEEESM_SP_SQ_mSR_ST_bEUlT_E_NS1_11comp_targetILNS1_3genE4ELNS1_11target_archE910ELNS1_3gpuE8ELNS1_3repE0EEENS1_30default_config_static_selectorELNS0_4arch9wavefront6targetE1EEEvT1_,comdat
.Lfunc_end1402:
	.size	_ZN7rocprim17ROCPRIM_400000_NS6detail17trampoline_kernelINS0_14default_configENS1_25transform_config_selectorIlLb0EEEZNS1_14transform_implILb0ES3_S5_NS0_18transform_iteratorINS0_17counting_iteratorImlEEZNS1_24adjacent_difference_implIS3_Lb1ELb0EPlSB_ZN2at6native12_GLOBAL__N_124unique_dim_cuda_templateItEESt5tupleIJNSC_6TensorESH_SH_EERKSH_lbbbEUlllE1_EE10hipError_tPvRmT2_T3_mT4_P12ihipStream_tbEUlmE_lEESB_NS0_8identityIvEEEESM_SP_SQ_mSR_ST_bEUlT_E_NS1_11comp_targetILNS1_3genE4ELNS1_11target_archE910ELNS1_3gpuE8ELNS1_3repE0EEENS1_30default_config_static_selectorELNS0_4arch9wavefront6targetE1EEEvT1_, .Lfunc_end1402-_ZN7rocprim17ROCPRIM_400000_NS6detail17trampoline_kernelINS0_14default_configENS1_25transform_config_selectorIlLb0EEEZNS1_14transform_implILb0ES3_S5_NS0_18transform_iteratorINS0_17counting_iteratorImlEEZNS1_24adjacent_difference_implIS3_Lb1ELb0EPlSB_ZN2at6native12_GLOBAL__N_124unique_dim_cuda_templateItEESt5tupleIJNSC_6TensorESH_SH_EERKSH_lbbbEUlllE1_EE10hipError_tPvRmT2_T3_mT4_P12ihipStream_tbEUlmE_lEESB_NS0_8identityIvEEEESM_SP_SQ_mSR_ST_bEUlT_E_NS1_11comp_targetILNS1_3genE4ELNS1_11target_archE910ELNS1_3gpuE8ELNS1_3repE0EEENS1_30default_config_static_selectorELNS0_4arch9wavefront6targetE1EEEvT1_
                                        ; -- End function
	.section	.AMDGPU.csdata,"",@progbits
; Kernel info:
; codeLenInByte = 556
; NumSgprs: 22
; NumVgprs: 10
; NumAgprs: 0
; TotalNumVgprs: 10
; ScratchSize: 0
; MemoryBound: 0
; FloatMode: 240
; IeeeMode: 1
; LDSByteSize: 0 bytes/workgroup (compile time only)
; SGPRBlocks: 2
; VGPRBlocks: 1
; NumSGPRsForWavesPerEU: 22
; NumVGPRsForWavesPerEU: 10
; AccumOffset: 12
; Occupancy: 8
; WaveLimiterHint : 0
; COMPUTE_PGM_RSRC2:SCRATCH_EN: 0
; COMPUTE_PGM_RSRC2:USER_SGPR: 6
; COMPUTE_PGM_RSRC2:TRAP_HANDLER: 0
; COMPUTE_PGM_RSRC2:TGID_X_EN: 1
; COMPUTE_PGM_RSRC2:TGID_Y_EN: 0
; COMPUTE_PGM_RSRC2:TGID_Z_EN: 0
; COMPUTE_PGM_RSRC2:TIDIG_COMP_CNT: 0
; COMPUTE_PGM_RSRC3_GFX90A:ACCUM_OFFSET: 2
; COMPUTE_PGM_RSRC3_GFX90A:TG_SPLIT: 0
	.section	.text._ZN7rocprim17ROCPRIM_400000_NS6detail17trampoline_kernelINS0_14default_configENS1_25transform_config_selectorIlLb0EEEZNS1_14transform_implILb0ES3_S5_NS0_18transform_iteratorINS0_17counting_iteratorImlEEZNS1_24adjacent_difference_implIS3_Lb1ELb0EPlSB_ZN2at6native12_GLOBAL__N_124unique_dim_cuda_templateItEESt5tupleIJNSC_6TensorESH_SH_EERKSH_lbbbEUlllE1_EE10hipError_tPvRmT2_T3_mT4_P12ihipStream_tbEUlmE_lEESB_NS0_8identityIvEEEESM_SP_SQ_mSR_ST_bEUlT_E_NS1_11comp_targetILNS1_3genE3ELNS1_11target_archE908ELNS1_3gpuE7ELNS1_3repE0EEENS1_30default_config_static_selectorELNS0_4arch9wavefront6targetE1EEEvT1_,"axG",@progbits,_ZN7rocprim17ROCPRIM_400000_NS6detail17trampoline_kernelINS0_14default_configENS1_25transform_config_selectorIlLb0EEEZNS1_14transform_implILb0ES3_S5_NS0_18transform_iteratorINS0_17counting_iteratorImlEEZNS1_24adjacent_difference_implIS3_Lb1ELb0EPlSB_ZN2at6native12_GLOBAL__N_124unique_dim_cuda_templateItEESt5tupleIJNSC_6TensorESH_SH_EERKSH_lbbbEUlllE1_EE10hipError_tPvRmT2_T3_mT4_P12ihipStream_tbEUlmE_lEESB_NS0_8identityIvEEEESM_SP_SQ_mSR_ST_bEUlT_E_NS1_11comp_targetILNS1_3genE3ELNS1_11target_archE908ELNS1_3gpuE7ELNS1_3repE0EEENS1_30default_config_static_selectorELNS0_4arch9wavefront6targetE1EEEvT1_,comdat
	.globl	_ZN7rocprim17ROCPRIM_400000_NS6detail17trampoline_kernelINS0_14default_configENS1_25transform_config_selectorIlLb0EEEZNS1_14transform_implILb0ES3_S5_NS0_18transform_iteratorINS0_17counting_iteratorImlEEZNS1_24adjacent_difference_implIS3_Lb1ELb0EPlSB_ZN2at6native12_GLOBAL__N_124unique_dim_cuda_templateItEESt5tupleIJNSC_6TensorESH_SH_EERKSH_lbbbEUlllE1_EE10hipError_tPvRmT2_T3_mT4_P12ihipStream_tbEUlmE_lEESB_NS0_8identityIvEEEESM_SP_SQ_mSR_ST_bEUlT_E_NS1_11comp_targetILNS1_3genE3ELNS1_11target_archE908ELNS1_3gpuE7ELNS1_3repE0EEENS1_30default_config_static_selectorELNS0_4arch9wavefront6targetE1EEEvT1_ ; -- Begin function _ZN7rocprim17ROCPRIM_400000_NS6detail17trampoline_kernelINS0_14default_configENS1_25transform_config_selectorIlLb0EEEZNS1_14transform_implILb0ES3_S5_NS0_18transform_iteratorINS0_17counting_iteratorImlEEZNS1_24adjacent_difference_implIS3_Lb1ELb0EPlSB_ZN2at6native12_GLOBAL__N_124unique_dim_cuda_templateItEESt5tupleIJNSC_6TensorESH_SH_EERKSH_lbbbEUlllE1_EE10hipError_tPvRmT2_T3_mT4_P12ihipStream_tbEUlmE_lEESB_NS0_8identityIvEEEESM_SP_SQ_mSR_ST_bEUlT_E_NS1_11comp_targetILNS1_3genE3ELNS1_11target_archE908ELNS1_3gpuE7ELNS1_3repE0EEENS1_30default_config_static_selectorELNS0_4arch9wavefront6targetE1EEEvT1_
	.p2align	8
	.type	_ZN7rocprim17ROCPRIM_400000_NS6detail17trampoline_kernelINS0_14default_configENS1_25transform_config_selectorIlLb0EEEZNS1_14transform_implILb0ES3_S5_NS0_18transform_iteratorINS0_17counting_iteratorImlEEZNS1_24adjacent_difference_implIS3_Lb1ELb0EPlSB_ZN2at6native12_GLOBAL__N_124unique_dim_cuda_templateItEESt5tupleIJNSC_6TensorESH_SH_EERKSH_lbbbEUlllE1_EE10hipError_tPvRmT2_T3_mT4_P12ihipStream_tbEUlmE_lEESB_NS0_8identityIvEEEESM_SP_SQ_mSR_ST_bEUlT_E_NS1_11comp_targetILNS1_3genE3ELNS1_11target_archE908ELNS1_3gpuE7ELNS1_3repE0EEENS1_30default_config_static_selectorELNS0_4arch9wavefront6targetE1EEEvT1_,@function
_ZN7rocprim17ROCPRIM_400000_NS6detail17trampoline_kernelINS0_14default_configENS1_25transform_config_selectorIlLb0EEEZNS1_14transform_implILb0ES3_S5_NS0_18transform_iteratorINS0_17counting_iteratorImlEEZNS1_24adjacent_difference_implIS3_Lb1ELb0EPlSB_ZN2at6native12_GLOBAL__N_124unique_dim_cuda_templateItEESt5tupleIJNSC_6TensorESH_SH_EERKSH_lbbbEUlllE1_EE10hipError_tPvRmT2_T3_mT4_P12ihipStream_tbEUlmE_lEESB_NS0_8identityIvEEEESM_SP_SQ_mSR_ST_bEUlT_E_NS1_11comp_targetILNS1_3genE3ELNS1_11target_archE908ELNS1_3gpuE7ELNS1_3repE0EEENS1_30default_config_static_selectorELNS0_4arch9wavefront6targetE1EEEvT1_: ; @_ZN7rocprim17ROCPRIM_400000_NS6detail17trampoline_kernelINS0_14default_configENS1_25transform_config_selectorIlLb0EEEZNS1_14transform_implILb0ES3_S5_NS0_18transform_iteratorINS0_17counting_iteratorImlEEZNS1_24adjacent_difference_implIS3_Lb1ELb0EPlSB_ZN2at6native12_GLOBAL__N_124unique_dim_cuda_templateItEESt5tupleIJNSC_6TensorESH_SH_EERKSH_lbbbEUlllE1_EE10hipError_tPvRmT2_T3_mT4_P12ihipStream_tbEUlmE_lEESB_NS0_8identityIvEEEESM_SP_SQ_mSR_ST_bEUlT_E_NS1_11comp_targetILNS1_3genE3ELNS1_11target_archE908ELNS1_3gpuE7ELNS1_3repE0EEENS1_30default_config_static_selectorELNS0_4arch9wavefront6targetE1EEEvT1_
; %bb.0:
	.section	.rodata,"a",@progbits
	.p2align	6, 0x0
	.amdhsa_kernel _ZN7rocprim17ROCPRIM_400000_NS6detail17trampoline_kernelINS0_14default_configENS1_25transform_config_selectorIlLb0EEEZNS1_14transform_implILb0ES3_S5_NS0_18transform_iteratorINS0_17counting_iteratorImlEEZNS1_24adjacent_difference_implIS3_Lb1ELb0EPlSB_ZN2at6native12_GLOBAL__N_124unique_dim_cuda_templateItEESt5tupleIJNSC_6TensorESH_SH_EERKSH_lbbbEUlllE1_EE10hipError_tPvRmT2_T3_mT4_P12ihipStream_tbEUlmE_lEESB_NS0_8identityIvEEEESM_SP_SQ_mSR_ST_bEUlT_E_NS1_11comp_targetILNS1_3genE3ELNS1_11target_archE908ELNS1_3gpuE7ELNS1_3repE0EEENS1_30default_config_static_selectorELNS0_4arch9wavefront6targetE1EEEvT1_
		.amdhsa_group_segment_fixed_size 0
		.amdhsa_private_segment_fixed_size 0
		.amdhsa_kernarg_size 56
		.amdhsa_user_sgpr_count 6
		.amdhsa_user_sgpr_private_segment_buffer 1
		.amdhsa_user_sgpr_dispatch_ptr 0
		.amdhsa_user_sgpr_queue_ptr 0
		.amdhsa_user_sgpr_kernarg_segment_ptr 1
		.amdhsa_user_sgpr_dispatch_id 0
		.amdhsa_user_sgpr_flat_scratch_init 0
		.amdhsa_user_sgpr_kernarg_preload_length 0
		.amdhsa_user_sgpr_kernarg_preload_offset 0
		.amdhsa_user_sgpr_private_segment_size 0
		.amdhsa_uses_dynamic_stack 0
		.amdhsa_system_sgpr_private_segment_wavefront_offset 0
		.amdhsa_system_sgpr_workgroup_id_x 1
		.amdhsa_system_sgpr_workgroup_id_y 0
		.amdhsa_system_sgpr_workgroup_id_z 0
		.amdhsa_system_sgpr_workgroup_info 0
		.amdhsa_system_vgpr_workitem_id 0
		.amdhsa_next_free_vgpr 1
		.amdhsa_next_free_sgpr 0
		.amdhsa_accum_offset 4
		.amdhsa_reserve_vcc 0
		.amdhsa_reserve_flat_scratch 0
		.amdhsa_float_round_mode_32 0
		.amdhsa_float_round_mode_16_64 0
		.amdhsa_float_denorm_mode_32 3
		.amdhsa_float_denorm_mode_16_64 3
		.amdhsa_dx10_clamp 1
		.amdhsa_ieee_mode 1
		.amdhsa_fp16_overflow 0
		.amdhsa_tg_split 0
		.amdhsa_exception_fp_ieee_invalid_op 0
		.amdhsa_exception_fp_denorm_src 0
		.amdhsa_exception_fp_ieee_div_zero 0
		.amdhsa_exception_fp_ieee_overflow 0
		.amdhsa_exception_fp_ieee_underflow 0
		.amdhsa_exception_fp_ieee_inexact 0
		.amdhsa_exception_int_div_zero 0
	.end_amdhsa_kernel
	.section	.text._ZN7rocprim17ROCPRIM_400000_NS6detail17trampoline_kernelINS0_14default_configENS1_25transform_config_selectorIlLb0EEEZNS1_14transform_implILb0ES3_S5_NS0_18transform_iteratorINS0_17counting_iteratorImlEEZNS1_24adjacent_difference_implIS3_Lb1ELb0EPlSB_ZN2at6native12_GLOBAL__N_124unique_dim_cuda_templateItEESt5tupleIJNSC_6TensorESH_SH_EERKSH_lbbbEUlllE1_EE10hipError_tPvRmT2_T3_mT4_P12ihipStream_tbEUlmE_lEESB_NS0_8identityIvEEEESM_SP_SQ_mSR_ST_bEUlT_E_NS1_11comp_targetILNS1_3genE3ELNS1_11target_archE908ELNS1_3gpuE7ELNS1_3repE0EEENS1_30default_config_static_selectorELNS0_4arch9wavefront6targetE1EEEvT1_,"axG",@progbits,_ZN7rocprim17ROCPRIM_400000_NS6detail17trampoline_kernelINS0_14default_configENS1_25transform_config_selectorIlLb0EEEZNS1_14transform_implILb0ES3_S5_NS0_18transform_iteratorINS0_17counting_iteratorImlEEZNS1_24adjacent_difference_implIS3_Lb1ELb0EPlSB_ZN2at6native12_GLOBAL__N_124unique_dim_cuda_templateItEESt5tupleIJNSC_6TensorESH_SH_EERKSH_lbbbEUlllE1_EE10hipError_tPvRmT2_T3_mT4_P12ihipStream_tbEUlmE_lEESB_NS0_8identityIvEEEESM_SP_SQ_mSR_ST_bEUlT_E_NS1_11comp_targetILNS1_3genE3ELNS1_11target_archE908ELNS1_3gpuE7ELNS1_3repE0EEENS1_30default_config_static_selectorELNS0_4arch9wavefront6targetE1EEEvT1_,comdat
.Lfunc_end1403:
	.size	_ZN7rocprim17ROCPRIM_400000_NS6detail17trampoline_kernelINS0_14default_configENS1_25transform_config_selectorIlLb0EEEZNS1_14transform_implILb0ES3_S5_NS0_18transform_iteratorINS0_17counting_iteratorImlEEZNS1_24adjacent_difference_implIS3_Lb1ELb0EPlSB_ZN2at6native12_GLOBAL__N_124unique_dim_cuda_templateItEESt5tupleIJNSC_6TensorESH_SH_EERKSH_lbbbEUlllE1_EE10hipError_tPvRmT2_T3_mT4_P12ihipStream_tbEUlmE_lEESB_NS0_8identityIvEEEESM_SP_SQ_mSR_ST_bEUlT_E_NS1_11comp_targetILNS1_3genE3ELNS1_11target_archE908ELNS1_3gpuE7ELNS1_3repE0EEENS1_30default_config_static_selectorELNS0_4arch9wavefront6targetE1EEEvT1_, .Lfunc_end1403-_ZN7rocprim17ROCPRIM_400000_NS6detail17trampoline_kernelINS0_14default_configENS1_25transform_config_selectorIlLb0EEEZNS1_14transform_implILb0ES3_S5_NS0_18transform_iteratorINS0_17counting_iteratorImlEEZNS1_24adjacent_difference_implIS3_Lb1ELb0EPlSB_ZN2at6native12_GLOBAL__N_124unique_dim_cuda_templateItEESt5tupleIJNSC_6TensorESH_SH_EERKSH_lbbbEUlllE1_EE10hipError_tPvRmT2_T3_mT4_P12ihipStream_tbEUlmE_lEESB_NS0_8identityIvEEEESM_SP_SQ_mSR_ST_bEUlT_E_NS1_11comp_targetILNS1_3genE3ELNS1_11target_archE908ELNS1_3gpuE7ELNS1_3repE0EEENS1_30default_config_static_selectorELNS0_4arch9wavefront6targetE1EEEvT1_
                                        ; -- End function
	.section	.AMDGPU.csdata,"",@progbits
; Kernel info:
; codeLenInByte = 0
; NumSgprs: 4
; NumVgprs: 0
; NumAgprs: 0
; TotalNumVgprs: 0
; ScratchSize: 0
; MemoryBound: 0
; FloatMode: 240
; IeeeMode: 1
; LDSByteSize: 0 bytes/workgroup (compile time only)
; SGPRBlocks: 0
; VGPRBlocks: 0
; NumSGPRsForWavesPerEU: 4
; NumVGPRsForWavesPerEU: 1
; AccumOffset: 4
; Occupancy: 8
; WaveLimiterHint : 0
; COMPUTE_PGM_RSRC2:SCRATCH_EN: 0
; COMPUTE_PGM_RSRC2:USER_SGPR: 6
; COMPUTE_PGM_RSRC2:TRAP_HANDLER: 0
; COMPUTE_PGM_RSRC2:TGID_X_EN: 1
; COMPUTE_PGM_RSRC2:TGID_Y_EN: 0
; COMPUTE_PGM_RSRC2:TGID_Z_EN: 0
; COMPUTE_PGM_RSRC2:TIDIG_COMP_CNT: 0
; COMPUTE_PGM_RSRC3_GFX90A:ACCUM_OFFSET: 0
; COMPUTE_PGM_RSRC3_GFX90A:TG_SPLIT: 0
	.section	.text._ZN7rocprim17ROCPRIM_400000_NS6detail17trampoline_kernelINS0_14default_configENS1_25transform_config_selectorIlLb0EEEZNS1_14transform_implILb0ES3_S5_NS0_18transform_iteratorINS0_17counting_iteratorImlEEZNS1_24adjacent_difference_implIS3_Lb1ELb0EPlSB_ZN2at6native12_GLOBAL__N_124unique_dim_cuda_templateItEESt5tupleIJNSC_6TensorESH_SH_EERKSH_lbbbEUlllE1_EE10hipError_tPvRmT2_T3_mT4_P12ihipStream_tbEUlmE_lEESB_NS0_8identityIvEEEESM_SP_SQ_mSR_ST_bEUlT_E_NS1_11comp_targetILNS1_3genE2ELNS1_11target_archE906ELNS1_3gpuE6ELNS1_3repE0EEENS1_30default_config_static_selectorELNS0_4arch9wavefront6targetE1EEEvT1_,"axG",@progbits,_ZN7rocprim17ROCPRIM_400000_NS6detail17trampoline_kernelINS0_14default_configENS1_25transform_config_selectorIlLb0EEEZNS1_14transform_implILb0ES3_S5_NS0_18transform_iteratorINS0_17counting_iteratorImlEEZNS1_24adjacent_difference_implIS3_Lb1ELb0EPlSB_ZN2at6native12_GLOBAL__N_124unique_dim_cuda_templateItEESt5tupleIJNSC_6TensorESH_SH_EERKSH_lbbbEUlllE1_EE10hipError_tPvRmT2_T3_mT4_P12ihipStream_tbEUlmE_lEESB_NS0_8identityIvEEEESM_SP_SQ_mSR_ST_bEUlT_E_NS1_11comp_targetILNS1_3genE2ELNS1_11target_archE906ELNS1_3gpuE6ELNS1_3repE0EEENS1_30default_config_static_selectorELNS0_4arch9wavefront6targetE1EEEvT1_,comdat
	.globl	_ZN7rocprim17ROCPRIM_400000_NS6detail17trampoline_kernelINS0_14default_configENS1_25transform_config_selectorIlLb0EEEZNS1_14transform_implILb0ES3_S5_NS0_18transform_iteratorINS0_17counting_iteratorImlEEZNS1_24adjacent_difference_implIS3_Lb1ELb0EPlSB_ZN2at6native12_GLOBAL__N_124unique_dim_cuda_templateItEESt5tupleIJNSC_6TensorESH_SH_EERKSH_lbbbEUlllE1_EE10hipError_tPvRmT2_T3_mT4_P12ihipStream_tbEUlmE_lEESB_NS0_8identityIvEEEESM_SP_SQ_mSR_ST_bEUlT_E_NS1_11comp_targetILNS1_3genE2ELNS1_11target_archE906ELNS1_3gpuE6ELNS1_3repE0EEENS1_30default_config_static_selectorELNS0_4arch9wavefront6targetE1EEEvT1_ ; -- Begin function _ZN7rocprim17ROCPRIM_400000_NS6detail17trampoline_kernelINS0_14default_configENS1_25transform_config_selectorIlLb0EEEZNS1_14transform_implILb0ES3_S5_NS0_18transform_iteratorINS0_17counting_iteratorImlEEZNS1_24adjacent_difference_implIS3_Lb1ELb0EPlSB_ZN2at6native12_GLOBAL__N_124unique_dim_cuda_templateItEESt5tupleIJNSC_6TensorESH_SH_EERKSH_lbbbEUlllE1_EE10hipError_tPvRmT2_T3_mT4_P12ihipStream_tbEUlmE_lEESB_NS0_8identityIvEEEESM_SP_SQ_mSR_ST_bEUlT_E_NS1_11comp_targetILNS1_3genE2ELNS1_11target_archE906ELNS1_3gpuE6ELNS1_3repE0EEENS1_30default_config_static_selectorELNS0_4arch9wavefront6targetE1EEEvT1_
	.p2align	8
	.type	_ZN7rocprim17ROCPRIM_400000_NS6detail17trampoline_kernelINS0_14default_configENS1_25transform_config_selectorIlLb0EEEZNS1_14transform_implILb0ES3_S5_NS0_18transform_iteratorINS0_17counting_iteratorImlEEZNS1_24adjacent_difference_implIS3_Lb1ELb0EPlSB_ZN2at6native12_GLOBAL__N_124unique_dim_cuda_templateItEESt5tupleIJNSC_6TensorESH_SH_EERKSH_lbbbEUlllE1_EE10hipError_tPvRmT2_T3_mT4_P12ihipStream_tbEUlmE_lEESB_NS0_8identityIvEEEESM_SP_SQ_mSR_ST_bEUlT_E_NS1_11comp_targetILNS1_3genE2ELNS1_11target_archE906ELNS1_3gpuE6ELNS1_3repE0EEENS1_30default_config_static_selectorELNS0_4arch9wavefront6targetE1EEEvT1_,@function
_ZN7rocprim17ROCPRIM_400000_NS6detail17trampoline_kernelINS0_14default_configENS1_25transform_config_selectorIlLb0EEEZNS1_14transform_implILb0ES3_S5_NS0_18transform_iteratorINS0_17counting_iteratorImlEEZNS1_24adjacent_difference_implIS3_Lb1ELb0EPlSB_ZN2at6native12_GLOBAL__N_124unique_dim_cuda_templateItEESt5tupleIJNSC_6TensorESH_SH_EERKSH_lbbbEUlllE1_EE10hipError_tPvRmT2_T3_mT4_P12ihipStream_tbEUlmE_lEESB_NS0_8identityIvEEEESM_SP_SQ_mSR_ST_bEUlT_E_NS1_11comp_targetILNS1_3genE2ELNS1_11target_archE906ELNS1_3gpuE6ELNS1_3repE0EEENS1_30default_config_static_selectorELNS0_4arch9wavefront6targetE1EEEvT1_: ; @_ZN7rocprim17ROCPRIM_400000_NS6detail17trampoline_kernelINS0_14default_configENS1_25transform_config_selectorIlLb0EEEZNS1_14transform_implILb0ES3_S5_NS0_18transform_iteratorINS0_17counting_iteratorImlEEZNS1_24adjacent_difference_implIS3_Lb1ELb0EPlSB_ZN2at6native12_GLOBAL__N_124unique_dim_cuda_templateItEESt5tupleIJNSC_6TensorESH_SH_EERKSH_lbbbEUlllE1_EE10hipError_tPvRmT2_T3_mT4_P12ihipStream_tbEUlmE_lEESB_NS0_8identityIvEEEESM_SP_SQ_mSR_ST_bEUlT_E_NS1_11comp_targetILNS1_3genE2ELNS1_11target_archE906ELNS1_3gpuE6ELNS1_3repE0EEENS1_30default_config_static_selectorELNS0_4arch9wavefront6targetE1EEEvT1_
; %bb.0:
	.section	.rodata,"a",@progbits
	.p2align	6, 0x0
	.amdhsa_kernel _ZN7rocprim17ROCPRIM_400000_NS6detail17trampoline_kernelINS0_14default_configENS1_25transform_config_selectorIlLb0EEEZNS1_14transform_implILb0ES3_S5_NS0_18transform_iteratorINS0_17counting_iteratorImlEEZNS1_24adjacent_difference_implIS3_Lb1ELb0EPlSB_ZN2at6native12_GLOBAL__N_124unique_dim_cuda_templateItEESt5tupleIJNSC_6TensorESH_SH_EERKSH_lbbbEUlllE1_EE10hipError_tPvRmT2_T3_mT4_P12ihipStream_tbEUlmE_lEESB_NS0_8identityIvEEEESM_SP_SQ_mSR_ST_bEUlT_E_NS1_11comp_targetILNS1_3genE2ELNS1_11target_archE906ELNS1_3gpuE6ELNS1_3repE0EEENS1_30default_config_static_selectorELNS0_4arch9wavefront6targetE1EEEvT1_
		.amdhsa_group_segment_fixed_size 0
		.amdhsa_private_segment_fixed_size 0
		.amdhsa_kernarg_size 56
		.amdhsa_user_sgpr_count 6
		.amdhsa_user_sgpr_private_segment_buffer 1
		.amdhsa_user_sgpr_dispatch_ptr 0
		.amdhsa_user_sgpr_queue_ptr 0
		.amdhsa_user_sgpr_kernarg_segment_ptr 1
		.amdhsa_user_sgpr_dispatch_id 0
		.amdhsa_user_sgpr_flat_scratch_init 0
		.amdhsa_user_sgpr_kernarg_preload_length 0
		.amdhsa_user_sgpr_kernarg_preload_offset 0
		.amdhsa_user_sgpr_private_segment_size 0
		.amdhsa_uses_dynamic_stack 0
		.amdhsa_system_sgpr_private_segment_wavefront_offset 0
		.amdhsa_system_sgpr_workgroup_id_x 1
		.amdhsa_system_sgpr_workgroup_id_y 0
		.amdhsa_system_sgpr_workgroup_id_z 0
		.amdhsa_system_sgpr_workgroup_info 0
		.amdhsa_system_vgpr_workitem_id 0
		.amdhsa_next_free_vgpr 1
		.amdhsa_next_free_sgpr 0
		.amdhsa_accum_offset 4
		.amdhsa_reserve_vcc 0
		.amdhsa_reserve_flat_scratch 0
		.amdhsa_float_round_mode_32 0
		.amdhsa_float_round_mode_16_64 0
		.amdhsa_float_denorm_mode_32 3
		.amdhsa_float_denorm_mode_16_64 3
		.amdhsa_dx10_clamp 1
		.amdhsa_ieee_mode 1
		.amdhsa_fp16_overflow 0
		.amdhsa_tg_split 0
		.amdhsa_exception_fp_ieee_invalid_op 0
		.amdhsa_exception_fp_denorm_src 0
		.amdhsa_exception_fp_ieee_div_zero 0
		.amdhsa_exception_fp_ieee_overflow 0
		.amdhsa_exception_fp_ieee_underflow 0
		.amdhsa_exception_fp_ieee_inexact 0
		.amdhsa_exception_int_div_zero 0
	.end_amdhsa_kernel
	.section	.text._ZN7rocprim17ROCPRIM_400000_NS6detail17trampoline_kernelINS0_14default_configENS1_25transform_config_selectorIlLb0EEEZNS1_14transform_implILb0ES3_S5_NS0_18transform_iteratorINS0_17counting_iteratorImlEEZNS1_24adjacent_difference_implIS3_Lb1ELb0EPlSB_ZN2at6native12_GLOBAL__N_124unique_dim_cuda_templateItEESt5tupleIJNSC_6TensorESH_SH_EERKSH_lbbbEUlllE1_EE10hipError_tPvRmT2_T3_mT4_P12ihipStream_tbEUlmE_lEESB_NS0_8identityIvEEEESM_SP_SQ_mSR_ST_bEUlT_E_NS1_11comp_targetILNS1_3genE2ELNS1_11target_archE906ELNS1_3gpuE6ELNS1_3repE0EEENS1_30default_config_static_selectorELNS0_4arch9wavefront6targetE1EEEvT1_,"axG",@progbits,_ZN7rocprim17ROCPRIM_400000_NS6detail17trampoline_kernelINS0_14default_configENS1_25transform_config_selectorIlLb0EEEZNS1_14transform_implILb0ES3_S5_NS0_18transform_iteratorINS0_17counting_iteratorImlEEZNS1_24adjacent_difference_implIS3_Lb1ELb0EPlSB_ZN2at6native12_GLOBAL__N_124unique_dim_cuda_templateItEESt5tupleIJNSC_6TensorESH_SH_EERKSH_lbbbEUlllE1_EE10hipError_tPvRmT2_T3_mT4_P12ihipStream_tbEUlmE_lEESB_NS0_8identityIvEEEESM_SP_SQ_mSR_ST_bEUlT_E_NS1_11comp_targetILNS1_3genE2ELNS1_11target_archE906ELNS1_3gpuE6ELNS1_3repE0EEENS1_30default_config_static_selectorELNS0_4arch9wavefront6targetE1EEEvT1_,comdat
.Lfunc_end1404:
	.size	_ZN7rocprim17ROCPRIM_400000_NS6detail17trampoline_kernelINS0_14default_configENS1_25transform_config_selectorIlLb0EEEZNS1_14transform_implILb0ES3_S5_NS0_18transform_iteratorINS0_17counting_iteratorImlEEZNS1_24adjacent_difference_implIS3_Lb1ELb0EPlSB_ZN2at6native12_GLOBAL__N_124unique_dim_cuda_templateItEESt5tupleIJNSC_6TensorESH_SH_EERKSH_lbbbEUlllE1_EE10hipError_tPvRmT2_T3_mT4_P12ihipStream_tbEUlmE_lEESB_NS0_8identityIvEEEESM_SP_SQ_mSR_ST_bEUlT_E_NS1_11comp_targetILNS1_3genE2ELNS1_11target_archE906ELNS1_3gpuE6ELNS1_3repE0EEENS1_30default_config_static_selectorELNS0_4arch9wavefront6targetE1EEEvT1_, .Lfunc_end1404-_ZN7rocprim17ROCPRIM_400000_NS6detail17trampoline_kernelINS0_14default_configENS1_25transform_config_selectorIlLb0EEEZNS1_14transform_implILb0ES3_S5_NS0_18transform_iteratorINS0_17counting_iteratorImlEEZNS1_24adjacent_difference_implIS3_Lb1ELb0EPlSB_ZN2at6native12_GLOBAL__N_124unique_dim_cuda_templateItEESt5tupleIJNSC_6TensorESH_SH_EERKSH_lbbbEUlllE1_EE10hipError_tPvRmT2_T3_mT4_P12ihipStream_tbEUlmE_lEESB_NS0_8identityIvEEEESM_SP_SQ_mSR_ST_bEUlT_E_NS1_11comp_targetILNS1_3genE2ELNS1_11target_archE906ELNS1_3gpuE6ELNS1_3repE0EEENS1_30default_config_static_selectorELNS0_4arch9wavefront6targetE1EEEvT1_
                                        ; -- End function
	.section	.AMDGPU.csdata,"",@progbits
; Kernel info:
; codeLenInByte = 0
; NumSgprs: 4
; NumVgprs: 0
; NumAgprs: 0
; TotalNumVgprs: 0
; ScratchSize: 0
; MemoryBound: 0
; FloatMode: 240
; IeeeMode: 1
; LDSByteSize: 0 bytes/workgroup (compile time only)
; SGPRBlocks: 0
; VGPRBlocks: 0
; NumSGPRsForWavesPerEU: 4
; NumVGPRsForWavesPerEU: 1
; AccumOffset: 4
; Occupancy: 8
; WaveLimiterHint : 0
; COMPUTE_PGM_RSRC2:SCRATCH_EN: 0
; COMPUTE_PGM_RSRC2:USER_SGPR: 6
; COMPUTE_PGM_RSRC2:TRAP_HANDLER: 0
; COMPUTE_PGM_RSRC2:TGID_X_EN: 1
; COMPUTE_PGM_RSRC2:TGID_Y_EN: 0
; COMPUTE_PGM_RSRC2:TGID_Z_EN: 0
; COMPUTE_PGM_RSRC2:TIDIG_COMP_CNT: 0
; COMPUTE_PGM_RSRC3_GFX90A:ACCUM_OFFSET: 0
; COMPUTE_PGM_RSRC3_GFX90A:TG_SPLIT: 0
	.section	.text._ZN7rocprim17ROCPRIM_400000_NS6detail17trampoline_kernelINS0_14default_configENS1_25transform_config_selectorIlLb0EEEZNS1_14transform_implILb0ES3_S5_NS0_18transform_iteratorINS0_17counting_iteratorImlEEZNS1_24adjacent_difference_implIS3_Lb1ELb0EPlSB_ZN2at6native12_GLOBAL__N_124unique_dim_cuda_templateItEESt5tupleIJNSC_6TensorESH_SH_EERKSH_lbbbEUlllE1_EE10hipError_tPvRmT2_T3_mT4_P12ihipStream_tbEUlmE_lEESB_NS0_8identityIvEEEESM_SP_SQ_mSR_ST_bEUlT_E_NS1_11comp_targetILNS1_3genE10ELNS1_11target_archE1201ELNS1_3gpuE5ELNS1_3repE0EEENS1_30default_config_static_selectorELNS0_4arch9wavefront6targetE1EEEvT1_,"axG",@progbits,_ZN7rocprim17ROCPRIM_400000_NS6detail17trampoline_kernelINS0_14default_configENS1_25transform_config_selectorIlLb0EEEZNS1_14transform_implILb0ES3_S5_NS0_18transform_iteratorINS0_17counting_iteratorImlEEZNS1_24adjacent_difference_implIS3_Lb1ELb0EPlSB_ZN2at6native12_GLOBAL__N_124unique_dim_cuda_templateItEESt5tupleIJNSC_6TensorESH_SH_EERKSH_lbbbEUlllE1_EE10hipError_tPvRmT2_T3_mT4_P12ihipStream_tbEUlmE_lEESB_NS0_8identityIvEEEESM_SP_SQ_mSR_ST_bEUlT_E_NS1_11comp_targetILNS1_3genE10ELNS1_11target_archE1201ELNS1_3gpuE5ELNS1_3repE0EEENS1_30default_config_static_selectorELNS0_4arch9wavefront6targetE1EEEvT1_,comdat
	.globl	_ZN7rocprim17ROCPRIM_400000_NS6detail17trampoline_kernelINS0_14default_configENS1_25transform_config_selectorIlLb0EEEZNS1_14transform_implILb0ES3_S5_NS0_18transform_iteratorINS0_17counting_iteratorImlEEZNS1_24adjacent_difference_implIS3_Lb1ELb0EPlSB_ZN2at6native12_GLOBAL__N_124unique_dim_cuda_templateItEESt5tupleIJNSC_6TensorESH_SH_EERKSH_lbbbEUlllE1_EE10hipError_tPvRmT2_T3_mT4_P12ihipStream_tbEUlmE_lEESB_NS0_8identityIvEEEESM_SP_SQ_mSR_ST_bEUlT_E_NS1_11comp_targetILNS1_3genE10ELNS1_11target_archE1201ELNS1_3gpuE5ELNS1_3repE0EEENS1_30default_config_static_selectorELNS0_4arch9wavefront6targetE1EEEvT1_ ; -- Begin function _ZN7rocprim17ROCPRIM_400000_NS6detail17trampoline_kernelINS0_14default_configENS1_25transform_config_selectorIlLb0EEEZNS1_14transform_implILb0ES3_S5_NS0_18transform_iteratorINS0_17counting_iteratorImlEEZNS1_24adjacent_difference_implIS3_Lb1ELb0EPlSB_ZN2at6native12_GLOBAL__N_124unique_dim_cuda_templateItEESt5tupleIJNSC_6TensorESH_SH_EERKSH_lbbbEUlllE1_EE10hipError_tPvRmT2_T3_mT4_P12ihipStream_tbEUlmE_lEESB_NS0_8identityIvEEEESM_SP_SQ_mSR_ST_bEUlT_E_NS1_11comp_targetILNS1_3genE10ELNS1_11target_archE1201ELNS1_3gpuE5ELNS1_3repE0EEENS1_30default_config_static_selectorELNS0_4arch9wavefront6targetE1EEEvT1_
	.p2align	8
	.type	_ZN7rocprim17ROCPRIM_400000_NS6detail17trampoline_kernelINS0_14default_configENS1_25transform_config_selectorIlLb0EEEZNS1_14transform_implILb0ES3_S5_NS0_18transform_iteratorINS0_17counting_iteratorImlEEZNS1_24adjacent_difference_implIS3_Lb1ELb0EPlSB_ZN2at6native12_GLOBAL__N_124unique_dim_cuda_templateItEESt5tupleIJNSC_6TensorESH_SH_EERKSH_lbbbEUlllE1_EE10hipError_tPvRmT2_T3_mT4_P12ihipStream_tbEUlmE_lEESB_NS0_8identityIvEEEESM_SP_SQ_mSR_ST_bEUlT_E_NS1_11comp_targetILNS1_3genE10ELNS1_11target_archE1201ELNS1_3gpuE5ELNS1_3repE0EEENS1_30default_config_static_selectorELNS0_4arch9wavefront6targetE1EEEvT1_,@function
_ZN7rocprim17ROCPRIM_400000_NS6detail17trampoline_kernelINS0_14default_configENS1_25transform_config_selectorIlLb0EEEZNS1_14transform_implILb0ES3_S5_NS0_18transform_iteratorINS0_17counting_iteratorImlEEZNS1_24adjacent_difference_implIS3_Lb1ELb0EPlSB_ZN2at6native12_GLOBAL__N_124unique_dim_cuda_templateItEESt5tupleIJNSC_6TensorESH_SH_EERKSH_lbbbEUlllE1_EE10hipError_tPvRmT2_T3_mT4_P12ihipStream_tbEUlmE_lEESB_NS0_8identityIvEEEESM_SP_SQ_mSR_ST_bEUlT_E_NS1_11comp_targetILNS1_3genE10ELNS1_11target_archE1201ELNS1_3gpuE5ELNS1_3repE0EEENS1_30default_config_static_selectorELNS0_4arch9wavefront6targetE1EEEvT1_: ; @_ZN7rocprim17ROCPRIM_400000_NS6detail17trampoline_kernelINS0_14default_configENS1_25transform_config_selectorIlLb0EEEZNS1_14transform_implILb0ES3_S5_NS0_18transform_iteratorINS0_17counting_iteratorImlEEZNS1_24adjacent_difference_implIS3_Lb1ELb0EPlSB_ZN2at6native12_GLOBAL__N_124unique_dim_cuda_templateItEESt5tupleIJNSC_6TensorESH_SH_EERKSH_lbbbEUlllE1_EE10hipError_tPvRmT2_T3_mT4_P12ihipStream_tbEUlmE_lEESB_NS0_8identityIvEEEESM_SP_SQ_mSR_ST_bEUlT_E_NS1_11comp_targetILNS1_3genE10ELNS1_11target_archE1201ELNS1_3gpuE5ELNS1_3repE0EEENS1_30default_config_static_selectorELNS0_4arch9wavefront6targetE1EEEvT1_
; %bb.0:
	.section	.rodata,"a",@progbits
	.p2align	6, 0x0
	.amdhsa_kernel _ZN7rocprim17ROCPRIM_400000_NS6detail17trampoline_kernelINS0_14default_configENS1_25transform_config_selectorIlLb0EEEZNS1_14transform_implILb0ES3_S5_NS0_18transform_iteratorINS0_17counting_iteratorImlEEZNS1_24adjacent_difference_implIS3_Lb1ELb0EPlSB_ZN2at6native12_GLOBAL__N_124unique_dim_cuda_templateItEESt5tupleIJNSC_6TensorESH_SH_EERKSH_lbbbEUlllE1_EE10hipError_tPvRmT2_T3_mT4_P12ihipStream_tbEUlmE_lEESB_NS0_8identityIvEEEESM_SP_SQ_mSR_ST_bEUlT_E_NS1_11comp_targetILNS1_3genE10ELNS1_11target_archE1201ELNS1_3gpuE5ELNS1_3repE0EEENS1_30default_config_static_selectorELNS0_4arch9wavefront6targetE1EEEvT1_
		.amdhsa_group_segment_fixed_size 0
		.amdhsa_private_segment_fixed_size 0
		.amdhsa_kernarg_size 56
		.amdhsa_user_sgpr_count 6
		.amdhsa_user_sgpr_private_segment_buffer 1
		.amdhsa_user_sgpr_dispatch_ptr 0
		.amdhsa_user_sgpr_queue_ptr 0
		.amdhsa_user_sgpr_kernarg_segment_ptr 1
		.amdhsa_user_sgpr_dispatch_id 0
		.amdhsa_user_sgpr_flat_scratch_init 0
		.amdhsa_user_sgpr_kernarg_preload_length 0
		.amdhsa_user_sgpr_kernarg_preload_offset 0
		.amdhsa_user_sgpr_private_segment_size 0
		.amdhsa_uses_dynamic_stack 0
		.amdhsa_system_sgpr_private_segment_wavefront_offset 0
		.amdhsa_system_sgpr_workgroup_id_x 1
		.amdhsa_system_sgpr_workgroup_id_y 0
		.amdhsa_system_sgpr_workgroup_id_z 0
		.amdhsa_system_sgpr_workgroup_info 0
		.amdhsa_system_vgpr_workitem_id 0
		.amdhsa_next_free_vgpr 1
		.amdhsa_next_free_sgpr 0
		.amdhsa_accum_offset 4
		.amdhsa_reserve_vcc 0
		.amdhsa_reserve_flat_scratch 0
		.amdhsa_float_round_mode_32 0
		.amdhsa_float_round_mode_16_64 0
		.amdhsa_float_denorm_mode_32 3
		.amdhsa_float_denorm_mode_16_64 3
		.amdhsa_dx10_clamp 1
		.amdhsa_ieee_mode 1
		.amdhsa_fp16_overflow 0
		.amdhsa_tg_split 0
		.amdhsa_exception_fp_ieee_invalid_op 0
		.amdhsa_exception_fp_denorm_src 0
		.amdhsa_exception_fp_ieee_div_zero 0
		.amdhsa_exception_fp_ieee_overflow 0
		.amdhsa_exception_fp_ieee_underflow 0
		.amdhsa_exception_fp_ieee_inexact 0
		.amdhsa_exception_int_div_zero 0
	.end_amdhsa_kernel
	.section	.text._ZN7rocprim17ROCPRIM_400000_NS6detail17trampoline_kernelINS0_14default_configENS1_25transform_config_selectorIlLb0EEEZNS1_14transform_implILb0ES3_S5_NS0_18transform_iteratorINS0_17counting_iteratorImlEEZNS1_24adjacent_difference_implIS3_Lb1ELb0EPlSB_ZN2at6native12_GLOBAL__N_124unique_dim_cuda_templateItEESt5tupleIJNSC_6TensorESH_SH_EERKSH_lbbbEUlllE1_EE10hipError_tPvRmT2_T3_mT4_P12ihipStream_tbEUlmE_lEESB_NS0_8identityIvEEEESM_SP_SQ_mSR_ST_bEUlT_E_NS1_11comp_targetILNS1_3genE10ELNS1_11target_archE1201ELNS1_3gpuE5ELNS1_3repE0EEENS1_30default_config_static_selectorELNS0_4arch9wavefront6targetE1EEEvT1_,"axG",@progbits,_ZN7rocprim17ROCPRIM_400000_NS6detail17trampoline_kernelINS0_14default_configENS1_25transform_config_selectorIlLb0EEEZNS1_14transform_implILb0ES3_S5_NS0_18transform_iteratorINS0_17counting_iteratorImlEEZNS1_24adjacent_difference_implIS3_Lb1ELb0EPlSB_ZN2at6native12_GLOBAL__N_124unique_dim_cuda_templateItEESt5tupleIJNSC_6TensorESH_SH_EERKSH_lbbbEUlllE1_EE10hipError_tPvRmT2_T3_mT4_P12ihipStream_tbEUlmE_lEESB_NS0_8identityIvEEEESM_SP_SQ_mSR_ST_bEUlT_E_NS1_11comp_targetILNS1_3genE10ELNS1_11target_archE1201ELNS1_3gpuE5ELNS1_3repE0EEENS1_30default_config_static_selectorELNS0_4arch9wavefront6targetE1EEEvT1_,comdat
.Lfunc_end1405:
	.size	_ZN7rocprim17ROCPRIM_400000_NS6detail17trampoline_kernelINS0_14default_configENS1_25transform_config_selectorIlLb0EEEZNS1_14transform_implILb0ES3_S5_NS0_18transform_iteratorINS0_17counting_iteratorImlEEZNS1_24adjacent_difference_implIS3_Lb1ELb0EPlSB_ZN2at6native12_GLOBAL__N_124unique_dim_cuda_templateItEESt5tupleIJNSC_6TensorESH_SH_EERKSH_lbbbEUlllE1_EE10hipError_tPvRmT2_T3_mT4_P12ihipStream_tbEUlmE_lEESB_NS0_8identityIvEEEESM_SP_SQ_mSR_ST_bEUlT_E_NS1_11comp_targetILNS1_3genE10ELNS1_11target_archE1201ELNS1_3gpuE5ELNS1_3repE0EEENS1_30default_config_static_selectorELNS0_4arch9wavefront6targetE1EEEvT1_, .Lfunc_end1405-_ZN7rocprim17ROCPRIM_400000_NS6detail17trampoline_kernelINS0_14default_configENS1_25transform_config_selectorIlLb0EEEZNS1_14transform_implILb0ES3_S5_NS0_18transform_iteratorINS0_17counting_iteratorImlEEZNS1_24adjacent_difference_implIS3_Lb1ELb0EPlSB_ZN2at6native12_GLOBAL__N_124unique_dim_cuda_templateItEESt5tupleIJNSC_6TensorESH_SH_EERKSH_lbbbEUlllE1_EE10hipError_tPvRmT2_T3_mT4_P12ihipStream_tbEUlmE_lEESB_NS0_8identityIvEEEESM_SP_SQ_mSR_ST_bEUlT_E_NS1_11comp_targetILNS1_3genE10ELNS1_11target_archE1201ELNS1_3gpuE5ELNS1_3repE0EEENS1_30default_config_static_selectorELNS0_4arch9wavefront6targetE1EEEvT1_
                                        ; -- End function
	.section	.AMDGPU.csdata,"",@progbits
; Kernel info:
; codeLenInByte = 0
; NumSgprs: 4
; NumVgprs: 0
; NumAgprs: 0
; TotalNumVgprs: 0
; ScratchSize: 0
; MemoryBound: 0
; FloatMode: 240
; IeeeMode: 1
; LDSByteSize: 0 bytes/workgroup (compile time only)
; SGPRBlocks: 0
; VGPRBlocks: 0
; NumSGPRsForWavesPerEU: 4
; NumVGPRsForWavesPerEU: 1
; AccumOffset: 4
; Occupancy: 8
; WaveLimiterHint : 0
; COMPUTE_PGM_RSRC2:SCRATCH_EN: 0
; COMPUTE_PGM_RSRC2:USER_SGPR: 6
; COMPUTE_PGM_RSRC2:TRAP_HANDLER: 0
; COMPUTE_PGM_RSRC2:TGID_X_EN: 1
; COMPUTE_PGM_RSRC2:TGID_Y_EN: 0
; COMPUTE_PGM_RSRC2:TGID_Z_EN: 0
; COMPUTE_PGM_RSRC2:TIDIG_COMP_CNT: 0
; COMPUTE_PGM_RSRC3_GFX90A:ACCUM_OFFSET: 0
; COMPUTE_PGM_RSRC3_GFX90A:TG_SPLIT: 0
	.section	.text._ZN7rocprim17ROCPRIM_400000_NS6detail17trampoline_kernelINS0_14default_configENS1_25transform_config_selectorIlLb0EEEZNS1_14transform_implILb0ES3_S5_NS0_18transform_iteratorINS0_17counting_iteratorImlEEZNS1_24adjacent_difference_implIS3_Lb1ELb0EPlSB_ZN2at6native12_GLOBAL__N_124unique_dim_cuda_templateItEESt5tupleIJNSC_6TensorESH_SH_EERKSH_lbbbEUlllE1_EE10hipError_tPvRmT2_T3_mT4_P12ihipStream_tbEUlmE_lEESB_NS0_8identityIvEEEESM_SP_SQ_mSR_ST_bEUlT_E_NS1_11comp_targetILNS1_3genE10ELNS1_11target_archE1200ELNS1_3gpuE4ELNS1_3repE0EEENS1_30default_config_static_selectorELNS0_4arch9wavefront6targetE1EEEvT1_,"axG",@progbits,_ZN7rocprim17ROCPRIM_400000_NS6detail17trampoline_kernelINS0_14default_configENS1_25transform_config_selectorIlLb0EEEZNS1_14transform_implILb0ES3_S5_NS0_18transform_iteratorINS0_17counting_iteratorImlEEZNS1_24adjacent_difference_implIS3_Lb1ELb0EPlSB_ZN2at6native12_GLOBAL__N_124unique_dim_cuda_templateItEESt5tupleIJNSC_6TensorESH_SH_EERKSH_lbbbEUlllE1_EE10hipError_tPvRmT2_T3_mT4_P12ihipStream_tbEUlmE_lEESB_NS0_8identityIvEEEESM_SP_SQ_mSR_ST_bEUlT_E_NS1_11comp_targetILNS1_3genE10ELNS1_11target_archE1200ELNS1_3gpuE4ELNS1_3repE0EEENS1_30default_config_static_selectorELNS0_4arch9wavefront6targetE1EEEvT1_,comdat
	.globl	_ZN7rocprim17ROCPRIM_400000_NS6detail17trampoline_kernelINS0_14default_configENS1_25transform_config_selectorIlLb0EEEZNS1_14transform_implILb0ES3_S5_NS0_18transform_iteratorINS0_17counting_iteratorImlEEZNS1_24adjacent_difference_implIS3_Lb1ELb0EPlSB_ZN2at6native12_GLOBAL__N_124unique_dim_cuda_templateItEESt5tupleIJNSC_6TensorESH_SH_EERKSH_lbbbEUlllE1_EE10hipError_tPvRmT2_T3_mT4_P12ihipStream_tbEUlmE_lEESB_NS0_8identityIvEEEESM_SP_SQ_mSR_ST_bEUlT_E_NS1_11comp_targetILNS1_3genE10ELNS1_11target_archE1200ELNS1_3gpuE4ELNS1_3repE0EEENS1_30default_config_static_selectorELNS0_4arch9wavefront6targetE1EEEvT1_ ; -- Begin function _ZN7rocprim17ROCPRIM_400000_NS6detail17trampoline_kernelINS0_14default_configENS1_25transform_config_selectorIlLb0EEEZNS1_14transform_implILb0ES3_S5_NS0_18transform_iteratorINS0_17counting_iteratorImlEEZNS1_24adjacent_difference_implIS3_Lb1ELb0EPlSB_ZN2at6native12_GLOBAL__N_124unique_dim_cuda_templateItEESt5tupleIJNSC_6TensorESH_SH_EERKSH_lbbbEUlllE1_EE10hipError_tPvRmT2_T3_mT4_P12ihipStream_tbEUlmE_lEESB_NS0_8identityIvEEEESM_SP_SQ_mSR_ST_bEUlT_E_NS1_11comp_targetILNS1_3genE10ELNS1_11target_archE1200ELNS1_3gpuE4ELNS1_3repE0EEENS1_30default_config_static_selectorELNS0_4arch9wavefront6targetE1EEEvT1_
	.p2align	8
	.type	_ZN7rocprim17ROCPRIM_400000_NS6detail17trampoline_kernelINS0_14default_configENS1_25transform_config_selectorIlLb0EEEZNS1_14transform_implILb0ES3_S5_NS0_18transform_iteratorINS0_17counting_iteratorImlEEZNS1_24adjacent_difference_implIS3_Lb1ELb0EPlSB_ZN2at6native12_GLOBAL__N_124unique_dim_cuda_templateItEESt5tupleIJNSC_6TensorESH_SH_EERKSH_lbbbEUlllE1_EE10hipError_tPvRmT2_T3_mT4_P12ihipStream_tbEUlmE_lEESB_NS0_8identityIvEEEESM_SP_SQ_mSR_ST_bEUlT_E_NS1_11comp_targetILNS1_3genE10ELNS1_11target_archE1200ELNS1_3gpuE4ELNS1_3repE0EEENS1_30default_config_static_selectorELNS0_4arch9wavefront6targetE1EEEvT1_,@function
_ZN7rocprim17ROCPRIM_400000_NS6detail17trampoline_kernelINS0_14default_configENS1_25transform_config_selectorIlLb0EEEZNS1_14transform_implILb0ES3_S5_NS0_18transform_iteratorINS0_17counting_iteratorImlEEZNS1_24adjacent_difference_implIS3_Lb1ELb0EPlSB_ZN2at6native12_GLOBAL__N_124unique_dim_cuda_templateItEESt5tupleIJNSC_6TensorESH_SH_EERKSH_lbbbEUlllE1_EE10hipError_tPvRmT2_T3_mT4_P12ihipStream_tbEUlmE_lEESB_NS0_8identityIvEEEESM_SP_SQ_mSR_ST_bEUlT_E_NS1_11comp_targetILNS1_3genE10ELNS1_11target_archE1200ELNS1_3gpuE4ELNS1_3repE0EEENS1_30default_config_static_selectorELNS0_4arch9wavefront6targetE1EEEvT1_: ; @_ZN7rocprim17ROCPRIM_400000_NS6detail17trampoline_kernelINS0_14default_configENS1_25transform_config_selectorIlLb0EEEZNS1_14transform_implILb0ES3_S5_NS0_18transform_iteratorINS0_17counting_iteratorImlEEZNS1_24adjacent_difference_implIS3_Lb1ELb0EPlSB_ZN2at6native12_GLOBAL__N_124unique_dim_cuda_templateItEESt5tupleIJNSC_6TensorESH_SH_EERKSH_lbbbEUlllE1_EE10hipError_tPvRmT2_T3_mT4_P12ihipStream_tbEUlmE_lEESB_NS0_8identityIvEEEESM_SP_SQ_mSR_ST_bEUlT_E_NS1_11comp_targetILNS1_3genE10ELNS1_11target_archE1200ELNS1_3gpuE4ELNS1_3repE0EEENS1_30default_config_static_selectorELNS0_4arch9wavefront6targetE1EEEvT1_
; %bb.0:
	.section	.rodata,"a",@progbits
	.p2align	6, 0x0
	.amdhsa_kernel _ZN7rocprim17ROCPRIM_400000_NS6detail17trampoline_kernelINS0_14default_configENS1_25transform_config_selectorIlLb0EEEZNS1_14transform_implILb0ES3_S5_NS0_18transform_iteratorINS0_17counting_iteratorImlEEZNS1_24adjacent_difference_implIS3_Lb1ELb0EPlSB_ZN2at6native12_GLOBAL__N_124unique_dim_cuda_templateItEESt5tupleIJNSC_6TensorESH_SH_EERKSH_lbbbEUlllE1_EE10hipError_tPvRmT2_T3_mT4_P12ihipStream_tbEUlmE_lEESB_NS0_8identityIvEEEESM_SP_SQ_mSR_ST_bEUlT_E_NS1_11comp_targetILNS1_3genE10ELNS1_11target_archE1200ELNS1_3gpuE4ELNS1_3repE0EEENS1_30default_config_static_selectorELNS0_4arch9wavefront6targetE1EEEvT1_
		.amdhsa_group_segment_fixed_size 0
		.amdhsa_private_segment_fixed_size 0
		.amdhsa_kernarg_size 56
		.amdhsa_user_sgpr_count 6
		.amdhsa_user_sgpr_private_segment_buffer 1
		.amdhsa_user_sgpr_dispatch_ptr 0
		.amdhsa_user_sgpr_queue_ptr 0
		.amdhsa_user_sgpr_kernarg_segment_ptr 1
		.amdhsa_user_sgpr_dispatch_id 0
		.amdhsa_user_sgpr_flat_scratch_init 0
		.amdhsa_user_sgpr_kernarg_preload_length 0
		.amdhsa_user_sgpr_kernarg_preload_offset 0
		.amdhsa_user_sgpr_private_segment_size 0
		.amdhsa_uses_dynamic_stack 0
		.amdhsa_system_sgpr_private_segment_wavefront_offset 0
		.amdhsa_system_sgpr_workgroup_id_x 1
		.amdhsa_system_sgpr_workgroup_id_y 0
		.amdhsa_system_sgpr_workgroup_id_z 0
		.amdhsa_system_sgpr_workgroup_info 0
		.amdhsa_system_vgpr_workitem_id 0
		.amdhsa_next_free_vgpr 1
		.amdhsa_next_free_sgpr 0
		.amdhsa_accum_offset 4
		.amdhsa_reserve_vcc 0
		.amdhsa_reserve_flat_scratch 0
		.amdhsa_float_round_mode_32 0
		.amdhsa_float_round_mode_16_64 0
		.amdhsa_float_denorm_mode_32 3
		.amdhsa_float_denorm_mode_16_64 3
		.amdhsa_dx10_clamp 1
		.amdhsa_ieee_mode 1
		.amdhsa_fp16_overflow 0
		.amdhsa_tg_split 0
		.amdhsa_exception_fp_ieee_invalid_op 0
		.amdhsa_exception_fp_denorm_src 0
		.amdhsa_exception_fp_ieee_div_zero 0
		.amdhsa_exception_fp_ieee_overflow 0
		.amdhsa_exception_fp_ieee_underflow 0
		.amdhsa_exception_fp_ieee_inexact 0
		.amdhsa_exception_int_div_zero 0
	.end_amdhsa_kernel
	.section	.text._ZN7rocprim17ROCPRIM_400000_NS6detail17trampoline_kernelINS0_14default_configENS1_25transform_config_selectorIlLb0EEEZNS1_14transform_implILb0ES3_S5_NS0_18transform_iteratorINS0_17counting_iteratorImlEEZNS1_24adjacent_difference_implIS3_Lb1ELb0EPlSB_ZN2at6native12_GLOBAL__N_124unique_dim_cuda_templateItEESt5tupleIJNSC_6TensorESH_SH_EERKSH_lbbbEUlllE1_EE10hipError_tPvRmT2_T3_mT4_P12ihipStream_tbEUlmE_lEESB_NS0_8identityIvEEEESM_SP_SQ_mSR_ST_bEUlT_E_NS1_11comp_targetILNS1_3genE10ELNS1_11target_archE1200ELNS1_3gpuE4ELNS1_3repE0EEENS1_30default_config_static_selectorELNS0_4arch9wavefront6targetE1EEEvT1_,"axG",@progbits,_ZN7rocprim17ROCPRIM_400000_NS6detail17trampoline_kernelINS0_14default_configENS1_25transform_config_selectorIlLb0EEEZNS1_14transform_implILb0ES3_S5_NS0_18transform_iteratorINS0_17counting_iteratorImlEEZNS1_24adjacent_difference_implIS3_Lb1ELb0EPlSB_ZN2at6native12_GLOBAL__N_124unique_dim_cuda_templateItEESt5tupleIJNSC_6TensorESH_SH_EERKSH_lbbbEUlllE1_EE10hipError_tPvRmT2_T3_mT4_P12ihipStream_tbEUlmE_lEESB_NS0_8identityIvEEEESM_SP_SQ_mSR_ST_bEUlT_E_NS1_11comp_targetILNS1_3genE10ELNS1_11target_archE1200ELNS1_3gpuE4ELNS1_3repE0EEENS1_30default_config_static_selectorELNS0_4arch9wavefront6targetE1EEEvT1_,comdat
.Lfunc_end1406:
	.size	_ZN7rocprim17ROCPRIM_400000_NS6detail17trampoline_kernelINS0_14default_configENS1_25transform_config_selectorIlLb0EEEZNS1_14transform_implILb0ES3_S5_NS0_18transform_iteratorINS0_17counting_iteratorImlEEZNS1_24adjacent_difference_implIS3_Lb1ELb0EPlSB_ZN2at6native12_GLOBAL__N_124unique_dim_cuda_templateItEESt5tupleIJNSC_6TensorESH_SH_EERKSH_lbbbEUlllE1_EE10hipError_tPvRmT2_T3_mT4_P12ihipStream_tbEUlmE_lEESB_NS0_8identityIvEEEESM_SP_SQ_mSR_ST_bEUlT_E_NS1_11comp_targetILNS1_3genE10ELNS1_11target_archE1200ELNS1_3gpuE4ELNS1_3repE0EEENS1_30default_config_static_selectorELNS0_4arch9wavefront6targetE1EEEvT1_, .Lfunc_end1406-_ZN7rocprim17ROCPRIM_400000_NS6detail17trampoline_kernelINS0_14default_configENS1_25transform_config_selectorIlLb0EEEZNS1_14transform_implILb0ES3_S5_NS0_18transform_iteratorINS0_17counting_iteratorImlEEZNS1_24adjacent_difference_implIS3_Lb1ELb0EPlSB_ZN2at6native12_GLOBAL__N_124unique_dim_cuda_templateItEESt5tupleIJNSC_6TensorESH_SH_EERKSH_lbbbEUlllE1_EE10hipError_tPvRmT2_T3_mT4_P12ihipStream_tbEUlmE_lEESB_NS0_8identityIvEEEESM_SP_SQ_mSR_ST_bEUlT_E_NS1_11comp_targetILNS1_3genE10ELNS1_11target_archE1200ELNS1_3gpuE4ELNS1_3repE0EEENS1_30default_config_static_selectorELNS0_4arch9wavefront6targetE1EEEvT1_
                                        ; -- End function
	.section	.AMDGPU.csdata,"",@progbits
; Kernel info:
; codeLenInByte = 0
; NumSgprs: 4
; NumVgprs: 0
; NumAgprs: 0
; TotalNumVgprs: 0
; ScratchSize: 0
; MemoryBound: 0
; FloatMode: 240
; IeeeMode: 1
; LDSByteSize: 0 bytes/workgroup (compile time only)
; SGPRBlocks: 0
; VGPRBlocks: 0
; NumSGPRsForWavesPerEU: 4
; NumVGPRsForWavesPerEU: 1
; AccumOffset: 4
; Occupancy: 8
; WaveLimiterHint : 0
; COMPUTE_PGM_RSRC2:SCRATCH_EN: 0
; COMPUTE_PGM_RSRC2:USER_SGPR: 6
; COMPUTE_PGM_RSRC2:TRAP_HANDLER: 0
; COMPUTE_PGM_RSRC2:TGID_X_EN: 1
; COMPUTE_PGM_RSRC2:TGID_Y_EN: 0
; COMPUTE_PGM_RSRC2:TGID_Z_EN: 0
; COMPUTE_PGM_RSRC2:TIDIG_COMP_CNT: 0
; COMPUTE_PGM_RSRC3_GFX90A:ACCUM_OFFSET: 0
; COMPUTE_PGM_RSRC3_GFX90A:TG_SPLIT: 0
	.section	.text._ZN7rocprim17ROCPRIM_400000_NS6detail17trampoline_kernelINS0_14default_configENS1_25transform_config_selectorIlLb0EEEZNS1_14transform_implILb0ES3_S5_NS0_18transform_iteratorINS0_17counting_iteratorImlEEZNS1_24adjacent_difference_implIS3_Lb1ELb0EPlSB_ZN2at6native12_GLOBAL__N_124unique_dim_cuda_templateItEESt5tupleIJNSC_6TensorESH_SH_EERKSH_lbbbEUlllE1_EE10hipError_tPvRmT2_T3_mT4_P12ihipStream_tbEUlmE_lEESB_NS0_8identityIvEEEESM_SP_SQ_mSR_ST_bEUlT_E_NS1_11comp_targetILNS1_3genE9ELNS1_11target_archE1100ELNS1_3gpuE3ELNS1_3repE0EEENS1_30default_config_static_selectorELNS0_4arch9wavefront6targetE1EEEvT1_,"axG",@progbits,_ZN7rocprim17ROCPRIM_400000_NS6detail17trampoline_kernelINS0_14default_configENS1_25transform_config_selectorIlLb0EEEZNS1_14transform_implILb0ES3_S5_NS0_18transform_iteratorINS0_17counting_iteratorImlEEZNS1_24adjacent_difference_implIS3_Lb1ELb0EPlSB_ZN2at6native12_GLOBAL__N_124unique_dim_cuda_templateItEESt5tupleIJNSC_6TensorESH_SH_EERKSH_lbbbEUlllE1_EE10hipError_tPvRmT2_T3_mT4_P12ihipStream_tbEUlmE_lEESB_NS0_8identityIvEEEESM_SP_SQ_mSR_ST_bEUlT_E_NS1_11comp_targetILNS1_3genE9ELNS1_11target_archE1100ELNS1_3gpuE3ELNS1_3repE0EEENS1_30default_config_static_selectorELNS0_4arch9wavefront6targetE1EEEvT1_,comdat
	.globl	_ZN7rocprim17ROCPRIM_400000_NS6detail17trampoline_kernelINS0_14default_configENS1_25transform_config_selectorIlLb0EEEZNS1_14transform_implILb0ES3_S5_NS0_18transform_iteratorINS0_17counting_iteratorImlEEZNS1_24adjacent_difference_implIS3_Lb1ELb0EPlSB_ZN2at6native12_GLOBAL__N_124unique_dim_cuda_templateItEESt5tupleIJNSC_6TensorESH_SH_EERKSH_lbbbEUlllE1_EE10hipError_tPvRmT2_T3_mT4_P12ihipStream_tbEUlmE_lEESB_NS0_8identityIvEEEESM_SP_SQ_mSR_ST_bEUlT_E_NS1_11comp_targetILNS1_3genE9ELNS1_11target_archE1100ELNS1_3gpuE3ELNS1_3repE0EEENS1_30default_config_static_selectorELNS0_4arch9wavefront6targetE1EEEvT1_ ; -- Begin function _ZN7rocprim17ROCPRIM_400000_NS6detail17trampoline_kernelINS0_14default_configENS1_25transform_config_selectorIlLb0EEEZNS1_14transform_implILb0ES3_S5_NS0_18transform_iteratorINS0_17counting_iteratorImlEEZNS1_24adjacent_difference_implIS3_Lb1ELb0EPlSB_ZN2at6native12_GLOBAL__N_124unique_dim_cuda_templateItEESt5tupleIJNSC_6TensorESH_SH_EERKSH_lbbbEUlllE1_EE10hipError_tPvRmT2_T3_mT4_P12ihipStream_tbEUlmE_lEESB_NS0_8identityIvEEEESM_SP_SQ_mSR_ST_bEUlT_E_NS1_11comp_targetILNS1_3genE9ELNS1_11target_archE1100ELNS1_3gpuE3ELNS1_3repE0EEENS1_30default_config_static_selectorELNS0_4arch9wavefront6targetE1EEEvT1_
	.p2align	8
	.type	_ZN7rocprim17ROCPRIM_400000_NS6detail17trampoline_kernelINS0_14default_configENS1_25transform_config_selectorIlLb0EEEZNS1_14transform_implILb0ES3_S5_NS0_18transform_iteratorINS0_17counting_iteratorImlEEZNS1_24adjacent_difference_implIS3_Lb1ELb0EPlSB_ZN2at6native12_GLOBAL__N_124unique_dim_cuda_templateItEESt5tupleIJNSC_6TensorESH_SH_EERKSH_lbbbEUlllE1_EE10hipError_tPvRmT2_T3_mT4_P12ihipStream_tbEUlmE_lEESB_NS0_8identityIvEEEESM_SP_SQ_mSR_ST_bEUlT_E_NS1_11comp_targetILNS1_3genE9ELNS1_11target_archE1100ELNS1_3gpuE3ELNS1_3repE0EEENS1_30default_config_static_selectorELNS0_4arch9wavefront6targetE1EEEvT1_,@function
_ZN7rocprim17ROCPRIM_400000_NS6detail17trampoline_kernelINS0_14default_configENS1_25transform_config_selectorIlLb0EEEZNS1_14transform_implILb0ES3_S5_NS0_18transform_iteratorINS0_17counting_iteratorImlEEZNS1_24adjacent_difference_implIS3_Lb1ELb0EPlSB_ZN2at6native12_GLOBAL__N_124unique_dim_cuda_templateItEESt5tupleIJNSC_6TensorESH_SH_EERKSH_lbbbEUlllE1_EE10hipError_tPvRmT2_T3_mT4_P12ihipStream_tbEUlmE_lEESB_NS0_8identityIvEEEESM_SP_SQ_mSR_ST_bEUlT_E_NS1_11comp_targetILNS1_3genE9ELNS1_11target_archE1100ELNS1_3gpuE3ELNS1_3repE0EEENS1_30default_config_static_selectorELNS0_4arch9wavefront6targetE1EEEvT1_: ; @_ZN7rocprim17ROCPRIM_400000_NS6detail17trampoline_kernelINS0_14default_configENS1_25transform_config_selectorIlLb0EEEZNS1_14transform_implILb0ES3_S5_NS0_18transform_iteratorINS0_17counting_iteratorImlEEZNS1_24adjacent_difference_implIS3_Lb1ELb0EPlSB_ZN2at6native12_GLOBAL__N_124unique_dim_cuda_templateItEESt5tupleIJNSC_6TensorESH_SH_EERKSH_lbbbEUlllE1_EE10hipError_tPvRmT2_T3_mT4_P12ihipStream_tbEUlmE_lEESB_NS0_8identityIvEEEESM_SP_SQ_mSR_ST_bEUlT_E_NS1_11comp_targetILNS1_3genE9ELNS1_11target_archE1100ELNS1_3gpuE3ELNS1_3repE0EEENS1_30default_config_static_selectorELNS0_4arch9wavefront6targetE1EEEvT1_
; %bb.0:
	.section	.rodata,"a",@progbits
	.p2align	6, 0x0
	.amdhsa_kernel _ZN7rocprim17ROCPRIM_400000_NS6detail17trampoline_kernelINS0_14default_configENS1_25transform_config_selectorIlLb0EEEZNS1_14transform_implILb0ES3_S5_NS0_18transform_iteratorINS0_17counting_iteratorImlEEZNS1_24adjacent_difference_implIS3_Lb1ELb0EPlSB_ZN2at6native12_GLOBAL__N_124unique_dim_cuda_templateItEESt5tupleIJNSC_6TensorESH_SH_EERKSH_lbbbEUlllE1_EE10hipError_tPvRmT2_T3_mT4_P12ihipStream_tbEUlmE_lEESB_NS0_8identityIvEEEESM_SP_SQ_mSR_ST_bEUlT_E_NS1_11comp_targetILNS1_3genE9ELNS1_11target_archE1100ELNS1_3gpuE3ELNS1_3repE0EEENS1_30default_config_static_selectorELNS0_4arch9wavefront6targetE1EEEvT1_
		.amdhsa_group_segment_fixed_size 0
		.amdhsa_private_segment_fixed_size 0
		.amdhsa_kernarg_size 56
		.amdhsa_user_sgpr_count 6
		.amdhsa_user_sgpr_private_segment_buffer 1
		.amdhsa_user_sgpr_dispatch_ptr 0
		.amdhsa_user_sgpr_queue_ptr 0
		.amdhsa_user_sgpr_kernarg_segment_ptr 1
		.amdhsa_user_sgpr_dispatch_id 0
		.amdhsa_user_sgpr_flat_scratch_init 0
		.amdhsa_user_sgpr_kernarg_preload_length 0
		.amdhsa_user_sgpr_kernarg_preload_offset 0
		.amdhsa_user_sgpr_private_segment_size 0
		.amdhsa_uses_dynamic_stack 0
		.amdhsa_system_sgpr_private_segment_wavefront_offset 0
		.amdhsa_system_sgpr_workgroup_id_x 1
		.amdhsa_system_sgpr_workgroup_id_y 0
		.amdhsa_system_sgpr_workgroup_id_z 0
		.amdhsa_system_sgpr_workgroup_info 0
		.amdhsa_system_vgpr_workitem_id 0
		.amdhsa_next_free_vgpr 1
		.amdhsa_next_free_sgpr 0
		.amdhsa_accum_offset 4
		.amdhsa_reserve_vcc 0
		.amdhsa_reserve_flat_scratch 0
		.amdhsa_float_round_mode_32 0
		.amdhsa_float_round_mode_16_64 0
		.amdhsa_float_denorm_mode_32 3
		.amdhsa_float_denorm_mode_16_64 3
		.amdhsa_dx10_clamp 1
		.amdhsa_ieee_mode 1
		.amdhsa_fp16_overflow 0
		.amdhsa_tg_split 0
		.amdhsa_exception_fp_ieee_invalid_op 0
		.amdhsa_exception_fp_denorm_src 0
		.amdhsa_exception_fp_ieee_div_zero 0
		.amdhsa_exception_fp_ieee_overflow 0
		.amdhsa_exception_fp_ieee_underflow 0
		.amdhsa_exception_fp_ieee_inexact 0
		.amdhsa_exception_int_div_zero 0
	.end_amdhsa_kernel
	.section	.text._ZN7rocprim17ROCPRIM_400000_NS6detail17trampoline_kernelINS0_14default_configENS1_25transform_config_selectorIlLb0EEEZNS1_14transform_implILb0ES3_S5_NS0_18transform_iteratorINS0_17counting_iteratorImlEEZNS1_24adjacent_difference_implIS3_Lb1ELb0EPlSB_ZN2at6native12_GLOBAL__N_124unique_dim_cuda_templateItEESt5tupleIJNSC_6TensorESH_SH_EERKSH_lbbbEUlllE1_EE10hipError_tPvRmT2_T3_mT4_P12ihipStream_tbEUlmE_lEESB_NS0_8identityIvEEEESM_SP_SQ_mSR_ST_bEUlT_E_NS1_11comp_targetILNS1_3genE9ELNS1_11target_archE1100ELNS1_3gpuE3ELNS1_3repE0EEENS1_30default_config_static_selectorELNS0_4arch9wavefront6targetE1EEEvT1_,"axG",@progbits,_ZN7rocprim17ROCPRIM_400000_NS6detail17trampoline_kernelINS0_14default_configENS1_25transform_config_selectorIlLb0EEEZNS1_14transform_implILb0ES3_S5_NS0_18transform_iteratorINS0_17counting_iteratorImlEEZNS1_24adjacent_difference_implIS3_Lb1ELb0EPlSB_ZN2at6native12_GLOBAL__N_124unique_dim_cuda_templateItEESt5tupleIJNSC_6TensorESH_SH_EERKSH_lbbbEUlllE1_EE10hipError_tPvRmT2_T3_mT4_P12ihipStream_tbEUlmE_lEESB_NS0_8identityIvEEEESM_SP_SQ_mSR_ST_bEUlT_E_NS1_11comp_targetILNS1_3genE9ELNS1_11target_archE1100ELNS1_3gpuE3ELNS1_3repE0EEENS1_30default_config_static_selectorELNS0_4arch9wavefront6targetE1EEEvT1_,comdat
.Lfunc_end1407:
	.size	_ZN7rocprim17ROCPRIM_400000_NS6detail17trampoline_kernelINS0_14default_configENS1_25transform_config_selectorIlLb0EEEZNS1_14transform_implILb0ES3_S5_NS0_18transform_iteratorINS0_17counting_iteratorImlEEZNS1_24adjacent_difference_implIS3_Lb1ELb0EPlSB_ZN2at6native12_GLOBAL__N_124unique_dim_cuda_templateItEESt5tupleIJNSC_6TensorESH_SH_EERKSH_lbbbEUlllE1_EE10hipError_tPvRmT2_T3_mT4_P12ihipStream_tbEUlmE_lEESB_NS0_8identityIvEEEESM_SP_SQ_mSR_ST_bEUlT_E_NS1_11comp_targetILNS1_3genE9ELNS1_11target_archE1100ELNS1_3gpuE3ELNS1_3repE0EEENS1_30default_config_static_selectorELNS0_4arch9wavefront6targetE1EEEvT1_, .Lfunc_end1407-_ZN7rocprim17ROCPRIM_400000_NS6detail17trampoline_kernelINS0_14default_configENS1_25transform_config_selectorIlLb0EEEZNS1_14transform_implILb0ES3_S5_NS0_18transform_iteratorINS0_17counting_iteratorImlEEZNS1_24adjacent_difference_implIS3_Lb1ELb0EPlSB_ZN2at6native12_GLOBAL__N_124unique_dim_cuda_templateItEESt5tupleIJNSC_6TensorESH_SH_EERKSH_lbbbEUlllE1_EE10hipError_tPvRmT2_T3_mT4_P12ihipStream_tbEUlmE_lEESB_NS0_8identityIvEEEESM_SP_SQ_mSR_ST_bEUlT_E_NS1_11comp_targetILNS1_3genE9ELNS1_11target_archE1100ELNS1_3gpuE3ELNS1_3repE0EEENS1_30default_config_static_selectorELNS0_4arch9wavefront6targetE1EEEvT1_
                                        ; -- End function
	.section	.AMDGPU.csdata,"",@progbits
; Kernel info:
; codeLenInByte = 0
; NumSgprs: 4
; NumVgprs: 0
; NumAgprs: 0
; TotalNumVgprs: 0
; ScratchSize: 0
; MemoryBound: 0
; FloatMode: 240
; IeeeMode: 1
; LDSByteSize: 0 bytes/workgroup (compile time only)
; SGPRBlocks: 0
; VGPRBlocks: 0
; NumSGPRsForWavesPerEU: 4
; NumVGPRsForWavesPerEU: 1
; AccumOffset: 4
; Occupancy: 8
; WaveLimiterHint : 0
; COMPUTE_PGM_RSRC2:SCRATCH_EN: 0
; COMPUTE_PGM_RSRC2:USER_SGPR: 6
; COMPUTE_PGM_RSRC2:TRAP_HANDLER: 0
; COMPUTE_PGM_RSRC2:TGID_X_EN: 1
; COMPUTE_PGM_RSRC2:TGID_Y_EN: 0
; COMPUTE_PGM_RSRC2:TGID_Z_EN: 0
; COMPUTE_PGM_RSRC2:TIDIG_COMP_CNT: 0
; COMPUTE_PGM_RSRC3_GFX90A:ACCUM_OFFSET: 0
; COMPUTE_PGM_RSRC3_GFX90A:TG_SPLIT: 0
	.section	.text._ZN7rocprim17ROCPRIM_400000_NS6detail17trampoline_kernelINS0_14default_configENS1_25transform_config_selectorIlLb0EEEZNS1_14transform_implILb0ES3_S5_NS0_18transform_iteratorINS0_17counting_iteratorImlEEZNS1_24adjacent_difference_implIS3_Lb1ELb0EPlSB_ZN2at6native12_GLOBAL__N_124unique_dim_cuda_templateItEESt5tupleIJNSC_6TensorESH_SH_EERKSH_lbbbEUlllE1_EE10hipError_tPvRmT2_T3_mT4_P12ihipStream_tbEUlmE_lEESB_NS0_8identityIvEEEESM_SP_SQ_mSR_ST_bEUlT_E_NS1_11comp_targetILNS1_3genE8ELNS1_11target_archE1030ELNS1_3gpuE2ELNS1_3repE0EEENS1_30default_config_static_selectorELNS0_4arch9wavefront6targetE1EEEvT1_,"axG",@progbits,_ZN7rocprim17ROCPRIM_400000_NS6detail17trampoline_kernelINS0_14default_configENS1_25transform_config_selectorIlLb0EEEZNS1_14transform_implILb0ES3_S5_NS0_18transform_iteratorINS0_17counting_iteratorImlEEZNS1_24adjacent_difference_implIS3_Lb1ELb0EPlSB_ZN2at6native12_GLOBAL__N_124unique_dim_cuda_templateItEESt5tupleIJNSC_6TensorESH_SH_EERKSH_lbbbEUlllE1_EE10hipError_tPvRmT2_T3_mT4_P12ihipStream_tbEUlmE_lEESB_NS0_8identityIvEEEESM_SP_SQ_mSR_ST_bEUlT_E_NS1_11comp_targetILNS1_3genE8ELNS1_11target_archE1030ELNS1_3gpuE2ELNS1_3repE0EEENS1_30default_config_static_selectorELNS0_4arch9wavefront6targetE1EEEvT1_,comdat
	.globl	_ZN7rocprim17ROCPRIM_400000_NS6detail17trampoline_kernelINS0_14default_configENS1_25transform_config_selectorIlLb0EEEZNS1_14transform_implILb0ES3_S5_NS0_18transform_iteratorINS0_17counting_iteratorImlEEZNS1_24adjacent_difference_implIS3_Lb1ELb0EPlSB_ZN2at6native12_GLOBAL__N_124unique_dim_cuda_templateItEESt5tupleIJNSC_6TensorESH_SH_EERKSH_lbbbEUlllE1_EE10hipError_tPvRmT2_T3_mT4_P12ihipStream_tbEUlmE_lEESB_NS0_8identityIvEEEESM_SP_SQ_mSR_ST_bEUlT_E_NS1_11comp_targetILNS1_3genE8ELNS1_11target_archE1030ELNS1_3gpuE2ELNS1_3repE0EEENS1_30default_config_static_selectorELNS0_4arch9wavefront6targetE1EEEvT1_ ; -- Begin function _ZN7rocprim17ROCPRIM_400000_NS6detail17trampoline_kernelINS0_14default_configENS1_25transform_config_selectorIlLb0EEEZNS1_14transform_implILb0ES3_S5_NS0_18transform_iteratorINS0_17counting_iteratorImlEEZNS1_24adjacent_difference_implIS3_Lb1ELb0EPlSB_ZN2at6native12_GLOBAL__N_124unique_dim_cuda_templateItEESt5tupleIJNSC_6TensorESH_SH_EERKSH_lbbbEUlllE1_EE10hipError_tPvRmT2_T3_mT4_P12ihipStream_tbEUlmE_lEESB_NS0_8identityIvEEEESM_SP_SQ_mSR_ST_bEUlT_E_NS1_11comp_targetILNS1_3genE8ELNS1_11target_archE1030ELNS1_3gpuE2ELNS1_3repE0EEENS1_30default_config_static_selectorELNS0_4arch9wavefront6targetE1EEEvT1_
	.p2align	8
	.type	_ZN7rocprim17ROCPRIM_400000_NS6detail17trampoline_kernelINS0_14default_configENS1_25transform_config_selectorIlLb0EEEZNS1_14transform_implILb0ES3_S5_NS0_18transform_iteratorINS0_17counting_iteratorImlEEZNS1_24adjacent_difference_implIS3_Lb1ELb0EPlSB_ZN2at6native12_GLOBAL__N_124unique_dim_cuda_templateItEESt5tupleIJNSC_6TensorESH_SH_EERKSH_lbbbEUlllE1_EE10hipError_tPvRmT2_T3_mT4_P12ihipStream_tbEUlmE_lEESB_NS0_8identityIvEEEESM_SP_SQ_mSR_ST_bEUlT_E_NS1_11comp_targetILNS1_3genE8ELNS1_11target_archE1030ELNS1_3gpuE2ELNS1_3repE0EEENS1_30default_config_static_selectorELNS0_4arch9wavefront6targetE1EEEvT1_,@function
_ZN7rocprim17ROCPRIM_400000_NS6detail17trampoline_kernelINS0_14default_configENS1_25transform_config_selectorIlLb0EEEZNS1_14transform_implILb0ES3_S5_NS0_18transform_iteratorINS0_17counting_iteratorImlEEZNS1_24adjacent_difference_implIS3_Lb1ELb0EPlSB_ZN2at6native12_GLOBAL__N_124unique_dim_cuda_templateItEESt5tupleIJNSC_6TensorESH_SH_EERKSH_lbbbEUlllE1_EE10hipError_tPvRmT2_T3_mT4_P12ihipStream_tbEUlmE_lEESB_NS0_8identityIvEEEESM_SP_SQ_mSR_ST_bEUlT_E_NS1_11comp_targetILNS1_3genE8ELNS1_11target_archE1030ELNS1_3gpuE2ELNS1_3repE0EEENS1_30default_config_static_selectorELNS0_4arch9wavefront6targetE1EEEvT1_: ; @_ZN7rocprim17ROCPRIM_400000_NS6detail17trampoline_kernelINS0_14default_configENS1_25transform_config_selectorIlLb0EEEZNS1_14transform_implILb0ES3_S5_NS0_18transform_iteratorINS0_17counting_iteratorImlEEZNS1_24adjacent_difference_implIS3_Lb1ELb0EPlSB_ZN2at6native12_GLOBAL__N_124unique_dim_cuda_templateItEESt5tupleIJNSC_6TensorESH_SH_EERKSH_lbbbEUlllE1_EE10hipError_tPvRmT2_T3_mT4_P12ihipStream_tbEUlmE_lEESB_NS0_8identityIvEEEESM_SP_SQ_mSR_ST_bEUlT_E_NS1_11comp_targetILNS1_3genE8ELNS1_11target_archE1030ELNS1_3gpuE2ELNS1_3repE0EEENS1_30default_config_static_selectorELNS0_4arch9wavefront6targetE1EEEvT1_
; %bb.0:
	.section	.rodata,"a",@progbits
	.p2align	6, 0x0
	.amdhsa_kernel _ZN7rocprim17ROCPRIM_400000_NS6detail17trampoline_kernelINS0_14default_configENS1_25transform_config_selectorIlLb0EEEZNS1_14transform_implILb0ES3_S5_NS0_18transform_iteratorINS0_17counting_iteratorImlEEZNS1_24adjacent_difference_implIS3_Lb1ELb0EPlSB_ZN2at6native12_GLOBAL__N_124unique_dim_cuda_templateItEESt5tupleIJNSC_6TensorESH_SH_EERKSH_lbbbEUlllE1_EE10hipError_tPvRmT2_T3_mT4_P12ihipStream_tbEUlmE_lEESB_NS0_8identityIvEEEESM_SP_SQ_mSR_ST_bEUlT_E_NS1_11comp_targetILNS1_3genE8ELNS1_11target_archE1030ELNS1_3gpuE2ELNS1_3repE0EEENS1_30default_config_static_selectorELNS0_4arch9wavefront6targetE1EEEvT1_
		.amdhsa_group_segment_fixed_size 0
		.amdhsa_private_segment_fixed_size 0
		.amdhsa_kernarg_size 56
		.amdhsa_user_sgpr_count 6
		.amdhsa_user_sgpr_private_segment_buffer 1
		.amdhsa_user_sgpr_dispatch_ptr 0
		.amdhsa_user_sgpr_queue_ptr 0
		.amdhsa_user_sgpr_kernarg_segment_ptr 1
		.amdhsa_user_sgpr_dispatch_id 0
		.amdhsa_user_sgpr_flat_scratch_init 0
		.amdhsa_user_sgpr_kernarg_preload_length 0
		.amdhsa_user_sgpr_kernarg_preload_offset 0
		.amdhsa_user_sgpr_private_segment_size 0
		.amdhsa_uses_dynamic_stack 0
		.amdhsa_system_sgpr_private_segment_wavefront_offset 0
		.amdhsa_system_sgpr_workgroup_id_x 1
		.amdhsa_system_sgpr_workgroup_id_y 0
		.amdhsa_system_sgpr_workgroup_id_z 0
		.amdhsa_system_sgpr_workgroup_info 0
		.amdhsa_system_vgpr_workitem_id 0
		.amdhsa_next_free_vgpr 1
		.amdhsa_next_free_sgpr 0
		.amdhsa_accum_offset 4
		.amdhsa_reserve_vcc 0
		.amdhsa_reserve_flat_scratch 0
		.amdhsa_float_round_mode_32 0
		.amdhsa_float_round_mode_16_64 0
		.amdhsa_float_denorm_mode_32 3
		.amdhsa_float_denorm_mode_16_64 3
		.amdhsa_dx10_clamp 1
		.amdhsa_ieee_mode 1
		.amdhsa_fp16_overflow 0
		.amdhsa_tg_split 0
		.amdhsa_exception_fp_ieee_invalid_op 0
		.amdhsa_exception_fp_denorm_src 0
		.amdhsa_exception_fp_ieee_div_zero 0
		.amdhsa_exception_fp_ieee_overflow 0
		.amdhsa_exception_fp_ieee_underflow 0
		.amdhsa_exception_fp_ieee_inexact 0
		.amdhsa_exception_int_div_zero 0
	.end_amdhsa_kernel
	.section	.text._ZN7rocprim17ROCPRIM_400000_NS6detail17trampoline_kernelINS0_14default_configENS1_25transform_config_selectorIlLb0EEEZNS1_14transform_implILb0ES3_S5_NS0_18transform_iteratorINS0_17counting_iteratorImlEEZNS1_24adjacent_difference_implIS3_Lb1ELb0EPlSB_ZN2at6native12_GLOBAL__N_124unique_dim_cuda_templateItEESt5tupleIJNSC_6TensorESH_SH_EERKSH_lbbbEUlllE1_EE10hipError_tPvRmT2_T3_mT4_P12ihipStream_tbEUlmE_lEESB_NS0_8identityIvEEEESM_SP_SQ_mSR_ST_bEUlT_E_NS1_11comp_targetILNS1_3genE8ELNS1_11target_archE1030ELNS1_3gpuE2ELNS1_3repE0EEENS1_30default_config_static_selectorELNS0_4arch9wavefront6targetE1EEEvT1_,"axG",@progbits,_ZN7rocprim17ROCPRIM_400000_NS6detail17trampoline_kernelINS0_14default_configENS1_25transform_config_selectorIlLb0EEEZNS1_14transform_implILb0ES3_S5_NS0_18transform_iteratorINS0_17counting_iteratorImlEEZNS1_24adjacent_difference_implIS3_Lb1ELb0EPlSB_ZN2at6native12_GLOBAL__N_124unique_dim_cuda_templateItEESt5tupleIJNSC_6TensorESH_SH_EERKSH_lbbbEUlllE1_EE10hipError_tPvRmT2_T3_mT4_P12ihipStream_tbEUlmE_lEESB_NS0_8identityIvEEEESM_SP_SQ_mSR_ST_bEUlT_E_NS1_11comp_targetILNS1_3genE8ELNS1_11target_archE1030ELNS1_3gpuE2ELNS1_3repE0EEENS1_30default_config_static_selectorELNS0_4arch9wavefront6targetE1EEEvT1_,comdat
.Lfunc_end1408:
	.size	_ZN7rocprim17ROCPRIM_400000_NS6detail17trampoline_kernelINS0_14default_configENS1_25transform_config_selectorIlLb0EEEZNS1_14transform_implILb0ES3_S5_NS0_18transform_iteratorINS0_17counting_iteratorImlEEZNS1_24adjacent_difference_implIS3_Lb1ELb0EPlSB_ZN2at6native12_GLOBAL__N_124unique_dim_cuda_templateItEESt5tupleIJNSC_6TensorESH_SH_EERKSH_lbbbEUlllE1_EE10hipError_tPvRmT2_T3_mT4_P12ihipStream_tbEUlmE_lEESB_NS0_8identityIvEEEESM_SP_SQ_mSR_ST_bEUlT_E_NS1_11comp_targetILNS1_3genE8ELNS1_11target_archE1030ELNS1_3gpuE2ELNS1_3repE0EEENS1_30default_config_static_selectorELNS0_4arch9wavefront6targetE1EEEvT1_, .Lfunc_end1408-_ZN7rocprim17ROCPRIM_400000_NS6detail17trampoline_kernelINS0_14default_configENS1_25transform_config_selectorIlLb0EEEZNS1_14transform_implILb0ES3_S5_NS0_18transform_iteratorINS0_17counting_iteratorImlEEZNS1_24adjacent_difference_implIS3_Lb1ELb0EPlSB_ZN2at6native12_GLOBAL__N_124unique_dim_cuda_templateItEESt5tupleIJNSC_6TensorESH_SH_EERKSH_lbbbEUlllE1_EE10hipError_tPvRmT2_T3_mT4_P12ihipStream_tbEUlmE_lEESB_NS0_8identityIvEEEESM_SP_SQ_mSR_ST_bEUlT_E_NS1_11comp_targetILNS1_3genE8ELNS1_11target_archE1030ELNS1_3gpuE2ELNS1_3repE0EEENS1_30default_config_static_selectorELNS0_4arch9wavefront6targetE1EEEvT1_
                                        ; -- End function
	.section	.AMDGPU.csdata,"",@progbits
; Kernel info:
; codeLenInByte = 0
; NumSgprs: 4
; NumVgprs: 0
; NumAgprs: 0
; TotalNumVgprs: 0
; ScratchSize: 0
; MemoryBound: 0
; FloatMode: 240
; IeeeMode: 1
; LDSByteSize: 0 bytes/workgroup (compile time only)
; SGPRBlocks: 0
; VGPRBlocks: 0
; NumSGPRsForWavesPerEU: 4
; NumVGPRsForWavesPerEU: 1
; AccumOffset: 4
; Occupancy: 8
; WaveLimiterHint : 0
; COMPUTE_PGM_RSRC2:SCRATCH_EN: 0
; COMPUTE_PGM_RSRC2:USER_SGPR: 6
; COMPUTE_PGM_RSRC2:TRAP_HANDLER: 0
; COMPUTE_PGM_RSRC2:TGID_X_EN: 1
; COMPUTE_PGM_RSRC2:TGID_Y_EN: 0
; COMPUTE_PGM_RSRC2:TGID_Z_EN: 0
; COMPUTE_PGM_RSRC2:TIDIG_COMP_CNT: 0
; COMPUTE_PGM_RSRC3_GFX90A:ACCUM_OFFSET: 0
; COMPUTE_PGM_RSRC3_GFX90A:TG_SPLIT: 0
	.section	.text._ZN7rocprim17ROCPRIM_400000_NS6detail17trampoline_kernelINS0_14default_configENS1_35adjacent_difference_config_selectorILb1ElEEZNS1_24adjacent_difference_implIS3_Lb1ELb0EPlS7_ZN2at6native12_GLOBAL__N_124unique_dim_cuda_templateItEESt5tupleIJNS8_6TensorESD_SD_EERKSD_lbbbEUlllE1_EE10hipError_tPvRmT2_T3_mT4_P12ihipStream_tbEUlT_E_NS1_11comp_targetILNS1_3genE0ELNS1_11target_archE4294967295ELNS1_3gpuE0ELNS1_3repE0EEENS1_30default_config_static_selectorELNS0_4arch9wavefront6targetE1EEEvT1_,"axG",@progbits,_ZN7rocprim17ROCPRIM_400000_NS6detail17trampoline_kernelINS0_14default_configENS1_35adjacent_difference_config_selectorILb1ElEEZNS1_24adjacent_difference_implIS3_Lb1ELb0EPlS7_ZN2at6native12_GLOBAL__N_124unique_dim_cuda_templateItEESt5tupleIJNS8_6TensorESD_SD_EERKSD_lbbbEUlllE1_EE10hipError_tPvRmT2_T3_mT4_P12ihipStream_tbEUlT_E_NS1_11comp_targetILNS1_3genE0ELNS1_11target_archE4294967295ELNS1_3gpuE0ELNS1_3repE0EEENS1_30default_config_static_selectorELNS0_4arch9wavefront6targetE1EEEvT1_,comdat
	.globl	_ZN7rocprim17ROCPRIM_400000_NS6detail17trampoline_kernelINS0_14default_configENS1_35adjacent_difference_config_selectorILb1ElEEZNS1_24adjacent_difference_implIS3_Lb1ELb0EPlS7_ZN2at6native12_GLOBAL__N_124unique_dim_cuda_templateItEESt5tupleIJNS8_6TensorESD_SD_EERKSD_lbbbEUlllE1_EE10hipError_tPvRmT2_T3_mT4_P12ihipStream_tbEUlT_E_NS1_11comp_targetILNS1_3genE0ELNS1_11target_archE4294967295ELNS1_3gpuE0ELNS1_3repE0EEENS1_30default_config_static_selectorELNS0_4arch9wavefront6targetE1EEEvT1_ ; -- Begin function _ZN7rocprim17ROCPRIM_400000_NS6detail17trampoline_kernelINS0_14default_configENS1_35adjacent_difference_config_selectorILb1ElEEZNS1_24adjacent_difference_implIS3_Lb1ELb0EPlS7_ZN2at6native12_GLOBAL__N_124unique_dim_cuda_templateItEESt5tupleIJNS8_6TensorESD_SD_EERKSD_lbbbEUlllE1_EE10hipError_tPvRmT2_T3_mT4_P12ihipStream_tbEUlT_E_NS1_11comp_targetILNS1_3genE0ELNS1_11target_archE4294967295ELNS1_3gpuE0ELNS1_3repE0EEENS1_30default_config_static_selectorELNS0_4arch9wavefront6targetE1EEEvT1_
	.p2align	8
	.type	_ZN7rocprim17ROCPRIM_400000_NS6detail17trampoline_kernelINS0_14default_configENS1_35adjacent_difference_config_selectorILb1ElEEZNS1_24adjacent_difference_implIS3_Lb1ELb0EPlS7_ZN2at6native12_GLOBAL__N_124unique_dim_cuda_templateItEESt5tupleIJNS8_6TensorESD_SD_EERKSD_lbbbEUlllE1_EE10hipError_tPvRmT2_T3_mT4_P12ihipStream_tbEUlT_E_NS1_11comp_targetILNS1_3genE0ELNS1_11target_archE4294967295ELNS1_3gpuE0ELNS1_3repE0EEENS1_30default_config_static_selectorELNS0_4arch9wavefront6targetE1EEEvT1_,@function
_ZN7rocprim17ROCPRIM_400000_NS6detail17trampoline_kernelINS0_14default_configENS1_35adjacent_difference_config_selectorILb1ElEEZNS1_24adjacent_difference_implIS3_Lb1ELb0EPlS7_ZN2at6native12_GLOBAL__N_124unique_dim_cuda_templateItEESt5tupleIJNS8_6TensorESD_SD_EERKSD_lbbbEUlllE1_EE10hipError_tPvRmT2_T3_mT4_P12ihipStream_tbEUlT_E_NS1_11comp_targetILNS1_3genE0ELNS1_11target_archE4294967295ELNS1_3gpuE0ELNS1_3repE0EEENS1_30default_config_static_selectorELNS0_4arch9wavefront6targetE1EEEvT1_: ; @_ZN7rocprim17ROCPRIM_400000_NS6detail17trampoline_kernelINS0_14default_configENS1_35adjacent_difference_config_selectorILb1ElEEZNS1_24adjacent_difference_implIS3_Lb1ELb0EPlS7_ZN2at6native12_GLOBAL__N_124unique_dim_cuda_templateItEESt5tupleIJNS8_6TensorESD_SD_EERKSD_lbbbEUlllE1_EE10hipError_tPvRmT2_T3_mT4_P12ihipStream_tbEUlT_E_NS1_11comp_targetILNS1_3genE0ELNS1_11target_archE4294967295ELNS1_3gpuE0ELNS1_3repE0EEENS1_30default_config_static_selectorELNS0_4arch9wavefront6targetE1EEEvT1_
; %bb.0:
	.section	.rodata,"a",@progbits
	.p2align	6, 0x0
	.amdhsa_kernel _ZN7rocprim17ROCPRIM_400000_NS6detail17trampoline_kernelINS0_14default_configENS1_35adjacent_difference_config_selectorILb1ElEEZNS1_24adjacent_difference_implIS3_Lb1ELb0EPlS7_ZN2at6native12_GLOBAL__N_124unique_dim_cuda_templateItEESt5tupleIJNS8_6TensorESD_SD_EERKSD_lbbbEUlllE1_EE10hipError_tPvRmT2_T3_mT4_P12ihipStream_tbEUlT_E_NS1_11comp_targetILNS1_3genE0ELNS1_11target_archE4294967295ELNS1_3gpuE0ELNS1_3repE0EEENS1_30default_config_static_selectorELNS0_4arch9wavefront6targetE1EEEvT1_
		.amdhsa_group_segment_fixed_size 0
		.amdhsa_private_segment_fixed_size 0
		.amdhsa_kernarg_size 64
		.amdhsa_user_sgpr_count 6
		.amdhsa_user_sgpr_private_segment_buffer 1
		.amdhsa_user_sgpr_dispatch_ptr 0
		.amdhsa_user_sgpr_queue_ptr 0
		.amdhsa_user_sgpr_kernarg_segment_ptr 1
		.amdhsa_user_sgpr_dispatch_id 0
		.amdhsa_user_sgpr_flat_scratch_init 0
		.amdhsa_user_sgpr_kernarg_preload_length 0
		.amdhsa_user_sgpr_kernarg_preload_offset 0
		.amdhsa_user_sgpr_private_segment_size 0
		.amdhsa_uses_dynamic_stack 0
		.amdhsa_system_sgpr_private_segment_wavefront_offset 0
		.amdhsa_system_sgpr_workgroup_id_x 1
		.amdhsa_system_sgpr_workgroup_id_y 0
		.amdhsa_system_sgpr_workgroup_id_z 0
		.amdhsa_system_sgpr_workgroup_info 0
		.amdhsa_system_vgpr_workitem_id 0
		.amdhsa_next_free_vgpr 1
		.amdhsa_next_free_sgpr 0
		.amdhsa_accum_offset 4
		.amdhsa_reserve_vcc 0
		.amdhsa_reserve_flat_scratch 0
		.amdhsa_float_round_mode_32 0
		.amdhsa_float_round_mode_16_64 0
		.amdhsa_float_denorm_mode_32 3
		.amdhsa_float_denorm_mode_16_64 3
		.amdhsa_dx10_clamp 1
		.amdhsa_ieee_mode 1
		.amdhsa_fp16_overflow 0
		.amdhsa_tg_split 0
		.amdhsa_exception_fp_ieee_invalid_op 0
		.amdhsa_exception_fp_denorm_src 0
		.amdhsa_exception_fp_ieee_div_zero 0
		.amdhsa_exception_fp_ieee_overflow 0
		.amdhsa_exception_fp_ieee_underflow 0
		.amdhsa_exception_fp_ieee_inexact 0
		.amdhsa_exception_int_div_zero 0
	.end_amdhsa_kernel
	.section	.text._ZN7rocprim17ROCPRIM_400000_NS6detail17trampoline_kernelINS0_14default_configENS1_35adjacent_difference_config_selectorILb1ElEEZNS1_24adjacent_difference_implIS3_Lb1ELb0EPlS7_ZN2at6native12_GLOBAL__N_124unique_dim_cuda_templateItEESt5tupleIJNS8_6TensorESD_SD_EERKSD_lbbbEUlllE1_EE10hipError_tPvRmT2_T3_mT4_P12ihipStream_tbEUlT_E_NS1_11comp_targetILNS1_3genE0ELNS1_11target_archE4294967295ELNS1_3gpuE0ELNS1_3repE0EEENS1_30default_config_static_selectorELNS0_4arch9wavefront6targetE1EEEvT1_,"axG",@progbits,_ZN7rocprim17ROCPRIM_400000_NS6detail17trampoline_kernelINS0_14default_configENS1_35adjacent_difference_config_selectorILb1ElEEZNS1_24adjacent_difference_implIS3_Lb1ELb0EPlS7_ZN2at6native12_GLOBAL__N_124unique_dim_cuda_templateItEESt5tupleIJNS8_6TensorESD_SD_EERKSD_lbbbEUlllE1_EE10hipError_tPvRmT2_T3_mT4_P12ihipStream_tbEUlT_E_NS1_11comp_targetILNS1_3genE0ELNS1_11target_archE4294967295ELNS1_3gpuE0ELNS1_3repE0EEENS1_30default_config_static_selectorELNS0_4arch9wavefront6targetE1EEEvT1_,comdat
.Lfunc_end1409:
	.size	_ZN7rocprim17ROCPRIM_400000_NS6detail17trampoline_kernelINS0_14default_configENS1_35adjacent_difference_config_selectorILb1ElEEZNS1_24adjacent_difference_implIS3_Lb1ELb0EPlS7_ZN2at6native12_GLOBAL__N_124unique_dim_cuda_templateItEESt5tupleIJNS8_6TensorESD_SD_EERKSD_lbbbEUlllE1_EE10hipError_tPvRmT2_T3_mT4_P12ihipStream_tbEUlT_E_NS1_11comp_targetILNS1_3genE0ELNS1_11target_archE4294967295ELNS1_3gpuE0ELNS1_3repE0EEENS1_30default_config_static_selectorELNS0_4arch9wavefront6targetE1EEEvT1_, .Lfunc_end1409-_ZN7rocprim17ROCPRIM_400000_NS6detail17trampoline_kernelINS0_14default_configENS1_35adjacent_difference_config_selectorILb1ElEEZNS1_24adjacent_difference_implIS3_Lb1ELb0EPlS7_ZN2at6native12_GLOBAL__N_124unique_dim_cuda_templateItEESt5tupleIJNS8_6TensorESD_SD_EERKSD_lbbbEUlllE1_EE10hipError_tPvRmT2_T3_mT4_P12ihipStream_tbEUlT_E_NS1_11comp_targetILNS1_3genE0ELNS1_11target_archE4294967295ELNS1_3gpuE0ELNS1_3repE0EEENS1_30default_config_static_selectorELNS0_4arch9wavefront6targetE1EEEvT1_
                                        ; -- End function
	.section	.AMDGPU.csdata,"",@progbits
; Kernel info:
; codeLenInByte = 0
; NumSgprs: 4
; NumVgprs: 0
; NumAgprs: 0
; TotalNumVgprs: 0
; ScratchSize: 0
; MemoryBound: 0
; FloatMode: 240
; IeeeMode: 1
; LDSByteSize: 0 bytes/workgroup (compile time only)
; SGPRBlocks: 0
; VGPRBlocks: 0
; NumSGPRsForWavesPerEU: 4
; NumVGPRsForWavesPerEU: 1
; AccumOffset: 4
; Occupancy: 8
; WaveLimiterHint : 0
; COMPUTE_PGM_RSRC2:SCRATCH_EN: 0
; COMPUTE_PGM_RSRC2:USER_SGPR: 6
; COMPUTE_PGM_RSRC2:TRAP_HANDLER: 0
; COMPUTE_PGM_RSRC2:TGID_X_EN: 1
; COMPUTE_PGM_RSRC2:TGID_Y_EN: 0
; COMPUTE_PGM_RSRC2:TGID_Z_EN: 0
; COMPUTE_PGM_RSRC2:TIDIG_COMP_CNT: 0
; COMPUTE_PGM_RSRC3_GFX90A:ACCUM_OFFSET: 0
; COMPUTE_PGM_RSRC3_GFX90A:TG_SPLIT: 0
	.section	.text._ZN7rocprim17ROCPRIM_400000_NS6detail17trampoline_kernelINS0_14default_configENS1_35adjacent_difference_config_selectorILb1ElEEZNS1_24adjacent_difference_implIS3_Lb1ELb0EPlS7_ZN2at6native12_GLOBAL__N_124unique_dim_cuda_templateItEESt5tupleIJNS8_6TensorESD_SD_EERKSD_lbbbEUlllE1_EE10hipError_tPvRmT2_T3_mT4_P12ihipStream_tbEUlT_E_NS1_11comp_targetILNS1_3genE10ELNS1_11target_archE1201ELNS1_3gpuE5ELNS1_3repE0EEENS1_30default_config_static_selectorELNS0_4arch9wavefront6targetE1EEEvT1_,"axG",@progbits,_ZN7rocprim17ROCPRIM_400000_NS6detail17trampoline_kernelINS0_14default_configENS1_35adjacent_difference_config_selectorILb1ElEEZNS1_24adjacent_difference_implIS3_Lb1ELb0EPlS7_ZN2at6native12_GLOBAL__N_124unique_dim_cuda_templateItEESt5tupleIJNS8_6TensorESD_SD_EERKSD_lbbbEUlllE1_EE10hipError_tPvRmT2_T3_mT4_P12ihipStream_tbEUlT_E_NS1_11comp_targetILNS1_3genE10ELNS1_11target_archE1201ELNS1_3gpuE5ELNS1_3repE0EEENS1_30default_config_static_selectorELNS0_4arch9wavefront6targetE1EEEvT1_,comdat
	.globl	_ZN7rocprim17ROCPRIM_400000_NS6detail17trampoline_kernelINS0_14default_configENS1_35adjacent_difference_config_selectorILb1ElEEZNS1_24adjacent_difference_implIS3_Lb1ELb0EPlS7_ZN2at6native12_GLOBAL__N_124unique_dim_cuda_templateItEESt5tupleIJNS8_6TensorESD_SD_EERKSD_lbbbEUlllE1_EE10hipError_tPvRmT2_T3_mT4_P12ihipStream_tbEUlT_E_NS1_11comp_targetILNS1_3genE10ELNS1_11target_archE1201ELNS1_3gpuE5ELNS1_3repE0EEENS1_30default_config_static_selectorELNS0_4arch9wavefront6targetE1EEEvT1_ ; -- Begin function _ZN7rocprim17ROCPRIM_400000_NS6detail17trampoline_kernelINS0_14default_configENS1_35adjacent_difference_config_selectorILb1ElEEZNS1_24adjacent_difference_implIS3_Lb1ELb0EPlS7_ZN2at6native12_GLOBAL__N_124unique_dim_cuda_templateItEESt5tupleIJNS8_6TensorESD_SD_EERKSD_lbbbEUlllE1_EE10hipError_tPvRmT2_T3_mT4_P12ihipStream_tbEUlT_E_NS1_11comp_targetILNS1_3genE10ELNS1_11target_archE1201ELNS1_3gpuE5ELNS1_3repE0EEENS1_30default_config_static_selectorELNS0_4arch9wavefront6targetE1EEEvT1_
	.p2align	8
	.type	_ZN7rocprim17ROCPRIM_400000_NS6detail17trampoline_kernelINS0_14default_configENS1_35adjacent_difference_config_selectorILb1ElEEZNS1_24adjacent_difference_implIS3_Lb1ELb0EPlS7_ZN2at6native12_GLOBAL__N_124unique_dim_cuda_templateItEESt5tupleIJNS8_6TensorESD_SD_EERKSD_lbbbEUlllE1_EE10hipError_tPvRmT2_T3_mT4_P12ihipStream_tbEUlT_E_NS1_11comp_targetILNS1_3genE10ELNS1_11target_archE1201ELNS1_3gpuE5ELNS1_3repE0EEENS1_30default_config_static_selectorELNS0_4arch9wavefront6targetE1EEEvT1_,@function
_ZN7rocprim17ROCPRIM_400000_NS6detail17trampoline_kernelINS0_14default_configENS1_35adjacent_difference_config_selectorILb1ElEEZNS1_24adjacent_difference_implIS3_Lb1ELb0EPlS7_ZN2at6native12_GLOBAL__N_124unique_dim_cuda_templateItEESt5tupleIJNS8_6TensorESD_SD_EERKSD_lbbbEUlllE1_EE10hipError_tPvRmT2_T3_mT4_P12ihipStream_tbEUlT_E_NS1_11comp_targetILNS1_3genE10ELNS1_11target_archE1201ELNS1_3gpuE5ELNS1_3repE0EEENS1_30default_config_static_selectorELNS0_4arch9wavefront6targetE1EEEvT1_: ; @_ZN7rocprim17ROCPRIM_400000_NS6detail17trampoline_kernelINS0_14default_configENS1_35adjacent_difference_config_selectorILb1ElEEZNS1_24adjacent_difference_implIS3_Lb1ELb0EPlS7_ZN2at6native12_GLOBAL__N_124unique_dim_cuda_templateItEESt5tupleIJNS8_6TensorESD_SD_EERKSD_lbbbEUlllE1_EE10hipError_tPvRmT2_T3_mT4_P12ihipStream_tbEUlT_E_NS1_11comp_targetILNS1_3genE10ELNS1_11target_archE1201ELNS1_3gpuE5ELNS1_3repE0EEENS1_30default_config_static_selectorELNS0_4arch9wavefront6targetE1EEEvT1_
; %bb.0:
	.section	.rodata,"a",@progbits
	.p2align	6, 0x0
	.amdhsa_kernel _ZN7rocprim17ROCPRIM_400000_NS6detail17trampoline_kernelINS0_14default_configENS1_35adjacent_difference_config_selectorILb1ElEEZNS1_24adjacent_difference_implIS3_Lb1ELb0EPlS7_ZN2at6native12_GLOBAL__N_124unique_dim_cuda_templateItEESt5tupleIJNS8_6TensorESD_SD_EERKSD_lbbbEUlllE1_EE10hipError_tPvRmT2_T3_mT4_P12ihipStream_tbEUlT_E_NS1_11comp_targetILNS1_3genE10ELNS1_11target_archE1201ELNS1_3gpuE5ELNS1_3repE0EEENS1_30default_config_static_selectorELNS0_4arch9wavefront6targetE1EEEvT1_
		.amdhsa_group_segment_fixed_size 0
		.amdhsa_private_segment_fixed_size 0
		.amdhsa_kernarg_size 64
		.amdhsa_user_sgpr_count 6
		.amdhsa_user_sgpr_private_segment_buffer 1
		.amdhsa_user_sgpr_dispatch_ptr 0
		.amdhsa_user_sgpr_queue_ptr 0
		.amdhsa_user_sgpr_kernarg_segment_ptr 1
		.amdhsa_user_sgpr_dispatch_id 0
		.amdhsa_user_sgpr_flat_scratch_init 0
		.amdhsa_user_sgpr_kernarg_preload_length 0
		.amdhsa_user_sgpr_kernarg_preload_offset 0
		.amdhsa_user_sgpr_private_segment_size 0
		.amdhsa_uses_dynamic_stack 0
		.amdhsa_system_sgpr_private_segment_wavefront_offset 0
		.amdhsa_system_sgpr_workgroup_id_x 1
		.amdhsa_system_sgpr_workgroup_id_y 0
		.amdhsa_system_sgpr_workgroup_id_z 0
		.amdhsa_system_sgpr_workgroup_info 0
		.amdhsa_system_vgpr_workitem_id 0
		.amdhsa_next_free_vgpr 1
		.amdhsa_next_free_sgpr 0
		.amdhsa_accum_offset 4
		.amdhsa_reserve_vcc 0
		.amdhsa_reserve_flat_scratch 0
		.amdhsa_float_round_mode_32 0
		.amdhsa_float_round_mode_16_64 0
		.amdhsa_float_denorm_mode_32 3
		.amdhsa_float_denorm_mode_16_64 3
		.amdhsa_dx10_clamp 1
		.amdhsa_ieee_mode 1
		.amdhsa_fp16_overflow 0
		.amdhsa_tg_split 0
		.amdhsa_exception_fp_ieee_invalid_op 0
		.amdhsa_exception_fp_denorm_src 0
		.amdhsa_exception_fp_ieee_div_zero 0
		.amdhsa_exception_fp_ieee_overflow 0
		.amdhsa_exception_fp_ieee_underflow 0
		.amdhsa_exception_fp_ieee_inexact 0
		.amdhsa_exception_int_div_zero 0
	.end_amdhsa_kernel
	.section	.text._ZN7rocprim17ROCPRIM_400000_NS6detail17trampoline_kernelINS0_14default_configENS1_35adjacent_difference_config_selectorILb1ElEEZNS1_24adjacent_difference_implIS3_Lb1ELb0EPlS7_ZN2at6native12_GLOBAL__N_124unique_dim_cuda_templateItEESt5tupleIJNS8_6TensorESD_SD_EERKSD_lbbbEUlllE1_EE10hipError_tPvRmT2_T3_mT4_P12ihipStream_tbEUlT_E_NS1_11comp_targetILNS1_3genE10ELNS1_11target_archE1201ELNS1_3gpuE5ELNS1_3repE0EEENS1_30default_config_static_selectorELNS0_4arch9wavefront6targetE1EEEvT1_,"axG",@progbits,_ZN7rocprim17ROCPRIM_400000_NS6detail17trampoline_kernelINS0_14default_configENS1_35adjacent_difference_config_selectorILb1ElEEZNS1_24adjacent_difference_implIS3_Lb1ELb0EPlS7_ZN2at6native12_GLOBAL__N_124unique_dim_cuda_templateItEESt5tupleIJNS8_6TensorESD_SD_EERKSD_lbbbEUlllE1_EE10hipError_tPvRmT2_T3_mT4_P12ihipStream_tbEUlT_E_NS1_11comp_targetILNS1_3genE10ELNS1_11target_archE1201ELNS1_3gpuE5ELNS1_3repE0EEENS1_30default_config_static_selectorELNS0_4arch9wavefront6targetE1EEEvT1_,comdat
.Lfunc_end1410:
	.size	_ZN7rocprim17ROCPRIM_400000_NS6detail17trampoline_kernelINS0_14default_configENS1_35adjacent_difference_config_selectorILb1ElEEZNS1_24adjacent_difference_implIS3_Lb1ELb0EPlS7_ZN2at6native12_GLOBAL__N_124unique_dim_cuda_templateItEESt5tupleIJNS8_6TensorESD_SD_EERKSD_lbbbEUlllE1_EE10hipError_tPvRmT2_T3_mT4_P12ihipStream_tbEUlT_E_NS1_11comp_targetILNS1_3genE10ELNS1_11target_archE1201ELNS1_3gpuE5ELNS1_3repE0EEENS1_30default_config_static_selectorELNS0_4arch9wavefront6targetE1EEEvT1_, .Lfunc_end1410-_ZN7rocprim17ROCPRIM_400000_NS6detail17trampoline_kernelINS0_14default_configENS1_35adjacent_difference_config_selectorILb1ElEEZNS1_24adjacent_difference_implIS3_Lb1ELb0EPlS7_ZN2at6native12_GLOBAL__N_124unique_dim_cuda_templateItEESt5tupleIJNS8_6TensorESD_SD_EERKSD_lbbbEUlllE1_EE10hipError_tPvRmT2_T3_mT4_P12ihipStream_tbEUlT_E_NS1_11comp_targetILNS1_3genE10ELNS1_11target_archE1201ELNS1_3gpuE5ELNS1_3repE0EEENS1_30default_config_static_selectorELNS0_4arch9wavefront6targetE1EEEvT1_
                                        ; -- End function
	.section	.AMDGPU.csdata,"",@progbits
; Kernel info:
; codeLenInByte = 0
; NumSgprs: 4
; NumVgprs: 0
; NumAgprs: 0
; TotalNumVgprs: 0
; ScratchSize: 0
; MemoryBound: 0
; FloatMode: 240
; IeeeMode: 1
; LDSByteSize: 0 bytes/workgroup (compile time only)
; SGPRBlocks: 0
; VGPRBlocks: 0
; NumSGPRsForWavesPerEU: 4
; NumVGPRsForWavesPerEU: 1
; AccumOffset: 4
; Occupancy: 8
; WaveLimiterHint : 0
; COMPUTE_PGM_RSRC2:SCRATCH_EN: 0
; COMPUTE_PGM_RSRC2:USER_SGPR: 6
; COMPUTE_PGM_RSRC2:TRAP_HANDLER: 0
; COMPUTE_PGM_RSRC2:TGID_X_EN: 1
; COMPUTE_PGM_RSRC2:TGID_Y_EN: 0
; COMPUTE_PGM_RSRC2:TGID_Z_EN: 0
; COMPUTE_PGM_RSRC2:TIDIG_COMP_CNT: 0
; COMPUTE_PGM_RSRC3_GFX90A:ACCUM_OFFSET: 0
; COMPUTE_PGM_RSRC3_GFX90A:TG_SPLIT: 0
	.section	.text._ZN7rocprim17ROCPRIM_400000_NS6detail17trampoline_kernelINS0_14default_configENS1_35adjacent_difference_config_selectorILb1ElEEZNS1_24adjacent_difference_implIS3_Lb1ELb0EPlS7_ZN2at6native12_GLOBAL__N_124unique_dim_cuda_templateItEESt5tupleIJNS8_6TensorESD_SD_EERKSD_lbbbEUlllE1_EE10hipError_tPvRmT2_T3_mT4_P12ihipStream_tbEUlT_E_NS1_11comp_targetILNS1_3genE5ELNS1_11target_archE942ELNS1_3gpuE9ELNS1_3repE0EEENS1_30default_config_static_selectorELNS0_4arch9wavefront6targetE1EEEvT1_,"axG",@progbits,_ZN7rocprim17ROCPRIM_400000_NS6detail17trampoline_kernelINS0_14default_configENS1_35adjacent_difference_config_selectorILb1ElEEZNS1_24adjacent_difference_implIS3_Lb1ELb0EPlS7_ZN2at6native12_GLOBAL__N_124unique_dim_cuda_templateItEESt5tupleIJNS8_6TensorESD_SD_EERKSD_lbbbEUlllE1_EE10hipError_tPvRmT2_T3_mT4_P12ihipStream_tbEUlT_E_NS1_11comp_targetILNS1_3genE5ELNS1_11target_archE942ELNS1_3gpuE9ELNS1_3repE0EEENS1_30default_config_static_selectorELNS0_4arch9wavefront6targetE1EEEvT1_,comdat
	.globl	_ZN7rocprim17ROCPRIM_400000_NS6detail17trampoline_kernelINS0_14default_configENS1_35adjacent_difference_config_selectorILb1ElEEZNS1_24adjacent_difference_implIS3_Lb1ELb0EPlS7_ZN2at6native12_GLOBAL__N_124unique_dim_cuda_templateItEESt5tupleIJNS8_6TensorESD_SD_EERKSD_lbbbEUlllE1_EE10hipError_tPvRmT2_T3_mT4_P12ihipStream_tbEUlT_E_NS1_11comp_targetILNS1_3genE5ELNS1_11target_archE942ELNS1_3gpuE9ELNS1_3repE0EEENS1_30default_config_static_selectorELNS0_4arch9wavefront6targetE1EEEvT1_ ; -- Begin function _ZN7rocprim17ROCPRIM_400000_NS6detail17trampoline_kernelINS0_14default_configENS1_35adjacent_difference_config_selectorILb1ElEEZNS1_24adjacent_difference_implIS3_Lb1ELb0EPlS7_ZN2at6native12_GLOBAL__N_124unique_dim_cuda_templateItEESt5tupleIJNS8_6TensorESD_SD_EERKSD_lbbbEUlllE1_EE10hipError_tPvRmT2_T3_mT4_P12ihipStream_tbEUlT_E_NS1_11comp_targetILNS1_3genE5ELNS1_11target_archE942ELNS1_3gpuE9ELNS1_3repE0EEENS1_30default_config_static_selectorELNS0_4arch9wavefront6targetE1EEEvT1_
	.p2align	8
	.type	_ZN7rocprim17ROCPRIM_400000_NS6detail17trampoline_kernelINS0_14default_configENS1_35adjacent_difference_config_selectorILb1ElEEZNS1_24adjacent_difference_implIS3_Lb1ELb0EPlS7_ZN2at6native12_GLOBAL__N_124unique_dim_cuda_templateItEESt5tupleIJNS8_6TensorESD_SD_EERKSD_lbbbEUlllE1_EE10hipError_tPvRmT2_T3_mT4_P12ihipStream_tbEUlT_E_NS1_11comp_targetILNS1_3genE5ELNS1_11target_archE942ELNS1_3gpuE9ELNS1_3repE0EEENS1_30default_config_static_selectorELNS0_4arch9wavefront6targetE1EEEvT1_,@function
_ZN7rocprim17ROCPRIM_400000_NS6detail17trampoline_kernelINS0_14default_configENS1_35adjacent_difference_config_selectorILb1ElEEZNS1_24adjacent_difference_implIS3_Lb1ELb0EPlS7_ZN2at6native12_GLOBAL__N_124unique_dim_cuda_templateItEESt5tupleIJNS8_6TensorESD_SD_EERKSD_lbbbEUlllE1_EE10hipError_tPvRmT2_T3_mT4_P12ihipStream_tbEUlT_E_NS1_11comp_targetILNS1_3genE5ELNS1_11target_archE942ELNS1_3gpuE9ELNS1_3repE0EEENS1_30default_config_static_selectorELNS0_4arch9wavefront6targetE1EEEvT1_: ; @_ZN7rocprim17ROCPRIM_400000_NS6detail17trampoline_kernelINS0_14default_configENS1_35adjacent_difference_config_selectorILb1ElEEZNS1_24adjacent_difference_implIS3_Lb1ELb0EPlS7_ZN2at6native12_GLOBAL__N_124unique_dim_cuda_templateItEESt5tupleIJNS8_6TensorESD_SD_EERKSD_lbbbEUlllE1_EE10hipError_tPvRmT2_T3_mT4_P12ihipStream_tbEUlT_E_NS1_11comp_targetILNS1_3genE5ELNS1_11target_archE942ELNS1_3gpuE9ELNS1_3repE0EEENS1_30default_config_static_selectorELNS0_4arch9wavefront6targetE1EEEvT1_
; %bb.0:
	.section	.rodata,"a",@progbits
	.p2align	6, 0x0
	.amdhsa_kernel _ZN7rocprim17ROCPRIM_400000_NS6detail17trampoline_kernelINS0_14default_configENS1_35adjacent_difference_config_selectorILb1ElEEZNS1_24adjacent_difference_implIS3_Lb1ELb0EPlS7_ZN2at6native12_GLOBAL__N_124unique_dim_cuda_templateItEESt5tupleIJNS8_6TensorESD_SD_EERKSD_lbbbEUlllE1_EE10hipError_tPvRmT2_T3_mT4_P12ihipStream_tbEUlT_E_NS1_11comp_targetILNS1_3genE5ELNS1_11target_archE942ELNS1_3gpuE9ELNS1_3repE0EEENS1_30default_config_static_selectorELNS0_4arch9wavefront6targetE1EEEvT1_
		.amdhsa_group_segment_fixed_size 0
		.amdhsa_private_segment_fixed_size 0
		.amdhsa_kernarg_size 64
		.amdhsa_user_sgpr_count 6
		.amdhsa_user_sgpr_private_segment_buffer 1
		.amdhsa_user_sgpr_dispatch_ptr 0
		.amdhsa_user_sgpr_queue_ptr 0
		.amdhsa_user_sgpr_kernarg_segment_ptr 1
		.amdhsa_user_sgpr_dispatch_id 0
		.amdhsa_user_sgpr_flat_scratch_init 0
		.amdhsa_user_sgpr_kernarg_preload_length 0
		.amdhsa_user_sgpr_kernarg_preload_offset 0
		.amdhsa_user_sgpr_private_segment_size 0
		.amdhsa_uses_dynamic_stack 0
		.amdhsa_system_sgpr_private_segment_wavefront_offset 0
		.amdhsa_system_sgpr_workgroup_id_x 1
		.amdhsa_system_sgpr_workgroup_id_y 0
		.amdhsa_system_sgpr_workgroup_id_z 0
		.amdhsa_system_sgpr_workgroup_info 0
		.amdhsa_system_vgpr_workitem_id 0
		.amdhsa_next_free_vgpr 1
		.amdhsa_next_free_sgpr 0
		.amdhsa_accum_offset 4
		.amdhsa_reserve_vcc 0
		.amdhsa_reserve_flat_scratch 0
		.amdhsa_float_round_mode_32 0
		.amdhsa_float_round_mode_16_64 0
		.amdhsa_float_denorm_mode_32 3
		.amdhsa_float_denorm_mode_16_64 3
		.amdhsa_dx10_clamp 1
		.amdhsa_ieee_mode 1
		.amdhsa_fp16_overflow 0
		.amdhsa_tg_split 0
		.amdhsa_exception_fp_ieee_invalid_op 0
		.amdhsa_exception_fp_denorm_src 0
		.amdhsa_exception_fp_ieee_div_zero 0
		.amdhsa_exception_fp_ieee_overflow 0
		.amdhsa_exception_fp_ieee_underflow 0
		.amdhsa_exception_fp_ieee_inexact 0
		.amdhsa_exception_int_div_zero 0
	.end_amdhsa_kernel
	.section	.text._ZN7rocprim17ROCPRIM_400000_NS6detail17trampoline_kernelINS0_14default_configENS1_35adjacent_difference_config_selectorILb1ElEEZNS1_24adjacent_difference_implIS3_Lb1ELb0EPlS7_ZN2at6native12_GLOBAL__N_124unique_dim_cuda_templateItEESt5tupleIJNS8_6TensorESD_SD_EERKSD_lbbbEUlllE1_EE10hipError_tPvRmT2_T3_mT4_P12ihipStream_tbEUlT_E_NS1_11comp_targetILNS1_3genE5ELNS1_11target_archE942ELNS1_3gpuE9ELNS1_3repE0EEENS1_30default_config_static_selectorELNS0_4arch9wavefront6targetE1EEEvT1_,"axG",@progbits,_ZN7rocprim17ROCPRIM_400000_NS6detail17trampoline_kernelINS0_14default_configENS1_35adjacent_difference_config_selectorILb1ElEEZNS1_24adjacent_difference_implIS3_Lb1ELb0EPlS7_ZN2at6native12_GLOBAL__N_124unique_dim_cuda_templateItEESt5tupleIJNS8_6TensorESD_SD_EERKSD_lbbbEUlllE1_EE10hipError_tPvRmT2_T3_mT4_P12ihipStream_tbEUlT_E_NS1_11comp_targetILNS1_3genE5ELNS1_11target_archE942ELNS1_3gpuE9ELNS1_3repE0EEENS1_30default_config_static_selectorELNS0_4arch9wavefront6targetE1EEEvT1_,comdat
.Lfunc_end1411:
	.size	_ZN7rocprim17ROCPRIM_400000_NS6detail17trampoline_kernelINS0_14default_configENS1_35adjacent_difference_config_selectorILb1ElEEZNS1_24adjacent_difference_implIS3_Lb1ELb0EPlS7_ZN2at6native12_GLOBAL__N_124unique_dim_cuda_templateItEESt5tupleIJNS8_6TensorESD_SD_EERKSD_lbbbEUlllE1_EE10hipError_tPvRmT2_T3_mT4_P12ihipStream_tbEUlT_E_NS1_11comp_targetILNS1_3genE5ELNS1_11target_archE942ELNS1_3gpuE9ELNS1_3repE0EEENS1_30default_config_static_selectorELNS0_4arch9wavefront6targetE1EEEvT1_, .Lfunc_end1411-_ZN7rocprim17ROCPRIM_400000_NS6detail17trampoline_kernelINS0_14default_configENS1_35adjacent_difference_config_selectorILb1ElEEZNS1_24adjacent_difference_implIS3_Lb1ELb0EPlS7_ZN2at6native12_GLOBAL__N_124unique_dim_cuda_templateItEESt5tupleIJNS8_6TensorESD_SD_EERKSD_lbbbEUlllE1_EE10hipError_tPvRmT2_T3_mT4_P12ihipStream_tbEUlT_E_NS1_11comp_targetILNS1_3genE5ELNS1_11target_archE942ELNS1_3gpuE9ELNS1_3repE0EEENS1_30default_config_static_selectorELNS0_4arch9wavefront6targetE1EEEvT1_
                                        ; -- End function
	.section	.AMDGPU.csdata,"",@progbits
; Kernel info:
; codeLenInByte = 0
; NumSgprs: 4
; NumVgprs: 0
; NumAgprs: 0
; TotalNumVgprs: 0
; ScratchSize: 0
; MemoryBound: 0
; FloatMode: 240
; IeeeMode: 1
; LDSByteSize: 0 bytes/workgroup (compile time only)
; SGPRBlocks: 0
; VGPRBlocks: 0
; NumSGPRsForWavesPerEU: 4
; NumVGPRsForWavesPerEU: 1
; AccumOffset: 4
; Occupancy: 8
; WaveLimiterHint : 0
; COMPUTE_PGM_RSRC2:SCRATCH_EN: 0
; COMPUTE_PGM_RSRC2:USER_SGPR: 6
; COMPUTE_PGM_RSRC2:TRAP_HANDLER: 0
; COMPUTE_PGM_RSRC2:TGID_X_EN: 1
; COMPUTE_PGM_RSRC2:TGID_Y_EN: 0
; COMPUTE_PGM_RSRC2:TGID_Z_EN: 0
; COMPUTE_PGM_RSRC2:TIDIG_COMP_CNT: 0
; COMPUTE_PGM_RSRC3_GFX90A:ACCUM_OFFSET: 0
; COMPUTE_PGM_RSRC3_GFX90A:TG_SPLIT: 0
	.section	.text._ZN7rocprim17ROCPRIM_400000_NS6detail17trampoline_kernelINS0_14default_configENS1_35adjacent_difference_config_selectorILb1ElEEZNS1_24adjacent_difference_implIS3_Lb1ELb0EPlS7_ZN2at6native12_GLOBAL__N_124unique_dim_cuda_templateItEESt5tupleIJNS8_6TensorESD_SD_EERKSD_lbbbEUlllE1_EE10hipError_tPvRmT2_T3_mT4_P12ihipStream_tbEUlT_E_NS1_11comp_targetILNS1_3genE4ELNS1_11target_archE910ELNS1_3gpuE8ELNS1_3repE0EEENS1_30default_config_static_selectorELNS0_4arch9wavefront6targetE1EEEvT1_,"axG",@progbits,_ZN7rocprim17ROCPRIM_400000_NS6detail17trampoline_kernelINS0_14default_configENS1_35adjacent_difference_config_selectorILb1ElEEZNS1_24adjacent_difference_implIS3_Lb1ELb0EPlS7_ZN2at6native12_GLOBAL__N_124unique_dim_cuda_templateItEESt5tupleIJNS8_6TensorESD_SD_EERKSD_lbbbEUlllE1_EE10hipError_tPvRmT2_T3_mT4_P12ihipStream_tbEUlT_E_NS1_11comp_targetILNS1_3genE4ELNS1_11target_archE910ELNS1_3gpuE8ELNS1_3repE0EEENS1_30default_config_static_selectorELNS0_4arch9wavefront6targetE1EEEvT1_,comdat
	.globl	_ZN7rocprim17ROCPRIM_400000_NS6detail17trampoline_kernelINS0_14default_configENS1_35adjacent_difference_config_selectorILb1ElEEZNS1_24adjacent_difference_implIS3_Lb1ELb0EPlS7_ZN2at6native12_GLOBAL__N_124unique_dim_cuda_templateItEESt5tupleIJNS8_6TensorESD_SD_EERKSD_lbbbEUlllE1_EE10hipError_tPvRmT2_T3_mT4_P12ihipStream_tbEUlT_E_NS1_11comp_targetILNS1_3genE4ELNS1_11target_archE910ELNS1_3gpuE8ELNS1_3repE0EEENS1_30default_config_static_selectorELNS0_4arch9wavefront6targetE1EEEvT1_ ; -- Begin function _ZN7rocprim17ROCPRIM_400000_NS6detail17trampoline_kernelINS0_14default_configENS1_35adjacent_difference_config_selectorILb1ElEEZNS1_24adjacent_difference_implIS3_Lb1ELb0EPlS7_ZN2at6native12_GLOBAL__N_124unique_dim_cuda_templateItEESt5tupleIJNS8_6TensorESD_SD_EERKSD_lbbbEUlllE1_EE10hipError_tPvRmT2_T3_mT4_P12ihipStream_tbEUlT_E_NS1_11comp_targetILNS1_3genE4ELNS1_11target_archE910ELNS1_3gpuE8ELNS1_3repE0EEENS1_30default_config_static_selectorELNS0_4arch9wavefront6targetE1EEEvT1_
	.p2align	8
	.type	_ZN7rocprim17ROCPRIM_400000_NS6detail17trampoline_kernelINS0_14default_configENS1_35adjacent_difference_config_selectorILb1ElEEZNS1_24adjacent_difference_implIS3_Lb1ELb0EPlS7_ZN2at6native12_GLOBAL__N_124unique_dim_cuda_templateItEESt5tupleIJNS8_6TensorESD_SD_EERKSD_lbbbEUlllE1_EE10hipError_tPvRmT2_T3_mT4_P12ihipStream_tbEUlT_E_NS1_11comp_targetILNS1_3genE4ELNS1_11target_archE910ELNS1_3gpuE8ELNS1_3repE0EEENS1_30default_config_static_selectorELNS0_4arch9wavefront6targetE1EEEvT1_,@function
_ZN7rocprim17ROCPRIM_400000_NS6detail17trampoline_kernelINS0_14default_configENS1_35adjacent_difference_config_selectorILb1ElEEZNS1_24adjacent_difference_implIS3_Lb1ELb0EPlS7_ZN2at6native12_GLOBAL__N_124unique_dim_cuda_templateItEESt5tupleIJNS8_6TensorESD_SD_EERKSD_lbbbEUlllE1_EE10hipError_tPvRmT2_T3_mT4_P12ihipStream_tbEUlT_E_NS1_11comp_targetILNS1_3genE4ELNS1_11target_archE910ELNS1_3gpuE8ELNS1_3repE0EEENS1_30default_config_static_selectorELNS0_4arch9wavefront6targetE1EEEvT1_: ; @_ZN7rocprim17ROCPRIM_400000_NS6detail17trampoline_kernelINS0_14default_configENS1_35adjacent_difference_config_selectorILb1ElEEZNS1_24adjacent_difference_implIS3_Lb1ELb0EPlS7_ZN2at6native12_GLOBAL__N_124unique_dim_cuda_templateItEESt5tupleIJNS8_6TensorESD_SD_EERKSD_lbbbEUlllE1_EE10hipError_tPvRmT2_T3_mT4_P12ihipStream_tbEUlT_E_NS1_11comp_targetILNS1_3genE4ELNS1_11target_archE910ELNS1_3gpuE8ELNS1_3repE0EEENS1_30default_config_static_selectorELNS0_4arch9wavefront6targetE1EEEvT1_
; %bb.0:
	s_load_dwordx16 s[8:23], s[4:5], 0x0
	s_mov_b32 s3, 0
	s_waitcnt lgkmcnt(0)
	s_lshl_b64 s[10:11], s[10:11], 3
	s_add_u32 s30, s8, s10
	s_addc_u32 s31, s9, s11
	s_lshl_b32 s8, s6, 10
	s_lshr_b64 s[0:1], s[14:15], 10
	s_and_b32 s2, s14, 0x3ff
	s_cmp_lg_u64 s[2:3], 0
	s_cselect_b64 s[4:5], -1, 0
	v_cndmask_b32_e64 v1, 0, 1, s[4:5]
	v_readfirstlane_b32 s2, v1
	s_add_u32 s26, s0, s2
	s_addc_u32 s27, s1, 0
	s_add_u32 s28, s22, s6
	s_addc_u32 s29, s23, 0
	s_mov_b32 s2, s6
	s_add_u32 s6, s26, -1
	s_addc_u32 s7, s27, -1
	v_pk_mov_b32 v[2:3], s[6:7], s[6:7] op_sel:[0,1]
	v_cmp_ge_u64_e64 s[0:1], s[28:29], v[2:3]
	s_mov_b64 s[4:5], -1
	s_and_b64 vcc, exec, s[0:1]
	s_cbranch_vccz .LBB1412_6
; %bb.1:
	s_lshl_b32 s4, s6, 10
	s_mov_b32 s9, s3
	s_sub_i32 s15, s14, s4
	s_lshl_b64 s[4:5], s[8:9], 3
	s_add_u32 s4, s30, s4
	s_addc_u32 s5, s31, s5
	v_cmp_gt_u32_e32 vcc, s15, v0
                                        ; implicit-def: $vgpr2_vgpr3_vgpr4_vgpr5
	s_and_saveexec_b64 s[24:25], vcc
	s_cbranch_execz .LBB1412_3
; %bb.2:
	v_lshlrev_b32_e32 v1, 3, v0
	global_load_dwordx2 v[2:3], v1, s[4:5]
.LBB1412_3:
	s_or_b64 exec, exec, s[24:25]
	v_or_b32_e32 v1, 0x200, v0
	v_cmp_gt_u32_e32 vcc, s15, v1
	s_and_saveexec_b64 s[24:25], vcc
	s_cbranch_execz .LBB1412_5
; %bb.4:
	v_lshlrev_b32_e32 v4, 3, v1
	global_load_dwordx2 v[4:5], v4, s[4:5]
.LBB1412_5:
	s_or_b64 exec, exec, s[24:25]
	v_lshrrev_b32_e32 v6, 2, v0
	v_lshrrev_b32_e32 v1, 2, v1
	v_and_b32_e32 v6, 0x78, v6
	v_lshlrev_b32_e32 v7, 3, v0
	v_and_b32_e32 v1, 0xf8, v1
	v_add_u32_e32 v6, v6, v7
	v_add_u32_e32 v1, v1, v7
	s_mov_b64 s[4:5], 0
	s_waitcnt vmcnt(0)
	ds_write_b64 v6, v[2:3]
	ds_write_b64 v1, v[4:5] offset:4096
	s_waitcnt lgkmcnt(0)
	s_barrier
.LBB1412_6:
	s_and_b64 vcc, exec, s[4:5]
	v_lshlrev_b32_e32 v1, 3, v0
	s_cbranch_vccz .LBB1412_8
; %bb.7:
	s_mov_b32 s9, 0
	s_lshl_b64 s[4:5], s[8:9], 3
	s_add_u32 s4, s30, s4
	s_addc_u32 s5, s31, s5
	v_mov_b32_e32 v2, s5
	v_add_co_u32_e32 v3, vcc, s4, v1
	v_addc_co_u32_e32 v4, vcc, 0, v2, vcc
	v_add_co_u32_e32 v2, vcc, 0x1000, v3
	v_addc_co_u32_e32 v3, vcc, 0, v4, vcc
	global_load_dwordx2 v[4:5], v1, s[4:5]
	global_load_dwordx2 v[6:7], v[2:3], off
	v_lshrrev_b32_e32 v2, 2, v0
	v_or_b32_e32 v3, 0x200, v0
	v_and_b32_e32 v2, 0x78, v2
	v_lshrrev_b32_e32 v3, 2, v3
	v_add_u32_e32 v2, v2, v1
	v_and_b32_e32 v3, 0xf8, v3
	v_add_u32_e32 v3, v3, v1
	s_waitcnt vmcnt(1)
	ds_write_b64 v2, v[4:5]
	s_waitcnt vmcnt(0)
	ds_write_b64 v3, v[6:7] offset:4096
	s_waitcnt lgkmcnt(0)
	s_barrier
.LBB1412_8:
	v_lshlrev_b32_e32 v2, 1, v0
	v_lshrrev_b32_e32 v3, 4, v0
	v_add_lshl_u32 v2, v3, v2, 3
	ds_read2_b64 v[2:5], v2 offset1:1
	s_cmp_eq_u64 s[28:29], 0
	s_mov_b64 s[24:25], 0
	s_waitcnt lgkmcnt(0)
	s_barrier
	s_cbranch_scc1 .LBB1412_17
; %bb.9:
	s_lshl_b64 s[4:5], s[22:23], 3
	s_add_u32 s4, s20, s4
	s_addc_u32 s5, s21, s5
	s_lshl_b64 s[2:3], s[2:3], 3
	s_add_u32 s2, s4, s2
	s_addc_u32 s3, s5, s3
	s_add_u32 s2, s2, -8
	s_addc_u32 s3, s3, -1
	s_load_dwordx2 s[20:21], s[2:3], 0x0
	s_cmp_lg_u64 s[28:29], s[6:7]
	s_cbranch_scc0 .LBB1412_18
; %bb.10:
	v_cmp_lt_i64_e64 s[2:3], s[16:17], 1
	v_pk_mov_b32 v[8:9], 0, 0
	v_cmp_gt_i64_e64 s[22:23], s[16:17], 0
	s_and_b64 vcc, exec, s[2:3]
	ds_write_b64 v1, v[4:5]
	s_cbranch_vccnz .LBB1412_21
; %bb.11:
	v_mul_lo_u32 v8, v5, s16
	v_mul_lo_u32 v9, v4, s17
	v_mad_u64_u32 v[6:7], s[2:3], v4, s16, 0
	v_add3_u32 v7, v7, v9, v8
	v_mul_lo_u32 v10, v3, s16
	v_mul_lo_u32 v11, v2, s17
	v_mad_u64_u32 v[8:9], s[2:3], v2, s16, 0
	v_add3_u32 v9, v9, v11, v10
	v_lshlrev_b64 v[10:11], 1, v[6:7]
	v_mov_b32_e32 v6, s19
	v_add_co_u32_e32 v12, vcc, s18, v10
	v_addc_co_u32_e64 v13, s[2:3], v6, v11, vcc
	v_lshlrev_b64 v[6:7], 1, v[8:9]
	v_mov_b32_e32 v8, s19
	v_add_co_u32_e64 v14, s[2:3], s18, v6
	v_addc_co_u32_e64 v15, s[4:5], v8, v7, s[2:3]
	global_load_ushort v6, v[12:13], off
	global_load_ushort v8, v[14:15], off
	s_waitcnt vmcnt(0)
	v_cmp_eq_u16_e64 s[4:5], v6, v8
	v_mov_b32_e32 v8, 1
	v_mov_b32_e32 v9, 0
	s_and_saveexec_b64 s[24:25], s[4:5]
	s_cbranch_execz .LBB1412_20
; %bb.12:
	v_mov_b32_e32 v6, s19
	v_addc_co_u32_e64 v7, s[2:3], v7, v6, s[2:3]
	v_add_co_u32_e64 v6, s[2:3], 2, v14
	v_mov_b32_e32 v8, s19
	v_addc_co_u32_e64 v7, s[2:3], 0, v7, s[2:3]
	v_addc_co_u32_e32 v9, vcc, v11, v8, vcc
	v_add_co_u32_e32 v8, vcc, 2, v12
	s_add_u32 s2, s16, -1
	v_addc_co_u32_e32 v9, vcc, 0, v9, vcc
	s_addc_u32 s3, s17, -1
	s_mov_b64 s[4:5], 0
	s_mov_b64 s[34:35], 0
                                        ; implicit-def: $sgpr30_sgpr31
	s_branch .LBB1412_15
.LBB1412_13:                            ;   in Loop: Header=BB1412_15 Depth=1
	global_load_ushort v10, v[8:9], off
	global_load_ushort v11, v[6:7], off
	v_add_co_u32_e32 v6, vcc, 2, v6
	v_addc_co_u32_e32 v7, vcc, 0, v7, vcc
	v_add_co_u32_e32 v8, vcc, 2, v8
	v_addc_co_u32_e32 v9, vcc, 0, v9, vcc
	s_add_u32 s34, s34, 1
	s_addc_u32 s35, s35, 0
	s_andn2_b64 s[30:31], s[30:31], exec
	s_waitcnt vmcnt(0)
	v_cmp_ne_u16_e32 vcc, v10, v11
	s_and_b64 s[36:37], vcc, exec
	s_or_b64 s[30:31], s[30:31], s[36:37]
.LBB1412_14:                            ;   in Loop: Header=BB1412_15 Depth=1
	s_and_b64 s[36:37], exec, s[30:31]
	s_or_b64 s[4:5], s[36:37], s[4:5]
	v_pk_mov_b32 v[10:11], s[34:35], s[34:35] op_sel:[0,1]
	s_andn2_b64 exec, exec, s[4:5]
	s_cbranch_execz .LBB1412_19
.LBB1412_15:                            ; =>This Inner Loop Header: Depth=1
	s_or_b64 s[30:31], s[30:31], exec
	s_cmp_eq_u64 s[2:3], s[34:35]
	s_cbranch_scc0 .LBB1412_13
; %bb.16:                               ;   in Loop: Header=BB1412_15 Depth=1
                                        ; implicit-def: $vgpr6_vgpr7
                                        ; implicit-def: $vgpr8_vgpr9
	s_mov_b64 s[34:35], s[16:17]
	s_branch .LBB1412_14
.LBB1412_17:
                                        ; implicit-def: $sgpr22_sgpr23
                                        ; implicit-def: $vgpr8_vgpr9
	s_cbranch_execnz .LBB1412_60
	s_branch .LBB1412_108
.LBB1412_18:
                                        ; implicit-def: $sgpr22_sgpr23
                                        ; implicit-def: $vgpr8_vgpr9
	s_cbranch_execnz .LBB1412_33
	s_branch .LBB1412_59
.LBB1412_19:
	s_or_b64 exec, exec, s[4:5]
	v_cmp_gt_i64_e32 vcc, s[16:17], v[10:11]
	s_mov_b32 s2, 0
	v_cndmask_b32_e64 v8, 0, 1, vcc
	v_mov_b32_e32 v9, s2
.LBB1412_20:
	s_or_b64 exec, exec, s[24:25]
.LBB1412_21:
	v_cmp_ne_u32_e32 vcc, 0, v0
	s_waitcnt lgkmcnt(0)
	v_pk_mov_b32 v[6:7], s[20:21], s[20:21] op_sel:[0,1]
	s_barrier
	s_and_saveexec_b64 s[2:3], vcc
	s_cbranch_execz .LBB1412_23
; %bb.22:
	v_add_u32_e32 v6, -8, v1
	ds_read_b64 v[6:7], v6
.LBB1412_23:
	s_or_b64 exec, exec, s[2:3]
	s_mov_b64 s[30:31], 0
	s_andn2_b64 vcc, exec, s[22:23]
	s_mov_b64 s[22:23], 0
	s_cbranch_vccnz .LBB1412_32
; %bb.24:
	v_mul_lo_u32 v12, v3, s16
	v_mul_lo_u32 v13, v2, s17
	v_mad_u64_u32 v[10:11], s[2:3], v2, s16, 0
	v_add3_u32 v11, v11, v13, v12
	s_waitcnt lgkmcnt(0)
	v_mul_lo_u32 v12, v7, s16
	v_mul_lo_u32 v13, v6, s17
	v_mad_u64_u32 v[6:7], s[2:3], v6, s16, 0
	v_lshlrev_b64 v[10:11], 1, v[10:11]
	v_add3_u32 v7, v7, v13, v12
	v_mov_b32_e32 v13, s19
	v_add_co_u32_e32 v12, vcc, s18, v10
	v_addc_co_u32_e64 v13, s[2:3], v13, v11, vcc
	v_lshlrev_b64 v[6:7], 1, v[6:7]
	v_mov_b32_e32 v10, s19
	v_add_co_u32_e64 v14, s[2:3], s18, v6
	v_addc_co_u32_e64 v15, s[4:5], v10, v7, s[2:3]
	global_load_ushort v6, v[12:13], off
	global_load_ushort v10, v[14:15], off
	s_mov_b64 s[22:23], -1
	s_waitcnt vmcnt(0)
	v_cmp_eq_u16_e64 s[4:5], v6, v10
	s_and_saveexec_b64 s[24:25], s[4:5]
	s_cbranch_execz .LBB1412_31
; %bb.25:
	v_mov_b32_e32 v6, s19
	v_addc_co_u32_e64 v7, s[2:3], v7, v6, s[2:3]
	v_add_co_u32_e64 v6, s[2:3], 2, v14
	v_mov_b32_e32 v10, s19
	v_addc_co_u32_e64 v7, s[2:3], 0, v7, s[2:3]
	v_addc_co_u32_e32 v11, vcc, v11, v10, vcc
	v_add_co_u32_e32 v10, vcc, 2, v12
	s_add_u32 s2, s16, -1
	v_addc_co_u32_e32 v11, vcc, 0, v11, vcc
	s_addc_u32 s3, s17, -1
	s_mov_b64 s[4:5], 0
	s_mov_b64 s[34:35], 0
                                        ; implicit-def: $sgpr22_sgpr23
	s_branch .LBB1412_28
.LBB1412_26:                            ;   in Loop: Header=BB1412_28 Depth=1
	global_load_ushort v12, v[10:11], off
	global_load_ushort v13, v[6:7], off
	v_add_co_u32_e32 v6, vcc, 2, v6
	v_addc_co_u32_e32 v7, vcc, 0, v7, vcc
	v_add_co_u32_e32 v10, vcc, 2, v10
	v_addc_co_u32_e32 v11, vcc, 0, v11, vcc
	s_add_u32 s34, s34, 1
	s_addc_u32 s35, s35, 0
	s_andn2_b64 s[22:23], s[22:23], exec
	s_waitcnt vmcnt(0)
	v_cmp_ne_u16_e32 vcc, v12, v13
	s_and_b64 s[36:37], vcc, exec
	s_or_b64 s[22:23], s[22:23], s[36:37]
.LBB1412_27:                            ;   in Loop: Header=BB1412_28 Depth=1
	s_and_b64 s[36:37], exec, s[22:23]
	s_or_b64 s[4:5], s[36:37], s[4:5]
	v_pk_mov_b32 v[12:13], s[34:35], s[34:35] op_sel:[0,1]
	s_andn2_b64 exec, exec, s[4:5]
	s_cbranch_execz .LBB1412_30
.LBB1412_28:                            ; =>This Inner Loop Header: Depth=1
	s_or_b64 s[22:23], s[22:23], exec
	s_cmp_eq_u64 s[2:3], s[34:35]
	s_cbranch_scc0 .LBB1412_26
; %bb.29:                               ;   in Loop: Header=BB1412_28 Depth=1
                                        ; implicit-def: $vgpr6_vgpr7
                                        ; implicit-def: $vgpr10_vgpr11
	s_mov_b64 s[34:35], s[16:17]
	s_branch .LBB1412_27
.LBB1412_30:
	s_or_b64 exec, exec, s[4:5]
	v_cmp_gt_i64_e32 vcc, s[16:17], v[12:13]
	s_orn2_b64 s[22:23], vcc, exec
.LBB1412_31:
	s_or_b64 exec, exec, s[24:25]
.LBB1412_32:
	s_mov_b64 s[24:25], -1
	s_and_b64 vcc, exec, s[30:31]
	s_cbranch_vccz .LBB1412_59
.LBB1412_33:
	s_lshl_b32 s2, s28, 10
	v_lshlrev_b32_e32 v16, 1, v0
	s_sub_i32 s7, s14, s2
	s_waitcnt lgkmcnt(0)
	v_or_b32_e32 v6, 1, v16
	v_cmp_gt_u32_e32 vcc, s7, v6
	v_pk_mov_b32 v[8:9], v[4:5], v[4:5] op_sel:[0,1]
	ds_write_b64 v1, v[4:5]
	v_pk_mov_b32 v[6:7], v[2:3], v[2:3] op_sel:[0,1]
	s_and_saveexec_b64 s[22:23], vcc
	s_cbranch_execz .LBB1412_44
; %bb.34:
	v_cmp_lt_i64_e64 s[2:3], s[16:17], 1
	s_and_b64 vcc, exec, s[2:3]
	s_cbranch_vccnz .LBB1412_41
; %bb.35:
	v_mul_lo_u32 v8, v5, s16
	v_mul_lo_u32 v9, v4, s17
	v_mad_u64_u32 v[6:7], s[2:3], v4, s16, 0
	v_add3_u32 v7, v7, v9, v8
	v_mul_lo_u32 v10, v3, s16
	v_mul_lo_u32 v11, v2, s17
	v_mad_u64_u32 v[8:9], s[2:3], v2, s16, 0
	v_add3_u32 v9, v9, v11, v10
	v_lshlrev_b64 v[10:11], 1, v[6:7]
	v_mov_b32_e32 v6, s19
	v_add_co_u32_e32 v12, vcc, s18, v10
	v_addc_co_u32_e64 v13, s[2:3], v6, v11, vcc
	v_lshlrev_b64 v[6:7], 1, v[8:9]
	v_mov_b32_e32 v8, s19
	v_add_co_u32_e64 v14, s[2:3], s18, v6
	v_addc_co_u32_e64 v15, s[4:5], v8, v7, s[2:3]
	global_load_ushort v6, v[12:13], off
	global_load_ushort v8, v[14:15], off
	s_waitcnt vmcnt(0)
	v_cmp_eq_u16_e64 s[4:5], v6, v8
	v_mov_b32_e32 v8, 1
	v_mov_b32_e32 v9, 0
	s_and_saveexec_b64 s[28:29], s[4:5]
	s_cbranch_execz .LBB1412_43
; %bb.36:
	v_mov_b32_e32 v6, s19
	v_addc_co_u32_e64 v7, s[2:3], v7, v6, s[2:3]
	v_add_co_u32_e64 v6, s[2:3], 2, v14
	v_mov_b32_e32 v8, s19
	v_addc_co_u32_e64 v7, s[2:3], 0, v7, s[2:3]
	v_addc_co_u32_e32 v9, vcc, v11, v8, vcc
	v_add_co_u32_e32 v8, vcc, 2, v12
	s_add_u32 s2, s16, -1
	v_addc_co_u32_e32 v9, vcc, 0, v9, vcc
	s_addc_u32 s3, s17, -1
	s_mov_b64 s[4:5], 0
	s_mov_b64 s[34:35], 0
                                        ; implicit-def: $sgpr30_sgpr31
	s_branch .LBB1412_39
.LBB1412_37:                            ;   in Loop: Header=BB1412_39 Depth=1
	global_load_ushort v10, v[8:9], off
	global_load_ushort v11, v[6:7], off
	v_add_co_u32_e32 v6, vcc, 2, v6
	v_addc_co_u32_e32 v7, vcc, 0, v7, vcc
	v_add_co_u32_e32 v8, vcc, 2, v8
	v_addc_co_u32_e32 v9, vcc, 0, v9, vcc
	s_add_u32 s34, s34, 1
	s_addc_u32 s35, s35, 0
	s_andn2_b64 s[30:31], s[30:31], exec
	s_waitcnt vmcnt(0)
	v_cmp_ne_u16_e32 vcc, v10, v11
	s_and_b64 s[36:37], vcc, exec
	s_or_b64 s[30:31], s[30:31], s[36:37]
.LBB1412_38:                            ;   in Loop: Header=BB1412_39 Depth=1
	s_and_b64 s[36:37], exec, s[30:31]
	s_or_b64 s[4:5], s[36:37], s[4:5]
	v_pk_mov_b32 v[10:11], s[34:35], s[34:35] op_sel:[0,1]
	s_andn2_b64 exec, exec, s[4:5]
	s_cbranch_execz .LBB1412_42
.LBB1412_39:                            ; =>This Inner Loop Header: Depth=1
	s_or_b64 s[30:31], s[30:31], exec
	s_cmp_eq_u64 s[2:3], s[34:35]
	s_cbranch_scc0 .LBB1412_37
; %bb.40:                               ;   in Loop: Header=BB1412_39 Depth=1
                                        ; implicit-def: $vgpr6_vgpr7
                                        ; implicit-def: $vgpr8_vgpr9
	s_mov_b64 s[34:35], s[16:17]
	s_branch .LBB1412_38
.LBB1412_41:
	v_pk_mov_b32 v[8:9], 0, 0
	s_branch .LBB1412_44
.LBB1412_42:
	s_or_b64 exec, exec, s[4:5]
	v_cmp_gt_i64_e32 vcc, s[16:17], v[10:11]
	s_mov_b32 s2, 0
	v_cndmask_b32_e64 v8, 0, 1, vcc
	v_mov_b32_e32 v9, s2
.LBB1412_43:
	s_or_b64 exec, exec, s[28:29]
.LBB1412_44:
	s_or_b64 exec, exec, s[22:23]
	v_cmp_ne_u32_e32 vcc, 0, v0
	v_pk_mov_b32 v[6:7], s[20:21], s[20:21] op_sel:[0,1]
	s_waitcnt lgkmcnt(0)
	s_barrier
	s_and_saveexec_b64 s[2:3], vcc
	s_cbranch_execz .LBB1412_46
; %bb.45:
	v_add_u32_e32 v6, -8, v1
	ds_read_b64 v[6:7], v6
.LBB1412_46:
	s_or_b64 exec, exec, s[2:3]
	v_cmp_gt_u32_e32 vcc, s7, v16
                                        ; implicit-def: $sgpr22_sgpr23
	s_and_saveexec_b64 s[20:21], vcc
	s_cbranch_execz .LBB1412_58
; %bb.47:
	v_cmp_lt_i64_e64 s[2:3], s[16:17], 1
	s_and_b64 vcc, exec, s[2:3]
	s_cbranch_vccnz .LBB1412_54
; %bb.48:
	v_mul_lo_u32 v12, v3, s16
	v_mul_lo_u32 v13, v2, s17
	v_mad_u64_u32 v[10:11], s[2:3], v2, s16, 0
	v_add3_u32 v11, v11, v13, v12
	s_waitcnt lgkmcnt(0)
	v_mul_lo_u32 v12, v7, s16
	v_mul_lo_u32 v13, v6, s17
	v_mad_u64_u32 v[6:7], s[2:3], v6, s16, 0
	v_lshlrev_b64 v[10:11], 1, v[10:11]
	v_add3_u32 v7, v7, v13, v12
	v_mov_b32_e32 v13, s19
	v_add_co_u32_e32 v12, vcc, s18, v10
	v_addc_co_u32_e64 v13, s[2:3], v13, v11, vcc
	v_lshlrev_b64 v[6:7], 1, v[6:7]
	v_mov_b32_e32 v10, s19
	v_add_co_u32_e64 v14, s[2:3], s18, v6
	v_addc_co_u32_e64 v15, s[4:5], v10, v7, s[2:3]
	global_load_ushort v6, v[12:13], off
	global_load_ushort v10, v[14:15], off
	s_mov_b64 s[28:29], -1
	s_waitcnt vmcnt(0)
	v_cmp_eq_u16_e64 s[4:5], v6, v10
	s_and_saveexec_b64 s[22:23], s[4:5]
	s_cbranch_execz .LBB1412_56
; %bb.49:
	v_mov_b32_e32 v6, s19
	v_addc_co_u32_e64 v7, s[2:3], v7, v6, s[2:3]
	v_add_co_u32_e64 v6, s[2:3], 2, v14
	v_mov_b32_e32 v10, s19
	v_addc_co_u32_e64 v7, s[2:3], 0, v7, s[2:3]
	v_addc_co_u32_e32 v11, vcc, v11, v10, vcc
	v_add_co_u32_e32 v10, vcc, 2, v12
	s_add_u32 s2, s16, -1
	v_addc_co_u32_e32 v11, vcc, 0, v11, vcc
	s_addc_u32 s3, s17, -1
	s_mov_b64 s[4:5], 0
	s_mov_b64 s[30:31], 0
                                        ; implicit-def: $sgpr28_sgpr29
	s_branch .LBB1412_52
.LBB1412_50:                            ;   in Loop: Header=BB1412_52 Depth=1
	global_load_ushort v12, v[10:11], off
	global_load_ushort v13, v[6:7], off
	v_add_co_u32_e32 v6, vcc, 2, v6
	v_addc_co_u32_e32 v7, vcc, 0, v7, vcc
	v_add_co_u32_e32 v10, vcc, 2, v10
	v_addc_co_u32_e32 v11, vcc, 0, v11, vcc
	s_add_u32 s30, s30, 1
	s_addc_u32 s31, s31, 0
	s_andn2_b64 s[28:29], s[28:29], exec
	s_waitcnt vmcnt(0)
	v_cmp_ne_u16_e32 vcc, v12, v13
	s_and_b64 s[34:35], vcc, exec
	s_or_b64 s[28:29], s[28:29], s[34:35]
.LBB1412_51:                            ;   in Loop: Header=BB1412_52 Depth=1
	s_and_b64 s[34:35], exec, s[28:29]
	s_or_b64 s[4:5], s[34:35], s[4:5]
	v_pk_mov_b32 v[12:13], s[30:31], s[30:31] op_sel:[0,1]
	s_andn2_b64 exec, exec, s[4:5]
	s_cbranch_execz .LBB1412_55
.LBB1412_52:                            ; =>This Inner Loop Header: Depth=1
	s_or_b64 s[28:29], s[28:29], exec
	s_cmp_eq_u64 s[2:3], s[30:31]
	s_cbranch_scc0 .LBB1412_50
; %bb.53:                               ;   in Loop: Header=BB1412_52 Depth=1
                                        ; implicit-def: $vgpr6_vgpr7
                                        ; implicit-def: $vgpr10_vgpr11
	s_mov_b64 s[30:31], s[16:17]
	s_branch .LBB1412_51
.LBB1412_54:
	s_mov_b64 s[28:29], 0
	s_branch .LBB1412_57
.LBB1412_55:
	s_or_b64 exec, exec, s[4:5]
	v_cmp_gt_i64_e32 vcc, s[16:17], v[12:13]
	s_orn2_b64 s[28:29], vcc, exec
.LBB1412_56:
	s_or_b64 exec, exec, s[22:23]
.LBB1412_57:
	s_and_b64 s[22:23], s[28:29], exec
	s_or_b64 s[24:25], s[24:25], exec
.LBB1412_58:
	s_or_b64 exec, exec, s[20:21]
.LBB1412_59:
	s_branch .LBB1412_108
.LBB1412_60:
	s_cmp_lg_u64 s[26:27], 1
	s_cbranch_scc0 .LBB1412_68
; %bb.61:
	v_cmp_lt_i64_e64 s[2:3], s[16:17], 1
	v_pk_mov_b32 v[8:9], 0, 0
	v_cmp_gt_i64_e64 s[26:27], s[16:17], 0
	s_and_b64 vcc, exec, s[2:3]
	ds_write_b64 v1, v[4:5]
	s_cbranch_vccnz .LBB1412_71
; %bb.62:
	v_mul_lo_u32 v8, v5, s16
	v_mul_lo_u32 v9, v4, s17
	s_waitcnt lgkmcnt(0)
	v_mad_u64_u32 v[6:7], s[2:3], v4, s16, 0
	v_add3_u32 v7, v7, v9, v8
	v_mul_lo_u32 v10, v3, s16
	v_mul_lo_u32 v11, v2, s17
	v_mad_u64_u32 v[8:9], s[2:3], v2, s16, 0
	v_add3_u32 v9, v9, v11, v10
	v_lshlrev_b64 v[10:11], 1, v[6:7]
	v_mov_b32_e32 v6, s19
	v_add_co_u32_e32 v12, vcc, s18, v10
	v_addc_co_u32_e64 v13, s[2:3], v6, v11, vcc
	v_lshlrev_b64 v[6:7], 1, v[8:9]
	v_mov_b32_e32 v8, s19
	v_add_co_u32_e64 v14, s[2:3], s18, v6
	v_addc_co_u32_e64 v15, s[4:5], v8, v7, s[2:3]
	global_load_ushort v6, v[12:13], off
	global_load_ushort v8, v[14:15], off
	s_waitcnt vmcnt(0)
	v_cmp_eq_u16_e64 s[4:5], v6, v8
	v_mov_b32_e32 v8, 1
	v_mov_b32_e32 v9, 0
	s_and_saveexec_b64 s[20:21], s[4:5]
	s_cbranch_execz .LBB1412_70
; %bb.63:
	v_mov_b32_e32 v6, s19
	v_addc_co_u32_e64 v7, s[2:3], v7, v6, s[2:3]
	v_add_co_u32_e64 v6, s[2:3], 2, v14
	v_mov_b32_e32 v8, s19
	v_addc_co_u32_e64 v7, s[2:3], 0, v7, s[2:3]
	v_addc_co_u32_e32 v9, vcc, v11, v8, vcc
	v_add_co_u32_e32 v8, vcc, 2, v12
	s_add_u32 s2, s16, -1
	v_addc_co_u32_e32 v9, vcc, 0, v9, vcc
	s_addc_u32 s3, s17, -1
	s_mov_b64 s[4:5], 0
	s_mov_b64 s[28:29], 0
                                        ; implicit-def: $sgpr22_sgpr23
	s_branch .LBB1412_66
.LBB1412_64:                            ;   in Loop: Header=BB1412_66 Depth=1
	global_load_ushort v10, v[8:9], off
	global_load_ushort v11, v[6:7], off
	v_add_co_u32_e32 v6, vcc, 2, v6
	v_addc_co_u32_e32 v7, vcc, 0, v7, vcc
	v_add_co_u32_e32 v8, vcc, 2, v8
	v_addc_co_u32_e32 v9, vcc, 0, v9, vcc
	s_add_u32 s28, s28, 1
	s_addc_u32 s29, s29, 0
	s_andn2_b64 s[22:23], s[22:23], exec
	s_waitcnt vmcnt(0)
	v_cmp_ne_u16_e32 vcc, v10, v11
	s_and_b64 s[30:31], vcc, exec
	s_or_b64 s[22:23], s[22:23], s[30:31]
.LBB1412_65:                            ;   in Loop: Header=BB1412_66 Depth=1
	s_and_b64 s[30:31], exec, s[22:23]
	s_or_b64 s[4:5], s[30:31], s[4:5]
	v_pk_mov_b32 v[10:11], s[28:29], s[28:29] op_sel:[0,1]
	s_andn2_b64 exec, exec, s[4:5]
	s_cbranch_execz .LBB1412_69
.LBB1412_66:                            ; =>This Inner Loop Header: Depth=1
	s_or_b64 s[22:23], s[22:23], exec
	s_cmp_eq_u64 s[2:3], s[28:29]
	s_cbranch_scc0 .LBB1412_64
; %bb.67:                               ;   in Loop: Header=BB1412_66 Depth=1
                                        ; implicit-def: $vgpr6_vgpr7
                                        ; implicit-def: $vgpr8_vgpr9
	s_mov_b64 s[28:29], s[16:17]
	s_branch .LBB1412_65
.LBB1412_68:
                                        ; implicit-def: $sgpr22_sgpr23
                                        ; implicit-def: $vgpr8_vgpr9
	s_cbranch_execnz .LBB1412_84
	s_branch .LBB1412_108
.LBB1412_69:
	s_or_b64 exec, exec, s[4:5]
	v_cmp_gt_i64_e32 vcc, s[16:17], v[10:11]
	s_mov_b32 s2, 0
	v_cndmask_b32_e64 v8, 0, 1, vcc
	v_mov_b32_e32 v9, s2
.LBB1412_70:
	s_or_b64 exec, exec, s[20:21]
.LBB1412_71:
	v_cmp_ne_u32_e32 vcc, 0, v0
	s_waitcnt lgkmcnt(0)
	s_barrier
	s_waitcnt lgkmcnt(0)
                                        ; implicit-def: $sgpr22_sgpr23
	s_and_saveexec_b64 s[20:21], vcc
	s_cbranch_execz .LBB1412_83
; %bb.72:
	s_andn2_b64 vcc, exec, s[26:27]
	s_cbranch_vccnz .LBB1412_79
; %bb.73:
	v_add_u32_e32 v6, -8, v1
	ds_read_b64 v[6:7], v6
	v_mul_lo_u32 v12, v3, s16
	v_mul_lo_u32 v13, v2, s17
	v_mad_u64_u32 v[10:11], s[2:3], v2, s16, 0
	v_add3_u32 v11, v11, v13, v12
	s_waitcnt lgkmcnt(0)
	v_mul_lo_u32 v12, v7, s16
	v_mul_lo_u32 v13, v6, s17
	v_mad_u64_u32 v[6:7], s[2:3], v6, s16, 0
	v_lshlrev_b64 v[10:11], 1, v[10:11]
	v_add3_u32 v7, v7, v13, v12
	v_mov_b32_e32 v13, s19
	v_add_co_u32_e32 v12, vcc, s18, v10
	v_addc_co_u32_e64 v13, s[2:3], v13, v11, vcc
	v_lshlrev_b64 v[6:7], 1, v[6:7]
	v_mov_b32_e32 v10, s19
	v_add_co_u32_e64 v14, s[2:3], s18, v6
	v_addc_co_u32_e64 v15, s[4:5], v10, v7, s[2:3]
	global_load_ushort v6, v[12:13], off
	global_load_ushort v10, v[14:15], off
	s_mov_b64 s[26:27], -1
	s_waitcnt vmcnt(0)
	v_cmp_eq_u16_e64 s[4:5], v6, v10
	s_and_saveexec_b64 s[22:23], s[4:5]
	s_cbranch_execz .LBB1412_81
; %bb.74:
	v_mov_b32_e32 v6, s19
	v_addc_co_u32_e64 v7, s[2:3], v7, v6, s[2:3]
	v_add_co_u32_e64 v6, s[2:3], 2, v14
	v_mov_b32_e32 v10, s19
	v_addc_co_u32_e64 v7, s[2:3], 0, v7, s[2:3]
	v_addc_co_u32_e32 v11, vcc, v11, v10, vcc
	v_add_co_u32_e32 v10, vcc, 2, v12
	s_add_u32 s2, s16, -1
	v_addc_co_u32_e32 v11, vcc, 0, v11, vcc
	s_addc_u32 s3, s17, -1
	s_mov_b64 s[4:5], 0
	s_mov_b64 s[28:29], 0
                                        ; implicit-def: $sgpr26_sgpr27
	s_branch .LBB1412_77
.LBB1412_75:                            ;   in Loop: Header=BB1412_77 Depth=1
	global_load_ushort v12, v[10:11], off
	global_load_ushort v13, v[6:7], off
	v_add_co_u32_e32 v6, vcc, 2, v6
	v_addc_co_u32_e32 v7, vcc, 0, v7, vcc
	v_add_co_u32_e32 v10, vcc, 2, v10
	v_addc_co_u32_e32 v11, vcc, 0, v11, vcc
	s_add_u32 s28, s28, 1
	s_addc_u32 s29, s29, 0
	s_andn2_b64 s[26:27], s[26:27], exec
	s_waitcnt vmcnt(0)
	v_cmp_ne_u16_e32 vcc, v12, v13
	s_and_b64 s[30:31], vcc, exec
	s_or_b64 s[26:27], s[26:27], s[30:31]
.LBB1412_76:                            ;   in Loop: Header=BB1412_77 Depth=1
	s_and_b64 s[30:31], exec, s[26:27]
	s_or_b64 s[4:5], s[30:31], s[4:5]
	v_pk_mov_b32 v[12:13], s[28:29], s[28:29] op_sel:[0,1]
	s_andn2_b64 exec, exec, s[4:5]
	s_cbranch_execz .LBB1412_80
.LBB1412_77:                            ; =>This Inner Loop Header: Depth=1
	s_or_b64 s[26:27], s[26:27], exec
	s_cmp_eq_u64 s[2:3], s[28:29]
	s_cbranch_scc0 .LBB1412_75
; %bb.78:                               ;   in Loop: Header=BB1412_77 Depth=1
                                        ; implicit-def: $vgpr6_vgpr7
                                        ; implicit-def: $vgpr10_vgpr11
	s_mov_b64 s[28:29], s[16:17]
	s_branch .LBB1412_76
.LBB1412_79:
	s_mov_b64 s[26:27], 0
	s_branch .LBB1412_82
.LBB1412_80:
	s_or_b64 exec, exec, s[4:5]
	v_cmp_gt_i64_e32 vcc, s[16:17], v[12:13]
	s_orn2_b64 s[26:27], vcc, exec
.LBB1412_81:
	s_or_b64 exec, exec, s[22:23]
.LBB1412_82:
	s_and_b64 s[22:23], s[26:27], exec
	s_or_b64 s[24:25], s[24:25], exec
.LBB1412_83:
	s_or_b64 exec, exec, s[20:21]
	s_branch .LBB1412_108
.LBB1412_84:
	v_lshlrev_b32_e32 v14, 1, v0
	s_waitcnt lgkmcnt(0)
	v_or_b32_e32 v6, 1, v14
	v_cmp_gt_u32_e32 vcc, s14, v6
	v_cmp_lt_i64_e64 s[20:21], s[16:17], 1
	v_pk_mov_b32 v[8:9], v[4:5], v[4:5] op_sel:[0,1]
	ds_write_b64 v1, v[4:5]
	v_pk_mov_b32 v[6:7], v[2:3], v[2:3] op_sel:[0,1]
	s_and_saveexec_b64 s[22:23], vcc
	s_cbranch_execz .LBB1412_95
; %bb.85:
	s_and_b64 vcc, exec, s[20:21]
	s_cbranch_vccnz .LBB1412_92
; %bb.86:
	v_mul_lo_u32 v6, v5, s16
	v_mul_lo_u32 v7, v4, s17
	v_mad_u64_u32 v[4:5], s[2:3], v4, s16, 0
	v_add3_u32 v5, v5, v7, v6
	v_mul_lo_u32 v6, v3, s16
	v_mul_lo_u32 v7, v2, s17
	v_mad_u64_u32 v[8:9], s[2:3], v2, s16, 0
	v_add3_u32 v9, v9, v7, v6
	v_lshlrev_b64 v[6:7], 1, v[4:5]
	v_mov_b32_e32 v4, s19
	v_add_co_u32_e32 v10, vcc, s18, v6
	v_addc_co_u32_e64 v11, s[2:3], v4, v7, vcc
	v_lshlrev_b64 v[4:5], 1, v[8:9]
	v_mov_b32_e32 v6, s19
	v_add_co_u32_e64 v12, s[2:3], s18, v4
	v_addc_co_u32_e64 v13, s[4:5], v6, v5, s[2:3]
	global_load_ushort v4, v[10:11], off
	global_load_ushort v6, v[12:13], off
	v_mov_b32_e32 v8, 1
	v_mov_b32_e32 v9, 0
	s_waitcnt vmcnt(0)
	v_cmp_eq_u16_e64 s[4:5], v4, v6
	s_and_saveexec_b64 s[26:27], s[4:5]
	s_cbranch_execz .LBB1412_94
; %bb.87:
	v_mov_b32_e32 v4, s19
	v_addc_co_u32_e64 v5, s[2:3], v5, v4, s[2:3]
	v_add_co_u32_e64 v4, s[2:3], 2, v12
	v_mov_b32_e32 v6, s19
	v_addc_co_u32_e64 v5, s[2:3], 0, v5, s[2:3]
	v_addc_co_u32_e32 v7, vcc, v7, v6, vcc
	v_add_co_u32_e32 v6, vcc, 2, v10
	s_add_u32 s2, s16, -1
	v_addc_co_u32_e32 v7, vcc, 0, v7, vcc
	s_addc_u32 s3, s17, -1
	s_mov_b64 s[4:5], 0
	s_mov_b64 s[30:31], 0
                                        ; implicit-def: $sgpr28_sgpr29
	s_branch .LBB1412_90
.LBB1412_88:                            ;   in Loop: Header=BB1412_90 Depth=1
	global_load_ushort v8, v[6:7], off
	global_load_ushort v9, v[4:5], off
	v_add_co_u32_e32 v4, vcc, 2, v4
	v_addc_co_u32_e32 v5, vcc, 0, v5, vcc
	v_add_co_u32_e32 v6, vcc, 2, v6
	v_addc_co_u32_e32 v7, vcc, 0, v7, vcc
	s_add_u32 s30, s30, 1
	s_addc_u32 s31, s31, 0
	s_andn2_b64 s[28:29], s[28:29], exec
	s_waitcnt vmcnt(0)
	v_cmp_ne_u16_e32 vcc, v8, v9
	s_and_b64 s[34:35], vcc, exec
	s_or_b64 s[28:29], s[28:29], s[34:35]
.LBB1412_89:                            ;   in Loop: Header=BB1412_90 Depth=1
	s_and_b64 s[34:35], exec, s[28:29]
	s_or_b64 s[4:5], s[34:35], s[4:5]
	v_pk_mov_b32 v[8:9], s[30:31], s[30:31] op_sel:[0,1]
	s_andn2_b64 exec, exec, s[4:5]
	s_cbranch_execz .LBB1412_93
.LBB1412_90:                            ; =>This Inner Loop Header: Depth=1
	s_or_b64 s[28:29], s[28:29], exec
	s_cmp_eq_u64 s[2:3], s[30:31]
	s_cbranch_scc0 .LBB1412_88
; %bb.91:                               ;   in Loop: Header=BB1412_90 Depth=1
                                        ; implicit-def: $vgpr4_vgpr5
                                        ; implicit-def: $vgpr6_vgpr7
	s_mov_b64 s[30:31], s[16:17]
	s_branch .LBB1412_89
.LBB1412_92:
	v_pk_mov_b32 v[8:9], 0, 0
	s_branch .LBB1412_95
.LBB1412_93:
	s_or_b64 exec, exec, s[4:5]
	v_cmp_gt_i64_e32 vcc, s[16:17], v[8:9]
	s_mov_b32 s2, 0
	v_cndmask_b32_e64 v8, 0, 1, vcc
	v_mov_b32_e32 v9, s2
.LBB1412_94:
	s_or_b64 exec, exec, s[26:27]
.LBB1412_95:
	s_or_b64 exec, exec, s[22:23]
	v_cmp_ne_u32_e32 vcc, 0, v0
	v_cmp_gt_u32_e64 s[2:3], s14, v14
	s_and_b64 s[2:3], vcc, s[2:3]
	s_waitcnt lgkmcnt(0)
	s_barrier
	s_waitcnt lgkmcnt(0)
                                        ; implicit-def: $sgpr22_sgpr23
	s_and_saveexec_b64 s[26:27], s[2:3]
	s_cbranch_execz .LBB1412_107
; %bb.96:
	s_and_b64 vcc, exec, s[20:21]
	s_cbranch_vccnz .LBB1412_103
; %bb.97:
	v_mul_lo_u32 v6, v3, s16
	v_add_u32_e32 v3, -8, v1
	ds_read_b64 v[4:5], v3
	v_mul_lo_u32 v7, v2, s17
	v_mad_u64_u32 v[2:3], s[2:3], v2, s16, 0
	v_add3_u32 v3, v3, v7, v6
	s_waitcnt lgkmcnt(0)
	v_mul_lo_u32 v5, v5, s16
	v_mul_lo_u32 v6, v4, s17
	v_mad_u64_u32 v[10:11], s[2:3], v4, s16, 0
	v_add3_u32 v11, v11, v6, v5
	v_lshlrev_b64 v[4:5], 1, v[2:3]
	v_mov_b32_e32 v2, s19
	v_add_co_u32_e32 v6, vcc, s18, v4
	v_addc_co_u32_e64 v7, s[2:3], v2, v5, vcc
	v_lshlrev_b64 v[2:3], 1, v[10:11]
	v_mov_b32_e32 v4, s19
	v_add_co_u32_e64 v10, s[2:3], s18, v2
	v_addc_co_u32_e64 v11, s[4:5], v4, v3, s[2:3]
	global_load_ushort v2, v[6:7], off
	global_load_ushort v4, v[10:11], off
	s_mov_b64 s[22:23], -1
	s_waitcnt vmcnt(0)
	v_cmp_eq_u16_e64 s[4:5], v2, v4
	s_and_saveexec_b64 s[20:21], s[4:5]
	s_cbranch_execz .LBB1412_105
; %bb.98:
	v_mov_b32_e32 v2, s19
	v_addc_co_u32_e64 v3, s[2:3], v3, v2, s[2:3]
	v_add_co_u32_e64 v2, s[2:3], 2, v10
	v_mov_b32_e32 v4, s19
	v_addc_co_u32_e64 v3, s[2:3], 0, v3, s[2:3]
	v_addc_co_u32_e32 v5, vcc, v5, v4, vcc
	v_add_co_u32_e32 v4, vcc, 2, v6
	s_add_u32 s2, s16, -1
	v_addc_co_u32_e32 v5, vcc, 0, v5, vcc
	s_addc_u32 s3, s17, -1
	s_mov_b64 s[4:5], 0
	s_mov_b64 s[22:23], 0
                                        ; implicit-def: $sgpr18_sgpr19
	s_branch .LBB1412_101
.LBB1412_99:                            ;   in Loop: Header=BB1412_101 Depth=1
	global_load_ushort v6, v[4:5], off
	global_load_ushort v7, v[2:3], off
	v_add_co_u32_e32 v2, vcc, 2, v2
	v_addc_co_u32_e32 v3, vcc, 0, v3, vcc
	v_add_co_u32_e32 v4, vcc, 2, v4
	v_addc_co_u32_e32 v5, vcc, 0, v5, vcc
	s_add_u32 s22, s22, 1
	s_addc_u32 s23, s23, 0
	s_andn2_b64 s[18:19], s[18:19], exec
	s_waitcnt vmcnt(0)
	v_cmp_ne_u16_e32 vcc, v6, v7
	s_and_b64 s[28:29], vcc, exec
	s_or_b64 s[18:19], s[18:19], s[28:29]
.LBB1412_100:                           ;   in Loop: Header=BB1412_101 Depth=1
	s_and_b64 s[28:29], exec, s[18:19]
	s_or_b64 s[4:5], s[28:29], s[4:5]
	v_pk_mov_b32 v[6:7], s[22:23], s[22:23] op_sel:[0,1]
	s_andn2_b64 exec, exec, s[4:5]
	s_cbranch_execz .LBB1412_104
.LBB1412_101:                           ; =>This Inner Loop Header: Depth=1
	s_or_b64 s[18:19], s[18:19], exec
	s_cmp_eq_u64 s[2:3], s[22:23]
	s_cbranch_scc0 .LBB1412_99
; %bb.102:                              ;   in Loop: Header=BB1412_101 Depth=1
                                        ; implicit-def: $vgpr2_vgpr3
                                        ; implicit-def: $vgpr4_vgpr5
	s_mov_b64 s[22:23], s[16:17]
	s_branch .LBB1412_100
.LBB1412_103:
	s_mov_b64 s[22:23], 0
	s_branch .LBB1412_106
.LBB1412_104:
	s_or_b64 exec, exec, s[4:5]
	v_cmp_gt_i64_e32 vcc, s[16:17], v[6:7]
	s_orn2_b64 s[22:23], vcc, exec
.LBB1412_105:
	s_or_b64 exec, exec, s[20:21]
.LBB1412_106:
	s_and_b64 s[22:23], s[22:23], exec
	s_or_b64 s[24:25], s[24:25], exec
                                        ; implicit-def: $vgpr2_vgpr3
.LBB1412_107:
	s_or_b64 exec, exec, s[26:27]
.LBB1412_108:
	s_and_saveexec_b64 s[2:3], s[24:25]
; %bb.109:
	s_mov_b32 s4, 0
	v_cndmask_b32_e64 v2, 0, 1, s[22:23]
	v_mov_b32_e32 v3, s4
; %bb.110:
	s_or_b64 exec, exec, s[2:3]
	s_add_u32 s4, s12, s10
	s_addc_u32 s5, s13, s11
	s_and_b64 vcc, exec, s[0:1]
	v_lshrrev_b32_e32 v10, 1, v0
	s_waitcnt lgkmcnt(0)
	s_barrier
	s_cbranch_vccz .LBB1412_114
; %bb.111:
	v_and_b32_e32 v4, 0xf8, v10
	v_lshl_add_u32 v6, v0, 4, v4
	v_mov_b32_e32 v4, v8
	v_mov_b32_e32 v5, v9
	v_or_b32_e32 v11, 0x200, v0
	s_lshl_b32 s0, s6, 10
	s_mov_b32 s9, 0
	ds_write2_b64 v6, v[2:3], v[4:5] offset1:1
	v_lshrrev_b32_e32 v4, 5, v11
	s_sub_i32 s2, s14, s0
	s_lshl_b64 s[0:1], s[8:9], 3
	v_add_lshl_u32 v4, v4, v0, 3
	s_add_u32 s0, s4, s0
	s_waitcnt lgkmcnt(0)
	s_barrier
	ds_read_b64 v[4:5], v4 offset:4096
	s_addc_u32 s1, s5, s1
	v_mov_b32_e32 v7, s1
	v_add_co_u32_e32 v6, vcc, s0, v1
	v_addc_co_u32_e32 v7, vcc, 0, v7, vcc
	v_cmp_gt_u32_e32 vcc, s2, v0
	s_and_saveexec_b64 s[0:1], vcc
	s_cbranch_execz .LBB1412_113
; %bb.112:
	v_lshrrev_b32_e32 v12, 5, v0
	v_add_lshl_u32 v12, v12, v0, 3
	ds_read_b64 v[12:13], v12
	s_waitcnt lgkmcnt(0)
	global_store_dwordx2 v[6:7], v[12:13], off
.LBB1412_113:
	s_or_b64 exec, exec, s[0:1]
	v_cmp_gt_u32_e64 s[0:1], s2, v11
	s_branch .LBB1412_116
.LBB1412_114:
	s_mov_b64 s[0:1], 0
                                        ; implicit-def: $vgpr4_vgpr5
                                        ; implicit-def: $vgpr6_vgpr7
	s_cbranch_execz .LBB1412_116
; %bb.115:
	s_waitcnt lgkmcnt(0)
	v_and_b32_e32 v4, 0xf8, v10
	v_lshl_add_u32 v6, v0, 4, v4
	v_mov_b32_e32 v4, v8
	v_mov_b32_e32 v5, v9
	s_mov_b32 s9, 0
	ds_write2_b64 v6, v[2:3], v[4:5] offset1:1
	v_lshrrev_b32_e32 v2, 5, v0
	v_or_b32_e32 v3, 0x200, v0
	s_lshl_b64 s[2:3], s[8:9], 3
	v_add_lshl_u32 v2, v2, v0, 3
	v_lshrrev_b32_e32 v3, 5, v3
	s_add_u32 s2, s4, s2
	s_waitcnt lgkmcnt(0)
	s_barrier
	v_add_lshl_u32 v0, v3, v0, 3
	ds_read_b64 v[2:3], v2
	ds_read_b64 v[4:5], v0 offset:4096
	s_addc_u32 s3, s5, s3
	v_mov_b32_e32 v0, s3
	v_add_co_u32_e32 v6, vcc, s2, v1
	v_addc_co_u32_e32 v7, vcc, 0, v0, vcc
	s_or_b64 s[0:1], s[0:1], exec
	s_waitcnt lgkmcnt(1)
	global_store_dwordx2 v1, v[2:3], s[2:3]
.LBB1412_116:
	s_and_saveexec_b64 s[2:3], s[0:1]
	s_cbranch_execnz .LBB1412_118
; %bb.117:
	s_endpgm
.LBB1412_118:
	v_add_co_u32_e32 v0, vcc, 0x1000, v6
	v_addc_co_u32_e32 v1, vcc, 0, v7, vcc
	s_waitcnt lgkmcnt(0)
	global_store_dwordx2 v[0:1], v[4:5], off
	s_endpgm
	.section	.rodata,"a",@progbits
	.p2align	6, 0x0
	.amdhsa_kernel _ZN7rocprim17ROCPRIM_400000_NS6detail17trampoline_kernelINS0_14default_configENS1_35adjacent_difference_config_selectorILb1ElEEZNS1_24adjacent_difference_implIS3_Lb1ELb0EPlS7_ZN2at6native12_GLOBAL__N_124unique_dim_cuda_templateItEESt5tupleIJNS8_6TensorESD_SD_EERKSD_lbbbEUlllE1_EE10hipError_tPvRmT2_T3_mT4_P12ihipStream_tbEUlT_E_NS1_11comp_targetILNS1_3genE4ELNS1_11target_archE910ELNS1_3gpuE8ELNS1_3repE0EEENS1_30default_config_static_selectorELNS0_4arch9wavefront6targetE1EEEvT1_
		.amdhsa_group_segment_fixed_size 8448
		.amdhsa_private_segment_fixed_size 0
		.amdhsa_kernarg_size 64
		.amdhsa_user_sgpr_count 6
		.amdhsa_user_sgpr_private_segment_buffer 1
		.amdhsa_user_sgpr_dispatch_ptr 0
		.amdhsa_user_sgpr_queue_ptr 0
		.amdhsa_user_sgpr_kernarg_segment_ptr 1
		.amdhsa_user_sgpr_dispatch_id 0
		.amdhsa_user_sgpr_flat_scratch_init 0
		.amdhsa_user_sgpr_kernarg_preload_length 0
		.amdhsa_user_sgpr_kernarg_preload_offset 0
		.amdhsa_user_sgpr_private_segment_size 0
		.amdhsa_uses_dynamic_stack 0
		.amdhsa_system_sgpr_private_segment_wavefront_offset 0
		.amdhsa_system_sgpr_workgroup_id_x 1
		.amdhsa_system_sgpr_workgroup_id_y 0
		.amdhsa_system_sgpr_workgroup_id_z 0
		.amdhsa_system_sgpr_workgroup_info 0
		.amdhsa_system_vgpr_workitem_id 0
		.amdhsa_next_free_vgpr 17
		.amdhsa_next_free_sgpr 38
		.amdhsa_accum_offset 20
		.amdhsa_reserve_vcc 1
		.amdhsa_reserve_flat_scratch 0
		.amdhsa_float_round_mode_32 0
		.amdhsa_float_round_mode_16_64 0
		.amdhsa_float_denorm_mode_32 3
		.amdhsa_float_denorm_mode_16_64 3
		.amdhsa_dx10_clamp 1
		.amdhsa_ieee_mode 1
		.amdhsa_fp16_overflow 0
		.amdhsa_tg_split 0
		.amdhsa_exception_fp_ieee_invalid_op 0
		.amdhsa_exception_fp_denorm_src 0
		.amdhsa_exception_fp_ieee_div_zero 0
		.amdhsa_exception_fp_ieee_overflow 0
		.amdhsa_exception_fp_ieee_underflow 0
		.amdhsa_exception_fp_ieee_inexact 0
		.amdhsa_exception_int_div_zero 0
	.end_amdhsa_kernel
	.section	.text._ZN7rocprim17ROCPRIM_400000_NS6detail17trampoline_kernelINS0_14default_configENS1_35adjacent_difference_config_selectorILb1ElEEZNS1_24adjacent_difference_implIS3_Lb1ELb0EPlS7_ZN2at6native12_GLOBAL__N_124unique_dim_cuda_templateItEESt5tupleIJNS8_6TensorESD_SD_EERKSD_lbbbEUlllE1_EE10hipError_tPvRmT2_T3_mT4_P12ihipStream_tbEUlT_E_NS1_11comp_targetILNS1_3genE4ELNS1_11target_archE910ELNS1_3gpuE8ELNS1_3repE0EEENS1_30default_config_static_selectorELNS0_4arch9wavefront6targetE1EEEvT1_,"axG",@progbits,_ZN7rocprim17ROCPRIM_400000_NS6detail17trampoline_kernelINS0_14default_configENS1_35adjacent_difference_config_selectorILb1ElEEZNS1_24adjacent_difference_implIS3_Lb1ELb0EPlS7_ZN2at6native12_GLOBAL__N_124unique_dim_cuda_templateItEESt5tupleIJNS8_6TensorESD_SD_EERKSD_lbbbEUlllE1_EE10hipError_tPvRmT2_T3_mT4_P12ihipStream_tbEUlT_E_NS1_11comp_targetILNS1_3genE4ELNS1_11target_archE910ELNS1_3gpuE8ELNS1_3repE0EEENS1_30default_config_static_selectorELNS0_4arch9wavefront6targetE1EEEvT1_,comdat
.Lfunc_end1412:
	.size	_ZN7rocprim17ROCPRIM_400000_NS6detail17trampoline_kernelINS0_14default_configENS1_35adjacent_difference_config_selectorILb1ElEEZNS1_24adjacent_difference_implIS3_Lb1ELb0EPlS7_ZN2at6native12_GLOBAL__N_124unique_dim_cuda_templateItEESt5tupleIJNS8_6TensorESD_SD_EERKSD_lbbbEUlllE1_EE10hipError_tPvRmT2_T3_mT4_P12ihipStream_tbEUlT_E_NS1_11comp_targetILNS1_3genE4ELNS1_11target_archE910ELNS1_3gpuE8ELNS1_3repE0EEENS1_30default_config_static_selectorELNS0_4arch9wavefront6targetE1EEEvT1_, .Lfunc_end1412-_ZN7rocprim17ROCPRIM_400000_NS6detail17trampoline_kernelINS0_14default_configENS1_35adjacent_difference_config_selectorILb1ElEEZNS1_24adjacent_difference_implIS3_Lb1ELb0EPlS7_ZN2at6native12_GLOBAL__N_124unique_dim_cuda_templateItEESt5tupleIJNS8_6TensorESD_SD_EERKSD_lbbbEUlllE1_EE10hipError_tPvRmT2_T3_mT4_P12ihipStream_tbEUlT_E_NS1_11comp_targetILNS1_3genE4ELNS1_11target_archE910ELNS1_3gpuE8ELNS1_3repE0EEENS1_30default_config_static_selectorELNS0_4arch9wavefront6targetE1EEEvT1_
                                        ; -- End function
	.section	.AMDGPU.csdata,"",@progbits
; Kernel info:
; codeLenInByte = 4304
; NumSgprs: 42
; NumVgprs: 17
; NumAgprs: 0
; TotalNumVgprs: 17
; ScratchSize: 0
; MemoryBound: 0
; FloatMode: 240
; IeeeMode: 1
; LDSByteSize: 8448 bytes/workgroup (compile time only)
; SGPRBlocks: 5
; VGPRBlocks: 2
; NumSGPRsForWavesPerEU: 42
; NumVGPRsForWavesPerEU: 17
; AccumOffset: 20
; Occupancy: 8
; WaveLimiterHint : 1
; COMPUTE_PGM_RSRC2:SCRATCH_EN: 0
; COMPUTE_PGM_RSRC2:USER_SGPR: 6
; COMPUTE_PGM_RSRC2:TRAP_HANDLER: 0
; COMPUTE_PGM_RSRC2:TGID_X_EN: 1
; COMPUTE_PGM_RSRC2:TGID_Y_EN: 0
; COMPUTE_PGM_RSRC2:TGID_Z_EN: 0
; COMPUTE_PGM_RSRC2:TIDIG_COMP_CNT: 0
; COMPUTE_PGM_RSRC3_GFX90A:ACCUM_OFFSET: 4
; COMPUTE_PGM_RSRC3_GFX90A:TG_SPLIT: 0
	.section	.text._ZN7rocprim17ROCPRIM_400000_NS6detail17trampoline_kernelINS0_14default_configENS1_35adjacent_difference_config_selectorILb1ElEEZNS1_24adjacent_difference_implIS3_Lb1ELb0EPlS7_ZN2at6native12_GLOBAL__N_124unique_dim_cuda_templateItEESt5tupleIJNS8_6TensorESD_SD_EERKSD_lbbbEUlllE1_EE10hipError_tPvRmT2_T3_mT4_P12ihipStream_tbEUlT_E_NS1_11comp_targetILNS1_3genE3ELNS1_11target_archE908ELNS1_3gpuE7ELNS1_3repE0EEENS1_30default_config_static_selectorELNS0_4arch9wavefront6targetE1EEEvT1_,"axG",@progbits,_ZN7rocprim17ROCPRIM_400000_NS6detail17trampoline_kernelINS0_14default_configENS1_35adjacent_difference_config_selectorILb1ElEEZNS1_24adjacent_difference_implIS3_Lb1ELb0EPlS7_ZN2at6native12_GLOBAL__N_124unique_dim_cuda_templateItEESt5tupleIJNS8_6TensorESD_SD_EERKSD_lbbbEUlllE1_EE10hipError_tPvRmT2_T3_mT4_P12ihipStream_tbEUlT_E_NS1_11comp_targetILNS1_3genE3ELNS1_11target_archE908ELNS1_3gpuE7ELNS1_3repE0EEENS1_30default_config_static_selectorELNS0_4arch9wavefront6targetE1EEEvT1_,comdat
	.globl	_ZN7rocprim17ROCPRIM_400000_NS6detail17trampoline_kernelINS0_14default_configENS1_35adjacent_difference_config_selectorILb1ElEEZNS1_24adjacent_difference_implIS3_Lb1ELb0EPlS7_ZN2at6native12_GLOBAL__N_124unique_dim_cuda_templateItEESt5tupleIJNS8_6TensorESD_SD_EERKSD_lbbbEUlllE1_EE10hipError_tPvRmT2_T3_mT4_P12ihipStream_tbEUlT_E_NS1_11comp_targetILNS1_3genE3ELNS1_11target_archE908ELNS1_3gpuE7ELNS1_3repE0EEENS1_30default_config_static_selectorELNS0_4arch9wavefront6targetE1EEEvT1_ ; -- Begin function _ZN7rocprim17ROCPRIM_400000_NS6detail17trampoline_kernelINS0_14default_configENS1_35adjacent_difference_config_selectorILb1ElEEZNS1_24adjacent_difference_implIS3_Lb1ELb0EPlS7_ZN2at6native12_GLOBAL__N_124unique_dim_cuda_templateItEESt5tupleIJNS8_6TensorESD_SD_EERKSD_lbbbEUlllE1_EE10hipError_tPvRmT2_T3_mT4_P12ihipStream_tbEUlT_E_NS1_11comp_targetILNS1_3genE3ELNS1_11target_archE908ELNS1_3gpuE7ELNS1_3repE0EEENS1_30default_config_static_selectorELNS0_4arch9wavefront6targetE1EEEvT1_
	.p2align	8
	.type	_ZN7rocprim17ROCPRIM_400000_NS6detail17trampoline_kernelINS0_14default_configENS1_35adjacent_difference_config_selectorILb1ElEEZNS1_24adjacent_difference_implIS3_Lb1ELb0EPlS7_ZN2at6native12_GLOBAL__N_124unique_dim_cuda_templateItEESt5tupleIJNS8_6TensorESD_SD_EERKSD_lbbbEUlllE1_EE10hipError_tPvRmT2_T3_mT4_P12ihipStream_tbEUlT_E_NS1_11comp_targetILNS1_3genE3ELNS1_11target_archE908ELNS1_3gpuE7ELNS1_3repE0EEENS1_30default_config_static_selectorELNS0_4arch9wavefront6targetE1EEEvT1_,@function
_ZN7rocprim17ROCPRIM_400000_NS6detail17trampoline_kernelINS0_14default_configENS1_35adjacent_difference_config_selectorILb1ElEEZNS1_24adjacent_difference_implIS3_Lb1ELb0EPlS7_ZN2at6native12_GLOBAL__N_124unique_dim_cuda_templateItEESt5tupleIJNS8_6TensorESD_SD_EERKSD_lbbbEUlllE1_EE10hipError_tPvRmT2_T3_mT4_P12ihipStream_tbEUlT_E_NS1_11comp_targetILNS1_3genE3ELNS1_11target_archE908ELNS1_3gpuE7ELNS1_3repE0EEENS1_30default_config_static_selectorELNS0_4arch9wavefront6targetE1EEEvT1_: ; @_ZN7rocprim17ROCPRIM_400000_NS6detail17trampoline_kernelINS0_14default_configENS1_35adjacent_difference_config_selectorILb1ElEEZNS1_24adjacent_difference_implIS3_Lb1ELb0EPlS7_ZN2at6native12_GLOBAL__N_124unique_dim_cuda_templateItEESt5tupleIJNS8_6TensorESD_SD_EERKSD_lbbbEUlllE1_EE10hipError_tPvRmT2_T3_mT4_P12ihipStream_tbEUlT_E_NS1_11comp_targetILNS1_3genE3ELNS1_11target_archE908ELNS1_3gpuE7ELNS1_3repE0EEENS1_30default_config_static_selectorELNS0_4arch9wavefront6targetE1EEEvT1_
; %bb.0:
	.section	.rodata,"a",@progbits
	.p2align	6, 0x0
	.amdhsa_kernel _ZN7rocprim17ROCPRIM_400000_NS6detail17trampoline_kernelINS0_14default_configENS1_35adjacent_difference_config_selectorILb1ElEEZNS1_24adjacent_difference_implIS3_Lb1ELb0EPlS7_ZN2at6native12_GLOBAL__N_124unique_dim_cuda_templateItEESt5tupleIJNS8_6TensorESD_SD_EERKSD_lbbbEUlllE1_EE10hipError_tPvRmT2_T3_mT4_P12ihipStream_tbEUlT_E_NS1_11comp_targetILNS1_3genE3ELNS1_11target_archE908ELNS1_3gpuE7ELNS1_3repE0EEENS1_30default_config_static_selectorELNS0_4arch9wavefront6targetE1EEEvT1_
		.amdhsa_group_segment_fixed_size 0
		.amdhsa_private_segment_fixed_size 0
		.amdhsa_kernarg_size 64
		.amdhsa_user_sgpr_count 6
		.amdhsa_user_sgpr_private_segment_buffer 1
		.amdhsa_user_sgpr_dispatch_ptr 0
		.amdhsa_user_sgpr_queue_ptr 0
		.amdhsa_user_sgpr_kernarg_segment_ptr 1
		.amdhsa_user_sgpr_dispatch_id 0
		.amdhsa_user_sgpr_flat_scratch_init 0
		.amdhsa_user_sgpr_kernarg_preload_length 0
		.amdhsa_user_sgpr_kernarg_preload_offset 0
		.amdhsa_user_sgpr_private_segment_size 0
		.amdhsa_uses_dynamic_stack 0
		.amdhsa_system_sgpr_private_segment_wavefront_offset 0
		.amdhsa_system_sgpr_workgroup_id_x 1
		.amdhsa_system_sgpr_workgroup_id_y 0
		.amdhsa_system_sgpr_workgroup_id_z 0
		.amdhsa_system_sgpr_workgroup_info 0
		.amdhsa_system_vgpr_workitem_id 0
		.amdhsa_next_free_vgpr 1
		.amdhsa_next_free_sgpr 0
		.amdhsa_accum_offset 4
		.amdhsa_reserve_vcc 0
		.amdhsa_reserve_flat_scratch 0
		.amdhsa_float_round_mode_32 0
		.amdhsa_float_round_mode_16_64 0
		.amdhsa_float_denorm_mode_32 3
		.amdhsa_float_denorm_mode_16_64 3
		.amdhsa_dx10_clamp 1
		.amdhsa_ieee_mode 1
		.amdhsa_fp16_overflow 0
		.amdhsa_tg_split 0
		.amdhsa_exception_fp_ieee_invalid_op 0
		.amdhsa_exception_fp_denorm_src 0
		.amdhsa_exception_fp_ieee_div_zero 0
		.amdhsa_exception_fp_ieee_overflow 0
		.amdhsa_exception_fp_ieee_underflow 0
		.amdhsa_exception_fp_ieee_inexact 0
		.amdhsa_exception_int_div_zero 0
	.end_amdhsa_kernel
	.section	.text._ZN7rocprim17ROCPRIM_400000_NS6detail17trampoline_kernelINS0_14default_configENS1_35adjacent_difference_config_selectorILb1ElEEZNS1_24adjacent_difference_implIS3_Lb1ELb0EPlS7_ZN2at6native12_GLOBAL__N_124unique_dim_cuda_templateItEESt5tupleIJNS8_6TensorESD_SD_EERKSD_lbbbEUlllE1_EE10hipError_tPvRmT2_T3_mT4_P12ihipStream_tbEUlT_E_NS1_11comp_targetILNS1_3genE3ELNS1_11target_archE908ELNS1_3gpuE7ELNS1_3repE0EEENS1_30default_config_static_selectorELNS0_4arch9wavefront6targetE1EEEvT1_,"axG",@progbits,_ZN7rocprim17ROCPRIM_400000_NS6detail17trampoline_kernelINS0_14default_configENS1_35adjacent_difference_config_selectorILb1ElEEZNS1_24adjacent_difference_implIS3_Lb1ELb0EPlS7_ZN2at6native12_GLOBAL__N_124unique_dim_cuda_templateItEESt5tupleIJNS8_6TensorESD_SD_EERKSD_lbbbEUlllE1_EE10hipError_tPvRmT2_T3_mT4_P12ihipStream_tbEUlT_E_NS1_11comp_targetILNS1_3genE3ELNS1_11target_archE908ELNS1_3gpuE7ELNS1_3repE0EEENS1_30default_config_static_selectorELNS0_4arch9wavefront6targetE1EEEvT1_,comdat
.Lfunc_end1413:
	.size	_ZN7rocprim17ROCPRIM_400000_NS6detail17trampoline_kernelINS0_14default_configENS1_35adjacent_difference_config_selectorILb1ElEEZNS1_24adjacent_difference_implIS3_Lb1ELb0EPlS7_ZN2at6native12_GLOBAL__N_124unique_dim_cuda_templateItEESt5tupleIJNS8_6TensorESD_SD_EERKSD_lbbbEUlllE1_EE10hipError_tPvRmT2_T3_mT4_P12ihipStream_tbEUlT_E_NS1_11comp_targetILNS1_3genE3ELNS1_11target_archE908ELNS1_3gpuE7ELNS1_3repE0EEENS1_30default_config_static_selectorELNS0_4arch9wavefront6targetE1EEEvT1_, .Lfunc_end1413-_ZN7rocprim17ROCPRIM_400000_NS6detail17trampoline_kernelINS0_14default_configENS1_35adjacent_difference_config_selectorILb1ElEEZNS1_24adjacent_difference_implIS3_Lb1ELb0EPlS7_ZN2at6native12_GLOBAL__N_124unique_dim_cuda_templateItEESt5tupleIJNS8_6TensorESD_SD_EERKSD_lbbbEUlllE1_EE10hipError_tPvRmT2_T3_mT4_P12ihipStream_tbEUlT_E_NS1_11comp_targetILNS1_3genE3ELNS1_11target_archE908ELNS1_3gpuE7ELNS1_3repE0EEENS1_30default_config_static_selectorELNS0_4arch9wavefront6targetE1EEEvT1_
                                        ; -- End function
	.section	.AMDGPU.csdata,"",@progbits
; Kernel info:
; codeLenInByte = 0
; NumSgprs: 4
; NumVgprs: 0
; NumAgprs: 0
; TotalNumVgprs: 0
; ScratchSize: 0
; MemoryBound: 0
; FloatMode: 240
; IeeeMode: 1
; LDSByteSize: 0 bytes/workgroup (compile time only)
; SGPRBlocks: 0
; VGPRBlocks: 0
; NumSGPRsForWavesPerEU: 4
; NumVGPRsForWavesPerEU: 1
; AccumOffset: 4
; Occupancy: 8
; WaveLimiterHint : 0
; COMPUTE_PGM_RSRC2:SCRATCH_EN: 0
; COMPUTE_PGM_RSRC2:USER_SGPR: 6
; COMPUTE_PGM_RSRC2:TRAP_HANDLER: 0
; COMPUTE_PGM_RSRC2:TGID_X_EN: 1
; COMPUTE_PGM_RSRC2:TGID_Y_EN: 0
; COMPUTE_PGM_RSRC2:TGID_Z_EN: 0
; COMPUTE_PGM_RSRC2:TIDIG_COMP_CNT: 0
; COMPUTE_PGM_RSRC3_GFX90A:ACCUM_OFFSET: 0
; COMPUTE_PGM_RSRC3_GFX90A:TG_SPLIT: 0
	.section	.text._ZN7rocprim17ROCPRIM_400000_NS6detail17trampoline_kernelINS0_14default_configENS1_35adjacent_difference_config_selectorILb1ElEEZNS1_24adjacent_difference_implIS3_Lb1ELb0EPlS7_ZN2at6native12_GLOBAL__N_124unique_dim_cuda_templateItEESt5tupleIJNS8_6TensorESD_SD_EERKSD_lbbbEUlllE1_EE10hipError_tPvRmT2_T3_mT4_P12ihipStream_tbEUlT_E_NS1_11comp_targetILNS1_3genE2ELNS1_11target_archE906ELNS1_3gpuE6ELNS1_3repE0EEENS1_30default_config_static_selectorELNS0_4arch9wavefront6targetE1EEEvT1_,"axG",@progbits,_ZN7rocprim17ROCPRIM_400000_NS6detail17trampoline_kernelINS0_14default_configENS1_35adjacent_difference_config_selectorILb1ElEEZNS1_24adjacent_difference_implIS3_Lb1ELb0EPlS7_ZN2at6native12_GLOBAL__N_124unique_dim_cuda_templateItEESt5tupleIJNS8_6TensorESD_SD_EERKSD_lbbbEUlllE1_EE10hipError_tPvRmT2_T3_mT4_P12ihipStream_tbEUlT_E_NS1_11comp_targetILNS1_3genE2ELNS1_11target_archE906ELNS1_3gpuE6ELNS1_3repE0EEENS1_30default_config_static_selectorELNS0_4arch9wavefront6targetE1EEEvT1_,comdat
	.globl	_ZN7rocprim17ROCPRIM_400000_NS6detail17trampoline_kernelINS0_14default_configENS1_35adjacent_difference_config_selectorILb1ElEEZNS1_24adjacent_difference_implIS3_Lb1ELb0EPlS7_ZN2at6native12_GLOBAL__N_124unique_dim_cuda_templateItEESt5tupleIJNS8_6TensorESD_SD_EERKSD_lbbbEUlllE1_EE10hipError_tPvRmT2_T3_mT4_P12ihipStream_tbEUlT_E_NS1_11comp_targetILNS1_3genE2ELNS1_11target_archE906ELNS1_3gpuE6ELNS1_3repE0EEENS1_30default_config_static_selectorELNS0_4arch9wavefront6targetE1EEEvT1_ ; -- Begin function _ZN7rocprim17ROCPRIM_400000_NS6detail17trampoline_kernelINS0_14default_configENS1_35adjacent_difference_config_selectorILb1ElEEZNS1_24adjacent_difference_implIS3_Lb1ELb0EPlS7_ZN2at6native12_GLOBAL__N_124unique_dim_cuda_templateItEESt5tupleIJNS8_6TensorESD_SD_EERKSD_lbbbEUlllE1_EE10hipError_tPvRmT2_T3_mT4_P12ihipStream_tbEUlT_E_NS1_11comp_targetILNS1_3genE2ELNS1_11target_archE906ELNS1_3gpuE6ELNS1_3repE0EEENS1_30default_config_static_selectorELNS0_4arch9wavefront6targetE1EEEvT1_
	.p2align	8
	.type	_ZN7rocprim17ROCPRIM_400000_NS6detail17trampoline_kernelINS0_14default_configENS1_35adjacent_difference_config_selectorILb1ElEEZNS1_24adjacent_difference_implIS3_Lb1ELb0EPlS7_ZN2at6native12_GLOBAL__N_124unique_dim_cuda_templateItEESt5tupleIJNS8_6TensorESD_SD_EERKSD_lbbbEUlllE1_EE10hipError_tPvRmT2_T3_mT4_P12ihipStream_tbEUlT_E_NS1_11comp_targetILNS1_3genE2ELNS1_11target_archE906ELNS1_3gpuE6ELNS1_3repE0EEENS1_30default_config_static_selectorELNS0_4arch9wavefront6targetE1EEEvT1_,@function
_ZN7rocprim17ROCPRIM_400000_NS6detail17trampoline_kernelINS0_14default_configENS1_35adjacent_difference_config_selectorILb1ElEEZNS1_24adjacent_difference_implIS3_Lb1ELb0EPlS7_ZN2at6native12_GLOBAL__N_124unique_dim_cuda_templateItEESt5tupleIJNS8_6TensorESD_SD_EERKSD_lbbbEUlllE1_EE10hipError_tPvRmT2_T3_mT4_P12ihipStream_tbEUlT_E_NS1_11comp_targetILNS1_3genE2ELNS1_11target_archE906ELNS1_3gpuE6ELNS1_3repE0EEENS1_30default_config_static_selectorELNS0_4arch9wavefront6targetE1EEEvT1_: ; @_ZN7rocprim17ROCPRIM_400000_NS6detail17trampoline_kernelINS0_14default_configENS1_35adjacent_difference_config_selectorILb1ElEEZNS1_24adjacent_difference_implIS3_Lb1ELb0EPlS7_ZN2at6native12_GLOBAL__N_124unique_dim_cuda_templateItEESt5tupleIJNS8_6TensorESD_SD_EERKSD_lbbbEUlllE1_EE10hipError_tPvRmT2_T3_mT4_P12ihipStream_tbEUlT_E_NS1_11comp_targetILNS1_3genE2ELNS1_11target_archE906ELNS1_3gpuE6ELNS1_3repE0EEENS1_30default_config_static_selectorELNS0_4arch9wavefront6targetE1EEEvT1_
; %bb.0:
	.section	.rodata,"a",@progbits
	.p2align	6, 0x0
	.amdhsa_kernel _ZN7rocprim17ROCPRIM_400000_NS6detail17trampoline_kernelINS0_14default_configENS1_35adjacent_difference_config_selectorILb1ElEEZNS1_24adjacent_difference_implIS3_Lb1ELb0EPlS7_ZN2at6native12_GLOBAL__N_124unique_dim_cuda_templateItEESt5tupleIJNS8_6TensorESD_SD_EERKSD_lbbbEUlllE1_EE10hipError_tPvRmT2_T3_mT4_P12ihipStream_tbEUlT_E_NS1_11comp_targetILNS1_3genE2ELNS1_11target_archE906ELNS1_3gpuE6ELNS1_3repE0EEENS1_30default_config_static_selectorELNS0_4arch9wavefront6targetE1EEEvT1_
		.amdhsa_group_segment_fixed_size 0
		.amdhsa_private_segment_fixed_size 0
		.amdhsa_kernarg_size 64
		.amdhsa_user_sgpr_count 6
		.amdhsa_user_sgpr_private_segment_buffer 1
		.amdhsa_user_sgpr_dispatch_ptr 0
		.amdhsa_user_sgpr_queue_ptr 0
		.amdhsa_user_sgpr_kernarg_segment_ptr 1
		.amdhsa_user_sgpr_dispatch_id 0
		.amdhsa_user_sgpr_flat_scratch_init 0
		.amdhsa_user_sgpr_kernarg_preload_length 0
		.amdhsa_user_sgpr_kernarg_preload_offset 0
		.amdhsa_user_sgpr_private_segment_size 0
		.amdhsa_uses_dynamic_stack 0
		.amdhsa_system_sgpr_private_segment_wavefront_offset 0
		.amdhsa_system_sgpr_workgroup_id_x 1
		.amdhsa_system_sgpr_workgroup_id_y 0
		.amdhsa_system_sgpr_workgroup_id_z 0
		.amdhsa_system_sgpr_workgroup_info 0
		.amdhsa_system_vgpr_workitem_id 0
		.amdhsa_next_free_vgpr 1
		.amdhsa_next_free_sgpr 0
		.amdhsa_accum_offset 4
		.amdhsa_reserve_vcc 0
		.amdhsa_reserve_flat_scratch 0
		.amdhsa_float_round_mode_32 0
		.amdhsa_float_round_mode_16_64 0
		.amdhsa_float_denorm_mode_32 3
		.amdhsa_float_denorm_mode_16_64 3
		.amdhsa_dx10_clamp 1
		.amdhsa_ieee_mode 1
		.amdhsa_fp16_overflow 0
		.amdhsa_tg_split 0
		.amdhsa_exception_fp_ieee_invalid_op 0
		.amdhsa_exception_fp_denorm_src 0
		.amdhsa_exception_fp_ieee_div_zero 0
		.amdhsa_exception_fp_ieee_overflow 0
		.amdhsa_exception_fp_ieee_underflow 0
		.amdhsa_exception_fp_ieee_inexact 0
		.amdhsa_exception_int_div_zero 0
	.end_amdhsa_kernel
	.section	.text._ZN7rocprim17ROCPRIM_400000_NS6detail17trampoline_kernelINS0_14default_configENS1_35adjacent_difference_config_selectorILb1ElEEZNS1_24adjacent_difference_implIS3_Lb1ELb0EPlS7_ZN2at6native12_GLOBAL__N_124unique_dim_cuda_templateItEESt5tupleIJNS8_6TensorESD_SD_EERKSD_lbbbEUlllE1_EE10hipError_tPvRmT2_T3_mT4_P12ihipStream_tbEUlT_E_NS1_11comp_targetILNS1_3genE2ELNS1_11target_archE906ELNS1_3gpuE6ELNS1_3repE0EEENS1_30default_config_static_selectorELNS0_4arch9wavefront6targetE1EEEvT1_,"axG",@progbits,_ZN7rocprim17ROCPRIM_400000_NS6detail17trampoline_kernelINS0_14default_configENS1_35adjacent_difference_config_selectorILb1ElEEZNS1_24adjacent_difference_implIS3_Lb1ELb0EPlS7_ZN2at6native12_GLOBAL__N_124unique_dim_cuda_templateItEESt5tupleIJNS8_6TensorESD_SD_EERKSD_lbbbEUlllE1_EE10hipError_tPvRmT2_T3_mT4_P12ihipStream_tbEUlT_E_NS1_11comp_targetILNS1_3genE2ELNS1_11target_archE906ELNS1_3gpuE6ELNS1_3repE0EEENS1_30default_config_static_selectorELNS0_4arch9wavefront6targetE1EEEvT1_,comdat
.Lfunc_end1414:
	.size	_ZN7rocprim17ROCPRIM_400000_NS6detail17trampoline_kernelINS0_14default_configENS1_35adjacent_difference_config_selectorILb1ElEEZNS1_24adjacent_difference_implIS3_Lb1ELb0EPlS7_ZN2at6native12_GLOBAL__N_124unique_dim_cuda_templateItEESt5tupleIJNS8_6TensorESD_SD_EERKSD_lbbbEUlllE1_EE10hipError_tPvRmT2_T3_mT4_P12ihipStream_tbEUlT_E_NS1_11comp_targetILNS1_3genE2ELNS1_11target_archE906ELNS1_3gpuE6ELNS1_3repE0EEENS1_30default_config_static_selectorELNS0_4arch9wavefront6targetE1EEEvT1_, .Lfunc_end1414-_ZN7rocprim17ROCPRIM_400000_NS6detail17trampoline_kernelINS0_14default_configENS1_35adjacent_difference_config_selectorILb1ElEEZNS1_24adjacent_difference_implIS3_Lb1ELb0EPlS7_ZN2at6native12_GLOBAL__N_124unique_dim_cuda_templateItEESt5tupleIJNS8_6TensorESD_SD_EERKSD_lbbbEUlllE1_EE10hipError_tPvRmT2_T3_mT4_P12ihipStream_tbEUlT_E_NS1_11comp_targetILNS1_3genE2ELNS1_11target_archE906ELNS1_3gpuE6ELNS1_3repE0EEENS1_30default_config_static_selectorELNS0_4arch9wavefront6targetE1EEEvT1_
                                        ; -- End function
	.section	.AMDGPU.csdata,"",@progbits
; Kernel info:
; codeLenInByte = 0
; NumSgprs: 4
; NumVgprs: 0
; NumAgprs: 0
; TotalNumVgprs: 0
; ScratchSize: 0
; MemoryBound: 0
; FloatMode: 240
; IeeeMode: 1
; LDSByteSize: 0 bytes/workgroup (compile time only)
; SGPRBlocks: 0
; VGPRBlocks: 0
; NumSGPRsForWavesPerEU: 4
; NumVGPRsForWavesPerEU: 1
; AccumOffset: 4
; Occupancy: 8
; WaveLimiterHint : 0
; COMPUTE_PGM_RSRC2:SCRATCH_EN: 0
; COMPUTE_PGM_RSRC2:USER_SGPR: 6
; COMPUTE_PGM_RSRC2:TRAP_HANDLER: 0
; COMPUTE_PGM_RSRC2:TGID_X_EN: 1
; COMPUTE_PGM_RSRC2:TGID_Y_EN: 0
; COMPUTE_PGM_RSRC2:TGID_Z_EN: 0
; COMPUTE_PGM_RSRC2:TIDIG_COMP_CNT: 0
; COMPUTE_PGM_RSRC3_GFX90A:ACCUM_OFFSET: 0
; COMPUTE_PGM_RSRC3_GFX90A:TG_SPLIT: 0
	.section	.text._ZN7rocprim17ROCPRIM_400000_NS6detail17trampoline_kernelINS0_14default_configENS1_35adjacent_difference_config_selectorILb1ElEEZNS1_24adjacent_difference_implIS3_Lb1ELb0EPlS7_ZN2at6native12_GLOBAL__N_124unique_dim_cuda_templateItEESt5tupleIJNS8_6TensorESD_SD_EERKSD_lbbbEUlllE1_EE10hipError_tPvRmT2_T3_mT4_P12ihipStream_tbEUlT_E_NS1_11comp_targetILNS1_3genE9ELNS1_11target_archE1100ELNS1_3gpuE3ELNS1_3repE0EEENS1_30default_config_static_selectorELNS0_4arch9wavefront6targetE1EEEvT1_,"axG",@progbits,_ZN7rocprim17ROCPRIM_400000_NS6detail17trampoline_kernelINS0_14default_configENS1_35adjacent_difference_config_selectorILb1ElEEZNS1_24adjacent_difference_implIS3_Lb1ELb0EPlS7_ZN2at6native12_GLOBAL__N_124unique_dim_cuda_templateItEESt5tupleIJNS8_6TensorESD_SD_EERKSD_lbbbEUlllE1_EE10hipError_tPvRmT2_T3_mT4_P12ihipStream_tbEUlT_E_NS1_11comp_targetILNS1_3genE9ELNS1_11target_archE1100ELNS1_3gpuE3ELNS1_3repE0EEENS1_30default_config_static_selectorELNS0_4arch9wavefront6targetE1EEEvT1_,comdat
	.globl	_ZN7rocprim17ROCPRIM_400000_NS6detail17trampoline_kernelINS0_14default_configENS1_35adjacent_difference_config_selectorILb1ElEEZNS1_24adjacent_difference_implIS3_Lb1ELb0EPlS7_ZN2at6native12_GLOBAL__N_124unique_dim_cuda_templateItEESt5tupleIJNS8_6TensorESD_SD_EERKSD_lbbbEUlllE1_EE10hipError_tPvRmT2_T3_mT4_P12ihipStream_tbEUlT_E_NS1_11comp_targetILNS1_3genE9ELNS1_11target_archE1100ELNS1_3gpuE3ELNS1_3repE0EEENS1_30default_config_static_selectorELNS0_4arch9wavefront6targetE1EEEvT1_ ; -- Begin function _ZN7rocprim17ROCPRIM_400000_NS6detail17trampoline_kernelINS0_14default_configENS1_35adjacent_difference_config_selectorILb1ElEEZNS1_24adjacent_difference_implIS3_Lb1ELb0EPlS7_ZN2at6native12_GLOBAL__N_124unique_dim_cuda_templateItEESt5tupleIJNS8_6TensorESD_SD_EERKSD_lbbbEUlllE1_EE10hipError_tPvRmT2_T3_mT4_P12ihipStream_tbEUlT_E_NS1_11comp_targetILNS1_3genE9ELNS1_11target_archE1100ELNS1_3gpuE3ELNS1_3repE0EEENS1_30default_config_static_selectorELNS0_4arch9wavefront6targetE1EEEvT1_
	.p2align	8
	.type	_ZN7rocprim17ROCPRIM_400000_NS6detail17trampoline_kernelINS0_14default_configENS1_35adjacent_difference_config_selectorILb1ElEEZNS1_24adjacent_difference_implIS3_Lb1ELb0EPlS7_ZN2at6native12_GLOBAL__N_124unique_dim_cuda_templateItEESt5tupleIJNS8_6TensorESD_SD_EERKSD_lbbbEUlllE1_EE10hipError_tPvRmT2_T3_mT4_P12ihipStream_tbEUlT_E_NS1_11comp_targetILNS1_3genE9ELNS1_11target_archE1100ELNS1_3gpuE3ELNS1_3repE0EEENS1_30default_config_static_selectorELNS0_4arch9wavefront6targetE1EEEvT1_,@function
_ZN7rocprim17ROCPRIM_400000_NS6detail17trampoline_kernelINS0_14default_configENS1_35adjacent_difference_config_selectorILb1ElEEZNS1_24adjacent_difference_implIS3_Lb1ELb0EPlS7_ZN2at6native12_GLOBAL__N_124unique_dim_cuda_templateItEESt5tupleIJNS8_6TensorESD_SD_EERKSD_lbbbEUlllE1_EE10hipError_tPvRmT2_T3_mT4_P12ihipStream_tbEUlT_E_NS1_11comp_targetILNS1_3genE9ELNS1_11target_archE1100ELNS1_3gpuE3ELNS1_3repE0EEENS1_30default_config_static_selectorELNS0_4arch9wavefront6targetE1EEEvT1_: ; @_ZN7rocprim17ROCPRIM_400000_NS6detail17trampoline_kernelINS0_14default_configENS1_35adjacent_difference_config_selectorILb1ElEEZNS1_24adjacent_difference_implIS3_Lb1ELb0EPlS7_ZN2at6native12_GLOBAL__N_124unique_dim_cuda_templateItEESt5tupleIJNS8_6TensorESD_SD_EERKSD_lbbbEUlllE1_EE10hipError_tPvRmT2_T3_mT4_P12ihipStream_tbEUlT_E_NS1_11comp_targetILNS1_3genE9ELNS1_11target_archE1100ELNS1_3gpuE3ELNS1_3repE0EEENS1_30default_config_static_selectorELNS0_4arch9wavefront6targetE1EEEvT1_
; %bb.0:
	.section	.rodata,"a",@progbits
	.p2align	6, 0x0
	.amdhsa_kernel _ZN7rocprim17ROCPRIM_400000_NS6detail17trampoline_kernelINS0_14default_configENS1_35adjacent_difference_config_selectorILb1ElEEZNS1_24adjacent_difference_implIS3_Lb1ELb0EPlS7_ZN2at6native12_GLOBAL__N_124unique_dim_cuda_templateItEESt5tupleIJNS8_6TensorESD_SD_EERKSD_lbbbEUlllE1_EE10hipError_tPvRmT2_T3_mT4_P12ihipStream_tbEUlT_E_NS1_11comp_targetILNS1_3genE9ELNS1_11target_archE1100ELNS1_3gpuE3ELNS1_3repE0EEENS1_30default_config_static_selectorELNS0_4arch9wavefront6targetE1EEEvT1_
		.amdhsa_group_segment_fixed_size 0
		.amdhsa_private_segment_fixed_size 0
		.amdhsa_kernarg_size 64
		.amdhsa_user_sgpr_count 6
		.amdhsa_user_sgpr_private_segment_buffer 1
		.amdhsa_user_sgpr_dispatch_ptr 0
		.amdhsa_user_sgpr_queue_ptr 0
		.amdhsa_user_sgpr_kernarg_segment_ptr 1
		.amdhsa_user_sgpr_dispatch_id 0
		.amdhsa_user_sgpr_flat_scratch_init 0
		.amdhsa_user_sgpr_kernarg_preload_length 0
		.amdhsa_user_sgpr_kernarg_preload_offset 0
		.amdhsa_user_sgpr_private_segment_size 0
		.amdhsa_uses_dynamic_stack 0
		.amdhsa_system_sgpr_private_segment_wavefront_offset 0
		.amdhsa_system_sgpr_workgroup_id_x 1
		.amdhsa_system_sgpr_workgroup_id_y 0
		.amdhsa_system_sgpr_workgroup_id_z 0
		.amdhsa_system_sgpr_workgroup_info 0
		.amdhsa_system_vgpr_workitem_id 0
		.amdhsa_next_free_vgpr 1
		.amdhsa_next_free_sgpr 0
		.amdhsa_accum_offset 4
		.amdhsa_reserve_vcc 0
		.amdhsa_reserve_flat_scratch 0
		.amdhsa_float_round_mode_32 0
		.amdhsa_float_round_mode_16_64 0
		.amdhsa_float_denorm_mode_32 3
		.amdhsa_float_denorm_mode_16_64 3
		.amdhsa_dx10_clamp 1
		.amdhsa_ieee_mode 1
		.amdhsa_fp16_overflow 0
		.amdhsa_tg_split 0
		.amdhsa_exception_fp_ieee_invalid_op 0
		.amdhsa_exception_fp_denorm_src 0
		.amdhsa_exception_fp_ieee_div_zero 0
		.amdhsa_exception_fp_ieee_overflow 0
		.amdhsa_exception_fp_ieee_underflow 0
		.amdhsa_exception_fp_ieee_inexact 0
		.amdhsa_exception_int_div_zero 0
	.end_amdhsa_kernel
	.section	.text._ZN7rocprim17ROCPRIM_400000_NS6detail17trampoline_kernelINS0_14default_configENS1_35adjacent_difference_config_selectorILb1ElEEZNS1_24adjacent_difference_implIS3_Lb1ELb0EPlS7_ZN2at6native12_GLOBAL__N_124unique_dim_cuda_templateItEESt5tupleIJNS8_6TensorESD_SD_EERKSD_lbbbEUlllE1_EE10hipError_tPvRmT2_T3_mT4_P12ihipStream_tbEUlT_E_NS1_11comp_targetILNS1_3genE9ELNS1_11target_archE1100ELNS1_3gpuE3ELNS1_3repE0EEENS1_30default_config_static_selectorELNS0_4arch9wavefront6targetE1EEEvT1_,"axG",@progbits,_ZN7rocprim17ROCPRIM_400000_NS6detail17trampoline_kernelINS0_14default_configENS1_35adjacent_difference_config_selectorILb1ElEEZNS1_24adjacent_difference_implIS3_Lb1ELb0EPlS7_ZN2at6native12_GLOBAL__N_124unique_dim_cuda_templateItEESt5tupleIJNS8_6TensorESD_SD_EERKSD_lbbbEUlllE1_EE10hipError_tPvRmT2_T3_mT4_P12ihipStream_tbEUlT_E_NS1_11comp_targetILNS1_3genE9ELNS1_11target_archE1100ELNS1_3gpuE3ELNS1_3repE0EEENS1_30default_config_static_selectorELNS0_4arch9wavefront6targetE1EEEvT1_,comdat
.Lfunc_end1415:
	.size	_ZN7rocprim17ROCPRIM_400000_NS6detail17trampoline_kernelINS0_14default_configENS1_35adjacent_difference_config_selectorILb1ElEEZNS1_24adjacent_difference_implIS3_Lb1ELb0EPlS7_ZN2at6native12_GLOBAL__N_124unique_dim_cuda_templateItEESt5tupleIJNS8_6TensorESD_SD_EERKSD_lbbbEUlllE1_EE10hipError_tPvRmT2_T3_mT4_P12ihipStream_tbEUlT_E_NS1_11comp_targetILNS1_3genE9ELNS1_11target_archE1100ELNS1_3gpuE3ELNS1_3repE0EEENS1_30default_config_static_selectorELNS0_4arch9wavefront6targetE1EEEvT1_, .Lfunc_end1415-_ZN7rocprim17ROCPRIM_400000_NS6detail17trampoline_kernelINS0_14default_configENS1_35adjacent_difference_config_selectorILb1ElEEZNS1_24adjacent_difference_implIS3_Lb1ELb0EPlS7_ZN2at6native12_GLOBAL__N_124unique_dim_cuda_templateItEESt5tupleIJNS8_6TensorESD_SD_EERKSD_lbbbEUlllE1_EE10hipError_tPvRmT2_T3_mT4_P12ihipStream_tbEUlT_E_NS1_11comp_targetILNS1_3genE9ELNS1_11target_archE1100ELNS1_3gpuE3ELNS1_3repE0EEENS1_30default_config_static_selectorELNS0_4arch9wavefront6targetE1EEEvT1_
                                        ; -- End function
	.section	.AMDGPU.csdata,"",@progbits
; Kernel info:
; codeLenInByte = 0
; NumSgprs: 4
; NumVgprs: 0
; NumAgprs: 0
; TotalNumVgprs: 0
; ScratchSize: 0
; MemoryBound: 0
; FloatMode: 240
; IeeeMode: 1
; LDSByteSize: 0 bytes/workgroup (compile time only)
; SGPRBlocks: 0
; VGPRBlocks: 0
; NumSGPRsForWavesPerEU: 4
; NumVGPRsForWavesPerEU: 1
; AccumOffset: 4
; Occupancy: 8
; WaveLimiterHint : 0
; COMPUTE_PGM_RSRC2:SCRATCH_EN: 0
; COMPUTE_PGM_RSRC2:USER_SGPR: 6
; COMPUTE_PGM_RSRC2:TRAP_HANDLER: 0
; COMPUTE_PGM_RSRC2:TGID_X_EN: 1
; COMPUTE_PGM_RSRC2:TGID_Y_EN: 0
; COMPUTE_PGM_RSRC2:TGID_Z_EN: 0
; COMPUTE_PGM_RSRC2:TIDIG_COMP_CNT: 0
; COMPUTE_PGM_RSRC3_GFX90A:ACCUM_OFFSET: 0
; COMPUTE_PGM_RSRC3_GFX90A:TG_SPLIT: 0
	.section	.text._ZN7rocprim17ROCPRIM_400000_NS6detail17trampoline_kernelINS0_14default_configENS1_35adjacent_difference_config_selectorILb1ElEEZNS1_24adjacent_difference_implIS3_Lb1ELb0EPlS7_ZN2at6native12_GLOBAL__N_124unique_dim_cuda_templateItEESt5tupleIJNS8_6TensorESD_SD_EERKSD_lbbbEUlllE1_EE10hipError_tPvRmT2_T3_mT4_P12ihipStream_tbEUlT_E_NS1_11comp_targetILNS1_3genE8ELNS1_11target_archE1030ELNS1_3gpuE2ELNS1_3repE0EEENS1_30default_config_static_selectorELNS0_4arch9wavefront6targetE1EEEvT1_,"axG",@progbits,_ZN7rocprim17ROCPRIM_400000_NS6detail17trampoline_kernelINS0_14default_configENS1_35adjacent_difference_config_selectorILb1ElEEZNS1_24adjacent_difference_implIS3_Lb1ELb0EPlS7_ZN2at6native12_GLOBAL__N_124unique_dim_cuda_templateItEESt5tupleIJNS8_6TensorESD_SD_EERKSD_lbbbEUlllE1_EE10hipError_tPvRmT2_T3_mT4_P12ihipStream_tbEUlT_E_NS1_11comp_targetILNS1_3genE8ELNS1_11target_archE1030ELNS1_3gpuE2ELNS1_3repE0EEENS1_30default_config_static_selectorELNS0_4arch9wavefront6targetE1EEEvT1_,comdat
	.globl	_ZN7rocprim17ROCPRIM_400000_NS6detail17trampoline_kernelINS0_14default_configENS1_35adjacent_difference_config_selectorILb1ElEEZNS1_24adjacent_difference_implIS3_Lb1ELb0EPlS7_ZN2at6native12_GLOBAL__N_124unique_dim_cuda_templateItEESt5tupleIJNS8_6TensorESD_SD_EERKSD_lbbbEUlllE1_EE10hipError_tPvRmT2_T3_mT4_P12ihipStream_tbEUlT_E_NS1_11comp_targetILNS1_3genE8ELNS1_11target_archE1030ELNS1_3gpuE2ELNS1_3repE0EEENS1_30default_config_static_selectorELNS0_4arch9wavefront6targetE1EEEvT1_ ; -- Begin function _ZN7rocprim17ROCPRIM_400000_NS6detail17trampoline_kernelINS0_14default_configENS1_35adjacent_difference_config_selectorILb1ElEEZNS1_24adjacent_difference_implIS3_Lb1ELb0EPlS7_ZN2at6native12_GLOBAL__N_124unique_dim_cuda_templateItEESt5tupleIJNS8_6TensorESD_SD_EERKSD_lbbbEUlllE1_EE10hipError_tPvRmT2_T3_mT4_P12ihipStream_tbEUlT_E_NS1_11comp_targetILNS1_3genE8ELNS1_11target_archE1030ELNS1_3gpuE2ELNS1_3repE0EEENS1_30default_config_static_selectorELNS0_4arch9wavefront6targetE1EEEvT1_
	.p2align	8
	.type	_ZN7rocprim17ROCPRIM_400000_NS6detail17trampoline_kernelINS0_14default_configENS1_35adjacent_difference_config_selectorILb1ElEEZNS1_24adjacent_difference_implIS3_Lb1ELb0EPlS7_ZN2at6native12_GLOBAL__N_124unique_dim_cuda_templateItEESt5tupleIJNS8_6TensorESD_SD_EERKSD_lbbbEUlllE1_EE10hipError_tPvRmT2_T3_mT4_P12ihipStream_tbEUlT_E_NS1_11comp_targetILNS1_3genE8ELNS1_11target_archE1030ELNS1_3gpuE2ELNS1_3repE0EEENS1_30default_config_static_selectorELNS0_4arch9wavefront6targetE1EEEvT1_,@function
_ZN7rocprim17ROCPRIM_400000_NS6detail17trampoline_kernelINS0_14default_configENS1_35adjacent_difference_config_selectorILb1ElEEZNS1_24adjacent_difference_implIS3_Lb1ELb0EPlS7_ZN2at6native12_GLOBAL__N_124unique_dim_cuda_templateItEESt5tupleIJNS8_6TensorESD_SD_EERKSD_lbbbEUlllE1_EE10hipError_tPvRmT2_T3_mT4_P12ihipStream_tbEUlT_E_NS1_11comp_targetILNS1_3genE8ELNS1_11target_archE1030ELNS1_3gpuE2ELNS1_3repE0EEENS1_30default_config_static_selectorELNS0_4arch9wavefront6targetE1EEEvT1_: ; @_ZN7rocprim17ROCPRIM_400000_NS6detail17trampoline_kernelINS0_14default_configENS1_35adjacent_difference_config_selectorILb1ElEEZNS1_24adjacent_difference_implIS3_Lb1ELb0EPlS7_ZN2at6native12_GLOBAL__N_124unique_dim_cuda_templateItEESt5tupleIJNS8_6TensorESD_SD_EERKSD_lbbbEUlllE1_EE10hipError_tPvRmT2_T3_mT4_P12ihipStream_tbEUlT_E_NS1_11comp_targetILNS1_3genE8ELNS1_11target_archE1030ELNS1_3gpuE2ELNS1_3repE0EEENS1_30default_config_static_selectorELNS0_4arch9wavefront6targetE1EEEvT1_
; %bb.0:
	.section	.rodata,"a",@progbits
	.p2align	6, 0x0
	.amdhsa_kernel _ZN7rocprim17ROCPRIM_400000_NS6detail17trampoline_kernelINS0_14default_configENS1_35adjacent_difference_config_selectorILb1ElEEZNS1_24adjacent_difference_implIS3_Lb1ELb0EPlS7_ZN2at6native12_GLOBAL__N_124unique_dim_cuda_templateItEESt5tupleIJNS8_6TensorESD_SD_EERKSD_lbbbEUlllE1_EE10hipError_tPvRmT2_T3_mT4_P12ihipStream_tbEUlT_E_NS1_11comp_targetILNS1_3genE8ELNS1_11target_archE1030ELNS1_3gpuE2ELNS1_3repE0EEENS1_30default_config_static_selectorELNS0_4arch9wavefront6targetE1EEEvT1_
		.amdhsa_group_segment_fixed_size 0
		.amdhsa_private_segment_fixed_size 0
		.amdhsa_kernarg_size 64
		.amdhsa_user_sgpr_count 6
		.amdhsa_user_sgpr_private_segment_buffer 1
		.amdhsa_user_sgpr_dispatch_ptr 0
		.amdhsa_user_sgpr_queue_ptr 0
		.amdhsa_user_sgpr_kernarg_segment_ptr 1
		.amdhsa_user_sgpr_dispatch_id 0
		.amdhsa_user_sgpr_flat_scratch_init 0
		.amdhsa_user_sgpr_kernarg_preload_length 0
		.amdhsa_user_sgpr_kernarg_preload_offset 0
		.amdhsa_user_sgpr_private_segment_size 0
		.amdhsa_uses_dynamic_stack 0
		.amdhsa_system_sgpr_private_segment_wavefront_offset 0
		.amdhsa_system_sgpr_workgroup_id_x 1
		.amdhsa_system_sgpr_workgroup_id_y 0
		.amdhsa_system_sgpr_workgroup_id_z 0
		.amdhsa_system_sgpr_workgroup_info 0
		.amdhsa_system_vgpr_workitem_id 0
		.amdhsa_next_free_vgpr 1
		.amdhsa_next_free_sgpr 0
		.amdhsa_accum_offset 4
		.amdhsa_reserve_vcc 0
		.amdhsa_reserve_flat_scratch 0
		.amdhsa_float_round_mode_32 0
		.amdhsa_float_round_mode_16_64 0
		.amdhsa_float_denorm_mode_32 3
		.amdhsa_float_denorm_mode_16_64 3
		.amdhsa_dx10_clamp 1
		.amdhsa_ieee_mode 1
		.amdhsa_fp16_overflow 0
		.amdhsa_tg_split 0
		.amdhsa_exception_fp_ieee_invalid_op 0
		.amdhsa_exception_fp_denorm_src 0
		.amdhsa_exception_fp_ieee_div_zero 0
		.amdhsa_exception_fp_ieee_overflow 0
		.amdhsa_exception_fp_ieee_underflow 0
		.amdhsa_exception_fp_ieee_inexact 0
		.amdhsa_exception_int_div_zero 0
	.end_amdhsa_kernel
	.section	.text._ZN7rocprim17ROCPRIM_400000_NS6detail17trampoline_kernelINS0_14default_configENS1_35adjacent_difference_config_selectorILb1ElEEZNS1_24adjacent_difference_implIS3_Lb1ELb0EPlS7_ZN2at6native12_GLOBAL__N_124unique_dim_cuda_templateItEESt5tupleIJNS8_6TensorESD_SD_EERKSD_lbbbEUlllE1_EE10hipError_tPvRmT2_T3_mT4_P12ihipStream_tbEUlT_E_NS1_11comp_targetILNS1_3genE8ELNS1_11target_archE1030ELNS1_3gpuE2ELNS1_3repE0EEENS1_30default_config_static_selectorELNS0_4arch9wavefront6targetE1EEEvT1_,"axG",@progbits,_ZN7rocprim17ROCPRIM_400000_NS6detail17trampoline_kernelINS0_14default_configENS1_35adjacent_difference_config_selectorILb1ElEEZNS1_24adjacent_difference_implIS3_Lb1ELb0EPlS7_ZN2at6native12_GLOBAL__N_124unique_dim_cuda_templateItEESt5tupleIJNS8_6TensorESD_SD_EERKSD_lbbbEUlllE1_EE10hipError_tPvRmT2_T3_mT4_P12ihipStream_tbEUlT_E_NS1_11comp_targetILNS1_3genE8ELNS1_11target_archE1030ELNS1_3gpuE2ELNS1_3repE0EEENS1_30default_config_static_selectorELNS0_4arch9wavefront6targetE1EEEvT1_,comdat
.Lfunc_end1416:
	.size	_ZN7rocprim17ROCPRIM_400000_NS6detail17trampoline_kernelINS0_14default_configENS1_35adjacent_difference_config_selectorILb1ElEEZNS1_24adjacent_difference_implIS3_Lb1ELb0EPlS7_ZN2at6native12_GLOBAL__N_124unique_dim_cuda_templateItEESt5tupleIJNS8_6TensorESD_SD_EERKSD_lbbbEUlllE1_EE10hipError_tPvRmT2_T3_mT4_P12ihipStream_tbEUlT_E_NS1_11comp_targetILNS1_3genE8ELNS1_11target_archE1030ELNS1_3gpuE2ELNS1_3repE0EEENS1_30default_config_static_selectorELNS0_4arch9wavefront6targetE1EEEvT1_, .Lfunc_end1416-_ZN7rocprim17ROCPRIM_400000_NS6detail17trampoline_kernelINS0_14default_configENS1_35adjacent_difference_config_selectorILb1ElEEZNS1_24adjacent_difference_implIS3_Lb1ELb0EPlS7_ZN2at6native12_GLOBAL__N_124unique_dim_cuda_templateItEESt5tupleIJNS8_6TensorESD_SD_EERKSD_lbbbEUlllE1_EE10hipError_tPvRmT2_T3_mT4_P12ihipStream_tbEUlT_E_NS1_11comp_targetILNS1_3genE8ELNS1_11target_archE1030ELNS1_3gpuE2ELNS1_3repE0EEENS1_30default_config_static_selectorELNS0_4arch9wavefront6targetE1EEEvT1_
                                        ; -- End function
	.section	.AMDGPU.csdata,"",@progbits
; Kernel info:
; codeLenInByte = 0
; NumSgprs: 4
; NumVgprs: 0
; NumAgprs: 0
; TotalNumVgprs: 0
; ScratchSize: 0
; MemoryBound: 0
; FloatMode: 240
; IeeeMode: 1
; LDSByteSize: 0 bytes/workgroup (compile time only)
; SGPRBlocks: 0
; VGPRBlocks: 0
; NumSGPRsForWavesPerEU: 4
; NumVGPRsForWavesPerEU: 1
; AccumOffset: 4
; Occupancy: 8
; WaveLimiterHint : 0
; COMPUTE_PGM_RSRC2:SCRATCH_EN: 0
; COMPUTE_PGM_RSRC2:USER_SGPR: 6
; COMPUTE_PGM_RSRC2:TRAP_HANDLER: 0
; COMPUTE_PGM_RSRC2:TGID_X_EN: 1
; COMPUTE_PGM_RSRC2:TGID_Y_EN: 0
; COMPUTE_PGM_RSRC2:TGID_Z_EN: 0
; COMPUTE_PGM_RSRC2:TIDIG_COMP_CNT: 0
; COMPUTE_PGM_RSRC3_GFX90A:ACCUM_OFFSET: 0
; COMPUTE_PGM_RSRC3_GFX90A:TG_SPLIT: 0
	.section	.text._ZN7rocprim17ROCPRIM_400000_NS6detail17trampoline_kernelINS0_14default_configENS1_25partition_config_selectorILNS1_17partition_subalgoE8ElNS0_10empty_typeEbEEZZNS1_14partition_implILS5_8ELb0ES3_jPlPS6_PKS6_NS0_5tupleIJS9_S6_EEENSD_IJSA_SA_EEENS0_18inequality_wrapperIZN2at6native12_GLOBAL__N_124unique_dim_cuda_templateItEESt5tupleIJNSH_6TensorESM_SM_EERKSM_lbbbEUlllE0_EEPmJS6_EEE10hipError_tPvRmT3_T4_T5_T6_T7_T9_mT8_P12ihipStream_tbDpT10_ENKUlT_T0_E_clISt17integral_constantIbLb0EES1C_EEDaS17_S18_EUlS17_E_NS1_11comp_targetILNS1_3genE0ELNS1_11target_archE4294967295ELNS1_3gpuE0ELNS1_3repE0EEENS1_30default_config_static_selectorELNS0_4arch9wavefront6targetE1EEEvT1_,"axG",@progbits,_ZN7rocprim17ROCPRIM_400000_NS6detail17trampoline_kernelINS0_14default_configENS1_25partition_config_selectorILNS1_17partition_subalgoE8ElNS0_10empty_typeEbEEZZNS1_14partition_implILS5_8ELb0ES3_jPlPS6_PKS6_NS0_5tupleIJS9_S6_EEENSD_IJSA_SA_EEENS0_18inequality_wrapperIZN2at6native12_GLOBAL__N_124unique_dim_cuda_templateItEESt5tupleIJNSH_6TensorESM_SM_EERKSM_lbbbEUlllE0_EEPmJS6_EEE10hipError_tPvRmT3_T4_T5_T6_T7_T9_mT8_P12ihipStream_tbDpT10_ENKUlT_T0_E_clISt17integral_constantIbLb0EES1C_EEDaS17_S18_EUlS17_E_NS1_11comp_targetILNS1_3genE0ELNS1_11target_archE4294967295ELNS1_3gpuE0ELNS1_3repE0EEENS1_30default_config_static_selectorELNS0_4arch9wavefront6targetE1EEEvT1_,comdat
	.globl	_ZN7rocprim17ROCPRIM_400000_NS6detail17trampoline_kernelINS0_14default_configENS1_25partition_config_selectorILNS1_17partition_subalgoE8ElNS0_10empty_typeEbEEZZNS1_14partition_implILS5_8ELb0ES3_jPlPS6_PKS6_NS0_5tupleIJS9_S6_EEENSD_IJSA_SA_EEENS0_18inequality_wrapperIZN2at6native12_GLOBAL__N_124unique_dim_cuda_templateItEESt5tupleIJNSH_6TensorESM_SM_EERKSM_lbbbEUlllE0_EEPmJS6_EEE10hipError_tPvRmT3_T4_T5_T6_T7_T9_mT8_P12ihipStream_tbDpT10_ENKUlT_T0_E_clISt17integral_constantIbLb0EES1C_EEDaS17_S18_EUlS17_E_NS1_11comp_targetILNS1_3genE0ELNS1_11target_archE4294967295ELNS1_3gpuE0ELNS1_3repE0EEENS1_30default_config_static_selectorELNS0_4arch9wavefront6targetE1EEEvT1_ ; -- Begin function _ZN7rocprim17ROCPRIM_400000_NS6detail17trampoline_kernelINS0_14default_configENS1_25partition_config_selectorILNS1_17partition_subalgoE8ElNS0_10empty_typeEbEEZZNS1_14partition_implILS5_8ELb0ES3_jPlPS6_PKS6_NS0_5tupleIJS9_S6_EEENSD_IJSA_SA_EEENS0_18inequality_wrapperIZN2at6native12_GLOBAL__N_124unique_dim_cuda_templateItEESt5tupleIJNSH_6TensorESM_SM_EERKSM_lbbbEUlllE0_EEPmJS6_EEE10hipError_tPvRmT3_T4_T5_T6_T7_T9_mT8_P12ihipStream_tbDpT10_ENKUlT_T0_E_clISt17integral_constantIbLb0EES1C_EEDaS17_S18_EUlS17_E_NS1_11comp_targetILNS1_3genE0ELNS1_11target_archE4294967295ELNS1_3gpuE0ELNS1_3repE0EEENS1_30default_config_static_selectorELNS0_4arch9wavefront6targetE1EEEvT1_
	.p2align	8
	.type	_ZN7rocprim17ROCPRIM_400000_NS6detail17trampoline_kernelINS0_14default_configENS1_25partition_config_selectorILNS1_17partition_subalgoE8ElNS0_10empty_typeEbEEZZNS1_14partition_implILS5_8ELb0ES3_jPlPS6_PKS6_NS0_5tupleIJS9_S6_EEENSD_IJSA_SA_EEENS0_18inequality_wrapperIZN2at6native12_GLOBAL__N_124unique_dim_cuda_templateItEESt5tupleIJNSH_6TensorESM_SM_EERKSM_lbbbEUlllE0_EEPmJS6_EEE10hipError_tPvRmT3_T4_T5_T6_T7_T9_mT8_P12ihipStream_tbDpT10_ENKUlT_T0_E_clISt17integral_constantIbLb0EES1C_EEDaS17_S18_EUlS17_E_NS1_11comp_targetILNS1_3genE0ELNS1_11target_archE4294967295ELNS1_3gpuE0ELNS1_3repE0EEENS1_30default_config_static_selectorELNS0_4arch9wavefront6targetE1EEEvT1_,@function
_ZN7rocprim17ROCPRIM_400000_NS6detail17trampoline_kernelINS0_14default_configENS1_25partition_config_selectorILNS1_17partition_subalgoE8ElNS0_10empty_typeEbEEZZNS1_14partition_implILS5_8ELb0ES3_jPlPS6_PKS6_NS0_5tupleIJS9_S6_EEENSD_IJSA_SA_EEENS0_18inequality_wrapperIZN2at6native12_GLOBAL__N_124unique_dim_cuda_templateItEESt5tupleIJNSH_6TensorESM_SM_EERKSM_lbbbEUlllE0_EEPmJS6_EEE10hipError_tPvRmT3_T4_T5_T6_T7_T9_mT8_P12ihipStream_tbDpT10_ENKUlT_T0_E_clISt17integral_constantIbLb0EES1C_EEDaS17_S18_EUlS17_E_NS1_11comp_targetILNS1_3genE0ELNS1_11target_archE4294967295ELNS1_3gpuE0ELNS1_3repE0EEENS1_30default_config_static_selectorELNS0_4arch9wavefront6targetE1EEEvT1_: ; @_ZN7rocprim17ROCPRIM_400000_NS6detail17trampoline_kernelINS0_14default_configENS1_25partition_config_selectorILNS1_17partition_subalgoE8ElNS0_10empty_typeEbEEZZNS1_14partition_implILS5_8ELb0ES3_jPlPS6_PKS6_NS0_5tupleIJS9_S6_EEENSD_IJSA_SA_EEENS0_18inequality_wrapperIZN2at6native12_GLOBAL__N_124unique_dim_cuda_templateItEESt5tupleIJNSH_6TensorESM_SM_EERKSM_lbbbEUlllE0_EEPmJS6_EEE10hipError_tPvRmT3_T4_T5_T6_T7_T9_mT8_P12ihipStream_tbDpT10_ENKUlT_T0_E_clISt17integral_constantIbLb0EES1C_EEDaS17_S18_EUlS17_E_NS1_11comp_targetILNS1_3genE0ELNS1_11target_archE4294967295ELNS1_3gpuE0ELNS1_3repE0EEENS1_30default_config_static_selectorELNS0_4arch9wavefront6targetE1EEEvT1_
; %bb.0:
	.section	.rodata,"a",@progbits
	.p2align	6, 0x0
	.amdhsa_kernel _ZN7rocprim17ROCPRIM_400000_NS6detail17trampoline_kernelINS0_14default_configENS1_25partition_config_selectorILNS1_17partition_subalgoE8ElNS0_10empty_typeEbEEZZNS1_14partition_implILS5_8ELb0ES3_jPlPS6_PKS6_NS0_5tupleIJS9_S6_EEENSD_IJSA_SA_EEENS0_18inequality_wrapperIZN2at6native12_GLOBAL__N_124unique_dim_cuda_templateItEESt5tupleIJNSH_6TensorESM_SM_EERKSM_lbbbEUlllE0_EEPmJS6_EEE10hipError_tPvRmT3_T4_T5_T6_T7_T9_mT8_P12ihipStream_tbDpT10_ENKUlT_T0_E_clISt17integral_constantIbLb0EES1C_EEDaS17_S18_EUlS17_E_NS1_11comp_targetILNS1_3genE0ELNS1_11target_archE4294967295ELNS1_3gpuE0ELNS1_3repE0EEENS1_30default_config_static_selectorELNS0_4arch9wavefront6targetE1EEEvT1_
		.amdhsa_group_segment_fixed_size 0
		.amdhsa_private_segment_fixed_size 0
		.amdhsa_kernarg_size 120
		.amdhsa_user_sgpr_count 6
		.amdhsa_user_sgpr_private_segment_buffer 1
		.amdhsa_user_sgpr_dispatch_ptr 0
		.amdhsa_user_sgpr_queue_ptr 0
		.amdhsa_user_sgpr_kernarg_segment_ptr 1
		.amdhsa_user_sgpr_dispatch_id 0
		.amdhsa_user_sgpr_flat_scratch_init 0
		.amdhsa_user_sgpr_kernarg_preload_length 0
		.amdhsa_user_sgpr_kernarg_preload_offset 0
		.amdhsa_user_sgpr_private_segment_size 0
		.amdhsa_uses_dynamic_stack 0
		.amdhsa_system_sgpr_private_segment_wavefront_offset 0
		.amdhsa_system_sgpr_workgroup_id_x 1
		.amdhsa_system_sgpr_workgroup_id_y 0
		.amdhsa_system_sgpr_workgroup_id_z 0
		.amdhsa_system_sgpr_workgroup_info 0
		.amdhsa_system_vgpr_workitem_id 0
		.amdhsa_next_free_vgpr 1
		.amdhsa_next_free_sgpr 0
		.amdhsa_accum_offset 4
		.amdhsa_reserve_vcc 0
		.amdhsa_reserve_flat_scratch 0
		.amdhsa_float_round_mode_32 0
		.amdhsa_float_round_mode_16_64 0
		.amdhsa_float_denorm_mode_32 3
		.amdhsa_float_denorm_mode_16_64 3
		.amdhsa_dx10_clamp 1
		.amdhsa_ieee_mode 1
		.amdhsa_fp16_overflow 0
		.amdhsa_tg_split 0
		.amdhsa_exception_fp_ieee_invalid_op 0
		.amdhsa_exception_fp_denorm_src 0
		.amdhsa_exception_fp_ieee_div_zero 0
		.amdhsa_exception_fp_ieee_overflow 0
		.amdhsa_exception_fp_ieee_underflow 0
		.amdhsa_exception_fp_ieee_inexact 0
		.amdhsa_exception_int_div_zero 0
	.end_amdhsa_kernel
	.section	.text._ZN7rocprim17ROCPRIM_400000_NS6detail17trampoline_kernelINS0_14default_configENS1_25partition_config_selectorILNS1_17partition_subalgoE8ElNS0_10empty_typeEbEEZZNS1_14partition_implILS5_8ELb0ES3_jPlPS6_PKS6_NS0_5tupleIJS9_S6_EEENSD_IJSA_SA_EEENS0_18inequality_wrapperIZN2at6native12_GLOBAL__N_124unique_dim_cuda_templateItEESt5tupleIJNSH_6TensorESM_SM_EERKSM_lbbbEUlllE0_EEPmJS6_EEE10hipError_tPvRmT3_T4_T5_T6_T7_T9_mT8_P12ihipStream_tbDpT10_ENKUlT_T0_E_clISt17integral_constantIbLb0EES1C_EEDaS17_S18_EUlS17_E_NS1_11comp_targetILNS1_3genE0ELNS1_11target_archE4294967295ELNS1_3gpuE0ELNS1_3repE0EEENS1_30default_config_static_selectorELNS0_4arch9wavefront6targetE1EEEvT1_,"axG",@progbits,_ZN7rocprim17ROCPRIM_400000_NS6detail17trampoline_kernelINS0_14default_configENS1_25partition_config_selectorILNS1_17partition_subalgoE8ElNS0_10empty_typeEbEEZZNS1_14partition_implILS5_8ELb0ES3_jPlPS6_PKS6_NS0_5tupleIJS9_S6_EEENSD_IJSA_SA_EEENS0_18inequality_wrapperIZN2at6native12_GLOBAL__N_124unique_dim_cuda_templateItEESt5tupleIJNSH_6TensorESM_SM_EERKSM_lbbbEUlllE0_EEPmJS6_EEE10hipError_tPvRmT3_T4_T5_T6_T7_T9_mT8_P12ihipStream_tbDpT10_ENKUlT_T0_E_clISt17integral_constantIbLb0EES1C_EEDaS17_S18_EUlS17_E_NS1_11comp_targetILNS1_3genE0ELNS1_11target_archE4294967295ELNS1_3gpuE0ELNS1_3repE0EEENS1_30default_config_static_selectorELNS0_4arch9wavefront6targetE1EEEvT1_,comdat
.Lfunc_end1417:
	.size	_ZN7rocprim17ROCPRIM_400000_NS6detail17trampoline_kernelINS0_14default_configENS1_25partition_config_selectorILNS1_17partition_subalgoE8ElNS0_10empty_typeEbEEZZNS1_14partition_implILS5_8ELb0ES3_jPlPS6_PKS6_NS0_5tupleIJS9_S6_EEENSD_IJSA_SA_EEENS0_18inequality_wrapperIZN2at6native12_GLOBAL__N_124unique_dim_cuda_templateItEESt5tupleIJNSH_6TensorESM_SM_EERKSM_lbbbEUlllE0_EEPmJS6_EEE10hipError_tPvRmT3_T4_T5_T6_T7_T9_mT8_P12ihipStream_tbDpT10_ENKUlT_T0_E_clISt17integral_constantIbLb0EES1C_EEDaS17_S18_EUlS17_E_NS1_11comp_targetILNS1_3genE0ELNS1_11target_archE4294967295ELNS1_3gpuE0ELNS1_3repE0EEENS1_30default_config_static_selectorELNS0_4arch9wavefront6targetE1EEEvT1_, .Lfunc_end1417-_ZN7rocprim17ROCPRIM_400000_NS6detail17trampoline_kernelINS0_14default_configENS1_25partition_config_selectorILNS1_17partition_subalgoE8ElNS0_10empty_typeEbEEZZNS1_14partition_implILS5_8ELb0ES3_jPlPS6_PKS6_NS0_5tupleIJS9_S6_EEENSD_IJSA_SA_EEENS0_18inequality_wrapperIZN2at6native12_GLOBAL__N_124unique_dim_cuda_templateItEESt5tupleIJNSH_6TensorESM_SM_EERKSM_lbbbEUlllE0_EEPmJS6_EEE10hipError_tPvRmT3_T4_T5_T6_T7_T9_mT8_P12ihipStream_tbDpT10_ENKUlT_T0_E_clISt17integral_constantIbLb0EES1C_EEDaS17_S18_EUlS17_E_NS1_11comp_targetILNS1_3genE0ELNS1_11target_archE4294967295ELNS1_3gpuE0ELNS1_3repE0EEENS1_30default_config_static_selectorELNS0_4arch9wavefront6targetE1EEEvT1_
                                        ; -- End function
	.section	.AMDGPU.csdata,"",@progbits
; Kernel info:
; codeLenInByte = 0
; NumSgprs: 4
; NumVgprs: 0
; NumAgprs: 0
; TotalNumVgprs: 0
; ScratchSize: 0
; MemoryBound: 0
; FloatMode: 240
; IeeeMode: 1
; LDSByteSize: 0 bytes/workgroup (compile time only)
; SGPRBlocks: 0
; VGPRBlocks: 0
; NumSGPRsForWavesPerEU: 4
; NumVGPRsForWavesPerEU: 1
; AccumOffset: 4
; Occupancy: 8
; WaveLimiterHint : 0
; COMPUTE_PGM_RSRC2:SCRATCH_EN: 0
; COMPUTE_PGM_RSRC2:USER_SGPR: 6
; COMPUTE_PGM_RSRC2:TRAP_HANDLER: 0
; COMPUTE_PGM_RSRC2:TGID_X_EN: 1
; COMPUTE_PGM_RSRC2:TGID_Y_EN: 0
; COMPUTE_PGM_RSRC2:TGID_Z_EN: 0
; COMPUTE_PGM_RSRC2:TIDIG_COMP_CNT: 0
; COMPUTE_PGM_RSRC3_GFX90A:ACCUM_OFFSET: 0
; COMPUTE_PGM_RSRC3_GFX90A:TG_SPLIT: 0
	.section	.text._ZN7rocprim17ROCPRIM_400000_NS6detail17trampoline_kernelINS0_14default_configENS1_25partition_config_selectorILNS1_17partition_subalgoE8ElNS0_10empty_typeEbEEZZNS1_14partition_implILS5_8ELb0ES3_jPlPS6_PKS6_NS0_5tupleIJS9_S6_EEENSD_IJSA_SA_EEENS0_18inequality_wrapperIZN2at6native12_GLOBAL__N_124unique_dim_cuda_templateItEESt5tupleIJNSH_6TensorESM_SM_EERKSM_lbbbEUlllE0_EEPmJS6_EEE10hipError_tPvRmT3_T4_T5_T6_T7_T9_mT8_P12ihipStream_tbDpT10_ENKUlT_T0_E_clISt17integral_constantIbLb0EES1C_EEDaS17_S18_EUlS17_E_NS1_11comp_targetILNS1_3genE5ELNS1_11target_archE942ELNS1_3gpuE9ELNS1_3repE0EEENS1_30default_config_static_selectorELNS0_4arch9wavefront6targetE1EEEvT1_,"axG",@progbits,_ZN7rocprim17ROCPRIM_400000_NS6detail17trampoline_kernelINS0_14default_configENS1_25partition_config_selectorILNS1_17partition_subalgoE8ElNS0_10empty_typeEbEEZZNS1_14partition_implILS5_8ELb0ES3_jPlPS6_PKS6_NS0_5tupleIJS9_S6_EEENSD_IJSA_SA_EEENS0_18inequality_wrapperIZN2at6native12_GLOBAL__N_124unique_dim_cuda_templateItEESt5tupleIJNSH_6TensorESM_SM_EERKSM_lbbbEUlllE0_EEPmJS6_EEE10hipError_tPvRmT3_T4_T5_T6_T7_T9_mT8_P12ihipStream_tbDpT10_ENKUlT_T0_E_clISt17integral_constantIbLb0EES1C_EEDaS17_S18_EUlS17_E_NS1_11comp_targetILNS1_3genE5ELNS1_11target_archE942ELNS1_3gpuE9ELNS1_3repE0EEENS1_30default_config_static_selectorELNS0_4arch9wavefront6targetE1EEEvT1_,comdat
	.globl	_ZN7rocprim17ROCPRIM_400000_NS6detail17trampoline_kernelINS0_14default_configENS1_25partition_config_selectorILNS1_17partition_subalgoE8ElNS0_10empty_typeEbEEZZNS1_14partition_implILS5_8ELb0ES3_jPlPS6_PKS6_NS0_5tupleIJS9_S6_EEENSD_IJSA_SA_EEENS0_18inequality_wrapperIZN2at6native12_GLOBAL__N_124unique_dim_cuda_templateItEESt5tupleIJNSH_6TensorESM_SM_EERKSM_lbbbEUlllE0_EEPmJS6_EEE10hipError_tPvRmT3_T4_T5_T6_T7_T9_mT8_P12ihipStream_tbDpT10_ENKUlT_T0_E_clISt17integral_constantIbLb0EES1C_EEDaS17_S18_EUlS17_E_NS1_11comp_targetILNS1_3genE5ELNS1_11target_archE942ELNS1_3gpuE9ELNS1_3repE0EEENS1_30default_config_static_selectorELNS0_4arch9wavefront6targetE1EEEvT1_ ; -- Begin function _ZN7rocprim17ROCPRIM_400000_NS6detail17trampoline_kernelINS0_14default_configENS1_25partition_config_selectorILNS1_17partition_subalgoE8ElNS0_10empty_typeEbEEZZNS1_14partition_implILS5_8ELb0ES3_jPlPS6_PKS6_NS0_5tupleIJS9_S6_EEENSD_IJSA_SA_EEENS0_18inequality_wrapperIZN2at6native12_GLOBAL__N_124unique_dim_cuda_templateItEESt5tupleIJNSH_6TensorESM_SM_EERKSM_lbbbEUlllE0_EEPmJS6_EEE10hipError_tPvRmT3_T4_T5_T6_T7_T9_mT8_P12ihipStream_tbDpT10_ENKUlT_T0_E_clISt17integral_constantIbLb0EES1C_EEDaS17_S18_EUlS17_E_NS1_11comp_targetILNS1_3genE5ELNS1_11target_archE942ELNS1_3gpuE9ELNS1_3repE0EEENS1_30default_config_static_selectorELNS0_4arch9wavefront6targetE1EEEvT1_
	.p2align	8
	.type	_ZN7rocprim17ROCPRIM_400000_NS6detail17trampoline_kernelINS0_14default_configENS1_25partition_config_selectorILNS1_17partition_subalgoE8ElNS0_10empty_typeEbEEZZNS1_14partition_implILS5_8ELb0ES3_jPlPS6_PKS6_NS0_5tupleIJS9_S6_EEENSD_IJSA_SA_EEENS0_18inequality_wrapperIZN2at6native12_GLOBAL__N_124unique_dim_cuda_templateItEESt5tupleIJNSH_6TensorESM_SM_EERKSM_lbbbEUlllE0_EEPmJS6_EEE10hipError_tPvRmT3_T4_T5_T6_T7_T9_mT8_P12ihipStream_tbDpT10_ENKUlT_T0_E_clISt17integral_constantIbLb0EES1C_EEDaS17_S18_EUlS17_E_NS1_11comp_targetILNS1_3genE5ELNS1_11target_archE942ELNS1_3gpuE9ELNS1_3repE0EEENS1_30default_config_static_selectorELNS0_4arch9wavefront6targetE1EEEvT1_,@function
_ZN7rocprim17ROCPRIM_400000_NS6detail17trampoline_kernelINS0_14default_configENS1_25partition_config_selectorILNS1_17partition_subalgoE8ElNS0_10empty_typeEbEEZZNS1_14partition_implILS5_8ELb0ES3_jPlPS6_PKS6_NS0_5tupleIJS9_S6_EEENSD_IJSA_SA_EEENS0_18inequality_wrapperIZN2at6native12_GLOBAL__N_124unique_dim_cuda_templateItEESt5tupleIJNSH_6TensorESM_SM_EERKSM_lbbbEUlllE0_EEPmJS6_EEE10hipError_tPvRmT3_T4_T5_T6_T7_T9_mT8_P12ihipStream_tbDpT10_ENKUlT_T0_E_clISt17integral_constantIbLb0EES1C_EEDaS17_S18_EUlS17_E_NS1_11comp_targetILNS1_3genE5ELNS1_11target_archE942ELNS1_3gpuE9ELNS1_3repE0EEENS1_30default_config_static_selectorELNS0_4arch9wavefront6targetE1EEEvT1_: ; @_ZN7rocprim17ROCPRIM_400000_NS6detail17trampoline_kernelINS0_14default_configENS1_25partition_config_selectorILNS1_17partition_subalgoE8ElNS0_10empty_typeEbEEZZNS1_14partition_implILS5_8ELb0ES3_jPlPS6_PKS6_NS0_5tupleIJS9_S6_EEENSD_IJSA_SA_EEENS0_18inequality_wrapperIZN2at6native12_GLOBAL__N_124unique_dim_cuda_templateItEESt5tupleIJNSH_6TensorESM_SM_EERKSM_lbbbEUlllE0_EEPmJS6_EEE10hipError_tPvRmT3_T4_T5_T6_T7_T9_mT8_P12ihipStream_tbDpT10_ENKUlT_T0_E_clISt17integral_constantIbLb0EES1C_EEDaS17_S18_EUlS17_E_NS1_11comp_targetILNS1_3genE5ELNS1_11target_archE942ELNS1_3gpuE9ELNS1_3repE0EEENS1_30default_config_static_selectorELNS0_4arch9wavefront6targetE1EEEvT1_
; %bb.0:
	.section	.rodata,"a",@progbits
	.p2align	6, 0x0
	.amdhsa_kernel _ZN7rocprim17ROCPRIM_400000_NS6detail17trampoline_kernelINS0_14default_configENS1_25partition_config_selectorILNS1_17partition_subalgoE8ElNS0_10empty_typeEbEEZZNS1_14partition_implILS5_8ELb0ES3_jPlPS6_PKS6_NS0_5tupleIJS9_S6_EEENSD_IJSA_SA_EEENS0_18inequality_wrapperIZN2at6native12_GLOBAL__N_124unique_dim_cuda_templateItEESt5tupleIJNSH_6TensorESM_SM_EERKSM_lbbbEUlllE0_EEPmJS6_EEE10hipError_tPvRmT3_T4_T5_T6_T7_T9_mT8_P12ihipStream_tbDpT10_ENKUlT_T0_E_clISt17integral_constantIbLb0EES1C_EEDaS17_S18_EUlS17_E_NS1_11comp_targetILNS1_3genE5ELNS1_11target_archE942ELNS1_3gpuE9ELNS1_3repE0EEENS1_30default_config_static_selectorELNS0_4arch9wavefront6targetE1EEEvT1_
		.amdhsa_group_segment_fixed_size 0
		.amdhsa_private_segment_fixed_size 0
		.amdhsa_kernarg_size 120
		.amdhsa_user_sgpr_count 6
		.amdhsa_user_sgpr_private_segment_buffer 1
		.amdhsa_user_sgpr_dispatch_ptr 0
		.amdhsa_user_sgpr_queue_ptr 0
		.amdhsa_user_sgpr_kernarg_segment_ptr 1
		.amdhsa_user_sgpr_dispatch_id 0
		.amdhsa_user_sgpr_flat_scratch_init 0
		.amdhsa_user_sgpr_kernarg_preload_length 0
		.amdhsa_user_sgpr_kernarg_preload_offset 0
		.amdhsa_user_sgpr_private_segment_size 0
		.amdhsa_uses_dynamic_stack 0
		.amdhsa_system_sgpr_private_segment_wavefront_offset 0
		.amdhsa_system_sgpr_workgroup_id_x 1
		.amdhsa_system_sgpr_workgroup_id_y 0
		.amdhsa_system_sgpr_workgroup_id_z 0
		.amdhsa_system_sgpr_workgroup_info 0
		.amdhsa_system_vgpr_workitem_id 0
		.amdhsa_next_free_vgpr 1
		.amdhsa_next_free_sgpr 0
		.amdhsa_accum_offset 4
		.amdhsa_reserve_vcc 0
		.amdhsa_reserve_flat_scratch 0
		.amdhsa_float_round_mode_32 0
		.amdhsa_float_round_mode_16_64 0
		.amdhsa_float_denorm_mode_32 3
		.amdhsa_float_denorm_mode_16_64 3
		.amdhsa_dx10_clamp 1
		.amdhsa_ieee_mode 1
		.amdhsa_fp16_overflow 0
		.amdhsa_tg_split 0
		.amdhsa_exception_fp_ieee_invalid_op 0
		.amdhsa_exception_fp_denorm_src 0
		.amdhsa_exception_fp_ieee_div_zero 0
		.amdhsa_exception_fp_ieee_overflow 0
		.amdhsa_exception_fp_ieee_underflow 0
		.amdhsa_exception_fp_ieee_inexact 0
		.amdhsa_exception_int_div_zero 0
	.end_amdhsa_kernel
	.section	.text._ZN7rocprim17ROCPRIM_400000_NS6detail17trampoline_kernelINS0_14default_configENS1_25partition_config_selectorILNS1_17partition_subalgoE8ElNS0_10empty_typeEbEEZZNS1_14partition_implILS5_8ELb0ES3_jPlPS6_PKS6_NS0_5tupleIJS9_S6_EEENSD_IJSA_SA_EEENS0_18inequality_wrapperIZN2at6native12_GLOBAL__N_124unique_dim_cuda_templateItEESt5tupleIJNSH_6TensorESM_SM_EERKSM_lbbbEUlllE0_EEPmJS6_EEE10hipError_tPvRmT3_T4_T5_T6_T7_T9_mT8_P12ihipStream_tbDpT10_ENKUlT_T0_E_clISt17integral_constantIbLb0EES1C_EEDaS17_S18_EUlS17_E_NS1_11comp_targetILNS1_3genE5ELNS1_11target_archE942ELNS1_3gpuE9ELNS1_3repE0EEENS1_30default_config_static_selectorELNS0_4arch9wavefront6targetE1EEEvT1_,"axG",@progbits,_ZN7rocprim17ROCPRIM_400000_NS6detail17trampoline_kernelINS0_14default_configENS1_25partition_config_selectorILNS1_17partition_subalgoE8ElNS0_10empty_typeEbEEZZNS1_14partition_implILS5_8ELb0ES3_jPlPS6_PKS6_NS0_5tupleIJS9_S6_EEENSD_IJSA_SA_EEENS0_18inequality_wrapperIZN2at6native12_GLOBAL__N_124unique_dim_cuda_templateItEESt5tupleIJNSH_6TensorESM_SM_EERKSM_lbbbEUlllE0_EEPmJS6_EEE10hipError_tPvRmT3_T4_T5_T6_T7_T9_mT8_P12ihipStream_tbDpT10_ENKUlT_T0_E_clISt17integral_constantIbLb0EES1C_EEDaS17_S18_EUlS17_E_NS1_11comp_targetILNS1_3genE5ELNS1_11target_archE942ELNS1_3gpuE9ELNS1_3repE0EEENS1_30default_config_static_selectorELNS0_4arch9wavefront6targetE1EEEvT1_,comdat
.Lfunc_end1418:
	.size	_ZN7rocprim17ROCPRIM_400000_NS6detail17trampoline_kernelINS0_14default_configENS1_25partition_config_selectorILNS1_17partition_subalgoE8ElNS0_10empty_typeEbEEZZNS1_14partition_implILS5_8ELb0ES3_jPlPS6_PKS6_NS0_5tupleIJS9_S6_EEENSD_IJSA_SA_EEENS0_18inequality_wrapperIZN2at6native12_GLOBAL__N_124unique_dim_cuda_templateItEESt5tupleIJNSH_6TensorESM_SM_EERKSM_lbbbEUlllE0_EEPmJS6_EEE10hipError_tPvRmT3_T4_T5_T6_T7_T9_mT8_P12ihipStream_tbDpT10_ENKUlT_T0_E_clISt17integral_constantIbLb0EES1C_EEDaS17_S18_EUlS17_E_NS1_11comp_targetILNS1_3genE5ELNS1_11target_archE942ELNS1_3gpuE9ELNS1_3repE0EEENS1_30default_config_static_selectorELNS0_4arch9wavefront6targetE1EEEvT1_, .Lfunc_end1418-_ZN7rocprim17ROCPRIM_400000_NS6detail17trampoline_kernelINS0_14default_configENS1_25partition_config_selectorILNS1_17partition_subalgoE8ElNS0_10empty_typeEbEEZZNS1_14partition_implILS5_8ELb0ES3_jPlPS6_PKS6_NS0_5tupleIJS9_S6_EEENSD_IJSA_SA_EEENS0_18inequality_wrapperIZN2at6native12_GLOBAL__N_124unique_dim_cuda_templateItEESt5tupleIJNSH_6TensorESM_SM_EERKSM_lbbbEUlllE0_EEPmJS6_EEE10hipError_tPvRmT3_T4_T5_T6_T7_T9_mT8_P12ihipStream_tbDpT10_ENKUlT_T0_E_clISt17integral_constantIbLb0EES1C_EEDaS17_S18_EUlS17_E_NS1_11comp_targetILNS1_3genE5ELNS1_11target_archE942ELNS1_3gpuE9ELNS1_3repE0EEENS1_30default_config_static_selectorELNS0_4arch9wavefront6targetE1EEEvT1_
                                        ; -- End function
	.section	.AMDGPU.csdata,"",@progbits
; Kernel info:
; codeLenInByte = 0
; NumSgprs: 4
; NumVgprs: 0
; NumAgprs: 0
; TotalNumVgprs: 0
; ScratchSize: 0
; MemoryBound: 0
; FloatMode: 240
; IeeeMode: 1
; LDSByteSize: 0 bytes/workgroup (compile time only)
; SGPRBlocks: 0
; VGPRBlocks: 0
; NumSGPRsForWavesPerEU: 4
; NumVGPRsForWavesPerEU: 1
; AccumOffset: 4
; Occupancy: 8
; WaveLimiterHint : 0
; COMPUTE_PGM_RSRC2:SCRATCH_EN: 0
; COMPUTE_PGM_RSRC2:USER_SGPR: 6
; COMPUTE_PGM_RSRC2:TRAP_HANDLER: 0
; COMPUTE_PGM_RSRC2:TGID_X_EN: 1
; COMPUTE_PGM_RSRC2:TGID_Y_EN: 0
; COMPUTE_PGM_RSRC2:TGID_Z_EN: 0
; COMPUTE_PGM_RSRC2:TIDIG_COMP_CNT: 0
; COMPUTE_PGM_RSRC3_GFX90A:ACCUM_OFFSET: 0
; COMPUTE_PGM_RSRC3_GFX90A:TG_SPLIT: 0
	.section	.text._ZN7rocprim17ROCPRIM_400000_NS6detail17trampoline_kernelINS0_14default_configENS1_25partition_config_selectorILNS1_17partition_subalgoE8ElNS0_10empty_typeEbEEZZNS1_14partition_implILS5_8ELb0ES3_jPlPS6_PKS6_NS0_5tupleIJS9_S6_EEENSD_IJSA_SA_EEENS0_18inequality_wrapperIZN2at6native12_GLOBAL__N_124unique_dim_cuda_templateItEESt5tupleIJNSH_6TensorESM_SM_EERKSM_lbbbEUlllE0_EEPmJS6_EEE10hipError_tPvRmT3_T4_T5_T6_T7_T9_mT8_P12ihipStream_tbDpT10_ENKUlT_T0_E_clISt17integral_constantIbLb0EES1C_EEDaS17_S18_EUlS17_E_NS1_11comp_targetILNS1_3genE4ELNS1_11target_archE910ELNS1_3gpuE8ELNS1_3repE0EEENS1_30default_config_static_selectorELNS0_4arch9wavefront6targetE1EEEvT1_,"axG",@progbits,_ZN7rocprim17ROCPRIM_400000_NS6detail17trampoline_kernelINS0_14default_configENS1_25partition_config_selectorILNS1_17partition_subalgoE8ElNS0_10empty_typeEbEEZZNS1_14partition_implILS5_8ELb0ES3_jPlPS6_PKS6_NS0_5tupleIJS9_S6_EEENSD_IJSA_SA_EEENS0_18inequality_wrapperIZN2at6native12_GLOBAL__N_124unique_dim_cuda_templateItEESt5tupleIJNSH_6TensorESM_SM_EERKSM_lbbbEUlllE0_EEPmJS6_EEE10hipError_tPvRmT3_T4_T5_T6_T7_T9_mT8_P12ihipStream_tbDpT10_ENKUlT_T0_E_clISt17integral_constantIbLb0EES1C_EEDaS17_S18_EUlS17_E_NS1_11comp_targetILNS1_3genE4ELNS1_11target_archE910ELNS1_3gpuE8ELNS1_3repE0EEENS1_30default_config_static_selectorELNS0_4arch9wavefront6targetE1EEEvT1_,comdat
	.globl	_ZN7rocprim17ROCPRIM_400000_NS6detail17trampoline_kernelINS0_14default_configENS1_25partition_config_selectorILNS1_17partition_subalgoE8ElNS0_10empty_typeEbEEZZNS1_14partition_implILS5_8ELb0ES3_jPlPS6_PKS6_NS0_5tupleIJS9_S6_EEENSD_IJSA_SA_EEENS0_18inequality_wrapperIZN2at6native12_GLOBAL__N_124unique_dim_cuda_templateItEESt5tupleIJNSH_6TensorESM_SM_EERKSM_lbbbEUlllE0_EEPmJS6_EEE10hipError_tPvRmT3_T4_T5_T6_T7_T9_mT8_P12ihipStream_tbDpT10_ENKUlT_T0_E_clISt17integral_constantIbLb0EES1C_EEDaS17_S18_EUlS17_E_NS1_11comp_targetILNS1_3genE4ELNS1_11target_archE910ELNS1_3gpuE8ELNS1_3repE0EEENS1_30default_config_static_selectorELNS0_4arch9wavefront6targetE1EEEvT1_ ; -- Begin function _ZN7rocprim17ROCPRIM_400000_NS6detail17trampoline_kernelINS0_14default_configENS1_25partition_config_selectorILNS1_17partition_subalgoE8ElNS0_10empty_typeEbEEZZNS1_14partition_implILS5_8ELb0ES3_jPlPS6_PKS6_NS0_5tupleIJS9_S6_EEENSD_IJSA_SA_EEENS0_18inequality_wrapperIZN2at6native12_GLOBAL__N_124unique_dim_cuda_templateItEESt5tupleIJNSH_6TensorESM_SM_EERKSM_lbbbEUlllE0_EEPmJS6_EEE10hipError_tPvRmT3_T4_T5_T6_T7_T9_mT8_P12ihipStream_tbDpT10_ENKUlT_T0_E_clISt17integral_constantIbLb0EES1C_EEDaS17_S18_EUlS17_E_NS1_11comp_targetILNS1_3genE4ELNS1_11target_archE910ELNS1_3gpuE8ELNS1_3repE0EEENS1_30default_config_static_selectorELNS0_4arch9wavefront6targetE1EEEvT1_
	.p2align	8
	.type	_ZN7rocprim17ROCPRIM_400000_NS6detail17trampoline_kernelINS0_14default_configENS1_25partition_config_selectorILNS1_17partition_subalgoE8ElNS0_10empty_typeEbEEZZNS1_14partition_implILS5_8ELb0ES3_jPlPS6_PKS6_NS0_5tupleIJS9_S6_EEENSD_IJSA_SA_EEENS0_18inequality_wrapperIZN2at6native12_GLOBAL__N_124unique_dim_cuda_templateItEESt5tupleIJNSH_6TensorESM_SM_EERKSM_lbbbEUlllE0_EEPmJS6_EEE10hipError_tPvRmT3_T4_T5_T6_T7_T9_mT8_P12ihipStream_tbDpT10_ENKUlT_T0_E_clISt17integral_constantIbLb0EES1C_EEDaS17_S18_EUlS17_E_NS1_11comp_targetILNS1_3genE4ELNS1_11target_archE910ELNS1_3gpuE8ELNS1_3repE0EEENS1_30default_config_static_selectorELNS0_4arch9wavefront6targetE1EEEvT1_,@function
_ZN7rocprim17ROCPRIM_400000_NS6detail17trampoline_kernelINS0_14default_configENS1_25partition_config_selectorILNS1_17partition_subalgoE8ElNS0_10empty_typeEbEEZZNS1_14partition_implILS5_8ELb0ES3_jPlPS6_PKS6_NS0_5tupleIJS9_S6_EEENSD_IJSA_SA_EEENS0_18inequality_wrapperIZN2at6native12_GLOBAL__N_124unique_dim_cuda_templateItEESt5tupleIJNSH_6TensorESM_SM_EERKSM_lbbbEUlllE0_EEPmJS6_EEE10hipError_tPvRmT3_T4_T5_T6_T7_T9_mT8_P12ihipStream_tbDpT10_ENKUlT_T0_E_clISt17integral_constantIbLb0EES1C_EEDaS17_S18_EUlS17_E_NS1_11comp_targetILNS1_3genE4ELNS1_11target_archE910ELNS1_3gpuE8ELNS1_3repE0EEENS1_30default_config_static_selectorELNS0_4arch9wavefront6targetE1EEEvT1_: ; @_ZN7rocprim17ROCPRIM_400000_NS6detail17trampoline_kernelINS0_14default_configENS1_25partition_config_selectorILNS1_17partition_subalgoE8ElNS0_10empty_typeEbEEZZNS1_14partition_implILS5_8ELb0ES3_jPlPS6_PKS6_NS0_5tupleIJS9_S6_EEENSD_IJSA_SA_EEENS0_18inequality_wrapperIZN2at6native12_GLOBAL__N_124unique_dim_cuda_templateItEESt5tupleIJNSH_6TensorESM_SM_EERKSM_lbbbEUlllE0_EEPmJS6_EEE10hipError_tPvRmT3_T4_T5_T6_T7_T9_mT8_P12ihipStream_tbDpT10_ENKUlT_T0_E_clISt17integral_constantIbLb0EES1C_EEDaS17_S18_EUlS17_E_NS1_11comp_targetILNS1_3genE4ELNS1_11target_archE910ELNS1_3gpuE8ELNS1_3repE0EEENS1_30default_config_static_selectorELNS0_4arch9wavefront6targetE1EEEvT1_
; %bb.0:
	s_load_dwordx8 s[20:27], s[4:5], 0x40
	s_load_dwordx4 s[0:3], s[4:5], 0x8
	s_load_dwordx4 s[28:31], s[4:5], 0x60
	s_load_dword s7, s[4:5], 0x70
	s_waitcnt lgkmcnt(0)
	v_mov_b32_e32 v2, s24
	s_lshl_b64 s[8:9], s[2:3], 3
	s_add_u32 s12, s0, s8
	s_mul_i32 s8, s7, 0x500
	s_addc_u32 s13, s1, s9
	s_add_i32 s1, s8, s2
	s_add_i32 s10, s7, -1
	s_sub_i32 s7, s24, s1
	s_add_u32 s8, s2, s8
	s_addc_u32 s9, s3, 0
	v_mov_b32_e32 v3, s25
	s_cmp_eq_u32 s6, s10
	s_load_dwordx2 s[22:23], s[22:23], 0x0
	v_cmp_ge_u64_e32 vcc, s[8:9], v[2:3]
	s_cselect_b64 s[24:25], -1, 0
	s_mul_i32 s0, s6, 0x500
	s_mov_b32 s1, 0
	s_and_b64 s[10:11], s[24:25], vcc
	s_xor_b64 s[34:35], s[10:11], -1
	s_lshl_b64 s[0:1], s[0:1], 3
	s_add_u32 s0, s12, s0
	s_mov_b64 s[8:9], -1
	s_addc_u32 s1, s13, s1
	s_and_b64 vcc, exec, s[34:35]
	s_cbranch_vccz .LBB1419_2
; %bb.1:
	v_lshlrev_b32_e32 v1, 3, v0
	v_mov_b32_e32 v2, s1
	v_add_co_u32_e32 v12, vcc, s0, v1
	v_addc_co_u32_e32 v13, vcc, 0, v2, vcc
	v_add_co_u32_e32 v2, vcc, 0x1000, v12
	v_addc_co_u32_e32 v3, vcc, 0, v13, vcc
	global_load_dwordx2 v[4:5], v1, s[0:1]
	global_load_dwordx2 v[6:7], v1, s[0:1] offset:2048
	global_load_dwordx2 v[8:9], v[2:3], off
	global_load_dwordx2 v[10:11], v[2:3], off offset:2048
	v_add_co_u32_e32 v2, vcc, 0x2000, v12
	v_addc_co_u32_e32 v3, vcc, 0, v13, vcc
	global_load_dwordx2 v[2:3], v[2:3], off
	s_mov_b64 s[8:9], 0
	s_waitcnt vmcnt(3)
	ds_write2st64_b64 v1, v[4:5], v[6:7] offset1:4
	s_waitcnt vmcnt(1)
	ds_write2st64_b64 v1, v[8:9], v[10:11] offset0:8 offset1:12
	s_waitcnt vmcnt(0)
	ds_write_b64 v1, v[2:3] offset:8192
	s_waitcnt lgkmcnt(0)
	s_barrier
.LBB1419_2:
	s_andn2_b64 vcc, exec, s[8:9]
	s_addk_i32 s7, 0x500
	s_cbranch_vccnz .LBB1419_14
; %bb.3:
	v_cmp_gt_u32_e32 vcc, s7, v0
                                        ; implicit-def: $vgpr2_vgpr3_vgpr4_vgpr5_vgpr6_vgpr7_vgpr8_vgpr9_vgpr10_vgpr11_vgpr12_vgpr13_vgpr14_vgpr15_vgpr16_vgpr17
	s_and_saveexec_b64 s[8:9], vcc
	s_cbranch_execz .LBB1419_5
; %bb.4:
	v_lshlrev_b32_e32 v1, 3, v0
	global_load_dwordx2 v[2:3], v1, s[0:1]
.LBB1419_5:
	s_or_b64 exec, exec, s[8:9]
	v_or_b32_e32 v1, 0x100, v0
	v_cmp_gt_u32_e32 vcc, s7, v1
	s_and_saveexec_b64 s[8:9], vcc
	s_cbranch_execz .LBB1419_7
; %bb.6:
	v_lshlrev_b32_e32 v1, 3, v0
	global_load_dwordx2 v[4:5], v1, s[0:1] offset:2048
.LBB1419_7:
	s_or_b64 exec, exec, s[8:9]
	v_or_b32_e32 v1, 0x200, v0
	v_cmp_gt_u32_e32 vcc, s7, v1
	s_and_saveexec_b64 s[8:9], vcc
	s_cbranch_execz .LBB1419_9
; %bb.8:
	v_lshlrev_b32_e32 v1, 3, v1
	global_load_dwordx2 v[6:7], v1, s[0:1]
.LBB1419_9:
	s_or_b64 exec, exec, s[8:9]
	v_or_b32_e32 v1, 0x300, v0
	v_cmp_gt_u32_e32 vcc, s7, v1
	s_and_saveexec_b64 s[8:9], vcc
	s_cbranch_execz .LBB1419_11
; %bb.10:
	v_lshlrev_b32_e32 v1, 3, v1
	global_load_dwordx2 v[8:9], v1, s[0:1]
.LBB1419_11:
	;; [unrolled: 9-line block ×3, first 2 shown]
	s_or_b64 exec, exec, s[8:9]
	v_lshlrev_b32_e32 v1, 3, v0
	s_waitcnt vmcnt(0)
	ds_write2st64_b64 v1, v[2:3], v[4:5] offset1:4
	ds_write2st64_b64 v1, v[6:7], v[8:9] offset0:8 offset1:12
	ds_write_b64 v1, v[10:11] offset:8192
	s_waitcnt lgkmcnt(0)
	s_barrier
.LBB1419_14:
	v_mul_u32_u24_e32 v1, 5, v0
	v_lshlrev_b32_e32 v20, 3, v1
	s_waitcnt lgkmcnt(0)
	ds_read2_b64 v[6:9], v20 offset1:1
	ds_read2_b64 v[2:5], v20 offset0:2 offset1:3
	ds_read_b64 v[10:11], v20 offset:32
	s_cmp_lg_u32 s6, 0
	s_cselect_b64 s[16:17], -1, 0
	s_cmp_lg_u64 s[2:3], 0
	s_cselect_b64 s[2:3], -1, 0
	s_or_b64 s[2:3], s[16:17], s[2:3]
	v_mad_u32_u24 v24, v0, 5, 1
	v_mad_u32_u24 v22, v0, 5, 2
	;; [unrolled: 1-line block ×4, first 2 shown]
	s_mov_b64 s[12:13], 0
	s_and_b64 vcc, exec, s[2:3]
	v_cmp_gt_i64_e64 s[2:3], s[26:27], 0
	s_waitcnt lgkmcnt(0)
	s_barrier
	s_cbranch_vccz .LBB1419_23
; %bb.15:
	s_add_u32 s0, s0, -8
	s_addc_u32 s1, s1, -1
	s_load_dwordx2 s[12:13], s[0:1], 0x0
	v_cndmask_b32_e64 v12, 0, 1, s[2:3]
	v_lshlrev_b32_e32 v21, 3, v0
	s_mov_b64 s[14:15], 0
	s_and_b64 vcc, exec, s[34:35]
	v_cmp_ne_u32_e64 s[0:1], 1, v12
	ds_write_b64 v21, v[10:11]
	s_cbranch_vccz .LBB1419_24
; %bb.16:
	v_mul_lo_u32 v14, v5, s26
	v_mul_lo_u32 v15, v4, s27
	v_mad_u64_u32 v[12:13], s[2:3], v4, s26, 0
	v_add3_u32 v13, v13, v15, v14
	s_and_b64 vcc, exec, s[0:1]
	v_lshlrev_b64 v[12:13], 1, v[12:13]
	s_cbranch_vccnz .LBB1419_27
; %bb.17:
	v_mul_lo_u32 v16, v11, s26
	v_mul_lo_u32 v17, v10, s27
	v_mad_u64_u32 v[14:15], s[2:3], v10, s26, 0
	v_add3_u32 v15, v15, v17, v16
	v_mov_b32_e32 v17, s29
	v_add_co_u32_e32 v16, vcc, s28, v12
	v_addc_co_u32_e64 v17, s[2:3], v17, v13, vcc
	v_lshlrev_b64 v[14:15], 1, v[14:15]
	v_mov_b32_e32 v19, s29
	v_add_co_u32_e64 v18, s[2:3], s28, v14
	v_addc_co_u32_e64 v19, s[8:9], v19, v15, s[2:3]
	global_load_ushort v14, v[16:17], off
	global_load_ushort v26, v[18:19], off
	s_mov_b64 s[14:15], -1
	s_waitcnt vmcnt(0)
	v_cmp_eq_u16_e64 s[8:9], v14, v26
	s_and_saveexec_b64 s[18:19], s[8:9]
	s_cbranch_execz .LBB1419_26
; %bb.18:
	v_mov_b32_e32 v14, s29
	v_addc_co_u32_e64 v15, s[2:3], v15, v14, s[2:3]
	v_add_co_u32_e64 v14, s[2:3], 2, v18
	v_mov_b32_e32 v17, s29
	v_addc_co_u32_e64 v15, s[2:3], 0, v15, s[2:3]
	v_addc_co_u32_e32 v17, vcc, v13, v17, vcc
	v_add_co_u32_e32 v16, vcc, 2, v16
	s_add_u32 s2, s26, -1
	v_addc_co_u32_e32 v17, vcc, 0, v17, vcc
	s_addc_u32 s3, s27, -1
	s_mov_b64 s[8:9], 0
	s_mov_b64 s[36:37], 0
                                        ; implicit-def: $sgpr14_sgpr15
	s_branch .LBB1419_21
.LBB1419_19:                            ;   in Loop: Header=BB1419_21 Depth=1
	global_load_ushort v18, v[16:17], off
	global_load_ushort v19, v[14:15], off
	v_add_co_u32_e32 v14, vcc, 2, v14
	v_addc_co_u32_e32 v15, vcc, 0, v15, vcc
	v_add_co_u32_e32 v16, vcc, 2, v16
	v_addc_co_u32_e32 v17, vcc, 0, v17, vcc
	s_add_u32 s36, s36, 1
	s_addc_u32 s37, s37, 0
	s_andn2_b64 s[14:15], s[14:15], exec
	s_waitcnt vmcnt(0)
	v_cmp_ne_u16_e32 vcc, v18, v19
	s_and_b64 s[38:39], vcc, exec
	s_or_b64 s[14:15], s[14:15], s[38:39]
.LBB1419_20:                            ;   in Loop: Header=BB1419_21 Depth=1
	s_and_b64 s[38:39], exec, s[14:15]
	s_or_b64 s[8:9], s[38:39], s[8:9]
	v_pk_mov_b32 v[18:19], s[36:37], s[36:37] op_sel:[0,1]
	s_andn2_b64 exec, exec, s[8:9]
	s_cbranch_execz .LBB1419_25
.LBB1419_21:                            ; =>This Inner Loop Header: Depth=1
	s_or_b64 s[14:15], s[14:15], exec
	s_cmp_eq_u64 s[2:3], s[36:37]
	s_cbranch_scc0 .LBB1419_19
; %bb.22:                               ;   in Loop: Header=BB1419_21 Depth=1
                                        ; implicit-def: $vgpr14_vgpr15
                                        ; implicit-def: $vgpr16_vgpr17
	s_mov_b64 s[36:37], s[26:27]
	s_branch .LBB1419_20
.LBB1419_23:
                                        ; implicit-def: $sgpr18_sgpr19
                                        ; implicit-def: $vgpr13
                                        ; implicit-def: $vgpr16
	s_branch .LBB1419_125
.LBB1419_24:
                                        ; implicit-def: $sgpr18_sgpr19
                                        ; implicit-def: $vgpr13
                                        ; implicit-def: $vgpr16
	s_cbranch_execnz .LBB1419_66
	s_branch .LBB1419_124
.LBB1419_25:
	s_or_b64 exec, exec, s[8:9]
	v_cmp_gt_i64_e32 vcc, s[26:27], v[18:19]
	s_orn2_b64 s[14:15], vcc, exec
.LBB1419_26:
	s_or_b64 exec, exec, s[18:19]
.LBB1419_27:
	v_mul_lo_u32 v16, v3, s26
	v_mul_lo_u32 v17, v2, s27
	v_mad_u64_u32 v[14:15], s[2:3], v2, s26, 0
	v_add3_u32 v15, v15, v17, v16
	s_mov_b64 s[18:19], 0
	s_and_b64 vcc, exec, s[0:1]
	v_lshlrev_b64 v[16:17], 1, v[14:15]
	s_mov_b64 s[36:37], 0
	s_cbranch_vccnz .LBB1419_36
; %bb.28:
	v_mov_b32_e32 v15, s29
	v_add_co_u32_e32 v14, vcc, s28, v16
	v_addc_co_u32_e64 v15, s[2:3], v15, v17, vcc
	v_mov_b32_e32 v19, s29
	v_add_co_u32_e64 v18, s[2:3], s28, v12
	v_addc_co_u32_e64 v19, s[8:9], v19, v13, s[2:3]
	global_load_ushort v12, v[14:15], off
	global_load_ushort v26, v[18:19], off
	s_mov_b64 s[36:37], -1
	s_waitcnt vmcnt(0)
	v_cmp_eq_u16_e64 s[8:9], v12, v26
	s_and_saveexec_b64 s[38:39], s[8:9]
	s_cbranch_execz .LBB1419_35
; %bb.29:
	v_mov_b32_e32 v12, s29
	v_addc_co_u32_e64 v13, s[2:3], v13, v12, s[2:3]
	v_add_co_u32_e64 v12, s[2:3], 2, v18
	v_mov_b32_e32 v15, s29
	v_addc_co_u32_e64 v13, s[2:3], 0, v13, s[2:3]
	v_addc_co_u32_e32 v15, vcc, v17, v15, vcc
	v_add_co_u32_e32 v14, vcc, 2, v14
	s_add_u32 s2, s26, -1
	v_addc_co_u32_e32 v15, vcc, 0, v15, vcc
	s_addc_u32 s3, s27, -1
	s_mov_b64 s[8:9], 0
	s_mov_b64 s[40:41], 0
                                        ; implicit-def: $sgpr36_sgpr37
	s_branch .LBB1419_32
.LBB1419_30:                            ;   in Loop: Header=BB1419_32 Depth=1
	global_load_ushort v18, v[14:15], off
	global_load_ushort v19, v[12:13], off
	v_add_co_u32_e32 v12, vcc, 2, v12
	v_addc_co_u32_e32 v13, vcc, 0, v13, vcc
	v_add_co_u32_e32 v14, vcc, 2, v14
	v_addc_co_u32_e32 v15, vcc, 0, v15, vcc
	s_add_u32 s40, s40, 1
	s_addc_u32 s41, s41, 0
	s_andn2_b64 s[36:37], s[36:37], exec
	s_waitcnt vmcnt(0)
	v_cmp_ne_u16_e32 vcc, v18, v19
	s_and_b64 s[42:43], vcc, exec
	s_or_b64 s[36:37], s[36:37], s[42:43]
.LBB1419_31:                            ;   in Loop: Header=BB1419_32 Depth=1
	s_and_b64 s[42:43], exec, s[36:37]
	s_or_b64 s[8:9], s[42:43], s[8:9]
	v_pk_mov_b32 v[18:19], s[40:41], s[40:41] op_sel:[0,1]
	s_andn2_b64 exec, exec, s[8:9]
	s_cbranch_execz .LBB1419_34
.LBB1419_32:                            ; =>This Inner Loop Header: Depth=1
	s_or_b64 s[36:37], s[36:37], exec
	s_cmp_eq_u64 s[2:3], s[40:41]
	s_cbranch_scc0 .LBB1419_30
; %bb.33:                               ;   in Loop: Header=BB1419_32 Depth=1
                                        ; implicit-def: $vgpr12_vgpr13
                                        ; implicit-def: $vgpr14_vgpr15
	s_mov_b64 s[40:41], s[26:27]
	s_branch .LBB1419_31
.LBB1419_34:
	s_or_b64 exec, exec, s[8:9]
	v_cmp_gt_i64_e32 vcc, s[26:27], v[18:19]
	s_orn2_b64 s[36:37], vcc, exec
.LBB1419_35:
	s_or_b64 exec, exec, s[38:39]
.LBB1419_36:
	v_mul_lo_u32 v14, v9, s26
	v_mul_lo_u32 v15, v8, s27
	v_mad_u64_u32 v[12:13], s[2:3], v8, s26, 0
	v_add3_u32 v13, v13, v15, v14
	s_and_b64 vcc, exec, s[0:1]
	v_lshlrev_b64 v[14:15], 1, v[12:13]
	s_cbranch_vccnz .LBB1419_45
; %bb.37:
	v_mov_b32_e32 v12, s29
	v_add_co_u32_e32 v18, vcc, s28, v14
	v_addc_co_u32_e64 v19, s[2:3], v12, v15, vcc
	v_mov_b32_e32 v13, s29
	v_add_co_u32_e64 v12, s[2:3], s28, v16
	v_addc_co_u32_e64 v13, s[8:9], v13, v17, s[2:3]
	global_load_ushort v16, v[18:19], off
	global_load_ushort v26, v[12:13], off
	s_mov_b64 s[18:19], -1
	s_waitcnt vmcnt(0)
	v_cmp_eq_u16_e64 s[8:9], v16, v26
	s_and_saveexec_b64 s[38:39], s[8:9]
	s_cbranch_execz .LBB1419_44
; %bb.38:
	v_mov_b32_e32 v13, s29
	v_addc_co_u32_e64 v13, s[2:3], v17, v13, s[2:3]
	v_add_co_u32_e64 v12, s[2:3], 2, v12
	v_mov_b32_e32 v16, s29
	v_addc_co_u32_e64 v13, s[2:3], 0, v13, s[2:3]
	v_addc_co_u32_e32 v17, vcc, v15, v16, vcc
	v_add_co_u32_e32 v16, vcc, 2, v18
	s_add_u32 s2, s26, -1
	v_addc_co_u32_e32 v17, vcc, 0, v17, vcc
	s_addc_u32 s3, s27, -1
	s_mov_b64 s[8:9], 0
	s_mov_b64 s[40:41], 0
                                        ; implicit-def: $sgpr18_sgpr19
	s_branch .LBB1419_41
.LBB1419_39:                            ;   in Loop: Header=BB1419_41 Depth=1
	global_load_ushort v18, v[16:17], off
	global_load_ushort v19, v[12:13], off
	v_add_co_u32_e32 v12, vcc, 2, v12
	v_addc_co_u32_e32 v13, vcc, 0, v13, vcc
	v_add_co_u32_e32 v16, vcc, 2, v16
	v_addc_co_u32_e32 v17, vcc, 0, v17, vcc
	s_add_u32 s40, s40, 1
	s_addc_u32 s41, s41, 0
	s_andn2_b64 s[18:19], s[18:19], exec
	s_waitcnt vmcnt(0)
	v_cmp_ne_u16_e32 vcc, v18, v19
	s_and_b64 s[42:43], vcc, exec
	s_or_b64 s[18:19], s[18:19], s[42:43]
.LBB1419_40:                            ;   in Loop: Header=BB1419_41 Depth=1
	s_and_b64 s[42:43], exec, s[18:19]
	s_or_b64 s[8:9], s[42:43], s[8:9]
	v_pk_mov_b32 v[18:19], s[40:41], s[40:41] op_sel:[0,1]
	s_andn2_b64 exec, exec, s[8:9]
	s_cbranch_execz .LBB1419_43
.LBB1419_41:                            ; =>This Inner Loop Header: Depth=1
	s_or_b64 s[18:19], s[18:19], exec
	s_cmp_eq_u64 s[2:3], s[40:41]
	s_cbranch_scc0 .LBB1419_39
; %bb.42:                               ;   in Loop: Header=BB1419_41 Depth=1
                                        ; implicit-def: $vgpr12_vgpr13
                                        ; implicit-def: $vgpr16_vgpr17
	s_mov_b64 s[40:41], s[26:27]
	s_branch .LBB1419_40
.LBB1419_43:
	s_or_b64 exec, exec, s[8:9]
	v_cmp_gt_i64_e32 vcc, s[26:27], v[18:19]
	s_orn2_b64 s[18:19], vcc, exec
.LBB1419_44:
	s_or_b64 exec, exec, s[38:39]
.LBB1419_45:
	v_mul_lo_u32 v16, v7, s26
	v_mul_lo_u32 v17, v6, s27
	v_mad_u64_u32 v[12:13], s[2:3], v6, s26, 0
	v_add3_u32 v13, v13, v17, v16
	s_mov_b64 s[40:41], 0
	s_and_b64 vcc, exec, s[0:1]
	v_lshlrev_b64 v[12:13], 1, v[12:13]
	s_cbranch_vccnz .LBB1419_54
; %bb.46:
	v_mov_b32_e32 v17, s29
	v_add_co_u32_e32 v16, vcc, s28, v12
	v_addc_co_u32_e64 v17, s[2:3], v17, v13, vcc
	v_mov_b32_e32 v19, s29
	v_add_co_u32_e64 v18, s[2:3], s28, v14
	v_addc_co_u32_e64 v19, s[8:9], v19, v15, s[2:3]
	global_load_ushort v14, v[16:17], off
	global_load_ushort v26, v[18:19], off
	s_mov_b64 s[40:41], -1
	s_waitcnt vmcnt(0)
	v_cmp_eq_u16_e64 s[8:9], v14, v26
	s_and_saveexec_b64 s[38:39], s[8:9]
	s_cbranch_execz .LBB1419_53
; %bb.47:
	v_mov_b32_e32 v14, s29
	v_addc_co_u32_e64 v15, s[2:3], v15, v14, s[2:3]
	v_add_co_u32_e64 v14, s[2:3], 2, v18
	v_mov_b32_e32 v17, s29
	v_addc_co_u32_e64 v15, s[2:3], 0, v15, s[2:3]
	v_addc_co_u32_e32 v17, vcc, v13, v17, vcc
	v_add_co_u32_e32 v16, vcc, 2, v16
	s_add_u32 s2, s26, -1
	v_addc_co_u32_e32 v17, vcc, 0, v17, vcc
	s_addc_u32 s3, s27, -1
	s_mov_b64 s[8:9], 0
	s_mov_b64 s[42:43], 0
                                        ; implicit-def: $sgpr40_sgpr41
	s_branch .LBB1419_50
.LBB1419_48:                            ;   in Loop: Header=BB1419_50 Depth=1
	global_load_ushort v18, v[16:17], off
	global_load_ushort v19, v[14:15], off
	v_add_co_u32_e32 v14, vcc, 2, v14
	v_addc_co_u32_e32 v15, vcc, 0, v15, vcc
	v_add_co_u32_e32 v16, vcc, 2, v16
	v_addc_co_u32_e32 v17, vcc, 0, v17, vcc
	s_add_u32 s42, s42, 1
	s_addc_u32 s43, s43, 0
	s_andn2_b64 s[40:41], s[40:41], exec
	s_waitcnt vmcnt(0)
	v_cmp_ne_u16_e32 vcc, v18, v19
	s_and_b64 s[44:45], vcc, exec
	s_or_b64 s[40:41], s[40:41], s[44:45]
.LBB1419_49:                            ;   in Loop: Header=BB1419_50 Depth=1
	s_and_b64 s[44:45], exec, s[40:41]
	s_or_b64 s[8:9], s[44:45], s[8:9]
	v_pk_mov_b32 v[18:19], s[42:43], s[42:43] op_sel:[0,1]
	s_andn2_b64 exec, exec, s[8:9]
	s_cbranch_execz .LBB1419_52
.LBB1419_50:                            ; =>This Inner Loop Header: Depth=1
	s_or_b64 s[40:41], s[40:41], exec
	s_cmp_eq_u64 s[2:3], s[42:43]
	s_cbranch_scc0 .LBB1419_48
; %bb.51:                               ;   in Loop: Header=BB1419_50 Depth=1
                                        ; implicit-def: $vgpr14_vgpr15
                                        ; implicit-def: $vgpr16_vgpr17
	s_mov_b64 s[42:43], s[26:27]
	s_branch .LBB1419_49
.LBB1419_52:
	s_or_b64 exec, exec, s[8:9]
	v_cmp_gt_i64_e32 vcc, s[26:27], v[18:19]
	s_orn2_b64 s[40:41], vcc, exec
.LBB1419_53:
	s_or_b64 exec, exec, s[38:39]
.LBB1419_54:
	v_cmp_ne_u32_e32 vcc, 0, v0
	s_waitcnt lgkmcnt(0)
	v_pk_mov_b32 v[14:15], s[12:13], s[12:13] op_sel:[0,1]
	s_barrier
	s_and_saveexec_b64 s[2:3], vcc
	s_cbranch_execz .LBB1419_56
; %bb.55:
	v_add_u32_e32 v14, -8, v21
	ds_read_b64 v[14:15], v14
.LBB1419_56:
	s_or_b64 exec, exec, s[2:3]
	v_cndmask_b32_e64 v17, 0, 1, s[36:37]
	v_cndmask_b32_e64 v16, 0, 1, s[18:19]
	;; [unrolled: 1-line block ×3, first 2 shown]
	v_lshlrev_b16_e32 v17, 8, v17
	v_lshlrev_b16_e32 v26, 8, v18
	v_or_b32_sdwa v27, v16, v17 dst_sel:WORD_1 dst_unused:UNUSED_PAD src0_sel:DWORD src1_sel:DWORD
	s_mov_b64 s[36:37], 0
	s_and_b64 vcc, exec, s[0:1]
	s_mov_b64 s[18:19], 0
	s_cbranch_vccnz .LBB1419_65
; %bb.57:
	s_waitcnt lgkmcnt(0)
	v_mul_lo_u32 v16, v15, s26
	v_mul_lo_u32 v17, v14, s27
	v_mad_u64_u32 v[14:15], s[2:3], v14, s26, 0
	v_add3_u32 v15, v15, v17, v16
	v_lshlrev_b64 v[14:15], 1, v[14:15]
	v_mov_b32_e32 v17, s29
	v_add_co_u32_e32 v16, vcc, s28, v14
	v_addc_co_u32_e64 v17, s[2:3], v17, v15, vcc
	v_mov_b32_e32 v14, s29
	v_add_co_u32_e64 v18, s[2:3], s28, v12
	v_addc_co_u32_e64 v19, s[8:9], v14, v13, s[2:3]
	global_load_ushort v12, v[16:17], off
	global_load_ushort v14, v[18:19], off
	s_mov_b64 s[18:19], -1
	s_waitcnt vmcnt(0)
	v_cmp_eq_u16_e64 s[8:9], v12, v14
	s_and_saveexec_b64 s[38:39], s[8:9]
	s_cbranch_execz .LBB1419_64
; %bb.58:
	v_mov_b32_e32 v12, s29
	v_addc_co_u32_e64 v13, s[2:3], v13, v12, s[2:3]
	v_add_co_u32_e64 v12, s[2:3], 2, v18
	v_mov_b32_e32 v14, s29
	v_addc_co_u32_e64 v13, s[2:3], 0, v13, s[2:3]
	v_addc_co_u32_e32 v15, vcc, v15, v14, vcc
	v_add_co_u32_e32 v14, vcc, 2, v16
	s_add_u32 s2, s26, -1
	v_addc_co_u32_e32 v15, vcc, 0, v15, vcc
	s_addc_u32 s3, s27, -1
	s_mov_b64 s[8:9], 0
	s_mov_b64 s[40:41], 0
                                        ; implicit-def: $sgpr18_sgpr19
	s_branch .LBB1419_61
.LBB1419_59:                            ;   in Loop: Header=BB1419_61 Depth=1
	global_load_ushort v16, v[14:15], off
	global_load_ushort v17, v[12:13], off
	v_add_co_u32_e32 v12, vcc, 2, v12
	v_addc_co_u32_e32 v13, vcc, 0, v13, vcc
	v_add_co_u32_e32 v14, vcc, 2, v14
	v_addc_co_u32_e32 v15, vcc, 0, v15, vcc
	s_add_u32 s40, s40, 1
	s_addc_u32 s41, s41, 0
	s_andn2_b64 s[18:19], s[18:19], exec
	s_waitcnt vmcnt(0)
	v_cmp_ne_u16_e32 vcc, v16, v17
	s_and_b64 s[42:43], vcc, exec
	s_or_b64 s[18:19], s[18:19], s[42:43]
.LBB1419_60:                            ;   in Loop: Header=BB1419_61 Depth=1
	s_and_b64 s[42:43], exec, s[18:19]
	s_or_b64 s[8:9], s[42:43], s[8:9]
	v_pk_mov_b32 v[16:17], s[40:41], s[40:41] op_sel:[0,1]
	s_andn2_b64 exec, exec, s[8:9]
	s_cbranch_execz .LBB1419_63
.LBB1419_61:                            ; =>This Inner Loop Header: Depth=1
	s_or_b64 s[18:19], s[18:19], exec
	s_cmp_eq_u64 s[2:3], s[40:41]
	s_cbranch_scc0 .LBB1419_59
; %bb.62:                               ;   in Loop: Header=BB1419_61 Depth=1
                                        ; implicit-def: $vgpr12_vgpr13
                                        ; implicit-def: $vgpr14_vgpr15
	s_mov_b64 s[40:41], s[26:27]
	s_branch .LBB1419_60
.LBB1419_63:
	s_or_b64 exec, exec, s[8:9]
	v_cmp_gt_i64_e32 vcc, s[26:27], v[16:17]
	s_orn2_b64 s[18:19], vcc, exec
.LBB1419_64:
	s_or_b64 exec, exec, s[38:39]
.LBB1419_65:
	v_cndmask_b32_e64 v13, 0, 1, s[14:15]
	v_or_b32_e32 v16, v26, v27
	s_and_b64 vcc, exec, s[36:37]
	s_cbranch_vccz .LBB1419_124
.LBB1419_66:
	v_cmp_gt_u32_e32 vcc, s7, v23
	s_mov_b64 s[18:19], 0
	s_mov_b64 s[14:15], 0
	s_and_saveexec_b64 s[36:37], vcc
	s_cbranch_execz .LBB1419_77
; %bb.67:
	s_and_b64 vcc, exec, s[0:1]
	s_mov_b64 s[38:39], 0
	s_cbranch_vccnz .LBB1419_76
; %bb.68:
	s_waitcnt lgkmcnt(0)
	v_mul_lo_u32 v14, v5, s26
	v_mul_lo_u32 v15, v4, s27
	v_mad_u64_u32 v[12:13], s[2:3], v4, s26, 0
	v_add3_u32 v13, v13, v15, v14
	v_mul_lo_u32 v14, v11, s26
	v_mul_lo_u32 v15, v10, s27
	v_mad_u64_u32 v[18:19], s[2:3], v10, s26, 0
	v_add3_u32 v19, v19, v15, v14
	v_lshlrev_b64 v[14:15], 1, v[12:13]
	v_mov_b32_e32 v12, s29
	v_add_co_u32_e32 v16, vcc, s28, v14
	v_addc_co_u32_e64 v17, s[2:3], v12, v15, vcc
	v_lshlrev_b64 v[12:13], 1, v[18:19]
	v_mov_b32_e32 v14, s29
	v_add_co_u32_e64 v18, s[2:3], s28, v12
	v_addc_co_u32_e64 v19, s[8:9], v14, v13, s[2:3]
	global_load_ushort v12, v[16:17], off
	global_load_ushort v14, v[18:19], off
	s_mov_b64 s[38:39], -1
	s_waitcnt vmcnt(0)
	v_cmp_eq_u16_e64 s[8:9], v12, v14
	s_and_saveexec_b64 s[14:15], s[8:9]
	s_cbranch_execz .LBB1419_75
; %bb.69:
	v_mov_b32_e32 v12, s29
	v_addc_co_u32_e64 v13, s[2:3], v13, v12, s[2:3]
	v_add_co_u32_e64 v12, s[2:3], 2, v18
	v_mov_b32_e32 v14, s29
	v_addc_co_u32_e64 v13, s[2:3], 0, v13, s[2:3]
	v_addc_co_u32_e32 v15, vcc, v15, v14, vcc
	v_add_co_u32_e32 v14, vcc, 2, v16
	s_add_u32 s2, s26, -1
	v_addc_co_u32_e32 v15, vcc, 0, v15, vcc
	s_addc_u32 s3, s27, -1
	s_mov_b64 s[8:9], 0
	s_mov_b64 s[40:41], 0
                                        ; implicit-def: $sgpr38_sgpr39
	s_branch .LBB1419_72
.LBB1419_70:                            ;   in Loop: Header=BB1419_72 Depth=1
	global_load_ushort v16, v[14:15], off
	global_load_ushort v17, v[12:13], off
	v_add_co_u32_e32 v12, vcc, 2, v12
	v_addc_co_u32_e32 v13, vcc, 0, v13, vcc
	v_add_co_u32_e32 v14, vcc, 2, v14
	v_addc_co_u32_e32 v15, vcc, 0, v15, vcc
	s_add_u32 s40, s40, 1
	s_addc_u32 s41, s41, 0
	s_andn2_b64 s[38:39], s[38:39], exec
	s_waitcnt vmcnt(0)
	v_cmp_ne_u16_e32 vcc, v16, v17
	s_and_b64 s[42:43], vcc, exec
	s_or_b64 s[38:39], s[38:39], s[42:43]
.LBB1419_71:                            ;   in Loop: Header=BB1419_72 Depth=1
	s_and_b64 s[42:43], exec, s[38:39]
	s_or_b64 s[8:9], s[42:43], s[8:9]
	v_pk_mov_b32 v[16:17], s[40:41], s[40:41] op_sel:[0,1]
	s_andn2_b64 exec, exec, s[8:9]
	s_cbranch_execz .LBB1419_74
.LBB1419_72:                            ; =>This Inner Loop Header: Depth=1
	s_or_b64 s[38:39], s[38:39], exec
	s_cmp_eq_u64 s[2:3], s[40:41]
	s_cbranch_scc0 .LBB1419_70
; %bb.73:                               ;   in Loop: Header=BB1419_72 Depth=1
                                        ; implicit-def: $vgpr12_vgpr13
                                        ; implicit-def: $vgpr14_vgpr15
	s_mov_b64 s[40:41], s[26:27]
	s_branch .LBB1419_71
.LBB1419_74:
	s_or_b64 exec, exec, s[8:9]
	v_cmp_gt_i64_e32 vcc, s[26:27], v[16:17]
	s_orn2_b64 s[38:39], vcc, exec
.LBB1419_75:
	s_or_b64 exec, exec, s[14:15]
.LBB1419_76:
	s_and_b64 s[14:15], s[38:39], exec
.LBB1419_77:
	s_or_b64 exec, exec, s[36:37]
	v_cmp_gt_u32_e32 vcc, s7, v25
	s_and_saveexec_b64 s[36:37], vcc
	s_cbranch_execz .LBB1419_88
; %bb.78:
	s_and_b64 vcc, exec, s[0:1]
	s_mov_b64 s[38:39], 0
	s_cbranch_vccnz .LBB1419_87
; %bb.79:
	s_waitcnt lgkmcnt(0)
	v_mul_lo_u32 v14, v3, s26
	v_mul_lo_u32 v15, v2, s27
	v_mad_u64_u32 v[12:13], s[2:3], v2, s26, 0
	v_add3_u32 v13, v13, v15, v14
	v_mul_lo_u32 v14, v5, s26
	v_mul_lo_u32 v15, v4, s27
	v_mad_u64_u32 v[18:19], s[2:3], v4, s26, 0
	v_add3_u32 v19, v19, v15, v14
	v_lshlrev_b64 v[14:15], 1, v[12:13]
	v_mov_b32_e32 v12, s29
	v_add_co_u32_e32 v16, vcc, s28, v14
	v_addc_co_u32_e64 v17, s[2:3], v12, v15, vcc
	v_lshlrev_b64 v[12:13], 1, v[18:19]
	v_mov_b32_e32 v14, s29
	v_add_co_u32_e64 v18, s[2:3], s28, v12
	v_addc_co_u32_e64 v19, s[8:9], v14, v13, s[2:3]
	global_load_ushort v12, v[16:17], off
	global_load_ushort v14, v[18:19], off
	s_mov_b64 s[38:39], -1
	s_waitcnt vmcnt(0)
	v_cmp_eq_u16_e64 s[8:9], v12, v14
	s_and_saveexec_b64 s[18:19], s[8:9]
	s_cbranch_execz .LBB1419_86
; %bb.80:
	v_mov_b32_e32 v12, s29
	v_addc_co_u32_e64 v13, s[2:3], v13, v12, s[2:3]
	v_add_co_u32_e64 v12, s[2:3], 2, v18
	v_mov_b32_e32 v14, s29
	v_addc_co_u32_e64 v13, s[2:3], 0, v13, s[2:3]
	v_addc_co_u32_e32 v15, vcc, v15, v14, vcc
	v_add_co_u32_e32 v14, vcc, 2, v16
	s_add_u32 s2, s26, -1
	v_addc_co_u32_e32 v15, vcc, 0, v15, vcc
	s_addc_u32 s3, s27, -1
	s_mov_b64 s[8:9], 0
	s_mov_b64 s[40:41], 0
                                        ; implicit-def: $sgpr38_sgpr39
	s_branch .LBB1419_83
.LBB1419_81:                            ;   in Loop: Header=BB1419_83 Depth=1
	global_load_ushort v16, v[14:15], off
	global_load_ushort v17, v[12:13], off
	v_add_co_u32_e32 v12, vcc, 2, v12
	v_addc_co_u32_e32 v13, vcc, 0, v13, vcc
	v_add_co_u32_e32 v14, vcc, 2, v14
	v_addc_co_u32_e32 v15, vcc, 0, v15, vcc
	s_add_u32 s40, s40, 1
	s_addc_u32 s41, s41, 0
	s_andn2_b64 s[38:39], s[38:39], exec
	s_waitcnt vmcnt(0)
	v_cmp_ne_u16_e32 vcc, v16, v17
	s_and_b64 s[42:43], vcc, exec
	s_or_b64 s[38:39], s[38:39], s[42:43]
.LBB1419_82:                            ;   in Loop: Header=BB1419_83 Depth=1
	s_and_b64 s[42:43], exec, s[38:39]
	s_or_b64 s[8:9], s[42:43], s[8:9]
	v_pk_mov_b32 v[16:17], s[40:41], s[40:41] op_sel:[0,1]
	s_andn2_b64 exec, exec, s[8:9]
	s_cbranch_execz .LBB1419_85
.LBB1419_83:                            ; =>This Inner Loop Header: Depth=1
	s_or_b64 s[38:39], s[38:39], exec
	s_cmp_eq_u64 s[2:3], s[40:41]
	s_cbranch_scc0 .LBB1419_81
; %bb.84:                               ;   in Loop: Header=BB1419_83 Depth=1
                                        ; implicit-def: $vgpr12_vgpr13
                                        ; implicit-def: $vgpr14_vgpr15
	s_mov_b64 s[40:41], s[26:27]
	s_branch .LBB1419_82
.LBB1419_85:
	s_or_b64 exec, exec, s[8:9]
	v_cmp_gt_i64_e32 vcc, s[26:27], v[16:17]
	s_orn2_b64 s[38:39], vcc, exec
.LBB1419_86:
	s_or_b64 exec, exec, s[18:19]
.LBB1419_87:
	s_and_b64 s[18:19], s[38:39], exec
.LBB1419_88:
	s_or_b64 exec, exec, s[36:37]
	v_cmp_gt_u32_e32 vcc, s7, v22
	s_mov_b64 s[36:37], 0
	s_mov_b64 s[38:39], 0
	s_and_saveexec_b64 s[40:41], vcc
	s_cbranch_execz .LBB1419_99
; %bb.89:
	s_and_b64 vcc, exec, s[0:1]
	s_mov_b64 s[42:43], 0
	s_cbranch_vccnz .LBB1419_98
; %bb.90:
	s_waitcnt lgkmcnt(0)
	v_mul_lo_u32 v14, v9, s26
	v_mul_lo_u32 v15, v8, s27
	v_mad_u64_u32 v[12:13], s[2:3], v8, s26, 0
	v_add3_u32 v13, v13, v15, v14
	v_mul_lo_u32 v14, v3, s26
	v_mul_lo_u32 v15, v2, s27
	v_mad_u64_u32 v[18:19], s[2:3], v2, s26, 0
	v_add3_u32 v19, v19, v15, v14
	v_lshlrev_b64 v[14:15], 1, v[12:13]
	v_mov_b32_e32 v12, s29
	v_add_co_u32_e32 v16, vcc, s28, v14
	v_addc_co_u32_e64 v17, s[2:3], v12, v15, vcc
	v_lshlrev_b64 v[12:13], 1, v[18:19]
	v_mov_b32_e32 v14, s29
	v_add_co_u32_e64 v18, s[2:3], s28, v12
	v_addc_co_u32_e64 v19, s[8:9], v14, v13, s[2:3]
	global_load_ushort v12, v[16:17], off
	global_load_ushort v14, v[18:19], off
	s_mov_b64 s[42:43], -1
	s_waitcnt vmcnt(0)
	v_cmp_eq_u16_e64 s[8:9], v12, v14
	s_and_saveexec_b64 s[38:39], s[8:9]
	s_cbranch_execz .LBB1419_97
; %bb.91:
	v_mov_b32_e32 v12, s29
	v_addc_co_u32_e64 v13, s[2:3], v13, v12, s[2:3]
	v_add_co_u32_e64 v12, s[2:3], 2, v18
	v_mov_b32_e32 v14, s29
	v_addc_co_u32_e64 v13, s[2:3], 0, v13, s[2:3]
	v_addc_co_u32_e32 v15, vcc, v15, v14, vcc
	v_add_co_u32_e32 v14, vcc, 2, v16
	s_add_u32 s2, s26, -1
	v_addc_co_u32_e32 v15, vcc, 0, v15, vcc
	s_addc_u32 s3, s27, -1
	s_mov_b64 s[8:9], 0
	s_mov_b64 s[44:45], 0
                                        ; implicit-def: $sgpr42_sgpr43
	s_branch .LBB1419_94
.LBB1419_92:                            ;   in Loop: Header=BB1419_94 Depth=1
	global_load_ushort v16, v[14:15], off
	global_load_ushort v17, v[12:13], off
	v_add_co_u32_e32 v12, vcc, 2, v12
	v_addc_co_u32_e32 v13, vcc, 0, v13, vcc
	v_add_co_u32_e32 v14, vcc, 2, v14
	v_addc_co_u32_e32 v15, vcc, 0, v15, vcc
	s_add_u32 s44, s44, 1
	s_addc_u32 s45, s45, 0
	s_andn2_b64 s[42:43], s[42:43], exec
	s_waitcnt vmcnt(0)
	v_cmp_ne_u16_e32 vcc, v16, v17
	s_and_b64 s[46:47], vcc, exec
	s_or_b64 s[42:43], s[42:43], s[46:47]
.LBB1419_93:                            ;   in Loop: Header=BB1419_94 Depth=1
	s_and_b64 s[46:47], exec, s[42:43]
	s_or_b64 s[8:9], s[46:47], s[8:9]
	v_pk_mov_b32 v[16:17], s[44:45], s[44:45] op_sel:[0,1]
	s_andn2_b64 exec, exec, s[8:9]
	s_cbranch_execz .LBB1419_96
.LBB1419_94:                            ; =>This Inner Loop Header: Depth=1
	s_or_b64 s[42:43], s[42:43], exec
	s_cmp_eq_u64 s[2:3], s[44:45]
	s_cbranch_scc0 .LBB1419_92
; %bb.95:                               ;   in Loop: Header=BB1419_94 Depth=1
                                        ; implicit-def: $vgpr12_vgpr13
                                        ; implicit-def: $vgpr14_vgpr15
	s_mov_b64 s[44:45], s[26:27]
	s_branch .LBB1419_93
.LBB1419_96:
	s_or_b64 exec, exec, s[8:9]
	v_cmp_gt_i64_e32 vcc, s[26:27], v[16:17]
	s_orn2_b64 s[42:43], vcc, exec
.LBB1419_97:
	s_or_b64 exec, exec, s[38:39]
.LBB1419_98:
	s_and_b64 s[38:39], s[42:43], exec
.LBB1419_99:
	s_or_b64 exec, exec, s[40:41]
	v_cmp_gt_u32_e32 vcc, s7, v24
	s_and_saveexec_b64 s[40:41], vcc
	s_cbranch_execz .LBB1419_110
; %bb.100:
	s_and_b64 vcc, exec, s[0:1]
	s_mov_b64 s[42:43], 0
	s_cbranch_vccnz .LBB1419_109
; %bb.101:
	s_waitcnt lgkmcnt(0)
	v_mul_lo_u32 v14, v7, s26
	v_mul_lo_u32 v15, v6, s27
	v_mad_u64_u32 v[12:13], s[2:3], v6, s26, 0
	v_add3_u32 v13, v13, v15, v14
	v_mul_lo_u32 v14, v9, s26
	v_mul_lo_u32 v15, v8, s27
	v_mad_u64_u32 v[18:19], s[2:3], v8, s26, 0
	v_add3_u32 v19, v19, v15, v14
	v_lshlrev_b64 v[14:15], 1, v[12:13]
	v_mov_b32_e32 v12, s29
	v_add_co_u32_e32 v16, vcc, s28, v14
	v_addc_co_u32_e64 v17, s[2:3], v12, v15, vcc
	v_lshlrev_b64 v[12:13], 1, v[18:19]
	v_mov_b32_e32 v14, s29
	v_add_co_u32_e64 v18, s[2:3], s28, v12
	v_addc_co_u32_e64 v19, s[8:9], v14, v13, s[2:3]
	global_load_ushort v12, v[16:17], off
	global_load_ushort v14, v[18:19], off
	s_mov_b64 s[42:43], -1
	s_waitcnt vmcnt(0)
	v_cmp_eq_u16_e64 s[8:9], v12, v14
	s_and_saveexec_b64 s[36:37], s[8:9]
	s_cbranch_execz .LBB1419_108
; %bb.102:
	v_mov_b32_e32 v12, s29
	v_addc_co_u32_e64 v13, s[2:3], v13, v12, s[2:3]
	v_add_co_u32_e64 v12, s[2:3], 2, v18
	v_mov_b32_e32 v14, s29
	v_addc_co_u32_e64 v13, s[2:3], 0, v13, s[2:3]
	v_addc_co_u32_e32 v15, vcc, v15, v14, vcc
	v_add_co_u32_e32 v14, vcc, 2, v16
	s_add_u32 s2, s26, -1
	v_addc_co_u32_e32 v15, vcc, 0, v15, vcc
	s_addc_u32 s3, s27, -1
	s_mov_b64 s[8:9], 0
	s_mov_b64 s[44:45], 0
                                        ; implicit-def: $sgpr42_sgpr43
	s_branch .LBB1419_105
.LBB1419_103:                           ;   in Loop: Header=BB1419_105 Depth=1
	global_load_ushort v16, v[14:15], off
	global_load_ushort v17, v[12:13], off
	v_add_co_u32_e32 v12, vcc, 2, v12
	v_addc_co_u32_e32 v13, vcc, 0, v13, vcc
	v_add_co_u32_e32 v14, vcc, 2, v14
	v_addc_co_u32_e32 v15, vcc, 0, v15, vcc
	s_add_u32 s44, s44, 1
	s_addc_u32 s45, s45, 0
	s_andn2_b64 s[42:43], s[42:43], exec
	s_waitcnt vmcnt(0)
	v_cmp_ne_u16_e32 vcc, v16, v17
	s_and_b64 s[46:47], vcc, exec
	s_or_b64 s[42:43], s[42:43], s[46:47]
.LBB1419_104:                           ;   in Loop: Header=BB1419_105 Depth=1
	s_and_b64 s[46:47], exec, s[42:43]
	s_or_b64 s[8:9], s[46:47], s[8:9]
	v_pk_mov_b32 v[16:17], s[44:45], s[44:45] op_sel:[0,1]
	s_andn2_b64 exec, exec, s[8:9]
	s_cbranch_execz .LBB1419_107
.LBB1419_105:                           ; =>This Inner Loop Header: Depth=1
	s_or_b64 s[42:43], s[42:43], exec
	s_cmp_eq_u64 s[2:3], s[44:45]
	s_cbranch_scc0 .LBB1419_103
; %bb.106:                              ;   in Loop: Header=BB1419_105 Depth=1
                                        ; implicit-def: $vgpr12_vgpr13
                                        ; implicit-def: $vgpr14_vgpr15
	s_mov_b64 s[44:45], s[26:27]
	s_branch .LBB1419_104
.LBB1419_107:
	s_or_b64 exec, exec, s[8:9]
	v_cmp_gt_i64_e32 vcc, s[26:27], v[16:17]
	s_orn2_b64 s[42:43], vcc, exec
.LBB1419_108:
	s_or_b64 exec, exec, s[36:37]
.LBB1419_109:
	s_and_b64 s[36:37], s[42:43], exec
.LBB1419_110:
	s_or_b64 exec, exec, s[40:41]
	v_cmp_ne_u32_e32 vcc, 0, v0
	s_waitcnt lgkmcnt(0)
	v_pk_mov_b32 v[12:13], s[12:13], s[12:13] op_sel:[0,1]
	s_barrier
	s_and_saveexec_b64 s[2:3], vcc
	s_cbranch_execz .LBB1419_112
; %bb.111:
	v_add_u32_e32 v12, -8, v21
	ds_read_b64 v[12:13], v12
.LBB1419_112:
	s_or_b64 exec, exec, s[2:3]
	v_cndmask_b32_e64 v15, 0, 1, s[18:19]
	v_cndmask_b32_e64 v14, 0, 1, s[38:39]
	v_cndmask_b32_e64 v16, 0, 1, s[36:37]
	v_lshlrev_b16_e32 v15, 8, v15
	v_cmp_gt_u32_e32 vcc, s7, v1
	v_lshlrev_b16_e32 v21, 8, v16
	v_or_b32_sdwa v26, v14, v15 dst_sel:WORD_1 dst_unused:UNUSED_PAD src0_sel:DWORD src1_sel:DWORD
	s_mov_b64 s[18:19], 0
	s_and_saveexec_b64 s[8:9], vcc
	s_cbranch_execz .LBB1419_123
; %bb.113:
	s_and_b64 vcc, exec, s[0:1]
	s_cbranch_vccnz .LBB1419_122
; %bb.114:
	s_waitcnt lgkmcnt(0)
	v_mul_lo_u32 v14, v13, s26
	v_mul_lo_u32 v15, v12, s27
	v_mad_u64_u32 v[12:13], s[0:1], v12, s26, 0
	v_add3_u32 v13, v13, v15, v14
	v_mul_lo_u32 v14, v7, s26
	v_mul_lo_u32 v15, v6, s27
	v_mad_u64_u32 v[18:19], s[0:1], v6, s26, 0
	v_add3_u32 v19, v19, v15, v14
	v_lshlrev_b64 v[14:15], 1, v[12:13]
	v_mov_b32_e32 v12, s29
	v_add_co_u32_e32 v16, vcc, s28, v14
	v_addc_co_u32_e64 v17, s[0:1], v12, v15, vcc
	v_lshlrev_b64 v[12:13], 1, v[18:19]
	v_mov_b32_e32 v14, s29
	v_add_co_u32_e64 v18, s[0:1], s28, v12
	v_addc_co_u32_e64 v19, s[2:3], v14, v13, s[0:1]
	global_load_ushort v12, v[16:17], off
	global_load_ushort v14, v[18:19], off
	s_mov_b64 s[18:19], -1
	s_waitcnt vmcnt(0)
	v_cmp_eq_u16_e64 s[2:3], v12, v14
	s_and_saveexec_b64 s[12:13], s[2:3]
	s_cbranch_execz .LBB1419_121
; %bb.115:
	v_mov_b32_e32 v12, s29
	v_addc_co_u32_e64 v13, s[0:1], v13, v12, s[0:1]
	v_add_co_u32_e64 v12, s[0:1], 2, v18
	v_mov_b32_e32 v14, s29
	v_addc_co_u32_e64 v13, s[0:1], 0, v13, s[0:1]
	v_addc_co_u32_e32 v15, vcc, v15, v14, vcc
	v_add_co_u32_e32 v14, vcc, 2, v16
	s_add_u32 s0, s26, -1
	v_addc_co_u32_e32 v15, vcc, 0, v15, vcc
	s_addc_u32 s1, s27, -1
	s_mov_b64 s[2:3], 0
	s_mov_b64 s[36:37], 0
                                        ; implicit-def: $sgpr18_sgpr19
	s_branch .LBB1419_118
.LBB1419_116:                           ;   in Loop: Header=BB1419_118 Depth=1
	global_load_ushort v16, v[14:15], off
	global_load_ushort v17, v[12:13], off
	v_add_co_u32_e32 v12, vcc, 2, v12
	v_addc_co_u32_e32 v13, vcc, 0, v13, vcc
	v_add_co_u32_e32 v14, vcc, 2, v14
	v_addc_co_u32_e32 v15, vcc, 0, v15, vcc
	s_add_u32 s36, s36, 1
	s_addc_u32 s37, s37, 0
	s_andn2_b64 s[18:19], s[18:19], exec
	s_waitcnt vmcnt(0)
	v_cmp_ne_u16_e32 vcc, v16, v17
	s_and_b64 s[38:39], vcc, exec
	s_or_b64 s[18:19], s[18:19], s[38:39]
.LBB1419_117:                           ;   in Loop: Header=BB1419_118 Depth=1
	s_and_b64 s[38:39], exec, s[18:19]
	s_or_b64 s[2:3], s[38:39], s[2:3]
	v_pk_mov_b32 v[16:17], s[36:37], s[36:37] op_sel:[0,1]
	s_andn2_b64 exec, exec, s[2:3]
	s_cbranch_execz .LBB1419_120
.LBB1419_118:                           ; =>This Inner Loop Header: Depth=1
	s_or_b64 s[18:19], s[18:19], exec
	s_cmp_eq_u64 s[0:1], s[36:37]
	s_cbranch_scc0 .LBB1419_116
; %bb.119:                              ;   in Loop: Header=BB1419_118 Depth=1
                                        ; implicit-def: $vgpr12_vgpr13
                                        ; implicit-def: $vgpr14_vgpr15
	s_mov_b64 s[36:37], s[26:27]
	s_branch .LBB1419_117
.LBB1419_120:
	s_or_b64 exec, exec, s[2:3]
	v_cmp_gt_i64_e32 vcc, s[26:27], v[16:17]
	s_orn2_b64 s[18:19], vcc, exec
.LBB1419_121:
	s_or_b64 exec, exec, s[12:13]
.LBB1419_122:
	s_and_b64 s[18:19], s[18:19], exec
.LBB1419_123:
	s_or_b64 exec, exec, s[8:9]
	s_waitcnt lgkmcnt(0)
	v_cndmask_b32_e64 v13, 0, 1, s[14:15]
	v_or_b32_e32 v16, v21, v26
.LBB1419_124:
	s_waitcnt lgkmcnt(0)
	s_mov_b64 s[12:13], -1
	s_cbranch_execnz .LBB1419_233
.LBB1419_125:
	v_lshlrev_b32_e32 v12, 5, v0
	v_sub_u32_e32 v26, v20, v12
	s_mov_b64 s[18:19], 0
	v_cmp_gt_i64_e64 s[14:15], s[26:27], 0
	s_and_b64 vcc, exec, s[34:35]
	ds_write_b64 v26, v[10:11]
	s_cbranch_vccz .LBB1419_133
; %bb.126:
	v_mul_lo_u32 v14, v5, s26
	v_mul_lo_u32 v15, v4, s27
	v_mad_u64_u32 v[12:13], s[0:1], v4, s26, 0
	v_add3_u32 v13, v13, v15, v14
	v_cndmask_b32_e64 v14, 0, 1, s[14:15]
	v_cmp_ne_u32_e64 s[0:1], 1, v14
	s_andn2_b64 vcc, exec, s[14:15]
	v_lshlrev_b64 v[12:13], 1, v[12:13]
	s_cbranch_vccnz .LBB1419_136
; %bb.127:
	v_mul_lo_u32 v16, v11, s26
	v_mul_lo_u32 v17, v10, s27
	v_mad_u64_u32 v[14:15], s[2:3], v10, s26, 0
	v_add3_u32 v15, v15, v17, v16
	v_mov_b32_e32 v17, s29
	v_add_co_u32_e32 v16, vcc, s28, v12
	v_addc_co_u32_e64 v17, s[2:3], v17, v13, vcc
	v_lshlrev_b64 v[14:15], 1, v[14:15]
	v_mov_b32_e32 v19, s29
	v_add_co_u32_e64 v18, s[2:3], s28, v14
	v_addc_co_u32_e64 v19, s[8:9], v19, v15, s[2:3]
	global_load_ushort v14, v[16:17], off
	global_load_ushort v20, v[18:19], off
	s_mov_b64 s[18:19], -1
	s_waitcnt vmcnt(0)
	v_cmp_eq_u16_e64 s[8:9], v14, v20
	s_and_saveexec_b64 s[36:37], s[8:9]
	s_cbranch_execz .LBB1419_135
; %bb.128:
	v_mov_b32_e32 v14, s29
	v_addc_co_u32_e64 v15, s[2:3], v15, v14, s[2:3]
	v_add_co_u32_e64 v14, s[2:3], 2, v18
	v_mov_b32_e32 v17, s29
	v_addc_co_u32_e64 v15, s[2:3], 0, v15, s[2:3]
	v_addc_co_u32_e32 v17, vcc, v13, v17, vcc
	v_add_co_u32_e32 v16, vcc, 2, v16
	s_add_u32 s2, s26, -1
	v_addc_co_u32_e32 v17, vcc, 0, v17, vcc
	s_addc_u32 s3, s27, -1
	s_mov_b64 s[8:9], 0
	s_mov_b64 s[38:39], 0
                                        ; implicit-def: $sgpr18_sgpr19
	s_branch .LBB1419_131
.LBB1419_129:                           ;   in Loop: Header=BB1419_131 Depth=1
	global_load_ushort v18, v[16:17], off
	global_load_ushort v19, v[14:15], off
	v_add_co_u32_e32 v14, vcc, 2, v14
	v_addc_co_u32_e32 v15, vcc, 0, v15, vcc
	v_add_co_u32_e32 v16, vcc, 2, v16
	v_addc_co_u32_e32 v17, vcc, 0, v17, vcc
	s_add_u32 s38, s38, 1
	s_addc_u32 s39, s39, 0
	s_andn2_b64 s[18:19], s[18:19], exec
	s_waitcnt vmcnt(0)
	v_cmp_ne_u16_e32 vcc, v18, v19
	s_and_b64 s[40:41], vcc, exec
	s_or_b64 s[18:19], s[18:19], s[40:41]
.LBB1419_130:                           ;   in Loop: Header=BB1419_131 Depth=1
	s_and_b64 s[40:41], exec, s[18:19]
	s_or_b64 s[8:9], s[40:41], s[8:9]
	v_pk_mov_b32 v[18:19], s[38:39], s[38:39] op_sel:[0,1]
	s_andn2_b64 exec, exec, s[8:9]
	s_cbranch_execz .LBB1419_134
.LBB1419_131:                           ; =>This Inner Loop Header: Depth=1
	s_or_b64 s[18:19], s[18:19], exec
	s_cmp_eq_u64 s[2:3], s[38:39]
	s_cbranch_scc0 .LBB1419_129
; %bb.132:                              ;   in Loop: Header=BB1419_131 Depth=1
                                        ; implicit-def: $vgpr14_vgpr15
                                        ; implicit-def: $vgpr16_vgpr17
	s_mov_b64 s[38:39], s[26:27]
	s_branch .LBB1419_130
.LBB1419_133:
                                        ; implicit-def: $sgpr18_sgpr19
                                        ; implicit-def: $vgpr13
                                        ; implicit-def: $vgpr16
	s_cbranch_execnz .LBB1419_175
	s_branch .LBB1419_233
.LBB1419_134:
	s_or_b64 exec, exec, s[8:9]
	v_cmp_gt_i64_e32 vcc, s[26:27], v[18:19]
	s_orn2_b64 s[18:19], vcc, exec
.LBB1419_135:
	s_or_b64 exec, exec, s[36:37]
.LBB1419_136:
	v_mul_lo_u32 v16, v3, s26
	v_mul_lo_u32 v17, v2, s27
	v_mad_u64_u32 v[14:15], s[2:3], v2, s26, 0
	v_add3_u32 v15, v15, v17, v16
	s_mov_b64 s[36:37], 0
	s_and_b64 vcc, exec, s[0:1]
	v_lshlrev_b64 v[14:15], 1, v[14:15]
	s_mov_b64 s[38:39], 0
	s_cbranch_vccnz .LBB1419_145
; %bb.137:
	v_mov_b32_e32 v17, s29
	v_add_co_u32_e32 v16, vcc, s28, v14
	v_addc_co_u32_e64 v17, s[2:3], v17, v15, vcc
	v_mov_b32_e32 v19, s29
	v_add_co_u32_e64 v18, s[2:3], s28, v12
	v_addc_co_u32_e64 v19, s[8:9], v19, v13, s[2:3]
	global_load_ushort v12, v[16:17], off
	global_load_ushort v20, v[18:19], off
	s_mov_b64 s[38:39], -1
	s_waitcnt vmcnt(0)
	v_cmp_eq_u16_e64 s[8:9], v12, v20
	s_and_saveexec_b64 s[40:41], s[8:9]
	s_cbranch_execz .LBB1419_144
; %bb.138:
	v_mov_b32_e32 v12, s29
	v_addc_co_u32_e64 v13, s[2:3], v13, v12, s[2:3]
	v_add_co_u32_e64 v12, s[2:3], 2, v18
	v_mov_b32_e32 v17, s29
	v_addc_co_u32_e64 v13, s[2:3], 0, v13, s[2:3]
	v_addc_co_u32_e32 v17, vcc, v15, v17, vcc
	v_add_co_u32_e32 v16, vcc, 2, v16
	s_add_u32 s2, s26, -1
	v_addc_co_u32_e32 v17, vcc, 0, v17, vcc
	s_addc_u32 s3, s27, -1
	s_mov_b64 s[8:9], 0
	s_mov_b64 s[42:43], 0
                                        ; implicit-def: $sgpr38_sgpr39
	s_branch .LBB1419_141
.LBB1419_139:                           ;   in Loop: Header=BB1419_141 Depth=1
	global_load_ushort v18, v[16:17], off
	global_load_ushort v19, v[12:13], off
	v_add_co_u32_e32 v12, vcc, 2, v12
	v_addc_co_u32_e32 v13, vcc, 0, v13, vcc
	v_add_co_u32_e32 v16, vcc, 2, v16
	v_addc_co_u32_e32 v17, vcc, 0, v17, vcc
	s_add_u32 s42, s42, 1
	s_addc_u32 s43, s43, 0
	s_andn2_b64 s[38:39], s[38:39], exec
	s_waitcnt vmcnt(0)
	v_cmp_ne_u16_e32 vcc, v18, v19
	s_and_b64 s[44:45], vcc, exec
	s_or_b64 s[38:39], s[38:39], s[44:45]
.LBB1419_140:                           ;   in Loop: Header=BB1419_141 Depth=1
	s_and_b64 s[44:45], exec, s[38:39]
	s_or_b64 s[8:9], s[44:45], s[8:9]
	v_pk_mov_b32 v[18:19], s[42:43], s[42:43] op_sel:[0,1]
	s_andn2_b64 exec, exec, s[8:9]
	s_cbranch_execz .LBB1419_143
.LBB1419_141:                           ; =>This Inner Loop Header: Depth=1
	s_or_b64 s[38:39], s[38:39], exec
	s_cmp_eq_u64 s[2:3], s[42:43]
	s_cbranch_scc0 .LBB1419_139
; %bb.142:                              ;   in Loop: Header=BB1419_141 Depth=1
                                        ; implicit-def: $vgpr12_vgpr13
                                        ; implicit-def: $vgpr16_vgpr17
	s_mov_b64 s[42:43], s[26:27]
	s_branch .LBB1419_140
.LBB1419_143:
	s_or_b64 exec, exec, s[8:9]
	v_cmp_gt_i64_e32 vcc, s[26:27], v[18:19]
	s_orn2_b64 s[38:39], vcc, exec
.LBB1419_144:
	s_or_b64 exec, exec, s[40:41]
.LBB1419_145:
	v_mul_lo_u32 v16, v9, s26
	v_mul_lo_u32 v17, v8, s27
	v_mad_u64_u32 v[12:13], s[2:3], v8, s26, 0
	v_add3_u32 v13, v13, v17, v16
	s_and_b64 vcc, exec, s[0:1]
	v_lshlrev_b64 v[12:13], 1, v[12:13]
	s_cbranch_vccnz .LBB1419_154
; %bb.146:
	v_mov_b32_e32 v17, s29
	v_add_co_u32_e32 v16, vcc, s28, v12
	v_addc_co_u32_e64 v17, s[2:3], v17, v13, vcc
	v_mov_b32_e32 v19, s29
	v_add_co_u32_e64 v18, s[2:3], s28, v14
	v_addc_co_u32_e64 v19, s[8:9], v19, v15, s[2:3]
	global_load_ushort v14, v[16:17], off
	global_load_ushort v20, v[18:19], off
	s_mov_b64 s[36:37], -1
	s_waitcnt vmcnt(0)
	v_cmp_eq_u16_e64 s[8:9], v14, v20
	s_and_saveexec_b64 s[40:41], s[8:9]
	s_cbranch_execz .LBB1419_153
; %bb.147:
	v_mov_b32_e32 v14, s29
	v_addc_co_u32_e64 v15, s[2:3], v15, v14, s[2:3]
	v_add_co_u32_e64 v14, s[2:3], 2, v18
	v_mov_b32_e32 v17, s29
	v_addc_co_u32_e64 v15, s[2:3], 0, v15, s[2:3]
	v_addc_co_u32_e32 v17, vcc, v13, v17, vcc
	v_add_co_u32_e32 v16, vcc, 2, v16
	s_add_u32 s2, s26, -1
	v_addc_co_u32_e32 v17, vcc, 0, v17, vcc
	s_addc_u32 s3, s27, -1
	s_mov_b64 s[8:9], 0
	s_mov_b64 s[42:43], 0
                                        ; implicit-def: $sgpr36_sgpr37
	s_branch .LBB1419_150
.LBB1419_148:                           ;   in Loop: Header=BB1419_150 Depth=1
	global_load_ushort v18, v[16:17], off
	global_load_ushort v19, v[14:15], off
	v_add_co_u32_e32 v14, vcc, 2, v14
	v_addc_co_u32_e32 v15, vcc, 0, v15, vcc
	v_add_co_u32_e32 v16, vcc, 2, v16
	v_addc_co_u32_e32 v17, vcc, 0, v17, vcc
	s_add_u32 s42, s42, 1
	s_addc_u32 s43, s43, 0
	s_andn2_b64 s[36:37], s[36:37], exec
	s_waitcnt vmcnt(0)
	v_cmp_ne_u16_e32 vcc, v18, v19
	s_and_b64 s[44:45], vcc, exec
	s_or_b64 s[36:37], s[36:37], s[44:45]
.LBB1419_149:                           ;   in Loop: Header=BB1419_150 Depth=1
	s_and_b64 s[44:45], exec, s[36:37]
	s_or_b64 s[8:9], s[44:45], s[8:9]
	v_pk_mov_b32 v[18:19], s[42:43], s[42:43] op_sel:[0,1]
	s_andn2_b64 exec, exec, s[8:9]
	s_cbranch_execz .LBB1419_152
.LBB1419_150:                           ; =>This Inner Loop Header: Depth=1
	s_or_b64 s[36:37], s[36:37], exec
	s_cmp_eq_u64 s[2:3], s[42:43]
	s_cbranch_scc0 .LBB1419_148
; %bb.151:                              ;   in Loop: Header=BB1419_150 Depth=1
                                        ; implicit-def: $vgpr14_vgpr15
                                        ; implicit-def: $vgpr16_vgpr17
	s_mov_b64 s[42:43], s[26:27]
	s_branch .LBB1419_149
.LBB1419_152:
	s_or_b64 exec, exec, s[8:9]
	v_cmp_gt_i64_e32 vcc, s[26:27], v[18:19]
	s_orn2_b64 s[36:37], vcc, exec
.LBB1419_153:
	s_or_b64 exec, exec, s[40:41]
.LBB1419_154:
	v_mul_lo_u32 v16, v7, s26
	v_mul_lo_u32 v17, v6, s27
	v_mad_u64_u32 v[14:15], s[2:3], v6, s26, 0
	v_add3_u32 v15, v15, v17, v16
	s_and_b64 vcc, exec, s[0:1]
	s_mov_b64 s[42:43], 0
	s_cbranch_vccnz .LBB1419_163
; %bb.155:
	v_lshlrev_b64 v[16:17], 1, v[14:15]
	v_mov_b32_e32 v19, s29
	v_add_co_u32_e32 v18, vcc, s28, v16
	v_addc_co_u32_e64 v19, s[2:3], v19, v17, vcc
	v_mov_b32_e32 v16, s29
	v_add_co_u32_e64 v20, s[2:3], s28, v12
	v_addc_co_u32_e64 v21, s[8:9], v16, v13, s[2:3]
	global_load_ushort v12, v[18:19], off
	global_load_ushort v16, v[20:21], off
	s_mov_b64 s[42:43], -1
	s_waitcnt vmcnt(0)
	v_cmp_eq_u16_e64 s[8:9], v12, v16
	s_and_saveexec_b64 s[40:41], s[8:9]
	s_cbranch_execz .LBB1419_162
; %bb.156:
	v_mov_b32_e32 v12, s29
	v_addc_co_u32_e64 v13, s[2:3], v13, v12, s[2:3]
	v_add_co_u32_e64 v12, s[2:3], 2, v20
	v_mov_b32_e32 v16, s29
	v_addc_co_u32_e64 v13, s[2:3], 0, v13, s[2:3]
	v_addc_co_u32_e32 v17, vcc, v17, v16, vcc
	v_add_co_u32_e32 v16, vcc, 2, v18
	s_add_u32 s2, s26, -1
	v_addc_co_u32_e32 v17, vcc, 0, v17, vcc
	s_addc_u32 s3, s27, -1
	s_mov_b64 s[8:9], 0
	s_mov_b64 s[44:45], 0
                                        ; implicit-def: $sgpr42_sgpr43
	s_branch .LBB1419_159
.LBB1419_157:                           ;   in Loop: Header=BB1419_159 Depth=1
	global_load_ushort v18, v[16:17], off
	global_load_ushort v19, v[12:13], off
	v_add_co_u32_e32 v12, vcc, 2, v12
	v_addc_co_u32_e32 v13, vcc, 0, v13, vcc
	v_add_co_u32_e32 v16, vcc, 2, v16
	v_addc_co_u32_e32 v17, vcc, 0, v17, vcc
	s_add_u32 s44, s44, 1
	s_addc_u32 s45, s45, 0
	s_andn2_b64 s[42:43], s[42:43], exec
	s_waitcnt vmcnt(0)
	v_cmp_ne_u16_e32 vcc, v18, v19
	s_and_b64 s[46:47], vcc, exec
	s_or_b64 s[42:43], s[42:43], s[46:47]
.LBB1419_158:                           ;   in Loop: Header=BB1419_159 Depth=1
	s_and_b64 s[46:47], exec, s[42:43]
	s_or_b64 s[8:9], s[46:47], s[8:9]
	v_pk_mov_b32 v[18:19], s[44:45], s[44:45] op_sel:[0,1]
	s_andn2_b64 exec, exec, s[8:9]
	s_cbranch_execz .LBB1419_161
.LBB1419_159:                           ; =>This Inner Loop Header: Depth=1
	s_or_b64 s[42:43], s[42:43], exec
	s_cmp_eq_u64 s[2:3], s[44:45]
	s_cbranch_scc0 .LBB1419_157
; %bb.160:                              ;   in Loop: Header=BB1419_159 Depth=1
                                        ; implicit-def: $vgpr12_vgpr13
                                        ; implicit-def: $vgpr16_vgpr17
	s_mov_b64 s[44:45], s[26:27]
	s_branch .LBB1419_158
.LBB1419_161:
	s_or_b64 exec, exec, s[8:9]
	v_cmp_gt_i64_e32 vcc, s[26:27], v[18:19]
	s_orn2_b64 s[42:43], vcc, exec
.LBB1419_162:
	s_or_b64 exec, exec, s[40:41]
.LBB1419_163:
	v_cndmask_b32_e64 v13, 0, 1, s[38:39]
	v_cndmask_b32_e64 v16, 0, 1, s[42:43]
	;; [unrolled: 1-line block ×3, first 2 shown]
	v_lshlrev_b16_e32 v16, 8, v16
	v_lshlrev_b16_e32 v13, 8, v13
	v_or_b32_e32 v16, 1, v16
	v_or_b32_sdwa v12, v12, v13 dst_sel:WORD_1 dst_unused:UNUSED_PAD src0_sel:DWORD src1_sel:DWORD
	v_or_b32_sdwa v12, v16, v12 dst_sel:DWORD dst_unused:UNUSED_PAD src0_sel:WORD_0 src1_sel:DWORD
	v_cndmask_b32_e64 v13, 0, 1, s[18:19]
	v_cmp_ne_u32_e32 vcc, 0, v0
	s_waitcnt lgkmcnt(0)
	s_barrier
	s_waitcnt lgkmcnt(0)
                                        ; implicit-def: $sgpr18_sgpr19
                                        ; implicit-def: $vgpr16
	s_and_saveexec_b64 s[2:3], vcc
	s_xor_b64 s[8:9], exec, s[2:3]
	s_cbranch_execz .LBB1419_174
; %bb.164:
	s_mov_b32 s33, 0x3020104
	s_and_b64 vcc, exec, s[0:1]
	s_mov_b64 s[36:37], 0
	s_cbranch_vccnz .LBB1419_173
; %bb.165:
	v_add_u32_e32 v16, -8, v26
	ds_read_b64 v[16:17], v16
	v_mov_b32_e32 v19, s29
	v_lshlrev_b64 v[14:15], 1, v[14:15]
	s_mov_b64 s[36:37], -1
	s_waitcnt lgkmcnt(0)
	v_mul_lo_u32 v18, v17, s26
	v_mul_lo_u32 v20, v16, s27
	v_mad_u64_u32 v[16:17], s[0:1], v16, s26, 0
	v_add3_u32 v17, v17, v20, v18
	v_lshlrev_b64 v[16:17], 1, v[16:17]
	v_add_co_u32_e32 v18, vcc, s28, v16
	v_addc_co_u32_e64 v19, s[0:1], v19, v17, vcc
	v_mov_b32_e32 v16, s29
	v_add_co_u32_e64 v20, s[0:1], s28, v14
	v_addc_co_u32_e64 v21, s[2:3], v16, v15, s[0:1]
	global_load_ushort v14, v[18:19], off
	global_load_ushort v16, v[20:21], off
	s_waitcnt vmcnt(0)
	v_cmp_eq_u16_e64 s[2:3], v14, v16
	s_and_saveexec_b64 s[18:19], s[2:3]
	s_cbranch_execz .LBB1419_172
; %bb.166:
	v_mov_b32_e32 v14, s29
	v_addc_co_u32_e64 v15, s[0:1], v15, v14, s[0:1]
	v_add_co_u32_e64 v14, s[0:1], 2, v20
	v_mov_b32_e32 v16, s29
	v_addc_co_u32_e64 v15, s[0:1], 0, v15, s[0:1]
	v_addc_co_u32_e32 v17, vcc, v17, v16, vcc
	v_add_co_u32_e32 v16, vcc, 2, v18
	s_add_u32 s0, s26, -1
	v_addc_co_u32_e32 v17, vcc, 0, v17, vcc
	s_addc_u32 s1, s27, -1
	s_mov_b64 s[2:3], 0
	s_mov_b64 s[38:39], 0
                                        ; implicit-def: $sgpr36_sgpr37
	s_branch .LBB1419_169
.LBB1419_167:                           ;   in Loop: Header=BB1419_169 Depth=1
	global_load_ushort v18, v[16:17], off
	global_load_ushort v19, v[14:15], off
	v_add_co_u32_e32 v14, vcc, 2, v14
	v_addc_co_u32_e32 v15, vcc, 0, v15, vcc
	v_add_co_u32_e32 v16, vcc, 2, v16
	v_addc_co_u32_e32 v17, vcc, 0, v17, vcc
	s_add_u32 s38, s38, 1
	s_addc_u32 s39, s39, 0
	s_andn2_b64 s[36:37], s[36:37], exec
	s_waitcnt vmcnt(0)
	v_cmp_ne_u16_e32 vcc, v18, v19
	s_and_b64 s[40:41], vcc, exec
	s_or_b64 s[36:37], s[36:37], s[40:41]
.LBB1419_168:                           ;   in Loop: Header=BB1419_169 Depth=1
	s_and_b64 s[40:41], exec, s[36:37]
	s_or_b64 s[2:3], s[40:41], s[2:3]
	v_pk_mov_b32 v[18:19], s[38:39], s[38:39] op_sel:[0,1]
	s_andn2_b64 exec, exec, s[2:3]
	s_cbranch_execz .LBB1419_171
.LBB1419_169:                           ; =>This Inner Loop Header: Depth=1
	s_or_b64 s[36:37], s[36:37], exec
	s_cmp_eq_u64 s[0:1], s[38:39]
	s_cbranch_scc0 .LBB1419_167
; %bb.170:                              ;   in Loop: Header=BB1419_169 Depth=1
                                        ; implicit-def: $vgpr14_vgpr15
                                        ; implicit-def: $vgpr16_vgpr17
	s_mov_b64 s[38:39], s[26:27]
	s_branch .LBB1419_168
.LBB1419_171:
	s_or_b64 exec, exec, s[2:3]
	v_cmp_gt_i64_e32 vcc, s[26:27], v[18:19]
	s_orn2_b64 s[36:37], vcc, exec
.LBB1419_172:
	s_or_b64 exec, exec, s[18:19]
.LBB1419_173:
	v_perm_b32 v16, v12, v12, s33
	s_and_b64 s[18:19], s[36:37], exec
	s_or_b64 s[12:13], s[12:13], exec
.LBB1419_174:
	s_or_b64 exec, exec, s[8:9]
	s_branch .LBB1419_233
.LBB1419_175:
	v_cmp_gt_u32_e32 vcc, s7, v23
	s_mov_b64 s[18:19], 0
	s_mov_b64 s[8:9], 0
	s_and_saveexec_b64 s[36:37], vcc
	s_cbranch_execz .LBB1419_186
; %bb.176:
	s_andn2_b64 vcc, exec, s[14:15]
	s_mov_b64 s[38:39], 0
	s_cbranch_vccnz .LBB1419_185
; %bb.177:
	v_mul_lo_u32 v14, v5, s26
	v_mul_lo_u32 v15, v4, s27
	v_mad_u64_u32 v[12:13], s[0:1], v4, s26, 0
	v_add3_u32 v13, v13, v15, v14
	v_mul_lo_u32 v14, v11, s26
	v_mul_lo_u32 v15, v10, s27
	v_mad_u64_u32 v[18:19], s[0:1], v10, s26, 0
	v_add3_u32 v19, v19, v15, v14
	v_lshlrev_b64 v[14:15], 1, v[12:13]
	v_mov_b32_e32 v12, s29
	v_add_co_u32_e32 v16, vcc, s28, v14
	v_addc_co_u32_e64 v17, s[0:1], v12, v15, vcc
	v_lshlrev_b64 v[12:13], 1, v[18:19]
	v_mov_b32_e32 v14, s29
	v_add_co_u32_e64 v18, s[0:1], s28, v12
	v_addc_co_u32_e64 v19, s[2:3], v14, v13, s[0:1]
	global_load_ushort v12, v[16:17], off
	global_load_ushort v14, v[18:19], off
	s_mov_b64 s[38:39], -1
	s_waitcnt vmcnt(0)
	v_cmp_eq_u16_e64 s[2:3], v12, v14
	s_and_saveexec_b64 s[8:9], s[2:3]
	s_cbranch_execz .LBB1419_184
; %bb.178:
	v_mov_b32_e32 v12, s29
	v_addc_co_u32_e64 v13, s[0:1], v13, v12, s[0:1]
	v_add_co_u32_e64 v12, s[0:1], 2, v18
	v_mov_b32_e32 v14, s29
	v_addc_co_u32_e64 v13, s[0:1], 0, v13, s[0:1]
	v_addc_co_u32_e32 v15, vcc, v15, v14, vcc
	v_add_co_u32_e32 v14, vcc, 2, v16
	s_add_u32 s0, s26, -1
	v_addc_co_u32_e32 v15, vcc, 0, v15, vcc
	s_addc_u32 s1, s27, -1
	s_mov_b64 s[2:3], 0
	s_mov_b64 s[40:41], 0
                                        ; implicit-def: $sgpr38_sgpr39
	s_branch .LBB1419_181
.LBB1419_179:                           ;   in Loop: Header=BB1419_181 Depth=1
	global_load_ushort v16, v[14:15], off
	global_load_ushort v17, v[12:13], off
	v_add_co_u32_e32 v12, vcc, 2, v12
	v_addc_co_u32_e32 v13, vcc, 0, v13, vcc
	v_add_co_u32_e32 v14, vcc, 2, v14
	v_addc_co_u32_e32 v15, vcc, 0, v15, vcc
	s_add_u32 s40, s40, 1
	s_addc_u32 s41, s41, 0
	s_andn2_b64 s[38:39], s[38:39], exec
	s_waitcnt vmcnt(0)
	v_cmp_ne_u16_e32 vcc, v16, v17
	s_and_b64 s[42:43], vcc, exec
	s_or_b64 s[38:39], s[38:39], s[42:43]
.LBB1419_180:                           ;   in Loop: Header=BB1419_181 Depth=1
	s_and_b64 s[42:43], exec, s[38:39]
	s_or_b64 s[2:3], s[42:43], s[2:3]
	v_pk_mov_b32 v[16:17], s[40:41], s[40:41] op_sel:[0,1]
	s_andn2_b64 exec, exec, s[2:3]
	s_cbranch_execz .LBB1419_183
.LBB1419_181:                           ; =>This Inner Loop Header: Depth=1
	s_or_b64 s[38:39], s[38:39], exec
	s_cmp_eq_u64 s[0:1], s[40:41]
	s_cbranch_scc0 .LBB1419_179
; %bb.182:                              ;   in Loop: Header=BB1419_181 Depth=1
                                        ; implicit-def: $vgpr12_vgpr13
                                        ; implicit-def: $vgpr14_vgpr15
	s_mov_b64 s[40:41], s[26:27]
	s_branch .LBB1419_180
.LBB1419_183:
	s_or_b64 exec, exec, s[2:3]
	v_cmp_gt_i64_e32 vcc, s[26:27], v[16:17]
	s_orn2_b64 s[38:39], vcc, exec
.LBB1419_184:
	s_or_b64 exec, exec, s[8:9]
.LBB1419_185:
	s_and_b64 s[8:9], s[38:39], exec
.LBB1419_186:
	s_or_b64 exec, exec, s[36:37]
	v_cmp_gt_u32_e32 vcc, s7, v25
	s_and_saveexec_b64 s[36:37], vcc
	s_cbranch_execz .LBB1419_197
; %bb.187:
	s_andn2_b64 vcc, exec, s[14:15]
	s_mov_b64 s[38:39], 0
	s_cbranch_vccnz .LBB1419_196
; %bb.188:
	v_mul_lo_u32 v14, v3, s26
	v_mul_lo_u32 v15, v2, s27
	v_mad_u64_u32 v[12:13], s[0:1], v2, s26, 0
	v_add3_u32 v13, v13, v15, v14
	v_mul_lo_u32 v14, v5, s26
	v_mul_lo_u32 v15, v4, s27
	v_mad_u64_u32 v[18:19], s[0:1], v4, s26, 0
	v_add3_u32 v19, v19, v15, v14
	v_lshlrev_b64 v[14:15], 1, v[12:13]
	v_mov_b32_e32 v12, s29
	v_add_co_u32_e32 v16, vcc, s28, v14
	v_addc_co_u32_e64 v17, s[0:1], v12, v15, vcc
	v_lshlrev_b64 v[12:13], 1, v[18:19]
	v_mov_b32_e32 v14, s29
	v_add_co_u32_e64 v18, s[0:1], s28, v12
	v_addc_co_u32_e64 v19, s[2:3], v14, v13, s[0:1]
	global_load_ushort v12, v[16:17], off
	global_load_ushort v14, v[18:19], off
	s_mov_b64 s[38:39], -1
	s_waitcnt vmcnt(0)
	v_cmp_eq_u16_e64 s[2:3], v12, v14
	s_and_saveexec_b64 s[18:19], s[2:3]
	s_cbranch_execz .LBB1419_195
; %bb.189:
	v_mov_b32_e32 v12, s29
	v_addc_co_u32_e64 v13, s[0:1], v13, v12, s[0:1]
	v_add_co_u32_e64 v12, s[0:1], 2, v18
	v_mov_b32_e32 v14, s29
	v_addc_co_u32_e64 v13, s[0:1], 0, v13, s[0:1]
	v_addc_co_u32_e32 v15, vcc, v15, v14, vcc
	v_add_co_u32_e32 v14, vcc, 2, v16
	s_add_u32 s0, s26, -1
	v_addc_co_u32_e32 v15, vcc, 0, v15, vcc
	s_addc_u32 s1, s27, -1
	s_mov_b64 s[2:3], 0
	s_mov_b64 s[40:41], 0
                                        ; implicit-def: $sgpr38_sgpr39
	s_branch .LBB1419_192
.LBB1419_190:                           ;   in Loop: Header=BB1419_192 Depth=1
	global_load_ushort v16, v[14:15], off
	global_load_ushort v17, v[12:13], off
	v_add_co_u32_e32 v12, vcc, 2, v12
	v_addc_co_u32_e32 v13, vcc, 0, v13, vcc
	v_add_co_u32_e32 v14, vcc, 2, v14
	v_addc_co_u32_e32 v15, vcc, 0, v15, vcc
	s_add_u32 s40, s40, 1
	s_addc_u32 s41, s41, 0
	s_andn2_b64 s[38:39], s[38:39], exec
	s_waitcnt vmcnt(0)
	v_cmp_ne_u16_e32 vcc, v16, v17
	s_and_b64 s[42:43], vcc, exec
	s_or_b64 s[38:39], s[38:39], s[42:43]
.LBB1419_191:                           ;   in Loop: Header=BB1419_192 Depth=1
	s_and_b64 s[42:43], exec, s[38:39]
	s_or_b64 s[2:3], s[42:43], s[2:3]
	v_pk_mov_b32 v[16:17], s[40:41], s[40:41] op_sel:[0,1]
	s_andn2_b64 exec, exec, s[2:3]
	s_cbranch_execz .LBB1419_194
.LBB1419_192:                           ; =>This Inner Loop Header: Depth=1
	s_or_b64 s[38:39], s[38:39], exec
	s_cmp_eq_u64 s[0:1], s[40:41]
	s_cbranch_scc0 .LBB1419_190
; %bb.193:                              ;   in Loop: Header=BB1419_192 Depth=1
                                        ; implicit-def: $vgpr12_vgpr13
                                        ; implicit-def: $vgpr14_vgpr15
	s_mov_b64 s[40:41], s[26:27]
	s_branch .LBB1419_191
.LBB1419_194:
	s_or_b64 exec, exec, s[2:3]
	v_cmp_gt_i64_e32 vcc, s[26:27], v[16:17]
	s_orn2_b64 s[38:39], vcc, exec
.LBB1419_195:
	s_or_b64 exec, exec, s[18:19]
.LBB1419_196:
	s_and_b64 s[18:19], s[38:39], exec
.LBB1419_197:
	s_or_b64 exec, exec, s[36:37]
	v_cmp_gt_u32_e32 vcc, s7, v22
	s_mov_b64 s[36:37], 0
	s_mov_b64 s[38:39], 0
	s_and_saveexec_b64 s[40:41], vcc
	s_cbranch_execz .LBB1419_208
; %bb.198:
	s_andn2_b64 vcc, exec, s[14:15]
	s_mov_b64 s[42:43], 0
	s_cbranch_vccnz .LBB1419_207
; %bb.199:
	v_mul_lo_u32 v14, v9, s26
	v_mul_lo_u32 v15, v8, s27
	v_mad_u64_u32 v[12:13], s[0:1], v8, s26, 0
	v_add3_u32 v13, v13, v15, v14
	v_mul_lo_u32 v14, v3, s26
	v_mul_lo_u32 v15, v2, s27
	v_mad_u64_u32 v[18:19], s[0:1], v2, s26, 0
	v_add3_u32 v19, v19, v15, v14
	v_lshlrev_b64 v[14:15], 1, v[12:13]
	v_mov_b32_e32 v12, s29
	v_add_co_u32_e32 v16, vcc, s28, v14
	v_addc_co_u32_e64 v17, s[0:1], v12, v15, vcc
	v_lshlrev_b64 v[12:13], 1, v[18:19]
	v_mov_b32_e32 v14, s29
	v_add_co_u32_e64 v18, s[0:1], s28, v12
	v_addc_co_u32_e64 v19, s[2:3], v14, v13, s[0:1]
	global_load_ushort v12, v[16:17], off
	global_load_ushort v14, v[18:19], off
	s_mov_b64 s[42:43], -1
	s_waitcnt vmcnt(0)
	v_cmp_eq_u16_e64 s[2:3], v12, v14
	s_and_saveexec_b64 s[38:39], s[2:3]
	s_cbranch_execz .LBB1419_206
; %bb.200:
	v_mov_b32_e32 v12, s29
	v_addc_co_u32_e64 v13, s[0:1], v13, v12, s[0:1]
	v_add_co_u32_e64 v12, s[0:1], 2, v18
	v_mov_b32_e32 v14, s29
	v_addc_co_u32_e64 v13, s[0:1], 0, v13, s[0:1]
	v_addc_co_u32_e32 v15, vcc, v15, v14, vcc
	v_add_co_u32_e32 v14, vcc, 2, v16
	s_add_u32 s0, s26, -1
	v_addc_co_u32_e32 v15, vcc, 0, v15, vcc
	s_addc_u32 s1, s27, -1
	s_mov_b64 s[2:3], 0
	s_mov_b64 s[44:45], 0
                                        ; implicit-def: $sgpr42_sgpr43
	s_branch .LBB1419_203
.LBB1419_201:                           ;   in Loop: Header=BB1419_203 Depth=1
	global_load_ushort v16, v[14:15], off
	global_load_ushort v17, v[12:13], off
	v_add_co_u32_e32 v12, vcc, 2, v12
	v_addc_co_u32_e32 v13, vcc, 0, v13, vcc
	v_add_co_u32_e32 v14, vcc, 2, v14
	v_addc_co_u32_e32 v15, vcc, 0, v15, vcc
	s_add_u32 s44, s44, 1
	s_addc_u32 s45, s45, 0
	s_andn2_b64 s[42:43], s[42:43], exec
	s_waitcnt vmcnt(0)
	v_cmp_ne_u16_e32 vcc, v16, v17
	s_and_b64 s[46:47], vcc, exec
	s_or_b64 s[42:43], s[42:43], s[46:47]
.LBB1419_202:                           ;   in Loop: Header=BB1419_203 Depth=1
	s_and_b64 s[46:47], exec, s[42:43]
	s_or_b64 s[2:3], s[46:47], s[2:3]
	v_pk_mov_b32 v[16:17], s[44:45], s[44:45] op_sel:[0,1]
	s_andn2_b64 exec, exec, s[2:3]
	s_cbranch_execz .LBB1419_205
.LBB1419_203:                           ; =>This Inner Loop Header: Depth=1
	s_or_b64 s[42:43], s[42:43], exec
	s_cmp_eq_u64 s[0:1], s[44:45]
	s_cbranch_scc0 .LBB1419_201
; %bb.204:                              ;   in Loop: Header=BB1419_203 Depth=1
                                        ; implicit-def: $vgpr12_vgpr13
                                        ; implicit-def: $vgpr14_vgpr15
	s_mov_b64 s[44:45], s[26:27]
	s_branch .LBB1419_202
.LBB1419_205:
	s_or_b64 exec, exec, s[2:3]
	v_cmp_gt_i64_e32 vcc, s[26:27], v[16:17]
	s_orn2_b64 s[42:43], vcc, exec
.LBB1419_206:
	s_or_b64 exec, exec, s[38:39]
.LBB1419_207:
	s_and_b64 s[38:39], s[42:43], exec
.LBB1419_208:
	s_or_b64 exec, exec, s[40:41]
	v_cmp_gt_u32_e32 vcc, s7, v24
	s_and_saveexec_b64 s[40:41], vcc
	s_cbranch_execz .LBB1419_219
; %bb.209:
	s_andn2_b64 vcc, exec, s[14:15]
	s_mov_b64 s[42:43], 0
	s_cbranch_vccnz .LBB1419_218
; %bb.210:
	v_mul_lo_u32 v14, v7, s26
	v_mul_lo_u32 v15, v6, s27
	v_mad_u64_u32 v[12:13], s[0:1], v6, s26, 0
	v_add3_u32 v13, v13, v15, v14
	v_mul_lo_u32 v14, v9, s26
	v_mul_lo_u32 v15, v8, s27
	v_mad_u64_u32 v[18:19], s[0:1], v8, s26, 0
	v_add3_u32 v19, v19, v15, v14
	v_lshlrev_b64 v[14:15], 1, v[12:13]
	v_mov_b32_e32 v12, s29
	v_add_co_u32_e32 v16, vcc, s28, v14
	v_addc_co_u32_e64 v17, s[0:1], v12, v15, vcc
	v_lshlrev_b64 v[12:13], 1, v[18:19]
	v_mov_b32_e32 v14, s29
	v_add_co_u32_e64 v18, s[0:1], s28, v12
	v_addc_co_u32_e64 v19, s[2:3], v14, v13, s[0:1]
	global_load_ushort v12, v[16:17], off
	global_load_ushort v14, v[18:19], off
	s_mov_b64 s[42:43], -1
	s_waitcnt vmcnt(0)
	v_cmp_eq_u16_e64 s[2:3], v12, v14
	s_and_saveexec_b64 s[36:37], s[2:3]
	s_cbranch_execz .LBB1419_217
; %bb.211:
	v_mov_b32_e32 v12, s29
	v_addc_co_u32_e64 v13, s[0:1], v13, v12, s[0:1]
	v_add_co_u32_e64 v12, s[0:1], 2, v18
	v_mov_b32_e32 v14, s29
	v_addc_co_u32_e64 v13, s[0:1], 0, v13, s[0:1]
	v_addc_co_u32_e32 v15, vcc, v15, v14, vcc
	v_add_co_u32_e32 v14, vcc, 2, v16
	s_add_u32 s0, s26, -1
	v_addc_co_u32_e32 v15, vcc, 0, v15, vcc
	s_addc_u32 s1, s27, -1
	s_mov_b64 s[2:3], 0
	s_mov_b64 s[44:45], 0
                                        ; implicit-def: $sgpr42_sgpr43
	s_branch .LBB1419_214
.LBB1419_212:                           ;   in Loop: Header=BB1419_214 Depth=1
	global_load_ushort v16, v[14:15], off
	global_load_ushort v17, v[12:13], off
	v_add_co_u32_e32 v12, vcc, 2, v12
	v_addc_co_u32_e32 v13, vcc, 0, v13, vcc
	v_add_co_u32_e32 v14, vcc, 2, v14
	v_addc_co_u32_e32 v15, vcc, 0, v15, vcc
	s_add_u32 s44, s44, 1
	s_addc_u32 s45, s45, 0
	s_andn2_b64 s[42:43], s[42:43], exec
	s_waitcnt vmcnt(0)
	v_cmp_ne_u16_e32 vcc, v16, v17
	s_and_b64 s[46:47], vcc, exec
	s_or_b64 s[42:43], s[42:43], s[46:47]
.LBB1419_213:                           ;   in Loop: Header=BB1419_214 Depth=1
	s_and_b64 s[46:47], exec, s[42:43]
	s_or_b64 s[2:3], s[46:47], s[2:3]
	v_pk_mov_b32 v[16:17], s[44:45], s[44:45] op_sel:[0,1]
	s_andn2_b64 exec, exec, s[2:3]
	s_cbranch_execz .LBB1419_216
.LBB1419_214:                           ; =>This Inner Loop Header: Depth=1
	s_or_b64 s[42:43], s[42:43], exec
	s_cmp_eq_u64 s[0:1], s[44:45]
	s_cbranch_scc0 .LBB1419_212
; %bb.215:                              ;   in Loop: Header=BB1419_214 Depth=1
                                        ; implicit-def: $vgpr12_vgpr13
                                        ; implicit-def: $vgpr14_vgpr15
	s_mov_b64 s[44:45], s[26:27]
	s_branch .LBB1419_213
.LBB1419_216:
	s_or_b64 exec, exec, s[2:3]
	v_cmp_gt_i64_e32 vcc, s[26:27], v[16:17]
	s_orn2_b64 s[42:43], vcc, exec
.LBB1419_217:
	s_or_b64 exec, exec, s[36:37]
.LBB1419_218:
	s_and_b64 s[36:37], s[42:43], exec
.LBB1419_219:
	s_or_b64 exec, exec, s[40:41]
	v_cndmask_b32_e64 v13, 0, 1, s[18:19]
	v_cndmask_b32_e64 v14, 0, 1, s[36:37]
	;; [unrolled: 1-line block ×3, first 2 shown]
	v_lshlrev_b16_e32 v14, 8, v14
	v_lshlrev_b16_e32 v13, 8, v13
	v_or_b32_e32 v14, 1, v14
	v_or_b32_sdwa v12, v12, v13 dst_sel:WORD_1 dst_unused:UNUSED_PAD src0_sel:DWORD src1_sel:DWORD
	v_or_b32_sdwa v12, v14, v12 dst_sel:DWORD dst_unused:UNUSED_PAD src0_sel:WORD_0 src1_sel:DWORD
	v_cndmask_b32_e64 v13, 0, 1, s[8:9]
	v_cmp_ne_u32_e32 vcc, 0, v0
	s_waitcnt lgkmcnt(0)
	s_barrier
	s_waitcnt lgkmcnt(0)
                                        ; implicit-def: $sgpr18_sgpr19
                                        ; implicit-def: $vgpr16
	s_and_saveexec_b64 s[8:9], vcc
	s_cbranch_execz .LBB1419_232
; %bb.220:
	v_cmp_gt_u32_e32 vcc, s7, v1
	s_mov_b32 s33, 0x3020104
	s_mov_b64 s[0:1], 0
	s_and_saveexec_b64 s[18:19], vcc
	s_cbranch_execz .LBB1419_231
; %bb.221:
	s_andn2_b64 vcc, exec, s[14:15]
	s_mov_b64 s[36:37], 0
	s_cbranch_vccnz .LBB1419_230
; %bb.222:
	v_add_u32_e32 v14, -8, v26
	ds_read_b64 v[14:15], v14
	v_mul_lo_u32 v16, v7, s26
	v_mad_u64_u32 v[20:21], s[0:1], v6, s26, 0
	s_mov_b64 s[36:37], -1
	s_waitcnt lgkmcnt(0)
	v_mul_lo_u32 v17, v15, s26
	v_mul_lo_u32 v18, v14, s27
	v_mad_u64_u32 v[14:15], s[0:1], v14, s26, 0
	v_add3_u32 v15, v15, v18, v17
	v_mul_lo_u32 v17, v6, s27
	v_add3_u32 v21, v21, v17, v16
	v_lshlrev_b64 v[16:17], 1, v[14:15]
	v_mov_b32_e32 v14, s29
	v_add_co_u32_e32 v18, vcc, s28, v16
	v_addc_co_u32_e64 v19, s[0:1], v14, v17, vcc
	v_lshlrev_b64 v[14:15], 1, v[20:21]
	v_mov_b32_e32 v16, s29
	v_add_co_u32_e64 v20, s[0:1], s28, v14
	v_addc_co_u32_e64 v21, s[2:3], v16, v15, s[0:1]
	global_load_ushort v14, v[18:19], off
	global_load_ushort v16, v[20:21], off
	s_waitcnt vmcnt(0)
	v_cmp_eq_u16_e64 s[2:3], v14, v16
	s_and_saveexec_b64 s[14:15], s[2:3]
	s_cbranch_execz .LBB1419_229
; %bb.223:
	v_mov_b32_e32 v14, s29
	v_addc_co_u32_e64 v15, s[0:1], v15, v14, s[0:1]
	v_add_co_u32_e64 v14, s[0:1], 2, v20
	v_mov_b32_e32 v16, s29
	v_addc_co_u32_e64 v15, s[0:1], 0, v15, s[0:1]
	v_addc_co_u32_e32 v17, vcc, v17, v16, vcc
	v_add_co_u32_e32 v16, vcc, 2, v18
	s_add_u32 s0, s26, -1
	v_addc_co_u32_e32 v17, vcc, 0, v17, vcc
	s_addc_u32 s1, s27, -1
	s_mov_b64 s[2:3], 0
	s_mov_b64 s[36:37], 0
                                        ; implicit-def: $sgpr28_sgpr29
	s_branch .LBB1419_226
.LBB1419_224:                           ;   in Loop: Header=BB1419_226 Depth=1
	global_load_ushort v18, v[16:17], off
	global_load_ushort v19, v[14:15], off
	v_add_co_u32_e32 v14, vcc, 2, v14
	v_addc_co_u32_e32 v15, vcc, 0, v15, vcc
	v_add_co_u32_e32 v16, vcc, 2, v16
	v_addc_co_u32_e32 v17, vcc, 0, v17, vcc
	s_add_u32 s36, s36, 1
	s_addc_u32 s37, s37, 0
	s_andn2_b64 s[28:29], s[28:29], exec
	s_waitcnt vmcnt(0)
	v_cmp_ne_u16_e32 vcc, v18, v19
	s_and_b64 s[38:39], vcc, exec
	s_or_b64 s[28:29], s[28:29], s[38:39]
.LBB1419_225:                           ;   in Loop: Header=BB1419_226 Depth=1
	s_and_b64 s[38:39], exec, s[28:29]
	s_or_b64 s[2:3], s[38:39], s[2:3]
	v_pk_mov_b32 v[18:19], s[36:37], s[36:37] op_sel:[0,1]
	s_andn2_b64 exec, exec, s[2:3]
	s_cbranch_execz .LBB1419_228
.LBB1419_226:                           ; =>This Inner Loop Header: Depth=1
	s_or_b64 s[28:29], s[28:29], exec
	s_cmp_eq_u64 s[0:1], s[36:37]
	s_cbranch_scc0 .LBB1419_224
; %bb.227:                              ;   in Loop: Header=BB1419_226 Depth=1
                                        ; implicit-def: $vgpr14_vgpr15
                                        ; implicit-def: $vgpr16_vgpr17
	s_mov_b64 s[36:37], s[26:27]
	s_branch .LBB1419_225
.LBB1419_228:
	s_or_b64 exec, exec, s[2:3]
	v_cmp_gt_i64_e32 vcc, s[26:27], v[18:19]
	s_orn2_b64 s[36:37], vcc, exec
.LBB1419_229:
	s_or_b64 exec, exec, s[14:15]
.LBB1419_230:
	s_and_b64 s[0:1], s[36:37], exec
.LBB1419_231:
	s_or_b64 exec, exec, s[18:19]
	v_perm_b32 v16, v12, v12, s33
	s_and_b64 s[18:19], s[0:1], exec
	s_or_b64 s[12:13], s[12:13], exec
.LBB1419_232:
	s_or_b64 exec, exec, s[8:9]
.LBB1419_233:
	s_and_saveexec_b64 s[0:1], s[12:13]
	s_cbranch_execz .LBB1419_235
; %bb.234:
	v_lshrrev_b32_e32 v14, 24, v16
	s_movk_i32 s2, 0xff
	v_lshlrev_b16_e32 v14, 8, v14
	v_and_b32_sdwa v15, v16, s2 dst_sel:DWORD dst_unused:UNUSED_PAD src0_sel:WORD_1 src1_sel:DWORD
	v_or_b32_sdwa v14, v15, v14 dst_sel:WORD_1 dst_unused:UNUSED_PAD src0_sel:DWORD src1_sel:DWORD
	v_mov_b32_e32 v15, 8
	v_cndmask_b32_e64 v12, 0, 1, s[18:19]
	v_lshrrev_b32_sdwa v15, v15, v16 dst_sel:BYTE_1 dst_unused:UNUSED_PAD src0_sel:DWORD src1_sel:DWORD
	v_or_b32_e32 v12, v12, v15
	s_mov_b32 s2, 0xffff
	v_or_b32_sdwa v12, v12, v14 dst_sel:DWORD dst_unused:UNUSED_PAD src0_sel:WORD_0 src1_sel:DWORD
	v_and_b32_sdwa v13, s2, v13 dst_sel:DWORD dst_unused:UNUSED_PAD src0_sel:DWORD src1_sel:BYTE_0
.LBB1419_235:
	s_or_b64 exec, exec, s[0:1]
	s_andn2_b64 vcc, exec, s[10:11]
	s_cbranch_vccnz .LBB1419_237
; %bb.236:
	v_cmp_gt_u32_e32 vcc, s7, v1
	v_cndmask_b32_e32 v1, 0, v12, vcc
	v_and_b32_e32 v1, 0xffff00ff, v1
	v_cmp_gt_u32_e64 s[0:1], s7, v24
	v_cndmask_b32_e64 v1, v1, v12, s[0:1]
	v_lshrrev_b32_e32 v14, 24, v1
	s_mov_b32 s2, 0x40c0100
	v_perm_b32 v1, v14, v1, s2
	v_cmp_gt_u32_e64 s[2:3], s7, v22
	v_cmp_gt_u32_e64 s[8:9], s7, v25
	v_cndmask_b32_e64 v1, v1, v12, s[2:3]
	s_or_b64 s[2:3], s[8:9], s[2:3]
	s_or_b64 s[0:1], s[2:3], s[0:1]
	s_or_b64 vcc, s[0:1], vcc
	v_and_b32_e32 v1, 0xffffff, v1
	v_cndmask_b32_e32 v14, 0, v13, vcc
	v_cndmask_b32_e64 v1, v1, v12, s[8:9]
	v_and_b32_e32 v14, 0xffffff00, v14
	v_cmp_gt_u32_e32 vcc, s7, v23
	v_cndmask_b32_e32 v1, v1, v12, vcc
	v_cndmask_b32_e32 v12, v14, v13, vcc
	s_mov_b32 s0, 0x3020104
	v_and_b32_e32 v13, 0xff, v12
	v_perm_b32 v12, v1, v1, s0
.LBB1419_237:
	v_and_b32_e32 v1, 0xff, v12
	v_bfe_u32 v25, v12, 8, 8
	v_bfe_u32 v27, v12, 16, 8
	v_alignbit_b32 v14, v13, v12, 24
	v_and_b32_e32 v28, 0xff, v14
	v_and_b32_e32 v14, 0xff, v13
	v_add3_u32 v15, v25, v1, v27
	v_add3_u32 v31, v15, v28, v14
	v_mbcnt_lo_u32_b32 v14, -1, 0
	v_mbcnt_hi_u32_b32 v29, -1, v14
	v_and_b32_e32 v14, 15, v29
	v_cmp_eq_u32_e64 s[14:15], 0, v14
	v_cmp_lt_u32_e64 s[12:13], 1, v14
	v_cmp_lt_u32_e64 s[10:11], 3, v14
	;; [unrolled: 1-line block ×3, first 2 shown]
	v_and_b32_e32 v14, 16, v29
	v_cmp_eq_u32_e64 s[18:19], 0, v14
	v_or_b32_e32 v14, 63, v0
	v_cmp_lt_u32_e64 s[0:1], 31, v29
	v_lshrrev_b32_e32 v30, 6, v0
	v_cmp_eq_u32_e64 s[2:3], v14, v0
	s_and_b64 vcc, exec, s[16:17]
	s_waitcnt lgkmcnt(0)
	s_barrier
	s_cbranch_vccz .LBB1419_264
; %bb.238:
	v_mov_b32_dpp v14, v31 row_shr:1 row_mask:0xf bank_mask:0xf
	v_cndmask_b32_e64 v14, v14, 0, s[14:15]
	v_add_u32_e32 v14, v14, v31
	s_nop 1
	v_mov_b32_dpp v15, v14 row_shr:2 row_mask:0xf bank_mask:0xf
	v_cndmask_b32_e64 v15, 0, v15, s[12:13]
	v_add_u32_e32 v14, v14, v15
	s_nop 1
	;; [unrolled: 4-line block ×4, first 2 shown]
	v_mov_b32_dpp v15, v14 row_bcast:15 row_mask:0xf bank_mask:0xf
	v_cndmask_b32_e64 v15, v15, 0, s[18:19]
	v_add_u32_e32 v14, v14, v15
	s_nop 1
	v_mov_b32_dpp v15, v14 row_bcast:31 row_mask:0xf bank_mask:0xf
	v_cndmask_b32_e64 v15, 0, v15, s[0:1]
	v_add_u32_e32 v14, v14, v15
	s_and_saveexec_b64 s[16:17], s[2:3]
	s_cbranch_execz .LBB1419_240
; %bb.239:
	v_lshlrev_b32_e32 v15, 2, v30
	ds_write_b32 v15, v14
.LBB1419_240:
	s_or_b64 exec, exec, s[16:17]
	v_cmp_gt_u32_e32 vcc, 4, v0
	s_waitcnt lgkmcnt(0)
	s_barrier
	s_and_saveexec_b64 s[16:17], vcc
	s_cbranch_execz .LBB1419_242
; %bb.241:
	v_lshlrev_b32_e32 v15, 2, v0
	ds_read_b32 v16, v15
	v_and_b32_e32 v17, 3, v29
	v_cmp_ne_u32_e32 vcc, 0, v17
	s_waitcnt lgkmcnt(0)
	v_mov_b32_dpp v18, v16 row_shr:1 row_mask:0xf bank_mask:0xf
	v_cndmask_b32_e32 v18, 0, v18, vcc
	v_add_u32_e32 v16, v18, v16
	v_cmp_lt_u32_e32 vcc, 1, v17
	s_nop 0
	v_mov_b32_dpp v18, v16 row_shr:2 row_mask:0xf bank_mask:0xf
	v_cndmask_b32_e32 v17, 0, v18, vcc
	v_add_u32_e32 v16, v16, v17
	ds_write_b32 v15, v16
.LBB1419_242:
	s_or_b64 exec, exec, s[16:17]
	v_cmp_gt_u32_e32 vcc, 64, v0
	v_cmp_lt_u32_e64 s[16:17], 63, v0
	s_waitcnt lgkmcnt(0)
	s_barrier
	s_waitcnt lgkmcnt(0)
                                        ; implicit-def: $vgpr24
	s_and_saveexec_b64 s[26:27], s[16:17]
	s_cbranch_execz .LBB1419_244
; %bb.243:
	v_lshl_add_u32 v15, v30, 2, -4
	ds_read_b32 v24, v15
	s_waitcnt lgkmcnt(0)
	v_add_u32_e32 v14, v24, v14
.LBB1419_244:
	s_or_b64 exec, exec, s[26:27]
	v_add_u32_e32 v15, -1, v29
	v_and_b32_e32 v16, 64, v29
	v_cmp_lt_i32_e64 s[16:17], v15, v16
	v_cndmask_b32_e64 v15, v15, v29, s[16:17]
	v_lshlrev_b32_e32 v15, 2, v15
	ds_bpermute_b32 v26, v15, v14
	v_cmp_eq_u32_e64 s[16:17], 0, v29
	s_and_saveexec_b64 s[26:27], vcc
	s_cbranch_execz .LBB1419_263
; %bb.245:
	v_mov_b32_e32 v21, 0
	ds_read_b32 v14, v21 offset:12
	s_and_saveexec_b64 s[28:29], s[16:17]
	s_cbranch_execz .LBB1419_247
; %bb.246:
	s_add_i32 s36, s6, 64
	s_mov_b32 s37, 0
	s_lshl_b64 s[36:37], s[36:37], 3
	s_add_u32 s36, s30, s36
	v_mov_b32_e32 v15, 1
	s_addc_u32 s37, s31, s37
	s_waitcnt lgkmcnt(0)
	global_store_dwordx2 v21, v[14:15], s[36:37]
.LBB1419_247:
	s_or_b64 exec, exec, s[28:29]
	v_xad_u32 v16, v29, -1, s6
	v_add_u32_e32 v20, 64, v16
	v_lshlrev_b64 v[18:19], 3, v[20:21]
	v_mov_b32_e32 v15, s31
	v_add_co_u32_e32 v22, vcc, s30, v18
	v_addc_co_u32_e32 v23, vcc, v15, v19, vcc
	global_load_dwordx2 v[18:19], v[22:23], off glc
	s_waitcnt vmcnt(0)
	v_cmp_eq_u16_sdwa s[36:37], v19, v21 src0_sel:BYTE_0 src1_sel:DWORD
	s_and_saveexec_b64 s[28:29], s[36:37]
	s_cbranch_execz .LBB1419_251
; %bb.248:
	s_mov_b64 s[36:37], 0
	v_mov_b32_e32 v15, 0
.LBB1419_249:                           ; =>This Inner Loop Header: Depth=1
	global_load_dwordx2 v[18:19], v[22:23], off glc
	s_waitcnt vmcnt(0)
	v_cmp_ne_u16_sdwa s[38:39], v19, v15 src0_sel:BYTE_0 src1_sel:DWORD
	s_or_b64 s[36:37], s[38:39], s[36:37]
	s_andn2_b64 exec, exec, s[36:37]
	s_cbranch_execnz .LBB1419_249
; %bb.250:
	s_or_b64 exec, exec, s[36:37]
.LBB1419_251:
	s_or_b64 exec, exec, s[28:29]
	v_and_b32_e32 v32, 63, v29
	v_mov_b32_e32 v15, 2
	v_cmp_ne_u32_e32 vcc, 63, v32
	v_cmp_eq_u16_sdwa s[28:29], v19, v15 src0_sel:BYTE_0 src1_sel:DWORD
	v_lshlrev_b64 v[20:21], v29, -1
	v_addc_co_u32_e32 v23, vcc, 0, v29, vcc
	v_and_b32_e32 v17, s29, v21
	v_lshlrev_b32_e32 v33, 2, v23
	v_or_b32_e32 v17, 0x80000000, v17
	ds_bpermute_b32 v23, v33, v18
	v_and_b32_e32 v22, s28, v20
	v_ffbl_b32_e32 v17, v17
	v_add_u32_e32 v17, 32, v17
	v_ffbl_b32_e32 v22, v22
	v_min_u32_e32 v17, v22, v17
	v_cmp_lt_u32_e32 vcc, v32, v17
	s_waitcnt lgkmcnt(0)
	v_cndmask_b32_e32 v22, 0, v23, vcc
	v_cmp_gt_u32_e32 vcc, 62, v32
	v_add_u32_e32 v18, v22, v18
	v_cndmask_b32_e64 v22, 0, 1, vcc
	v_lshlrev_b32_e32 v22, 1, v22
	v_add_lshl_u32 v34, v22, v29, 2
	ds_bpermute_b32 v22, v34, v18
	v_add_u32_e32 v35, 2, v32
	v_cmp_le_u32_e32 vcc, v35, v17
	v_add_u32_e32 v37, 4, v32
	v_add_u32_e32 v39, 8, v32
	s_waitcnt lgkmcnt(0)
	v_cndmask_b32_e32 v22, 0, v22, vcc
	v_cmp_gt_u32_e32 vcc, 60, v32
	v_add_u32_e32 v18, v18, v22
	v_cndmask_b32_e64 v22, 0, 1, vcc
	v_lshlrev_b32_e32 v22, 2, v22
	v_add_lshl_u32 v36, v22, v29, 2
	ds_bpermute_b32 v22, v36, v18
	v_cmp_le_u32_e32 vcc, v37, v17
	v_add_u32_e32 v42, 16, v32
	v_add_u32_e32 v44, 32, v32
	s_waitcnt lgkmcnt(0)
	v_cndmask_b32_e32 v22, 0, v22, vcc
	v_cmp_gt_u32_e32 vcc, 56, v32
	v_add_u32_e32 v18, v18, v22
	v_cndmask_b32_e64 v22, 0, 1, vcc
	v_lshlrev_b32_e32 v22, 3, v22
	v_add_lshl_u32 v38, v22, v29, 2
	ds_bpermute_b32 v22, v38, v18
	v_cmp_le_u32_e32 vcc, v39, v17
	s_waitcnt lgkmcnt(0)
	v_cndmask_b32_e32 v22, 0, v22, vcc
	v_cmp_gt_u32_e32 vcc, 48, v32
	v_add_u32_e32 v18, v18, v22
	v_cndmask_b32_e64 v22, 0, 1, vcc
	v_lshlrev_b32_e32 v22, 4, v22
	v_add_lshl_u32 v41, v22, v29, 2
	ds_bpermute_b32 v22, v41, v18
	v_cmp_le_u32_e32 vcc, v42, v17
	;; [unrolled: 9-line block ×3, first 2 shown]
	s_waitcnt lgkmcnt(0)
	v_cndmask_b32_e32 v17, 0, v22, vcc
	v_add_u32_e32 v18, v18, v17
	v_mov_b32_e32 v17, 0
	s_branch .LBB1419_253
.LBB1419_252:                           ;   in Loop: Header=BB1419_253 Depth=1
	s_or_b64 exec, exec, s[28:29]
	v_cmp_eq_u16_sdwa s[28:29], v19, v15 src0_sel:BYTE_0 src1_sel:DWORD
	v_and_b32_e32 v22, s29, v21
	v_or_b32_e32 v22, 0x80000000, v22
	ds_bpermute_b32 v45, v33, v18
	v_and_b32_e32 v23, s28, v20
	v_ffbl_b32_e32 v22, v22
	v_add_u32_e32 v22, 32, v22
	v_ffbl_b32_e32 v23, v23
	v_min_u32_e32 v22, v23, v22
	v_cmp_lt_u32_e32 vcc, v32, v22
	s_waitcnt lgkmcnt(0)
	v_cndmask_b32_e32 v23, 0, v45, vcc
	v_add_u32_e32 v18, v23, v18
	ds_bpermute_b32 v23, v34, v18
	v_cmp_le_u32_e32 vcc, v35, v22
	v_subrev_u32_e32 v16, 64, v16
	s_waitcnt lgkmcnt(0)
	v_cndmask_b32_e32 v23, 0, v23, vcc
	v_add_u32_e32 v18, v18, v23
	ds_bpermute_b32 v23, v36, v18
	v_cmp_le_u32_e32 vcc, v37, v22
	s_waitcnt lgkmcnt(0)
	v_cndmask_b32_e32 v23, 0, v23, vcc
	v_add_u32_e32 v18, v18, v23
	ds_bpermute_b32 v23, v38, v18
	v_cmp_le_u32_e32 vcc, v39, v22
	;; [unrolled: 5-line block ×4, first 2 shown]
	s_waitcnt lgkmcnt(0)
	v_cndmask_b32_e32 v22, 0, v23, vcc
	v_add3_u32 v18, v22, v40, v18
.LBB1419_253:                           ; =>This Loop Header: Depth=1
                                        ;     Child Loop BB1419_256 Depth 2
	v_cmp_ne_u16_sdwa s[28:29], v19, v15 src0_sel:BYTE_0 src1_sel:DWORD
	v_cndmask_b32_e64 v19, 0, 1, s[28:29]
	;;#ASMSTART
	;;#ASMEND
	v_cmp_ne_u32_e32 vcc, 0, v19
	s_cmp_lg_u64 vcc, exec
	v_mov_b32_e32 v40, v18
	s_cbranch_scc1 .LBB1419_258
; %bb.254:                              ;   in Loop: Header=BB1419_253 Depth=1
	v_lshlrev_b64 v[18:19], 3, v[16:17]
	v_mov_b32_e32 v23, s31
	v_add_co_u32_e32 v22, vcc, s30, v18
	v_addc_co_u32_e32 v23, vcc, v23, v19, vcc
	global_load_dwordx2 v[18:19], v[22:23], off glc
	s_waitcnt vmcnt(0)
	v_cmp_eq_u16_sdwa s[36:37], v19, v17 src0_sel:BYTE_0 src1_sel:DWORD
	s_and_saveexec_b64 s[28:29], s[36:37]
	s_cbranch_execz .LBB1419_252
; %bb.255:                              ;   in Loop: Header=BB1419_253 Depth=1
	s_mov_b64 s[36:37], 0
.LBB1419_256:                           ;   Parent Loop BB1419_253 Depth=1
                                        ; =>  This Inner Loop Header: Depth=2
	global_load_dwordx2 v[18:19], v[22:23], off glc
	s_waitcnt vmcnt(0)
	v_cmp_ne_u16_sdwa s[38:39], v19, v17 src0_sel:BYTE_0 src1_sel:DWORD
	s_or_b64 s[36:37], s[38:39], s[36:37]
	s_andn2_b64 exec, exec, s[36:37]
	s_cbranch_execnz .LBB1419_256
; %bb.257:                              ;   in Loop: Header=BB1419_253 Depth=1
	s_or_b64 exec, exec, s[36:37]
	s_branch .LBB1419_252
.LBB1419_258:                           ;   in Loop: Header=BB1419_253 Depth=1
                                        ; implicit-def: $vgpr18
                                        ; implicit-def: $vgpr19
	s_cbranch_execz .LBB1419_253
; %bb.259:
	s_and_saveexec_b64 s[28:29], s[16:17]
	s_cbranch_execz .LBB1419_261
; %bb.260:
	s_add_i32 s6, s6, 64
	s_mov_b32 s7, 0
	s_lshl_b64 s[6:7], s[6:7], 3
	s_add_u32 s6, s30, s6
	v_add_u32_e32 v16, v40, v14
	v_mov_b32_e32 v17, 2
	s_addc_u32 s7, s31, s7
	v_mov_b32_e32 v15, 0
	global_store_dwordx2 v15, v[16:17], s[6:7]
	s_movk_i32 s6, 0x2800
	v_add_u32_e64 v15, s6, 0
	ds_write2_b32 v15, v14, v40 offset1:2
.LBB1419_261:
	s_or_b64 exec, exec, s[28:29]
	v_cmp_eq_u32_e32 vcc, 0, v0
	s_and_b64 exec, exec, vcc
	s_cbranch_execz .LBB1419_263
; %bb.262:
	v_mov_b32_e32 v14, 0
	ds_write_b32 v14, v40 offset:12
.LBB1419_263:
	s_or_b64 exec, exec, s[26:27]
	v_mov_b32_e32 v14, 0
	s_waitcnt lgkmcnt(0)
	s_barrier
	ds_read_b32 v14, v14 offset:12
	v_cndmask_b32_e64 v15, v26, v24, s[16:17]
	v_cmp_ne_u32_e32 vcc, 0, v0
	v_cndmask_b32_e32 v15, 0, v15, vcc
	s_movk_i32 s6, 0x2800
	s_waitcnt lgkmcnt(0)
	v_add_u32_e32 v26, v14, v15
	v_add_u32_e64 v14, s6, 0
	s_barrier
	ds_read2_b32 v[14:15], v14 offset1:2
	v_add_u32_e32 v24, v26, v1
	v_add_u32_e32 v22, v24, v25
	v_add_u32_e32 v20, v22, v27
	v_add_u32_e32 v18, v20, v28
	s_load_dwordx2 s[4:5], s[4:5], 0x28
	v_lshrrev_b64 v[16:17], 24, v[12:13]
	s_branch .LBB1419_274
.LBB1419_264:
                                        ; implicit-def: $vgpr18
                                        ; implicit-def: $vgpr20
                                        ; implicit-def: $vgpr22
                                        ; implicit-def: $vgpr24
                                        ; implicit-def: $vgpr26
                                        ; implicit-def: $vgpr15
	s_load_dwordx2 s[4:5], s[4:5], 0x28
	v_lshrrev_b64 v[16:17], 24, v[12:13]
	s_cbranch_execz .LBB1419_274
; %bb.265:
	s_waitcnt lgkmcnt(0)
	v_mov_b32_dpp v14, v31 row_shr:1 row_mask:0xf bank_mask:0xf
	v_cndmask_b32_e64 v14, v14, 0, s[14:15]
	v_add_u32_e32 v14, v14, v31
	s_nop 1
	v_mov_b32_dpp v15, v14 row_shr:2 row_mask:0xf bank_mask:0xf
	v_cndmask_b32_e64 v15, 0, v15, s[12:13]
	v_add_u32_e32 v14, v14, v15
	s_nop 1
	;; [unrolled: 4-line block ×4, first 2 shown]
	v_mov_b32_dpp v15, v14 row_bcast:15 row_mask:0xf bank_mask:0xf
	v_cndmask_b32_e64 v15, v15, 0, s[18:19]
	v_add_u32_e32 v14, v14, v15
	s_nop 1
	v_mov_b32_dpp v15, v14 row_bcast:31 row_mask:0xf bank_mask:0xf
	v_cndmask_b32_e64 v15, 0, v15, s[0:1]
	v_add_u32_e32 v14, v14, v15
	s_and_saveexec_b64 s[0:1], s[2:3]
	s_cbranch_execz .LBB1419_267
; %bb.266:
	v_lshlrev_b32_e32 v15, 2, v30
	ds_write_b32 v15, v14
.LBB1419_267:
	s_or_b64 exec, exec, s[0:1]
	v_cmp_gt_u32_e32 vcc, 4, v0
	s_waitcnt lgkmcnt(0)
	s_barrier
	s_and_saveexec_b64 s[0:1], vcc
	s_cbranch_execz .LBB1419_269
; %bb.268:
	v_lshlrev_b32_e32 v15, 2, v0
	ds_read_b32 v17, v15
	v_and_b32_e32 v18, 3, v29
	v_cmp_ne_u32_e32 vcc, 0, v18
	s_waitcnt lgkmcnt(0)
	v_mov_b32_dpp v19, v17 row_shr:1 row_mask:0xf bank_mask:0xf
	v_cndmask_b32_e32 v19, 0, v19, vcc
	v_add_u32_e32 v17, v19, v17
	v_cmp_lt_u32_e32 vcc, 1, v18
	s_nop 0
	v_mov_b32_dpp v19, v17 row_shr:2 row_mask:0xf bank_mask:0xf
	v_cndmask_b32_e32 v18, 0, v19, vcc
	v_add_u32_e32 v17, v17, v18
	ds_write_b32 v15, v17
.LBB1419_269:
	s_or_b64 exec, exec, s[0:1]
	v_cmp_lt_u32_e32 vcc, 63, v0
	v_mov_b32_e32 v15, 0
	v_mov_b32_e32 v17, 0
	s_waitcnt lgkmcnt(0)
	s_barrier
	s_and_saveexec_b64 s[0:1], vcc
	s_cbranch_execz .LBB1419_271
; %bb.270:
	v_lshl_add_u32 v17, v30, 2, -4
	ds_read_b32 v17, v17
.LBB1419_271:
	s_or_b64 exec, exec, s[0:1]
	v_add_u32_e32 v18, -1, v29
	v_and_b32_e32 v19, 64, v29
	v_cmp_lt_i32_e32 vcc, v18, v19
	v_cndmask_b32_e32 v18, v18, v29, vcc
	s_waitcnt lgkmcnt(0)
	v_add_u32_e32 v14, v17, v14
	v_lshlrev_b32_e32 v18, 2, v18
	ds_bpermute_b32 v18, v18, v14
	ds_read_b32 v14, v15 offset:12
	v_cmp_eq_u32_e32 vcc, 0, v0
	s_and_saveexec_b64 s[0:1], vcc
	s_cbranch_execz .LBB1419_273
; %bb.272:
	v_mov_b32_e32 v19, 0
	v_mov_b32_e32 v15, 2
	s_waitcnt lgkmcnt(0)
	global_store_dwordx2 v19, v[14:15], s[30:31] offset:512
.LBB1419_273:
	s_or_b64 exec, exec, s[0:1]
	v_cmp_eq_u32_e64 s[0:1], 0, v29
	s_waitcnt lgkmcnt(1)
	v_cndmask_b32_e64 v17, v18, v17, s[0:1]
	v_cndmask_b32_e64 v26, v17, 0, vcc
	v_add_u32_e32 v24, v26, v1
	v_add_u32_e32 v22, v24, v25
	;; [unrolled: 1-line block ×3, first 2 shown]
	v_mov_b32_e32 v15, 0
	v_add_u32_e32 v18, v20, v28
	s_waitcnt lgkmcnt(0)
	s_barrier
.LBB1419_274:
	s_movk_i32 s0, 0x101
	s_waitcnt lgkmcnt(0)
	v_cmp_gt_u32_e32 vcc, s0, v14
	v_lshrrev_b32_e32 v1, 8, v12
	s_mov_b64 s[0:1], -1
	s_cbranch_vccnz .LBB1419_278
; %bb.275:
	s_and_b64 vcc, exec, s[0:1]
	s_cbranch_vccnz .LBB1419_294
.LBB1419_276:
	v_cmp_eq_u32_e32 vcc, 0, v0
	s_and_b64 s[0:1], vcc, s[24:25]
	s_and_saveexec_b64 s[2:3], s[0:1]
	s_cbranch_execnz .LBB1419_308
.LBB1419_277:
	s_endpgm
.LBB1419_278:
	v_add_u32_e32 v17, v15, v14
	v_cmp_lt_u32_e32 vcc, v26, v17
	s_or_b64 s[2:3], s[34:35], vcc
	s_and_saveexec_b64 s[0:1], s[2:3]
	s_cbranch_execz .LBB1419_281
; %bb.279:
	v_and_b32_e32 v19, 1, v12
	v_cmp_eq_u32_e32 vcc, 1, v19
	s_and_b64 exec, exec, vcc
	s_cbranch_execz .LBB1419_281
; %bb.280:
	s_lshl_b64 s[2:3], s[22:23], 3
	s_add_u32 s2, s4, s2
	v_mov_b32_e32 v27, 0
	s_addc_u32 s3, s5, s3
	v_lshlrev_b64 v[28:29], 3, v[26:27]
	v_mov_b32_e32 v19, s3
	v_add_co_u32_e32 v28, vcc, s2, v28
	v_addc_co_u32_e32 v29, vcc, v19, v29, vcc
	global_store_dwordx2 v[28:29], v[6:7], off
.LBB1419_281:
	s_or_b64 exec, exec, s[0:1]
	v_cmp_lt_u32_e32 vcc, v24, v17
	s_or_b64 s[2:3], s[34:35], vcc
	s_and_saveexec_b64 s[0:1], s[2:3]
	s_cbranch_execz .LBB1419_284
; %bb.282:
	v_and_b32_e32 v19, 1, v1
	v_cmp_eq_u32_e32 vcc, 1, v19
	s_and_b64 exec, exec, vcc
	s_cbranch_execz .LBB1419_284
; %bb.283:
	s_lshl_b64 s[2:3], s[22:23], 3
	s_add_u32 s2, s4, s2
	v_mov_b32_e32 v25, 0
	s_addc_u32 s3, s5, s3
	v_lshlrev_b64 v[28:29], 3, v[24:25]
	v_mov_b32_e32 v19, s3
	v_add_co_u32_e32 v28, vcc, s2, v28
	v_addc_co_u32_e32 v29, vcc, v19, v29, vcc
	global_store_dwordx2 v[28:29], v[8:9], off
.LBB1419_284:
	s_or_b64 exec, exec, s[0:1]
	v_cmp_lt_u32_e32 vcc, v22, v17
	s_or_b64 s[2:3], s[34:35], vcc
	s_and_saveexec_b64 s[0:1], s[2:3]
	s_cbranch_execz .LBB1419_287
; %bb.285:
	v_mov_b32_e32 v19, 1
	v_and_b32_sdwa v19, v19, v12 dst_sel:DWORD dst_unused:UNUSED_PAD src0_sel:DWORD src1_sel:WORD_1
	v_cmp_eq_u32_e32 vcc, 1, v19
	s_and_b64 exec, exec, vcc
	s_cbranch_execz .LBB1419_287
; %bb.286:
	s_lshl_b64 s[2:3], s[22:23], 3
	s_add_u32 s2, s4, s2
	v_mov_b32_e32 v23, 0
	s_addc_u32 s3, s5, s3
	v_lshlrev_b64 v[28:29], 3, v[22:23]
	v_mov_b32_e32 v19, s3
	v_add_co_u32_e32 v28, vcc, s2, v28
	v_addc_co_u32_e32 v29, vcc, v19, v29, vcc
	global_store_dwordx2 v[28:29], v[2:3], off
.LBB1419_287:
	s_or_b64 exec, exec, s[0:1]
	v_cmp_lt_u32_e32 vcc, v20, v17
	s_or_b64 s[2:3], s[34:35], vcc
	s_and_saveexec_b64 s[0:1], s[2:3]
	s_cbranch_execz .LBB1419_290
; %bb.288:
	v_and_b32_e32 v19, 1, v16
	v_cmp_eq_u32_e32 vcc, 1, v19
	s_and_b64 exec, exec, vcc
	s_cbranch_execz .LBB1419_290
; %bb.289:
	s_lshl_b64 s[2:3], s[22:23], 3
	s_add_u32 s2, s4, s2
	v_mov_b32_e32 v21, 0
	s_addc_u32 s3, s5, s3
	v_lshlrev_b64 v[28:29], 3, v[20:21]
	v_mov_b32_e32 v19, s3
	v_add_co_u32_e32 v28, vcc, s2, v28
	v_addc_co_u32_e32 v29, vcc, v19, v29, vcc
	global_store_dwordx2 v[28:29], v[4:5], off
.LBB1419_290:
	s_or_b64 exec, exec, s[0:1]
	v_cmp_lt_u32_e32 vcc, v18, v17
	s_or_b64 s[2:3], s[34:35], vcc
	s_and_saveexec_b64 s[0:1], s[2:3]
	s_cbranch_execz .LBB1419_293
; %bb.291:
	v_and_b32_e32 v17, 1, v13
	v_cmp_eq_u32_e32 vcc, 1, v17
	s_and_b64 exec, exec, vcc
	s_cbranch_execz .LBB1419_293
; %bb.292:
	s_lshl_b64 s[2:3], s[22:23], 3
	s_add_u32 s2, s4, s2
	v_mov_b32_e32 v19, 0
	s_addc_u32 s3, s5, s3
	v_lshlrev_b64 v[28:29], 3, v[18:19]
	v_mov_b32_e32 v17, s3
	v_add_co_u32_e32 v28, vcc, s2, v28
	v_addc_co_u32_e32 v29, vcc, v17, v29, vcc
	global_store_dwordx2 v[28:29], v[10:11], off
.LBB1419_293:
	s_or_b64 exec, exec, s[0:1]
	s_branch .LBB1419_276
.LBB1419_294:
	v_and_b32_e32 v17, 1, v12
	v_cmp_eq_u32_e32 vcc, 1, v17
	s_and_saveexec_b64 s[0:1], vcc
	s_cbranch_execz .LBB1419_296
; %bb.295:
	v_sub_u32_e32 v17, v26, v15
	v_lshlrev_b32_e32 v17, 3, v17
	ds_write_b64 v17, v[6:7]
.LBB1419_296:
	s_or_b64 exec, exec, s[0:1]
	v_and_b32_e32 v1, 1, v1
	v_cmp_eq_u32_e32 vcc, 1, v1
	s_and_saveexec_b64 s[0:1], vcc
	s_cbranch_execz .LBB1419_298
; %bb.297:
	v_sub_u32_e32 v1, v24, v15
	v_lshlrev_b32_e32 v1, 3, v1
	ds_write_b64 v1, v[8:9]
.LBB1419_298:
	s_or_b64 exec, exec, s[0:1]
	v_mov_b32_e32 v1, 1
	v_and_b32_sdwa v1, v1, v12 dst_sel:DWORD dst_unused:UNUSED_PAD src0_sel:DWORD src1_sel:WORD_1
	v_cmp_eq_u32_e32 vcc, 1, v1
	s_and_saveexec_b64 s[0:1], vcc
	s_cbranch_execz .LBB1419_300
; %bb.299:
	v_sub_u32_e32 v1, v22, v15
	v_lshlrev_b32_e32 v1, 3, v1
	ds_write_b64 v1, v[2:3]
.LBB1419_300:
	s_or_b64 exec, exec, s[0:1]
	v_and_b32_e32 v1, 1, v16
	v_cmp_eq_u32_e32 vcc, 1, v1
	s_and_saveexec_b64 s[0:1], vcc
	s_cbranch_execz .LBB1419_302
; %bb.301:
	v_sub_u32_e32 v1, v20, v15
	v_lshlrev_b32_e32 v1, 3, v1
	ds_write_b64 v1, v[4:5]
.LBB1419_302:
	s_or_b64 exec, exec, s[0:1]
	v_and_b32_e32 v1, 1, v13
	v_cmp_eq_u32_e32 vcc, 1, v1
	s_and_saveexec_b64 s[0:1], vcc
	s_cbranch_execz .LBB1419_304
; %bb.303:
	v_sub_u32_e32 v1, v18, v15
	v_lshlrev_b32_e32 v1, 3, v1
	ds_write_b64 v1, v[10:11]
.LBB1419_304:
	s_or_b64 exec, exec, s[0:1]
	v_cmp_lt_u32_e32 vcc, v0, v14
	s_waitcnt lgkmcnt(0)
	s_barrier
	s_and_saveexec_b64 s[0:1], vcc
	s_cbranch_execz .LBB1419_307
; %bb.305:
	v_mov_b32_e32 v3, 0
	v_mov_b32_e32 v2, v15
	v_lshlrev_b64 v[4:5], 3, v[2:3]
	v_mov_b32_e32 v1, s5
	v_add_co_u32_e32 v2, vcc, s4, v4
	v_addc_co_u32_e32 v4, vcc, v1, v5, vcc
	s_lshl_b64 s[2:3], s[22:23], 3
	v_mov_b32_e32 v5, s3
	v_add_co_u32_e32 v1, vcc, s2, v2
	v_addc_co_u32_e32 v4, vcc, v4, v5, vcc
	v_lshlrev_b32_e32 v5, 3, v0
	s_mov_b64 s[2:3], 0
	v_mov_b32_e32 v2, v0
.LBB1419_306:                           ; =>This Inner Loop Header: Depth=1
	ds_read_b64 v[6:7], v5
	v_lshlrev_b64 v[8:9], 3, v[2:3]
	v_add_co_u32_e32 v8, vcc, v1, v8
	v_add_u32_e32 v2, 0x100, v2
	v_addc_co_u32_e32 v9, vcc, v4, v9, vcc
	v_cmp_ge_u32_e32 vcc, v2, v14
	v_add_u32_e32 v5, 0x800, v5
	s_or_b64 s[2:3], vcc, s[2:3]
	s_waitcnt lgkmcnt(0)
	global_store_dwordx2 v[8:9], v[6:7], off
	s_andn2_b64 exec, exec, s[2:3]
	s_cbranch_execnz .LBB1419_306
.LBB1419_307:
	s_or_b64 exec, exec, s[0:1]
	v_cmp_eq_u32_e32 vcc, 0, v0
	s_and_b64 s[0:1], vcc, s[24:25]
	s_and_saveexec_b64 s[2:3], s[0:1]
	s_cbranch_execz .LBB1419_277
.LBB1419_308:
	v_mov_b32_e32 v0, s23
	v_add_co_u32_e32 v1, vcc, s22, v14
	v_addc_co_u32_e32 v3, vcc, 0, v0, vcc
	v_add_co_u32_e32 v0, vcc, v1, v15
	v_mov_b32_e32 v2, 0
	v_addc_co_u32_e32 v1, vcc, 0, v3, vcc
	global_store_dwordx2 v2, v[0:1], s[20:21]
	s_endpgm
	.section	.rodata,"a",@progbits
	.p2align	6, 0x0
	.amdhsa_kernel _ZN7rocprim17ROCPRIM_400000_NS6detail17trampoline_kernelINS0_14default_configENS1_25partition_config_selectorILNS1_17partition_subalgoE8ElNS0_10empty_typeEbEEZZNS1_14partition_implILS5_8ELb0ES3_jPlPS6_PKS6_NS0_5tupleIJS9_S6_EEENSD_IJSA_SA_EEENS0_18inequality_wrapperIZN2at6native12_GLOBAL__N_124unique_dim_cuda_templateItEESt5tupleIJNSH_6TensorESM_SM_EERKSM_lbbbEUlllE0_EEPmJS6_EEE10hipError_tPvRmT3_T4_T5_T6_T7_T9_mT8_P12ihipStream_tbDpT10_ENKUlT_T0_E_clISt17integral_constantIbLb0EES1C_EEDaS17_S18_EUlS17_E_NS1_11comp_targetILNS1_3genE4ELNS1_11target_archE910ELNS1_3gpuE8ELNS1_3repE0EEENS1_30default_config_static_selectorELNS0_4arch9wavefront6targetE1EEEvT1_
		.amdhsa_group_segment_fixed_size 10252
		.amdhsa_private_segment_fixed_size 0
		.amdhsa_kernarg_size 120
		.amdhsa_user_sgpr_count 6
		.amdhsa_user_sgpr_private_segment_buffer 1
		.amdhsa_user_sgpr_dispatch_ptr 0
		.amdhsa_user_sgpr_queue_ptr 0
		.amdhsa_user_sgpr_kernarg_segment_ptr 1
		.amdhsa_user_sgpr_dispatch_id 0
		.amdhsa_user_sgpr_flat_scratch_init 0
		.amdhsa_user_sgpr_kernarg_preload_length 0
		.amdhsa_user_sgpr_kernarg_preload_offset 0
		.amdhsa_user_sgpr_private_segment_size 0
		.amdhsa_uses_dynamic_stack 0
		.amdhsa_system_sgpr_private_segment_wavefront_offset 0
		.amdhsa_system_sgpr_workgroup_id_x 1
		.amdhsa_system_sgpr_workgroup_id_y 0
		.amdhsa_system_sgpr_workgroup_id_z 0
		.amdhsa_system_sgpr_workgroup_info 0
		.amdhsa_system_vgpr_workitem_id 0
		.amdhsa_next_free_vgpr 46
		.amdhsa_next_free_sgpr 48
		.amdhsa_accum_offset 48
		.amdhsa_reserve_vcc 1
		.amdhsa_reserve_flat_scratch 0
		.amdhsa_float_round_mode_32 0
		.amdhsa_float_round_mode_16_64 0
		.amdhsa_float_denorm_mode_32 3
		.amdhsa_float_denorm_mode_16_64 3
		.amdhsa_dx10_clamp 1
		.amdhsa_ieee_mode 1
		.amdhsa_fp16_overflow 0
		.amdhsa_tg_split 0
		.amdhsa_exception_fp_ieee_invalid_op 0
		.amdhsa_exception_fp_denorm_src 0
		.amdhsa_exception_fp_ieee_div_zero 0
		.amdhsa_exception_fp_ieee_overflow 0
		.amdhsa_exception_fp_ieee_underflow 0
		.amdhsa_exception_fp_ieee_inexact 0
		.amdhsa_exception_int_div_zero 0
	.end_amdhsa_kernel
	.section	.text._ZN7rocprim17ROCPRIM_400000_NS6detail17trampoline_kernelINS0_14default_configENS1_25partition_config_selectorILNS1_17partition_subalgoE8ElNS0_10empty_typeEbEEZZNS1_14partition_implILS5_8ELb0ES3_jPlPS6_PKS6_NS0_5tupleIJS9_S6_EEENSD_IJSA_SA_EEENS0_18inequality_wrapperIZN2at6native12_GLOBAL__N_124unique_dim_cuda_templateItEESt5tupleIJNSH_6TensorESM_SM_EERKSM_lbbbEUlllE0_EEPmJS6_EEE10hipError_tPvRmT3_T4_T5_T6_T7_T9_mT8_P12ihipStream_tbDpT10_ENKUlT_T0_E_clISt17integral_constantIbLb0EES1C_EEDaS17_S18_EUlS17_E_NS1_11comp_targetILNS1_3genE4ELNS1_11target_archE910ELNS1_3gpuE8ELNS1_3repE0EEENS1_30default_config_static_selectorELNS0_4arch9wavefront6targetE1EEEvT1_,"axG",@progbits,_ZN7rocprim17ROCPRIM_400000_NS6detail17trampoline_kernelINS0_14default_configENS1_25partition_config_selectorILNS1_17partition_subalgoE8ElNS0_10empty_typeEbEEZZNS1_14partition_implILS5_8ELb0ES3_jPlPS6_PKS6_NS0_5tupleIJS9_S6_EEENSD_IJSA_SA_EEENS0_18inequality_wrapperIZN2at6native12_GLOBAL__N_124unique_dim_cuda_templateItEESt5tupleIJNSH_6TensorESM_SM_EERKSM_lbbbEUlllE0_EEPmJS6_EEE10hipError_tPvRmT3_T4_T5_T6_T7_T9_mT8_P12ihipStream_tbDpT10_ENKUlT_T0_E_clISt17integral_constantIbLb0EES1C_EEDaS17_S18_EUlS17_E_NS1_11comp_targetILNS1_3genE4ELNS1_11target_archE910ELNS1_3gpuE8ELNS1_3repE0EEENS1_30default_config_static_selectorELNS0_4arch9wavefront6targetE1EEEvT1_,comdat
.Lfunc_end1419:
	.size	_ZN7rocprim17ROCPRIM_400000_NS6detail17trampoline_kernelINS0_14default_configENS1_25partition_config_selectorILNS1_17partition_subalgoE8ElNS0_10empty_typeEbEEZZNS1_14partition_implILS5_8ELb0ES3_jPlPS6_PKS6_NS0_5tupleIJS9_S6_EEENSD_IJSA_SA_EEENS0_18inequality_wrapperIZN2at6native12_GLOBAL__N_124unique_dim_cuda_templateItEESt5tupleIJNSH_6TensorESM_SM_EERKSM_lbbbEUlllE0_EEPmJS6_EEE10hipError_tPvRmT3_T4_T5_T6_T7_T9_mT8_P12ihipStream_tbDpT10_ENKUlT_T0_E_clISt17integral_constantIbLb0EES1C_EEDaS17_S18_EUlS17_E_NS1_11comp_targetILNS1_3genE4ELNS1_11target_archE910ELNS1_3gpuE8ELNS1_3repE0EEENS1_30default_config_static_selectorELNS0_4arch9wavefront6targetE1EEEvT1_, .Lfunc_end1419-_ZN7rocprim17ROCPRIM_400000_NS6detail17trampoline_kernelINS0_14default_configENS1_25partition_config_selectorILNS1_17partition_subalgoE8ElNS0_10empty_typeEbEEZZNS1_14partition_implILS5_8ELb0ES3_jPlPS6_PKS6_NS0_5tupleIJS9_S6_EEENSD_IJSA_SA_EEENS0_18inequality_wrapperIZN2at6native12_GLOBAL__N_124unique_dim_cuda_templateItEESt5tupleIJNSH_6TensorESM_SM_EERKSM_lbbbEUlllE0_EEPmJS6_EEE10hipError_tPvRmT3_T4_T5_T6_T7_T9_mT8_P12ihipStream_tbDpT10_ENKUlT_T0_E_clISt17integral_constantIbLb0EES1C_EEDaS17_S18_EUlS17_E_NS1_11comp_targetILNS1_3genE4ELNS1_11target_archE910ELNS1_3gpuE8ELNS1_3repE0EEENS1_30default_config_static_selectorELNS0_4arch9wavefront6targetE1EEEvT1_
                                        ; -- End function
	.section	.AMDGPU.csdata,"",@progbits
; Kernel info:
; codeLenInByte = 11376
; NumSgprs: 52
; NumVgprs: 46
; NumAgprs: 0
; TotalNumVgprs: 46
; ScratchSize: 0
; MemoryBound: 0
; FloatMode: 240
; IeeeMode: 1
; LDSByteSize: 10252 bytes/workgroup (compile time only)
; SGPRBlocks: 6
; VGPRBlocks: 5
; NumSGPRsForWavesPerEU: 52
; NumVGPRsForWavesPerEU: 46
; AccumOffset: 48
; Occupancy: 6
; WaveLimiterHint : 1
; COMPUTE_PGM_RSRC2:SCRATCH_EN: 0
; COMPUTE_PGM_RSRC2:USER_SGPR: 6
; COMPUTE_PGM_RSRC2:TRAP_HANDLER: 0
; COMPUTE_PGM_RSRC2:TGID_X_EN: 1
; COMPUTE_PGM_RSRC2:TGID_Y_EN: 0
; COMPUTE_PGM_RSRC2:TGID_Z_EN: 0
; COMPUTE_PGM_RSRC2:TIDIG_COMP_CNT: 0
; COMPUTE_PGM_RSRC3_GFX90A:ACCUM_OFFSET: 11
; COMPUTE_PGM_RSRC3_GFX90A:TG_SPLIT: 0
	.section	.text._ZN7rocprim17ROCPRIM_400000_NS6detail17trampoline_kernelINS0_14default_configENS1_25partition_config_selectorILNS1_17partition_subalgoE8ElNS0_10empty_typeEbEEZZNS1_14partition_implILS5_8ELb0ES3_jPlPS6_PKS6_NS0_5tupleIJS9_S6_EEENSD_IJSA_SA_EEENS0_18inequality_wrapperIZN2at6native12_GLOBAL__N_124unique_dim_cuda_templateItEESt5tupleIJNSH_6TensorESM_SM_EERKSM_lbbbEUlllE0_EEPmJS6_EEE10hipError_tPvRmT3_T4_T5_T6_T7_T9_mT8_P12ihipStream_tbDpT10_ENKUlT_T0_E_clISt17integral_constantIbLb0EES1C_EEDaS17_S18_EUlS17_E_NS1_11comp_targetILNS1_3genE3ELNS1_11target_archE908ELNS1_3gpuE7ELNS1_3repE0EEENS1_30default_config_static_selectorELNS0_4arch9wavefront6targetE1EEEvT1_,"axG",@progbits,_ZN7rocprim17ROCPRIM_400000_NS6detail17trampoline_kernelINS0_14default_configENS1_25partition_config_selectorILNS1_17partition_subalgoE8ElNS0_10empty_typeEbEEZZNS1_14partition_implILS5_8ELb0ES3_jPlPS6_PKS6_NS0_5tupleIJS9_S6_EEENSD_IJSA_SA_EEENS0_18inequality_wrapperIZN2at6native12_GLOBAL__N_124unique_dim_cuda_templateItEESt5tupleIJNSH_6TensorESM_SM_EERKSM_lbbbEUlllE0_EEPmJS6_EEE10hipError_tPvRmT3_T4_T5_T6_T7_T9_mT8_P12ihipStream_tbDpT10_ENKUlT_T0_E_clISt17integral_constantIbLb0EES1C_EEDaS17_S18_EUlS17_E_NS1_11comp_targetILNS1_3genE3ELNS1_11target_archE908ELNS1_3gpuE7ELNS1_3repE0EEENS1_30default_config_static_selectorELNS0_4arch9wavefront6targetE1EEEvT1_,comdat
	.globl	_ZN7rocprim17ROCPRIM_400000_NS6detail17trampoline_kernelINS0_14default_configENS1_25partition_config_selectorILNS1_17partition_subalgoE8ElNS0_10empty_typeEbEEZZNS1_14partition_implILS5_8ELb0ES3_jPlPS6_PKS6_NS0_5tupleIJS9_S6_EEENSD_IJSA_SA_EEENS0_18inequality_wrapperIZN2at6native12_GLOBAL__N_124unique_dim_cuda_templateItEESt5tupleIJNSH_6TensorESM_SM_EERKSM_lbbbEUlllE0_EEPmJS6_EEE10hipError_tPvRmT3_T4_T5_T6_T7_T9_mT8_P12ihipStream_tbDpT10_ENKUlT_T0_E_clISt17integral_constantIbLb0EES1C_EEDaS17_S18_EUlS17_E_NS1_11comp_targetILNS1_3genE3ELNS1_11target_archE908ELNS1_3gpuE7ELNS1_3repE0EEENS1_30default_config_static_selectorELNS0_4arch9wavefront6targetE1EEEvT1_ ; -- Begin function _ZN7rocprim17ROCPRIM_400000_NS6detail17trampoline_kernelINS0_14default_configENS1_25partition_config_selectorILNS1_17partition_subalgoE8ElNS0_10empty_typeEbEEZZNS1_14partition_implILS5_8ELb0ES3_jPlPS6_PKS6_NS0_5tupleIJS9_S6_EEENSD_IJSA_SA_EEENS0_18inequality_wrapperIZN2at6native12_GLOBAL__N_124unique_dim_cuda_templateItEESt5tupleIJNSH_6TensorESM_SM_EERKSM_lbbbEUlllE0_EEPmJS6_EEE10hipError_tPvRmT3_T4_T5_T6_T7_T9_mT8_P12ihipStream_tbDpT10_ENKUlT_T0_E_clISt17integral_constantIbLb0EES1C_EEDaS17_S18_EUlS17_E_NS1_11comp_targetILNS1_3genE3ELNS1_11target_archE908ELNS1_3gpuE7ELNS1_3repE0EEENS1_30default_config_static_selectorELNS0_4arch9wavefront6targetE1EEEvT1_
	.p2align	8
	.type	_ZN7rocprim17ROCPRIM_400000_NS6detail17trampoline_kernelINS0_14default_configENS1_25partition_config_selectorILNS1_17partition_subalgoE8ElNS0_10empty_typeEbEEZZNS1_14partition_implILS5_8ELb0ES3_jPlPS6_PKS6_NS0_5tupleIJS9_S6_EEENSD_IJSA_SA_EEENS0_18inequality_wrapperIZN2at6native12_GLOBAL__N_124unique_dim_cuda_templateItEESt5tupleIJNSH_6TensorESM_SM_EERKSM_lbbbEUlllE0_EEPmJS6_EEE10hipError_tPvRmT3_T4_T5_T6_T7_T9_mT8_P12ihipStream_tbDpT10_ENKUlT_T0_E_clISt17integral_constantIbLb0EES1C_EEDaS17_S18_EUlS17_E_NS1_11comp_targetILNS1_3genE3ELNS1_11target_archE908ELNS1_3gpuE7ELNS1_3repE0EEENS1_30default_config_static_selectorELNS0_4arch9wavefront6targetE1EEEvT1_,@function
_ZN7rocprim17ROCPRIM_400000_NS6detail17trampoline_kernelINS0_14default_configENS1_25partition_config_selectorILNS1_17partition_subalgoE8ElNS0_10empty_typeEbEEZZNS1_14partition_implILS5_8ELb0ES3_jPlPS6_PKS6_NS0_5tupleIJS9_S6_EEENSD_IJSA_SA_EEENS0_18inequality_wrapperIZN2at6native12_GLOBAL__N_124unique_dim_cuda_templateItEESt5tupleIJNSH_6TensorESM_SM_EERKSM_lbbbEUlllE0_EEPmJS6_EEE10hipError_tPvRmT3_T4_T5_T6_T7_T9_mT8_P12ihipStream_tbDpT10_ENKUlT_T0_E_clISt17integral_constantIbLb0EES1C_EEDaS17_S18_EUlS17_E_NS1_11comp_targetILNS1_3genE3ELNS1_11target_archE908ELNS1_3gpuE7ELNS1_3repE0EEENS1_30default_config_static_selectorELNS0_4arch9wavefront6targetE1EEEvT1_: ; @_ZN7rocprim17ROCPRIM_400000_NS6detail17trampoline_kernelINS0_14default_configENS1_25partition_config_selectorILNS1_17partition_subalgoE8ElNS0_10empty_typeEbEEZZNS1_14partition_implILS5_8ELb0ES3_jPlPS6_PKS6_NS0_5tupleIJS9_S6_EEENSD_IJSA_SA_EEENS0_18inequality_wrapperIZN2at6native12_GLOBAL__N_124unique_dim_cuda_templateItEESt5tupleIJNSH_6TensorESM_SM_EERKSM_lbbbEUlllE0_EEPmJS6_EEE10hipError_tPvRmT3_T4_T5_T6_T7_T9_mT8_P12ihipStream_tbDpT10_ENKUlT_T0_E_clISt17integral_constantIbLb0EES1C_EEDaS17_S18_EUlS17_E_NS1_11comp_targetILNS1_3genE3ELNS1_11target_archE908ELNS1_3gpuE7ELNS1_3repE0EEENS1_30default_config_static_selectorELNS0_4arch9wavefront6targetE1EEEvT1_
; %bb.0:
	.section	.rodata,"a",@progbits
	.p2align	6, 0x0
	.amdhsa_kernel _ZN7rocprim17ROCPRIM_400000_NS6detail17trampoline_kernelINS0_14default_configENS1_25partition_config_selectorILNS1_17partition_subalgoE8ElNS0_10empty_typeEbEEZZNS1_14partition_implILS5_8ELb0ES3_jPlPS6_PKS6_NS0_5tupleIJS9_S6_EEENSD_IJSA_SA_EEENS0_18inequality_wrapperIZN2at6native12_GLOBAL__N_124unique_dim_cuda_templateItEESt5tupleIJNSH_6TensorESM_SM_EERKSM_lbbbEUlllE0_EEPmJS6_EEE10hipError_tPvRmT3_T4_T5_T6_T7_T9_mT8_P12ihipStream_tbDpT10_ENKUlT_T0_E_clISt17integral_constantIbLb0EES1C_EEDaS17_S18_EUlS17_E_NS1_11comp_targetILNS1_3genE3ELNS1_11target_archE908ELNS1_3gpuE7ELNS1_3repE0EEENS1_30default_config_static_selectorELNS0_4arch9wavefront6targetE1EEEvT1_
		.amdhsa_group_segment_fixed_size 0
		.amdhsa_private_segment_fixed_size 0
		.amdhsa_kernarg_size 120
		.amdhsa_user_sgpr_count 6
		.amdhsa_user_sgpr_private_segment_buffer 1
		.amdhsa_user_sgpr_dispatch_ptr 0
		.amdhsa_user_sgpr_queue_ptr 0
		.amdhsa_user_sgpr_kernarg_segment_ptr 1
		.amdhsa_user_sgpr_dispatch_id 0
		.amdhsa_user_sgpr_flat_scratch_init 0
		.amdhsa_user_sgpr_kernarg_preload_length 0
		.amdhsa_user_sgpr_kernarg_preload_offset 0
		.amdhsa_user_sgpr_private_segment_size 0
		.amdhsa_uses_dynamic_stack 0
		.amdhsa_system_sgpr_private_segment_wavefront_offset 0
		.amdhsa_system_sgpr_workgroup_id_x 1
		.amdhsa_system_sgpr_workgroup_id_y 0
		.amdhsa_system_sgpr_workgroup_id_z 0
		.amdhsa_system_sgpr_workgroup_info 0
		.amdhsa_system_vgpr_workitem_id 0
		.amdhsa_next_free_vgpr 1
		.amdhsa_next_free_sgpr 0
		.amdhsa_accum_offset 4
		.amdhsa_reserve_vcc 0
		.amdhsa_reserve_flat_scratch 0
		.amdhsa_float_round_mode_32 0
		.amdhsa_float_round_mode_16_64 0
		.amdhsa_float_denorm_mode_32 3
		.amdhsa_float_denorm_mode_16_64 3
		.amdhsa_dx10_clamp 1
		.amdhsa_ieee_mode 1
		.amdhsa_fp16_overflow 0
		.amdhsa_tg_split 0
		.amdhsa_exception_fp_ieee_invalid_op 0
		.amdhsa_exception_fp_denorm_src 0
		.amdhsa_exception_fp_ieee_div_zero 0
		.amdhsa_exception_fp_ieee_overflow 0
		.amdhsa_exception_fp_ieee_underflow 0
		.amdhsa_exception_fp_ieee_inexact 0
		.amdhsa_exception_int_div_zero 0
	.end_amdhsa_kernel
	.section	.text._ZN7rocprim17ROCPRIM_400000_NS6detail17trampoline_kernelINS0_14default_configENS1_25partition_config_selectorILNS1_17partition_subalgoE8ElNS0_10empty_typeEbEEZZNS1_14partition_implILS5_8ELb0ES3_jPlPS6_PKS6_NS0_5tupleIJS9_S6_EEENSD_IJSA_SA_EEENS0_18inequality_wrapperIZN2at6native12_GLOBAL__N_124unique_dim_cuda_templateItEESt5tupleIJNSH_6TensorESM_SM_EERKSM_lbbbEUlllE0_EEPmJS6_EEE10hipError_tPvRmT3_T4_T5_T6_T7_T9_mT8_P12ihipStream_tbDpT10_ENKUlT_T0_E_clISt17integral_constantIbLb0EES1C_EEDaS17_S18_EUlS17_E_NS1_11comp_targetILNS1_3genE3ELNS1_11target_archE908ELNS1_3gpuE7ELNS1_3repE0EEENS1_30default_config_static_selectorELNS0_4arch9wavefront6targetE1EEEvT1_,"axG",@progbits,_ZN7rocprim17ROCPRIM_400000_NS6detail17trampoline_kernelINS0_14default_configENS1_25partition_config_selectorILNS1_17partition_subalgoE8ElNS0_10empty_typeEbEEZZNS1_14partition_implILS5_8ELb0ES3_jPlPS6_PKS6_NS0_5tupleIJS9_S6_EEENSD_IJSA_SA_EEENS0_18inequality_wrapperIZN2at6native12_GLOBAL__N_124unique_dim_cuda_templateItEESt5tupleIJNSH_6TensorESM_SM_EERKSM_lbbbEUlllE0_EEPmJS6_EEE10hipError_tPvRmT3_T4_T5_T6_T7_T9_mT8_P12ihipStream_tbDpT10_ENKUlT_T0_E_clISt17integral_constantIbLb0EES1C_EEDaS17_S18_EUlS17_E_NS1_11comp_targetILNS1_3genE3ELNS1_11target_archE908ELNS1_3gpuE7ELNS1_3repE0EEENS1_30default_config_static_selectorELNS0_4arch9wavefront6targetE1EEEvT1_,comdat
.Lfunc_end1420:
	.size	_ZN7rocprim17ROCPRIM_400000_NS6detail17trampoline_kernelINS0_14default_configENS1_25partition_config_selectorILNS1_17partition_subalgoE8ElNS0_10empty_typeEbEEZZNS1_14partition_implILS5_8ELb0ES3_jPlPS6_PKS6_NS0_5tupleIJS9_S6_EEENSD_IJSA_SA_EEENS0_18inequality_wrapperIZN2at6native12_GLOBAL__N_124unique_dim_cuda_templateItEESt5tupleIJNSH_6TensorESM_SM_EERKSM_lbbbEUlllE0_EEPmJS6_EEE10hipError_tPvRmT3_T4_T5_T6_T7_T9_mT8_P12ihipStream_tbDpT10_ENKUlT_T0_E_clISt17integral_constantIbLb0EES1C_EEDaS17_S18_EUlS17_E_NS1_11comp_targetILNS1_3genE3ELNS1_11target_archE908ELNS1_3gpuE7ELNS1_3repE0EEENS1_30default_config_static_selectorELNS0_4arch9wavefront6targetE1EEEvT1_, .Lfunc_end1420-_ZN7rocprim17ROCPRIM_400000_NS6detail17trampoline_kernelINS0_14default_configENS1_25partition_config_selectorILNS1_17partition_subalgoE8ElNS0_10empty_typeEbEEZZNS1_14partition_implILS5_8ELb0ES3_jPlPS6_PKS6_NS0_5tupleIJS9_S6_EEENSD_IJSA_SA_EEENS0_18inequality_wrapperIZN2at6native12_GLOBAL__N_124unique_dim_cuda_templateItEESt5tupleIJNSH_6TensorESM_SM_EERKSM_lbbbEUlllE0_EEPmJS6_EEE10hipError_tPvRmT3_T4_T5_T6_T7_T9_mT8_P12ihipStream_tbDpT10_ENKUlT_T0_E_clISt17integral_constantIbLb0EES1C_EEDaS17_S18_EUlS17_E_NS1_11comp_targetILNS1_3genE3ELNS1_11target_archE908ELNS1_3gpuE7ELNS1_3repE0EEENS1_30default_config_static_selectorELNS0_4arch9wavefront6targetE1EEEvT1_
                                        ; -- End function
	.section	.AMDGPU.csdata,"",@progbits
; Kernel info:
; codeLenInByte = 0
; NumSgprs: 4
; NumVgprs: 0
; NumAgprs: 0
; TotalNumVgprs: 0
; ScratchSize: 0
; MemoryBound: 0
; FloatMode: 240
; IeeeMode: 1
; LDSByteSize: 0 bytes/workgroup (compile time only)
; SGPRBlocks: 0
; VGPRBlocks: 0
; NumSGPRsForWavesPerEU: 4
; NumVGPRsForWavesPerEU: 1
; AccumOffset: 4
; Occupancy: 8
; WaveLimiterHint : 0
; COMPUTE_PGM_RSRC2:SCRATCH_EN: 0
; COMPUTE_PGM_RSRC2:USER_SGPR: 6
; COMPUTE_PGM_RSRC2:TRAP_HANDLER: 0
; COMPUTE_PGM_RSRC2:TGID_X_EN: 1
; COMPUTE_PGM_RSRC2:TGID_Y_EN: 0
; COMPUTE_PGM_RSRC2:TGID_Z_EN: 0
; COMPUTE_PGM_RSRC2:TIDIG_COMP_CNT: 0
; COMPUTE_PGM_RSRC3_GFX90A:ACCUM_OFFSET: 0
; COMPUTE_PGM_RSRC3_GFX90A:TG_SPLIT: 0
	.section	.text._ZN7rocprim17ROCPRIM_400000_NS6detail17trampoline_kernelINS0_14default_configENS1_25partition_config_selectorILNS1_17partition_subalgoE8ElNS0_10empty_typeEbEEZZNS1_14partition_implILS5_8ELb0ES3_jPlPS6_PKS6_NS0_5tupleIJS9_S6_EEENSD_IJSA_SA_EEENS0_18inequality_wrapperIZN2at6native12_GLOBAL__N_124unique_dim_cuda_templateItEESt5tupleIJNSH_6TensorESM_SM_EERKSM_lbbbEUlllE0_EEPmJS6_EEE10hipError_tPvRmT3_T4_T5_T6_T7_T9_mT8_P12ihipStream_tbDpT10_ENKUlT_T0_E_clISt17integral_constantIbLb0EES1C_EEDaS17_S18_EUlS17_E_NS1_11comp_targetILNS1_3genE2ELNS1_11target_archE906ELNS1_3gpuE6ELNS1_3repE0EEENS1_30default_config_static_selectorELNS0_4arch9wavefront6targetE1EEEvT1_,"axG",@progbits,_ZN7rocprim17ROCPRIM_400000_NS6detail17trampoline_kernelINS0_14default_configENS1_25partition_config_selectorILNS1_17partition_subalgoE8ElNS0_10empty_typeEbEEZZNS1_14partition_implILS5_8ELb0ES3_jPlPS6_PKS6_NS0_5tupleIJS9_S6_EEENSD_IJSA_SA_EEENS0_18inequality_wrapperIZN2at6native12_GLOBAL__N_124unique_dim_cuda_templateItEESt5tupleIJNSH_6TensorESM_SM_EERKSM_lbbbEUlllE0_EEPmJS6_EEE10hipError_tPvRmT3_T4_T5_T6_T7_T9_mT8_P12ihipStream_tbDpT10_ENKUlT_T0_E_clISt17integral_constantIbLb0EES1C_EEDaS17_S18_EUlS17_E_NS1_11comp_targetILNS1_3genE2ELNS1_11target_archE906ELNS1_3gpuE6ELNS1_3repE0EEENS1_30default_config_static_selectorELNS0_4arch9wavefront6targetE1EEEvT1_,comdat
	.globl	_ZN7rocprim17ROCPRIM_400000_NS6detail17trampoline_kernelINS0_14default_configENS1_25partition_config_selectorILNS1_17partition_subalgoE8ElNS0_10empty_typeEbEEZZNS1_14partition_implILS5_8ELb0ES3_jPlPS6_PKS6_NS0_5tupleIJS9_S6_EEENSD_IJSA_SA_EEENS0_18inequality_wrapperIZN2at6native12_GLOBAL__N_124unique_dim_cuda_templateItEESt5tupleIJNSH_6TensorESM_SM_EERKSM_lbbbEUlllE0_EEPmJS6_EEE10hipError_tPvRmT3_T4_T5_T6_T7_T9_mT8_P12ihipStream_tbDpT10_ENKUlT_T0_E_clISt17integral_constantIbLb0EES1C_EEDaS17_S18_EUlS17_E_NS1_11comp_targetILNS1_3genE2ELNS1_11target_archE906ELNS1_3gpuE6ELNS1_3repE0EEENS1_30default_config_static_selectorELNS0_4arch9wavefront6targetE1EEEvT1_ ; -- Begin function _ZN7rocprim17ROCPRIM_400000_NS6detail17trampoline_kernelINS0_14default_configENS1_25partition_config_selectorILNS1_17partition_subalgoE8ElNS0_10empty_typeEbEEZZNS1_14partition_implILS5_8ELb0ES3_jPlPS6_PKS6_NS0_5tupleIJS9_S6_EEENSD_IJSA_SA_EEENS0_18inequality_wrapperIZN2at6native12_GLOBAL__N_124unique_dim_cuda_templateItEESt5tupleIJNSH_6TensorESM_SM_EERKSM_lbbbEUlllE0_EEPmJS6_EEE10hipError_tPvRmT3_T4_T5_T6_T7_T9_mT8_P12ihipStream_tbDpT10_ENKUlT_T0_E_clISt17integral_constantIbLb0EES1C_EEDaS17_S18_EUlS17_E_NS1_11comp_targetILNS1_3genE2ELNS1_11target_archE906ELNS1_3gpuE6ELNS1_3repE0EEENS1_30default_config_static_selectorELNS0_4arch9wavefront6targetE1EEEvT1_
	.p2align	8
	.type	_ZN7rocprim17ROCPRIM_400000_NS6detail17trampoline_kernelINS0_14default_configENS1_25partition_config_selectorILNS1_17partition_subalgoE8ElNS0_10empty_typeEbEEZZNS1_14partition_implILS5_8ELb0ES3_jPlPS6_PKS6_NS0_5tupleIJS9_S6_EEENSD_IJSA_SA_EEENS0_18inequality_wrapperIZN2at6native12_GLOBAL__N_124unique_dim_cuda_templateItEESt5tupleIJNSH_6TensorESM_SM_EERKSM_lbbbEUlllE0_EEPmJS6_EEE10hipError_tPvRmT3_T4_T5_T6_T7_T9_mT8_P12ihipStream_tbDpT10_ENKUlT_T0_E_clISt17integral_constantIbLb0EES1C_EEDaS17_S18_EUlS17_E_NS1_11comp_targetILNS1_3genE2ELNS1_11target_archE906ELNS1_3gpuE6ELNS1_3repE0EEENS1_30default_config_static_selectorELNS0_4arch9wavefront6targetE1EEEvT1_,@function
_ZN7rocprim17ROCPRIM_400000_NS6detail17trampoline_kernelINS0_14default_configENS1_25partition_config_selectorILNS1_17partition_subalgoE8ElNS0_10empty_typeEbEEZZNS1_14partition_implILS5_8ELb0ES3_jPlPS6_PKS6_NS0_5tupleIJS9_S6_EEENSD_IJSA_SA_EEENS0_18inequality_wrapperIZN2at6native12_GLOBAL__N_124unique_dim_cuda_templateItEESt5tupleIJNSH_6TensorESM_SM_EERKSM_lbbbEUlllE0_EEPmJS6_EEE10hipError_tPvRmT3_T4_T5_T6_T7_T9_mT8_P12ihipStream_tbDpT10_ENKUlT_T0_E_clISt17integral_constantIbLb0EES1C_EEDaS17_S18_EUlS17_E_NS1_11comp_targetILNS1_3genE2ELNS1_11target_archE906ELNS1_3gpuE6ELNS1_3repE0EEENS1_30default_config_static_selectorELNS0_4arch9wavefront6targetE1EEEvT1_: ; @_ZN7rocprim17ROCPRIM_400000_NS6detail17trampoline_kernelINS0_14default_configENS1_25partition_config_selectorILNS1_17partition_subalgoE8ElNS0_10empty_typeEbEEZZNS1_14partition_implILS5_8ELb0ES3_jPlPS6_PKS6_NS0_5tupleIJS9_S6_EEENSD_IJSA_SA_EEENS0_18inequality_wrapperIZN2at6native12_GLOBAL__N_124unique_dim_cuda_templateItEESt5tupleIJNSH_6TensorESM_SM_EERKSM_lbbbEUlllE0_EEPmJS6_EEE10hipError_tPvRmT3_T4_T5_T6_T7_T9_mT8_P12ihipStream_tbDpT10_ENKUlT_T0_E_clISt17integral_constantIbLb0EES1C_EEDaS17_S18_EUlS17_E_NS1_11comp_targetILNS1_3genE2ELNS1_11target_archE906ELNS1_3gpuE6ELNS1_3repE0EEENS1_30default_config_static_selectorELNS0_4arch9wavefront6targetE1EEEvT1_
; %bb.0:
	.section	.rodata,"a",@progbits
	.p2align	6, 0x0
	.amdhsa_kernel _ZN7rocprim17ROCPRIM_400000_NS6detail17trampoline_kernelINS0_14default_configENS1_25partition_config_selectorILNS1_17partition_subalgoE8ElNS0_10empty_typeEbEEZZNS1_14partition_implILS5_8ELb0ES3_jPlPS6_PKS6_NS0_5tupleIJS9_S6_EEENSD_IJSA_SA_EEENS0_18inequality_wrapperIZN2at6native12_GLOBAL__N_124unique_dim_cuda_templateItEESt5tupleIJNSH_6TensorESM_SM_EERKSM_lbbbEUlllE0_EEPmJS6_EEE10hipError_tPvRmT3_T4_T5_T6_T7_T9_mT8_P12ihipStream_tbDpT10_ENKUlT_T0_E_clISt17integral_constantIbLb0EES1C_EEDaS17_S18_EUlS17_E_NS1_11comp_targetILNS1_3genE2ELNS1_11target_archE906ELNS1_3gpuE6ELNS1_3repE0EEENS1_30default_config_static_selectorELNS0_4arch9wavefront6targetE1EEEvT1_
		.amdhsa_group_segment_fixed_size 0
		.amdhsa_private_segment_fixed_size 0
		.amdhsa_kernarg_size 120
		.amdhsa_user_sgpr_count 6
		.amdhsa_user_sgpr_private_segment_buffer 1
		.amdhsa_user_sgpr_dispatch_ptr 0
		.amdhsa_user_sgpr_queue_ptr 0
		.amdhsa_user_sgpr_kernarg_segment_ptr 1
		.amdhsa_user_sgpr_dispatch_id 0
		.amdhsa_user_sgpr_flat_scratch_init 0
		.amdhsa_user_sgpr_kernarg_preload_length 0
		.amdhsa_user_sgpr_kernarg_preload_offset 0
		.amdhsa_user_sgpr_private_segment_size 0
		.amdhsa_uses_dynamic_stack 0
		.amdhsa_system_sgpr_private_segment_wavefront_offset 0
		.amdhsa_system_sgpr_workgroup_id_x 1
		.amdhsa_system_sgpr_workgroup_id_y 0
		.amdhsa_system_sgpr_workgroup_id_z 0
		.amdhsa_system_sgpr_workgroup_info 0
		.amdhsa_system_vgpr_workitem_id 0
		.amdhsa_next_free_vgpr 1
		.amdhsa_next_free_sgpr 0
		.amdhsa_accum_offset 4
		.amdhsa_reserve_vcc 0
		.amdhsa_reserve_flat_scratch 0
		.amdhsa_float_round_mode_32 0
		.amdhsa_float_round_mode_16_64 0
		.amdhsa_float_denorm_mode_32 3
		.amdhsa_float_denorm_mode_16_64 3
		.amdhsa_dx10_clamp 1
		.amdhsa_ieee_mode 1
		.amdhsa_fp16_overflow 0
		.amdhsa_tg_split 0
		.amdhsa_exception_fp_ieee_invalid_op 0
		.amdhsa_exception_fp_denorm_src 0
		.amdhsa_exception_fp_ieee_div_zero 0
		.amdhsa_exception_fp_ieee_overflow 0
		.amdhsa_exception_fp_ieee_underflow 0
		.amdhsa_exception_fp_ieee_inexact 0
		.amdhsa_exception_int_div_zero 0
	.end_amdhsa_kernel
	.section	.text._ZN7rocprim17ROCPRIM_400000_NS6detail17trampoline_kernelINS0_14default_configENS1_25partition_config_selectorILNS1_17partition_subalgoE8ElNS0_10empty_typeEbEEZZNS1_14partition_implILS5_8ELb0ES3_jPlPS6_PKS6_NS0_5tupleIJS9_S6_EEENSD_IJSA_SA_EEENS0_18inequality_wrapperIZN2at6native12_GLOBAL__N_124unique_dim_cuda_templateItEESt5tupleIJNSH_6TensorESM_SM_EERKSM_lbbbEUlllE0_EEPmJS6_EEE10hipError_tPvRmT3_T4_T5_T6_T7_T9_mT8_P12ihipStream_tbDpT10_ENKUlT_T0_E_clISt17integral_constantIbLb0EES1C_EEDaS17_S18_EUlS17_E_NS1_11comp_targetILNS1_3genE2ELNS1_11target_archE906ELNS1_3gpuE6ELNS1_3repE0EEENS1_30default_config_static_selectorELNS0_4arch9wavefront6targetE1EEEvT1_,"axG",@progbits,_ZN7rocprim17ROCPRIM_400000_NS6detail17trampoline_kernelINS0_14default_configENS1_25partition_config_selectorILNS1_17partition_subalgoE8ElNS0_10empty_typeEbEEZZNS1_14partition_implILS5_8ELb0ES3_jPlPS6_PKS6_NS0_5tupleIJS9_S6_EEENSD_IJSA_SA_EEENS0_18inequality_wrapperIZN2at6native12_GLOBAL__N_124unique_dim_cuda_templateItEESt5tupleIJNSH_6TensorESM_SM_EERKSM_lbbbEUlllE0_EEPmJS6_EEE10hipError_tPvRmT3_T4_T5_T6_T7_T9_mT8_P12ihipStream_tbDpT10_ENKUlT_T0_E_clISt17integral_constantIbLb0EES1C_EEDaS17_S18_EUlS17_E_NS1_11comp_targetILNS1_3genE2ELNS1_11target_archE906ELNS1_3gpuE6ELNS1_3repE0EEENS1_30default_config_static_selectorELNS0_4arch9wavefront6targetE1EEEvT1_,comdat
.Lfunc_end1421:
	.size	_ZN7rocprim17ROCPRIM_400000_NS6detail17trampoline_kernelINS0_14default_configENS1_25partition_config_selectorILNS1_17partition_subalgoE8ElNS0_10empty_typeEbEEZZNS1_14partition_implILS5_8ELb0ES3_jPlPS6_PKS6_NS0_5tupleIJS9_S6_EEENSD_IJSA_SA_EEENS0_18inequality_wrapperIZN2at6native12_GLOBAL__N_124unique_dim_cuda_templateItEESt5tupleIJNSH_6TensorESM_SM_EERKSM_lbbbEUlllE0_EEPmJS6_EEE10hipError_tPvRmT3_T4_T5_T6_T7_T9_mT8_P12ihipStream_tbDpT10_ENKUlT_T0_E_clISt17integral_constantIbLb0EES1C_EEDaS17_S18_EUlS17_E_NS1_11comp_targetILNS1_3genE2ELNS1_11target_archE906ELNS1_3gpuE6ELNS1_3repE0EEENS1_30default_config_static_selectorELNS0_4arch9wavefront6targetE1EEEvT1_, .Lfunc_end1421-_ZN7rocprim17ROCPRIM_400000_NS6detail17trampoline_kernelINS0_14default_configENS1_25partition_config_selectorILNS1_17partition_subalgoE8ElNS0_10empty_typeEbEEZZNS1_14partition_implILS5_8ELb0ES3_jPlPS6_PKS6_NS0_5tupleIJS9_S6_EEENSD_IJSA_SA_EEENS0_18inequality_wrapperIZN2at6native12_GLOBAL__N_124unique_dim_cuda_templateItEESt5tupleIJNSH_6TensorESM_SM_EERKSM_lbbbEUlllE0_EEPmJS6_EEE10hipError_tPvRmT3_T4_T5_T6_T7_T9_mT8_P12ihipStream_tbDpT10_ENKUlT_T0_E_clISt17integral_constantIbLb0EES1C_EEDaS17_S18_EUlS17_E_NS1_11comp_targetILNS1_3genE2ELNS1_11target_archE906ELNS1_3gpuE6ELNS1_3repE0EEENS1_30default_config_static_selectorELNS0_4arch9wavefront6targetE1EEEvT1_
                                        ; -- End function
	.section	.AMDGPU.csdata,"",@progbits
; Kernel info:
; codeLenInByte = 0
; NumSgprs: 4
; NumVgprs: 0
; NumAgprs: 0
; TotalNumVgprs: 0
; ScratchSize: 0
; MemoryBound: 0
; FloatMode: 240
; IeeeMode: 1
; LDSByteSize: 0 bytes/workgroup (compile time only)
; SGPRBlocks: 0
; VGPRBlocks: 0
; NumSGPRsForWavesPerEU: 4
; NumVGPRsForWavesPerEU: 1
; AccumOffset: 4
; Occupancy: 8
; WaveLimiterHint : 0
; COMPUTE_PGM_RSRC2:SCRATCH_EN: 0
; COMPUTE_PGM_RSRC2:USER_SGPR: 6
; COMPUTE_PGM_RSRC2:TRAP_HANDLER: 0
; COMPUTE_PGM_RSRC2:TGID_X_EN: 1
; COMPUTE_PGM_RSRC2:TGID_Y_EN: 0
; COMPUTE_PGM_RSRC2:TGID_Z_EN: 0
; COMPUTE_PGM_RSRC2:TIDIG_COMP_CNT: 0
; COMPUTE_PGM_RSRC3_GFX90A:ACCUM_OFFSET: 0
; COMPUTE_PGM_RSRC3_GFX90A:TG_SPLIT: 0
	.section	.text._ZN7rocprim17ROCPRIM_400000_NS6detail17trampoline_kernelINS0_14default_configENS1_25partition_config_selectorILNS1_17partition_subalgoE8ElNS0_10empty_typeEbEEZZNS1_14partition_implILS5_8ELb0ES3_jPlPS6_PKS6_NS0_5tupleIJS9_S6_EEENSD_IJSA_SA_EEENS0_18inequality_wrapperIZN2at6native12_GLOBAL__N_124unique_dim_cuda_templateItEESt5tupleIJNSH_6TensorESM_SM_EERKSM_lbbbEUlllE0_EEPmJS6_EEE10hipError_tPvRmT3_T4_T5_T6_T7_T9_mT8_P12ihipStream_tbDpT10_ENKUlT_T0_E_clISt17integral_constantIbLb0EES1C_EEDaS17_S18_EUlS17_E_NS1_11comp_targetILNS1_3genE10ELNS1_11target_archE1200ELNS1_3gpuE4ELNS1_3repE0EEENS1_30default_config_static_selectorELNS0_4arch9wavefront6targetE1EEEvT1_,"axG",@progbits,_ZN7rocprim17ROCPRIM_400000_NS6detail17trampoline_kernelINS0_14default_configENS1_25partition_config_selectorILNS1_17partition_subalgoE8ElNS0_10empty_typeEbEEZZNS1_14partition_implILS5_8ELb0ES3_jPlPS6_PKS6_NS0_5tupleIJS9_S6_EEENSD_IJSA_SA_EEENS0_18inequality_wrapperIZN2at6native12_GLOBAL__N_124unique_dim_cuda_templateItEESt5tupleIJNSH_6TensorESM_SM_EERKSM_lbbbEUlllE0_EEPmJS6_EEE10hipError_tPvRmT3_T4_T5_T6_T7_T9_mT8_P12ihipStream_tbDpT10_ENKUlT_T0_E_clISt17integral_constantIbLb0EES1C_EEDaS17_S18_EUlS17_E_NS1_11comp_targetILNS1_3genE10ELNS1_11target_archE1200ELNS1_3gpuE4ELNS1_3repE0EEENS1_30default_config_static_selectorELNS0_4arch9wavefront6targetE1EEEvT1_,comdat
	.globl	_ZN7rocprim17ROCPRIM_400000_NS6detail17trampoline_kernelINS0_14default_configENS1_25partition_config_selectorILNS1_17partition_subalgoE8ElNS0_10empty_typeEbEEZZNS1_14partition_implILS5_8ELb0ES3_jPlPS6_PKS6_NS0_5tupleIJS9_S6_EEENSD_IJSA_SA_EEENS0_18inequality_wrapperIZN2at6native12_GLOBAL__N_124unique_dim_cuda_templateItEESt5tupleIJNSH_6TensorESM_SM_EERKSM_lbbbEUlllE0_EEPmJS6_EEE10hipError_tPvRmT3_T4_T5_T6_T7_T9_mT8_P12ihipStream_tbDpT10_ENKUlT_T0_E_clISt17integral_constantIbLb0EES1C_EEDaS17_S18_EUlS17_E_NS1_11comp_targetILNS1_3genE10ELNS1_11target_archE1200ELNS1_3gpuE4ELNS1_3repE0EEENS1_30default_config_static_selectorELNS0_4arch9wavefront6targetE1EEEvT1_ ; -- Begin function _ZN7rocprim17ROCPRIM_400000_NS6detail17trampoline_kernelINS0_14default_configENS1_25partition_config_selectorILNS1_17partition_subalgoE8ElNS0_10empty_typeEbEEZZNS1_14partition_implILS5_8ELb0ES3_jPlPS6_PKS6_NS0_5tupleIJS9_S6_EEENSD_IJSA_SA_EEENS0_18inequality_wrapperIZN2at6native12_GLOBAL__N_124unique_dim_cuda_templateItEESt5tupleIJNSH_6TensorESM_SM_EERKSM_lbbbEUlllE0_EEPmJS6_EEE10hipError_tPvRmT3_T4_T5_T6_T7_T9_mT8_P12ihipStream_tbDpT10_ENKUlT_T0_E_clISt17integral_constantIbLb0EES1C_EEDaS17_S18_EUlS17_E_NS1_11comp_targetILNS1_3genE10ELNS1_11target_archE1200ELNS1_3gpuE4ELNS1_3repE0EEENS1_30default_config_static_selectorELNS0_4arch9wavefront6targetE1EEEvT1_
	.p2align	8
	.type	_ZN7rocprim17ROCPRIM_400000_NS6detail17trampoline_kernelINS0_14default_configENS1_25partition_config_selectorILNS1_17partition_subalgoE8ElNS0_10empty_typeEbEEZZNS1_14partition_implILS5_8ELb0ES3_jPlPS6_PKS6_NS0_5tupleIJS9_S6_EEENSD_IJSA_SA_EEENS0_18inequality_wrapperIZN2at6native12_GLOBAL__N_124unique_dim_cuda_templateItEESt5tupleIJNSH_6TensorESM_SM_EERKSM_lbbbEUlllE0_EEPmJS6_EEE10hipError_tPvRmT3_T4_T5_T6_T7_T9_mT8_P12ihipStream_tbDpT10_ENKUlT_T0_E_clISt17integral_constantIbLb0EES1C_EEDaS17_S18_EUlS17_E_NS1_11comp_targetILNS1_3genE10ELNS1_11target_archE1200ELNS1_3gpuE4ELNS1_3repE0EEENS1_30default_config_static_selectorELNS0_4arch9wavefront6targetE1EEEvT1_,@function
_ZN7rocprim17ROCPRIM_400000_NS6detail17trampoline_kernelINS0_14default_configENS1_25partition_config_selectorILNS1_17partition_subalgoE8ElNS0_10empty_typeEbEEZZNS1_14partition_implILS5_8ELb0ES3_jPlPS6_PKS6_NS0_5tupleIJS9_S6_EEENSD_IJSA_SA_EEENS0_18inequality_wrapperIZN2at6native12_GLOBAL__N_124unique_dim_cuda_templateItEESt5tupleIJNSH_6TensorESM_SM_EERKSM_lbbbEUlllE0_EEPmJS6_EEE10hipError_tPvRmT3_T4_T5_T6_T7_T9_mT8_P12ihipStream_tbDpT10_ENKUlT_T0_E_clISt17integral_constantIbLb0EES1C_EEDaS17_S18_EUlS17_E_NS1_11comp_targetILNS1_3genE10ELNS1_11target_archE1200ELNS1_3gpuE4ELNS1_3repE0EEENS1_30default_config_static_selectorELNS0_4arch9wavefront6targetE1EEEvT1_: ; @_ZN7rocprim17ROCPRIM_400000_NS6detail17trampoline_kernelINS0_14default_configENS1_25partition_config_selectorILNS1_17partition_subalgoE8ElNS0_10empty_typeEbEEZZNS1_14partition_implILS5_8ELb0ES3_jPlPS6_PKS6_NS0_5tupleIJS9_S6_EEENSD_IJSA_SA_EEENS0_18inequality_wrapperIZN2at6native12_GLOBAL__N_124unique_dim_cuda_templateItEESt5tupleIJNSH_6TensorESM_SM_EERKSM_lbbbEUlllE0_EEPmJS6_EEE10hipError_tPvRmT3_T4_T5_T6_T7_T9_mT8_P12ihipStream_tbDpT10_ENKUlT_T0_E_clISt17integral_constantIbLb0EES1C_EEDaS17_S18_EUlS17_E_NS1_11comp_targetILNS1_3genE10ELNS1_11target_archE1200ELNS1_3gpuE4ELNS1_3repE0EEENS1_30default_config_static_selectorELNS0_4arch9wavefront6targetE1EEEvT1_
; %bb.0:
	.section	.rodata,"a",@progbits
	.p2align	6, 0x0
	.amdhsa_kernel _ZN7rocprim17ROCPRIM_400000_NS6detail17trampoline_kernelINS0_14default_configENS1_25partition_config_selectorILNS1_17partition_subalgoE8ElNS0_10empty_typeEbEEZZNS1_14partition_implILS5_8ELb0ES3_jPlPS6_PKS6_NS0_5tupleIJS9_S6_EEENSD_IJSA_SA_EEENS0_18inequality_wrapperIZN2at6native12_GLOBAL__N_124unique_dim_cuda_templateItEESt5tupleIJNSH_6TensorESM_SM_EERKSM_lbbbEUlllE0_EEPmJS6_EEE10hipError_tPvRmT3_T4_T5_T6_T7_T9_mT8_P12ihipStream_tbDpT10_ENKUlT_T0_E_clISt17integral_constantIbLb0EES1C_EEDaS17_S18_EUlS17_E_NS1_11comp_targetILNS1_3genE10ELNS1_11target_archE1200ELNS1_3gpuE4ELNS1_3repE0EEENS1_30default_config_static_selectorELNS0_4arch9wavefront6targetE1EEEvT1_
		.amdhsa_group_segment_fixed_size 0
		.amdhsa_private_segment_fixed_size 0
		.amdhsa_kernarg_size 120
		.amdhsa_user_sgpr_count 6
		.amdhsa_user_sgpr_private_segment_buffer 1
		.amdhsa_user_sgpr_dispatch_ptr 0
		.amdhsa_user_sgpr_queue_ptr 0
		.amdhsa_user_sgpr_kernarg_segment_ptr 1
		.amdhsa_user_sgpr_dispatch_id 0
		.amdhsa_user_sgpr_flat_scratch_init 0
		.amdhsa_user_sgpr_kernarg_preload_length 0
		.amdhsa_user_sgpr_kernarg_preload_offset 0
		.amdhsa_user_sgpr_private_segment_size 0
		.amdhsa_uses_dynamic_stack 0
		.amdhsa_system_sgpr_private_segment_wavefront_offset 0
		.amdhsa_system_sgpr_workgroup_id_x 1
		.amdhsa_system_sgpr_workgroup_id_y 0
		.amdhsa_system_sgpr_workgroup_id_z 0
		.amdhsa_system_sgpr_workgroup_info 0
		.amdhsa_system_vgpr_workitem_id 0
		.amdhsa_next_free_vgpr 1
		.amdhsa_next_free_sgpr 0
		.amdhsa_accum_offset 4
		.amdhsa_reserve_vcc 0
		.amdhsa_reserve_flat_scratch 0
		.amdhsa_float_round_mode_32 0
		.amdhsa_float_round_mode_16_64 0
		.amdhsa_float_denorm_mode_32 3
		.amdhsa_float_denorm_mode_16_64 3
		.amdhsa_dx10_clamp 1
		.amdhsa_ieee_mode 1
		.amdhsa_fp16_overflow 0
		.amdhsa_tg_split 0
		.amdhsa_exception_fp_ieee_invalid_op 0
		.amdhsa_exception_fp_denorm_src 0
		.amdhsa_exception_fp_ieee_div_zero 0
		.amdhsa_exception_fp_ieee_overflow 0
		.amdhsa_exception_fp_ieee_underflow 0
		.amdhsa_exception_fp_ieee_inexact 0
		.amdhsa_exception_int_div_zero 0
	.end_amdhsa_kernel
	.section	.text._ZN7rocprim17ROCPRIM_400000_NS6detail17trampoline_kernelINS0_14default_configENS1_25partition_config_selectorILNS1_17partition_subalgoE8ElNS0_10empty_typeEbEEZZNS1_14partition_implILS5_8ELb0ES3_jPlPS6_PKS6_NS0_5tupleIJS9_S6_EEENSD_IJSA_SA_EEENS0_18inequality_wrapperIZN2at6native12_GLOBAL__N_124unique_dim_cuda_templateItEESt5tupleIJNSH_6TensorESM_SM_EERKSM_lbbbEUlllE0_EEPmJS6_EEE10hipError_tPvRmT3_T4_T5_T6_T7_T9_mT8_P12ihipStream_tbDpT10_ENKUlT_T0_E_clISt17integral_constantIbLb0EES1C_EEDaS17_S18_EUlS17_E_NS1_11comp_targetILNS1_3genE10ELNS1_11target_archE1200ELNS1_3gpuE4ELNS1_3repE0EEENS1_30default_config_static_selectorELNS0_4arch9wavefront6targetE1EEEvT1_,"axG",@progbits,_ZN7rocprim17ROCPRIM_400000_NS6detail17trampoline_kernelINS0_14default_configENS1_25partition_config_selectorILNS1_17partition_subalgoE8ElNS0_10empty_typeEbEEZZNS1_14partition_implILS5_8ELb0ES3_jPlPS6_PKS6_NS0_5tupleIJS9_S6_EEENSD_IJSA_SA_EEENS0_18inequality_wrapperIZN2at6native12_GLOBAL__N_124unique_dim_cuda_templateItEESt5tupleIJNSH_6TensorESM_SM_EERKSM_lbbbEUlllE0_EEPmJS6_EEE10hipError_tPvRmT3_T4_T5_T6_T7_T9_mT8_P12ihipStream_tbDpT10_ENKUlT_T0_E_clISt17integral_constantIbLb0EES1C_EEDaS17_S18_EUlS17_E_NS1_11comp_targetILNS1_3genE10ELNS1_11target_archE1200ELNS1_3gpuE4ELNS1_3repE0EEENS1_30default_config_static_selectorELNS0_4arch9wavefront6targetE1EEEvT1_,comdat
.Lfunc_end1422:
	.size	_ZN7rocprim17ROCPRIM_400000_NS6detail17trampoline_kernelINS0_14default_configENS1_25partition_config_selectorILNS1_17partition_subalgoE8ElNS0_10empty_typeEbEEZZNS1_14partition_implILS5_8ELb0ES3_jPlPS6_PKS6_NS0_5tupleIJS9_S6_EEENSD_IJSA_SA_EEENS0_18inequality_wrapperIZN2at6native12_GLOBAL__N_124unique_dim_cuda_templateItEESt5tupleIJNSH_6TensorESM_SM_EERKSM_lbbbEUlllE0_EEPmJS6_EEE10hipError_tPvRmT3_T4_T5_T6_T7_T9_mT8_P12ihipStream_tbDpT10_ENKUlT_T0_E_clISt17integral_constantIbLb0EES1C_EEDaS17_S18_EUlS17_E_NS1_11comp_targetILNS1_3genE10ELNS1_11target_archE1200ELNS1_3gpuE4ELNS1_3repE0EEENS1_30default_config_static_selectorELNS0_4arch9wavefront6targetE1EEEvT1_, .Lfunc_end1422-_ZN7rocprim17ROCPRIM_400000_NS6detail17trampoline_kernelINS0_14default_configENS1_25partition_config_selectorILNS1_17partition_subalgoE8ElNS0_10empty_typeEbEEZZNS1_14partition_implILS5_8ELb0ES3_jPlPS6_PKS6_NS0_5tupleIJS9_S6_EEENSD_IJSA_SA_EEENS0_18inequality_wrapperIZN2at6native12_GLOBAL__N_124unique_dim_cuda_templateItEESt5tupleIJNSH_6TensorESM_SM_EERKSM_lbbbEUlllE0_EEPmJS6_EEE10hipError_tPvRmT3_T4_T5_T6_T7_T9_mT8_P12ihipStream_tbDpT10_ENKUlT_T0_E_clISt17integral_constantIbLb0EES1C_EEDaS17_S18_EUlS17_E_NS1_11comp_targetILNS1_3genE10ELNS1_11target_archE1200ELNS1_3gpuE4ELNS1_3repE0EEENS1_30default_config_static_selectorELNS0_4arch9wavefront6targetE1EEEvT1_
                                        ; -- End function
	.section	.AMDGPU.csdata,"",@progbits
; Kernel info:
; codeLenInByte = 0
; NumSgprs: 4
; NumVgprs: 0
; NumAgprs: 0
; TotalNumVgprs: 0
; ScratchSize: 0
; MemoryBound: 0
; FloatMode: 240
; IeeeMode: 1
; LDSByteSize: 0 bytes/workgroup (compile time only)
; SGPRBlocks: 0
; VGPRBlocks: 0
; NumSGPRsForWavesPerEU: 4
; NumVGPRsForWavesPerEU: 1
; AccumOffset: 4
; Occupancy: 8
; WaveLimiterHint : 0
; COMPUTE_PGM_RSRC2:SCRATCH_EN: 0
; COMPUTE_PGM_RSRC2:USER_SGPR: 6
; COMPUTE_PGM_RSRC2:TRAP_HANDLER: 0
; COMPUTE_PGM_RSRC2:TGID_X_EN: 1
; COMPUTE_PGM_RSRC2:TGID_Y_EN: 0
; COMPUTE_PGM_RSRC2:TGID_Z_EN: 0
; COMPUTE_PGM_RSRC2:TIDIG_COMP_CNT: 0
; COMPUTE_PGM_RSRC3_GFX90A:ACCUM_OFFSET: 0
; COMPUTE_PGM_RSRC3_GFX90A:TG_SPLIT: 0
	.section	.text._ZN7rocprim17ROCPRIM_400000_NS6detail17trampoline_kernelINS0_14default_configENS1_25partition_config_selectorILNS1_17partition_subalgoE8ElNS0_10empty_typeEbEEZZNS1_14partition_implILS5_8ELb0ES3_jPlPS6_PKS6_NS0_5tupleIJS9_S6_EEENSD_IJSA_SA_EEENS0_18inequality_wrapperIZN2at6native12_GLOBAL__N_124unique_dim_cuda_templateItEESt5tupleIJNSH_6TensorESM_SM_EERKSM_lbbbEUlllE0_EEPmJS6_EEE10hipError_tPvRmT3_T4_T5_T6_T7_T9_mT8_P12ihipStream_tbDpT10_ENKUlT_T0_E_clISt17integral_constantIbLb0EES1C_EEDaS17_S18_EUlS17_E_NS1_11comp_targetILNS1_3genE9ELNS1_11target_archE1100ELNS1_3gpuE3ELNS1_3repE0EEENS1_30default_config_static_selectorELNS0_4arch9wavefront6targetE1EEEvT1_,"axG",@progbits,_ZN7rocprim17ROCPRIM_400000_NS6detail17trampoline_kernelINS0_14default_configENS1_25partition_config_selectorILNS1_17partition_subalgoE8ElNS0_10empty_typeEbEEZZNS1_14partition_implILS5_8ELb0ES3_jPlPS6_PKS6_NS0_5tupleIJS9_S6_EEENSD_IJSA_SA_EEENS0_18inequality_wrapperIZN2at6native12_GLOBAL__N_124unique_dim_cuda_templateItEESt5tupleIJNSH_6TensorESM_SM_EERKSM_lbbbEUlllE0_EEPmJS6_EEE10hipError_tPvRmT3_T4_T5_T6_T7_T9_mT8_P12ihipStream_tbDpT10_ENKUlT_T0_E_clISt17integral_constantIbLb0EES1C_EEDaS17_S18_EUlS17_E_NS1_11comp_targetILNS1_3genE9ELNS1_11target_archE1100ELNS1_3gpuE3ELNS1_3repE0EEENS1_30default_config_static_selectorELNS0_4arch9wavefront6targetE1EEEvT1_,comdat
	.globl	_ZN7rocprim17ROCPRIM_400000_NS6detail17trampoline_kernelINS0_14default_configENS1_25partition_config_selectorILNS1_17partition_subalgoE8ElNS0_10empty_typeEbEEZZNS1_14partition_implILS5_8ELb0ES3_jPlPS6_PKS6_NS0_5tupleIJS9_S6_EEENSD_IJSA_SA_EEENS0_18inequality_wrapperIZN2at6native12_GLOBAL__N_124unique_dim_cuda_templateItEESt5tupleIJNSH_6TensorESM_SM_EERKSM_lbbbEUlllE0_EEPmJS6_EEE10hipError_tPvRmT3_T4_T5_T6_T7_T9_mT8_P12ihipStream_tbDpT10_ENKUlT_T0_E_clISt17integral_constantIbLb0EES1C_EEDaS17_S18_EUlS17_E_NS1_11comp_targetILNS1_3genE9ELNS1_11target_archE1100ELNS1_3gpuE3ELNS1_3repE0EEENS1_30default_config_static_selectorELNS0_4arch9wavefront6targetE1EEEvT1_ ; -- Begin function _ZN7rocprim17ROCPRIM_400000_NS6detail17trampoline_kernelINS0_14default_configENS1_25partition_config_selectorILNS1_17partition_subalgoE8ElNS0_10empty_typeEbEEZZNS1_14partition_implILS5_8ELb0ES3_jPlPS6_PKS6_NS0_5tupleIJS9_S6_EEENSD_IJSA_SA_EEENS0_18inequality_wrapperIZN2at6native12_GLOBAL__N_124unique_dim_cuda_templateItEESt5tupleIJNSH_6TensorESM_SM_EERKSM_lbbbEUlllE0_EEPmJS6_EEE10hipError_tPvRmT3_T4_T5_T6_T7_T9_mT8_P12ihipStream_tbDpT10_ENKUlT_T0_E_clISt17integral_constantIbLb0EES1C_EEDaS17_S18_EUlS17_E_NS1_11comp_targetILNS1_3genE9ELNS1_11target_archE1100ELNS1_3gpuE3ELNS1_3repE0EEENS1_30default_config_static_selectorELNS0_4arch9wavefront6targetE1EEEvT1_
	.p2align	8
	.type	_ZN7rocprim17ROCPRIM_400000_NS6detail17trampoline_kernelINS0_14default_configENS1_25partition_config_selectorILNS1_17partition_subalgoE8ElNS0_10empty_typeEbEEZZNS1_14partition_implILS5_8ELb0ES3_jPlPS6_PKS6_NS0_5tupleIJS9_S6_EEENSD_IJSA_SA_EEENS0_18inequality_wrapperIZN2at6native12_GLOBAL__N_124unique_dim_cuda_templateItEESt5tupleIJNSH_6TensorESM_SM_EERKSM_lbbbEUlllE0_EEPmJS6_EEE10hipError_tPvRmT3_T4_T5_T6_T7_T9_mT8_P12ihipStream_tbDpT10_ENKUlT_T0_E_clISt17integral_constantIbLb0EES1C_EEDaS17_S18_EUlS17_E_NS1_11comp_targetILNS1_3genE9ELNS1_11target_archE1100ELNS1_3gpuE3ELNS1_3repE0EEENS1_30default_config_static_selectorELNS0_4arch9wavefront6targetE1EEEvT1_,@function
_ZN7rocprim17ROCPRIM_400000_NS6detail17trampoline_kernelINS0_14default_configENS1_25partition_config_selectorILNS1_17partition_subalgoE8ElNS0_10empty_typeEbEEZZNS1_14partition_implILS5_8ELb0ES3_jPlPS6_PKS6_NS0_5tupleIJS9_S6_EEENSD_IJSA_SA_EEENS0_18inequality_wrapperIZN2at6native12_GLOBAL__N_124unique_dim_cuda_templateItEESt5tupleIJNSH_6TensorESM_SM_EERKSM_lbbbEUlllE0_EEPmJS6_EEE10hipError_tPvRmT3_T4_T5_T6_T7_T9_mT8_P12ihipStream_tbDpT10_ENKUlT_T0_E_clISt17integral_constantIbLb0EES1C_EEDaS17_S18_EUlS17_E_NS1_11comp_targetILNS1_3genE9ELNS1_11target_archE1100ELNS1_3gpuE3ELNS1_3repE0EEENS1_30default_config_static_selectorELNS0_4arch9wavefront6targetE1EEEvT1_: ; @_ZN7rocprim17ROCPRIM_400000_NS6detail17trampoline_kernelINS0_14default_configENS1_25partition_config_selectorILNS1_17partition_subalgoE8ElNS0_10empty_typeEbEEZZNS1_14partition_implILS5_8ELb0ES3_jPlPS6_PKS6_NS0_5tupleIJS9_S6_EEENSD_IJSA_SA_EEENS0_18inequality_wrapperIZN2at6native12_GLOBAL__N_124unique_dim_cuda_templateItEESt5tupleIJNSH_6TensorESM_SM_EERKSM_lbbbEUlllE0_EEPmJS6_EEE10hipError_tPvRmT3_T4_T5_T6_T7_T9_mT8_P12ihipStream_tbDpT10_ENKUlT_T0_E_clISt17integral_constantIbLb0EES1C_EEDaS17_S18_EUlS17_E_NS1_11comp_targetILNS1_3genE9ELNS1_11target_archE1100ELNS1_3gpuE3ELNS1_3repE0EEENS1_30default_config_static_selectorELNS0_4arch9wavefront6targetE1EEEvT1_
; %bb.0:
	.section	.rodata,"a",@progbits
	.p2align	6, 0x0
	.amdhsa_kernel _ZN7rocprim17ROCPRIM_400000_NS6detail17trampoline_kernelINS0_14default_configENS1_25partition_config_selectorILNS1_17partition_subalgoE8ElNS0_10empty_typeEbEEZZNS1_14partition_implILS5_8ELb0ES3_jPlPS6_PKS6_NS0_5tupleIJS9_S6_EEENSD_IJSA_SA_EEENS0_18inequality_wrapperIZN2at6native12_GLOBAL__N_124unique_dim_cuda_templateItEESt5tupleIJNSH_6TensorESM_SM_EERKSM_lbbbEUlllE0_EEPmJS6_EEE10hipError_tPvRmT3_T4_T5_T6_T7_T9_mT8_P12ihipStream_tbDpT10_ENKUlT_T0_E_clISt17integral_constantIbLb0EES1C_EEDaS17_S18_EUlS17_E_NS1_11comp_targetILNS1_3genE9ELNS1_11target_archE1100ELNS1_3gpuE3ELNS1_3repE0EEENS1_30default_config_static_selectorELNS0_4arch9wavefront6targetE1EEEvT1_
		.amdhsa_group_segment_fixed_size 0
		.amdhsa_private_segment_fixed_size 0
		.amdhsa_kernarg_size 120
		.amdhsa_user_sgpr_count 6
		.amdhsa_user_sgpr_private_segment_buffer 1
		.amdhsa_user_sgpr_dispatch_ptr 0
		.amdhsa_user_sgpr_queue_ptr 0
		.amdhsa_user_sgpr_kernarg_segment_ptr 1
		.amdhsa_user_sgpr_dispatch_id 0
		.amdhsa_user_sgpr_flat_scratch_init 0
		.amdhsa_user_sgpr_kernarg_preload_length 0
		.amdhsa_user_sgpr_kernarg_preload_offset 0
		.amdhsa_user_sgpr_private_segment_size 0
		.amdhsa_uses_dynamic_stack 0
		.amdhsa_system_sgpr_private_segment_wavefront_offset 0
		.amdhsa_system_sgpr_workgroup_id_x 1
		.amdhsa_system_sgpr_workgroup_id_y 0
		.amdhsa_system_sgpr_workgroup_id_z 0
		.amdhsa_system_sgpr_workgroup_info 0
		.amdhsa_system_vgpr_workitem_id 0
		.amdhsa_next_free_vgpr 1
		.amdhsa_next_free_sgpr 0
		.amdhsa_accum_offset 4
		.amdhsa_reserve_vcc 0
		.amdhsa_reserve_flat_scratch 0
		.amdhsa_float_round_mode_32 0
		.amdhsa_float_round_mode_16_64 0
		.amdhsa_float_denorm_mode_32 3
		.amdhsa_float_denorm_mode_16_64 3
		.amdhsa_dx10_clamp 1
		.amdhsa_ieee_mode 1
		.amdhsa_fp16_overflow 0
		.amdhsa_tg_split 0
		.amdhsa_exception_fp_ieee_invalid_op 0
		.amdhsa_exception_fp_denorm_src 0
		.amdhsa_exception_fp_ieee_div_zero 0
		.amdhsa_exception_fp_ieee_overflow 0
		.amdhsa_exception_fp_ieee_underflow 0
		.amdhsa_exception_fp_ieee_inexact 0
		.amdhsa_exception_int_div_zero 0
	.end_amdhsa_kernel
	.section	.text._ZN7rocprim17ROCPRIM_400000_NS6detail17trampoline_kernelINS0_14default_configENS1_25partition_config_selectorILNS1_17partition_subalgoE8ElNS0_10empty_typeEbEEZZNS1_14partition_implILS5_8ELb0ES3_jPlPS6_PKS6_NS0_5tupleIJS9_S6_EEENSD_IJSA_SA_EEENS0_18inequality_wrapperIZN2at6native12_GLOBAL__N_124unique_dim_cuda_templateItEESt5tupleIJNSH_6TensorESM_SM_EERKSM_lbbbEUlllE0_EEPmJS6_EEE10hipError_tPvRmT3_T4_T5_T6_T7_T9_mT8_P12ihipStream_tbDpT10_ENKUlT_T0_E_clISt17integral_constantIbLb0EES1C_EEDaS17_S18_EUlS17_E_NS1_11comp_targetILNS1_3genE9ELNS1_11target_archE1100ELNS1_3gpuE3ELNS1_3repE0EEENS1_30default_config_static_selectorELNS0_4arch9wavefront6targetE1EEEvT1_,"axG",@progbits,_ZN7rocprim17ROCPRIM_400000_NS6detail17trampoline_kernelINS0_14default_configENS1_25partition_config_selectorILNS1_17partition_subalgoE8ElNS0_10empty_typeEbEEZZNS1_14partition_implILS5_8ELb0ES3_jPlPS6_PKS6_NS0_5tupleIJS9_S6_EEENSD_IJSA_SA_EEENS0_18inequality_wrapperIZN2at6native12_GLOBAL__N_124unique_dim_cuda_templateItEESt5tupleIJNSH_6TensorESM_SM_EERKSM_lbbbEUlllE0_EEPmJS6_EEE10hipError_tPvRmT3_T4_T5_T6_T7_T9_mT8_P12ihipStream_tbDpT10_ENKUlT_T0_E_clISt17integral_constantIbLb0EES1C_EEDaS17_S18_EUlS17_E_NS1_11comp_targetILNS1_3genE9ELNS1_11target_archE1100ELNS1_3gpuE3ELNS1_3repE0EEENS1_30default_config_static_selectorELNS0_4arch9wavefront6targetE1EEEvT1_,comdat
.Lfunc_end1423:
	.size	_ZN7rocprim17ROCPRIM_400000_NS6detail17trampoline_kernelINS0_14default_configENS1_25partition_config_selectorILNS1_17partition_subalgoE8ElNS0_10empty_typeEbEEZZNS1_14partition_implILS5_8ELb0ES3_jPlPS6_PKS6_NS0_5tupleIJS9_S6_EEENSD_IJSA_SA_EEENS0_18inequality_wrapperIZN2at6native12_GLOBAL__N_124unique_dim_cuda_templateItEESt5tupleIJNSH_6TensorESM_SM_EERKSM_lbbbEUlllE0_EEPmJS6_EEE10hipError_tPvRmT3_T4_T5_T6_T7_T9_mT8_P12ihipStream_tbDpT10_ENKUlT_T0_E_clISt17integral_constantIbLb0EES1C_EEDaS17_S18_EUlS17_E_NS1_11comp_targetILNS1_3genE9ELNS1_11target_archE1100ELNS1_3gpuE3ELNS1_3repE0EEENS1_30default_config_static_selectorELNS0_4arch9wavefront6targetE1EEEvT1_, .Lfunc_end1423-_ZN7rocprim17ROCPRIM_400000_NS6detail17trampoline_kernelINS0_14default_configENS1_25partition_config_selectorILNS1_17partition_subalgoE8ElNS0_10empty_typeEbEEZZNS1_14partition_implILS5_8ELb0ES3_jPlPS6_PKS6_NS0_5tupleIJS9_S6_EEENSD_IJSA_SA_EEENS0_18inequality_wrapperIZN2at6native12_GLOBAL__N_124unique_dim_cuda_templateItEESt5tupleIJNSH_6TensorESM_SM_EERKSM_lbbbEUlllE0_EEPmJS6_EEE10hipError_tPvRmT3_T4_T5_T6_T7_T9_mT8_P12ihipStream_tbDpT10_ENKUlT_T0_E_clISt17integral_constantIbLb0EES1C_EEDaS17_S18_EUlS17_E_NS1_11comp_targetILNS1_3genE9ELNS1_11target_archE1100ELNS1_3gpuE3ELNS1_3repE0EEENS1_30default_config_static_selectorELNS0_4arch9wavefront6targetE1EEEvT1_
                                        ; -- End function
	.section	.AMDGPU.csdata,"",@progbits
; Kernel info:
; codeLenInByte = 0
; NumSgprs: 4
; NumVgprs: 0
; NumAgprs: 0
; TotalNumVgprs: 0
; ScratchSize: 0
; MemoryBound: 0
; FloatMode: 240
; IeeeMode: 1
; LDSByteSize: 0 bytes/workgroup (compile time only)
; SGPRBlocks: 0
; VGPRBlocks: 0
; NumSGPRsForWavesPerEU: 4
; NumVGPRsForWavesPerEU: 1
; AccumOffset: 4
; Occupancy: 8
; WaveLimiterHint : 0
; COMPUTE_PGM_RSRC2:SCRATCH_EN: 0
; COMPUTE_PGM_RSRC2:USER_SGPR: 6
; COMPUTE_PGM_RSRC2:TRAP_HANDLER: 0
; COMPUTE_PGM_RSRC2:TGID_X_EN: 1
; COMPUTE_PGM_RSRC2:TGID_Y_EN: 0
; COMPUTE_PGM_RSRC2:TGID_Z_EN: 0
; COMPUTE_PGM_RSRC2:TIDIG_COMP_CNT: 0
; COMPUTE_PGM_RSRC3_GFX90A:ACCUM_OFFSET: 0
; COMPUTE_PGM_RSRC3_GFX90A:TG_SPLIT: 0
	.section	.text._ZN7rocprim17ROCPRIM_400000_NS6detail17trampoline_kernelINS0_14default_configENS1_25partition_config_selectorILNS1_17partition_subalgoE8ElNS0_10empty_typeEbEEZZNS1_14partition_implILS5_8ELb0ES3_jPlPS6_PKS6_NS0_5tupleIJS9_S6_EEENSD_IJSA_SA_EEENS0_18inequality_wrapperIZN2at6native12_GLOBAL__N_124unique_dim_cuda_templateItEESt5tupleIJNSH_6TensorESM_SM_EERKSM_lbbbEUlllE0_EEPmJS6_EEE10hipError_tPvRmT3_T4_T5_T6_T7_T9_mT8_P12ihipStream_tbDpT10_ENKUlT_T0_E_clISt17integral_constantIbLb0EES1C_EEDaS17_S18_EUlS17_E_NS1_11comp_targetILNS1_3genE8ELNS1_11target_archE1030ELNS1_3gpuE2ELNS1_3repE0EEENS1_30default_config_static_selectorELNS0_4arch9wavefront6targetE1EEEvT1_,"axG",@progbits,_ZN7rocprim17ROCPRIM_400000_NS6detail17trampoline_kernelINS0_14default_configENS1_25partition_config_selectorILNS1_17partition_subalgoE8ElNS0_10empty_typeEbEEZZNS1_14partition_implILS5_8ELb0ES3_jPlPS6_PKS6_NS0_5tupleIJS9_S6_EEENSD_IJSA_SA_EEENS0_18inequality_wrapperIZN2at6native12_GLOBAL__N_124unique_dim_cuda_templateItEESt5tupleIJNSH_6TensorESM_SM_EERKSM_lbbbEUlllE0_EEPmJS6_EEE10hipError_tPvRmT3_T4_T5_T6_T7_T9_mT8_P12ihipStream_tbDpT10_ENKUlT_T0_E_clISt17integral_constantIbLb0EES1C_EEDaS17_S18_EUlS17_E_NS1_11comp_targetILNS1_3genE8ELNS1_11target_archE1030ELNS1_3gpuE2ELNS1_3repE0EEENS1_30default_config_static_selectorELNS0_4arch9wavefront6targetE1EEEvT1_,comdat
	.globl	_ZN7rocprim17ROCPRIM_400000_NS6detail17trampoline_kernelINS0_14default_configENS1_25partition_config_selectorILNS1_17partition_subalgoE8ElNS0_10empty_typeEbEEZZNS1_14partition_implILS5_8ELb0ES3_jPlPS6_PKS6_NS0_5tupleIJS9_S6_EEENSD_IJSA_SA_EEENS0_18inequality_wrapperIZN2at6native12_GLOBAL__N_124unique_dim_cuda_templateItEESt5tupleIJNSH_6TensorESM_SM_EERKSM_lbbbEUlllE0_EEPmJS6_EEE10hipError_tPvRmT3_T4_T5_T6_T7_T9_mT8_P12ihipStream_tbDpT10_ENKUlT_T0_E_clISt17integral_constantIbLb0EES1C_EEDaS17_S18_EUlS17_E_NS1_11comp_targetILNS1_3genE8ELNS1_11target_archE1030ELNS1_3gpuE2ELNS1_3repE0EEENS1_30default_config_static_selectorELNS0_4arch9wavefront6targetE1EEEvT1_ ; -- Begin function _ZN7rocprim17ROCPRIM_400000_NS6detail17trampoline_kernelINS0_14default_configENS1_25partition_config_selectorILNS1_17partition_subalgoE8ElNS0_10empty_typeEbEEZZNS1_14partition_implILS5_8ELb0ES3_jPlPS6_PKS6_NS0_5tupleIJS9_S6_EEENSD_IJSA_SA_EEENS0_18inequality_wrapperIZN2at6native12_GLOBAL__N_124unique_dim_cuda_templateItEESt5tupleIJNSH_6TensorESM_SM_EERKSM_lbbbEUlllE0_EEPmJS6_EEE10hipError_tPvRmT3_T4_T5_T6_T7_T9_mT8_P12ihipStream_tbDpT10_ENKUlT_T0_E_clISt17integral_constantIbLb0EES1C_EEDaS17_S18_EUlS17_E_NS1_11comp_targetILNS1_3genE8ELNS1_11target_archE1030ELNS1_3gpuE2ELNS1_3repE0EEENS1_30default_config_static_selectorELNS0_4arch9wavefront6targetE1EEEvT1_
	.p2align	8
	.type	_ZN7rocprim17ROCPRIM_400000_NS6detail17trampoline_kernelINS0_14default_configENS1_25partition_config_selectorILNS1_17partition_subalgoE8ElNS0_10empty_typeEbEEZZNS1_14partition_implILS5_8ELb0ES3_jPlPS6_PKS6_NS0_5tupleIJS9_S6_EEENSD_IJSA_SA_EEENS0_18inequality_wrapperIZN2at6native12_GLOBAL__N_124unique_dim_cuda_templateItEESt5tupleIJNSH_6TensorESM_SM_EERKSM_lbbbEUlllE0_EEPmJS6_EEE10hipError_tPvRmT3_T4_T5_T6_T7_T9_mT8_P12ihipStream_tbDpT10_ENKUlT_T0_E_clISt17integral_constantIbLb0EES1C_EEDaS17_S18_EUlS17_E_NS1_11comp_targetILNS1_3genE8ELNS1_11target_archE1030ELNS1_3gpuE2ELNS1_3repE0EEENS1_30default_config_static_selectorELNS0_4arch9wavefront6targetE1EEEvT1_,@function
_ZN7rocprim17ROCPRIM_400000_NS6detail17trampoline_kernelINS0_14default_configENS1_25partition_config_selectorILNS1_17partition_subalgoE8ElNS0_10empty_typeEbEEZZNS1_14partition_implILS5_8ELb0ES3_jPlPS6_PKS6_NS0_5tupleIJS9_S6_EEENSD_IJSA_SA_EEENS0_18inequality_wrapperIZN2at6native12_GLOBAL__N_124unique_dim_cuda_templateItEESt5tupleIJNSH_6TensorESM_SM_EERKSM_lbbbEUlllE0_EEPmJS6_EEE10hipError_tPvRmT3_T4_T5_T6_T7_T9_mT8_P12ihipStream_tbDpT10_ENKUlT_T0_E_clISt17integral_constantIbLb0EES1C_EEDaS17_S18_EUlS17_E_NS1_11comp_targetILNS1_3genE8ELNS1_11target_archE1030ELNS1_3gpuE2ELNS1_3repE0EEENS1_30default_config_static_selectorELNS0_4arch9wavefront6targetE1EEEvT1_: ; @_ZN7rocprim17ROCPRIM_400000_NS6detail17trampoline_kernelINS0_14default_configENS1_25partition_config_selectorILNS1_17partition_subalgoE8ElNS0_10empty_typeEbEEZZNS1_14partition_implILS5_8ELb0ES3_jPlPS6_PKS6_NS0_5tupleIJS9_S6_EEENSD_IJSA_SA_EEENS0_18inequality_wrapperIZN2at6native12_GLOBAL__N_124unique_dim_cuda_templateItEESt5tupleIJNSH_6TensorESM_SM_EERKSM_lbbbEUlllE0_EEPmJS6_EEE10hipError_tPvRmT3_T4_T5_T6_T7_T9_mT8_P12ihipStream_tbDpT10_ENKUlT_T0_E_clISt17integral_constantIbLb0EES1C_EEDaS17_S18_EUlS17_E_NS1_11comp_targetILNS1_3genE8ELNS1_11target_archE1030ELNS1_3gpuE2ELNS1_3repE0EEENS1_30default_config_static_selectorELNS0_4arch9wavefront6targetE1EEEvT1_
; %bb.0:
	.section	.rodata,"a",@progbits
	.p2align	6, 0x0
	.amdhsa_kernel _ZN7rocprim17ROCPRIM_400000_NS6detail17trampoline_kernelINS0_14default_configENS1_25partition_config_selectorILNS1_17partition_subalgoE8ElNS0_10empty_typeEbEEZZNS1_14partition_implILS5_8ELb0ES3_jPlPS6_PKS6_NS0_5tupleIJS9_S6_EEENSD_IJSA_SA_EEENS0_18inequality_wrapperIZN2at6native12_GLOBAL__N_124unique_dim_cuda_templateItEESt5tupleIJNSH_6TensorESM_SM_EERKSM_lbbbEUlllE0_EEPmJS6_EEE10hipError_tPvRmT3_T4_T5_T6_T7_T9_mT8_P12ihipStream_tbDpT10_ENKUlT_T0_E_clISt17integral_constantIbLb0EES1C_EEDaS17_S18_EUlS17_E_NS1_11comp_targetILNS1_3genE8ELNS1_11target_archE1030ELNS1_3gpuE2ELNS1_3repE0EEENS1_30default_config_static_selectorELNS0_4arch9wavefront6targetE1EEEvT1_
		.amdhsa_group_segment_fixed_size 0
		.amdhsa_private_segment_fixed_size 0
		.amdhsa_kernarg_size 120
		.amdhsa_user_sgpr_count 6
		.amdhsa_user_sgpr_private_segment_buffer 1
		.amdhsa_user_sgpr_dispatch_ptr 0
		.amdhsa_user_sgpr_queue_ptr 0
		.amdhsa_user_sgpr_kernarg_segment_ptr 1
		.amdhsa_user_sgpr_dispatch_id 0
		.amdhsa_user_sgpr_flat_scratch_init 0
		.amdhsa_user_sgpr_kernarg_preload_length 0
		.amdhsa_user_sgpr_kernarg_preload_offset 0
		.amdhsa_user_sgpr_private_segment_size 0
		.amdhsa_uses_dynamic_stack 0
		.amdhsa_system_sgpr_private_segment_wavefront_offset 0
		.amdhsa_system_sgpr_workgroup_id_x 1
		.amdhsa_system_sgpr_workgroup_id_y 0
		.amdhsa_system_sgpr_workgroup_id_z 0
		.amdhsa_system_sgpr_workgroup_info 0
		.amdhsa_system_vgpr_workitem_id 0
		.amdhsa_next_free_vgpr 1
		.amdhsa_next_free_sgpr 0
		.amdhsa_accum_offset 4
		.amdhsa_reserve_vcc 0
		.amdhsa_reserve_flat_scratch 0
		.amdhsa_float_round_mode_32 0
		.amdhsa_float_round_mode_16_64 0
		.amdhsa_float_denorm_mode_32 3
		.amdhsa_float_denorm_mode_16_64 3
		.amdhsa_dx10_clamp 1
		.amdhsa_ieee_mode 1
		.amdhsa_fp16_overflow 0
		.amdhsa_tg_split 0
		.amdhsa_exception_fp_ieee_invalid_op 0
		.amdhsa_exception_fp_denorm_src 0
		.amdhsa_exception_fp_ieee_div_zero 0
		.amdhsa_exception_fp_ieee_overflow 0
		.amdhsa_exception_fp_ieee_underflow 0
		.amdhsa_exception_fp_ieee_inexact 0
		.amdhsa_exception_int_div_zero 0
	.end_amdhsa_kernel
	.section	.text._ZN7rocprim17ROCPRIM_400000_NS6detail17trampoline_kernelINS0_14default_configENS1_25partition_config_selectorILNS1_17partition_subalgoE8ElNS0_10empty_typeEbEEZZNS1_14partition_implILS5_8ELb0ES3_jPlPS6_PKS6_NS0_5tupleIJS9_S6_EEENSD_IJSA_SA_EEENS0_18inequality_wrapperIZN2at6native12_GLOBAL__N_124unique_dim_cuda_templateItEESt5tupleIJNSH_6TensorESM_SM_EERKSM_lbbbEUlllE0_EEPmJS6_EEE10hipError_tPvRmT3_T4_T5_T6_T7_T9_mT8_P12ihipStream_tbDpT10_ENKUlT_T0_E_clISt17integral_constantIbLb0EES1C_EEDaS17_S18_EUlS17_E_NS1_11comp_targetILNS1_3genE8ELNS1_11target_archE1030ELNS1_3gpuE2ELNS1_3repE0EEENS1_30default_config_static_selectorELNS0_4arch9wavefront6targetE1EEEvT1_,"axG",@progbits,_ZN7rocprim17ROCPRIM_400000_NS6detail17trampoline_kernelINS0_14default_configENS1_25partition_config_selectorILNS1_17partition_subalgoE8ElNS0_10empty_typeEbEEZZNS1_14partition_implILS5_8ELb0ES3_jPlPS6_PKS6_NS0_5tupleIJS9_S6_EEENSD_IJSA_SA_EEENS0_18inequality_wrapperIZN2at6native12_GLOBAL__N_124unique_dim_cuda_templateItEESt5tupleIJNSH_6TensorESM_SM_EERKSM_lbbbEUlllE0_EEPmJS6_EEE10hipError_tPvRmT3_T4_T5_T6_T7_T9_mT8_P12ihipStream_tbDpT10_ENKUlT_T0_E_clISt17integral_constantIbLb0EES1C_EEDaS17_S18_EUlS17_E_NS1_11comp_targetILNS1_3genE8ELNS1_11target_archE1030ELNS1_3gpuE2ELNS1_3repE0EEENS1_30default_config_static_selectorELNS0_4arch9wavefront6targetE1EEEvT1_,comdat
.Lfunc_end1424:
	.size	_ZN7rocprim17ROCPRIM_400000_NS6detail17trampoline_kernelINS0_14default_configENS1_25partition_config_selectorILNS1_17partition_subalgoE8ElNS0_10empty_typeEbEEZZNS1_14partition_implILS5_8ELb0ES3_jPlPS6_PKS6_NS0_5tupleIJS9_S6_EEENSD_IJSA_SA_EEENS0_18inequality_wrapperIZN2at6native12_GLOBAL__N_124unique_dim_cuda_templateItEESt5tupleIJNSH_6TensorESM_SM_EERKSM_lbbbEUlllE0_EEPmJS6_EEE10hipError_tPvRmT3_T4_T5_T6_T7_T9_mT8_P12ihipStream_tbDpT10_ENKUlT_T0_E_clISt17integral_constantIbLb0EES1C_EEDaS17_S18_EUlS17_E_NS1_11comp_targetILNS1_3genE8ELNS1_11target_archE1030ELNS1_3gpuE2ELNS1_3repE0EEENS1_30default_config_static_selectorELNS0_4arch9wavefront6targetE1EEEvT1_, .Lfunc_end1424-_ZN7rocprim17ROCPRIM_400000_NS6detail17trampoline_kernelINS0_14default_configENS1_25partition_config_selectorILNS1_17partition_subalgoE8ElNS0_10empty_typeEbEEZZNS1_14partition_implILS5_8ELb0ES3_jPlPS6_PKS6_NS0_5tupleIJS9_S6_EEENSD_IJSA_SA_EEENS0_18inequality_wrapperIZN2at6native12_GLOBAL__N_124unique_dim_cuda_templateItEESt5tupleIJNSH_6TensorESM_SM_EERKSM_lbbbEUlllE0_EEPmJS6_EEE10hipError_tPvRmT3_T4_T5_T6_T7_T9_mT8_P12ihipStream_tbDpT10_ENKUlT_T0_E_clISt17integral_constantIbLb0EES1C_EEDaS17_S18_EUlS17_E_NS1_11comp_targetILNS1_3genE8ELNS1_11target_archE1030ELNS1_3gpuE2ELNS1_3repE0EEENS1_30default_config_static_selectorELNS0_4arch9wavefront6targetE1EEEvT1_
                                        ; -- End function
	.section	.AMDGPU.csdata,"",@progbits
; Kernel info:
; codeLenInByte = 0
; NumSgprs: 4
; NumVgprs: 0
; NumAgprs: 0
; TotalNumVgprs: 0
; ScratchSize: 0
; MemoryBound: 0
; FloatMode: 240
; IeeeMode: 1
; LDSByteSize: 0 bytes/workgroup (compile time only)
; SGPRBlocks: 0
; VGPRBlocks: 0
; NumSGPRsForWavesPerEU: 4
; NumVGPRsForWavesPerEU: 1
; AccumOffset: 4
; Occupancy: 8
; WaveLimiterHint : 0
; COMPUTE_PGM_RSRC2:SCRATCH_EN: 0
; COMPUTE_PGM_RSRC2:USER_SGPR: 6
; COMPUTE_PGM_RSRC2:TRAP_HANDLER: 0
; COMPUTE_PGM_RSRC2:TGID_X_EN: 1
; COMPUTE_PGM_RSRC2:TGID_Y_EN: 0
; COMPUTE_PGM_RSRC2:TGID_Z_EN: 0
; COMPUTE_PGM_RSRC2:TIDIG_COMP_CNT: 0
; COMPUTE_PGM_RSRC3_GFX90A:ACCUM_OFFSET: 0
; COMPUTE_PGM_RSRC3_GFX90A:TG_SPLIT: 0
	.section	.text._ZN7rocprim17ROCPRIM_400000_NS6detail17trampoline_kernelINS0_14default_configENS1_25partition_config_selectorILNS1_17partition_subalgoE8ElNS0_10empty_typeEbEEZZNS1_14partition_implILS5_8ELb0ES3_jPlPS6_PKS6_NS0_5tupleIJS9_S6_EEENSD_IJSA_SA_EEENS0_18inequality_wrapperIZN2at6native12_GLOBAL__N_124unique_dim_cuda_templateItEESt5tupleIJNSH_6TensorESM_SM_EERKSM_lbbbEUlllE0_EEPmJS6_EEE10hipError_tPvRmT3_T4_T5_T6_T7_T9_mT8_P12ihipStream_tbDpT10_ENKUlT_T0_E_clISt17integral_constantIbLb1EES1C_EEDaS17_S18_EUlS17_E_NS1_11comp_targetILNS1_3genE0ELNS1_11target_archE4294967295ELNS1_3gpuE0ELNS1_3repE0EEENS1_30default_config_static_selectorELNS0_4arch9wavefront6targetE1EEEvT1_,"axG",@progbits,_ZN7rocprim17ROCPRIM_400000_NS6detail17trampoline_kernelINS0_14default_configENS1_25partition_config_selectorILNS1_17partition_subalgoE8ElNS0_10empty_typeEbEEZZNS1_14partition_implILS5_8ELb0ES3_jPlPS6_PKS6_NS0_5tupleIJS9_S6_EEENSD_IJSA_SA_EEENS0_18inequality_wrapperIZN2at6native12_GLOBAL__N_124unique_dim_cuda_templateItEESt5tupleIJNSH_6TensorESM_SM_EERKSM_lbbbEUlllE0_EEPmJS6_EEE10hipError_tPvRmT3_T4_T5_T6_T7_T9_mT8_P12ihipStream_tbDpT10_ENKUlT_T0_E_clISt17integral_constantIbLb1EES1C_EEDaS17_S18_EUlS17_E_NS1_11comp_targetILNS1_3genE0ELNS1_11target_archE4294967295ELNS1_3gpuE0ELNS1_3repE0EEENS1_30default_config_static_selectorELNS0_4arch9wavefront6targetE1EEEvT1_,comdat
	.globl	_ZN7rocprim17ROCPRIM_400000_NS6detail17trampoline_kernelINS0_14default_configENS1_25partition_config_selectorILNS1_17partition_subalgoE8ElNS0_10empty_typeEbEEZZNS1_14partition_implILS5_8ELb0ES3_jPlPS6_PKS6_NS0_5tupleIJS9_S6_EEENSD_IJSA_SA_EEENS0_18inequality_wrapperIZN2at6native12_GLOBAL__N_124unique_dim_cuda_templateItEESt5tupleIJNSH_6TensorESM_SM_EERKSM_lbbbEUlllE0_EEPmJS6_EEE10hipError_tPvRmT3_T4_T5_T6_T7_T9_mT8_P12ihipStream_tbDpT10_ENKUlT_T0_E_clISt17integral_constantIbLb1EES1C_EEDaS17_S18_EUlS17_E_NS1_11comp_targetILNS1_3genE0ELNS1_11target_archE4294967295ELNS1_3gpuE0ELNS1_3repE0EEENS1_30default_config_static_selectorELNS0_4arch9wavefront6targetE1EEEvT1_ ; -- Begin function _ZN7rocprim17ROCPRIM_400000_NS6detail17trampoline_kernelINS0_14default_configENS1_25partition_config_selectorILNS1_17partition_subalgoE8ElNS0_10empty_typeEbEEZZNS1_14partition_implILS5_8ELb0ES3_jPlPS6_PKS6_NS0_5tupleIJS9_S6_EEENSD_IJSA_SA_EEENS0_18inequality_wrapperIZN2at6native12_GLOBAL__N_124unique_dim_cuda_templateItEESt5tupleIJNSH_6TensorESM_SM_EERKSM_lbbbEUlllE0_EEPmJS6_EEE10hipError_tPvRmT3_T4_T5_T6_T7_T9_mT8_P12ihipStream_tbDpT10_ENKUlT_T0_E_clISt17integral_constantIbLb1EES1C_EEDaS17_S18_EUlS17_E_NS1_11comp_targetILNS1_3genE0ELNS1_11target_archE4294967295ELNS1_3gpuE0ELNS1_3repE0EEENS1_30default_config_static_selectorELNS0_4arch9wavefront6targetE1EEEvT1_
	.p2align	8
	.type	_ZN7rocprim17ROCPRIM_400000_NS6detail17trampoline_kernelINS0_14default_configENS1_25partition_config_selectorILNS1_17partition_subalgoE8ElNS0_10empty_typeEbEEZZNS1_14partition_implILS5_8ELb0ES3_jPlPS6_PKS6_NS0_5tupleIJS9_S6_EEENSD_IJSA_SA_EEENS0_18inequality_wrapperIZN2at6native12_GLOBAL__N_124unique_dim_cuda_templateItEESt5tupleIJNSH_6TensorESM_SM_EERKSM_lbbbEUlllE0_EEPmJS6_EEE10hipError_tPvRmT3_T4_T5_T6_T7_T9_mT8_P12ihipStream_tbDpT10_ENKUlT_T0_E_clISt17integral_constantIbLb1EES1C_EEDaS17_S18_EUlS17_E_NS1_11comp_targetILNS1_3genE0ELNS1_11target_archE4294967295ELNS1_3gpuE0ELNS1_3repE0EEENS1_30default_config_static_selectorELNS0_4arch9wavefront6targetE1EEEvT1_,@function
_ZN7rocprim17ROCPRIM_400000_NS6detail17trampoline_kernelINS0_14default_configENS1_25partition_config_selectorILNS1_17partition_subalgoE8ElNS0_10empty_typeEbEEZZNS1_14partition_implILS5_8ELb0ES3_jPlPS6_PKS6_NS0_5tupleIJS9_S6_EEENSD_IJSA_SA_EEENS0_18inequality_wrapperIZN2at6native12_GLOBAL__N_124unique_dim_cuda_templateItEESt5tupleIJNSH_6TensorESM_SM_EERKSM_lbbbEUlllE0_EEPmJS6_EEE10hipError_tPvRmT3_T4_T5_T6_T7_T9_mT8_P12ihipStream_tbDpT10_ENKUlT_T0_E_clISt17integral_constantIbLb1EES1C_EEDaS17_S18_EUlS17_E_NS1_11comp_targetILNS1_3genE0ELNS1_11target_archE4294967295ELNS1_3gpuE0ELNS1_3repE0EEENS1_30default_config_static_selectorELNS0_4arch9wavefront6targetE1EEEvT1_: ; @_ZN7rocprim17ROCPRIM_400000_NS6detail17trampoline_kernelINS0_14default_configENS1_25partition_config_selectorILNS1_17partition_subalgoE8ElNS0_10empty_typeEbEEZZNS1_14partition_implILS5_8ELb0ES3_jPlPS6_PKS6_NS0_5tupleIJS9_S6_EEENSD_IJSA_SA_EEENS0_18inequality_wrapperIZN2at6native12_GLOBAL__N_124unique_dim_cuda_templateItEESt5tupleIJNSH_6TensorESM_SM_EERKSM_lbbbEUlllE0_EEPmJS6_EEE10hipError_tPvRmT3_T4_T5_T6_T7_T9_mT8_P12ihipStream_tbDpT10_ENKUlT_T0_E_clISt17integral_constantIbLb1EES1C_EEDaS17_S18_EUlS17_E_NS1_11comp_targetILNS1_3genE0ELNS1_11target_archE4294967295ELNS1_3gpuE0ELNS1_3repE0EEENS1_30default_config_static_selectorELNS0_4arch9wavefront6targetE1EEEvT1_
; %bb.0:
	.section	.rodata,"a",@progbits
	.p2align	6, 0x0
	.amdhsa_kernel _ZN7rocprim17ROCPRIM_400000_NS6detail17trampoline_kernelINS0_14default_configENS1_25partition_config_selectorILNS1_17partition_subalgoE8ElNS0_10empty_typeEbEEZZNS1_14partition_implILS5_8ELb0ES3_jPlPS6_PKS6_NS0_5tupleIJS9_S6_EEENSD_IJSA_SA_EEENS0_18inequality_wrapperIZN2at6native12_GLOBAL__N_124unique_dim_cuda_templateItEESt5tupleIJNSH_6TensorESM_SM_EERKSM_lbbbEUlllE0_EEPmJS6_EEE10hipError_tPvRmT3_T4_T5_T6_T7_T9_mT8_P12ihipStream_tbDpT10_ENKUlT_T0_E_clISt17integral_constantIbLb1EES1C_EEDaS17_S18_EUlS17_E_NS1_11comp_targetILNS1_3genE0ELNS1_11target_archE4294967295ELNS1_3gpuE0ELNS1_3repE0EEENS1_30default_config_static_selectorELNS0_4arch9wavefront6targetE1EEEvT1_
		.amdhsa_group_segment_fixed_size 0
		.amdhsa_private_segment_fixed_size 0
		.amdhsa_kernarg_size 136
		.amdhsa_user_sgpr_count 6
		.amdhsa_user_sgpr_private_segment_buffer 1
		.amdhsa_user_sgpr_dispatch_ptr 0
		.amdhsa_user_sgpr_queue_ptr 0
		.amdhsa_user_sgpr_kernarg_segment_ptr 1
		.amdhsa_user_sgpr_dispatch_id 0
		.amdhsa_user_sgpr_flat_scratch_init 0
		.amdhsa_user_sgpr_kernarg_preload_length 0
		.amdhsa_user_sgpr_kernarg_preload_offset 0
		.amdhsa_user_sgpr_private_segment_size 0
		.amdhsa_uses_dynamic_stack 0
		.amdhsa_system_sgpr_private_segment_wavefront_offset 0
		.amdhsa_system_sgpr_workgroup_id_x 1
		.amdhsa_system_sgpr_workgroup_id_y 0
		.amdhsa_system_sgpr_workgroup_id_z 0
		.amdhsa_system_sgpr_workgroup_info 0
		.amdhsa_system_vgpr_workitem_id 0
		.amdhsa_next_free_vgpr 1
		.amdhsa_next_free_sgpr 0
		.amdhsa_accum_offset 4
		.amdhsa_reserve_vcc 0
		.amdhsa_reserve_flat_scratch 0
		.amdhsa_float_round_mode_32 0
		.amdhsa_float_round_mode_16_64 0
		.amdhsa_float_denorm_mode_32 3
		.amdhsa_float_denorm_mode_16_64 3
		.amdhsa_dx10_clamp 1
		.amdhsa_ieee_mode 1
		.amdhsa_fp16_overflow 0
		.amdhsa_tg_split 0
		.amdhsa_exception_fp_ieee_invalid_op 0
		.amdhsa_exception_fp_denorm_src 0
		.amdhsa_exception_fp_ieee_div_zero 0
		.amdhsa_exception_fp_ieee_overflow 0
		.amdhsa_exception_fp_ieee_underflow 0
		.amdhsa_exception_fp_ieee_inexact 0
		.amdhsa_exception_int_div_zero 0
	.end_amdhsa_kernel
	.section	.text._ZN7rocprim17ROCPRIM_400000_NS6detail17trampoline_kernelINS0_14default_configENS1_25partition_config_selectorILNS1_17partition_subalgoE8ElNS0_10empty_typeEbEEZZNS1_14partition_implILS5_8ELb0ES3_jPlPS6_PKS6_NS0_5tupleIJS9_S6_EEENSD_IJSA_SA_EEENS0_18inequality_wrapperIZN2at6native12_GLOBAL__N_124unique_dim_cuda_templateItEESt5tupleIJNSH_6TensorESM_SM_EERKSM_lbbbEUlllE0_EEPmJS6_EEE10hipError_tPvRmT3_T4_T5_T6_T7_T9_mT8_P12ihipStream_tbDpT10_ENKUlT_T0_E_clISt17integral_constantIbLb1EES1C_EEDaS17_S18_EUlS17_E_NS1_11comp_targetILNS1_3genE0ELNS1_11target_archE4294967295ELNS1_3gpuE0ELNS1_3repE0EEENS1_30default_config_static_selectorELNS0_4arch9wavefront6targetE1EEEvT1_,"axG",@progbits,_ZN7rocprim17ROCPRIM_400000_NS6detail17trampoline_kernelINS0_14default_configENS1_25partition_config_selectorILNS1_17partition_subalgoE8ElNS0_10empty_typeEbEEZZNS1_14partition_implILS5_8ELb0ES3_jPlPS6_PKS6_NS0_5tupleIJS9_S6_EEENSD_IJSA_SA_EEENS0_18inequality_wrapperIZN2at6native12_GLOBAL__N_124unique_dim_cuda_templateItEESt5tupleIJNSH_6TensorESM_SM_EERKSM_lbbbEUlllE0_EEPmJS6_EEE10hipError_tPvRmT3_T4_T5_T6_T7_T9_mT8_P12ihipStream_tbDpT10_ENKUlT_T0_E_clISt17integral_constantIbLb1EES1C_EEDaS17_S18_EUlS17_E_NS1_11comp_targetILNS1_3genE0ELNS1_11target_archE4294967295ELNS1_3gpuE0ELNS1_3repE0EEENS1_30default_config_static_selectorELNS0_4arch9wavefront6targetE1EEEvT1_,comdat
.Lfunc_end1425:
	.size	_ZN7rocprim17ROCPRIM_400000_NS6detail17trampoline_kernelINS0_14default_configENS1_25partition_config_selectorILNS1_17partition_subalgoE8ElNS0_10empty_typeEbEEZZNS1_14partition_implILS5_8ELb0ES3_jPlPS6_PKS6_NS0_5tupleIJS9_S6_EEENSD_IJSA_SA_EEENS0_18inequality_wrapperIZN2at6native12_GLOBAL__N_124unique_dim_cuda_templateItEESt5tupleIJNSH_6TensorESM_SM_EERKSM_lbbbEUlllE0_EEPmJS6_EEE10hipError_tPvRmT3_T4_T5_T6_T7_T9_mT8_P12ihipStream_tbDpT10_ENKUlT_T0_E_clISt17integral_constantIbLb1EES1C_EEDaS17_S18_EUlS17_E_NS1_11comp_targetILNS1_3genE0ELNS1_11target_archE4294967295ELNS1_3gpuE0ELNS1_3repE0EEENS1_30default_config_static_selectorELNS0_4arch9wavefront6targetE1EEEvT1_, .Lfunc_end1425-_ZN7rocprim17ROCPRIM_400000_NS6detail17trampoline_kernelINS0_14default_configENS1_25partition_config_selectorILNS1_17partition_subalgoE8ElNS0_10empty_typeEbEEZZNS1_14partition_implILS5_8ELb0ES3_jPlPS6_PKS6_NS0_5tupleIJS9_S6_EEENSD_IJSA_SA_EEENS0_18inequality_wrapperIZN2at6native12_GLOBAL__N_124unique_dim_cuda_templateItEESt5tupleIJNSH_6TensorESM_SM_EERKSM_lbbbEUlllE0_EEPmJS6_EEE10hipError_tPvRmT3_T4_T5_T6_T7_T9_mT8_P12ihipStream_tbDpT10_ENKUlT_T0_E_clISt17integral_constantIbLb1EES1C_EEDaS17_S18_EUlS17_E_NS1_11comp_targetILNS1_3genE0ELNS1_11target_archE4294967295ELNS1_3gpuE0ELNS1_3repE0EEENS1_30default_config_static_selectorELNS0_4arch9wavefront6targetE1EEEvT1_
                                        ; -- End function
	.section	.AMDGPU.csdata,"",@progbits
; Kernel info:
; codeLenInByte = 0
; NumSgprs: 4
; NumVgprs: 0
; NumAgprs: 0
; TotalNumVgprs: 0
; ScratchSize: 0
; MemoryBound: 0
; FloatMode: 240
; IeeeMode: 1
; LDSByteSize: 0 bytes/workgroup (compile time only)
; SGPRBlocks: 0
; VGPRBlocks: 0
; NumSGPRsForWavesPerEU: 4
; NumVGPRsForWavesPerEU: 1
; AccumOffset: 4
; Occupancy: 8
; WaveLimiterHint : 0
; COMPUTE_PGM_RSRC2:SCRATCH_EN: 0
; COMPUTE_PGM_RSRC2:USER_SGPR: 6
; COMPUTE_PGM_RSRC2:TRAP_HANDLER: 0
; COMPUTE_PGM_RSRC2:TGID_X_EN: 1
; COMPUTE_PGM_RSRC2:TGID_Y_EN: 0
; COMPUTE_PGM_RSRC2:TGID_Z_EN: 0
; COMPUTE_PGM_RSRC2:TIDIG_COMP_CNT: 0
; COMPUTE_PGM_RSRC3_GFX90A:ACCUM_OFFSET: 0
; COMPUTE_PGM_RSRC3_GFX90A:TG_SPLIT: 0
	.section	.text._ZN7rocprim17ROCPRIM_400000_NS6detail17trampoline_kernelINS0_14default_configENS1_25partition_config_selectorILNS1_17partition_subalgoE8ElNS0_10empty_typeEbEEZZNS1_14partition_implILS5_8ELb0ES3_jPlPS6_PKS6_NS0_5tupleIJS9_S6_EEENSD_IJSA_SA_EEENS0_18inequality_wrapperIZN2at6native12_GLOBAL__N_124unique_dim_cuda_templateItEESt5tupleIJNSH_6TensorESM_SM_EERKSM_lbbbEUlllE0_EEPmJS6_EEE10hipError_tPvRmT3_T4_T5_T6_T7_T9_mT8_P12ihipStream_tbDpT10_ENKUlT_T0_E_clISt17integral_constantIbLb1EES1C_EEDaS17_S18_EUlS17_E_NS1_11comp_targetILNS1_3genE5ELNS1_11target_archE942ELNS1_3gpuE9ELNS1_3repE0EEENS1_30default_config_static_selectorELNS0_4arch9wavefront6targetE1EEEvT1_,"axG",@progbits,_ZN7rocprim17ROCPRIM_400000_NS6detail17trampoline_kernelINS0_14default_configENS1_25partition_config_selectorILNS1_17partition_subalgoE8ElNS0_10empty_typeEbEEZZNS1_14partition_implILS5_8ELb0ES3_jPlPS6_PKS6_NS0_5tupleIJS9_S6_EEENSD_IJSA_SA_EEENS0_18inequality_wrapperIZN2at6native12_GLOBAL__N_124unique_dim_cuda_templateItEESt5tupleIJNSH_6TensorESM_SM_EERKSM_lbbbEUlllE0_EEPmJS6_EEE10hipError_tPvRmT3_T4_T5_T6_T7_T9_mT8_P12ihipStream_tbDpT10_ENKUlT_T0_E_clISt17integral_constantIbLb1EES1C_EEDaS17_S18_EUlS17_E_NS1_11comp_targetILNS1_3genE5ELNS1_11target_archE942ELNS1_3gpuE9ELNS1_3repE0EEENS1_30default_config_static_selectorELNS0_4arch9wavefront6targetE1EEEvT1_,comdat
	.globl	_ZN7rocprim17ROCPRIM_400000_NS6detail17trampoline_kernelINS0_14default_configENS1_25partition_config_selectorILNS1_17partition_subalgoE8ElNS0_10empty_typeEbEEZZNS1_14partition_implILS5_8ELb0ES3_jPlPS6_PKS6_NS0_5tupleIJS9_S6_EEENSD_IJSA_SA_EEENS0_18inequality_wrapperIZN2at6native12_GLOBAL__N_124unique_dim_cuda_templateItEESt5tupleIJNSH_6TensorESM_SM_EERKSM_lbbbEUlllE0_EEPmJS6_EEE10hipError_tPvRmT3_T4_T5_T6_T7_T9_mT8_P12ihipStream_tbDpT10_ENKUlT_T0_E_clISt17integral_constantIbLb1EES1C_EEDaS17_S18_EUlS17_E_NS1_11comp_targetILNS1_3genE5ELNS1_11target_archE942ELNS1_3gpuE9ELNS1_3repE0EEENS1_30default_config_static_selectorELNS0_4arch9wavefront6targetE1EEEvT1_ ; -- Begin function _ZN7rocprim17ROCPRIM_400000_NS6detail17trampoline_kernelINS0_14default_configENS1_25partition_config_selectorILNS1_17partition_subalgoE8ElNS0_10empty_typeEbEEZZNS1_14partition_implILS5_8ELb0ES3_jPlPS6_PKS6_NS0_5tupleIJS9_S6_EEENSD_IJSA_SA_EEENS0_18inequality_wrapperIZN2at6native12_GLOBAL__N_124unique_dim_cuda_templateItEESt5tupleIJNSH_6TensorESM_SM_EERKSM_lbbbEUlllE0_EEPmJS6_EEE10hipError_tPvRmT3_T4_T5_T6_T7_T9_mT8_P12ihipStream_tbDpT10_ENKUlT_T0_E_clISt17integral_constantIbLb1EES1C_EEDaS17_S18_EUlS17_E_NS1_11comp_targetILNS1_3genE5ELNS1_11target_archE942ELNS1_3gpuE9ELNS1_3repE0EEENS1_30default_config_static_selectorELNS0_4arch9wavefront6targetE1EEEvT1_
	.p2align	8
	.type	_ZN7rocprim17ROCPRIM_400000_NS6detail17trampoline_kernelINS0_14default_configENS1_25partition_config_selectorILNS1_17partition_subalgoE8ElNS0_10empty_typeEbEEZZNS1_14partition_implILS5_8ELb0ES3_jPlPS6_PKS6_NS0_5tupleIJS9_S6_EEENSD_IJSA_SA_EEENS0_18inequality_wrapperIZN2at6native12_GLOBAL__N_124unique_dim_cuda_templateItEESt5tupleIJNSH_6TensorESM_SM_EERKSM_lbbbEUlllE0_EEPmJS6_EEE10hipError_tPvRmT3_T4_T5_T6_T7_T9_mT8_P12ihipStream_tbDpT10_ENKUlT_T0_E_clISt17integral_constantIbLb1EES1C_EEDaS17_S18_EUlS17_E_NS1_11comp_targetILNS1_3genE5ELNS1_11target_archE942ELNS1_3gpuE9ELNS1_3repE0EEENS1_30default_config_static_selectorELNS0_4arch9wavefront6targetE1EEEvT1_,@function
_ZN7rocprim17ROCPRIM_400000_NS6detail17trampoline_kernelINS0_14default_configENS1_25partition_config_selectorILNS1_17partition_subalgoE8ElNS0_10empty_typeEbEEZZNS1_14partition_implILS5_8ELb0ES3_jPlPS6_PKS6_NS0_5tupleIJS9_S6_EEENSD_IJSA_SA_EEENS0_18inequality_wrapperIZN2at6native12_GLOBAL__N_124unique_dim_cuda_templateItEESt5tupleIJNSH_6TensorESM_SM_EERKSM_lbbbEUlllE0_EEPmJS6_EEE10hipError_tPvRmT3_T4_T5_T6_T7_T9_mT8_P12ihipStream_tbDpT10_ENKUlT_T0_E_clISt17integral_constantIbLb1EES1C_EEDaS17_S18_EUlS17_E_NS1_11comp_targetILNS1_3genE5ELNS1_11target_archE942ELNS1_3gpuE9ELNS1_3repE0EEENS1_30default_config_static_selectorELNS0_4arch9wavefront6targetE1EEEvT1_: ; @_ZN7rocprim17ROCPRIM_400000_NS6detail17trampoline_kernelINS0_14default_configENS1_25partition_config_selectorILNS1_17partition_subalgoE8ElNS0_10empty_typeEbEEZZNS1_14partition_implILS5_8ELb0ES3_jPlPS6_PKS6_NS0_5tupleIJS9_S6_EEENSD_IJSA_SA_EEENS0_18inequality_wrapperIZN2at6native12_GLOBAL__N_124unique_dim_cuda_templateItEESt5tupleIJNSH_6TensorESM_SM_EERKSM_lbbbEUlllE0_EEPmJS6_EEE10hipError_tPvRmT3_T4_T5_T6_T7_T9_mT8_P12ihipStream_tbDpT10_ENKUlT_T0_E_clISt17integral_constantIbLb1EES1C_EEDaS17_S18_EUlS17_E_NS1_11comp_targetILNS1_3genE5ELNS1_11target_archE942ELNS1_3gpuE9ELNS1_3repE0EEENS1_30default_config_static_selectorELNS0_4arch9wavefront6targetE1EEEvT1_
; %bb.0:
	.section	.rodata,"a",@progbits
	.p2align	6, 0x0
	.amdhsa_kernel _ZN7rocprim17ROCPRIM_400000_NS6detail17trampoline_kernelINS0_14default_configENS1_25partition_config_selectorILNS1_17partition_subalgoE8ElNS0_10empty_typeEbEEZZNS1_14partition_implILS5_8ELb0ES3_jPlPS6_PKS6_NS0_5tupleIJS9_S6_EEENSD_IJSA_SA_EEENS0_18inequality_wrapperIZN2at6native12_GLOBAL__N_124unique_dim_cuda_templateItEESt5tupleIJNSH_6TensorESM_SM_EERKSM_lbbbEUlllE0_EEPmJS6_EEE10hipError_tPvRmT3_T4_T5_T6_T7_T9_mT8_P12ihipStream_tbDpT10_ENKUlT_T0_E_clISt17integral_constantIbLb1EES1C_EEDaS17_S18_EUlS17_E_NS1_11comp_targetILNS1_3genE5ELNS1_11target_archE942ELNS1_3gpuE9ELNS1_3repE0EEENS1_30default_config_static_selectorELNS0_4arch9wavefront6targetE1EEEvT1_
		.amdhsa_group_segment_fixed_size 0
		.amdhsa_private_segment_fixed_size 0
		.amdhsa_kernarg_size 136
		.amdhsa_user_sgpr_count 6
		.amdhsa_user_sgpr_private_segment_buffer 1
		.amdhsa_user_sgpr_dispatch_ptr 0
		.amdhsa_user_sgpr_queue_ptr 0
		.amdhsa_user_sgpr_kernarg_segment_ptr 1
		.amdhsa_user_sgpr_dispatch_id 0
		.amdhsa_user_sgpr_flat_scratch_init 0
		.amdhsa_user_sgpr_kernarg_preload_length 0
		.amdhsa_user_sgpr_kernarg_preload_offset 0
		.amdhsa_user_sgpr_private_segment_size 0
		.amdhsa_uses_dynamic_stack 0
		.amdhsa_system_sgpr_private_segment_wavefront_offset 0
		.amdhsa_system_sgpr_workgroup_id_x 1
		.amdhsa_system_sgpr_workgroup_id_y 0
		.amdhsa_system_sgpr_workgroup_id_z 0
		.amdhsa_system_sgpr_workgroup_info 0
		.amdhsa_system_vgpr_workitem_id 0
		.amdhsa_next_free_vgpr 1
		.amdhsa_next_free_sgpr 0
		.amdhsa_accum_offset 4
		.amdhsa_reserve_vcc 0
		.amdhsa_reserve_flat_scratch 0
		.amdhsa_float_round_mode_32 0
		.amdhsa_float_round_mode_16_64 0
		.amdhsa_float_denorm_mode_32 3
		.amdhsa_float_denorm_mode_16_64 3
		.amdhsa_dx10_clamp 1
		.amdhsa_ieee_mode 1
		.amdhsa_fp16_overflow 0
		.amdhsa_tg_split 0
		.amdhsa_exception_fp_ieee_invalid_op 0
		.amdhsa_exception_fp_denorm_src 0
		.amdhsa_exception_fp_ieee_div_zero 0
		.amdhsa_exception_fp_ieee_overflow 0
		.amdhsa_exception_fp_ieee_underflow 0
		.amdhsa_exception_fp_ieee_inexact 0
		.amdhsa_exception_int_div_zero 0
	.end_amdhsa_kernel
	.section	.text._ZN7rocprim17ROCPRIM_400000_NS6detail17trampoline_kernelINS0_14default_configENS1_25partition_config_selectorILNS1_17partition_subalgoE8ElNS0_10empty_typeEbEEZZNS1_14partition_implILS5_8ELb0ES3_jPlPS6_PKS6_NS0_5tupleIJS9_S6_EEENSD_IJSA_SA_EEENS0_18inequality_wrapperIZN2at6native12_GLOBAL__N_124unique_dim_cuda_templateItEESt5tupleIJNSH_6TensorESM_SM_EERKSM_lbbbEUlllE0_EEPmJS6_EEE10hipError_tPvRmT3_T4_T5_T6_T7_T9_mT8_P12ihipStream_tbDpT10_ENKUlT_T0_E_clISt17integral_constantIbLb1EES1C_EEDaS17_S18_EUlS17_E_NS1_11comp_targetILNS1_3genE5ELNS1_11target_archE942ELNS1_3gpuE9ELNS1_3repE0EEENS1_30default_config_static_selectorELNS0_4arch9wavefront6targetE1EEEvT1_,"axG",@progbits,_ZN7rocprim17ROCPRIM_400000_NS6detail17trampoline_kernelINS0_14default_configENS1_25partition_config_selectorILNS1_17partition_subalgoE8ElNS0_10empty_typeEbEEZZNS1_14partition_implILS5_8ELb0ES3_jPlPS6_PKS6_NS0_5tupleIJS9_S6_EEENSD_IJSA_SA_EEENS0_18inequality_wrapperIZN2at6native12_GLOBAL__N_124unique_dim_cuda_templateItEESt5tupleIJNSH_6TensorESM_SM_EERKSM_lbbbEUlllE0_EEPmJS6_EEE10hipError_tPvRmT3_T4_T5_T6_T7_T9_mT8_P12ihipStream_tbDpT10_ENKUlT_T0_E_clISt17integral_constantIbLb1EES1C_EEDaS17_S18_EUlS17_E_NS1_11comp_targetILNS1_3genE5ELNS1_11target_archE942ELNS1_3gpuE9ELNS1_3repE0EEENS1_30default_config_static_selectorELNS0_4arch9wavefront6targetE1EEEvT1_,comdat
.Lfunc_end1426:
	.size	_ZN7rocprim17ROCPRIM_400000_NS6detail17trampoline_kernelINS0_14default_configENS1_25partition_config_selectorILNS1_17partition_subalgoE8ElNS0_10empty_typeEbEEZZNS1_14partition_implILS5_8ELb0ES3_jPlPS6_PKS6_NS0_5tupleIJS9_S6_EEENSD_IJSA_SA_EEENS0_18inequality_wrapperIZN2at6native12_GLOBAL__N_124unique_dim_cuda_templateItEESt5tupleIJNSH_6TensorESM_SM_EERKSM_lbbbEUlllE0_EEPmJS6_EEE10hipError_tPvRmT3_T4_T5_T6_T7_T9_mT8_P12ihipStream_tbDpT10_ENKUlT_T0_E_clISt17integral_constantIbLb1EES1C_EEDaS17_S18_EUlS17_E_NS1_11comp_targetILNS1_3genE5ELNS1_11target_archE942ELNS1_3gpuE9ELNS1_3repE0EEENS1_30default_config_static_selectorELNS0_4arch9wavefront6targetE1EEEvT1_, .Lfunc_end1426-_ZN7rocprim17ROCPRIM_400000_NS6detail17trampoline_kernelINS0_14default_configENS1_25partition_config_selectorILNS1_17partition_subalgoE8ElNS0_10empty_typeEbEEZZNS1_14partition_implILS5_8ELb0ES3_jPlPS6_PKS6_NS0_5tupleIJS9_S6_EEENSD_IJSA_SA_EEENS0_18inequality_wrapperIZN2at6native12_GLOBAL__N_124unique_dim_cuda_templateItEESt5tupleIJNSH_6TensorESM_SM_EERKSM_lbbbEUlllE0_EEPmJS6_EEE10hipError_tPvRmT3_T4_T5_T6_T7_T9_mT8_P12ihipStream_tbDpT10_ENKUlT_T0_E_clISt17integral_constantIbLb1EES1C_EEDaS17_S18_EUlS17_E_NS1_11comp_targetILNS1_3genE5ELNS1_11target_archE942ELNS1_3gpuE9ELNS1_3repE0EEENS1_30default_config_static_selectorELNS0_4arch9wavefront6targetE1EEEvT1_
                                        ; -- End function
	.section	.AMDGPU.csdata,"",@progbits
; Kernel info:
; codeLenInByte = 0
; NumSgprs: 4
; NumVgprs: 0
; NumAgprs: 0
; TotalNumVgprs: 0
; ScratchSize: 0
; MemoryBound: 0
; FloatMode: 240
; IeeeMode: 1
; LDSByteSize: 0 bytes/workgroup (compile time only)
; SGPRBlocks: 0
; VGPRBlocks: 0
; NumSGPRsForWavesPerEU: 4
; NumVGPRsForWavesPerEU: 1
; AccumOffset: 4
; Occupancy: 8
; WaveLimiterHint : 0
; COMPUTE_PGM_RSRC2:SCRATCH_EN: 0
; COMPUTE_PGM_RSRC2:USER_SGPR: 6
; COMPUTE_PGM_RSRC2:TRAP_HANDLER: 0
; COMPUTE_PGM_RSRC2:TGID_X_EN: 1
; COMPUTE_PGM_RSRC2:TGID_Y_EN: 0
; COMPUTE_PGM_RSRC2:TGID_Z_EN: 0
; COMPUTE_PGM_RSRC2:TIDIG_COMP_CNT: 0
; COMPUTE_PGM_RSRC3_GFX90A:ACCUM_OFFSET: 0
; COMPUTE_PGM_RSRC3_GFX90A:TG_SPLIT: 0
	.section	.text._ZN7rocprim17ROCPRIM_400000_NS6detail17trampoline_kernelINS0_14default_configENS1_25partition_config_selectorILNS1_17partition_subalgoE8ElNS0_10empty_typeEbEEZZNS1_14partition_implILS5_8ELb0ES3_jPlPS6_PKS6_NS0_5tupleIJS9_S6_EEENSD_IJSA_SA_EEENS0_18inequality_wrapperIZN2at6native12_GLOBAL__N_124unique_dim_cuda_templateItEESt5tupleIJNSH_6TensorESM_SM_EERKSM_lbbbEUlllE0_EEPmJS6_EEE10hipError_tPvRmT3_T4_T5_T6_T7_T9_mT8_P12ihipStream_tbDpT10_ENKUlT_T0_E_clISt17integral_constantIbLb1EES1C_EEDaS17_S18_EUlS17_E_NS1_11comp_targetILNS1_3genE4ELNS1_11target_archE910ELNS1_3gpuE8ELNS1_3repE0EEENS1_30default_config_static_selectorELNS0_4arch9wavefront6targetE1EEEvT1_,"axG",@progbits,_ZN7rocprim17ROCPRIM_400000_NS6detail17trampoline_kernelINS0_14default_configENS1_25partition_config_selectorILNS1_17partition_subalgoE8ElNS0_10empty_typeEbEEZZNS1_14partition_implILS5_8ELb0ES3_jPlPS6_PKS6_NS0_5tupleIJS9_S6_EEENSD_IJSA_SA_EEENS0_18inequality_wrapperIZN2at6native12_GLOBAL__N_124unique_dim_cuda_templateItEESt5tupleIJNSH_6TensorESM_SM_EERKSM_lbbbEUlllE0_EEPmJS6_EEE10hipError_tPvRmT3_T4_T5_T6_T7_T9_mT8_P12ihipStream_tbDpT10_ENKUlT_T0_E_clISt17integral_constantIbLb1EES1C_EEDaS17_S18_EUlS17_E_NS1_11comp_targetILNS1_3genE4ELNS1_11target_archE910ELNS1_3gpuE8ELNS1_3repE0EEENS1_30default_config_static_selectorELNS0_4arch9wavefront6targetE1EEEvT1_,comdat
	.globl	_ZN7rocprim17ROCPRIM_400000_NS6detail17trampoline_kernelINS0_14default_configENS1_25partition_config_selectorILNS1_17partition_subalgoE8ElNS0_10empty_typeEbEEZZNS1_14partition_implILS5_8ELb0ES3_jPlPS6_PKS6_NS0_5tupleIJS9_S6_EEENSD_IJSA_SA_EEENS0_18inequality_wrapperIZN2at6native12_GLOBAL__N_124unique_dim_cuda_templateItEESt5tupleIJNSH_6TensorESM_SM_EERKSM_lbbbEUlllE0_EEPmJS6_EEE10hipError_tPvRmT3_T4_T5_T6_T7_T9_mT8_P12ihipStream_tbDpT10_ENKUlT_T0_E_clISt17integral_constantIbLb1EES1C_EEDaS17_S18_EUlS17_E_NS1_11comp_targetILNS1_3genE4ELNS1_11target_archE910ELNS1_3gpuE8ELNS1_3repE0EEENS1_30default_config_static_selectorELNS0_4arch9wavefront6targetE1EEEvT1_ ; -- Begin function _ZN7rocprim17ROCPRIM_400000_NS6detail17trampoline_kernelINS0_14default_configENS1_25partition_config_selectorILNS1_17partition_subalgoE8ElNS0_10empty_typeEbEEZZNS1_14partition_implILS5_8ELb0ES3_jPlPS6_PKS6_NS0_5tupleIJS9_S6_EEENSD_IJSA_SA_EEENS0_18inequality_wrapperIZN2at6native12_GLOBAL__N_124unique_dim_cuda_templateItEESt5tupleIJNSH_6TensorESM_SM_EERKSM_lbbbEUlllE0_EEPmJS6_EEE10hipError_tPvRmT3_T4_T5_T6_T7_T9_mT8_P12ihipStream_tbDpT10_ENKUlT_T0_E_clISt17integral_constantIbLb1EES1C_EEDaS17_S18_EUlS17_E_NS1_11comp_targetILNS1_3genE4ELNS1_11target_archE910ELNS1_3gpuE8ELNS1_3repE0EEENS1_30default_config_static_selectorELNS0_4arch9wavefront6targetE1EEEvT1_
	.p2align	8
	.type	_ZN7rocprim17ROCPRIM_400000_NS6detail17trampoline_kernelINS0_14default_configENS1_25partition_config_selectorILNS1_17partition_subalgoE8ElNS0_10empty_typeEbEEZZNS1_14partition_implILS5_8ELb0ES3_jPlPS6_PKS6_NS0_5tupleIJS9_S6_EEENSD_IJSA_SA_EEENS0_18inequality_wrapperIZN2at6native12_GLOBAL__N_124unique_dim_cuda_templateItEESt5tupleIJNSH_6TensorESM_SM_EERKSM_lbbbEUlllE0_EEPmJS6_EEE10hipError_tPvRmT3_T4_T5_T6_T7_T9_mT8_P12ihipStream_tbDpT10_ENKUlT_T0_E_clISt17integral_constantIbLb1EES1C_EEDaS17_S18_EUlS17_E_NS1_11comp_targetILNS1_3genE4ELNS1_11target_archE910ELNS1_3gpuE8ELNS1_3repE0EEENS1_30default_config_static_selectorELNS0_4arch9wavefront6targetE1EEEvT1_,@function
_ZN7rocprim17ROCPRIM_400000_NS6detail17trampoline_kernelINS0_14default_configENS1_25partition_config_selectorILNS1_17partition_subalgoE8ElNS0_10empty_typeEbEEZZNS1_14partition_implILS5_8ELb0ES3_jPlPS6_PKS6_NS0_5tupleIJS9_S6_EEENSD_IJSA_SA_EEENS0_18inequality_wrapperIZN2at6native12_GLOBAL__N_124unique_dim_cuda_templateItEESt5tupleIJNSH_6TensorESM_SM_EERKSM_lbbbEUlllE0_EEPmJS6_EEE10hipError_tPvRmT3_T4_T5_T6_T7_T9_mT8_P12ihipStream_tbDpT10_ENKUlT_T0_E_clISt17integral_constantIbLb1EES1C_EEDaS17_S18_EUlS17_E_NS1_11comp_targetILNS1_3genE4ELNS1_11target_archE910ELNS1_3gpuE8ELNS1_3repE0EEENS1_30default_config_static_selectorELNS0_4arch9wavefront6targetE1EEEvT1_: ; @_ZN7rocprim17ROCPRIM_400000_NS6detail17trampoline_kernelINS0_14default_configENS1_25partition_config_selectorILNS1_17partition_subalgoE8ElNS0_10empty_typeEbEEZZNS1_14partition_implILS5_8ELb0ES3_jPlPS6_PKS6_NS0_5tupleIJS9_S6_EEENSD_IJSA_SA_EEENS0_18inequality_wrapperIZN2at6native12_GLOBAL__N_124unique_dim_cuda_templateItEESt5tupleIJNSH_6TensorESM_SM_EERKSM_lbbbEUlllE0_EEPmJS6_EEE10hipError_tPvRmT3_T4_T5_T6_T7_T9_mT8_P12ihipStream_tbDpT10_ENKUlT_T0_E_clISt17integral_constantIbLb1EES1C_EEDaS17_S18_EUlS17_E_NS1_11comp_targetILNS1_3genE4ELNS1_11target_archE910ELNS1_3gpuE8ELNS1_3repE0EEENS1_30default_config_static_selectorELNS0_4arch9wavefront6targetE1EEEvT1_
; %bb.0:
	s_load_dwordx2 s[28:29], s[4:5], 0x28
	s_load_dwordx8 s[20:27], s[4:5], 0x40
	s_load_dwordx4 s[16:19], s[4:5], 0x60
	v_cmp_ne_u32_e64 s[2:3], 0, v0
	v_cmp_eq_u32_e64 s[0:1], 0, v0
	s_and_saveexec_b64 s[6:7], s[0:1]
	s_cbranch_execz .LBB1427_4
; %bb.1:
	s_mov_b64 s[10:11], exec
	v_mbcnt_lo_u32_b32 v1, s10, 0
	v_mbcnt_hi_u32_b32 v1, s11, v1
	v_cmp_eq_u32_e32 vcc, 0, v1
                                        ; implicit-def: $vgpr2
	s_and_saveexec_b64 s[8:9], vcc
	s_cbranch_execz .LBB1427_3
; %bb.2:
	s_load_dwordx2 s[12:13], s[4:5], 0x78
	s_bcnt1_i32_b64 s10, s[10:11]
	v_mov_b32_e32 v2, 0
	v_mov_b32_e32 v3, s10
	s_waitcnt lgkmcnt(0)
	global_atomic_add v2, v2, v3, s[12:13] glc
.LBB1427_3:
	s_or_b64 exec, exec, s[8:9]
	s_waitcnt vmcnt(0)
	v_readfirstlane_b32 s8, v2
	v_add_u32_e32 v1, s8, v1
	v_mov_b32_e32 v2, 0
	ds_write_b32 v2, v1
.LBB1427_4:
	s_or_b64 exec, exec, s[6:7]
	v_mov_b32_e32 v3, 0
	s_load_dwordx4 s[8:11], s[4:5], 0x8
	s_load_dword s12, s[4:5], 0x70
	s_waitcnt lgkmcnt(0)
	s_barrier
	ds_read_b32 v1, v3
	s_waitcnt lgkmcnt(0)
	s_barrier
	global_load_dwordx2 v[4:5], v3, s[22:23]
	s_lshl_b64 s[4:5], s[10:11], 3
	s_mul_i32 s14, s12, 0x500
	s_add_u32 s8, s8, s4
	s_addc_u32 s4, s9, s5
	s_add_i32 s5, s14, s10
	s_add_i32 s12, s12, -1
	s_sub_i32 s48, s24, s5
	v_mov_b32_e32 v8, s4
	s_add_u32 s4, s10, s14
	s_addc_u32 s5, s11, 0
	v_readfirstlane_b32 s33, v1
	v_mov_b32_e32 v6, s24
	v_mov_b32_e32 v7, s25
	s_movk_i32 s13, 0x500
	s_cmp_eq_u32 s33, s12
	v_mul_lo_u32 v2, v1, s13
	v_cmp_ge_u64_e32 vcc, s[4:5], v[6:7]
	s_cselect_b64 s[24:25], -1, 0
	v_lshlrev_b64 v[2:3], 3, v[2:3]
	s_and_b64 s[12:13], vcc, s[24:25]
	v_add_co_u32_e64 v18, s[4:5], s8, v2
	s_xor_b64 s[30:31], s[12:13], -1
	s_mov_b64 s[6:7], -1
	v_addc_co_u32_e64 v19, s[4:5], v8, v3, s[4:5]
	s_and_b64 vcc, exec, s[30:31]
	s_waitcnt vmcnt(0)
	v_readfirstlane_b32 s22, v4
	v_readfirstlane_b32 s23, v5
	s_cbranch_vccz .LBB1427_6
; %bb.5:
	v_lshlrev_b32_e32 v1, 3, v0
	v_add_co_u32_e32 v12, vcc, v18, v1
	v_addc_co_u32_e32 v13, vcc, 0, v19, vcc
	v_add_co_u32_e32 v2, vcc, 0x1000, v12
	v_readfirstlane_b32 s4, v18
	v_readfirstlane_b32 s5, v19
	v_addc_co_u32_e32 v3, vcc, 0, v13, vcc
	s_nop 3
	global_load_dwordx2 v[4:5], v1, s[4:5]
	global_load_dwordx2 v[6:7], v1, s[4:5] offset:2048
	global_load_dwordx2 v[8:9], v[2:3], off
	global_load_dwordx2 v[10:11], v[2:3], off offset:2048
	v_add_co_u32_e32 v2, vcc, 0x2000, v12
	v_addc_co_u32_e32 v3, vcc, 0, v13, vcc
	global_load_dwordx2 v[2:3], v[2:3], off
	s_mov_b64 s[6:7], 0
	s_waitcnt vmcnt(3)
	ds_write2st64_b64 v1, v[4:5], v[6:7] offset1:4
	s_waitcnt vmcnt(1)
	ds_write2st64_b64 v1, v[8:9], v[10:11] offset0:8 offset1:12
	s_waitcnt vmcnt(0)
	ds_write_b64 v1, v[2:3] offset:8192
	s_waitcnt lgkmcnt(0)
	s_barrier
.LBB1427_6:
	s_andn2_b64 vcc, exec, s[6:7]
	s_addk_i32 s48, 0x500
	s_cbranch_vccnz .LBB1427_18
; %bb.7:
	v_cmp_gt_u32_e32 vcc, s48, v0
                                        ; implicit-def: $vgpr2_vgpr3_vgpr4_vgpr5_vgpr6_vgpr7_vgpr8_vgpr9_vgpr10_vgpr11_vgpr12_vgpr13_vgpr14_vgpr15_vgpr16_vgpr17
	s_and_saveexec_b64 s[4:5], vcc
	s_cbranch_execz .LBB1427_9
; %bb.8:
	v_lshlrev_b32_e32 v1, 3, v0
	v_readfirstlane_b32 s6, v18
	v_readfirstlane_b32 s7, v19
	s_nop 4
	global_load_dwordx2 v[2:3], v1, s[6:7]
.LBB1427_9:
	s_or_b64 exec, exec, s[4:5]
	v_or_b32_e32 v1, 0x100, v0
	v_cmp_gt_u32_e32 vcc, s48, v1
	s_and_saveexec_b64 s[4:5], vcc
	s_cbranch_execz .LBB1427_11
; %bb.10:
	v_lshlrev_b32_e32 v1, 3, v0
	v_readfirstlane_b32 s6, v18
	v_readfirstlane_b32 s7, v19
	s_nop 4
	global_load_dwordx2 v[4:5], v1, s[6:7] offset:2048
.LBB1427_11:
	s_or_b64 exec, exec, s[4:5]
	v_or_b32_e32 v1, 0x200, v0
	v_cmp_gt_u32_e32 vcc, s48, v1
	s_and_saveexec_b64 s[4:5], vcc
	s_cbranch_execz .LBB1427_13
; %bb.12:
	v_lshlrev_b32_e32 v1, 3, v1
	v_readfirstlane_b32 s6, v18
	v_readfirstlane_b32 s7, v19
	s_nop 4
	global_load_dwordx2 v[6:7], v1, s[6:7]
.LBB1427_13:
	s_or_b64 exec, exec, s[4:5]
	v_or_b32_e32 v1, 0x300, v0
	v_cmp_gt_u32_e32 vcc, s48, v1
	s_and_saveexec_b64 s[4:5], vcc
	s_cbranch_execz .LBB1427_15
; %bb.14:
	v_lshlrev_b32_e32 v1, 3, v1
	v_readfirstlane_b32 s6, v18
	v_readfirstlane_b32 s7, v19
	s_nop 4
	global_load_dwordx2 v[8:9], v1, s[6:7]
.LBB1427_15:
	;; [unrolled: 12-line block ×3, first 2 shown]
	s_or_b64 exec, exec, s[4:5]
	v_lshlrev_b32_e32 v1, 3, v0
	s_waitcnt vmcnt(0)
	ds_write2st64_b64 v1, v[2:3], v[4:5] offset1:4
	ds_write2st64_b64 v1, v[6:7], v[8:9] offset0:8 offset1:12
	ds_write_b64 v1, v[10:11] offset:8192
	s_waitcnt lgkmcnt(0)
	s_barrier
.LBB1427_18:
	v_mul_u32_u24_e32 v1, 5, v0
	v_lshlrev_b32_e32 v26, 3, v1
	ds_read2_b64 v[6:9], v26 offset1:1
	ds_read2_b64 v[2:5], v26 offset0:2 offset1:3
	ds_read_b64 v[10:11], v26 offset:32
	s_cmp_lg_u32 s33, 0
	s_cselect_b64 s[34:35], -1, 0
	s_cmp_lg_u64 s[10:11], 0
	s_cselect_b64 s[4:5], -1, 0
	s_or_b64 s[4:5], s[4:5], s[34:35]
	v_mad_u32_u24 v24, v0, 5, 1
	v_mad_u32_u24 v22, v0, 5, 2
	;; [unrolled: 1-line block ×4, first 2 shown]
	s_mov_b64 s[14:15], 0
	s_and_b64 vcc, exec, s[4:5]
	v_cmp_gt_i64_e64 s[4:5], s[26:27], 0
	s_waitcnt lgkmcnt(0)
	s_barrier
	s_cbranch_vccz .LBB1427_27
; %bb.19:
	global_load_dwordx2 v[14:15], v[18:19], off offset:-8
	v_cndmask_b32_e64 v12, 0, 1, s[4:5]
	v_lshlrev_b32_e32 v27, 3, v0
	s_mov_b64 s[10:11], 0
	s_and_b64 vcc, exec, s[30:31]
	v_cmp_ne_u32_e64 s[4:5], 1, v12
	ds_write_b64 v27, v[10:11]
	s_cbranch_vccz .LBB1427_28
; %bb.20:
	v_mul_lo_u32 v16, v5, s26
	v_mul_lo_u32 v17, v4, s27
	v_mad_u64_u32 v[12:13], s[6:7], v4, s26, 0
	v_add3_u32 v13, v13, v17, v16
	s_and_b64 vcc, exec, s[4:5]
	v_lshlrev_b64 v[12:13], 1, v[12:13]
	s_cbranch_vccnz .LBB1427_31
; %bb.21:
	v_mul_lo_u32 v18, v11, s26
	v_mul_lo_u32 v19, v10, s27
	v_mad_u64_u32 v[16:17], s[6:7], v10, s26, 0
	v_add3_u32 v17, v17, v19, v18
	v_mov_b32_e32 v19, s17
	v_add_co_u32_e32 v18, vcc, s16, v12
	v_addc_co_u32_e64 v19, s[6:7], v19, v13, vcc
	v_lshlrev_b64 v[16:17], 1, v[16:17]
	v_mov_b32_e32 v21, s17
	v_add_co_u32_e64 v20, s[6:7], s16, v16
	v_addc_co_u32_e64 v21, s[8:9], v21, v17, s[6:7]
	global_load_ushort v16, v[18:19], off
	global_load_ushort v28, v[20:21], off
	s_mov_b64 s[10:11], -1
	s_waitcnt vmcnt(0)
	v_cmp_eq_u16_e64 s[8:9], v16, v28
	s_and_saveexec_b64 s[14:15], s[8:9]
	s_cbranch_execz .LBB1427_30
; %bb.22:
	v_mov_b32_e32 v16, s17
	v_addc_co_u32_e64 v17, s[6:7], v17, v16, s[6:7]
	v_add_co_u32_e64 v16, s[6:7], 2, v20
	v_mov_b32_e32 v19, s17
	v_addc_co_u32_e64 v17, s[6:7], 0, v17, s[6:7]
	v_addc_co_u32_e32 v19, vcc, v13, v19, vcc
	v_add_co_u32_e32 v18, vcc, 2, v18
	s_add_u32 s6, s26, -1
	v_addc_co_u32_e32 v19, vcc, 0, v19, vcc
	s_addc_u32 s7, s27, -1
	s_mov_b64 s[8:9], 0
	s_mov_b64 s[36:37], 0
                                        ; implicit-def: $sgpr10_sgpr11
	s_branch .LBB1427_25
.LBB1427_23:                            ;   in Loop: Header=BB1427_25 Depth=1
	global_load_ushort v20, v[18:19], off
	global_load_ushort v21, v[16:17], off
	v_add_co_u32_e32 v16, vcc, 2, v16
	v_addc_co_u32_e32 v17, vcc, 0, v17, vcc
	v_add_co_u32_e32 v18, vcc, 2, v18
	v_addc_co_u32_e32 v19, vcc, 0, v19, vcc
	s_add_u32 s36, s36, 1
	s_addc_u32 s37, s37, 0
	s_andn2_b64 s[10:11], s[10:11], exec
	s_waitcnt vmcnt(0)
	v_cmp_ne_u16_e32 vcc, v20, v21
	s_and_b64 s[38:39], vcc, exec
	s_or_b64 s[10:11], s[10:11], s[38:39]
.LBB1427_24:                            ;   in Loop: Header=BB1427_25 Depth=1
	s_and_b64 s[38:39], exec, s[10:11]
	s_or_b64 s[8:9], s[38:39], s[8:9]
	v_pk_mov_b32 v[20:21], s[36:37], s[36:37] op_sel:[0,1]
	s_andn2_b64 exec, exec, s[8:9]
	s_cbranch_execz .LBB1427_29
.LBB1427_25:                            ; =>This Inner Loop Header: Depth=1
	s_or_b64 s[10:11], s[10:11], exec
	s_cmp_eq_u64 s[6:7], s[36:37]
	s_cbranch_scc0 .LBB1427_23
; %bb.26:                               ;   in Loop: Header=BB1427_25 Depth=1
                                        ; implicit-def: $vgpr16_vgpr17
                                        ; implicit-def: $vgpr18_vgpr19
	s_mov_b64 s[36:37], s[26:27]
	s_branch .LBB1427_24
.LBB1427_27:
                                        ; implicit-def: $sgpr36_sgpr37
                                        ; implicit-def: $vgpr13
                                        ; implicit-def: $vgpr16
	s_branch .LBB1427_129
.LBB1427_28:
                                        ; implicit-def: $sgpr36_sgpr37
                                        ; implicit-def: $vgpr13
                                        ; implicit-def: $vgpr16
	s_cbranch_execnz .LBB1427_70
	s_branch .LBB1427_128
.LBB1427_29:
	s_or_b64 exec, exec, s[8:9]
	v_cmp_gt_i64_e32 vcc, s[26:27], v[20:21]
	s_orn2_b64 s[10:11], vcc, exec
.LBB1427_30:
	s_or_b64 exec, exec, s[14:15]
.LBB1427_31:
	v_mul_lo_u32 v18, v3, s26
	v_mul_lo_u32 v19, v2, s27
	v_mad_u64_u32 v[16:17], s[6:7], v2, s26, 0
	v_add3_u32 v17, v17, v19, v18
	s_mov_b64 s[14:15], 0
	s_and_b64 vcc, exec, s[4:5]
	v_lshlrev_b64 v[18:19], 1, v[16:17]
	s_mov_b64 s[36:37], 0
	s_cbranch_vccnz .LBB1427_40
; %bb.32:
	v_mov_b32_e32 v17, s17
	v_add_co_u32_e32 v16, vcc, s16, v18
	v_addc_co_u32_e64 v17, s[6:7], v17, v19, vcc
	v_mov_b32_e32 v21, s17
	v_add_co_u32_e64 v20, s[6:7], s16, v12
	v_addc_co_u32_e64 v21, s[8:9], v21, v13, s[6:7]
	global_load_ushort v12, v[16:17], off
	global_load_ushort v28, v[20:21], off
	s_mov_b64 s[36:37], -1
	s_waitcnt vmcnt(0)
	v_cmp_eq_u16_e64 s[8:9], v12, v28
	s_and_saveexec_b64 s[38:39], s[8:9]
	s_cbranch_execz .LBB1427_39
; %bb.33:
	v_mov_b32_e32 v12, s17
	v_addc_co_u32_e64 v13, s[6:7], v13, v12, s[6:7]
	v_add_co_u32_e64 v12, s[6:7], 2, v20
	v_mov_b32_e32 v17, s17
	v_addc_co_u32_e64 v13, s[6:7], 0, v13, s[6:7]
	v_addc_co_u32_e32 v17, vcc, v19, v17, vcc
	v_add_co_u32_e32 v16, vcc, 2, v16
	s_add_u32 s6, s26, -1
	v_addc_co_u32_e32 v17, vcc, 0, v17, vcc
	s_addc_u32 s7, s27, -1
	s_mov_b64 s[8:9], 0
	s_mov_b64 s[40:41], 0
                                        ; implicit-def: $sgpr36_sgpr37
	s_branch .LBB1427_36
.LBB1427_34:                            ;   in Loop: Header=BB1427_36 Depth=1
	global_load_ushort v20, v[16:17], off
	global_load_ushort v21, v[12:13], off
	v_add_co_u32_e32 v12, vcc, 2, v12
	v_addc_co_u32_e32 v13, vcc, 0, v13, vcc
	v_add_co_u32_e32 v16, vcc, 2, v16
	v_addc_co_u32_e32 v17, vcc, 0, v17, vcc
	s_add_u32 s40, s40, 1
	s_addc_u32 s41, s41, 0
	s_andn2_b64 s[36:37], s[36:37], exec
	s_waitcnt vmcnt(0)
	v_cmp_ne_u16_e32 vcc, v20, v21
	s_and_b64 s[42:43], vcc, exec
	s_or_b64 s[36:37], s[36:37], s[42:43]
.LBB1427_35:                            ;   in Loop: Header=BB1427_36 Depth=1
	s_and_b64 s[42:43], exec, s[36:37]
	s_or_b64 s[8:9], s[42:43], s[8:9]
	v_pk_mov_b32 v[20:21], s[40:41], s[40:41] op_sel:[0,1]
	s_andn2_b64 exec, exec, s[8:9]
	s_cbranch_execz .LBB1427_38
.LBB1427_36:                            ; =>This Inner Loop Header: Depth=1
	s_or_b64 s[36:37], s[36:37], exec
	s_cmp_eq_u64 s[6:7], s[40:41]
	s_cbranch_scc0 .LBB1427_34
; %bb.37:                               ;   in Loop: Header=BB1427_36 Depth=1
                                        ; implicit-def: $vgpr12_vgpr13
                                        ; implicit-def: $vgpr16_vgpr17
	s_mov_b64 s[40:41], s[26:27]
	s_branch .LBB1427_35
.LBB1427_38:
	s_or_b64 exec, exec, s[8:9]
	v_cmp_gt_i64_e32 vcc, s[26:27], v[20:21]
	s_orn2_b64 s[36:37], vcc, exec
.LBB1427_39:
	s_or_b64 exec, exec, s[38:39]
.LBB1427_40:
	v_mul_lo_u32 v16, v9, s26
	v_mul_lo_u32 v17, v8, s27
	v_mad_u64_u32 v[12:13], s[6:7], v8, s26, 0
	v_add3_u32 v13, v13, v17, v16
	s_and_b64 vcc, exec, s[4:5]
	v_lshlrev_b64 v[16:17], 1, v[12:13]
	s_cbranch_vccnz .LBB1427_49
; %bb.41:
	v_mov_b32_e32 v12, s17
	v_add_co_u32_e32 v20, vcc, s16, v16
	v_addc_co_u32_e64 v21, s[6:7], v12, v17, vcc
	v_mov_b32_e32 v13, s17
	v_add_co_u32_e64 v12, s[6:7], s16, v18
	v_addc_co_u32_e64 v13, s[8:9], v13, v19, s[6:7]
	global_load_ushort v18, v[20:21], off
	global_load_ushort v28, v[12:13], off
	s_mov_b64 s[14:15], -1
	s_waitcnt vmcnt(0)
	v_cmp_eq_u16_e64 s[8:9], v18, v28
	s_and_saveexec_b64 s[38:39], s[8:9]
	s_cbranch_execz .LBB1427_48
; %bb.42:
	v_mov_b32_e32 v13, s17
	v_addc_co_u32_e64 v13, s[6:7], v19, v13, s[6:7]
	v_add_co_u32_e64 v12, s[6:7], 2, v12
	v_mov_b32_e32 v18, s17
	v_addc_co_u32_e64 v13, s[6:7], 0, v13, s[6:7]
	v_addc_co_u32_e32 v19, vcc, v17, v18, vcc
	v_add_co_u32_e32 v18, vcc, 2, v20
	s_add_u32 s6, s26, -1
	v_addc_co_u32_e32 v19, vcc, 0, v19, vcc
	s_addc_u32 s7, s27, -1
	s_mov_b64 s[8:9], 0
	s_mov_b64 s[40:41], 0
                                        ; implicit-def: $sgpr14_sgpr15
	s_branch .LBB1427_45
.LBB1427_43:                            ;   in Loop: Header=BB1427_45 Depth=1
	global_load_ushort v20, v[18:19], off
	global_load_ushort v21, v[12:13], off
	v_add_co_u32_e32 v12, vcc, 2, v12
	v_addc_co_u32_e32 v13, vcc, 0, v13, vcc
	v_add_co_u32_e32 v18, vcc, 2, v18
	v_addc_co_u32_e32 v19, vcc, 0, v19, vcc
	s_add_u32 s40, s40, 1
	s_addc_u32 s41, s41, 0
	s_andn2_b64 s[14:15], s[14:15], exec
	s_waitcnt vmcnt(0)
	v_cmp_ne_u16_e32 vcc, v20, v21
	s_and_b64 s[42:43], vcc, exec
	s_or_b64 s[14:15], s[14:15], s[42:43]
.LBB1427_44:                            ;   in Loop: Header=BB1427_45 Depth=1
	s_and_b64 s[42:43], exec, s[14:15]
	s_or_b64 s[8:9], s[42:43], s[8:9]
	v_pk_mov_b32 v[20:21], s[40:41], s[40:41] op_sel:[0,1]
	s_andn2_b64 exec, exec, s[8:9]
	s_cbranch_execz .LBB1427_47
.LBB1427_45:                            ; =>This Inner Loop Header: Depth=1
	s_or_b64 s[14:15], s[14:15], exec
	s_cmp_eq_u64 s[6:7], s[40:41]
	s_cbranch_scc0 .LBB1427_43
; %bb.46:                               ;   in Loop: Header=BB1427_45 Depth=1
                                        ; implicit-def: $vgpr12_vgpr13
                                        ; implicit-def: $vgpr18_vgpr19
	s_mov_b64 s[40:41], s[26:27]
	s_branch .LBB1427_44
.LBB1427_47:
	s_or_b64 exec, exec, s[8:9]
	v_cmp_gt_i64_e32 vcc, s[26:27], v[20:21]
	s_orn2_b64 s[14:15], vcc, exec
.LBB1427_48:
	s_or_b64 exec, exec, s[38:39]
.LBB1427_49:
	v_mul_lo_u32 v18, v7, s26
	v_mul_lo_u32 v19, v6, s27
	v_mad_u64_u32 v[12:13], s[6:7], v6, s26, 0
	v_add3_u32 v13, v13, v19, v18
	s_mov_b64 s[40:41], 0
	s_and_b64 vcc, exec, s[4:5]
	v_lshlrev_b64 v[12:13], 1, v[12:13]
	s_cbranch_vccnz .LBB1427_58
; %bb.50:
	v_mov_b32_e32 v19, s17
	v_add_co_u32_e32 v18, vcc, s16, v12
	v_addc_co_u32_e64 v19, s[6:7], v19, v13, vcc
	v_mov_b32_e32 v21, s17
	v_add_co_u32_e64 v20, s[6:7], s16, v16
	v_addc_co_u32_e64 v21, s[8:9], v21, v17, s[6:7]
	global_load_ushort v16, v[18:19], off
	global_load_ushort v28, v[20:21], off
	s_mov_b64 s[40:41], -1
	s_waitcnt vmcnt(0)
	v_cmp_eq_u16_e64 s[8:9], v16, v28
	s_and_saveexec_b64 s[38:39], s[8:9]
	s_cbranch_execz .LBB1427_57
; %bb.51:
	v_mov_b32_e32 v16, s17
	v_addc_co_u32_e64 v17, s[6:7], v17, v16, s[6:7]
	v_add_co_u32_e64 v16, s[6:7], 2, v20
	v_mov_b32_e32 v19, s17
	v_addc_co_u32_e64 v17, s[6:7], 0, v17, s[6:7]
	v_addc_co_u32_e32 v19, vcc, v13, v19, vcc
	v_add_co_u32_e32 v18, vcc, 2, v18
	s_add_u32 s6, s26, -1
	v_addc_co_u32_e32 v19, vcc, 0, v19, vcc
	s_addc_u32 s7, s27, -1
	s_mov_b64 s[8:9], 0
	s_mov_b64 s[42:43], 0
                                        ; implicit-def: $sgpr40_sgpr41
	s_branch .LBB1427_54
.LBB1427_52:                            ;   in Loop: Header=BB1427_54 Depth=1
	global_load_ushort v20, v[18:19], off
	global_load_ushort v21, v[16:17], off
	v_add_co_u32_e32 v16, vcc, 2, v16
	v_addc_co_u32_e32 v17, vcc, 0, v17, vcc
	v_add_co_u32_e32 v18, vcc, 2, v18
	v_addc_co_u32_e32 v19, vcc, 0, v19, vcc
	s_add_u32 s42, s42, 1
	s_addc_u32 s43, s43, 0
	s_andn2_b64 s[40:41], s[40:41], exec
	s_waitcnt vmcnt(0)
	v_cmp_ne_u16_e32 vcc, v20, v21
	s_and_b64 s[44:45], vcc, exec
	s_or_b64 s[40:41], s[40:41], s[44:45]
.LBB1427_53:                            ;   in Loop: Header=BB1427_54 Depth=1
	s_and_b64 s[44:45], exec, s[40:41]
	s_or_b64 s[8:9], s[44:45], s[8:9]
	v_pk_mov_b32 v[20:21], s[42:43], s[42:43] op_sel:[0,1]
	s_andn2_b64 exec, exec, s[8:9]
	s_cbranch_execz .LBB1427_56
.LBB1427_54:                            ; =>This Inner Loop Header: Depth=1
	s_or_b64 s[40:41], s[40:41], exec
	s_cmp_eq_u64 s[6:7], s[42:43]
	s_cbranch_scc0 .LBB1427_52
; %bb.55:                               ;   in Loop: Header=BB1427_54 Depth=1
                                        ; implicit-def: $vgpr16_vgpr17
                                        ; implicit-def: $vgpr18_vgpr19
	s_mov_b64 s[42:43], s[26:27]
	s_branch .LBB1427_53
.LBB1427_56:
	s_or_b64 exec, exec, s[8:9]
	v_cmp_gt_i64_e32 vcc, s[26:27], v[20:21]
	s_orn2_b64 s[40:41], vcc, exec
.LBB1427_57:
	s_or_b64 exec, exec, s[38:39]
.LBB1427_58:
	s_waitcnt vmcnt(0)
	v_pk_mov_b32 v[16:17], v[14:15], v[14:15] op_sel:[0,1]
	s_waitcnt lgkmcnt(0)
	s_barrier
	s_and_saveexec_b64 s[6:7], s[2:3]
	s_cbranch_execz .LBB1427_60
; %bb.59:
	v_add_u32_e32 v16, -8, v27
	ds_read_b64 v[16:17], v16
.LBB1427_60:
	s_or_b64 exec, exec, s[6:7]
	v_cndmask_b32_e64 v19, 0, 1, s[36:37]
	v_cndmask_b32_e64 v18, 0, 1, s[14:15]
	;; [unrolled: 1-line block ×3, first 2 shown]
	v_lshlrev_b16_e32 v19, 8, v19
	v_lshlrev_b16_e32 v28, 8, v20
	v_or_b32_sdwa v29, v18, v19 dst_sel:WORD_1 dst_unused:UNUSED_PAD src0_sel:DWORD src1_sel:DWORD
	s_mov_b64 s[14:15], 0
	s_and_b64 vcc, exec, s[4:5]
	s_mov_b64 s[36:37], 0
	s_cbranch_vccnz .LBB1427_69
; %bb.61:
	s_waitcnt lgkmcnt(0)
	v_mul_lo_u32 v18, v17, s26
	v_mul_lo_u32 v19, v16, s27
	v_mad_u64_u32 v[16:17], s[6:7], v16, s26, 0
	v_add3_u32 v17, v17, v19, v18
	v_lshlrev_b64 v[16:17], 1, v[16:17]
	v_mov_b32_e32 v19, s17
	v_add_co_u32_e32 v18, vcc, s16, v16
	v_addc_co_u32_e64 v19, s[6:7], v19, v17, vcc
	v_mov_b32_e32 v16, s17
	v_add_co_u32_e64 v20, s[6:7], s16, v12
	v_addc_co_u32_e64 v21, s[8:9], v16, v13, s[6:7]
	global_load_ushort v12, v[18:19], off
	global_load_ushort v16, v[20:21], off
	s_mov_b64 s[36:37], -1
	s_waitcnt vmcnt(0)
	v_cmp_eq_u16_e64 s[8:9], v12, v16
	s_and_saveexec_b64 s[38:39], s[8:9]
	s_cbranch_execz .LBB1427_68
; %bb.62:
	v_mov_b32_e32 v12, s17
	v_addc_co_u32_e64 v13, s[6:7], v13, v12, s[6:7]
	v_add_co_u32_e64 v12, s[6:7], 2, v20
	v_mov_b32_e32 v16, s17
	v_addc_co_u32_e64 v13, s[6:7], 0, v13, s[6:7]
	v_addc_co_u32_e32 v17, vcc, v17, v16, vcc
	v_add_co_u32_e32 v16, vcc, 2, v18
	s_add_u32 s6, s26, -1
	v_addc_co_u32_e32 v17, vcc, 0, v17, vcc
	s_addc_u32 s7, s27, -1
	s_mov_b64 s[8:9], 0
	s_mov_b64 s[40:41], 0
                                        ; implicit-def: $sgpr36_sgpr37
	s_branch .LBB1427_65
.LBB1427_63:                            ;   in Loop: Header=BB1427_65 Depth=1
	global_load_ushort v18, v[16:17], off
	global_load_ushort v19, v[12:13], off
	v_add_co_u32_e32 v12, vcc, 2, v12
	v_addc_co_u32_e32 v13, vcc, 0, v13, vcc
	v_add_co_u32_e32 v16, vcc, 2, v16
	v_addc_co_u32_e32 v17, vcc, 0, v17, vcc
	s_add_u32 s40, s40, 1
	s_addc_u32 s41, s41, 0
	s_andn2_b64 s[36:37], s[36:37], exec
	s_waitcnt vmcnt(0)
	v_cmp_ne_u16_e32 vcc, v18, v19
	s_and_b64 s[42:43], vcc, exec
	s_or_b64 s[36:37], s[36:37], s[42:43]
.LBB1427_64:                            ;   in Loop: Header=BB1427_65 Depth=1
	s_and_b64 s[42:43], exec, s[36:37]
	s_or_b64 s[8:9], s[42:43], s[8:9]
	v_pk_mov_b32 v[18:19], s[40:41], s[40:41] op_sel:[0,1]
	s_andn2_b64 exec, exec, s[8:9]
	s_cbranch_execz .LBB1427_67
.LBB1427_65:                            ; =>This Inner Loop Header: Depth=1
	s_or_b64 s[36:37], s[36:37], exec
	s_cmp_eq_u64 s[6:7], s[40:41]
	s_cbranch_scc0 .LBB1427_63
; %bb.66:                               ;   in Loop: Header=BB1427_65 Depth=1
                                        ; implicit-def: $vgpr12_vgpr13
                                        ; implicit-def: $vgpr16_vgpr17
	s_mov_b64 s[40:41], s[26:27]
	s_branch .LBB1427_64
.LBB1427_67:
	s_or_b64 exec, exec, s[8:9]
	v_cmp_gt_i64_e32 vcc, s[26:27], v[18:19]
	s_orn2_b64 s[36:37], vcc, exec
.LBB1427_68:
	s_or_b64 exec, exec, s[38:39]
.LBB1427_69:
	v_cndmask_b32_e64 v13, 0, 1, s[10:11]
	s_waitcnt lgkmcnt(0)
	v_or_b32_e32 v16, v28, v29
	s_and_b64 vcc, exec, s[14:15]
	s_cbranch_vccz .LBB1427_128
.LBB1427_70:
	v_cmp_gt_u32_e32 vcc, s48, v23
	s_mov_b64 s[14:15], 0
	s_mov_b64 s[10:11], 0
	s_and_saveexec_b64 s[36:37], vcc
	s_cbranch_execz .LBB1427_81
; %bb.71:
	s_and_b64 vcc, exec, s[4:5]
	s_mov_b64 s[38:39], 0
	s_cbranch_vccnz .LBB1427_80
; %bb.72:
	v_mul_lo_u32 v16, v5, s26
	v_mul_lo_u32 v17, v4, s27
	v_mad_u64_u32 v[12:13], s[6:7], v4, s26, 0
	v_add3_u32 v13, v13, v17, v16
	v_mul_lo_u32 v16, v11, s26
	v_mul_lo_u32 v17, v10, s27
	v_mad_u64_u32 v[20:21], s[6:7], v10, s26, 0
	v_add3_u32 v21, v21, v17, v16
	v_lshlrev_b64 v[16:17], 1, v[12:13]
	v_mov_b32_e32 v12, s17
	v_add_co_u32_e32 v18, vcc, s16, v16
	v_addc_co_u32_e64 v19, s[6:7], v12, v17, vcc
	v_lshlrev_b64 v[12:13], 1, v[20:21]
	v_mov_b32_e32 v16, s17
	v_add_co_u32_e64 v20, s[6:7], s16, v12
	v_addc_co_u32_e64 v21, s[8:9], v16, v13, s[6:7]
	global_load_ushort v12, v[18:19], off
	global_load_ushort v16, v[20:21], off
	s_mov_b64 s[38:39], -1
	s_waitcnt vmcnt(0)
	v_cmp_eq_u16_e64 s[8:9], v12, v16
	s_and_saveexec_b64 s[10:11], s[8:9]
	s_cbranch_execz .LBB1427_79
; %bb.73:
	v_mov_b32_e32 v12, s17
	v_addc_co_u32_e64 v13, s[6:7], v13, v12, s[6:7]
	v_add_co_u32_e64 v12, s[6:7], 2, v20
	v_mov_b32_e32 v16, s17
	v_addc_co_u32_e64 v13, s[6:7], 0, v13, s[6:7]
	v_addc_co_u32_e32 v17, vcc, v17, v16, vcc
	v_add_co_u32_e32 v16, vcc, 2, v18
	s_add_u32 s6, s26, -1
	v_addc_co_u32_e32 v17, vcc, 0, v17, vcc
	s_addc_u32 s7, s27, -1
	s_mov_b64 s[8:9], 0
	s_mov_b64 s[40:41], 0
                                        ; implicit-def: $sgpr38_sgpr39
	s_branch .LBB1427_76
.LBB1427_74:                            ;   in Loop: Header=BB1427_76 Depth=1
	global_load_ushort v18, v[16:17], off
	global_load_ushort v19, v[12:13], off
	v_add_co_u32_e32 v12, vcc, 2, v12
	v_addc_co_u32_e32 v13, vcc, 0, v13, vcc
	v_add_co_u32_e32 v16, vcc, 2, v16
	v_addc_co_u32_e32 v17, vcc, 0, v17, vcc
	s_add_u32 s40, s40, 1
	s_addc_u32 s41, s41, 0
	s_andn2_b64 s[38:39], s[38:39], exec
	s_waitcnt vmcnt(0)
	v_cmp_ne_u16_e32 vcc, v18, v19
	s_and_b64 s[42:43], vcc, exec
	s_or_b64 s[38:39], s[38:39], s[42:43]
.LBB1427_75:                            ;   in Loop: Header=BB1427_76 Depth=1
	s_and_b64 s[42:43], exec, s[38:39]
	s_or_b64 s[8:9], s[42:43], s[8:9]
	v_pk_mov_b32 v[18:19], s[40:41], s[40:41] op_sel:[0,1]
	s_andn2_b64 exec, exec, s[8:9]
	s_cbranch_execz .LBB1427_78
.LBB1427_76:                            ; =>This Inner Loop Header: Depth=1
	s_or_b64 s[38:39], s[38:39], exec
	s_cmp_eq_u64 s[6:7], s[40:41]
	s_cbranch_scc0 .LBB1427_74
; %bb.77:                               ;   in Loop: Header=BB1427_76 Depth=1
                                        ; implicit-def: $vgpr12_vgpr13
                                        ; implicit-def: $vgpr16_vgpr17
	s_mov_b64 s[40:41], s[26:27]
	s_branch .LBB1427_75
.LBB1427_78:
	s_or_b64 exec, exec, s[8:9]
	v_cmp_gt_i64_e32 vcc, s[26:27], v[18:19]
	s_orn2_b64 s[38:39], vcc, exec
.LBB1427_79:
	s_or_b64 exec, exec, s[10:11]
.LBB1427_80:
	s_and_b64 s[10:11], s[38:39], exec
.LBB1427_81:
	s_or_b64 exec, exec, s[36:37]
	v_cmp_gt_u32_e32 vcc, s48, v25
	s_and_saveexec_b64 s[36:37], vcc
	s_cbranch_execz .LBB1427_92
; %bb.82:
	s_and_b64 vcc, exec, s[4:5]
	s_mov_b64 s[38:39], 0
	s_cbranch_vccnz .LBB1427_91
; %bb.83:
	v_mul_lo_u32 v16, v3, s26
	v_mul_lo_u32 v17, v2, s27
	v_mad_u64_u32 v[12:13], s[6:7], v2, s26, 0
	v_add3_u32 v13, v13, v17, v16
	v_mul_lo_u32 v16, v5, s26
	v_mul_lo_u32 v17, v4, s27
	v_mad_u64_u32 v[20:21], s[6:7], v4, s26, 0
	v_add3_u32 v21, v21, v17, v16
	v_lshlrev_b64 v[16:17], 1, v[12:13]
	v_mov_b32_e32 v12, s17
	v_add_co_u32_e32 v18, vcc, s16, v16
	v_addc_co_u32_e64 v19, s[6:7], v12, v17, vcc
	v_lshlrev_b64 v[12:13], 1, v[20:21]
	v_mov_b32_e32 v16, s17
	v_add_co_u32_e64 v20, s[6:7], s16, v12
	v_addc_co_u32_e64 v21, s[8:9], v16, v13, s[6:7]
	global_load_ushort v12, v[18:19], off
	global_load_ushort v16, v[20:21], off
	s_mov_b64 s[38:39], -1
	s_waitcnt vmcnt(0)
	v_cmp_eq_u16_e64 s[8:9], v12, v16
	s_and_saveexec_b64 s[14:15], s[8:9]
	s_cbranch_execz .LBB1427_90
; %bb.84:
	v_mov_b32_e32 v12, s17
	v_addc_co_u32_e64 v13, s[6:7], v13, v12, s[6:7]
	v_add_co_u32_e64 v12, s[6:7], 2, v20
	v_mov_b32_e32 v16, s17
	v_addc_co_u32_e64 v13, s[6:7], 0, v13, s[6:7]
	v_addc_co_u32_e32 v17, vcc, v17, v16, vcc
	v_add_co_u32_e32 v16, vcc, 2, v18
	s_add_u32 s6, s26, -1
	v_addc_co_u32_e32 v17, vcc, 0, v17, vcc
	s_addc_u32 s7, s27, -1
	s_mov_b64 s[8:9], 0
	s_mov_b64 s[40:41], 0
                                        ; implicit-def: $sgpr38_sgpr39
	s_branch .LBB1427_87
.LBB1427_85:                            ;   in Loop: Header=BB1427_87 Depth=1
	global_load_ushort v18, v[16:17], off
	global_load_ushort v19, v[12:13], off
	v_add_co_u32_e32 v12, vcc, 2, v12
	v_addc_co_u32_e32 v13, vcc, 0, v13, vcc
	v_add_co_u32_e32 v16, vcc, 2, v16
	v_addc_co_u32_e32 v17, vcc, 0, v17, vcc
	s_add_u32 s40, s40, 1
	s_addc_u32 s41, s41, 0
	s_andn2_b64 s[38:39], s[38:39], exec
	s_waitcnt vmcnt(0)
	v_cmp_ne_u16_e32 vcc, v18, v19
	s_and_b64 s[42:43], vcc, exec
	s_or_b64 s[38:39], s[38:39], s[42:43]
.LBB1427_86:                            ;   in Loop: Header=BB1427_87 Depth=1
	s_and_b64 s[42:43], exec, s[38:39]
	s_or_b64 s[8:9], s[42:43], s[8:9]
	v_pk_mov_b32 v[18:19], s[40:41], s[40:41] op_sel:[0,1]
	s_andn2_b64 exec, exec, s[8:9]
	s_cbranch_execz .LBB1427_89
.LBB1427_87:                            ; =>This Inner Loop Header: Depth=1
	s_or_b64 s[38:39], s[38:39], exec
	s_cmp_eq_u64 s[6:7], s[40:41]
	s_cbranch_scc0 .LBB1427_85
; %bb.88:                               ;   in Loop: Header=BB1427_87 Depth=1
                                        ; implicit-def: $vgpr12_vgpr13
                                        ; implicit-def: $vgpr16_vgpr17
	s_mov_b64 s[40:41], s[26:27]
	s_branch .LBB1427_86
.LBB1427_89:
	s_or_b64 exec, exec, s[8:9]
	v_cmp_gt_i64_e32 vcc, s[26:27], v[18:19]
	s_orn2_b64 s[38:39], vcc, exec
.LBB1427_90:
	s_or_b64 exec, exec, s[14:15]
.LBB1427_91:
	s_and_b64 s[14:15], s[38:39], exec
.LBB1427_92:
	s_or_b64 exec, exec, s[36:37]
	v_cmp_gt_u32_e32 vcc, s48, v22
	s_mov_b64 s[36:37], 0
	s_mov_b64 s[38:39], 0
	s_and_saveexec_b64 s[40:41], vcc
	s_cbranch_execz .LBB1427_103
; %bb.93:
	s_and_b64 vcc, exec, s[4:5]
	s_mov_b64 s[42:43], 0
	s_cbranch_vccnz .LBB1427_102
; %bb.94:
	v_mul_lo_u32 v16, v9, s26
	v_mul_lo_u32 v17, v8, s27
	v_mad_u64_u32 v[12:13], s[6:7], v8, s26, 0
	v_add3_u32 v13, v13, v17, v16
	v_mul_lo_u32 v16, v3, s26
	v_mul_lo_u32 v17, v2, s27
	v_mad_u64_u32 v[20:21], s[6:7], v2, s26, 0
	v_add3_u32 v21, v21, v17, v16
	v_lshlrev_b64 v[16:17], 1, v[12:13]
	v_mov_b32_e32 v12, s17
	v_add_co_u32_e32 v18, vcc, s16, v16
	v_addc_co_u32_e64 v19, s[6:7], v12, v17, vcc
	v_lshlrev_b64 v[12:13], 1, v[20:21]
	v_mov_b32_e32 v16, s17
	v_add_co_u32_e64 v20, s[6:7], s16, v12
	v_addc_co_u32_e64 v21, s[8:9], v16, v13, s[6:7]
	global_load_ushort v12, v[18:19], off
	global_load_ushort v16, v[20:21], off
	s_mov_b64 s[42:43], -1
	s_waitcnt vmcnt(0)
	v_cmp_eq_u16_e64 s[8:9], v12, v16
	s_and_saveexec_b64 s[38:39], s[8:9]
	s_cbranch_execz .LBB1427_101
; %bb.95:
	v_mov_b32_e32 v12, s17
	v_addc_co_u32_e64 v13, s[6:7], v13, v12, s[6:7]
	v_add_co_u32_e64 v12, s[6:7], 2, v20
	v_mov_b32_e32 v16, s17
	v_addc_co_u32_e64 v13, s[6:7], 0, v13, s[6:7]
	v_addc_co_u32_e32 v17, vcc, v17, v16, vcc
	v_add_co_u32_e32 v16, vcc, 2, v18
	s_add_u32 s6, s26, -1
	v_addc_co_u32_e32 v17, vcc, 0, v17, vcc
	s_addc_u32 s7, s27, -1
	s_mov_b64 s[8:9], 0
	s_mov_b64 s[44:45], 0
                                        ; implicit-def: $sgpr42_sgpr43
	s_branch .LBB1427_98
.LBB1427_96:                            ;   in Loop: Header=BB1427_98 Depth=1
	global_load_ushort v18, v[16:17], off
	global_load_ushort v19, v[12:13], off
	v_add_co_u32_e32 v12, vcc, 2, v12
	v_addc_co_u32_e32 v13, vcc, 0, v13, vcc
	v_add_co_u32_e32 v16, vcc, 2, v16
	v_addc_co_u32_e32 v17, vcc, 0, v17, vcc
	s_add_u32 s44, s44, 1
	s_addc_u32 s45, s45, 0
	s_andn2_b64 s[42:43], s[42:43], exec
	s_waitcnt vmcnt(0)
	v_cmp_ne_u16_e32 vcc, v18, v19
	s_and_b64 s[46:47], vcc, exec
	s_or_b64 s[42:43], s[42:43], s[46:47]
.LBB1427_97:                            ;   in Loop: Header=BB1427_98 Depth=1
	s_and_b64 s[46:47], exec, s[42:43]
	s_or_b64 s[8:9], s[46:47], s[8:9]
	v_pk_mov_b32 v[18:19], s[44:45], s[44:45] op_sel:[0,1]
	s_andn2_b64 exec, exec, s[8:9]
	s_cbranch_execz .LBB1427_100
.LBB1427_98:                            ; =>This Inner Loop Header: Depth=1
	s_or_b64 s[42:43], s[42:43], exec
	s_cmp_eq_u64 s[6:7], s[44:45]
	s_cbranch_scc0 .LBB1427_96
; %bb.99:                               ;   in Loop: Header=BB1427_98 Depth=1
                                        ; implicit-def: $vgpr12_vgpr13
                                        ; implicit-def: $vgpr16_vgpr17
	s_mov_b64 s[44:45], s[26:27]
	s_branch .LBB1427_97
.LBB1427_100:
	s_or_b64 exec, exec, s[8:9]
	v_cmp_gt_i64_e32 vcc, s[26:27], v[18:19]
	s_orn2_b64 s[42:43], vcc, exec
.LBB1427_101:
	s_or_b64 exec, exec, s[38:39]
.LBB1427_102:
	s_and_b64 s[38:39], s[42:43], exec
.LBB1427_103:
	s_or_b64 exec, exec, s[40:41]
	v_cmp_gt_u32_e32 vcc, s48, v24
	s_and_saveexec_b64 s[40:41], vcc
	s_cbranch_execz .LBB1427_114
; %bb.104:
	s_and_b64 vcc, exec, s[4:5]
	s_mov_b64 s[42:43], 0
	s_cbranch_vccnz .LBB1427_113
; %bb.105:
	v_mul_lo_u32 v16, v7, s26
	v_mul_lo_u32 v17, v6, s27
	v_mad_u64_u32 v[12:13], s[6:7], v6, s26, 0
	v_add3_u32 v13, v13, v17, v16
	v_mul_lo_u32 v16, v9, s26
	v_mul_lo_u32 v17, v8, s27
	v_mad_u64_u32 v[20:21], s[6:7], v8, s26, 0
	v_add3_u32 v21, v21, v17, v16
	v_lshlrev_b64 v[16:17], 1, v[12:13]
	v_mov_b32_e32 v12, s17
	v_add_co_u32_e32 v18, vcc, s16, v16
	v_addc_co_u32_e64 v19, s[6:7], v12, v17, vcc
	v_lshlrev_b64 v[12:13], 1, v[20:21]
	v_mov_b32_e32 v16, s17
	v_add_co_u32_e64 v20, s[6:7], s16, v12
	v_addc_co_u32_e64 v21, s[8:9], v16, v13, s[6:7]
	global_load_ushort v12, v[18:19], off
	global_load_ushort v16, v[20:21], off
	s_mov_b64 s[42:43], -1
	s_waitcnt vmcnt(0)
	v_cmp_eq_u16_e64 s[8:9], v12, v16
	s_and_saveexec_b64 s[36:37], s[8:9]
	s_cbranch_execz .LBB1427_112
; %bb.106:
	v_mov_b32_e32 v12, s17
	v_addc_co_u32_e64 v13, s[6:7], v13, v12, s[6:7]
	v_add_co_u32_e64 v12, s[6:7], 2, v20
	v_mov_b32_e32 v16, s17
	v_addc_co_u32_e64 v13, s[6:7], 0, v13, s[6:7]
	v_addc_co_u32_e32 v17, vcc, v17, v16, vcc
	v_add_co_u32_e32 v16, vcc, 2, v18
	s_add_u32 s6, s26, -1
	v_addc_co_u32_e32 v17, vcc, 0, v17, vcc
	s_addc_u32 s7, s27, -1
	s_mov_b64 s[8:9], 0
	s_mov_b64 s[44:45], 0
                                        ; implicit-def: $sgpr42_sgpr43
	s_branch .LBB1427_109
.LBB1427_107:                           ;   in Loop: Header=BB1427_109 Depth=1
	global_load_ushort v18, v[16:17], off
	global_load_ushort v19, v[12:13], off
	v_add_co_u32_e32 v12, vcc, 2, v12
	v_addc_co_u32_e32 v13, vcc, 0, v13, vcc
	v_add_co_u32_e32 v16, vcc, 2, v16
	v_addc_co_u32_e32 v17, vcc, 0, v17, vcc
	s_add_u32 s44, s44, 1
	s_addc_u32 s45, s45, 0
	s_andn2_b64 s[42:43], s[42:43], exec
	s_waitcnt vmcnt(0)
	v_cmp_ne_u16_e32 vcc, v18, v19
	s_and_b64 s[46:47], vcc, exec
	s_or_b64 s[42:43], s[42:43], s[46:47]
.LBB1427_108:                           ;   in Loop: Header=BB1427_109 Depth=1
	s_and_b64 s[46:47], exec, s[42:43]
	s_or_b64 s[8:9], s[46:47], s[8:9]
	v_pk_mov_b32 v[18:19], s[44:45], s[44:45] op_sel:[0,1]
	s_andn2_b64 exec, exec, s[8:9]
	s_cbranch_execz .LBB1427_111
.LBB1427_109:                           ; =>This Inner Loop Header: Depth=1
	s_or_b64 s[42:43], s[42:43], exec
	s_cmp_eq_u64 s[6:7], s[44:45]
	s_cbranch_scc0 .LBB1427_107
; %bb.110:                              ;   in Loop: Header=BB1427_109 Depth=1
                                        ; implicit-def: $vgpr12_vgpr13
                                        ; implicit-def: $vgpr16_vgpr17
	s_mov_b64 s[44:45], s[26:27]
	s_branch .LBB1427_108
.LBB1427_111:
	s_or_b64 exec, exec, s[8:9]
	v_cmp_gt_i64_e32 vcc, s[26:27], v[18:19]
	s_orn2_b64 s[42:43], vcc, exec
.LBB1427_112:
	s_or_b64 exec, exec, s[36:37]
.LBB1427_113:
	s_and_b64 s[36:37], s[42:43], exec
.LBB1427_114:
	s_or_b64 exec, exec, s[40:41]
	s_waitcnt lgkmcnt(0)
	s_barrier
	s_and_saveexec_b64 s[6:7], s[2:3]
	s_cbranch_execz .LBB1427_116
; %bb.115:
	v_add_u32_e32 v12, -8, v27
	s_waitcnt vmcnt(0)
	ds_read_b64 v[14:15], v12
.LBB1427_116:
	s_or_b64 exec, exec, s[6:7]
	v_cndmask_b32_e64 v13, 0, 1, s[14:15]
	v_cndmask_b32_e64 v12, 0, 1, s[38:39]
	v_cndmask_b32_e64 v16, 0, 1, s[36:37]
	v_lshlrev_b16_e32 v13, 8, v13
	v_cmp_gt_u32_e32 vcc, s48, v1
	v_lshlrev_b16_e32 v20, 8, v16
	v_or_b32_sdwa v21, v12, v13 dst_sel:WORD_1 dst_unused:UNUSED_PAD src0_sel:DWORD src1_sel:DWORD
	s_mov_b64 s[36:37], 0
	s_and_saveexec_b64 s[8:9], vcc
	s_cbranch_execz .LBB1427_127
; %bb.117:
	s_and_b64 vcc, exec, s[4:5]
	s_cbranch_vccnz .LBB1427_126
; %bb.118:
	s_waitcnt vmcnt(0) lgkmcnt(0)
	v_mul_lo_u32 v15, v15, s26
	v_mul_lo_u32 v16, v14, s27
	v_mad_u64_u32 v[12:13], s[4:5], v14, s26, 0
	v_add3_u32 v13, v13, v16, v15
	v_mul_lo_u32 v14, v7, s26
	v_mul_lo_u32 v15, v6, s27
	v_mad_u64_u32 v[18:19], s[4:5], v6, s26, 0
	v_add3_u32 v19, v19, v15, v14
	v_lshlrev_b64 v[14:15], 1, v[12:13]
	v_mov_b32_e32 v12, s17
	v_add_co_u32_e32 v16, vcc, s16, v14
	v_addc_co_u32_e64 v17, s[4:5], v12, v15, vcc
	v_lshlrev_b64 v[12:13], 1, v[18:19]
	v_mov_b32_e32 v14, s17
	v_add_co_u32_e64 v18, s[4:5], s16, v12
	v_addc_co_u32_e64 v19, s[6:7], v14, v13, s[4:5]
	global_load_ushort v12, v[16:17], off
	global_load_ushort v14, v[18:19], off
	s_mov_b64 s[36:37], -1
	s_waitcnt vmcnt(0)
	v_cmp_eq_u16_e64 s[6:7], v12, v14
	s_and_saveexec_b64 s[14:15], s[6:7]
	s_cbranch_execz .LBB1427_125
; %bb.119:
	v_mov_b32_e32 v12, s17
	v_addc_co_u32_e64 v13, s[4:5], v13, v12, s[4:5]
	v_add_co_u32_e64 v12, s[4:5], 2, v18
	v_mov_b32_e32 v14, s17
	v_addc_co_u32_e64 v13, s[4:5], 0, v13, s[4:5]
	v_addc_co_u32_e32 v15, vcc, v15, v14, vcc
	v_add_co_u32_e32 v14, vcc, 2, v16
	s_add_u32 s4, s26, -1
	v_addc_co_u32_e32 v15, vcc, 0, v15, vcc
	s_addc_u32 s5, s27, -1
	s_mov_b64 s[6:7], 0
	s_mov_b64 s[38:39], 0
                                        ; implicit-def: $sgpr36_sgpr37
	s_branch .LBB1427_122
.LBB1427_120:                           ;   in Loop: Header=BB1427_122 Depth=1
	global_load_ushort v16, v[14:15], off
	global_load_ushort v17, v[12:13], off
	v_add_co_u32_e32 v12, vcc, 2, v12
	v_addc_co_u32_e32 v13, vcc, 0, v13, vcc
	v_add_co_u32_e32 v14, vcc, 2, v14
	v_addc_co_u32_e32 v15, vcc, 0, v15, vcc
	s_add_u32 s38, s38, 1
	s_addc_u32 s39, s39, 0
	s_andn2_b64 s[36:37], s[36:37], exec
	s_waitcnt vmcnt(0)
	v_cmp_ne_u16_e32 vcc, v16, v17
	s_and_b64 s[40:41], vcc, exec
	s_or_b64 s[36:37], s[36:37], s[40:41]
.LBB1427_121:                           ;   in Loop: Header=BB1427_122 Depth=1
	s_and_b64 s[40:41], exec, s[36:37]
	s_or_b64 s[6:7], s[40:41], s[6:7]
	v_pk_mov_b32 v[16:17], s[38:39], s[38:39] op_sel:[0,1]
	s_andn2_b64 exec, exec, s[6:7]
	s_cbranch_execz .LBB1427_124
.LBB1427_122:                           ; =>This Inner Loop Header: Depth=1
	s_or_b64 s[36:37], s[36:37], exec
	s_cmp_eq_u64 s[4:5], s[38:39]
	s_cbranch_scc0 .LBB1427_120
; %bb.123:                              ;   in Loop: Header=BB1427_122 Depth=1
                                        ; implicit-def: $vgpr12_vgpr13
                                        ; implicit-def: $vgpr14_vgpr15
	s_mov_b64 s[38:39], s[26:27]
	s_branch .LBB1427_121
.LBB1427_124:
	s_or_b64 exec, exec, s[6:7]
	v_cmp_gt_i64_e32 vcc, s[26:27], v[16:17]
	s_orn2_b64 s[36:37], vcc, exec
.LBB1427_125:
	s_or_b64 exec, exec, s[14:15]
.LBB1427_126:
	s_and_b64 s[36:37], s[36:37], exec
.LBB1427_127:
	s_or_b64 exec, exec, s[8:9]
	v_cndmask_b32_e64 v13, 0, 1, s[10:11]
	v_or_b32_e32 v16, v20, v21
.LBB1427_128:
	s_mov_b64 s[14:15], -1
	s_cbranch_execnz .LBB1427_237
.LBB1427_129:
	v_lshlrev_b32_e32 v12, 5, v0
	v_sub_u32_e32 v26, v26, v12
	s_mov_b64 s[36:37], 0
	v_cmp_gt_i64_e64 s[10:11], s[26:27], 0
	s_and_b64 vcc, exec, s[30:31]
	ds_write_b64 v26, v[10:11]
	s_cbranch_vccz .LBB1427_137
; %bb.130:
	s_waitcnt vmcnt(0) lgkmcnt(1)
	v_mul_lo_u32 v14, v5, s26
	v_mul_lo_u32 v15, v4, s27
	v_mad_u64_u32 v[12:13], s[4:5], v4, s26, 0
	v_add3_u32 v13, v13, v15, v14
	v_cndmask_b32_e64 v14, 0, 1, s[10:11]
	v_cmp_ne_u32_e64 s[4:5], 1, v14
	s_andn2_b64 vcc, exec, s[10:11]
	v_lshlrev_b64 v[12:13], 1, v[12:13]
	s_cbranch_vccnz .LBB1427_140
; %bb.131:
	v_mul_lo_u32 v16, v11, s26
	v_mul_lo_u32 v17, v10, s27
	v_mad_u64_u32 v[14:15], s[6:7], v10, s26, 0
	v_add3_u32 v15, v15, v17, v16
	v_mov_b32_e32 v17, s17
	v_add_co_u32_e32 v16, vcc, s16, v12
	v_addc_co_u32_e64 v17, s[6:7], v17, v13, vcc
	v_lshlrev_b64 v[14:15], 1, v[14:15]
	v_mov_b32_e32 v19, s17
	v_add_co_u32_e64 v18, s[6:7], s16, v14
	v_addc_co_u32_e64 v19, s[8:9], v19, v15, s[6:7]
	global_load_ushort v14, v[16:17], off
	global_load_ushort v20, v[18:19], off
	s_mov_b64 s[36:37], -1
	s_waitcnt vmcnt(0)
	v_cmp_eq_u16_e64 s[8:9], v14, v20
	s_and_saveexec_b64 s[38:39], s[8:9]
	s_cbranch_execz .LBB1427_139
; %bb.132:
	v_mov_b32_e32 v14, s17
	v_addc_co_u32_e64 v15, s[6:7], v15, v14, s[6:7]
	v_add_co_u32_e64 v14, s[6:7], 2, v18
	v_mov_b32_e32 v17, s17
	v_addc_co_u32_e64 v15, s[6:7], 0, v15, s[6:7]
	v_addc_co_u32_e32 v17, vcc, v13, v17, vcc
	v_add_co_u32_e32 v16, vcc, 2, v16
	s_add_u32 s6, s26, -1
	v_addc_co_u32_e32 v17, vcc, 0, v17, vcc
	s_addc_u32 s7, s27, -1
	s_mov_b64 s[8:9], 0
	s_mov_b64 s[40:41], 0
                                        ; implicit-def: $sgpr36_sgpr37
	s_branch .LBB1427_135
.LBB1427_133:                           ;   in Loop: Header=BB1427_135 Depth=1
	global_load_ushort v18, v[16:17], off
	global_load_ushort v19, v[14:15], off
	v_add_co_u32_e32 v14, vcc, 2, v14
	v_addc_co_u32_e32 v15, vcc, 0, v15, vcc
	v_add_co_u32_e32 v16, vcc, 2, v16
	v_addc_co_u32_e32 v17, vcc, 0, v17, vcc
	s_add_u32 s40, s40, 1
	s_addc_u32 s41, s41, 0
	s_andn2_b64 s[36:37], s[36:37], exec
	s_waitcnt vmcnt(0)
	v_cmp_ne_u16_e32 vcc, v18, v19
	s_and_b64 s[42:43], vcc, exec
	s_or_b64 s[36:37], s[36:37], s[42:43]
.LBB1427_134:                           ;   in Loop: Header=BB1427_135 Depth=1
	s_and_b64 s[42:43], exec, s[36:37]
	s_or_b64 s[8:9], s[42:43], s[8:9]
	v_pk_mov_b32 v[18:19], s[40:41], s[40:41] op_sel:[0,1]
	s_andn2_b64 exec, exec, s[8:9]
	s_cbranch_execz .LBB1427_138
.LBB1427_135:                           ; =>This Inner Loop Header: Depth=1
	s_or_b64 s[36:37], s[36:37], exec
	s_cmp_eq_u64 s[6:7], s[40:41]
	s_cbranch_scc0 .LBB1427_133
; %bb.136:                              ;   in Loop: Header=BB1427_135 Depth=1
                                        ; implicit-def: $vgpr14_vgpr15
                                        ; implicit-def: $vgpr16_vgpr17
	s_mov_b64 s[40:41], s[26:27]
	s_branch .LBB1427_134
.LBB1427_137:
                                        ; implicit-def: $sgpr36_sgpr37
                                        ; implicit-def: $vgpr13
                                        ; implicit-def: $vgpr16
	s_cbranch_execnz .LBB1427_179
	s_branch .LBB1427_237
.LBB1427_138:
	s_or_b64 exec, exec, s[8:9]
	v_cmp_gt_i64_e32 vcc, s[26:27], v[18:19]
	s_orn2_b64 s[36:37], vcc, exec
.LBB1427_139:
	s_or_b64 exec, exec, s[38:39]
.LBB1427_140:
	v_mul_lo_u32 v16, v3, s26
	v_mul_lo_u32 v17, v2, s27
	v_mad_u64_u32 v[14:15], s[6:7], v2, s26, 0
	v_add3_u32 v15, v15, v17, v16
	s_mov_b64 s[38:39], 0
	s_and_b64 vcc, exec, s[4:5]
	v_lshlrev_b64 v[14:15], 1, v[14:15]
	s_mov_b64 s[40:41], 0
	s_cbranch_vccnz .LBB1427_149
; %bb.141:
	v_mov_b32_e32 v17, s17
	v_add_co_u32_e32 v16, vcc, s16, v14
	v_addc_co_u32_e64 v17, s[6:7], v17, v15, vcc
	v_mov_b32_e32 v19, s17
	v_add_co_u32_e64 v18, s[6:7], s16, v12
	v_addc_co_u32_e64 v19, s[8:9], v19, v13, s[6:7]
	global_load_ushort v12, v[16:17], off
	global_load_ushort v20, v[18:19], off
	s_mov_b64 s[40:41], -1
	s_waitcnt vmcnt(0)
	v_cmp_eq_u16_e64 s[8:9], v12, v20
	s_and_saveexec_b64 s[42:43], s[8:9]
	s_cbranch_execz .LBB1427_148
; %bb.142:
	v_mov_b32_e32 v12, s17
	v_addc_co_u32_e64 v13, s[6:7], v13, v12, s[6:7]
	v_add_co_u32_e64 v12, s[6:7], 2, v18
	v_mov_b32_e32 v17, s17
	v_addc_co_u32_e64 v13, s[6:7], 0, v13, s[6:7]
	v_addc_co_u32_e32 v17, vcc, v15, v17, vcc
	v_add_co_u32_e32 v16, vcc, 2, v16
	s_add_u32 s6, s26, -1
	v_addc_co_u32_e32 v17, vcc, 0, v17, vcc
	s_addc_u32 s7, s27, -1
	s_mov_b64 s[8:9], 0
	s_mov_b64 s[44:45], 0
                                        ; implicit-def: $sgpr40_sgpr41
	s_branch .LBB1427_145
.LBB1427_143:                           ;   in Loop: Header=BB1427_145 Depth=1
	global_load_ushort v18, v[16:17], off
	global_load_ushort v19, v[12:13], off
	v_add_co_u32_e32 v12, vcc, 2, v12
	v_addc_co_u32_e32 v13, vcc, 0, v13, vcc
	v_add_co_u32_e32 v16, vcc, 2, v16
	v_addc_co_u32_e32 v17, vcc, 0, v17, vcc
	s_add_u32 s44, s44, 1
	s_addc_u32 s45, s45, 0
	s_andn2_b64 s[40:41], s[40:41], exec
	s_waitcnt vmcnt(0)
	v_cmp_ne_u16_e32 vcc, v18, v19
	s_and_b64 s[46:47], vcc, exec
	s_or_b64 s[40:41], s[40:41], s[46:47]
.LBB1427_144:                           ;   in Loop: Header=BB1427_145 Depth=1
	s_and_b64 s[46:47], exec, s[40:41]
	s_or_b64 s[8:9], s[46:47], s[8:9]
	v_pk_mov_b32 v[18:19], s[44:45], s[44:45] op_sel:[0,1]
	s_andn2_b64 exec, exec, s[8:9]
	s_cbranch_execz .LBB1427_147
.LBB1427_145:                           ; =>This Inner Loop Header: Depth=1
	s_or_b64 s[40:41], s[40:41], exec
	s_cmp_eq_u64 s[6:7], s[44:45]
	s_cbranch_scc0 .LBB1427_143
; %bb.146:                              ;   in Loop: Header=BB1427_145 Depth=1
                                        ; implicit-def: $vgpr12_vgpr13
                                        ; implicit-def: $vgpr16_vgpr17
	s_mov_b64 s[44:45], s[26:27]
	s_branch .LBB1427_144
.LBB1427_147:
	s_or_b64 exec, exec, s[8:9]
	v_cmp_gt_i64_e32 vcc, s[26:27], v[18:19]
	s_orn2_b64 s[40:41], vcc, exec
.LBB1427_148:
	s_or_b64 exec, exec, s[42:43]
.LBB1427_149:
	v_mul_lo_u32 v16, v9, s26
	v_mul_lo_u32 v17, v8, s27
	v_mad_u64_u32 v[12:13], s[6:7], v8, s26, 0
	v_add3_u32 v13, v13, v17, v16
	s_and_b64 vcc, exec, s[4:5]
	v_lshlrev_b64 v[12:13], 1, v[12:13]
	s_cbranch_vccnz .LBB1427_158
; %bb.150:
	v_mov_b32_e32 v17, s17
	v_add_co_u32_e32 v16, vcc, s16, v12
	v_addc_co_u32_e64 v17, s[6:7], v17, v13, vcc
	v_mov_b32_e32 v19, s17
	v_add_co_u32_e64 v18, s[6:7], s16, v14
	v_addc_co_u32_e64 v19, s[8:9], v19, v15, s[6:7]
	global_load_ushort v14, v[16:17], off
	global_load_ushort v20, v[18:19], off
	s_mov_b64 s[38:39], -1
	s_waitcnt vmcnt(0)
	v_cmp_eq_u16_e64 s[8:9], v14, v20
	s_and_saveexec_b64 s[42:43], s[8:9]
	s_cbranch_execz .LBB1427_157
; %bb.151:
	v_mov_b32_e32 v14, s17
	v_addc_co_u32_e64 v15, s[6:7], v15, v14, s[6:7]
	v_add_co_u32_e64 v14, s[6:7], 2, v18
	v_mov_b32_e32 v17, s17
	v_addc_co_u32_e64 v15, s[6:7], 0, v15, s[6:7]
	v_addc_co_u32_e32 v17, vcc, v13, v17, vcc
	v_add_co_u32_e32 v16, vcc, 2, v16
	s_add_u32 s6, s26, -1
	v_addc_co_u32_e32 v17, vcc, 0, v17, vcc
	s_addc_u32 s7, s27, -1
	s_mov_b64 s[8:9], 0
	s_mov_b64 s[44:45], 0
                                        ; implicit-def: $sgpr38_sgpr39
	s_branch .LBB1427_154
.LBB1427_152:                           ;   in Loop: Header=BB1427_154 Depth=1
	global_load_ushort v18, v[16:17], off
	global_load_ushort v19, v[14:15], off
	v_add_co_u32_e32 v14, vcc, 2, v14
	v_addc_co_u32_e32 v15, vcc, 0, v15, vcc
	v_add_co_u32_e32 v16, vcc, 2, v16
	v_addc_co_u32_e32 v17, vcc, 0, v17, vcc
	s_add_u32 s44, s44, 1
	s_addc_u32 s45, s45, 0
	s_andn2_b64 s[38:39], s[38:39], exec
	s_waitcnt vmcnt(0)
	v_cmp_ne_u16_e32 vcc, v18, v19
	s_and_b64 s[46:47], vcc, exec
	s_or_b64 s[38:39], s[38:39], s[46:47]
.LBB1427_153:                           ;   in Loop: Header=BB1427_154 Depth=1
	s_and_b64 s[46:47], exec, s[38:39]
	s_or_b64 s[8:9], s[46:47], s[8:9]
	v_pk_mov_b32 v[18:19], s[44:45], s[44:45] op_sel:[0,1]
	s_andn2_b64 exec, exec, s[8:9]
	s_cbranch_execz .LBB1427_156
.LBB1427_154:                           ; =>This Inner Loop Header: Depth=1
	s_or_b64 s[38:39], s[38:39], exec
	s_cmp_eq_u64 s[6:7], s[44:45]
	s_cbranch_scc0 .LBB1427_152
; %bb.155:                              ;   in Loop: Header=BB1427_154 Depth=1
                                        ; implicit-def: $vgpr14_vgpr15
                                        ; implicit-def: $vgpr16_vgpr17
	s_mov_b64 s[44:45], s[26:27]
	s_branch .LBB1427_153
.LBB1427_156:
	s_or_b64 exec, exec, s[8:9]
	v_cmp_gt_i64_e32 vcc, s[26:27], v[18:19]
	s_orn2_b64 s[38:39], vcc, exec
.LBB1427_157:
	s_or_b64 exec, exec, s[42:43]
.LBB1427_158:
	v_mul_lo_u32 v16, v7, s26
	v_mul_lo_u32 v17, v6, s27
	v_mad_u64_u32 v[14:15], s[6:7], v6, s26, 0
	v_add3_u32 v15, v15, v17, v16
	s_and_b64 vcc, exec, s[4:5]
	s_mov_b64 s[44:45], 0
	s_cbranch_vccnz .LBB1427_167
; %bb.159:
	v_lshlrev_b64 v[16:17], 1, v[14:15]
	v_mov_b32_e32 v19, s17
	v_add_co_u32_e32 v18, vcc, s16, v16
	v_addc_co_u32_e64 v19, s[6:7], v19, v17, vcc
	v_mov_b32_e32 v16, s17
	v_add_co_u32_e64 v20, s[6:7], s16, v12
	v_addc_co_u32_e64 v21, s[8:9], v16, v13, s[6:7]
	global_load_ushort v12, v[18:19], off
	global_load_ushort v16, v[20:21], off
	s_mov_b64 s[44:45], -1
	s_waitcnt vmcnt(0)
	v_cmp_eq_u16_e64 s[8:9], v12, v16
	s_and_saveexec_b64 s[42:43], s[8:9]
	s_cbranch_execz .LBB1427_166
; %bb.160:
	v_mov_b32_e32 v12, s17
	v_addc_co_u32_e64 v13, s[6:7], v13, v12, s[6:7]
	v_add_co_u32_e64 v12, s[6:7], 2, v20
	v_mov_b32_e32 v16, s17
	v_addc_co_u32_e64 v13, s[6:7], 0, v13, s[6:7]
	v_addc_co_u32_e32 v17, vcc, v17, v16, vcc
	v_add_co_u32_e32 v16, vcc, 2, v18
	s_add_u32 s6, s26, -1
	v_addc_co_u32_e32 v17, vcc, 0, v17, vcc
	s_addc_u32 s7, s27, -1
	s_mov_b64 s[8:9], 0
	s_mov_b64 s[46:47], 0
                                        ; implicit-def: $sgpr44_sgpr45
	s_branch .LBB1427_163
.LBB1427_161:                           ;   in Loop: Header=BB1427_163 Depth=1
	global_load_ushort v18, v[16:17], off
	global_load_ushort v19, v[12:13], off
	v_add_co_u32_e32 v12, vcc, 2, v12
	v_addc_co_u32_e32 v13, vcc, 0, v13, vcc
	v_add_co_u32_e32 v16, vcc, 2, v16
	v_addc_co_u32_e32 v17, vcc, 0, v17, vcc
	s_add_u32 s46, s46, 1
	s_addc_u32 s47, s47, 0
	s_andn2_b64 s[44:45], s[44:45], exec
	s_waitcnt vmcnt(0)
	v_cmp_ne_u16_e32 vcc, v18, v19
	s_and_b64 s[50:51], vcc, exec
	s_or_b64 s[44:45], s[44:45], s[50:51]
.LBB1427_162:                           ;   in Loop: Header=BB1427_163 Depth=1
	s_and_b64 s[50:51], exec, s[44:45]
	s_or_b64 s[8:9], s[50:51], s[8:9]
	v_pk_mov_b32 v[18:19], s[46:47], s[46:47] op_sel:[0,1]
	s_andn2_b64 exec, exec, s[8:9]
	s_cbranch_execz .LBB1427_165
.LBB1427_163:                           ; =>This Inner Loop Header: Depth=1
	s_or_b64 s[44:45], s[44:45], exec
	s_cmp_eq_u64 s[6:7], s[46:47]
	s_cbranch_scc0 .LBB1427_161
; %bb.164:                              ;   in Loop: Header=BB1427_163 Depth=1
                                        ; implicit-def: $vgpr12_vgpr13
                                        ; implicit-def: $vgpr16_vgpr17
	s_mov_b64 s[46:47], s[26:27]
	s_branch .LBB1427_162
.LBB1427_165:
	s_or_b64 exec, exec, s[8:9]
	v_cmp_gt_i64_e32 vcc, s[26:27], v[18:19]
	s_orn2_b64 s[44:45], vcc, exec
.LBB1427_166:
	s_or_b64 exec, exec, s[42:43]
.LBB1427_167:
	v_cndmask_b32_e64 v13, 0, 1, s[40:41]
	v_cndmask_b32_e64 v16, 0, 1, s[44:45]
	;; [unrolled: 1-line block ×3, first 2 shown]
	v_lshlrev_b16_e32 v16, 8, v16
	v_lshlrev_b16_e32 v13, 8, v13
	v_or_b32_e32 v16, 1, v16
	v_or_b32_sdwa v12, v12, v13 dst_sel:WORD_1 dst_unused:UNUSED_PAD src0_sel:DWORD src1_sel:DWORD
	v_or_b32_sdwa v12, v16, v12 dst_sel:DWORD dst_unused:UNUSED_PAD src0_sel:WORD_0 src1_sel:DWORD
	v_cndmask_b32_e64 v13, 0, 1, s[36:37]
	s_waitcnt lgkmcnt(0)
	s_barrier
	s_waitcnt lgkmcnt(0)
                                        ; implicit-def: $sgpr36_sgpr37
                                        ; implicit-def: $vgpr16
	s_and_saveexec_b64 s[6:7], s[2:3]
	s_xor_b64 s[8:9], exec, s[6:7]
	s_cbranch_execz .LBB1427_178
; %bb.168:
	s_mov_b32 s42, 0x3020104
	s_and_b64 vcc, exec, s[4:5]
	s_mov_b64 s[38:39], 0
	s_cbranch_vccnz .LBB1427_177
; %bb.169:
	v_add_u32_e32 v16, -8, v26
	ds_read_b64 v[16:17], v16
	v_mov_b32_e32 v19, s17
	v_lshlrev_b64 v[14:15], 1, v[14:15]
	s_mov_b64 s[38:39], -1
	s_waitcnt lgkmcnt(0)
	v_mul_lo_u32 v18, v17, s26
	v_mul_lo_u32 v20, v16, s27
	v_mad_u64_u32 v[16:17], s[4:5], v16, s26, 0
	v_add3_u32 v17, v17, v20, v18
	v_lshlrev_b64 v[16:17], 1, v[16:17]
	v_add_co_u32_e32 v18, vcc, s16, v16
	v_addc_co_u32_e64 v19, s[4:5], v19, v17, vcc
	v_mov_b32_e32 v16, s17
	v_add_co_u32_e64 v20, s[4:5], s16, v14
	v_addc_co_u32_e64 v21, s[6:7], v16, v15, s[4:5]
	global_load_ushort v14, v[18:19], off
	global_load_ushort v16, v[20:21], off
	s_waitcnt vmcnt(0)
	v_cmp_eq_u16_e64 s[6:7], v14, v16
	s_and_saveexec_b64 s[36:37], s[6:7]
	s_cbranch_execz .LBB1427_176
; %bb.170:
	v_mov_b32_e32 v14, s17
	v_addc_co_u32_e64 v15, s[4:5], v15, v14, s[4:5]
	v_add_co_u32_e64 v14, s[4:5], 2, v20
	v_mov_b32_e32 v16, s17
	v_addc_co_u32_e64 v15, s[4:5], 0, v15, s[4:5]
	v_addc_co_u32_e32 v17, vcc, v17, v16, vcc
	v_add_co_u32_e32 v16, vcc, 2, v18
	s_add_u32 s4, s26, -1
	v_addc_co_u32_e32 v17, vcc, 0, v17, vcc
	s_addc_u32 s5, s27, -1
	s_mov_b64 s[6:7], 0
	s_mov_b64 s[40:41], 0
                                        ; implicit-def: $sgpr38_sgpr39
	s_branch .LBB1427_173
.LBB1427_171:                           ;   in Loop: Header=BB1427_173 Depth=1
	global_load_ushort v18, v[16:17], off
	global_load_ushort v19, v[14:15], off
	v_add_co_u32_e32 v14, vcc, 2, v14
	v_addc_co_u32_e32 v15, vcc, 0, v15, vcc
	v_add_co_u32_e32 v16, vcc, 2, v16
	v_addc_co_u32_e32 v17, vcc, 0, v17, vcc
	s_add_u32 s40, s40, 1
	s_addc_u32 s41, s41, 0
	s_andn2_b64 s[38:39], s[38:39], exec
	s_waitcnt vmcnt(0)
	v_cmp_ne_u16_e32 vcc, v18, v19
	s_and_b64 s[44:45], vcc, exec
	s_or_b64 s[38:39], s[38:39], s[44:45]
.LBB1427_172:                           ;   in Loop: Header=BB1427_173 Depth=1
	s_and_b64 s[44:45], exec, s[38:39]
	s_or_b64 s[6:7], s[44:45], s[6:7]
	v_pk_mov_b32 v[18:19], s[40:41], s[40:41] op_sel:[0,1]
	s_andn2_b64 exec, exec, s[6:7]
	s_cbranch_execz .LBB1427_175
.LBB1427_173:                           ; =>This Inner Loop Header: Depth=1
	s_or_b64 s[38:39], s[38:39], exec
	s_cmp_eq_u64 s[4:5], s[40:41]
	s_cbranch_scc0 .LBB1427_171
; %bb.174:                              ;   in Loop: Header=BB1427_173 Depth=1
                                        ; implicit-def: $vgpr14_vgpr15
                                        ; implicit-def: $vgpr16_vgpr17
	s_mov_b64 s[40:41], s[26:27]
	s_branch .LBB1427_172
.LBB1427_175:
	s_or_b64 exec, exec, s[6:7]
	v_cmp_gt_i64_e32 vcc, s[26:27], v[18:19]
	s_orn2_b64 s[38:39], vcc, exec
.LBB1427_176:
	s_or_b64 exec, exec, s[36:37]
.LBB1427_177:
	v_perm_b32 v16, v12, v12, s42
	s_and_b64 s[36:37], s[38:39], exec
	s_or_b64 s[14:15], s[14:15], exec
.LBB1427_178:
	s_or_b64 exec, exec, s[8:9]
	s_branch .LBB1427_237
.LBB1427_179:
	v_cmp_gt_u32_e32 vcc, s48, v23
	s_mov_b64 s[36:37], 0
	s_mov_b64 s[8:9], 0
	s_and_saveexec_b64 s[38:39], vcc
	s_cbranch_execz .LBB1427_190
; %bb.180:
	s_andn2_b64 vcc, exec, s[10:11]
	s_mov_b64 s[40:41], 0
	s_cbranch_vccnz .LBB1427_189
; %bb.181:
	s_waitcnt vmcnt(0) lgkmcnt(1)
	v_mul_lo_u32 v14, v5, s26
	v_mul_lo_u32 v15, v4, s27
	v_mad_u64_u32 v[12:13], s[4:5], v4, s26, 0
	v_add3_u32 v13, v13, v15, v14
	v_mul_lo_u32 v14, v11, s26
	v_mul_lo_u32 v15, v10, s27
	v_mad_u64_u32 v[18:19], s[4:5], v10, s26, 0
	v_add3_u32 v19, v19, v15, v14
	v_lshlrev_b64 v[14:15], 1, v[12:13]
	v_mov_b32_e32 v12, s17
	v_add_co_u32_e32 v16, vcc, s16, v14
	v_addc_co_u32_e64 v17, s[4:5], v12, v15, vcc
	v_lshlrev_b64 v[12:13], 1, v[18:19]
	v_mov_b32_e32 v14, s17
	v_add_co_u32_e64 v18, s[4:5], s16, v12
	v_addc_co_u32_e64 v19, s[6:7], v14, v13, s[4:5]
	global_load_ushort v12, v[16:17], off
	global_load_ushort v14, v[18:19], off
	s_mov_b64 s[40:41], -1
	s_waitcnt vmcnt(0)
	v_cmp_eq_u16_e64 s[6:7], v12, v14
	s_and_saveexec_b64 s[8:9], s[6:7]
	s_cbranch_execz .LBB1427_188
; %bb.182:
	v_mov_b32_e32 v12, s17
	v_addc_co_u32_e64 v13, s[4:5], v13, v12, s[4:5]
	v_add_co_u32_e64 v12, s[4:5], 2, v18
	v_mov_b32_e32 v14, s17
	v_addc_co_u32_e64 v13, s[4:5], 0, v13, s[4:5]
	v_addc_co_u32_e32 v15, vcc, v15, v14, vcc
	v_add_co_u32_e32 v14, vcc, 2, v16
	s_add_u32 s4, s26, -1
	v_addc_co_u32_e32 v15, vcc, 0, v15, vcc
	s_addc_u32 s5, s27, -1
	s_mov_b64 s[6:7], 0
	s_mov_b64 s[42:43], 0
                                        ; implicit-def: $sgpr40_sgpr41
	s_branch .LBB1427_185
.LBB1427_183:                           ;   in Loop: Header=BB1427_185 Depth=1
	global_load_ushort v16, v[14:15], off
	global_load_ushort v17, v[12:13], off
	v_add_co_u32_e32 v12, vcc, 2, v12
	v_addc_co_u32_e32 v13, vcc, 0, v13, vcc
	v_add_co_u32_e32 v14, vcc, 2, v14
	v_addc_co_u32_e32 v15, vcc, 0, v15, vcc
	s_add_u32 s42, s42, 1
	s_addc_u32 s43, s43, 0
	s_andn2_b64 s[40:41], s[40:41], exec
	s_waitcnt vmcnt(0)
	v_cmp_ne_u16_e32 vcc, v16, v17
	s_and_b64 s[44:45], vcc, exec
	s_or_b64 s[40:41], s[40:41], s[44:45]
.LBB1427_184:                           ;   in Loop: Header=BB1427_185 Depth=1
	s_and_b64 s[44:45], exec, s[40:41]
	s_or_b64 s[6:7], s[44:45], s[6:7]
	v_pk_mov_b32 v[16:17], s[42:43], s[42:43] op_sel:[0,1]
	s_andn2_b64 exec, exec, s[6:7]
	s_cbranch_execz .LBB1427_187
.LBB1427_185:                           ; =>This Inner Loop Header: Depth=1
	s_or_b64 s[40:41], s[40:41], exec
	s_cmp_eq_u64 s[4:5], s[42:43]
	s_cbranch_scc0 .LBB1427_183
; %bb.186:                              ;   in Loop: Header=BB1427_185 Depth=1
                                        ; implicit-def: $vgpr12_vgpr13
                                        ; implicit-def: $vgpr14_vgpr15
	s_mov_b64 s[42:43], s[26:27]
	s_branch .LBB1427_184
.LBB1427_187:
	s_or_b64 exec, exec, s[6:7]
	v_cmp_gt_i64_e32 vcc, s[26:27], v[16:17]
	s_orn2_b64 s[40:41], vcc, exec
.LBB1427_188:
	s_or_b64 exec, exec, s[8:9]
.LBB1427_189:
	s_and_b64 s[8:9], s[40:41], exec
.LBB1427_190:
	s_or_b64 exec, exec, s[38:39]
	v_cmp_gt_u32_e32 vcc, s48, v25
	s_and_saveexec_b64 s[38:39], vcc
	s_cbranch_execz .LBB1427_201
; %bb.191:
	s_andn2_b64 vcc, exec, s[10:11]
	s_mov_b64 s[40:41], 0
	s_cbranch_vccnz .LBB1427_200
; %bb.192:
	s_waitcnt vmcnt(0) lgkmcnt(1)
	v_mul_lo_u32 v14, v3, s26
	v_mul_lo_u32 v15, v2, s27
	v_mad_u64_u32 v[12:13], s[4:5], v2, s26, 0
	v_add3_u32 v13, v13, v15, v14
	v_mul_lo_u32 v14, v5, s26
	v_mul_lo_u32 v15, v4, s27
	v_mad_u64_u32 v[18:19], s[4:5], v4, s26, 0
	v_add3_u32 v19, v19, v15, v14
	v_lshlrev_b64 v[14:15], 1, v[12:13]
	v_mov_b32_e32 v12, s17
	v_add_co_u32_e32 v16, vcc, s16, v14
	v_addc_co_u32_e64 v17, s[4:5], v12, v15, vcc
	v_lshlrev_b64 v[12:13], 1, v[18:19]
	v_mov_b32_e32 v14, s17
	v_add_co_u32_e64 v18, s[4:5], s16, v12
	v_addc_co_u32_e64 v19, s[6:7], v14, v13, s[4:5]
	global_load_ushort v12, v[16:17], off
	global_load_ushort v14, v[18:19], off
	s_mov_b64 s[40:41], -1
	s_waitcnt vmcnt(0)
	v_cmp_eq_u16_e64 s[6:7], v12, v14
	s_and_saveexec_b64 s[36:37], s[6:7]
	s_cbranch_execz .LBB1427_199
; %bb.193:
	v_mov_b32_e32 v12, s17
	v_addc_co_u32_e64 v13, s[4:5], v13, v12, s[4:5]
	v_add_co_u32_e64 v12, s[4:5], 2, v18
	v_mov_b32_e32 v14, s17
	v_addc_co_u32_e64 v13, s[4:5], 0, v13, s[4:5]
	v_addc_co_u32_e32 v15, vcc, v15, v14, vcc
	v_add_co_u32_e32 v14, vcc, 2, v16
	s_add_u32 s4, s26, -1
	v_addc_co_u32_e32 v15, vcc, 0, v15, vcc
	s_addc_u32 s5, s27, -1
	s_mov_b64 s[6:7], 0
	s_mov_b64 s[42:43], 0
                                        ; implicit-def: $sgpr40_sgpr41
	s_branch .LBB1427_196
.LBB1427_194:                           ;   in Loop: Header=BB1427_196 Depth=1
	global_load_ushort v16, v[14:15], off
	global_load_ushort v17, v[12:13], off
	v_add_co_u32_e32 v12, vcc, 2, v12
	v_addc_co_u32_e32 v13, vcc, 0, v13, vcc
	v_add_co_u32_e32 v14, vcc, 2, v14
	v_addc_co_u32_e32 v15, vcc, 0, v15, vcc
	s_add_u32 s42, s42, 1
	s_addc_u32 s43, s43, 0
	s_andn2_b64 s[40:41], s[40:41], exec
	s_waitcnt vmcnt(0)
	v_cmp_ne_u16_e32 vcc, v16, v17
	s_and_b64 s[44:45], vcc, exec
	s_or_b64 s[40:41], s[40:41], s[44:45]
.LBB1427_195:                           ;   in Loop: Header=BB1427_196 Depth=1
	s_and_b64 s[44:45], exec, s[40:41]
	s_or_b64 s[6:7], s[44:45], s[6:7]
	v_pk_mov_b32 v[16:17], s[42:43], s[42:43] op_sel:[0,1]
	s_andn2_b64 exec, exec, s[6:7]
	s_cbranch_execz .LBB1427_198
.LBB1427_196:                           ; =>This Inner Loop Header: Depth=1
	s_or_b64 s[40:41], s[40:41], exec
	s_cmp_eq_u64 s[4:5], s[42:43]
	s_cbranch_scc0 .LBB1427_194
; %bb.197:                              ;   in Loop: Header=BB1427_196 Depth=1
                                        ; implicit-def: $vgpr12_vgpr13
                                        ; implicit-def: $vgpr14_vgpr15
	s_mov_b64 s[42:43], s[26:27]
	s_branch .LBB1427_195
.LBB1427_198:
	s_or_b64 exec, exec, s[6:7]
	v_cmp_gt_i64_e32 vcc, s[26:27], v[16:17]
	s_orn2_b64 s[40:41], vcc, exec
.LBB1427_199:
	s_or_b64 exec, exec, s[36:37]
.LBB1427_200:
	s_and_b64 s[36:37], s[40:41], exec
.LBB1427_201:
	s_or_b64 exec, exec, s[38:39]
	v_cmp_gt_u32_e32 vcc, s48, v22
	s_mov_b64 s[38:39], 0
	s_mov_b64 s[40:41], 0
	s_and_saveexec_b64 s[42:43], vcc
	s_cbranch_execz .LBB1427_212
; %bb.202:
	s_andn2_b64 vcc, exec, s[10:11]
	s_mov_b64 s[44:45], 0
	s_cbranch_vccnz .LBB1427_211
; %bb.203:
	s_waitcnt vmcnt(0) lgkmcnt(1)
	v_mul_lo_u32 v14, v9, s26
	v_mul_lo_u32 v15, v8, s27
	v_mad_u64_u32 v[12:13], s[4:5], v8, s26, 0
	v_add3_u32 v13, v13, v15, v14
	v_mul_lo_u32 v14, v3, s26
	v_mul_lo_u32 v15, v2, s27
	v_mad_u64_u32 v[18:19], s[4:5], v2, s26, 0
	v_add3_u32 v19, v19, v15, v14
	v_lshlrev_b64 v[14:15], 1, v[12:13]
	v_mov_b32_e32 v12, s17
	v_add_co_u32_e32 v16, vcc, s16, v14
	v_addc_co_u32_e64 v17, s[4:5], v12, v15, vcc
	v_lshlrev_b64 v[12:13], 1, v[18:19]
	v_mov_b32_e32 v14, s17
	v_add_co_u32_e64 v18, s[4:5], s16, v12
	v_addc_co_u32_e64 v19, s[6:7], v14, v13, s[4:5]
	global_load_ushort v12, v[16:17], off
	global_load_ushort v14, v[18:19], off
	s_mov_b64 s[44:45], -1
	s_waitcnt vmcnt(0)
	v_cmp_eq_u16_e64 s[6:7], v12, v14
	s_and_saveexec_b64 s[40:41], s[6:7]
	s_cbranch_execz .LBB1427_210
; %bb.204:
	v_mov_b32_e32 v12, s17
	v_addc_co_u32_e64 v13, s[4:5], v13, v12, s[4:5]
	v_add_co_u32_e64 v12, s[4:5], 2, v18
	v_mov_b32_e32 v14, s17
	v_addc_co_u32_e64 v13, s[4:5], 0, v13, s[4:5]
	v_addc_co_u32_e32 v15, vcc, v15, v14, vcc
	v_add_co_u32_e32 v14, vcc, 2, v16
	s_add_u32 s4, s26, -1
	v_addc_co_u32_e32 v15, vcc, 0, v15, vcc
	s_addc_u32 s5, s27, -1
	s_mov_b64 s[6:7], 0
	s_mov_b64 s[46:47], 0
                                        ; implicit-def: $sgpr44_sgpr45
	s_branch .LBB1427_207
.LBB1427_205:                           ;   in Loop: Header=BB1427_207 Depth=1
	global_load_ushort v16, v[14:15], off
	global_load_ushort v17, v[12:13], off
	v_add_co_u32_e32 v12, vcc, 2, v12
	v_addc_co_u32_e32 v13, vcc, 0, v13, vcc
	v_add_co_u32_e32 v14, vcc, 2, v14
	v_addc_co_u32_e32 v15, vcc, 0, v15, vcc
	s_add_u32 s46, s46, 1
	s_addc_u32 s47, s47, 0
	s_andn2_b64 s[44:45], s[44:45], exec
	s_waitcnt vmcnt(0)
	v_cmp_ne_u16_e32 vcc, v16, v17
	s_and_b64 s[50:51], vcc, exec
	s_or_b64 s[44:45], s[44:45], s[50:51]
.LBB1427_206:                           ;   in Loop: Header=BB1427_207 Depth=1
	s_and_b64 s[50:51], exec, s[44:45]
	s_or_b64 s[6:7], s[50:51], s[6:7]
	v_pk_mov_b32 v[16:17], s[46:47], s[46:47] op_sel:[0,1]
	s_andn2_b64 exec, exec, s[6:7]
	s_cbranch_execz .LBB1427_209
.LBB1427_207:                           ; =>This Inner Loop Header: Depth=1
	s_or_b64 s[44:45], s[44:45], exec
	s_cmp_eq_u64 s[4:5], s[46:47]
	s_cbranch_scc0 .LBB1427_205
; %bb.208:                              ;   in Loop: Header=BB1427_207 Depth=1
                                        ; implicit-def: $vgpr12_vgpr13
                                        ; implicit-def: $vgpr14_vgpr15
	s_mov_b64 s[46:47], s[26:27]
	s_branch .LBB1427_206
.LBB1427_209:
	s_or_b64 exec, exec, s[6:7]
	v_cmp_gt_i64_e32 vcc, s[26:27], v[16:17]
	s_orn2_b64 s[44:45], vcc, exec
.LBB1427_210:
	s_or_b64 exec, exec, s[40:41]
.LBB1427_211:
	s_and_b64 s[40:41], s[44:45], exec
.LBB1427_212:
	s_or_b64 exec, exec, s[42:43]
	v_cmp_gt_u32_e32 vcc, s48, v24
	s_and_saveexec_b64 s[42:43], vcc
	s_cbranch_execz .LBB1427_223
; %bb.213:
	s_andn2_b64 vcc, exec, s[10:11]
	s_mov_b64 s[44:45], 0
	s_cbranch_vccnz .LBB1427_222
; %bb.214:
	s_waitcnt vmcnt(0) lgkmcnt(1)
	v_mul_lo_u32 v14, v7, s26
	v_mul_lo_u32 v15, v6, s27
	v_mad_u64_u32 v[12:13], s[4:5], v6, s26, 0
	v_add3_u32 v13, v13, v15, v14
	v_mul_lo_u32 v14, v9, s26
	v_mul_lo_u32 v15, v8, s27
	v_mad_u64_u32 v[18:19], s[4:5], v8, s26, 0
	v_add3_u32 v19, v19, v15, v14
	v_lshlrev_b64 v[14:15], 1, v[12:13]
	v_mov_b32_e32 v12, s17
	v_add_co_u32_e32 v16, vcc, s16, v14
	v_addc_co_u32_e64 v17, s[4:5], v12, v15, vcc
	v_lshlrev_b64 v[12:13], 1, v[18:19]
	v_mov_b32_e32 v14, s17
	v_add_co_u32_e64 v18, s[4:5], s16, v12
	v_addc_co_u32_e64 v19, s[6:7], v14, v13, s[4:5]
	global_load_ushort v12, v[16:17], off
	global_load_ushort v14, v[18:19], off
	s_mov_b64 s[44:45], -1
	s_waitcnt vmcnt(0)
	v_cmp_eq_u16_e64 s[6:7], v12, v14
	s_and_saveexec_b64 s[38:39], s[6:7]
	s_cbranch_execz .LBB1427_221
; %bb.215:
	v_mov_b32_e32 v12, s17
	v_addc_co_u32_e64 v13, s[4:5], v13, v12, s[4:5]
	v_add_co_u32_e64 v12, s[4:5], 2, v18
	v_mov_b32_e32 v14, s17
	v_addc_co_u32_e64 v13, s[4:5], 0, v13, s[4:5]
	v_addc_co_u32_e32 v15, vcc, v15, v14, vcc
	v_add_co_u32_e32 v14, vcc, 2, v16
	s_add_u32 s4, s26, -1
	v_addc_co_u32_e32 v15, vcc, 0, v15, vcc
	s_addc_u32 s5, s27, -1
	s_mov_b64 s[6:7], 0
	s_mov_b64 s[46:47], 0
                                        ; implicit-def: $sgpr44_sgpr45
	s_branch .LBB1427_218
.LBB1427_216:                           ;   in Loop: Header=BB1427_218 Depth=1
	global_load_ushort v16, v[14:15], off
	global_load_ushort v17, v[12:13], off
	v_add_co_u32_e32 v12, vcc, 2, v12
	v_addc_co_u32_e32 v13, vcc, 0, v13, vcc
	v_add_co_u32_e32 v14, vcc, 2, v14
	v_addc_co_u32_e32 v15, vcc, 0, v15, vcc
	s_add_u32 s46, s46, 1
	s_addc_u32 s47, s47, 0
	s_andn2_b64 s[44:45], s[44:45], exec
	s_waitcnt vmcnt(0)
	v_cmp_ne_u16_e32 vcc, v16, v17
	s_and_b64 s[50:51], vcc, exec
	s_or_b64 s[44:45], s[44:45], s[50:51]
.LBB1427_217:                           ;   in Loop: Header=BB1427_218 Depth=1
	s_and_b64 s[50:51], exec, s[44:45]
	s_or_b64 s[6:7], s[50:51], s[6:7]
	v_pk_mov_b32 v[16:17], s[46:47], s[46:47] op_sel:[0,1]
	s_andn2_b64 exec, exec, s[6:7]
	s_cbranch_execz .LBB1427_220
.LBB1427_218:                           ; =>This Inner Loop Header: Depth=1
	s_or_b64 s[44:45], s[44:45], exec
	s_cmp_eq_u64 s[4:5], s[46:47]
	s_cbranch_scc0 .LBB1427_216
; %bb.219:                              ;   in Loop: Header=BB1427_218 Depth=1
                                        ; implicit-def: $vgpr12_vgpr13
                                        ; implicit-def: $vgpr14_vgpr15
	s_mov_b64 s[46:47], s[26:27]
	s_branch .LBB1427_217
.LBB1427_220:
	s_or_b64 exec, exec, s[6:7]
	v_cmp_gt_i64_e32 vcc, s[26:27], v[16:17]
	s_orn2_b64 s[44:45], vcc, exec
.LBB1427_221:
	s_or_b64 exec, exec, s[38:39]
.LBB1427_222:
	s_and_b64 s[38:39], s[44:45], exec
.LBB1427_223:
	s_or_b64 exec, exec, s[42:43]
	v_cndmask_b32_e64 v13, 0, 1, s[36:37]
	s_waitcnt vmcnt(0) lgkmcnt(1)
	v_cndmask_b32_e64 v14, 0, 1, s[38:39]
	v_cndmask_b32_e64 v12, 0, 1, s[40:41]
	v_lshlrev_b16_e32 v14, 8, v14
	v_lshlrev_b16_e32 v13, 8, v13
	v_or_b32_e32 v14, 1, v14
	v_or_b32_sdwa v12, v12, v13 dst_sel:WORD_1 dst_unused:UNUSED_PAD src0_sel:DWORD src1_sel:DWORD
	v_or_b32_sdwa v12, v14, v12 dst_sel:DWORD dst_unused:UNUSED_PAD src0_sel:WORD_0 src1_sel:DWORD
	v_cndmask_b32_e64 v13, 0, 1, s[8:9]
	s_waitcnt lgkmcnt(0)
	s_barrier
	s_waitcnt lgkmcnt(0)
                                        ; implicit-def: $sgpr36_sgpr37
                                        ; implicit-def: $vgpr16
	s_and_saveexec_b64 s[6:7], s[2:3]
	s_cbranch_execz .LBB1427_236
; %bb.224:
	v_cmp_gt_u32_e32 vcc, s48, v1
	s_mov_b32 s38, 0x3020104
	s_mov_b64 s[2:3], 0
	s_and_saveexec_b64 s[8:9], vcc
	s_cbranch_execz .LBB1427_235
; %bb.225:
	s_andn2_b64 vcc, exec, s[10:11]
	s_mov_b64 s[36:37], 0
	s_cbranch_vccnz .LBB1427_234
; %bb.226:
	v_add_u32_e32 v14, -8, v26
	ds_read_b64 v[14:15], v14
	v_mul_lo_u32 v16, v7, s26
	v_mad_u64_u32 v[20:21], s[2:3], v6, s26, 0
	s_mov_b64 s[36:37], -1
	s_waitcnt lgkmcnt(0)
	v_mul_lo_u32 v17, v15, s26
	v_mul_lo_u32 v18, v14, s27
	v_mad_u64_u32 v[14:15], s[2:3], v14, s26, 0
	v_add3_u32 v15, v15, v18, v17
	v_mul_lo_u32 v17, v6, s27
	v_add3_u32 v21, v21, v17, v16
	v_lshlrev_b64 v[16:17], 1, v[14:15]
	v_mov_b32_e32 v14, s17
	v_add_co_u32_e32 v18, vcc, s16, v16
	v_addc_co_u32_e64 v19, s[2:3], v14, v17, vcc
	v_lshlrev_b64 v[14:15], 1, v[20:21]
	v_mov_b32_e32 v16, s17
	v_add_co_u32_e64 v20, s[2:3], s16, v14
	v_addc_co_u32_e64 v21, s[4:5], v16, v15, s[2:3]
	global_load_ushort v14, v[18:19], off
	global_load_ushort v16, v[20:21], off
	s_waitcnt vmcnt(0)
	v_cmp_eq_u16_e64 s[4:5], v14, v16
	s_and_saveexec_b64 s[10:11], s[4:5]
	s_cbranch_execz .LBB1427_233
; %bb.227:
	v_mov_b32_e32 v14, s17
	v_addc_co_u32_e64 v15, s[2:3], v15, v14, s[2:3]
	v_add_co_u32_e64 v14, s[2:3], 2, v20
	v_mov_b32_e32 v16, s17
	v_addc_co_u32_e64 v15, s[2:3], 0, v15, s[2:3]
	v_addc_co_u32_e32 v17, vcc, v17, v16, vcc
	v_add_co_u32_e32 v16, vcc, 2, v18
	s_add_u32 s2, s26, -1
	v_addc_co_u32_e32 v17, vcc, 0, v17, vcc
	s_addc_u32 s3, s27, -1
	s_mov_b64 s[4:5], 0
	s_mov_b64 s[36:37], 0
                                        ; implicit-def: $sgpr16_sgpr17
	s_branch .LBB1427_230
.LBB1427_228:                           ;   in Loop: Header=BB1427_230 Depth=1
	global_load_ushort v18, v[16:17], off
	global_load_ushort v19, v[14:15], off
	v_add_co_u32_e32 v14, vcc, 2, v14
	v_addc_co_u32_e32 v15, vcc, 0, v15, vcc
	v_add_co_u32_e32 v16, vcc, 2, v16
	v_addc_co_u32_e32 v17, vcc, 0, v17, vcc
	s_add_u32 s36, s36, 1
	s_addc_u32 s37, s37, 0
	s_andn2_b64 s[16:17], s[16:17], exec
	s_waitcnt vmcnt(0)
	v_cmp_ne_u16_e32 vcc, v18, v19
	s_and_b64 s[40:41], vcc, exec
	s_or_b64 s[16:17], s[16:17], s[40:41]
.LBB1427_229:                           ;   in Loop: Header=BB1427_230 Depth=1
	s_and_b64 s[40:41], exec, s[16:17]
	s_or_b64 s[4:5], s[40:41], s[4:5]
	v_pk_mov_b32 v[18:19], s[36:37], s[36:37] op_sel:[0,1]
	s_andn2_b64 exec, exec, s[4:5]
	s_cbranch_execz .LBB1427_232
.LBB1427_230:                           ; =>This Inner Loop Header: Depth=1
	s_or_b64 s[16:17], s[16:17], exec
	s_cmp_eq_u64 s[2:3], s[36:37]
	s_cbranch_scc0 .LBB1427_228
; %bb.231:                              ;   in Loop: Header=BB1427_230 Depth=1
                                        ; implicit-def: $vgpr14_vgpr15
                                        ; implicit-def: $vgpr16_vgpr17
	s_mov_b64 s[36:37], s[26:27]
	s_branch .LBB1427_229
.LBB1427_232:
	s_or_b64 exec, exec, s[4:5]
	v_cmp_gt_i64_e32 vcc, s[26:27], v[18:19]
	s_orn2_b64 s[36:37], vcc, exec
.LBB1427_233:
	s_or_b64 exec, exec, s[10:11]
.LBB1427_234:
	s_and_b64 s[2:3], s[36:37], exec
.LBB1427_235:
	s_or_b64 exec, exec, s[8:9]
	v_perm_b32 v16, v12, v12, s38
	s_and_b64 s[36:37], s[2:3], exec
	s_or_b64 s[14:15], s[14:15], exec
.LBB1427_236:
	s_or_b64 exec, exec, s[6:7]
.LBB1427_237:
	s_and_saveexec_b64 s[2:3], s[14:15]
	s_cbranch_execz .LBB1427_239
; %bb.238:
	s_waitcnt vmcnt(0) lgkmcnt(0)
	v_lshrrev_b32_e32 v14, 24, v16
	s_movk_i32 s4, 0xff
	v_lshlrev_b16_e32 v14, 8, v14
	v_and_b32_sdwa v15, v16, s4 dst_sel:DWORD dst_unused:UNUSED_PAD src0_sel:WORD_1 src1_sel:DWORD
	v_or_b32_sdwa v14, v15, v14 dst_sel:WORD_1 dst_unused:UNUSED_PAD src0_sel:DWORD src1_sel:DWORD
	v_mov_b32_e32 v15, 8
	v_cndmask_b32_e64 v12, 0, 1, s[36:37]
	v_lshrrev_b32_sdwa v15, v15, v16 dst_sel:BYTE_1 dst_unused:UNUSED_PAD src0_sel:DWORD src1_sel:DWORD
	v_or_b32_e32 v12, v12, v15
	s_mov_b32 s4, 0xffff
	v_or_b32_sdwa v12, v12, v14 dst_sel:DWORD dst_unused:UNUSED_PAD src0_sel:WORD_0 src1_sel:DWORD
	v_and_b32_sdwa v13, s4, v13 dst_sel:DWORD dst_unused:UNUSED_PAD src0_sel:DWORD src1_sel:BYTE_0
.LBB1427_239:
	s_or_b64 exec, exec, s[2:3]
	s_andn2_b64 vcc, exec, s[12:13]
	s_cbranch_vccnz .LBB1427_241
; %bb.240:
	v_cmp_gt_u32_e32 vcc, s48, v1
	v_cndmask_b32_e32 v1, 0, v12, vcc
	v_and_b32_e32 v1, 0xffff00ff, v1
	v_cmp_gt_u32_e64 s[2:3], s48, v24
	v_cndmask_b32_e64 v1, v1, v12, s[2:3]
	s_waitcnt vmcnt(0) lgkmcnt(0)
	v_lshrrev_b32_e32 v14, 24, v1
	s_mov_b32 s4, 0x40c0100
	v_perm_b32 v1, v14, v1, s4
	v_cmp_gt_u32_e64 s[4:5], s48, v22
	v_cmp_gt_u32_e64 s[6:7], s48, v25
	v_cndmask_b32_e64 v1, v1, v12, s[4:5]
	s_or_b64 s[4:5], s[6:7], s[4:5]
	s_or_b64 s[2:3], s[4:5], s[2:3]
	s_or_b64 vcc, s[2:3], vcc
	v_and_b32_e32 v1, 0xffffff, v1
	v_cndmask_b32_e32 v14, 0, v13, vcc
	v_cndmask_b32_e64 v1, v1, v12, s[6:7]
	v_and_b32_e32 v14, 0xffffff00, v14
	v_cmp_gt_u32_e32 vcc, s48, v23
	v_cndmask_b32_e32 v1, v1, v12, vcc
	v_cndmask_b32_e32 v12, v14, v13, vcc
	s_mov_b32 s2, 0x3020104
	v_and_b32_e32 v13, 0xff, v12
	v_perm_b32 v12, v1, v1, s2
.LBB1427_241:
	v_and_b32_e32 v1, 0xff, v12
	v_bfe_u32 v25, v12, 8, 8
	v_bfe_u32 v27, v12, 16, 8
	s_waitcnt vmcnt(0) lgkmcnt(0)
	v_alignbit_b32 v14, v13, v12, 24
	v_and_b32_e32 v28, 0xff, v14
	v_and_b32_e32 v14, 0xff, v13
	v_add3_u32 v15, v25, v1, v27
	v_add3_u32 v31, v15, v28, v14
	v_mbcnt_lo_u32_b32 v14, -1, 0
	v_mbcnt_hi_u32_b32 v29, -1, v14
	v_and_b32_e32 v14, 15, v29
	v_cmp_eq_u32_e64 s[14:15], 0, v14
	v_cmp_lt_u32_e64 s[12:13], 1, v14
	v_cmp_lt_u32_e64 s[10:11], 3, v14
	v_cmp_lt_u32_e64 s[8:9], 7, v14
	v_and_b32_e32 v14, 16, v29
	v_cmp_eq_u32_e64 s[6:7], 0, v14
	v_or_b32_e32 v14, 63, v0
	v_cmp_lt_u32_e64 s[2:3], 31, v29
	v_lshrrev_b32_e32 v30, 6, v0
	v_cmp_eq_u32_e64 s[4:5], v14, v0
	s_and_b64 vcc, exec, s[34:35]
	s_barrier
	s_cbranch_vccz .LBB1427_272
; %bb.242:
	v_mov_b32_dpp v14, v31 row_shr:1 row_mask:0xf bank_mask:0xf
	v_cndmask_b32_e64 v14, v14, 0, s[14:15]
	v_add_u32_e32 v14, v14, v31
	s_nop 1
	v_mov_b32_dpp v15, v14 row_shr:2 row_mask:0xf bank_mask:0xf
	v_cndmask_b32_e64 v15, 0, v15, s[12:13]
	v_add_u32_e32 v14, v14, v15
	s_nop 1
	;; [unrolled: 4-line block ×4, first 2 shown]
	v_mov_b32_dpp v15, v14 row_bcast:15 row_mask:0xf bank_mask:0xf
	v_cndmask_b32_e64 v15, v15, 0, s[6:7]
	v_add_u32_e32 v14, v14, v15
	s_nop 1
	v_mov_b32_dpp v15, v14 row_bcast:31 row_mask:0xf bank_mask:0xf
	v_cndmask_b32_e64 v15, 0, v15, s[2:3]
	v_add_u32_e32 v14, v14, v15
	s_and_saveexec_b64 s[16:17], s[4:5]
	s_cbranch_execz .LBB1427_244
; %bb.243:
	v_lshlrev_b32_e32 v15, 2, v30
	ds_write_b32 v15, v14
.LBB1427_244:
	s_or_b64 exec, exec, s[16:17]
	v_cmp_gt_u32_e32 vcc, 4, v0
	s_waitcnt lgkmcnt(0)
	s_barrier
	s_and_saveexec_b64 s[16:17], vcc
	s_cbranch_execz .LBB1427_246
; %bb.245:
	v_lshlrev_b32_e32 v15, 2, v0
	ds_read_b32 v16, v15
	v_and_b32_e32 v17, 3, v29
	v_cmp_ne_u32_e32 vcc, 0, v17
	s_waitcnt lgkmcnt(0)
	v_mov_b32_dpp v18, v16 row_shr:1 row_mask:0xf bank_mask:0xf
	v_cndmask_b32_e32 v18, 0, v18, vcc
	v_add_u32_e32 v16, v18, v16
	v_cmp_lt_u32_e32 vcc, 1, v17
	s_nop 0
	v_mov_b32_dpp v18, v16 row_shr:2 row_mask:0xf bank_mask:0xf
	v_cndmask_b32_e32 v17, 0, v18, vcc
	v_add_u32_e32 v16, v16, v17
	ds_write_b32 v15, v16
.LBB1427_246:
	s_or_b64 exec, exec, s[16:17]
	v_cmp_gt_u32_e32 vcc, 64, v0
	v_cmp_lt_u32_e64 s[16:17], 63, v0
	s_waitcnt lgkmcnt(0)
	s_barrier
	s_waitcnt lgkmcnt(0)
                                        ; implicit-def: $vgpr24
	s_and_saveexec_b64 s[26:27], s[16:17]
	s_cbranch_execz .LBB1427_248
; %bb.247:
	v_lshl_add_u32 v15, v30, 2, -4
	ds_read_b32 v24, v15
	s_waitcnt lgkmcnt(0)
	v_add_u32_e32 v14, v24, v14
.LBB1427_248:
	s_or_b64 exec, exec, s[26:27]
	v_add_u32_e32 v15, -1, v29
	v_and_b32_e32 v16, 64, v29
	v_cmp_lt_i32_e64 s[16:17], v15, v16
	v_cndmask_b32_e64 v15, v15, v29, s[16:17]
	v_lshlrev_b32_e32 v15, 2, v15
	ds_bpermute_b32 v26, v15, v14
	v_cmp_eq_u32_e64 s[16:17], 0, v29
	s_and_saveexec_b64 s[26:27], vcc
	s_cbranch_execz .LBB1427_271
; %bb.249:
	v_mov_b32_e32 v23, 0
	ds_read_b32 v14, v23 offset:12
	s_and_saveexec_b64 s[34:35], s[16:17]
	s_cbranch_execz .LBB1427_251
; %bb.250:
	s_add_i32 s36, s33, 64
	s_mov_b32 s37, 0
	s_lshl_b64 s[36:37], s[36:37], 3
	s_add_u32 s36, s18, s36
	v_mov_b32_e32 v15, 1
	s_addc_u32 s37, s19, s37
	s_waitcnt lgkmcnt(0)
	global_store_dwordx2 v23, v[14:15], s[36:37]
.LBB1427_251:
	s_or_b64 exec, exec, s[34:35]
	v_xad_u32 v16, v29, -1, s33
	v_add_u32_e32 v22, 64, v16
	v_lshlrev_b64 v[18:19], 3, v[22:23]
	v_mov_b32_e32 v15, s19
	v_add_co_u32_e32 v18, vcc, s18, v18
	v_addc_co_u32_e32 v19, vcc, v15, v19, vcc
	global_load_dwordx2 v[20:21], v[18:19], off glc
	s_waitcnt vmcnt(0)
	v_cmp_eq_u16_sdwa s[36:37], v21, v23 src0_sel:BYTE_0 src1_sel:DWORD
	s_and_saveexec_b64 s[34:35], s[36:37]
	s_cbranch_execz .LBB1427_257
; %bb.252:
	s_mov_b32 s38, 1
	s_mov_b64 s[36:37], 0
	v_mov_b32_e32 v15, 0
.LBB1427_253:                           ; =>This Loop Header: Depth=1
                                        ;     Child Loop BB1427_254 Depth 2
	s_max_u32 s39, s38, 1
.LBB1427_254:                           ;   Parent Loop BB1427_253 Depth=1
                                        ; =>  This Inner Loop Header: Depth=2
	s_add_i32 s39, s39, -1
	s_cmp_eq_u32 s39, 0
	s_sleep 1
	s_cbranch_scc0 .LBB1427_254
; %bb.255:                              ;   in Loop: Header=BB1427_253 Depth=1
	global_load_dwordx2 v[20:21], v[18:19], off glc
	s_cmp_lt_u32 s38, 32
	s_cselect_b64 s[40:41], -1, 0
	s_cmp_lg_u64 s[40:41], 0
	s_addc_u32 s38, s38, 0
	s_waitcnt vmcnt(0)
	v_cmp_ne_u16_sdwa s[40:41], v21, v15 src0_sel:BYTE_0 src1_sel:DWORD
	s_or_b64 s[36:37], s[40:41], s[36:37]
	s_andn2_b64 exec, exec, s[36:37]
	s_cbranch_execnz .LBB1427_253
; %bb.256:
	s_or_b64 exec, exec, s[36:37]
.LBB1427_257:
	s_or_b64 exec, exec, s[34:35]
	v_and_b32_e32 v32, 63, v29
	v_mov_b32_e32 v15, 2
	v_cmp_ne_u32_e32 vcc, 63, v32
	v_cmp_eq_u16_sdwa s[34:35], v21, v15 src0_sel:BYTE_0 src1_sel:DWORD
	v_lshlrev_b64 v[18:19], v29, -1
	v_addc_co_u32_e32 v23, vcc, 0, v29, vcc
	v_and_b32_e32 v17, s35, v19
	v_lshlrev_b32_e32 v33, 2, v23
	v_or_b32_e32 v17, 0x80000000, v17
	ds_bpermute_b32 v23, v33, v20
	v_and_b32_e32 v22, s34, v18
	v_ffbl_b32_e32 v17, v17
	v_add_u32_e32 v17, 32, v17
	v_ffbl_b32_e32 v22, v22
	v_min_u32_e32 v17, v22, v17
	v_cmp_lt_u32_e32 vcc, v32, v17
	s_waitcnt lgkmcnt(0)
	v_cndmask_b32_e32 v22, 0, v23, vcc
	v_cmp_gt_u32_e32 vcc, 62, v32
	v_add_u32_e32 v20, v22, v20
	v_cndmask_b32_e64 v22, 0, 1, vcc
	v_lshlrev_b32_e32 v22, 1, v22
	v_add_lshl_u32 v34, v22, v29, 2
	ds_bpermute_b32 v22, v34, v20
	v_add_u32_e32 v35, 2, v32
	v_cmp_le_u32_e32 vcc, v35, v17
	v_add_u32_e32 v37, 4, v32
	v_add_u32_e32 v39, 8, v32
	s_waitcnt lgkmcnt(0)
	v_cndmask_b32_e32 v22, 0, v22, vcc
	v_cmp_gt_u32_e32 vcc, 60, v32
	v_add_u32_e32 v20, v20, v22
	v_cndmask_b32_e64 v22, 0, 1, vcc
	v_lshlrev_b32_e32 v22, 2, v22
	v_add_lshl_u32 v36, v22, v29, 2
	ds_bpermute_b32 v22, v36, v20
	v_cmp_le_u32_e32 vcc, v37, v17
	v_add_u32_e32 v42, 16, v32
	v_add_u32_e32 v44, 32, v32
	s_waitcnt lgkmcnt(0)
	v_cndmask_b32_e32 v22, 0, v22, vcc
	v_cmp_gt_u32_e32 vcc, 56, v32
	v_add_u32_e32 v20, v20, v22
	v_cndmask_b32_e64 v22, 0, 1, vcc
	v_lshlrev_b32_e32 v22, 3, v22
	v_add_lshl_u32 v38, v22, v29, 2
	ds_bpermute_b32 v22, v38, v20
	v_cmp_le_u32_e32 vcc, v39, v17
	s_waitcnt lgkmcnt(0)
	v_cndmask_b32_e32 v22, 0, v22, vcc
	v_cmp_gt_u32_e32 vcc, 48, v32
	v_add_u32_e32 v20, v20, v22
	v_cndmask_b32_e64 v22, 0, 1, vcc
	v_lshlrev_b32_e32 v22, 4, v22
	v_add_lshl_u32 v41, v22, v29, 2
	ds_bpermute_b32 v22, v41, v20
	v_cmp_le_u32_e32 vcc, v42, v17
	;; [unrolled: 9-line block ×3, first 2 shown]
	s_waitcnt lgkmcnt(0)
	v_cndmask_b32_e32 v17, 0, v22, vcc
	v_add_u32_e32 v20, v20, v17
	v_mov_b32_e32 v17, 0
	s_branch .LBB1427_259
.LBB1427_258:                           ;   in Loop: Header=BB1427_259 Depth=1
	s_or_b64 exec, exec, s[34:35]
	v_cmp_eq_u16_sdwa s[34:35], v21, v15 src0_sel:BYTE_0 src1_sel:DWORD
	v_and_b32_e32 v22, s35, v19
	v_or_b32_e32 v22, 0x80000000, v22
	ds_bpermute_b32 v45, v33, v20
	v_and_b32_e32 v23, s34, v18
	v_ffbl_b32_e32 v22, v22
	v_add_u32_e32 v22, 32, v22
	v_ffbl_b32_e32 v23, v23
	v_min_u32_e32 v22, v23, v22
	v_cmp_lt_u32_e32 vcc, v32, v22
	s_waitcnt lgkmcnt(0)
	v_cndmask_b32_e32 v23, 0, v45, vcc
	v_add_u32_e32 v20, v23, v20
	ds_bpermute_b32 v23, v34, v20
	v_cmp_le_u32_e32 vcc, v35, v22
	v_subrev_u32_e32 v16, 64, v16
	s_waitcnt lgkmcnt(0)
	v_cndmask_b32_e32 v23, 0, v23, vcc
	v_add_u32_e32 v20, v20, v23
	ds_bpermute_b32 v23, v36, v20
	v_cmp_le_u32_e32 vcc, v37, v22
	s_waitcnt lgkmcnt(0)
	v_cndmask_b32_e32 v23, 0, v23, vcc
	v_add_u32_e32 v20, v20, v23
	ds_bpermute_b32 v23, v38, v20
	v_cmp_le_u32_e32 vcc, v39, v22
	;; [unrolled: 5-line block ×4, first 2 shown]
	s_waitcnt lgkmcnt(0)
	v_cndmask_b32_e32 v22, 0, v23, vcc
	v_add3_u32 v20, v22, v40, v20
.LBB1427_259:                           ; =>This Loop Header: Depth=1
                                        ;     Child Loop BB1427_262 Depth 2
                                        ;       Child Loop BB1427_263 Depth 3
	v_cmp_ne_u16_sdwa s[34:35], v21, v15 src0_sel:BYTE_0 src1_sel:DWORD
	v_cndmask_b32_e64 v21, 0, 1, s[34:35]
	;;#ASMSTART
	;;#ASMEND
	v_cmp_ne_u32_e32 vcc, 0, v21
	s_cmp_lg_u64 vcc, exec
	v_mov_b32_e32 v40, v20
	s_cbranch_scc1 .LBB1427_266
; %bb.260:                              ;   in Loop: Header=BB1427_259 Depth=1
	v_lshlrev_b64 v[20:21], 3, v[16:17]
	v_mov_b32_e32 v23, s19
	v_add_co_u32_e32 v22, vcc, s18, v20
	v_addc_co_u32_e32 v23, vcc, v23, v21, vcc
	global_load_dwordx2 v[20:21], v[22:23], off glc
	s_waitcnt vmcnt(0)
	v_cmp_eq_u16_sdwa s[36:37], v21, v17 src0_sel:BYTE_0 src1_sel:DWORD
	s_and_saveexec_b64 s[34:35], s[36:37]
	s_cbranch_execz .LBB1427_258
; %bb.261:                              ;   in Loop: Header=BB1427_259 Depth=1
	s_mov_b32 s38, 1
	s_mov_b64 s[36:37], 0
.LBB1427_262:                           ;   Parent Loop BB1427_259 Depth=1
                                        ; =>  This Loop Header: Depth=2
                                        ;       Child Loop BB1427_263 Depth 3
	s_max_u32 s39, s38, 1
.LBB1427_263:                           ;   Parent Loop BB1427_259 Depth=1
                                        ;     Parent Loop BB1427_262 Depth=2
                                        ; =>    This Inner Loop Header: Depth=3
	s_add_i32 s39, s39, -1
	s_cmp_eq_u32 s39, 0
	s_sleep 1
	s_cbranch_scc0 .LBB1427_263
; %bb.264:                              ;   in Loop: Header=BB1427_262 Depth=2
	global_load_dwordx2 v[20:21], v[22:23], off glc
	s_cmp_lt_u32 s38, 32
	s_cselect_b64 s[40:41], -1, 0
	s_cmp_lg_u64 s[40:41], 0
	s_addc_u32 s38, s38, 0
	s_waitcnt vmcnt(0)
	v_cmp_ne_u16_sdwa s[40:41], v21, v17 src0_sel:BYTE_0 src1_sel:DWORD
	s_or_b64 s[36:37], s[40:41], s[36:37]
	s_andn2_b64 exec, exec, s[36:37]
	s_cbranch_execnz .LBB1427_262
; %bb.265:                              ;   in Loop: Header=BB1427_259 Depth=1
	s_or_b64 exec, exec, s[36:37]
	s_branch .LBB1427_258
.LBB1427_266:                           ;   in Loop: Header=BB1427_259 Depth=1
                                        ; implicit-def: $vgpr20
                                        ; implicit-def: $vgpr21
	s_cbranch_execz .LBB1427_259
; %bb.267:
	s_and_saveexec_b64 s[34:35], s[16:17]
	s_cbranch_execz .LBB1427_269
; %bb.268:
	s_add_i32 s36, s33, 64
	s_mov_b32 s37, 0
	s_lshl_b64 s[36:37], s[36:37], 3
	s_add_u32 s36, s18, s36
	v_add_u32_e32 v16, v40, v14
	v_mov_b32_e32 v17, 2
	s_addc_u32 s37, s19, s37
	v_mov_b32_e32 v15, 0
	s_movk_i32 s33, 0x2800
	global_store_dwordx2 v15, v[16:17], s[36:37]
	v_add_u32_e64 v15, s33, 0
	ds_write2_b32 v15, v14, v40 offset1:2
.LBB1427_269:
	s_or_b64 exec, exec, s[34:35]
	s_and_b64 exec, exec, s[0:1]
	s_cbranch_execz .LBB1427_271
; %bb.270:
	v_mov_b32_e32 v14, 0
	ds_write_b32 v14, v40 offset:12
.LBB1427_271:
	s_or_b64 exec, exec, s[26:27]
	v_mov_b32_e32 v14, 0
	s_waitcnt lgkmcnt(0)
	s_barrier
	ds_read_b32 v14, v14 offset:12
	v_cndmask_b32_e64 v15, v26, v24, s[16:17]
	v_cndmask_b32_e64 v15, v15, 0, s[0:1]
	s_movk_i32 s16, 0x2800
	s_waitcnt lgkmcnt(0)
	v_add_u32_e32 v26, v14, v15
	v_add_u32_e64 v14, s16, 0
	s_barrier
	ds_read2_b32 v[14:15], v14 offset1:2
	v_add_u32_e32 v24, v26, v1
	v_add_u32_e32 v22, v24, v25
	;; [unrolled: 1-line block ×4, first 2 shown]
	v_lshrrev_b64 v[16:17], 24, v[12:13]
	s_branch .LBB1427_282
.LBB1427_272:
                                        ; implicit-def: $vgpr18
                                        ; implicit-def: $vgpr20
                                        ; implicit-def: $vgpr22
                                        ; implicit-def: $vgpr24
                                        ; implicit-def: $vgpr26
                                        ; implicit-def: $vgpr15
	v_lshrrev_b64 v[16:17], 24, v[12:13]
	s_cbranch_execz .LBB1427_282
; %bb.273:
	s_waitcnt lgkmcnt(0)
	v_mov_b32_dpp v14, v31 row_shr:1 row_mask:0xf bank_mask:0xf
	v_cndmask_b32_e64 v14, v14, 0, s[14:15]
	v_add_u32_e32 v14, v14, v31
	s_nop 1
	v_mov_b32_dpp v15, v14 row_shr:2 row_mask:0xf bank_mask:0xf
	v_cndmask_b32_e64 v15, 0, v15, s[12:13]
	v_add_u32_e32 v14, v14, v15
	s_nop 1
	;; [unrolled: 4-line block ×4, first 2 shown]
	v_mov_b32_dpp v15, v14 row_bcast:15 row_mask:0xf bank_mask:0xf
	v_cndmask_b32_e64 v15, v15, 0, s[6:7]
	v_add_u32_e32 v14, v14, v15
	s_nop 1
	v_mov_b32_dpp v15, v14 row_bcast:31 row_mask:0xf bank_mask:0xf
	v_cndmask_b32_e64 v15, 0, v15, s[2:3]
	v_add_u32_e32 v14, v14, v15
	s_and_saveexec_b64 s[2:3], s[4:5]
	s_cbranch_execz .LBB1427_275
; %bb.274:
	v_lshlrev_b32_e32 v15, 2, v30
	ds_write_b32 v15, v14
.LBB1427_275:
	s_or_b64 exec, exec, s[2:3]
	v_cmp_gt_u32_e32 vcc, 4, v0
	s_waitcnt lgkmcnt(0)
	s_barrier
	s_and_saveexec_b64 s[2:3], vcc
	s_cbranch_execz .LBB1427_277
; %bb.276:
	v_lshlrev_b32_e32 v15, 2, v0
	ds_read_b32 v17, v15
	v_and_b32_e32 v18, 3, v29
	v_cmp_ne_u32_e32 vcc, 0, v18
	s_waitcnt lgkmcnt(0)
	v_mov_b32_dpp v19, v17 row_shr:1 row_mask:0xf bank_mask:0xf
	v_cndmask_b32_e32 v19, 0, v19, vcc
	v_add_u32_e32 v17, v19, v17
	v_cmp_lt_u32_e32 vcc, 1, v18
	s_nop 0
	v_mov_b32_dpp v19, v17 row_shr:2 row_mask:0xf bank_mask:0xf
	v_cndmask_b32_e32 v18, 0, v19, vcc
	v_add_u32_e32 v17, v17, v18
	ds_write_b32 v15, v17
.LBB1427_277:
	s_or_b64 exec, exec, s[2:3]
	v_cmp_lt_u32_e32 vcc, 63, v0
	v_mov_b32_e32 v15, 0
	v_mov_b32_e32 v17, 0
	s_waitcnt lgkmcnt(0)
	s_barrier
	s_and_saveexec_b64 s[2:3], vcc
	s_cbranch_execz .LBB1427_279
; %bb.278:
	v_lshl_add_u32 v17, v30, 2, -4
	ds_read_b32 v17, v17
.LBB1427_279:
	s_or_b64 exec, exec, s[2:3]
	v_add_u32_e32 v18, -1, v29
	v_and_b32_e32 v19, 64, v29
	v_cmp_lt_i32_e32 vcc, v18, v19
	v_cndmask_b32_e32 v18, v18, v29, vcc
	s_waitcnt lgkmcnt(0)
	v_add_u32_e32 v14, v17, v14
	v_lshlrev_b32_e32 v18, 2, v18
	ds_bpermute_b32 v18, v18, v14
	ds_read_b32 v14, v15 offset:12
	s_and_saveexec_b64 s[2:3], s[0:1]
	s_cbranch_execz .LBB1427_281
; %bb.280:
	v_mov_b32_e32 v19, 0
	v_mov_b32_e32 v15, 2
	s_waitcnt lgkmcnt(0)
	global_store_dwordx2 v19, v[14:15], s[18:19] offset:512
.LBB1427_281:
	s_or_b64 exec, exec, s[2:3]
	v_cmp_eq_u32_e32 vcc, 0, v29
	s_waitcnt lgkmcnt(1)
	v_cndmask_b32_e32 v17, v18, v17, vcc
	v_cndmask_b32_e64 v26, v17, 0, s[0:1]
	v_add_u32_e32 v24, v26, v1
	v_add_u32_e32 v22, v24, v25
	;; [unrolled: 1-line block ×3, first 2 shown]
	v_mov_b32_e32 v15, 0
	v_add_u32_e32 v18, v20, v28
	s_waitcnt lgkmcnt(0)
	s_barrier
.LBB1427_282:
	s_movk_i32 s2, 0x101
	s_waitcnt lgkmcnt(0)
	v_cmp_gt_u32_e32 vcc, s2, v14
	v_lshrrev_b32_e32 v1, 8, v12
	s_mov_b64 s[2:3], -1
	s_cbranch_vccnz .LBB1427_286
; %bb.283:
	s_and_b64 vcc, exec, s[2:3]
	s_cbranch_vccnz .LBB1427_302
.LBB1427_284:
	s_and_b64 s[0:1], s[0:1], s[24:25]
	s_and_saveexec_b64 s[2:3], s[0:1]
	s_cbranch_execnz .LBB1427_316
.LBB1427_285:
	s_endpgm
.LBB1427_286:
	v_add_u32_e32 v17, v15, v14
	v_cmp_lt_u32_e32 vcc, v26, v17
	s_or_b64 s[4:5], s[30:31], vcc
	s_and_saveexec_b64 s[2:3], s[4:5]
	s_cbranch_execz .LBB1427_289
; %bb.287:
	v_and_b32_e32 v19, 1, v12
	v_cmp_eq_u32_e32 vcc, 1, v19
	s_and_b64 exec, exec, vcc
	s_cbranch_execz .LBB1427_289
; %bb.288:
	s_lshl_b64 s[4:5], s[22:23], 3
	s_add_u32 s4, s28, s4
	v_mov_b32_e32 v27, 0
	s_addc_u32 s5, s29, s5
	v_lshlrev_b64 v[28:29], 3, v[26:27]
	v_mov_b32_e32 v19, s5
	v_add_co_u32_e32 v28, vcc, s4, v28
	v_addc_co_u32_e32 v29, vcc, v19, v29, vcc
	global_store_dwordx2 v[28:29], v[6:7], off
.LBB1427_289:
	s_or_b64 exec, exec, s[2:3]
	v_cmp_lt_u32_e32 vcc, v24, v17
	s_or_b64 s[4:5], s[30:31], vcc
	s_and_saveexec_b64 s[2:3], s[4:5]
	s_cbranch_execz .LBB1427_292
; %bb.290:
	v_and_b32_e32 v19, 1, v1
	v_cmp_eq_u32_e32 vcc, 1, v19
	s_and_b64 exec, exec, vcc
	s_cbranch_execz .LBB1427_292
; %bb.291:
	s_lshl_b64 s[4:5], s[22:23], 3
	s_add_u32 s4, s28, s4
	v_mov_b32_e32 v25, 0
	s_addc_u32 s5, s29, s5
	v_lshlrev_b64 v[28:29], 3, v[24:25]
	v_mov_b32_e32 v19, s5
	v_add_co_u32_e32 v28, vcc, s4, v28
	v_addc_co_u32_e32 v29, vcc, v19, v29, vcc
	global_store_dwordx2 v[28:29], v[8:9], off
.LBB1427_292:
	s_or_b64 exec, exec, s[2:3]
	v_cmp_lt_u32_e32 vcc, v22, v17
	s_or_b64 s[4:5], s[30:31], vcc
	s_and_saveexec_b64 s[2:3], s[4:5]
	s_cbranch_execz .LBB1427_295
; %bb.293:
	v_mov_b32_e32 v19, 1
	v_and_b32_sdwa v19, v19, v12 dst_sel:DWORD dst_unused:UNUSED_PAD src0_sel:DWORD src1_sel:WORD_1
	v_cmp_eq_u32_e32 vcc, 1, v19
	s_and_b64 exec, exec, vcc
	s_cbranch_execz .LBB1427_295
; %bb.294:
	s_lshl_b64 s[4:5], s[22:23], 3
	s_add_u32 s4, s28, s4
	v_mov_b32_e32 v23, 0
	s_addc_u32 s5, s29, s5
	v_lshlrev_b64 v[28:29], 3, v[22:23]
	v_mov_b32_e32 v19, s5
	v_add_co_u32_e32 v28, vcc, s4, v28
	v_addc_co_u32_e32 v29, vcc, v19, v29, vcc
	global_store_dwordx2 v[28:29], v[2:3], off
.LBB1427_295:
	s_or_b64 exec, exec, s[2:3]
	v_cmp_lt_u32_e32 vcc, v20, v17
	s_or_b64 s[4:5], s[30:31], vcc
	s_and_saveexec_b64 s[2:3], s[4:5]
	s_cbranch_execz .LBB1427_298
; %bb.296:
	v_and_b32_e32 v19, 1, v16
	v_cmp_eq_u32_e32 vcc, 1, v19
	s_and_b64 exec, exec, vcc
	s_cbranch_execz .LBB1427_298
; %bb.297:
	s_lshl_b64 s[4:5], s[22:23], 3
	s_add_u32 s4, s28, s4
	v_mov_b32_e32 v21, 0
	s_addc_u32 s5, s29, s5
	v_lshlrev_b64 v[28:29], 3, v[20:21]
	v_mov_b32_e32 v19, s5
	v_add_co_u32_e32 v28, vcc, s4, v28
	v_addc_co_u32_e32 v29, vcc, v19, v29, vcc
	global_store_dwordx2 v[28:29], v[4:5], off
.LBB1427_298:
	s_or_b64 exec, exec, s[2:3]
	v_cmp_lt_u32_e32 vcc, v18, v17
	s_or_b64 s[4:5], s[30:31], vcc
	s_and_saveexec_b64 s[2:3], s[4:5]
	s_cbranch_execz .LBB1427_301
; %bb.299:
	v_and_b32_e32 v17, 1, v13
	v_cmp_eq_u32_e32 vcc, 1, v17
	s_and_b64 exec, exec, vcc
	s_cbranch_execz .LBB1427_301
; %bb.300:
	s_lshl_b64 s[4:5], s[22:23], 3
	s_add_u32 s4, s28, s4
	v_mov_b32_e32 v19, 0
	s_addc_u32 s5, s29, s5
	v_lshlrev_b64 v[28:29], 3, v[18:19]
	v_mov_b32_e32 v17, s5
	v_add_co_u32_e32 v28, vcc, s4, v28
	v_addc_co_u32_e32 v29, vcc, v17, v29, vcc
	global_store_dwordx2 v[28:29], v[10:11], off
.LBB1427_301:
	s_or_b64 exec, exec, s[2:3]
	s_branch .LBB1427_284
.LBB1427_302:
	v_and_b32_e32 v17, 1, v12
	v_cmp_eq_u32_e32 vcc, 1, v17
	s_and_saveexec_b64 s[2:3], vcc
	s_cbranch_execz .LBB1427_304
; %bb.303:
	v_sub_u32_e32 v17, v26, v15
	v_lshlrev_b32_e32 v17, 3, v17
	ds_write_b64 v17, v[6:7]
.LBB1427_304:
	s_or_b64 exec, exec, s[2:3]
	v_and_b32_e32 v1, 1, v1
	v_cmp_eq_u32_e32 vcc, 1, v1
	s_and_saveexec_b64 s[2:3], vcc
	s_cbranch_execz .LBB1427_306
; %bb.305:
	v_sub_u32_e32 v1, v24, v15
	v_lshlrev_b32_e32 v1, 3, v1
	ds_write_b64 v1, v[8:9]
.LBB1427_306:
	s_or_b64 exec, exec, s[2:3]
	v_mov_b32_e32 v1, 1
	v_and_b32_sdwa v1, v1, v12 dst_sel:DWORD dst_unused:UNUSED_PAD src0_sel:DWORD src1_sel:WORD_1
	v_cmp_eq_u32_e32 vcc, 1, v1
	s_and_saveexec_b64 s[2:3], vcc
	s_cbranch_execz .LBB1427_308
; %bb.307:
	v_sub_u32_e32 v1, v22, v15
	v_lshlrev_b32_e32 v1, 3, v1
	ds_write_b64 v1, v[2:3]
.LBB1427_308:
	s_or_b64 exec, exec, s[2:3]
	v_and_b32_e32 v1, 1, v16
	v_cmp_eq_u32_e32 vcc, 1, v1
	s_and_saveexec_b64 s[2:3], vcc
	s_cbranch_execz .LBB1427_310
; %bb.309:
	v_sub_u32_e32 v1, v20, v15
	v_lshlrev_b32_e32 v1, 3, v1
	ds_write_b64 v1, v[4:5]
.LBB1427_310:
	s_or_b64 exec, exec, s[2:3]
	v_and_b32_e32 v1, 1, v13
	v_cmp_eq_u32_e32 vcc, 1, v1
	s_and_saveexec_b64 s[2:3], vcc
	s_cbranch_execz .LBB1427_312
; %bb.311:
	v_sub_u32_e32 v1, v18, v15
	v_lshlrev_b32_e32 v1, 3, v1
	ds_write_b64 v1, v[10:11]
.LBB1427_312:
	s_or_b64 exec, exec, s[2:3]
	v_cmp_lt_u32_e32 vcc, v0, v14
	s_waitcnt lgkmcnt(0)
	s_barrier
	s_and_saveexec_b64 s[2:3], vcc
	s_cbranch_execz .LBB1427_315
; %bb.313:
	v_mov_b32_e32 v1, 0
	v_mov_b32_e32 v2, v15
	;; [unrolled: 1-line block ×3, first 2 shown]
	v_lshlrev_b64 v[2:3], 3, v[2:3]
	v_mov_b32_e32 v4, s29
	v_add_co_u32_e32 v2, vcc, s28, v2
	v_addc_co_u32_e32 v3, vcc, v4, v3, vcc
	s_lshl_b64 s[4:5], s[22:23], 3
	v_mov_b32_e32 v4, s5
	v_add_co_u32_e32 v2, vcc, s4, v2
	v_addc_co_u32_e32 v3, vcc, v3, v4, vcc
	v_lshlrev_b32_e32 v4, 3, v0
	s_mov_b64 s[4:5], 0
.LBB1427_314:                           ; =>This Inner Loop Header: Depth=1
	ds_read_b64 v[6:7], v4
	v_lshlrev_b64 v[8:9], 3, v[0:1]
	v_add_co_u32_e32 v8, vcc, v2, v8
	v_add_u32_e32 v0, 0x100, v0
	v_addc_co_u32_e32 v9, vcc, v3, v9, vcc
	v_cmp_ge_u32_e32 vcc, v0, v14
	v_add_u32_e32 v4, 0x800, v4
	s_or_b64 s[4:5], vcc, s[4:5]
	s_waitcnt lgkmcnt(0)
	global_store_dwordx2 v[8:9], v[6:7], off
	s_andn2_b64 exec, exec, s[4:5]
	s_cbranch_execnz .LBB1427_314
.LBB1427_315:
	s_or_b64 exec, exec, s[2:3]
	s_and_b64 s[0:1], s[0:1], s[24:25]
	s_and_saveexec_b64 s[2:3], s[0:1]
	s_cbranch_execz .LBB1427_285
.LBB1427_316:
	v_mov_b32_e32 v0, s23
	v_add_co_u32_e32 v1, vcc, s22, v14
	v_addc_co_u32_e32 v3, vcc, 0, v0, vcc
	v_add_co_u32_e32 v0, vcc, v1, v15
	v_mov_b32_e32 v2, 0
	v_addc_co_u32_e32 v1, vcc, 0, v3, vcc
	global_store_dwordx2 v2, v[0:1], s[20:21]
	s_endpgm
	.section	.rodata,"a",@progbits
	.p2align	6, 0x0
	.amdhsa_kernel _ZN7rocprim17ROCPRIM_400000_NS6detail17trampoline_kernelINS0_14default_configENS1_25partition_config_selectorILNS1_17partition_subalgoE8ElNS0_10empty_typeEbEEZZNS1_14partition_implILS5_8ELb0ES3_jPlPS6_PKS6_NS0_5tupleIJS9_S6_EEENSD_IJSA_SA_EEENS0_18inequality_wrapperIZN2at6native12_GLOBAL__N_124unique_dim_cuda_templateItEESt5tupleIJNSH_6TensorESM_SM_EERKSM_lbbbEUlllE0_EEPmJS6_EEE10hipError_tPvRmT3_T4_T5_T6_T7_T9_mT8_P12ihipStream_tbDpT10_ENKUlT_T0_E_clISt17integral_constantIbLb1EES1C_EEDaS17_S18_EUlS17_E_NS1_11comp_targetILNS1_3genE4ELNS1_11target_archE910ELNS1_3gpuE8ELNS1_3repE0EEENS1_30default_config_static_selectorELNS0_4arch9wavefront6targetE1EEEvT1_
		.amdhsa_group_segment_fixed_size 10252
		.amdhsa_private_segment_fixed_size 0
		.amdhsa_kernarg_size 136
		.amdhsa_user_sgpr_count 6
		.amdhsa_user_sgpr_private_segment_buffer 1
		.amdhsa_user_sgpr_dispatch_ptr 0
		.amdhsa_user_sgpr_queue_ptr 0
		.amdhsa_user_sgpr_kernarg_segment_ptr 1
		.amdhsa_user_sgpr_dispatch_id 0
		.amdhsa_user_sgpr_flat_scratch_init 0
		.amdhsa_user_sgpr_kernarg_preload_length 0
		.amdhsa_user_sgpr_kernarg_preload_offset 0
		.amdhsa_user_sgpr_private_segment_size 0
		.amdhsa_uses_dynamic_stack 0
		.amdhsa_system_sgpr_private_segment_wavefront_offset 0
		.amdhsa_system_sgpr_workgroup_id_x 1
		.amdhsa_system_sgpr_workgroup_id_y 0
		.amdhsa_system_sgpr_workgroup_id_z 0
		.amdhsa_system_sgpr_workgroup_info 0
		.amdhsa_system_vgpr_workitem_id 0
		.amdhsa_next_free_vgpr 46
		.amdhsa_next_free_sgpr 52
		.amdhsa_accum_offset 48
		.amdhsa_reserve_vcc 1
		.amdhsa_reserve_flat_scratch 0
		.amdhsa_float_round_mode_32 0
		.amdhsa_float_round_mode_16_64 0
		.amdhsa_float_denorm_mode_32 3
		.amdhsa_float_denorm_mode_16_64 3
		.amdhsa_dx10_clamp 1
		.amdhsa_ieee_mode 1
		.amdhsa_fp16_overflow 0
		.amdhsa_tg_split 0
		.amdhsa_exception_fp_ieee_invalid_op 0
		.amdhsa_exception_fp_denorm_src 0
		.amdhsa_exception_fp_ieee_div_zero 0
		.amdhsa_exception_fp_ieee_overflow 0
		.amdhsa_exception_fp_ieee_underflow 0
		.amdhsa_exception_fp_ieee_inexact 0
		.amdhsa_exception_int_div_zero 0
	.end_amdhsa_kernel
	.section	.text._ZN7rocprim17ROCPRIM_400000_NS6detail17trampoline_kernelINS0_14default_configENS1_25partition_config_selectorILNS1_17partition_subalgoE8ElNS0_10empty_typeEbEEZZNS1_14partition_implILS5_8ELb0ES3_jPlPS6_PKS6_NS0_5tupleIJS9_S6_EEENSD_IJSA_SA_EEENS0_18inequality_wrapperIZN2at6native12_GLOBAL__N_124unique_dim_cuda_templateItEESt5tupleIJNSH_6TensorESM_SM_EERKSM_lbbbEUlllE0_EEPmJS6_EEE10hipError_tPvRmT3_T4_T5_T6_T7_T9_mT8_P12ihipStream_tbDpT10_ENKUlT_T0_E_clISt17integral_constantIbLb1EES1C_EEDaS17_S18_EUlS17_E_NS1_11comp_targetILNS1_3genE4ELNS1_11target_archE910ELNS1_3gpuE8ELNS1_3repE0EEENS1_30default_config_static_selectorELNS0_4arch9wavefront6targetE1EEEvT1_,"axG",@progbits,_ZN7rocprim17ROCPRIM_400000_NS6detail17trampoline_kernelINS0_14default_configENS1_25partition_config_selectorILNS1_17partition_subalgoE8ElNS0_10empty_typeEbEEZZNS1_14partition_implILS5_8ELb0ES3_jPlPS6_PKS6_NS0_5tupleIJS9_S6_EEENSD_IJSA_SA_EEENS0_18inequality_wrapperIZN2at6native12_GLOBAL__N_124unique_dim_cuda_templateItEESt5tupleIJNSH_6TensorESM_SM_EERKSM_lbbbEUlllE0_EEPmJS6_EEE10hipError_tPvRmT3_T4_T5_T6_T7_T9_mT8_P12ihipStream_tbDpT10_ENKUlT_T0_E_clISt17integral_constantIbLb1EES1C_EEDaS17_S18_EUlS17_E_NS1_11comp_targetILNS1_3genE4ELNS1_11target_archE910ELNS1_3gpuE8ELNS1_3repE0EEENS1_30default_config_static_selectorELNS0_4arch9wavefront6targetE1EEEvT1_,comdat
.Lfunc_end1427:
	.size	_ZN7rocprim17ROCPRIM_400000_NS6detail17trampoline_kernelINS0_14default_configENS1_25partition_config_selectorILNS1_17partition_subalgoE8ElNS0_10empty_typeEbEEZZNS1_14partition_implILS5_8ELb0ES3_jPlPS6_PKS6_NS0_5tupleIJS9_S6_EEENSD_IJSA_SA_EEENS0_18inequality_wrapperIZN2at6native12_GLOBAL__N_124unique_dim_cuda_templateItEESt5tupleIJNSH_6TensorESM_SM_EERKSM_lbbbEUlllE0_EEPmJS6_EEE10hipError_tPvRmT3_T4_T5_T6_T7_T9_mT8_P12ihipStream_tbDpT10_ENKUlT_T0_E_clISt17integral_constantIbLb1EES1C_EEDaS17_S18_EUlS17_E_NS1_11comp_targetILNS1_3genE4ELNS1_11target_archE910ELNS1_3gpuE8ELNS1_3repE0EEENS1_30default_config_static_selectorELNS0_4arch9wavefront6targetE1EEEvT1_, .Lfunc_end1427-_ZN7rocprim17ROCPRIM_400000_NS6detail17trampoline_kernelINS0_14default_configENS1_25partition_config_selectorILNS1_17partition_subalgoE8ElNS0_10empty_typeEbEEZZNS1_14partition_implILS5_8ELb0ES3_jPlPS6_PKS6_NS0_5tupleIJS9_S6_EEENSD_IJSA_SA_EEENS0_18inequality_wrapperIZN2at6native12_GLOBAL__N_124unique_dim_cuda_templateItEESt5tupleIJNSH_6TensorESM_SM_EERKSM_lbbbEUlllE0_EEPmJS6_EEE10hipError_tPvRmT3_T4_T5_T6_T7_T9_mT8_P12ihipStream_tbDpT10_ENKUlT_T0_E_clISt17integral_constantIbLb1EES1C_EEDaS17_S18_EUlS17_E_NS1_11comp_targetILNS1_3genE4ELNS1_11target_archE910ELNS1_3gpuE8ELNS1_3repE0EEENS1_30default_config_static_selectorELNS0_4arch9wavefront6targetE1EEEvT1_
                                        ; -- End function
	.section	.AMDGPU.csdata,"",@progbits
; Kernel info:
; codeLenInByte = 11652
; NumSgprs: 56
; NumVgprs: 46
; NumAgprs: 0
; TotalNumVgprs: 46
; ScratchSize: 0
; MemoryBound: 0
; FloatMode: 240
; IeeeMode: 1
; LDSByteSize: 10252 bytes/workgroup (compile time only)
; SGPRBlocks: 6
; VGPRBlocks: 5
; NumSGPRsForWavesPerEU: 56
; NumVGPRsForWavesPerEU: 46
; AccumOffset: 48
; Occupancy: 6
; WaveLimiterHint : 1
; COMPUTE_PGM_RSRC2:SCRATCH_EN: 0
; COMPUTE_PGM_RSRC2:USER_SGPR: 6
; COMPUTE_PGM_RSRC2:TRAP_HANDLER: 0
; COMPUTE_PGM_RSRC2:TGID_X_EN: 1
; COMPUTE_PGM_RSRC2:TGID_Y_EN: 0
; COMPUTE_PGM_RSRC2:TGID_Z_EN: 0
; COMPUTE_PGM_RSRC2:TIDIG_COMP_CNT: 0
; COMPUTE_PGM_RSRC3_GFX90A:ACCUM_OFFSET: 11
; COMPUTE_PGM_RSRC3_GFX90A:TG_SPLIT: 0
	.section	.text._ZN7rocprim17ROCPRIM_400000_NS6detail17trampoline_kernelINS0_14default_configENS1_25partition_config_selectorILNS1_17partition_subalgoE8ElNS0_10empty_typeEbEEZZNS1_14partition_implILS5_8ELb0ES3_jPlPS6_PKS6_NS0_5tupleIJS9_S6_EEENSD_IJSA_SA_EEENS0_18inequality_wrapperIZN2at6native12_GLOBAL__N_124unique_dim_cuda_templateItEESt5tupleIJNSH_6TensorESM_SM_EERKSM_lbbbEUlllE0_EEPmJS6_EEE10hipError_tPvRmT3_T4_T5_T6_T7_T9_mT8_P12ihipStream_tbDpT10_ENKUlT_T0_E_clISt17integral_constantIbLb1EES1C_EEDaS17_S18_EUlS17_E_NS1_11comp_targetILNS1_3genE3ELNS1_11target_archE908ELNS1_3gpuE7ELNS1_3repE0EEENS1_30default_config_static_selectorELNS0_4arch9wavefront6targetE1EEEvT1_,"axG",@progbits,_ZN7rocprim17ROCPRIM_400000_NS6detail17trampoline_kernelINS0_14default_configENS1_25partition_config_selectorILNS1_17partition_subalgoE8ElNS0_10empty_typeEbEEZZNS1_14partition_implILS5_8ELb0ES3_jPlPS6_PKS6_NS0_5tupleIJS9_S6_EEENSD_IJSA_SA_EEENS0_18inequality_wrapperIZN2at6native12_GLOBAL__N_124unique_dim_cuda_templateItEESt5tupleIJNSH_6TensorESM_SM_EERKSM_lbbbEUlllE0_EEPmJS6_EEE10hipError_tPvRmT3_T4_T5_T6_T7_T9_mT8_P12ihipStream_tbDpT10_ENKUlT_T0_E_clISt17integral_constantIbLb1EES1C_EEDaS17_S18_EUlS17_E_NS1_11comp_targetILNS1_3genE3ELNS1_11target_archE908ELNS1_3gpuE7ELNS1_3repE0EEENS1_30default_config_static_selectorELNS0_4arch9wavefront6targetE1EEEvT1_,comdat
	.globl	_ZN7rocprim17ROCPRIM_400000_NS6detail17trampoline_kernelINS0_14default_configENS1_25partition_config_selectorILNS1_17partition_subalgoE8ElNS0_10empty_typeEbEEZZNS1_14partition_implILS5_8ELb0ES3_jPlPS6_PKS6_NS0_5tupleIJS9_S6_EEENSD_IJSA_SA_EEENS0_18inequality_wrapperIZN2at6native12_GLOBAL__N_124unique_dim_cuda_templateItEESt5tupleIJNSH_6TensorESM_SM_EERKSM_lbbbEUlllE0_EEPmJS6_EEE10hipError_tPvRmT3_T4_T5_T6_T7_T9_mT8_P12ihipStream_tbDpT10_ENKUlT_T0_E_clISt17integral_constantIbLb1EES1C_EEDaS17_S18_EUlS17_E_NS1_11comp_targetILNS1_3genE3ELNS1_11target_archE908ELNS1_3gpuE7ELNS1_3repE0EEENS1_30default_config_static_selectorELNS0_4arch9wavefront6targetE1EEEvT1_ ; -- Begin function _ZN7rocprim17ROCPRIM_400000_NS6detail17trampoline_kernelINS0_14default_configENS1_25partition_config_selectorILNS1_17partition_subalgoE8ElNS0_10empty_typeEbEEZZNS1_14partition_implILS5_8ELb0ES3_jPlPS6_PKS6_NS0_5tupleIJS9_S6_EEENSD_IJSA_SA_EEENS0_18inequality_wrapperIZN2at6native12_GLOBAL__N_124unique_dim_cuda_templateItEESt5tupleIJNSH_6TensorESM_SM_EERKSM_lbbbEUlllE0_EEPmJS6_EEE10hipError_tPvRmT3_T4_T5_T6_T7_T9_mT8_P12ihipStream_tbDpT10_ENKUlT_T0_E_clISt17integral_constantIbLb1EES1C_EEDaS17_S18_EUlS17_E_NS1_11comp_targetILNS1_3genE3ELNS1_11target_archE908ELNS1_3gpuE7ELNS1_3repE0EEENS1_30default_config_static_selectorELNS0_4arch9wavefront6targetE1EEEvT1_
	.p2align	8
	.type	_ZN7rocprim17ROCPRIM_400000_NS6detail17trampoline_kernelINS0_14default_configENS1_25partition_config_selectorILNS1_17partition_subalgoE8ElNS0_10empty_typeEbEEZZNS1_14partition_implILS5_8ELb0ES3_jPlPS6_PKS6_NS0_5tupleIJS9_S6_EEENSD_IJSA_SA_EEENS0_18inequality_wrapperIZN2at6native12_GLOBAL__N_124unique_dim_cuda_templateItEESt5tupleIJNSH_6TensorESM_SM_EERKSM_lbbbEUlllE0_EEPmJS6_EEE10hipError_tPvRmT3_T4_T5_T6_T7_T9_mT8_P12ihipStream_tbDpT10_ENKUlT_T0_E_clISt17integral_constantIbLb1EES1C_EEDaS17_S18_EUlS17_E_NS1_11comp_targetILNS1_3genE3ELNS1_11target_archE908ELNS1_3gpuE7ELNS1_3repE0EEENS1_30default_config_static_selectorELNS0_4arch9wavefront6targetE1EEEvT1_,@function
_ZN7rocprim17ROCPRIM_400000_NS6detail17trampoline_kernelINS0_14default_configENS1_25partition_config_selectorILNS1_17partition_subalgoE8ElNS0_10empty_typeEbEEZZNS1_14partition_implILS5_8ELb0ES3_jPlPS6_PKS6_NS0_5tupleIJS9_S6_EEENSD_IJSA_SA_EEENS0_18inequality_wrapperIZN2at6native12_GLOBAL__N_124unique_dim_cuda_templateItEESt5tupleIJNSH_6TensorESM_SM_EERKSM_lbbbEUlllE0_EEPmJS6_EEE10hipError_tPvRmT3_T4_T5_T6_T7_T9_mT8_P12ihipStream_tbDpT10_ENKUlT_T0_E_clISt17integral_constantIbLb1EES1C_EEDaS17_S18_EUlS17_E_NS1_11comp_targetILNS1_3genE3ELNS1_11target_archE908ELNS1_3gpuE7ELNS1_3repE0EEENS1_30default_config_static_selectorELNS0_4arch9wavefront6targetE1EEEvT1_: ; @_ZN7rocprim17ROCPRIM_400000_NS6detail17trampoline_kernelINS0_14default_configENS1_25partition_config_selectorILNS1_17partition_subalgoE8ElNS0_10empty_typeEbEEZZNS1_14partition_implILS5_8ELb0ES3_jPlPS6_PKS6_NS0_5tupleIJS9_S6_EEENSD_IJSA_SA_EEENS0_18inequality_wrapperIZN2at6native12_GLOBAL__N_124unique_dim_cuda_templateItEESt5tupleIJNSH_6TensorESM_SM_EERKSM_lbbbEUlllE0_EEPmJS6_EEE10hipError_tPvRmT3_T4_T5_T6_T7_T9_mT8_P12ihipStream_tbDpT10_ENKUlT_T0_E_clISt17integral_constantIbLb1EES1C_EEDaS17_S18_EUlS17_E_NS1_11comp_targetILNS1_3genE3ELNS1_11target_archE908ELNS1_3gpuE7ELNS1_3repE0EEENS1_30default_config_static_selectorELNS0_4arch9wavefront6targetE1EEEvT1_
; %bb.0:
	.section	.rodata,"a",@progbits
	.p2align	6, 0x0
	.amdhsa_kernel _ZN7rocprim17ROCPRIM_400000_NS6detail17trampoline_kernelINS0_14default_configENS1_25partition_config_selectorILNS1_17partition_subalgoE8ElNS0_10empty_typeEbEEZZNS1_14partition_implILS5_8ELb0ES3_jPlPS6_PKS6_NS0_5tupleIJS9_S6_EEENSD_IJSA_SA_EEENS0_18inequality_wrapperIZN2at6native12_GLOBAL__N_124unique_dim_cuda_templateItEESt5tupleIJNSH_6TensorESM_SM_EERKSM_lbbbEUlllE0_EEPmJS6_EEE10hipError_tPvRmT3_T4_T5_T6_T7_T9_mT8_P12ihipStream_tbDpT10_ENKUlT_T0_E_clISt17integral_constantIbLb1EES1C_EEDaS17_S18_EUlS17_E_NS1_11comp_targetILNS1_3genE3ELNS1_11target_archE908ELNS1_3gpuE7ELNS1_3repE0EEENS1_30default_config_static_selectorELNS0_4arch9wavefront6targetE1EEEvT1_
		.amdhsa_group_segment_fixed_size 0
		.amdhsa_private_segment_fixed_size 0
		.amdhsa_kernarg_size 136
		.amdhsa_user_sgpr_count 6
		.amdhsa_user_sgpr_private_segment_buffer 1
		.amdhsa_user_sgpr_dispatch_ptr 0
		.amdhsa_user_sgpr_queue_ptr 0
		.amdhsa_user_sgpr_kernarg_segment_ptr 1
		.amdhsa_user_sgpr_dispatch_id 0
		.amdhsa_user_sgpr_flat_scratch_init 0
		.amdhsa_user_sgpr_kernarg_preload_length 0
		.amdhsa_user_sgpr_kernarg_preload_offset 0
		.amdhsa_user_sgpr_private_segment_size 0
		.amdhsa_uses_dynamic_stack 0
		.amdhsa_system_sgpr_private_segment_wavefront_offset 0
		.amdhsa_system_sgpr_workgroup_id_x 1
		.amdhsa_system_sgpr_workgroup_id_y 0
		.amdhsa_system_sgpr_workgroup_id_z 0
		.amdhsa_system_sgpr_workgroup_info 0
		.amdhsa_system_vgpr_workitem_id 0
		.amdhsa_next_free_vgpr 1
		.amdhsa_next_free_sgpr 0
		.amdhsa_accum_offset 4
		.amdhsa_reserve_vcc 0
		.amdhsa_reserve_flat_scratch 0
		.amdhsa_float_round_mode_32 0
		.amdhsa_float_round_mode_16_64 0
		.amdhsa_float_denorm_mode_32 3
		.amdhsa_float_denorm_mode_16_64 3
		.amdhsa_dx10_clamp 1
		.amdhsa_ieee_mode 1
		.amdhsa_fp16_overflow 0
		.amdhsa_tg_split 0
		.amdhsa_exception_fp_ieee_invalid_op 0
		.amdhsa_exception_fp_denorm_src 0
		.amdhsa_exception_fp_ieee_div_zero 0
		.amdhsa_exception_fp_ieee_overflow 0
		.amdhsa_exception_fp_ieee_underflow 0
		.amdhsa_exception_fp_ieee_inexact 0
		.amdhsa_exception_int_div_zero 0
	.end_amdhsa_kernel
	.section	.text._ZN7rocprim17ROCPRIM_400000_NS6detail17trampoline_kernelINS0_14default_configENS1_25partition_config_selectorILNS1_17partition_subalgoE8ElNS0_10empty_typeEbEEZZNS1_14partition_implILS5_8ELb0ES3_jPlPS6_PKS6_NS0_5tupleIJS9_S6_EEENSD_IJSA_SA_EEENS0_18inequality_wrapperIZN2at6native12_GLOBAL__N_124unique_dim_cuda_templateItEESt5tupleIJNSH_6TensorESM_SM_EERKSM_lbbbEUlllE0_EEPmJS6_EEE10hipError_tPvRmT3_T4_T5_T6_T7_T9_mT8_P12ihipStream_tbDpT10_ENKUlT_T0_E_clISt17integral_constantIbLb1EES1C_EEDaS17_S18_EUlS17_E_NS1_11comp_targetILNS1_3genE3ELNS1_11target_archE908ELNS1_3gpuE7ELNS1_3repE0EEENS1_30default_config_static_selectorELNS0_4arch9wavefront6targetE1EEEvT1_,"axG",@progbits,_ZN7rocprim17ROCPRIM_400000_NS6detail17trampoline_kernelINS0_14default_configENS1_25partition_config_selectorILNS1_17partition_subalgoE8ElNS0_10empty_typeEbEEZZNS1_14partition_implILS5_8ELb0ES3_jPlPS6_PKS6_NS0_5tupleIJS9_S6_EEENSD_IJSA_SA_EEENS0_18inequality_wrapperIZN2at6native12_GLOBAL__N_124unique_dim_cuda_templateItEESt5tupleIJNSH_6TensorESM_SM_EERKSM_lbbbEUlllE0_EEPmJS6_EEE10hipError_tPvRmT3_T4_T5_T6_T7_T9_mT8_P12ihipStream_tbDpT10_ENKUlT_T0_E_clISt17integral_constantIbLb1EES1C_EEDaS17_S18_EUlS17_E_NS1_11comp_targetILNS1_3genE3ELNS1_11target_archE908ELNS1_3gpuE7ELNS1_3repE0EEENS1_30default_config_static_selectorELNS0_4arch9wavefront6targetE1EEEvT1_,comdat
.Lfunc_end1428:
	.size	_ZN7rocprim17ROCPRIM_400000_NS6detail17trampoline_kernelINS0_14default_configENS1_25partition_config_selectorILNS1_17partition_subalgoE8ElNS0_10empty_typeEbEEZZNS1_14partition_implILS5_8ELb0ES3_jPlPS6_PKS6_NS0_5tupleIJS9_S6_EEENSD_IJSA_SA_EEENS0_18inequality_wrapperIZN2at6native12_GLOBAL__N_124unique_dim_cuda_templateItEESt5tupleIJNSH_6TensorESM_SM_EERKSM_lbbbEUlllE0_EEPmJS6_EEE10hipError_tPvRmT3_T4_T5_T6_T7_T9_mT8_P12ihipStream_tbDpT10_ENKUlT_T0_E_clISt17integral_constantIbLb1EES1C_EEDaS17_S18_EUlS17_E_NS1_11comp_targetILNS1_3genE3ELNS1_11target_archE908ELNS1_3gpuE7ELNS1_3repE0EEENS1_30default_config_static_selectorELNS0_4arch9wavefront6targetE1EEEvT1_, .Lfunc_end1428-_ZN7rocprim17ROCPRIM_400000_NS6detail17trampoline_kernelINS0_14default_configENS1_25partition_config_selectorILNS1_17partition_subalgoE8ElNS0_10empty_typeEbEEZZNS1_14partition_implILS5_8ELb0ES3_jPlPS6_PKS6_NS0_5tupleIJS9_S6_EEENSD_IJSA_SA_EEENS0_18inequality_wrapperIZN2at6native12_GLOBAL__N_124unique_dim_cuda_templateItEESt5tupleIJNSH_6TensorESM_SM_EERKSM_lbbbEUlllE0_EEPmJS6_EEE10hipError_tPvRmT3_T4_T5_T6_T7_T9_mT8_P12ihipStream_tbDpT10_ENKUlT_T0_E_clISt17integral_constantIbLb1EES1C_EEDaS17_S18_EUlS17_E_NS1_11comp_targetILNS1_3genE3ELNS1_11target_archE908ELNS1_3gpuE7ELNS1_3repE0EEENS1_30default_config_static_selectorELNS0_4arch9wavefront6targetE1EEEvT1_
                                        ; -- End function
	.section	.AMDGPU.csdata,"",@progbits
; Kernel info:
; codeLenInByte = 0
; NumSgprs: 4
; NumVgprs: 0
; NumAgprs: 0
; TotalNumVgprs: 0
; ScratchSize: 0
; MemoryBound: 0
; FloatMode: 240
; IeeeMode: 1
; LDSByteSize: 0 bytes/workgroup (compile time only)
; SGPRBlocks: 0
; VGPRBlocks: 0
; NumSGPRsForWavesPerEU: 4
; NumVGPRsForWavesPerEU: 1
; AccumOffset: 4
; Occupancy: 8
; WaveLimiterHint : 0
; COMPUTE_PGM_RSRC2:SCRATCH_EN: 0
; COMPUTE_PGM_RSRC2:USER_SGPR: 6
; COMPUTE_PGM_RSRC2:TRAP_HANDLER: 0
; COMPUTE_PGM_RSRC2:TGID_X_EN: 1
; COMPUTE_PGM_RSRC2:TGID_Y_EN: 0
; COMPUTE_PGM_RSRC2:TGID_Z_EN: 0
; COMPUTE_PGM_RSRC2:TIDIG_COMP_CNT: 0
; COMPUTE_PGM_RSRC3_GFX90A:ACCUM_OFFSET: 0
; COMPUTE_PGM_RSRC3_GFX90A:TG_SPLIT: 0
	.section	.text._ZN7rocprim17ROCPRIM_400000_NS6detail17trampoline_kernelINS0_14default_configENS1_25partition_config_selectorILNS1_17partition_subalgoE8ElNS0_10empty_typeEbEEZZNS1_14partition_implILS5_8ELb0ES3_jPlPS6_PKS6_NS0_5tupleIJS9_S6_EEENSD_IJSA_SA_EEENS0_18inequality_wrapperIZN2at6native12_GLOBAL__N_124unique_dim_cuda_templateItEESt5tupleIJNSH_6TensorESM_SM_EERKSM_lbbbEUlllE0_EEPmJS6_EEE10hipError_tPvRmT3_T4_T5_T6_T7_T9_mT8_P12ihipStream_tbDpT10_ENKUlT_T0_E_clISt17integral_constantIbLb1EES1C_EEDaS17_S18_EUlS17_E_NS1_11comp_targetILNS1_3genE2ELNS1_11target_archE906ELNS1_3gpuE6ELNS1_3repE0EEENS1_30default_config_static_selectorELNS0_4arch9wavefront6targetE1EEEvT1_,"axG",@progbits,_ZN7rocprim17ROCPRIM_400000_NS6detail17trampoline_kernelINS0_14default_configENS1_25partition_config_selectorILNS1_17partition_subalgoE8ElNS0_10empty_typeEbEEZZNS1_14partition_implILS5_8ELb0ES3_jPlPS6_PKS6_NS0_5tupleIJS9_S6_EEENSD_IJSA_SA_EEENS0_18inequality_wrapperIZN2at6native12_GLOBAL__N_124unique_dim_cuda_templateItEESt5tupleIJNSH_6TensorESM_SM_EERKSM_lbbbEUlllE0_EEPmJS6_EEE10hipError_tPvRmT3_T4_T5_T6_T7_T9_mT8_P12ihipStream_tbDpT10_ENKUlT_T0_E_clISt17integral_constantIbLb1EES1C_EEDaS17_S18_EUlS17_E_NS1_11comp_targetILNS1_3genE2ELNS1_11target_archE906ELNS1_3gpuE6ELNS1_3repE0EEENS1_30default_config_static_selectorELNS0_4arch9wavefront6targetE1EEEvT1_,comdat
	.globl	_ZN7rocprim17ROCPRIM_400000_NS6detail17trampoline_kernelINS0_14default_configENS1_25partition_config_selectorILNS1_17partition_subalgoE8ElNS0_10empty_typeEbEEZZNS1_14partition_implILS5_8ELb0ES3_jPlPS6_PKS6_NS0_5tupleIJS9_S6_EEENSD_IJSA_SA_EEENS0_18inequality_wrapperIZN2at6native12_GLOBAL__N_124unique_dim_cuda_templateItEESt5tupleIJNSH_6TensorESM_SM_EERKSM_lbbbEUlllE0_EEPmJS6_EEE10hipError_tPvRmT3_T4_T5_T6_T7_T9_mT8_P12ihipStream_tbDpT10_ENKUlT_T0_E_clISt17integral_constantIbLb1EES1C_EEDaS17_S18_EUlS17_E_NS1_11comp_targetILNS1_3genE2ELNS1_11target_archE906ELNS1_3gpuE6ELNS1_3repE0EEENS1_30default_config_static_selectorELNS0_4arch9wavefront6targetE1EEEvT1_ ; -- Begin function _ZN7rocprim17ROCPRIM_400000_NS6detail17trampoline_kernelINS0_14default_configENS1_25partition_config_selectorILNS1_17partition_subalgoE8ElNS0_10empty_typeEbEEZZNS1_14partition_implILS5_8ELb0ES3_jPlPS6_PKS6_NS0_5tupleIJS9_S6_EEENSD_IJSA_SA_EEENS0_18inequality_wrapperIZN2at6native12_GLOBAL__N_124unique_dim_cuda_templateItEESt5tupleIJNSH_6TensorESM_SM_EERKSM_lbbbEUlllE0_EEPmJS6_EEE10hipError_tPvRmT3_T4_T5_T6_T7_T9_mT8_P12ihipStream_tbDpT10_ENKUlT_T0_E_clISt17integral_constantIbLb1EES1C_EEDaS17_S18_EUlS17_E_NS1_11comp_targetILNS1_3genE2ELNS1_11target_archE906ELNS1_3gpuE6ELNS1_3repE0EEENS1_30default_config_static_selectorELNS0_4arch9wavefront6targetE1EEEvT1_
	.p2align	8
	.type	_ZN7rocprim17ROCPRIM_400000_NS6detail17trampoline_kernelINS0_14default_configENS1_25partition_config_selectorILNS1_17partition_subalgoE8ElNS0_10empty_typeEbEEZZNS1_14partition_implILS5_8ELb0ES3_jPlPS6_PKS6_NS0_5tupleIJS9_S6_EEENSD_IJSA_SA_EEENS0_18inequality_wrapperIZN2at6native12_GLOBAL__N_124unique_dim_cuda_templateItEESt5tupleIJNSH_6TensorESM_SM_EERKSM_lbbbEUlllE0_EEPmJS6_EEE10hipError_tPvRmT3_T4_T5_T6_T7_T9_mT8_P12ihipStream_tbDpT10_ENKUlT_T0_E_clISt17integral_constantIbLb1EES1C_EEDaS17_S18_EUlS17_E_NS1_11comp_targetILNS1_3genE2ELNS1_11target_archE906ELNS1_3gpuE6ELNS1_3repE0EEENS1_30default_config_static_selectorELNS0_4arch9wavefront6targetE1EEEvT1_,@function
_ZN7rocprim17ROCPRIM_400000_NS6detail17trampoline_kernelINS0_14default_configENS1_25partition_config_selectorILNS1_17partition_subalgoE8ElNS0_10empty_typeEbEEZZNS1_14partition_implILS5_8ELb0ES3_jPlPS6_PKS6_NS0_5tupleIJS9_S6_EEENSD_IJSA_SA_EEENS0_18inequality_wrapperIZN2at6native12_GLOBAL__N_124unique_dim_cuda_templateItEESt5tupleIJNSH_6TensorESM_SM_EERKSM_lbbbEUlllE0_EEPmJS6_EEE10hipError_tPvRmT3_T4_T5_T6_T7_T9_mT8_P12ihipStream_tbDpT10_ENKUlT_T0_E_clISt17integral_constantIbLb1EES1C_EEDaS17_S18_EUlS17_E_NS1_11comp_targetILNS1_3genE2ELNS1_11target_archE906ELNS1_3gpuE6ELNS1_3repE0EEENS1_30default_config_static_selectorELNS0_4arch9wavefront6targetE1EEEvT1_: ; @_ZN7rocprim17ROCPRIM_400000_NS6detail17trampoline_kernelINS0_14default_configENS1_25partition_config_selectorILNS1_17partition_subalgoE8ElNS0_10empty_typeEbEEZZNS1_14partition_implILS5_8ELb0ES3_jPlPS6_PKS6_NS0_5tupleIJS9_S6_EEENSD_IJSA_SA_EEENS0_18inequality_wrapperIZN2at6native12_GLOBAL__N_124unique_dim_cuda_templateItEESt5tupleIJNSH_6TensorESM_SM_EERKSM_lbbbEUlllE0_EEPmJS6_EEE10hipError_tPvRmT3_T4_T5_T6_T7_T9_mT8_P12ihipStream_tbDpT10_ENKUlT_T0_E_clISt17integral_constantIbLb1EES1C_EEDaS17_S18_EUlS17_E_NS1_11comp_targetILNS1_3genE2ELNS1_11target_archE906ELNS1_3gpuE6ELNS1_3repE0EEENS1_30default_config_static_selectorELNS0_4arch9wavefront6targetE1EEEvT1_
; %bb.0:
	.section	.rodata,"a",@progbits
	.p2align	6, 0x0
	.amdhsa_kernel _ZN7rocprim17ROCPRIM_400000_NS6detail17trampoline_kernelINS0_14default_configENS1_25partition_config_selectorILNS1_17partition_subalgoE8ElNS0_10empty_typeEbEEZZNS1_14partition_implILS5_8ELb0ES3_jPlPS6_PKS6_NS0_5tupleIJS9_S6_EEENSD_IJSA_SA_EEENS0_18inequality_wrapperIZN2at6native12_GLOBAL__N_124unique_dim_cuda_templateItEESt5tupleIJNSH_6TensorESM_SM_EERKSM_lbbbEUlllE0_EEPmJS6_EEE10hipError_tPvRmT3_T4_T5_T6_T7_T9_mT8_P12ihipStream_tbDpT10_ENKUlT_T0_E_clISt17integral_constantIbLb1EES1C_EEDaS17_S18_EUlS17_E_NS1_11comp_targetILNS1_3genE2ELNS1_11target_archE906ELNS1_3gpuE6ELNS1_3repE0EEENS1_30default_config_static_selectorELNS0_4arch9wavefront6targetE1EEEvT1_
		.amdhsa_group_segment_fixed_size 0
		.amdhsa_private_segment_fixed_size 0
		.amdhsa_kernarg_size 136
		.amdhsa_user_sgpr_count 6
		.amdhsa_user_sgpr_private_segment_buffer 1
		.amdhsa_user_sgpr_dispatch_ptr 0
		.amdhsa_user_sgpr_queue_ptr 0
		.amdhsa_user_sgpr_kernarg_segment_ptr 1
		.amdhsa_user_sgpr_dispatch_id 0
		.amdhsa_user_sgpr_flat_scratch_init 0
		.amdhsa_user_sgpr_kernarg_preload_length 0
		.amdhsa_user_sgpr_kernarg_preload_offset 0
		.amdhsa_user_sgpr_private_segment_size 0
		.amdhsa_uses_dynamic_stack 0
		.amdhsa_system_sgpr_private_segment_wavefront_offset 0
		.amdhsa_system_sgpr_workgroup_id_x 1
		.amdhsa_system_sgpr_workgroup_id_y 0
		.amdhsa_system_sgpr_workgroup_id_z 0
		.amdhsa_system_sgpr_workgroup_info 0
		.amdhsa_system_vgpr_workitem_id 0
		.amdhsa_next_free_vgpr 1
		.amdhsa_next_free_sgpr 0
		.amdhsa_accum_offset 4
		.amdhsa_reserve_vcc 0
		.amdhsa_reserve_flat_scratch 0
		.amdhsa_float_round_mode_32 0
		.amdhsa_float_round_mode_16_64 0
		.amdhsa_float_denorm_mode_32 3
		.amdhsa_float_denorm_mode_16_64 3
		.amdhsa_dx10_clamp 1
		.amdhsa_ieee_mode 1
		.amdhsa_fp16_overflow 0
		.amdhsa_tg_split 0
		.amdhsa_exception_fp_ieee_invalid_op 0
		.amdhsa_exception_fp_denorm_src 0
		.amdhsa_exception_fp_ieee_div_zero 0
		.amdhsa_exception_fp_ieee_overflow 0
		.amdhsa_exception_fp_ieee_underflow 0
		.amdhsa_exception_fp_ieee_inexact 0
		.amdhsa_exception_int_div_zero 0
	.end_amdhsa_kernel
	.section	.text._ZN7rocprim17ROCPRIM_400000_NS6detail17trampoline_kernelINS0_14default_configENS1_25partition_config_selectorILNS1_17partition_subalgoE8ElNS0_10empty_typeEbEEZZNS1_14partition_implILS5_8ELb0ES3_jPlPS6_PKS6_NS0_5tupleIJS9_S6_EEENSD_IJSA_SA_EEENS0_18inequality_wrapperIZN2at6native12_GLOBAL__N_124unique_dim_cuda_templateItEESt5tupleIJNSH_6TensorESM_SM_EERKSM_lbbbEUlllE0_EEPmJS6_EEE10hipError_tPvRmT3_T4_T5_T6_T7_T9_mT8_P12ihipStream_tbDpT10_ENKUlT_T0_E_clISt17integral_constantIbLb1EES1C_EEDaS17_S18_EUlS17_E_NS1_11comp_targetILNS1_3genE2ELNS1_11target_archE906ELNS1_3gpuE6ELNS1_3repE0EEENS1_30default_config_static_selectorELNS0_4arch9wavefront6targetE1EEEvT1_,"axG",@progbits,_ZN7rocprim17ROCPRIM_400000_NS6detail17trampoline_kernelINS0_14default_configENS1_25partition_config_selectorILNS1_17partition_subalgoE8ElNS0_10empty_typeEbEEZZNS1_14partition_implILS5_8ELb0ES3_jPlPS6_PKS6_NS0_5tupleIJS9_S6_EEENSD_IJSA_SA_EEENS0_18inequality_wrapperIZN2at6native12_GLOBAL__N_124unique_dim_cuda_templateItEESt5tupleIJNSH_6TensorESM_SM_EERKSM_lbbbEUlllE0_EEPmJS6_EEE10hipError_tPvRmT3_T4_T5_T6_T7_T9_mT8_P12ihipStream_tbDpT10_ENKUlT_T0_E_clISt17integral_constantIbLb1EES1C_EEDaS17_S18_EUlS17_E_NS1_11comp_targetILNS1_3genE2ELNS1_11target_archE906ELNS1_3gpuE6ELNS1_3repE0EEENS1_30default_config_static_selectorELNS0_4arch9wavefront6targetE1EEEvT1_,comdat
.Lfunc_end1429:
	.size	_ZN7rocprim17ROCPRIM_400000_NS6detail17trampoline_kernelINS0_14default_configENS1_25partition_config_selectorILNS1_17partition_subalgoE8ElNS0_10empty_typeEbEEZZNS1_14partition_implILS5_8ELb0ES3_jPlPS6_PKS6_NS0_5tupleIJS9_S6_EEENSD_IJSA_SA_EEENS0_18inequality_wrapperIZN2at6native12_GLOBAL__N_124unique_dim_cuda_templateItEESt5tupleIJNSH_6TensorESM_SM_EERKSM_lbbbEUlllE0_EEPmJS6_EEE10hipError_tPvRmT3_T4_T5_T6_T7_T9_mT8_P12ihipStream_tbDpT10_ENKUlT_T0_E_clISt17integral_constantIbLb1EES1C_EEDaS17_S18_EUlS17_E_NS1_11comp_targetILNS1_3genE2ELNS1_11target_archE906ELNS1_3gpuE6ELNS1_3repE0EEENS1_30default_config_static_selectorELNS0_4arch9wavefront6targetE1EEEvT1_, .Lfunc_end1429-_ZN7rocprim17ROCPRIM_400000_NS6detail17trampoline_kernelINS0_14default_configENS1_25partition_config_selectorILNS1_17partition_subalgoE8ElNS0_10empty_typeEbEEZZNS1_14partition_implILS5_8ELb0ES3_jPlPS6_PKS6_NS0_5tupleIJS9_S6_EEENSD_IJSA_SA_EEENS0_18inequality_wrapperIZN2at6native12_GLOBAL__N_124unique_dim_cuda_templateItEESt5tupleIJNSH_6TensorESM_SM_EERKSM_lbbbEUlllE0_EEPmJS6_EEE10hipError_tPvRmT3_T4_T5_T6_T7_T9_mT8_P12ihipStream_tbDpT10_ENKUlT_T0_E_clISt17integral_constantIbLb1EES1C_EEDaS17_S18_EUlS17_E_NS1_11comp_targetILNS1_3genE2ELNS1_11target_archE906ELNS1_3gpuE6ELNS1_3repE0EEENS1_30default_config_static_selectorELNS0_4arch9wavefront6targetE1EEEvT1_
                                        ; -- End function
	.section	.AMDGPU.csdata,"",@progbits
; Kernel info:
; codeLenInByte = 0
; NumSgprs: 4
; NumVgprs: 0
; NumAgprs: 0
; TotalNumVgprs: 0
; ScratchSize: 0
; MemoryBound: 0
; FloatMode: 240
; IeeeMode: 1
; LDSByteSize: 0 bytes/workgroup (compile time only)
; SGPRBlocks: 0
; VGPRBlocks: 0
; NumSGPRsForWavesPerEU: 4
; NumVGPRsForWavesPerEU: 1
; AccumOffset: 4
; Occupancy: 8
; WaveLimiterHint : 0
; COMPUTE_PGM_RSRC2:SCRATCH_EN: 0
; COMPUTE_PGM_RSRC2:USER_SGPR: 6
; COMPUTE_PGM_RSRC2:TRAP_HANDLER: 0
; COMPUTE_PGM_RSRC2:TGID_X_EN: 1
; COMPUTE_PGM_RSRC2:TGID_Y_EN: 0
; COMPUTE_PGM_RSRC2:TGID_Z_EN: 0
; COMPUTE_PGM_RSRC2:TIDIG_COMP_CNT: 0
; COMPUTE_PGM_RSRC3_GFX90A:ACCUM_OFFSET: 0
; COMPUTE_PGM_RSRC3_GFX90A:TG_SPLIT: 0
	.section	.text._ZN7rocprim17ROCPRIM_400000_NS6detail17trampoline_kernelINS0_14default_configENS1_25partition_config_selectorILNS1_17partition_subalgoE8ElNS0_10empty_typeEbEEZZNS1_14partition_implILS5_8ELb0ES3_jPlPS6_PKS6_NS0_5tupleIJS9_S6_EEENSD_IJSA_SA_EEENS0_18inequality_wrapperIZN2at6native12_GLOBAL__N_124unique_dim_cuda_templateItEESt5tupleIJNSH_6TensorESM_SM_EERKSM_lbbbEUlllE0_EEPmJS6_EEE10hipError_tPvRmT3_T4_T5_T6_T7_T9_mT8_P12ihipStream_tbDpT10_ENKUlT_T0_E_clISt17integral_constantIbLb1EES1C_EEDaS17_S18_EUlS17_E_NS1_11comp_targetILNS1_3genE10ELNS1_11target_archE1200ELNS1_3gpuE4ELNS1_3repE0EEENS1_30default_config_static_selectorELNS0_4arch9wavefront6targetE1EEEvT1_,"axG",@progbits,_ZN7rocprim17ROCPRIM_400000_NS6detail17trampoline_kernelINS0_14default_configENS1_25partition_config_selectorILNS1_17partition_subalgoE8ElNS0_10empty_typeEbEEZZNS1_14partition_implILS5_8ELb0ES3_jPlPS6_PKS6_NS0_5tupleIJS9_S6_EEENSD_IJSA_SA_EEENS0_18inequality_wrapperIZN2at6native12_GLOBAL__N_124unique_dim_cuda_templateItEESt5tupleIJNSH_6TensorESM_SM_EERKSM_lbbbEUlllE0_EEPmJS6_EEE10hipError_tPvRmT3_T4_T5_T6_T7_T9_mT8_P12ihipStream_tbDpT10_ENKUlT_T0_E_clISt17integral_constantIbLb1EES1C_EEDaS17_S18_EUlS17_E_NS1_11comp_targetILNS1_3genE10ELNS1_11target_archE1200ELNS1_3gpuE4ELNS1_3repE0EEENS1_30default_config_static_selectorELNS0_4arch9wavefront6targetE1EEEvT1_,comdat
	.globl	_ZN7rocprim17ROCPRIM_400000_NS6detail17trampoline_kernelINS0_14default_configENS1_25partition_config_selectorILNS1_17partition_subalgoE8ElNS0_10empty_typeEbEEZZNS1_14partition_implILS5_8ELb0ES3_jPlPS6_PKS6_NS0_5tupleIJS9_S6_EEENSD_IJSA_SA_EEENS0_18inequality_wrapperIZN2at6native12_GLOBAL__N_124unique_dim_cuda_templateItEESt5tupleIJNSH_6TensorESM_SM_EERKSM_lbbbEUlllE0_EEPmJS6_EEE10hipError_tPvRmT3_T4_T5_T6_T7_T9_mT8_P12ihipStream_tbDpT10_ENKUlT_T0_E_clISt17integral_constantIbLb1EES1C_EEDaS17_S18_EUlS17_E_NS1_11comp_targetILNS1_3genE10ELNS1_11target_archE1200ELNS1_3gpuE4ELNS1_3repE0EEENS1_30default_config_static_selectorELNS0_4arch9wavefront6targetE1EEEvT1_ ; -- Begin function _ZN7rocprim17ROCPRIM_400000_NS6detail17trampoline_kernelINS0_14default_configENS1_25partition_config_selectorILNS1_17partition_subalgoE8ElNS0_10empty_typeEbEEZZNS1_14partition_implILS5_8ELb0ES3_jPlPS6_PKS6_NS0_5tupleIJS9_S6_EEENSD_IJSA_SA_EEENS0_18inequality_wrapperIZN2at6native12_GLOBAL__N_124unique_dim_cuda_templateItEESt5tupleIJNSH_6TensorESM_SM_EERKSM_lbbbEUlllE0_EEPmJS6_EEE10hipError_tPvRmT3_T4_T5_T6_T7_T9_mT8_P12ihipStream_tbDpT10_ENKUlT_T0_E_clISt17integral_constantIbLb1EES1C_EEDaS17_S18_EUlS17_E_NS1_11comp_targetILNS1_3genE10ELNS1_11target_archE1200ELNS1_3gpuE4ELNS1_3repE0EEENS1_30default_config_static_selectorELNS0_4arch9wavefront6targetE1EEEvT1_
	.p2align	8
	.type	_ZN7rocprim17ROCPRIM_400000_NS6detail17trampoline_kernelINS0_14default_configENS1_25partition_config_selectorILNS1_17partition_subalgoE8ElNS0_10empty_typeEbEEZZNS1_14partition_implILS5_8ELb0ES3_jPlPS6_PKS6_NS0_5tupleIJS9_S6_EEENSD_IJSA_SA_EEENS0_18inequality_wrapperIZN2at6native12_GLOBAL__N_124unique_dim_cuda_templateItEESt5tupleIJNSH_6TensorESM_SM_EERKSM_lbbbEUlllE0_EEPmJS6_EEE10hipError_tPvRmT3_T4_T5_T6_T7_T9_mT8_P12ihipStream_tbDpT10_ENKUlT_T0_E_clISt17integral_constantIbLb1EES1C_EEDaS17_S18_EUlS17_E_NS1_11comp_targetILNS1_3genE10ELNS1_11target_archE1200ELNS1_3gpuE4ELNS1_3repE0EEENS1_30default_config_static_selectorELNS0_4arch9wavefront6targetE1EEEvT1_,@function
_ZN7rocprim17ROCPRIM_400000_NS6detail17trampoline_kernelINS0_14default_configENS1_25partition_config_selectorILNS1_17partition_subalgoE8ElNS0_10empty_typeEbEEZZNS1_14partition_implILS5_8ELb0ES3_jPlPS6_PKS6_NS0_5tupleIJS9_S6_EEENSD_IJSA_SA_EEENS0_18inequality_wrapperIZN2at6native12_GLOBAL__N_124unique_dim_cuda_templateItEESt5tupleIJNSH_6TensorESM_SM_EERKSM_lbbbEUlllE0_EEPmJS6_EEE10hipError_tPvRmT3_T4_T5_T6_T7_T9_mT8_P12ihipStream_tbDpT10_ENKUlT_T0_E_clISt17integral_constantIbLb1EES1C_EEDaS17_S18_EUlS17_E_NS1_11comp_targetILNS1_3genE10ELNS1_11target_archE1200ELNS1_3gpuE4ELNS1_3repE0EEENS1_30default_config_static_selectorELNS0_4arch9wavefront6targetE1EEEvT1_: ; @_ZN7rocprim17ROCPRIM_400000_NS6detail17trampoline_kernelINS0_14default_configENS1_25partition_config_selectorILNS1_17partition_subalgoE8ElNS0_10empty_typeEbEEZZNS1_14partition_implILS5_8ELb0ES3_jPlPS6_PKS6_NS0_5tupleIJS9_S6_EEENSD_IJSA_SA_EEENS0_18inequality_wrapperIZN2at6native12_GLOBAL__N_124unique_dim_cuda_templateItEESt5tupleIJNSH_6TensorESM_SM_EERKSM_lbbbEUlllE0_EEPmJS6_EEE10hipError_tPvRmT3_T4_T5_T6_T7_T9_mT8_P12ihipStream_tbDpT10_ENKUlT_T0_E_clISt17integral_constantIbLb1EES1C_EEDaS17_S18_EUlS17_E_NS1_11comp_targetILNS1_3genE10ELNS1_11target_archE1200ELNS1_3gpuE4ELNS1_3repE0EEENS1_30default_config_static_selectorELNS0_4arch9wavefront6targetE1EEEvT1_
; %bb.0:
	.section	.rodata,"a",@progbits
	.p2align	6, 0x0
	.amdhsa_kernel _ZN7rocprim17ROCPRIM_400000_NS6detail17trampoline_kernelINS0_14default_configENS1_25partition_config_selectorILNS1_17partition_subalgoE8ElNS0_10empty_typeEbEEZZNS1_14partition_implILS5_8ELb0ES3_jPlPS6_PKS6_NS0_5tupleIJS9_S6_EEENSD_IJSA_SA_EEENS0_18inequality_wrapperIZN2at6native12_GLOBAL__N_124unique_dim_cuda_templateItEESt5tupleIJNSH_6TensorESM_SM_EERKSM_lbbbEUlllE0_EEPmJS6_EEE10hipError_tPvRmT3_T4_T5_T6_T7_T9_mT8_P12ihipStream_tbDpT10_ENKUlT_T0_E_clISt17integral_constantIbLb1EES1C_EEDaS17_S18_EUlS17_E_NS1_11comp_targetILNS1_3genE10ELNS1_11target_archE1200ELNS1_3gpuE4ELNS1_3repE0EEENS1_30default_config_static_selectorELNS0_4arch9wavefront6targetE1EEEvT1_
		.amdhsa_group_segment_fixed_size 0
		.amdhsa_private_segment_fixed_size 0
		.amdhsa_kernarg_size 136
		.amdhsa_user_sgpr_count 6
		.amdhsa_user_sgpr_private_segment_buffer 1
		.amdhsa_user_sgpr_dispatch_ptr 0
		.amdhsa_user_sgpr_queue_ptr 0
		.amdhsa_user_sgpr_kernarg_segment_ptr 1
		.amdhsa_user_sgpr_dispatch_id 0
		.amdhsa_user_sgpr_flat_scratch_init 0
		.amdhsa_user_sgpr_kernarg_preload_length 0
		.amdhsa_user_sgpr_kernarg_preload_offset 0
		.amdhsa_user_sgpr_private_segment_size 0
		.amdhsa_uses_dynamic_stack 0
		.amdhsa_system_sgpr_private_segment_wavefront_offset 0
		.amdhsa_system_sgpr_workgroup_id_x 1
		.amdhsa_system_sgpr_workgroup_id_y 0
		.amdhsa_system_sgpr_workgroup_id_z 0
		.amdhsa_system_sgpr_workgroup_info 0
		.amdhsa_system_vgpr_workitem_id 0
		.amdhsa_next_free_vgpr 1
		.amdhsa_next_free_sgpr 0
		.amdhsa_accum_offset 4
		.amdhsa_reserve_vcc 0
		.amdhsa_reserve_flat_scratch 0
		.amdhsa_float_round_mode_32 0
		.amdhsa_float_round_mode_16_64 0
		.amdhsa_float_denorm_mode_32 3
		.amdhsa_float_denorm_mode_16_64 3
		.amdhsa_dx10_clamp 1
		.amdhsa_ieee_mode 1
		.amdhsa_fp16_overflow 0
		.amdhsa_tg_split 0
		.amdhsa_exception_fp_ieee_invalid_op 0
		.amdhsa_exception_fp_denorm_src 0
		.amdhsa_exception_fp_ieee_div_zero 0
		.amdhsa_exception_fp_ieee_overflow 0
		.amdhsa_exception_fp_ieee_underflow 0
		.amdhsa_exception_fp_ieee_inexact 0
		.amdhsa_exception_int_div_zero 0
	.end_amdhsa_kernel
	.section	.text._ZN7rocprim17ROCPRIM_400000_NS6detail17trampoline_kernelINS0_14default_configENS1_25partition_config_selectorILNS1_17partition_subalgoE8ElNS0_10empty_typeEbEEZZNS1_14partition_implILS5_8ELb0ES3_jPlPS6_PKS6_NS0_5tupleIJS9_S6_EEENSD_IJSA_SA_EEENS0_18inequality_wrapperIZN2at6native12_GLOBAL__N_124unique_dim_cuda_templateItEESt5tupleIJNSH_6TensorESM_SM_EERKSM_lbbbEUlllE0_EEPmJS6_EEE10hipError_tPvRmT3_T4_T5_T6_T7_T9_mT8_P12ihipStream_tbDpT10_ENKUlT_T0_E_clISt17integral_constantIbLb1EES1C_EEDaS17_S18_EUlS17_E_NS1_11comp_targetILNS1_3genE10ELNS1_11target_archE1200ELNS1_3gpuE4ELNS1_3repE0EEENS1_30default_config_static_selectorELNS0_4arch9wavefront6targetE1EEEvT1_,"axG",@progbits,_ZN7rocprim17ROCPRIM_400000_NS6detail17trampoline_kernelINS0_14default_configENS1_25partition_config_selectorILNS1_17partition_subalgoE8ElNS0_10empty_typeEbEEZZNS1_14partition_implILS5_8ELb0ES3_jPlPS6_PKS6_NS0_5tupleIJS9_S6_EEENSD_IJSA_SA_EEENS0_18inequality_wrapperIZN2at6native12_GLOBAL__N_124unique_dim_cuda_templateItEESt5tupleIJNSH_6TensorESM_SM_EERKSM_lbbbEUlllE0_EEPmJS6_EEE10hipError_tPvRmT3_T4_T5_T6_T7_T9_mT8_P12ihipStream_tbDpT10_ENKUlT_T0_E_clISt17integral_constantIbLb1EES1C_EEDaS17_S18_EUlS17_E_NS1_11comp_targetILNS1_3genE10ELNS1_11target_archE1200ELNS1_3gpuE4ELNS1_3repE0EEENS1_30default_config_static_selectorELNS0_4arch9wavefront6targetE1EEEvT1_,comdat
.Lfunc_end1430:
	.size	_ZN7rocprim17ROCPRIM_400000_NS6detail17trampoline_kernelINS0_14default_configENS1_25partition_config_selectorILNS1_17partition_subalgoE8ElNS0_10empty_typeEbEEZZNS1_14partition_implILS5_8ELb0ES3_jPlPS6_PKS6_NS0_5tupleIJS9_S6_EEENSD_IJSA_SA_EEENS0_18inequality_wrapperIZN2at6native12_GLOBAL__N_124unique_dim_cuda_templateItEESt5tupleIJNSH_6TensorESM_SM_EERKSM_lbbbEUlllE0_EEPmJS6_EEE10hipError_tPvRmT3_T4_T5_T6_T7_T9_mT8_P12ihipStream_tbDpT10_ENKUlT_T0_E_clISt17integral_constantIbLb1EES1C_EEDaS17_S18_EUlS17_E_NS1_11comp_targetILNS1_3genE10ELNS1_11target_archE1200ELNS1_3gpuE4ELNS1_3repE0EEENS1_30default_config_static_selectorELNS0_4arch9wavefront6targetE1EEEvT1_, .Lfunc_end1430-_ZN7rocprim17ROCPRIM_400000_NS6detail17trampoline_kernelINS0_14default_configENS1_25partition_config_selectorILNS1_17partition_subalgoE8ElNS0_10empty_typeEbEEZZNS1_14partition_implILS5_8ELb0ES3_jPlPS6_PKS6_NS0_5tupleIJS9_S6_EEENSD_IJSA_SA_EEENS0_18inequality_wrapperIZN2at6native12_GLOBAL__N_124unique_dim_cuda_templateItEESt5tupleIJNSH_6TensorESM_SM_EERKSM_lbbbEUlllE0_EEPmJS6_EEE10hipError_tPvRmT3_T4_T5_T6_T7_T9_mT8_P12ihipStream_tbDpT10_ENKUlT_T0_E_clISt17integral_constantIbLb1EES1C_EEDaS17_S18_EUlS17_E_NS1_11comp_targetILNS1_3genE10ELNS1_11target_archE1200ELNS1_3gpuE4ELNS1_3repE0EEENS1_30default_config_static_selectorELNS0_4arch9wavefront6targetE1EEEvT1_
                                        ; -- End function
	.section	.AMDGPU.csdata,"",@progbits
; Kernel info:
; codeLenInByte = 0
; NumSgprs: 4
; NumVgprs: 0
; NumAgprs: 0
; TotalNumVgprs: 0
; ScratchSize: 0
; MemoryBound: 0
; FloatMode: 240
; IeeeMode: 1
; LDSByteSize: 0 bytes/workgroup (compile time only)
; SGPRBlocks: 0
; VGPRBlocks: 0
; NumSGPRsForWavesPerEU: 4
; NumVGPRsForWavesPerEU: 1
; AccumOffset: 4
; Occupancy: 8
; WaveLimiterHint : 0
; COMPUTE_PGM_RSRC2:SCRATCH_EN: 0
; COMPUTE_PGM_RSRC2:USER_SGPR: 6
; COMPUTE_PGM_RSRC2:TRAP_HANDLER: 0
; COMPUTE_PGM_RSRC2:TGID_X_EN: 1
; COMPUTE_PGM_RSRC2:TGID_Y_EN: 0
; COMPUTE_PGM_RSRC2:TGID_Z_EN: 0
; COMPUTE_PGM_RSRC2:TIDIG_COMP_CNT: 0
; COMPUTE_PGM_RSRC3_GFX90A:ACCUM_OFFSET: 0
; COMPUTE_PGM_RSRC3_GFX90A:TG_SPLIT: 0
	.section	.text._ZN7rocprim17ROCPRIM_400000_NS6detail17trampoline_kernelINS0_14default_configENS1_25partition_config_selectorILNS1_17partition_subalgoE8ElNS0_10empty_typeEbEEZZNS1_14partition_implILS5_8ELb0ES3_jPlPS6_PKS6_NS0_5tupleIJS9_S6_EEENSD_IJSA_SA_EEENS0_18inequality_wrapperIZN2at6native12_GLOBAL__N_124unique_dim_cuda_templateItEESt5tupleIJNSH_6TensorESM_SM_EERKSM_lbbbEUlllE0_EEPmJS6_EEE10hipError_tPvRmT3_T4_T5_T6_T7_T9_mT8_P12ihipStream_tbDpT10_ENKUlT_T0_E_clISt17integral_constantIbLb1EES1C_EEDaS17_S18_EUlS17_E_NS1_11comp_targetILNS1_3genE9ELNS1_11target_archE1100ELNS1_3gpuE3ELNS1_3repE0EEENS1_30default_config_static_selectorELNS0_4arch9wavefront6targetE1EEEvT1_,"axG",@progbits,_ZN7rocprim17ROCPRIM_400000_NS6detail17trampoline_kernelINS0_14default_configENS1_25partition_config_selectorILNS1_17partition_subalgoE8ElNS0_10empty_typeEbEEZZNS1_14partition_implILS5_8ELb0ES3_jPlPS6_PKS6_NS0_5tupleIJS9_S6_EEENSD_IJSA_SA_EEENS0_18inequality_wrapperIZN2at6native12_GLOBAL__N_124unique_dim_cuda_templateItEESt5tupleIJNSH_6TensorESM_SM_EERKSM_lbbbEUlllE0_EEPmJS6_EEE10hipError_tPvRmT3_T4_T5_T6_T7_T9_mT8_P12ihipStream_tbDpT10_ENKUlT_T0_E_clISt17integral_constantIbLb1EES1C_EEDaS17_S18_EUlS17_E_NS1_11comp_targetILNS1_3genE9ELNS1_11target_archE1100ELNS1_3gpuE3ELNS1_3repE0EEENS1_30default_config_static_selectorELNS0_4arch9wavefront6targetE1EEEvT1_,comdat
	.globl	_ZN7rocprim17ROCPRIM_400000_NS6detail17trampoline_kernelINS0_14default_configENS1_25partition_config_selectorILNS1_17partition_subalgoE8ElNS0_10empty_typeEbEEZZNS1_14partition_implILS5_8ELb0ES3_jPlPS6_PKS6_NS0_5tupleIJS9_S6_EEENSD_IJSA_SA_EEENS0_18inequality_wrapperIZN2at6native12_GLOBAL__N_124unique_dim_cuda_templateItEESt5tupleIJNSH_6TensorESM_SM_EERKSM_lbbbEUlllE0_EEPmJS6_EEE10hipError_tPvRmT3_T4_T5_T6_T7_T9_mT8_P12ihipStream_tbDpT10_ENKUlT_T0_E_clISt17integral_constantIbLb1EES1C_EEDaS17_S18_EUlS17_E_NS1_11comp_targetILNS1_3genE9ELNS1_11target_archE1100ELNS1_3gpuE3ELNS1_3repE0EEENS1_30default_config_static_selectorELNS0_4arch9wavefront6targetE1EEEvT1_ ; -- Begin function _ZN7rocprim17ROCPRIM_400000_NS6detail17trampoline_kernelINS0_14default_configENS1_25partition_config_selectorILNS1_17partition_subalgoE8ElNS0_10empty_typeEbEEZZNS1_14partition_implILS5_8ELb0ES3_jPlPS6_PKS6_NS0_5tupleIJS9_S6_EEENSD_IJSA_SA_EEENS0_18inequality_wrapperIZN2at6native12_GLOBAL__N_124unique_dim_cuda_templateItEESt5tupleIJNSH_6TensorESM_SM_EERKSM_lbbbEUlllE0_EEPmJS6_EEE10hipError_tPvRmT3_T4_T5_T6_T7_T9_mT8_P12ihipStream_tbDpT10_ENKUlT_T0_E_clISt17integral_constantIbLb1EES1C_EEDaS17_S18_EUlS17_E_NS1_11comp_targetILNS1_3genE9ELNS1_11target_archE1100ELNS1_3gpuE3ELNS1_3repE0EEENS1_30default_config_static_selectorELNS0_4arch9wavefront6targetE1EEEvT1_
	.p2align	8
	.type	_ZN7rocprim17ROCPRIM_400000_NS6detail17trampoline_kernelINS0_14default_configENS1_25partition_config_selectorILNS1_17partition_subalgoE8ElNS0_10empty_typeEbEEZZNS1_14partition_implILS5_8ELb0ES3_jPlPS6_PKS6_NS0_5tupleIJS9_S6_EEENSD_IJSA_SA_EEENS0_18inequality_wrapperIZN2at6native12_GLOBAL__N_124unique_dim_cuda_templateItEESt5tupleIJNSH_6TensorESM_SM_EERKSM_lbbbEUlllE0_EEPmJS6_EEE10hipError_tPvRmT3_T4_T5_T6_T7_T9_mT8_P12ihipStream_tbDpT10_ENKUlT_T0_E_clISt17integral_constantIbLb1EES1C_EEDaS17_S18_EUlS17_E_NS1_11comp_targetILNS1_3genE9ELNS1_11target_archE1100ELNS1_3gpuE3ELNS1_3repE0EEENS1_30default_config_static_selectorELNS0_4arch9wavefront6targetE1EEEvT1_,@function
_ZN7rocprim17ROCPRIM_400000_NS6detail17trampoline_kernelINS0_14default_configENS1_25partition_config_selectorILNS1_17partition_subalgoE8ElNS0_10empty_typeEbEEZZNS1_14partition_implILS5_8ELb0ES3_jPlPS6_PKS6_NS0_5tupleIJS9_S6_EEENSD_IJSA_SA_EEENS0_18inequality_wrapperIZN2at6native12_GLOBAL__N_124unique_dim_cuda_templateItEESt5tupleIJNSH_6TensorESM_SM_EERKSM_lbbbEUlllE0_EEPmJS6_EEE10hipError_tPvRmT3_T4_T5_T6_T7_T9_mT8_P12ihipStream_tbDpT10_ENKUlT_T0_E_clISt17integral_constantIbLb1EES1C_EEDaS17_S18_EUlS17_E_NS1_11comp_targetILNS1_3genE9ELNS1_11target_archE1100ELNS1_3gpuE3ELNS1_3repE0EEENS1_30default_config_static_selectorELNS0_4arch9wavefront6targetE1EEEvT1_: ; @_ZN7rocprim17ROCPRIM_400000_NS6detail17trampoline_kernelINS0_14default_configENS1_25partition_config_selectorILNS1_17partition_subalgoE8ElNS0_10empty_typeEbEEZZNS1_14partition_implILS5_8ELb0ES3_jPlPS6_PKS6_NS0_5tupleIJS9_S6_EEENSD_IJSA_SA_EEENS0_18inequality_wrapperIZN2at6native12_GLOBAL__N_124unique_dim_cuda_templateItEESt5tupleIJNSH_6TensorESM_SM_EERKSM_lbbbEUlllE0_EEPmJS6_EEE10hipError_tPvRmT3_T4_T5_T6_T7_T9_mT8_P12ihipStream_tbDpT10_ENKUlT_T0_E_clISt17integral_constantIbLb1EES1C_EEDaS17_S18_EUlS17_E_NS1_11comp_targetILNS1_3genE9ELNS1_11target_archE1100ELNS1_3gpuE3ELNS1_3repE0EEENS1_30default_config_static_selectorELNS0_4arch9wavefront6targetE1EEEvT1_
; %bb.0:
	.section	.rodata,"a",@progbits
	.p2align	6, 0x0
	.amdhsa_kernel _ZN7rocprim17ROCPRIM_400000_NS6detail17trampoline_kernelINS0_14default_configENS1_25partition_config_selectorILNS1_17partition_subalgoE8ElNS0_10empty_typeEbEEZZNS1_14partition_implILS5_8ELb0ES3_jPlPS6_PKS6_NS0_5tupleIJS9_S6_EEENSD_IJSA_SA_EEENS0_18inequality_wrapperIZN2at6native12_GLOBAL__N_124unique_dim_cuda_templateItEESt5tupleIJNSH_6TensorESM_SM_EERKSM_lbbbEUlllE0_EEPmJS6_EEE10hipError_tPvRmT3_T4_T5_T6_T7_T9_mT8_P12ihipStream_tbDpT10_ENKUlT_T0_E_clISt17integral_constantIbLb1EES1C_EEDaS17_S18_EUlS17_E_NS1_11comp_targetILNS1_3genE9ELNS1_11target_archE1100ELNS1_3gpuE3ELNS1_3repE0EEENS1_30default_config_static_selectorELNS0_4arch9wavefront6targetE1EEEvT1_
		.amdhsa_group_segment_fixed_size 0
		.amdhsa_private_segment_fixed_size 0
		.amdhsa_kernarg_size 136
		.amdhsa_user_sgpr_count 6
		.amdhsa_user_sgpr_private_segment_buffer 1
		.amdhsa_user_sgpr_dispatch_ptr 0
		.amdhsa_user_sgpr_queue_ptr 0
		.amdhsa_user_sgpr_kernarg_segment_ptr 1
		.amdhsa_user_sgpr_dispatch_id 0
		.amdhsa_user_sgpr_flat_scratch_init 0
		.amdhsa_user_sgpr_kernarg_preload_length 0
		.amdhsa_user_sgpr_kernarg_preload_offset 0
		.amdhsa_user_sgpr_private_segment_size 0
		.amdhsa_uses_dynamic_stack 0
		.amdhsa_system_sgpr_private_segment_wavefront_offset 0
		.amdhsa_system_sgpr_workgroup_id_x 1
		.amdhsa_system_sgpr_workgroup_id_y 0
		.amdhsa_system_sgpr_workgroup_id_z 0
		.amdhsa_system_sgpr_workgroup_info 0
		.amdhsa_system_vgpr_workitem_id 0
		.amdhsa_next_free_vgpr 1
		.amdhsa_next_free_sgpr 0
		.amdhsa_accum_offset 4
		.amdhsa_reserve_vcc 0
		.amdhsa_reserve_flat_scratch 0
		.amdhsa_float_round_mode_32 0
		.amdhsa_float_round_mode_16_64 0
		.amdhsa_float_denorm_mode_32 3
		.amdhsa_float_denorm_mode_16_64 3
		.amdhsa_dx10_clamp 1
		.amdhsa_ieee_mode 1
		.amdhsa_fp16_overflow 0
		.amdhsa_tg_split 0
		.amdhsa_exception_fp_ieee_invalid_op 0
		.amdhsa_exception_fp_denorm_src 0
		.amdhsa_exception_fp_ieee_div_zero 0
		.amdhsa_exception_fp_ieee_overflow 0
		.amdhsa_exception_fp_ieee_underflow 0
		.amdhsa_exception_fp_ieee_inexact 0
		.amdhsa_exception_int_div_zero 0
	.end_amdhsa_kernel
	.section	.text._ZN7rocprim17ROCPRIM_400000_NS6detail17trampoline_kernelINS0_14default_configENS1_25partition_config_selectorILNS1_17partition_subalgoE8ElNS0_10empty_typeEbEEZZNS1_14partition_implILS5_8ELb0ES3_jPlPS6_PKS6_NS0_5tupleIJS9_S6_EEENSD_IJSA_SA_EEENS0_18inequality_wrapperIZN2at6native12_GLOBAL__N_124unique_dim_cuda_templateItEESt5tupleIJNSH_6TensorESM_SM_EERKSM_lbbbEUlllE0_EEPmJS6_EEE10hipError_tPvRmT3_T4_T5_T6_T7_T9_mT8_P12ihipStream_tbDpT10_ENKUlT_T0_E_clISt17integral_constantIbLb1EES1C_EEDaS17_S18_EUlS17_E_NS1_11comp_targetILNS1_3genE9ELNS1_11target_archE1100ELNS1_3gpuE3ELNS1_3repE0EEENS1_30default_config_static_selectorELNS0_4arch9wavefront6targetE1EEEvT1_,"axG",@progbits,_ZN7rocprim17ROCPRIM_400000_NS6detail17trampoline_kernelINS0_14default_configENS1_25partition_config_selectorILNS1_17partition_subalgoE8ElNS0_10empty_typeEbEEZZNS1_14partition_implILS5_8ELb0ES3_jPlPS6_PKS6_NS0_5tupleIJS9_S6_EEENSD_IJSA_SA_EEENS0_18inequality_wrapperIZN2at6native12_GLOBAL__N_124unique_dim_cuda_templateItEESt5tupleIJNSH_6TensorESM_SM_EERKSM_lbbbEUlllE0_EEPmJS6_EEE10hipError_tPvRmT3_T4_T5_T6_T7_T9_mT8_P12ihipStream_tbDpT10_ENKUlT_T0_E_clISt17integral_constantIbLb1EES1C_EEDaS17_S18_EUlS17_E_NS1_11comp_targetILNS1_3genE9ELNS1_11target_archE1100ELNS1_3gpuE3ELNS1_3repE0EEENS1_30default_config_static_selectorELNS0_4arch9wavefront6targetE1EEEvT1_,comdat
.Lfunc_end1431:
	.size	_ZN7rocprim17ROCPRIM_400000_NS6detail17trampoline_kernelINS0_14default_configENS1_25partition_config_selectorILNS1_17partition_subalgoE8ElNS0_10empty_typeEbEEZZNS1_14partition_implILS5_8ELb0ES3_jPlPS6_PKS6_NS0_5tupleIJS9_S6_EEENSD_IJSA_SA_EEENS0_18inequality_wrapperIZN2at6native12_GLOBAL__N_124unique_dim_cuda_templateItEESt5tupleIJNSH_6TensorESM_SM_EERKSM_lbbbEUlllE0_EEPmJS6_EEE10hipError_tPvRmT3_T4_T5_T6_T7_T9_mT8_P12ihipStream_tbDpT10_ENKUlT_T0_E_clISt17integral_constantIbLb1EES1C_EEDaS17_S18_EUlS17_E_NS1_11comp_targetILNS1_3genE9ELNS1_11target_archE1100ELNS1_3gpuE3ELNS1_3repE0EEENS1_30default_config_static_selectorELNS0_4arch9wavefront6targetE1EEEvT1_, .Lfunc_end1431-_ZN7rocprim17ROCPRIM_400000_NS6detail17trampoline_kernelINS0_14default_configENS1_25partition_config_selectorILNS1_17partition_subalgoE8ElNS0_10empty_typeEbEEZZNS1_14partition_implILS5_8ELb0ES3_jPlPS6_PKS6_NS0_5tupleIJS9_S6_EEENSD_IJSA_SA_EEENS0_18inequality_wrapperIZN2at6native12_GLOBAL__N_124unique_dim_cuda_templateItEESt5tupleIJNSH_6TensorESM_SM_EERKSM_lbbbEUlllE0_EEPmJS6_EEE10hipError_tPvRmT3_T4_T5_T6_T7_T9_mT8_P12ihipStream_tbDpT10_ENKUlT_T0_E_clISt17integral_constantIbLb1EES1C_EEDaS17_S18_EUlS17_E_NS1_11comp_targetILNS1_3genE9ELNS1_11target_archE1100ELNS1_3gpuE3ELNS1_3repE0EEENS1_30default_config_static_selectorELNS0_4arch9wavefront6targetE1EEEvT1_
                                        ; -- End function
	.section	.AMDGPU.csdata,"",@progbits
; Kernel info:
; codeLenInByte = 0
; NumSgprs: 4
; NumVgprs: 0
; NumAgprs: 0
; TotalNumVgprs: 0
; ScratchSize: 0
; MemoryBound: 0
; FloatMode: 240
; IeeeMode: 1
; LDSByteSize: 0 bytes/workgroup (compile time only)
; SGPRBlocks: 0
; VGPRBlocks: 0
; NumSGPRsForWavesPerEU: 4
; NumVGPRsForWavesPerEU: 1
; AccumOffset: 4
; Occupancy: 8
; WaveLimiterHint : 0
; COMPUTE_PGM_RSRC2:SCRATCH_EN: 0
; COMPUTE_PGM_RSRC2:USER_SGPR: 6
; COMPUTE_PGM_RSRC2:TRAP_HANDLER: 0
; COMPUTE_PGM_RSRC2:TGID_X_EN: 1
; COMPUTE_PGM_RSRC2:TGID_Y_EN: 0
; COMPUTE_PGM_RSRC2:TGID_Z_EN: 0
; COMPUTE_PGM_RSRC2:TIDIG_COMP_CNT: 0
; COMPUTE_PGM_RSRC3_GFX90A:ACCUM_OFFSET: 0
; COMPUTE_PGM_RSRC3_GFX90A:TG_SPLIT: 0
	.section	.text._ZN7rocprim17ROCPRIM_400000_NS6detail17trampoline_kernelINS0_14default_configENS1_25partition_config_selectorILNS1_17partition_subalgoE8ElNS0_10empty_typeEbEEZZNS1_14partition_implILS5_8ELb0ES3_jPlPS6_PKS6_NS0_5tupleIJS9_S6_EEENSD_IJSA_SA_EEENS0_18inequality_wrapperIZN2at6native12_GLOBAL__N_124unique_dim_cuda_templateItEESt5tupleIJNSH_6TensorESM_SM_EERKSM_lbbbEUlllE0_EEPmJS6_EEE10hipError_tPvRmT3_T4_T5_T6_T7_T9_mT8_P12ihipStream_tbDpT10_ENKUlT_T0_E_clISt17integral_constantIbLb1EES1C_EEDaS17_S18_EUlS17_E_NS1_11comp_targetILNS1_3genE8ELNS1_11target_archE1030ELNS1_3gpuE2ELNS1_3repE0EEENS1_30default_config_static_selectorELNS0_4arch9wavefront6targetE1EEEvT1_,"axG",@progbits,_ZN7rocprim17ROCPRIM_400000_NS6detail17trampoline_kernelINS0_14default_configENS1_25partition_config_selectorILNS1_17partition_subalgoE8ElNS0_10empty_typeEbEEZZNS1_14partition_implILS5_8ELb0ES3_jPlPS6_PKS6_NS0_5tupleIJS9_S6_EEENSD_IJSA_SA_EEENS0_18inequality_wrapperIZN2at6native12_GLOBAL__N_124unique_dim_cuda_templateItEESt5tupleIJNSH_6TensorESM_SM_EERKSM_lbbbEUlllE0_EEPmJS6_EEE10hipError_tPvRmT3_T4_T5_T6_T7_T9_mT8_P12ihipStream_tbDpT10_ENKUlT_T0_E_clISt17integral_constantIbLb1EES1C_EEDaS17_S18_EUlS17_E_NS1_11comp_targetILNS1_3genE8ELNS1_11target_archE1030ELNS1_3gpuE2ELNS1_3repE0EEENS1_30default_config_static_selectorELNS0_4arch9wavefront6targetE1EEEvT1_,comdat
	.globl	_ZN7rocprim17ROCPRIM_400000_NS6detail17trampoline_kernelINS0_14default_configENS1_25partition_config_selectorILNS1_17partition_subalgoE8ElNS0_10empty_typeEbEEZZNS1_14partition_implILS5_8ELb0ES3_jPlPS6_PKS6_NS0_5tupleIJS9_S6_EEENSD_IJSA_SA_EEENS0_18inequality_wrapperIZN2at6native12_GLOBAL__N_124unique_dim_cuda_templateItEESt5tupleIJNSH_6TensorESM_SM_EERKSM_lbbbEUlllE0_EEPmJS6_EEE10hipError_tPvRmT3_T4_T5_T6_T7_T9_mT8_P12ihipStream_tbDpT10_ENKUlT_T0_E_clISt17integral_constantIbLb1EES1C_EEDaS17_S18_EUlS17_E_NS1_11comp_targetILNS1_3genE8ELNS1_11target_archE1030ELNS1_3gpuE2ELNS1_3repE0EEENS1_30default_config_static_selectorELNS0_4arch9wavefront6targetE1EEEvT1_ ; -- Begin function _ZN7rocprim17ROCPRIM_400000_NS6detail17trampoline_kernelINS0_14default_configENS1_25partition_config_selectorILNS1_17partition_subalgoE8ElNS0_10empty_typeEbEEZZNS1_14partition_implILS5_8ELb0ES3_jPlPS6_PKS6_NS0_5tupleIJS9_S6_EEENSD_IJSA_SA_EEENS0_18inequality_wrapperIZN2at6native12_GLOBAL__N_124unique_dim_cuda_templateItEESt5tupleIJNSH_6TensorESM_SM_EERKSM_lbbbEUlllE0_EEPmJS6_EEE10hipError_tPvRmT3_T4_T5_T6_T7_T9_mT8_P12ihipStream_tbDpT10_ENKUlT_T0_E_clISt17integral_constantIbLb1EES1C_EEDaS17_S18_EUlS17_E_NS1_11comp_targetILNS1_3genE8ELNS1_11target_archE1030ELNS1_3gpuE2ELNS1_3repE0EEENS1_30default_config_static_selectorELNS0_4arch9wavefront6targetE1EEEvT1_
	.p2align	8
	.type	_ZN7rocprim17ROCPRIM_400000_NS6detail17trampoline_kernelINS0_14default_configENS1_25partition_config_selectorILNS1_17partition_subalgoE8ElNS0_10empty_typeEbEEZZNS1_14partition_implILS5_8ELb0ES3_jPlPS6_PKS6_NS0_5tupleIJS9_S6_EEENSD_IJSA_SA_EEENS0_18inequality_wrapperIZN2at6native12_GLOBAL__N_124unique_dim_cuda_templateItEESt5tupleIJNSH_6TensorESM_SM_EERKSM_lbbbEUlllE0_EEPmJS6_EEE10hipError_tPvRmT3_T4_T5_T6_T7_T9_mT8_P12ihipStream_tbDpT10_ENKUlT_T0_E_clISt17integral_constantIbLb1EES1C_EEDaS17_S18_EUlS17_E_NS1_11comp_targetILNS1_3genE8ELNS1_11target_archE1030ELNS1_3gpuE2ELNS1_3repE0EEENS1_30default_config_static_selectorELNS0_4arch9wavefront6targetE1EEEvT1_,@function
_ZN7rocprim17ROCPRIM_400000_NS6detail17trampoline_kernelINS0_14default_configENS1_25partition_config_selectorILNS1_17partition_subalgoE8ElNS0_10empty_typeEbEEZZNS1_14partition_implILS5_8ELb0ES3_jPlPS6_PKS6_NS0_5tupleIJS9_S6_EEENSD_IJSA_SA_EEENS0_18inequality_wrapperIZN2at6native12_GLOBAL__N_124unique_dim_cuda_templateItEESt5tupleIJNSH_6TensorESM_SM_EERKSM_lbbbEUlllE0_EEPmJS6_EEE10hipError_tPvRmT3_T4_T5_T6_T7_T9_mT8_P12ihipStream_tbDpT10_ENKUlT_T0_E_clISt17integral_constantIbLb1EES1C_EEDaS17_S18_EUlS17_E_NS1_11comp_targetILNS1_3genE8ELNS1_11target_archE1030ELNS1_3gpuE2ELNS1_3repE0EEENS1_30default_config_static_selectorELNS0_4arch9wavefront6targetE1EEEvT1_: ; @_ZN7rocprim17ROCPRIM_400000_NS6detail17trampoline_kernelINS0_14default_configENS1_25partition_config_selectorILNS1_17partition_subalgoE8ElNS0_10empty_typeEbEEZZNS1_14partition_implILS5_8ELb0ES3_jPlPS6_PKS6_NS0_5tupleIJS9_S6_EEENSD_IJSA_SA_EEENS0_18inequality_wrapperIZN2at6native12_GLOBAL__N_124unique_dim_cuda_templateItEESt5tupleIJNSH_6TensorESM_SM_EERKSM_lbbbEUlllE0_EEPmJS6_EEE10hipError_tPvRmT3_T4_T5_T6_T7_T9_mT8_P12ihipStream_tbDpT10_ENKUlT_T0_E_clISt17integral_constantIbLb1EES1C_EEDaS17_S18_EUlS17_E_NS1_11comp_targetILNS1_3genE8ELNS1_11target_archE1030ELNS1_3gpuE2ELNS1_3repE0EEENS1_30default_config_static_selectorELNS0_4arch9wavefront6targetE1EEEvT1_
; %bb.0:
	.section	.rodata,"a",@progbits
	.p2align	6, 0x0
	.amdhsa_kernel _ZN7rocprim17ROCPRIM_400000_NS6detail17trampoline_kernelINS0_14default_configENS1_25partition_config_selectorILNS1_17partition_subalgoE8ElNS0_10empty_typeEbEEZZNS1_14partition_implILS5_8ELb0ES3_jPlPS6_PKS6_NS0_5tupleIJS9_S6_EEENSD_IJSA_SA_EEENS0_18inequality_wrapperIZN2at6native12_GLOBAL__N_124unique_dim_cuda_templateItEESt5tupleIJNSH_6TensorESM_SM_EERKSM_lbbbEUlllE0_EEPmJS6_EEE10hipError_tPvRmT3_T4_T5_T6_T7_T9_mT8_P12ihipStream_tbDpT10_ENKUlT_T0_E_clISt17integral_constantIbLb1EES1C_EEDaS17_S18_EUlS17_E_NS1_11comp_targetILNS1_3genE8ELNS1_11target_archE1030ELNS1_3gpuE2ELNS1_3repE0EEENS1_30default_config_static_selectorELNS0_4arch9wavefront6targetE1EEEvT1_
		.amdhsa_group_segment_fixed_size 0
		.amdhsa_private_segment_fixed_size 0
		.amdhsa_kernarg_size 136
		.amdhsa_user_sgpr_count 6
		.amdhsa_user_sgpr_private_segment_buffer 1
		.amdhsa_user_sgpr_dispatch_ptr 0
		.amdhsa_user_sgpr_queue_ptr 0
		.amdhsa_user_sgpr_kernarg_segment_ptr 1
		.amdhsa_user_sgpr_dispatch_id 0
		.amdhsa_user_sgpr_flat_scratch_init 0
		.amdhsa_user_sgpr_kernarg_preload_length 0
		.amdhsa_user_sgpr_kernarg_preload_offset 0
		.amdhsa_user_sgpr_private_segment_size 0
		.amdhsa_uses_dynamic_stack 0
		.amdhsa_system_sgpr_private_segment_wavefront_offset 0
		.amdhsa_system_sgpr_workgroup_id_x 1
		.amdhsa_system_sgpr_workgroup_id_y 0
		.amdhsa_system_sgpr_workgroup_id_z 0
		.amdhsa_system_sgpr_workgroup_info 0
		.amdhsa_system_vgpr_workitem_id 0
		.amdhsa_next_free_vgpr 1
		.amdhsa_next_free_sgpr 0
		.amdhsa_accum_offset 4
		.amdhsa_reserve_vcc 0
		.amdhsa_reserve_flat_scratch 0
		.amdhsa_float_round_mode_32 0
		.amdhsa_float_round_mode_16_64 0
		.amdhsa_float_denorm_mode_32 3
		.amdhsa_float_denorm_mode_16_64 3
		.amdhsa_dx10_clamp 1
		.amdhsa_ieee_mode 1
		.amdhsa_fp16_overflow 0
		.amdhsa_tg_split 0
		.amdhsa_exception_fp_ieee_invalid_op 0
		.amdhsa_exception_fp_denorm_src 0
		.amdhsa_exception_fp_ieee_div_zero 0
		.amdhsa_exception_fp_ieee_overflow 0
		.amdhsa_exception_fp_ieee_underflow 0
		.amdhsa_exception_fp_ieee_inexact 0
		.amdhsa_exception_int_div_zero 0
	.end_amdhsa_kernel
	.section	.text._ZN7rocprim17ROCPRIM_400000_NS6detail17trampoline_kernelINS0_14default_configENS1_25partition_config_selectorILNS1_17partition_subalgoE8ElNS0_10empty_typeEbEEZZNS1_14partition_implILS5_8ELb0ES3_jPlPS6_PKS6_NS0_5tupleIJS9_S6_EEENSD_IJSA_SA_EEENS0_18inequality_wrapperIZN2at6native12_GLOBAL__N_124unique_dim_cuda_templateItEESt5tupleIJNSH_6TensorESM_SM_EERKSM_lbbbEUlllE0_EEPmJS6_EEE10hipError_tPvRmT3_T4_T5_T6_T7_T9_mT8_P12ihipStream_tbDpT10_ENKUlT_T0_E_clISt17integral_constantIbLb1EES1C_EEDaS17_S18_EUlS17_E_NS1_11comp_targetILNS1_3genE8ELNS1_11target_archE1030ELNS1_3gpuE2ELNS1_3repE0EEENS1_30default_config_static_selectorELNS0_4arch9wavefront6targetE1EEEvT1_,"axG",@progbits,_ZN7rocprim17ROCPRIM_400000_NS6detail17trampoline_kernelINS0_14default_configENS1_25partition_config_selectorILNS1_17partition_subalgoE8ElNS0_10empty_typeEbEEZZNS1_14partition_implILS5_8ELb0ES3_jPlPS6_PKS6_NS0_5tupleIJS9_S6_EEENSD_IJSA_SA_EEENS0_18inequality_wrapperIZN2at6native12_GLOBAL__N_124unique_dim_cuda_templateItEESt5tupleIJNSH_6TensorESM_SM_EERKSM_lbbbEUlllE0_EEPmJS6_EEE10hipError_tPvRmT3_T4_T5_T6_T7_T9_mT8_P12ihipStream_tbDpT10_ENKUlT_T0_E_clISt17integral_constantIbLb1EES1C_EEDaS17_S18_EUlS17_E_NS1_11comp_targetILNS1_3genE8ELNS1_11target_archE1030ELNS1_3gpuE2ELNS1_3repE0EEENS1_30default_config_static_selectorELNS0_4arch9wavefront6targetE1EEEvT1_,comdat
.Lfunc_end1432:
	.size	_ZN7rocprim17ROCPRIM_400000_NS6detail17trampoline_kernelINS0_14default_configENS1_25partition_config_selectorILNS1_17partition_subalgoE8ElNS0_10empty_typeEbEEZZNS1_14partition_implILS5_8ELb0ES3_jPlPS6_PKS6_NS0_5tupleIJS9_S6_EEENSD_IJSA_SA_EEENS0_18inequality_wrapperIZN2at6native12_GLOBAL__N_124unique_dim_cuda_templateItEESt5tupleIJNSH_6TensorESM_SM_EERKSM_lbbbEUlllE0_EEPmJS6_EEE10hipError_tPvRmT3_T4_T5_T6_T7_T9_mT8_P12ihipStream_tbDpT10_ENKUlT_T0_E_clISt17integral_constantIbLb1EES1C_EEDaS17_S18_EUlS17_E_NS1_11comp_targetILNS1_3genE8ELNS1_11target_archE1030ELNS1_3gpuE2ELNS1_3repE0EEENS1_30default_config_static_selectorELNS0_4arch9wavefront6targetE1EEEvT1_, .Lfunc_end1432-_ZN7rocprim17ROCPRIM_400000_NS6detail17trampoline_kernelINS0_14default_configENS1_25partition_config_selectorILNS1_17partition_subalgoE8ElNS0_10empty_typeEbEEZZNS1_14partition_implILS5_8ELb0ES3_jPlPS6_PKS6_NS0_5tupleIJS9_S6_EEENSD_IJSA_SA_EEENS0_18inequality_wrapperIZN2at6native12_GLOBAL__N_124unique_dim_cuda_templateItEESt5tupleIJNSH_6TensorESM_SM_EERKSM_lbbbEUlllE0_EEPmJS6_EEE10hipError_tPvRmT3_T4_T5_T6_T7_T9_mT8_P12ihipStream_tbDpT10_ENKUlT_T0_E_clISt17integral_constantIbLb1EES1C_EEDaS17_S18_EUlS17_E_NS1_11comp_targetILNS1_3genE8ELNS1_11target_archE1030ELNS1_3gpuE2ELNS1_3repE0EEENS1_30default_config_static_selectorELNS0_4arch9wavefront6targetE1EEEvT1_
                                        ; -- End function
	.section	.AMDGPU.csdata,"",@progbits
; Kernel info:
; codeLenInByte = 0
; NumSgprs: 4
; NumVgprs: 0
; NumAgprs: 0
; TotalNumVgprs: 0
; ScratchSize: 0
; MemoryBound: 0
; FloatMode: 240
; IeeeMode: 1
; LDSByteSize: 0 bytes/workgroup (compile time only)
; SGPRBlocks: 0
; VGPRBlocks: 0
; NumSGPRsForWavesPerEU: 4
; NumVGPRsForWavesPerEU: 1
; AccumOffset: 4
; Occupancy: 8
; WaveLimiterHint : 0
; COMPUTE_PGM_RSRC2:SCRATCH_EN: 0
; COMPUTE_PGM_RSRC2:USER_SGPR: 6
; COMPUTE_PGM_RSRC2:TRAP_HANDLER: 0
; COMPUTE_PGM_RSRC2:TGID_X_EN: 1
; COMPUTE_PGM_RSRC2:TGID_Y_EN: 0
; COMPUTE_PGM_RSRC2:TGID_Z_EN: 0
; COMPUTE_PGM_RSRC2:TIDIG_COMP_CNT: 0
; COMPUTE_PGM_RSRC3_GFX90A:ACCUM_OFFSET: 0
; COMPUTE_PGM_RSRC3_GFX90A:TG_SPLIT: 0
	.section	.text._ZN7rocprim17ROCPRIM_400000_NS6detail17trampoline_kernelINS0_14default_configENS1_25partition_config_selectorILNS1_17partition_subalgoE8ElNS0_10empty_typeEbEEZZNS1_14partition_implILS5_8ELb0ES3_jPlPS6_PKS6_NS0_5tupleIJS9_S6_EEENSD_IJSA_SA_EEENS0_18inequality_wrapperIZN2at6native12_GLOBAL__N_124unique_dim_cuda_templateItEESt5tupleIJNSH_6TensorESM_SM_EERKSM_lbbbEUlllE0_EEPmJS6_EEE10hipError_tPvRmT3_T4_T5_T6_T7_T9_mT8_P12ihipStream_tbDpT10_ENKUlT_T0_E_clISt17integral_constantIbLb1EES1B_IbLb0EEEEDaS17_S18_EUlS17_E_NS1_11comp_targetILNS1_3genE0ELNS1_11target_archE4294967295ELNS1_3gpuE0ELNS1_3repE0EEENS1_30default_config_static_selectorELNS0_4arch9wavefront6targetE1EEEvT1_,"axG",@progbits,_ZN7rocprim17ROCPRIM_400000_NS6detail17trampoline_kernelINS0_14default_configENS1_25partition_config_selectorILNS1_17partition_subalgoE8ElNS0_10empty_typeEbEEZZNS1_14partition_implILS5_8ELb0ES3_jPlPS6_PKS6_NS0_5tupleIJS9_S6_EEENSD_IJSA_SA_EEENS0_18inequality_wrapperIZN2at6native12_GLOBAL__N_124unique_dim_cuda_templateItEESt5tupleIJNSH_6TensorESM_SM_EERKSM_lbbbEUlllE0_EEPmJS6_EEE10hipError_tPvRmT3_T4_T5_T6_T7_T9_mT8_P12ihipStream_tbDpT10_ENKUlT_T0_E_clISt17integral_constantIbLb1EES1B_IbLb0EEEEDaS17_S18_EUlS17_E_NS1_11comp_targetILNS1_3genE0ELNS1_11target_archE4294967295ELNS1_3gpuE0ELNS1_3repE0EEENS1_30default_config_static_selectorELNS0_4arch9wavefront6targetE1EEEvT1_,comdat
	.globl	_ZN7rocprim17ROCPRIM_400000_NS6detail17trampoline_kernelINS0_14default_configENS1_25partition_config_selectorILNS1_17partition_subalgoE8ElNS0_10empty_typeEbEEZZNS1_14partition_implILS5_8ELb0ES3_jPlPS6_PKS6_NS0_5tupleIJS9_S6_EEENSD_IJSA_SA_EEENS0_18inequality_wrapperIZN2at6native12_GLOBAL__N_124unique_dim_cuda_templateItEESt5tupleIJNSH_6TensorESM_SM_EERKSM_lbbbEUlllE0_EEPmJS6_EEE10hipError_tPvRmT3_T4_T5_T6_T7_T9_mT8_P12ihipStream_tbDpT10_ENKUlT_T0_E_clISt17integral_constantIbLb1EES1B_IbLb0EEEEDaS17_S18_EUlS17_E_NS1_11comp_targetILNS1_3genE0ELNS1_11target_archE4294967295ELNS1_3gpuE0ELNS1_3repE0EEENS1_30default_config_static_selectorELNS0_4arch9wavefront6targetE1EEEvT1_ ; -- Begin function _ZN7rocprim17ROCPRIM_400000_NS6detail17trampoline_kernelINS0_14default_configENS1_25partition_config_selectorILNS1_17partition_subalgoE8ElNS0_10empty_typeEbEEZZNS1_14partition_implILS5_8ELb0ES3_jPlPS6_PKS6_NS0_5tupleIJS9_S6_EEENSD_IJSA_SA_EEENS0_18inequality_wrapperIZN2at6native12_GLOBAL__N_124unique_dim_cuda_templateItEESt5tupleIJNSH_6TensorESM_SM_EERKSM_lbbbEUlllE0_EEPmJS6_EEE10hipError_tPvRmT3_T4_T5_T6_T7_T9_mT8_P12ihipStream_tbDpT10_ENKUlT_T0_E_clISt17integral_constantIbLb1EES1B_IbLb0EEEEDaS17_S18_EUlS17_E_NS1_11comp_targetILNS1_3genE0ELNS1_11target_archE4294967295ELNS1_3gpuE0ELNS1_3repE0EEENS1_30default_config_static_selectorELNS0_4arch9wavefront6targetE1EEEvT1_
	.p2align	8
	.type	_ZN7rocprim17ROCPRIM_400000_NS6detail17trampoline_kernelINS0_14default_configENS1_25partition_config_selectorILNS1_17partition_subalgoE8ElNS0_10empty_typeEbEEZZNS1_14partition_implILS5_8ELb0ES3_jPlPS6_PKS6_NS0_5tupleIJS9_S6_EEENSD_IJSA_SA_EEENS0_18inequality_wrapperIZN2at6native12_GLOBAL__N_124unique_dim_cuda_templateItEESt5tupleIJNSH_6TensorESM_SM_EERKSM_lbbbEUlllE0_EEPmJS6_EEE10hipError_tPvRmT3_T4_T5_T6_T7_T9_mT8_P12ihipStream_tbDpT10_ENKUlT_T0_E_clISt17integral_constantIbLb1EES1B_IbLb0EEEEDaS17_S18_EUlS17_E_NS1_11comp_targetILNS1_3genE0ELNS1_11target_archE4294967295ELNS1_3gpuE0ELNS1_3repE0EEENS1_30default_config_static_selectorELNS0_4arch9wavefront6targetE1EEEvT1_,@function
_ZN7rocprim17ROCPRIM_400000_NS6detail17trampoline_kernelINS0_14default_configENS1_25partition_config_selectorILNS1_17partition_subalgoE8ElNS0_10empty_typeEbEEZZNS1_14partition_implILS5_8ELb0ES3_jPlPS6_PKS6_NS0_5tupleIJS9_S6_EEENSD_IJSA_SA_EEENS0_18inequality_wrapperIZN2at6native12_GLOBAL__N_124unique_dim_cuda_templateItEESt5tupleIJNSH_6TensorESM_SM_EERKSM_lbbbEUlllE0_EEPmJS6_EEE10hipError_tPvRmT3_T4_T5_T6_T7_T9_mT8_P12ihipStream_tbDpT10_ENKUlT_T0_E_clISt17integral_constantIbLb1EES1B_IbLb0EEEEDaS17_S18_EUlS17_E_NS1_11comp_targetILNS1_3genE0ELNS1_11target_archE4294967295ELNS1_3gpuE0ELNS1_3repE0EEENS1_30default_config_static_selectorELNS0_4arch9wavefront6targetE1EEEvT1_: ; @_ZN7rocprim17ROCPRIM_400000_NS6detail17trampoline_kernelINS0_14default_configENS1_25partition_config_selectorILNS1_17partition_subalgoE8ElNS0_10empty_typeEbEEZZNS1_14partition_implILS5_8ELb0ES3_jPlPS6_PKS6_NS0_5tupleIJS9_S6_EEENSD_IJSA_SA_EEENS0_18inequality_wrapperIZN2at6native12_GLOBAL__N_124unique_dim_cuda_templateItEESt5tupleIJNSH_6TensorESM_SM_EERKSM_lbbbEUlllE0_EEPmJS6_EEE10hipError_tPvRmT3_T4_T5_T6_T7_T9_mT8_P12ihipStream_tbDpT10_ENKUlT_T0_E_clISt17integral_constantIbLb1EES1B_IbLb0EEEEDaS17_S18_EUlS17_E_NS1_11comp_targetILNS1_3genE0ELNS1_11target_archE4294967295ELNS1_3gpuE0ELNS1_3repE0EEENS1_30default_config_static_selectorELNS0_4arch9wavefront6targetE1EEEvT1_
; %bb.0:
	.section	.rodata,"a",@progbits
	.p2align	6, 0x0
	.amdhsa_kernel _ZN7rocprim17ROCPRIM_400000_NS6detail17trampoline_kernelINS0_14default_configENS1_25partition_config_selectorILNS1_17partition_subalgoE8ElNS0_10empty_typeEbEEZZNS1_14partition_implILS5_8ELb0ES3_jPlPS6_PKS6_NS0_5tupleIJS9_S6_EEENSD_IJSA_SA_EEENS0_18inequality_wrapperIZN2at6native12_GLOBAL__N_124unique_dim_cuda_templateItEESt5tupleIJNSH_6TensorESM_SM_EERKSM_lbbbEUlllE0_EEPmJS6_EEE10hipError_tPvRmT3_T4_T5_T6_T7_T9_mT8_P12ihipStream_tbDpT10_ENKUlT_T0_E_clISt17integral_constantIbLb1EES1B_IbLb0EEEEDaS17_S18_EUlS17_E_NS1_11comp_targetILNS1_3genE0ELNS1_11target_archE4294967295ELNS1_3gpuE0ELNS1_3repE0EEENS1_30default_config_static_selectorELNS0_4arch9wavefront6targetE1EEEvT1_
		.amdhsa_group_segment_fixed_size 0
		.amdhsa_private_segment_fixed_size 0
		.amdhsa_kernarg_size 120
		.amdhsa_user_sgpr_count 6
		.amdhsa_user_sgpr_private_segment_buffer 1
		.amdhsa_user_sgpr_dispatch_ptr 0
		.amdhsa_user_sgpr_queue_ptr 0
		.amdhsa_user_sgpr_kernarg_segment_ptr 1
		.amdhsa_user_sgpr_dispatch_id 0
		.amdhsa_user_sgpr_flat_scratch_init 0
		.amdhsa_user_sgpr_kernarg_preload_length 0
		.amdhsa_user_sgpr_kernarg_preload_offset 0
		.amdhsa_user_sgpr_private_segment_size 0
		.amdhsa_uses_dynamic_stack 0
		.amdhsa_system_sgpr_private_segment_wavefront_offset 0
		.amdhsa_system_sgpr_workgroup_id_x 1
		.amdhsa_system_sgpr_workgroup_id_y 0
		.amdhsa_system_sgpr_workgroup_id_z 0
		.amdhsa_system_sgpr_workgroup_info 0
		.amdhsa_system_vgpr_workitem_id 0
		.amdhsa_next_free_vgpr 1
		.amdhsa_next_free_sgpr 0
		.amdhsa_accum_offset 4
		.amdhsa_reserve_vcc 0
		.amdhsa_reserve_flat_scratch 0
		.amdhsa_float_round_mode_32 0
		.amdhsa_float_round_mode_16_64 0
		.amdhsa_float_denorm_mode_32 3
		.amdhsa_float_denorm_mode_16_64 3
		.amdhsa_dx10_clamp 1
		.amdhsa_ieee_mode 1
		.amdhsa_fp16_overflow 0
		.amdhsa_tg_split 0
		.amdhsa_exception_fp_ieee_invalid_op 0
		.amdhsa_exception_fp_denorm_src 0
		.amdhsa_exception_fp_ieee_div_zero 0
		.amdhsa_exception_fp_ieee_overflow 0
		.amdhsa_exception_fp_ieee_underflow 0
		.amdhsa_exception_fp_ieee_inexact 0
		.amdhsa_exception_int_div_zero 0
	.end_amdhsa_kernel
	.section	.text._ZN7rocprim17ROCPRIM_400000_NS6detail17trampoline_kernelINS0_14default_configENS1_25partition_config_selectorILNS1_17partition_subalgoE8ElNS0_10empty_typeEbEEZZNS1_14partition_implILS5_8ELb0ES3_jPlPS6_PKS6_NS0_5tupleIJS9_S6_EEENSD_IJSA_SA_EEENS0_18inequality_wrapperIZN2at6native12_GLOBAL__N_124unique_dim_cuda_templateItEESt5tupleIJNSH_6TensorESM_SM_EERKSM_lbbbEUlllE0_EEPmJS6_EEE10hipError_tPvRmT3_T4_T5_T6_T7_T9_mT8_P12ihipStream_tbDpT10_ENKUlT_T0_E_clISt17integral_constantIbLb1EES1B_IbLb0EEEEDaS17_S18_EUlS17_E_NS1_11comp_targetILNS1_3genE0ELNS1_11target_archE4294967295ELNS1_3gpuE0ELNS1_3repE0EEENS1_30default_config_static_selectorELNS0_4arch9wavefront6targetE1EEEvT1_,"axG",@progbits,_ZN7rocprim17ROCPRIM_400000_NS6detail17trampoline_kernelINS0_14default_configENS1_25partition_config_selectorILNS1_17partition_subalgoE8ElNS0_10empty_typeEbEEZZNS1_14partition_implILS5_8ELb0ES3_jPlPS6_PKS6_NS0_5tupleIJS9_S6_EEENSD_IJSA_SA_EEENS0_18inequality_wrapperIZN2at6native12_GLOBAL__N_124unique_dim_cuda_templateItEESt5tupleIJNSH_6TensorESM_SM_EERKSM_lbbbEUlllE0_EEPmJS6_EEE10hipError_tPvRmT3_T4_T5_T6_T7_T9_mT8_P12ihipStream_tbDpT10_ENKUlT_T0_E_clISt17integral_constantIbLb1EES1B_IbLb0EEEEDaS17_S18_EUlS17_E_NS1_11comp_targetILNS1_3genE0ELNS1_11target_archE4294967295ELNS1_3gpuE0ELNS1_3repE0EEENS1_30default_config_static_selectorELNS0_4arch9wavefront6targetE1EEEvT1_,comdat
.Lfunc_end1433:
	.size	_ZN7rocprim17ROCPRIM_400000_NS6detail17trampoline_kernelINS0_14default_configENS1_25partition_config_selectorILNS1_17partition_subalgoE8ElNS0_10empty_typeEbEEZZNS1_14partition_implILS5_8ELb0ES3_jPlPS6_PKS6_NS0_5tupleIJS9_S6_EEENSD_IJSA_SA_EEENS0_18inequality_wrapperIZN2at6native12_GLOBAL__N_124unique_dim_cuda_templateItEESt5tupleIJNSH_6TensorESM_SM_EERKSM_lbbbEUlllE0_EEPmJS6_EEE10hipError_tPvRmT3_T4_T5_T6_T7_T9_mT8_P12ihipStream_tbDpT10_ENKUlT_T0_E_clISt17integral_constantIbLb1EES1B_IbLb0EEEEDaS17_S18_EUlS17_E_NS1_11comp_targetILNS1_3genE0ELNS1_11target_archE4294967295ELNS1_3gpuE0ELNS1_3repE0EEENS1_30default_config_static_selectorELNS0_4arch9wavefront6targetE1EEEvT1_, .Lfunc_end1433-_ZN7rocprim17ROCPRIM_400000_NS6detail17trampoline_kernelINS0_14default_configENS1_25partition_config_selectorILNS1_17partition_subalgoE8ElNS0_10empty_typeEbEEZZNS1_14partition_implILS5_8ELb0ES3_jPlPS6_PKS6_NS0_5tupleIJS9_S6_EEENSD_IJSA_SA_EEENS0_18inequality_wrapperIZN2at6native12_GLOBAL__N_124unique_dim_cuda_templateItEESt5tupleIJNSH_6TensorESM_SM_EERKSM_lbbbEUlllE0_EEPmJS6_EEE10hipError_tPvRmT3_T4_T5_T6_T7_T9_mT8_P12ihipStream_tbDpT10_ENKUlT_T0_E_clISt17integral_constantIbLb1EES1B_IbLb0EEEEDaS17_S18_EUlS17_E_NS1_11comp_targetILNS1_3genE0ELNS1_11target_archE4294967295ELNS1_3gpuE0ELNS1_3repE0EEENS1_30default_config_static_selectorELNS0_4arch9wavefront6targetE1EEEvT1_
                                        ; -- End function
	.section	.AMDGPU.csdata,"",@progbits
; Kernel info:
; codeLenInByte = 0
; NumSgprs: 4
; NumVgprs: 0
; NumAgprs: 0
; TotalNumVgprs: 0
; ScratchSize: 0
; MemoryBound: 0
; FloatMode: 240
; IeeeMode: 1
; LDSByteSize: 0 bytes/workgroup (compile time only)
; SGPRBlocks: 0
; VGPRBlocks: 0
; NumSGPRsForWavesPerEU: 4
; NumVGPRsForWavesPerEU: 1
; AccumOffset: 4
; Occupancy: 8
; WaveLimiterHint : 0
; COMPUTE_PGM_RSRC2:SCRATCH_EN: 0
; COMPUTE_PGM_RSRC2:USER_SGPR: 6
; COMPUTE_PGM_RSRC2:TRAP_HANDLER: 0
; COMPUTE_PGM_RSRC2:TGID_X_EN: 1
; COMPUTE_PGM_RSRC2:TGID_Y_EN: 0
; COMPUTE_PGM_RSRC2:TGID_Z_EN: 0
; COMPUTE_PGM_RSRC2:TIDIG_COMP_CNT: 0
; COMPUTE_PGM_RSRC3_GFX90A:ACCUM_OFFSET: 0
; COMPUTE_PGM_RSRC3_GFX90A:TG_SPLIT: 0
	.section	.text._ZN7rocprim17ROCPRIM_400000_NS6detail17trampoline_kernelINS0_14default_configENS1_25partition_config_selectorILNS1_17partition_subalgoE8ElNS0_10empty_typeEbEEZZNS1_14partition_implILS5_8ELb0ES3_jPlPS6_PKS6_NS0_5tupleIJS9_S6_EEENSD_IJSA_SA_EEENS0_18inequality_wrapperIZN2at6native12_GLOBAL__N_124unique_dim_cuda_templateItEESt5tupleIJNSH_6TensorESM_SM_EERKSM_lbbbEUlllE0_EEPmJS6_EEE10hipError_tPvRmT3_T4_T5_T6_T7_T9_mT8_P12ihipStream_tbDpT10_ENKUlT_T0_E_clISt17integral_constantIbLb1EES1B_IbLb0EEEEDaS17_S18_EUlS17_E_NS1_11comp_targetILNS1_3genE5ELNS1_11target_archE942ELNS1_3gpuE9ELNS1_3repE0EEENS1_30default_config_static_selectorELNS0_4arch9wavefront6targetE1EEEvT1_,"axG",@progbits,_ZN7rocprim17ROCPRIM_400000_NS6detail17trampoline_kernelINS0_14default_configENS1_25partition_config_selectorILNS1_17partition_subalgoE8ElNS0_10empty_typeEbEEZZNS1_14partition_implILS5_8ELb0ES3_jPlPS6_PKS6_NS0_5tupleIJS9_S6_EEENSD_IJSA_SA_EEENS0_18inequality_wrapperIZN2at6native12_GLOBAL__N_124unique_dim_cuda_templateItEESt5tupleIJNSH_6TensorESM_SM_EERKSM_lbbbEUlllE0_EEPmJS6_EEE10hipError_tPvRmT3_T4_T5_T6_T7_T9_mT8_P12ihipStream_tbDpT10_ENKUlT_T0_E_clISt17integral_constantIbLb1EES1B_IbLb0EEEEDaS17_S18_EUlS17_E_NS1_11comp_targetILNS1_3genE5ELNS1_11target_archE942ELNS1_3gpuE9ELNS1_3repE0EEENS1_30default_config_static_selectorELNS0_4arch9wavefront6targetE1EEEvT1_,comdat
	.globl	_ZN7rocprim17ROCPRIM_400000_NS6detail17trampoline_kernelINS0_14default_configENS1_25partition_config_selectorILNS1_17partition_subalgoE8ElNS0_10empty_typeEbEEZZNS1_14partition_implILS5_8ELb0ES3_jPlPS6_PKS6_NS0_5tupleIJS9_S6_EEENSD_IJSA_SA_EEENS0_18inequality_wrapperIZN2at6native12_GLOBAL__N_124unique_dim_cuda_templateItEESt5tupleIJNSH_6TensorESM_SM_EERKSM_lbbbEUlllE0_EEPmJS6_EEE10hipError_tPvRmT3_T4_T5_T6_T7_T9_mT8_P12ihipStream_tbDpT10_ENKUlT_T0_E_clISt17integral_constantIbLb1EES1B_IbLb0EEEEDaS17_S18_EUlS17_E_NS1_11comp_targetILNS1_3genE5ELNS1_11target_archE942ELNS1_3gpuE9ELNS1_3repE0EEENS1_30default_config_static_selectorELNS0_4arch9wavefront6targetE1EEEvT1_ ; -- Begin function _ZN7rocprim17ROCPRIM_400000_NS6detail17trampoline_kernelINS0_14default_configENS1_25partition_config_selectorILNS1_17partition_subalgoE8ElNS0_10empty_typeEbEEZZNS1_14partition_implILS5_8ELb0ES3_jPlPS6_PKS6_NS0_5tupleIJS9_S6_EEENSD_IJSA_SA_EEENS0_18inequality_wrapperIZN2at6native12_GLOBAL__N_124unique_dim_cuda_templateItEESt5tupleIJNSH_6TensorESM_SM_EERKSM_lbbbEUlllE0_EEPmJS6_EEE10hipError_tPvRmT3_T4_T5_T6_T7_T9_mT8_P12ihipStream_tbDpT10_ENKUlT_T0_E_clISt17integral_constantIbLb1EES1B_IbLb0EEEEDaS17_S18_EUlS17_E_NS1_11comp_targetILNS1_3genE5ELNS1_11target_archE942ELNS1_3gpuE9ELNS1_3repE0EEENS1_30default_config_static_selectorELNS0_4arch9wavefront6targetE1EEEvT1_
	.p2align	8
	.type	_ZN7rocprim17ROCPRIM_400000_NS6detail17trampoline_kernelINS0_14default_configENS1_25partition_config_selectorILNS1_17partition_subalgoE8ElNS0_10empty_typeEbEEZZNS1_14partition_implILS5_8ELb0ES3_jPlPS6_PKS6_NS0_5tupleIJS9_S6_EEENSD_IJSA_SA_EEENS0_18inequality_wrapperIZN2at6native12_GLOBAL__N_124unique_dim_cuda_templateItEESt5tupleIJNSH_6TensorESM_SM_EERKSM_lbbbEUlllE0_EEPmJS6_EEE10hipError_tPvRmT3_T4_T5_T6_T7_T9_mT8_P12ihipStream_tbDpT10_ENKUlT_T0_E_clISt17integral_constantIbLb1EES1B_IbLb0EEEEDaS17_S18_EUlS17_E_NS1_11comp_targetILNS1_3genE5ELNS1_11target_archE942ELNS1_3gpuE9ELNS1_3repE0EEENS1_30default_config_static_selectorELNS0_4arch9wavefront6targetE1EEEvT1_,@function
_ZN7rocprim17ROCPRIM_400000_NS6detail17trampoline_kernelINS0_14default_configENS1_25partition_config_selectorILNS1_17partition_subalgoE8ElNS0_10empty_typeEbEEZZNS1_14partition_implILS5_8ELb0ES3_jPlPS6_PKS6_NS0_5tupleIJS9_S6_EEENSD_IJSA_SA_EEENS0_18inequality_wrapperIZN2at6native12_GLOBAL__N_124unique_dim_cuda_templateItEESt5tupleIJNSH_6TensorESM_SM_EERKSM_lbbbEUlllE0_EEPmJS6_EEE10hipError_tPvRmT3_T4_T5_T6_T7_T9_mT8_P12ihipStream_tbDpT10_ENKUlT_T0_E_clISt17integral_constantIbLb1EES1B_IbLb0EEEEDaS17_S18_EUlS17_E_NS1_11comp_targetILNS1_3genE5ELNS1_11target_archE942ELNS1_3gpuE9ELNS1_3repE0EEENS1_30default_config_static_selectorELNS0_4arch9wavefront6targetE1EEEvT1_: ; @_ZN7rocprim17ROCPRIM_400000_NS6detail17trampoline_kernelINS0_14default_configENS1_25partition_config_selectorILNS1_17partition_subalgoE8ElNS0_10empty_typeEbEEZZNS1_14partition_implILS5_8ELb0ES3_jPlPS6_PKS6_NS0_5tupleIJS9_S6_EEENSD_IJSA_SA_EEENS0_18inequality_wrapperIZN2at6native12_GLOBAL__N_124unique_dim_cuda_templateItEESt5tupleIJNSH_6TensorESM_SM_EERKSM_lbbbEUlllE0_EEPmJS6_EEE10hipError_tPvRmT3_T4_T5_T6_T7_T9_mT8_P12ihipStream_tbDpT10_ENKUlT_T0_E_clISt17integral_constantIbLb1EES1B_IbLb0EEEEDaS17_S18_EUlS17_E_NS1_11comp_targetILNS1_3genE5ELNS1_11target_archE942ELNS1_3gpuE9ELNS1_3repE0EEENS1_30default_config_static_selectorELNS0_4arch9wavefront6targetE1EEEvT1_
; %bb.0:
	.section	.rodata,"a",@progbits
	.p2align	6, 0x0
	.amdhsa_kernel _ZN7rocprim17ROCPRIM_400000_NS6detail17trampoline_kernelINS0_14default_configENS1_25partition_config_selectorILNS1_17partition_subalgoE8ElNS0_10empty_typeEbEEZZNS1_14partition_implILS5_8ELb0ES3_jPlPS6_PKS6_NS0_5tupleIJS9_S6_EEENSD_IJSA_SA_EEENS0_18inequality_wrapperIZN2at6native12_GLOBAL__N_124unique_dim_cuda_templateItEESt5tupleIJNSH_6TensorESM_SM_EERKSM_lbbbEUlllE0_EEPmJS6_EEE10hipError_tPvRmT3_T4_T5_T6_T7_T9_mT8_P12ihipStream_tbDpT10_ENKUlT_T0_E_clISt17integral_constantIbLb1EES1B_IbLb0EEEEDaS17_S18_EUlS17_E_NS1_11comp_targetILNS1_3genE5ELNS1_11target_archE942ELNS1_3gpuE9ELNS1_3repE0EEENS1_30default_config_static_selectorELNS0_4arch9wavefront6targetE1EEEvT1_
		.amdhsa_group_segment_fixed_size 0
		.amdhsa_private_segment_fixed_size 0
		.amdhsa_kernarg_size 120
		.amdhsa_user_sgpr_count 6
		.amdhsa_user_sgpr_private_segment_buffer 1
		.amdhsa_user_sgpr_dispatch_ptr 0
		.amdhsa_user_sgpr_queue_ptr 0
		.amdhsa_user_sgpr_kernarg_segment_ptr 1
		.amdhsa_user_sgpr_dispatch_id 0
		.amdhsa_user_sgpr_flat_scratch_init 0
		.amdhsa_user_sgpr_kernarg_preload_length 0
		.amdhsa_user_sgpr_kernarg_preload_offset 0
		.amdhsa_user_sgpr_private_segment_size 0
		.amdhsa_uses_dynamic_stack 0
		.amdhsa_system_sgpr_private_segment_wavefront_offset 0
		.amdhsa_system_sgpr_workgroup_id_x 1
		.amdhsa_system_sgpr_workgroup_id_y 0
		.amdhsa_system_sgpr_workgroup_id_z 0
		.amdhsa_system_sgpr_workgroup_info 0
		.amdhsa_system_vgpr_workitem_id 0
		.amdhsa_next_free_vgpr 1
		.amdhsa_next_free_sgpr 0
		.amdhsa_accum_offset 4
		.amdhsa_reserve_vcc 0
		.amdhsa_reserve_flat_scratch 0
		.amdhsa_float_round_mode_32 0
		.amdhsa_float_round_mode_16_64 0
		.amdhsa_float_denorm_mode_32 3
		.amdhsa_float_denorm_mode_16_64 3
		.amdhsa_dx10_clamp 1
		.amdhsa_ieee_mode 1
		.amdhsa_fp16_overflow 0
		.amdhsa_tg_split 0
		.amdhsa_exception_fp_ieee_invalid_op 0
		.amdhsa_exception_fp_denorm_src 0
		.amdhsa_exception_fp_ieee_div_zero 0
		.amdhsa_exception_fp_ieee_overflow 0
		.amdhsa_exception_fp_ieee_underflow 0
		.amdhsa_exception_fp_ieee_inexact 0
		.amdhsa_exception_int_div_zero 0
	.end_amdhsa_kernel
	.section	.text._ZN7rocprim17ROCPRIM_400000_NS6detail17trampoline_kernelINS0_14default_configENS1_25partition_config_selectorILNS1_17partition_subalgoE8ElNS0_10empty_typeEbEEZZNS1_14partition_implILS5_8ELb0ES3_jPlPS6_PKS6_NS0_5tupleIJS9_S6_EEENSD_IJSA_SA_EEENS0_18inequality_wrapperIZN2at6native12_GLOBAL__N_124unique_dim_cuda_templateItEESt5tupleIJNSH_6TensorESM_SM_EERKSM_lbbbEUlllE0_EEPmJS6_EEE10hipError_tPvRmT3_T4_T5_T6_T7_T9_mT8_P12ihipStream_tbDpT10_ENKUlT_T0_E_clISt17integral_constantIbLb1EES1B_IbLb0EEEEDaS17_S18_EUlS17_E_NS1_11comp_targetILNS1_3genE5ELNS1_11target_archE942ELNS1_3gpuE9ELNS1_3repE0EEENS1_30default_config_static_selectorELNS0_4arch9wavefront6targetE1EEEvT1_,"axG",@progbits,_ZN7rocprim17ROCPRIM_400000_NS6detail17trampoline_kernelINS0_14default_configENS1_25partition_config_selectorILNS1_17partition_subalgoE8ElNS0_10empty_typeEbEEZZNS1_14partition_implILS5_8ELb0ES3_jPlPS6_PKS6_NS0_5tupleIJS9_S6_EEENSD_IJSA_SA_EEENS0_18inequality_wrapperIZN2at6native12_GLOBAL__N_124unique_dim_cuda_templateItEESt5tupleIJNSH_6TensorESM_SM_EERKSM_lbbbEUlllE0_EEPmJS6_EEE10hipError_tPvRmT3_T4_T5_T6_T7_T9_mT8_P12ihipStream_tbDpT10_ENKUlT_T0_E_clISt17integral_constantIbLb1EES1B_IbLb0EEEEDaS17_S18_EUlS17_E_NS1_11comp_targetILNS1_3genE5ELNS1_11target_archE942ELNS1_3gpuE9ELNS1_3repE0EEENS1_30default_config_static_selectorELNS0_4arch9wavefront6targetE1EEEvT1_,comdat
.Lfunc_end1434:
	.size	_ZN7rocprim17ROCPRIM_400000_NS6detail17trampoline_kernelINS0_14default_configENS1_25partition_config_selectorILNS1_17partition_subalgoE8ElNS0_10empty_typeEbEEZZNS1_14partition_implILS5_8ELb0ES3_jPlPS6_PKS6_NS0_5tupleIJS9_S6_EEENSD_IJSA_SA_EEENS0_18inequality_wrapperIZN2at6native12_GLOBAL__N_124unique_dim_cuda_templateItEESt5tupleIJNSH_6TensorESM_SM_EERKSM_lbbbEUlllE0_EEPmJS6_EEE10hipError_tPvRmT3_T4_T5_T6_T7_T9_mT8_P12ihipStream_tbDpT10_ENKUlT_T0_E_clISt17integral_constantIbLb1EES1B_IbLb0EEEEDaS17_S18_EUlS17_E_NS1_11comp_targetILNS1_3genE5ELNS1_11target_archE942ELNS1_3gpuE9ELNS1_3repE0EEENS1_30default_config_static_selectorELNS0_4arch9wavefront6targetE1EEEvT1_, .Lfunc_end1434-_ZN7rocprim17ROCPRIM_400000_NS6detail17trampoline_kernelINS0_14default_configENS1_25partition_config_selectorILNS1_17partition_subalgoE8ElNS0_10empty_typeEbEEZZNS1_14partition_implILS5_8ELb0ES3_jPlPS6_PKS6_NS0_5tupleIJS9_S6_EEENSD_IJSA_SA_EEENS0_18inequality_wrapperIZN2at6native12_GLOBAL__N_124unique_dim_cuda_templateItEESt5tupleIJNSH_6TensorESM_SM_EERKSM_lbbbEUlllE0_EEPmJS6_EEE10hipError_tPvRmT3_T4_T5_T6_T7_T9_mT8_P12ihipStream_tbDpT10_ENKUlT_T0_E_clISt17integral_constantIbLb1EES1B_IbLb0EEEEDaS17_S18_EUlS17_E_NS1_11comp_targetILNS1_3genE5ELNS1_11target_archE942ELNS1_3gpuE9ELNS1_3repE0EEENS1_30default_config_static_selectorELNS0_4arch9wavefront6targetE1EEEvT1_
                                        ; -- End function
	.section	.AMDGPU.csdata,"",@progbits
; Kernel info:
; codeLenInByte = 0
; NumSgprs: 4
; NumVgprs: 0
; NumAgprs: 0
; TotalNumVgprs: 0
; ScratchSize: 0
; MemoryBound: 0
; FloatMode: 240
; IeeeMode: 1
; LDSByteSize: 0 bytes/workgroup (compile time only)
; SGPRBlocks: 0
; VGPRBlocks: 0
; NumSGPRsForWavesPerEU: 4
; NumVGPRsForWavesPerEU: 1
; AccumOffset: 4
; Occupancy: 8
; WaveLimiterHint : 0
; COMPUTE_PGM_RSRC2:SCRATCH_EN: 0
; COMPUTE_PGM_RSRC2:USER_SGPR: 6
; COMPUTE_PGM_RSRC2:TRAP_HANDLER: 0
; COMPUTE_PGM_RSRC2:TGID_X_EN: 1
; COMPUTE_PGM_RSRC2:TGID_Y_EN: 0
; COMPUTE_PGM_RSRC2:TGID_Z_EN: 0
; COMPUTE_PGM_RSRC2:TIDIG_COMP_CNT: 0
; COMPUTE_PGM_RSRC3_GFX90A:ACCUM_OFFSET: 0
; COMPUTE_PGM_RSRC3_GFX90A:TG_SPLIT: 0
	.section	.text._ZN7rocprim17ROCPRIM_400000_NS6detail17trampoline_kernelINS0_14default_configENS1_25partition_config_selectorILNS1_17partition_subalgoE8ElNS0_10empty_typeEbEEZZNS1_14partition_implILS5_8ELb0ES3_jPlPS6_PKS6_NS0_5tupleIJS9_S6_EEENSD_IJSA_SA_EEENS0_18inequality_wrapperIZN2at6native12_GLOBAL__N_124unique_dim_cuda_templateItEESt5tupleIJNSH_6TensorESM_SM_EERKSM_lbbbEUlllE0_EEPmJS6_EEE10hipError_tPvRmT3_T4_T5_T6_T7_T9_mT8_P12ihipStream_tbDpT10_ENKUlT_T0_E_clISt17integral_constantIbLb1EES1B_IbLb0EEEEDaS17_S18_EUlS17_E_NS1_11comp_targetILNS1_3genE4ELNS1_11target_archE910ELNS1_3gpuE8ELNS1_3repE0EEENS1_30default_config_static_selectorELNS0_4arch9wavefront6targetE1EEEvT1_,"axG",@progbits,_ZN7rocprim17ROCPRIM_400000_NS6detail17trampoline_kernelINS0_14default_configENS1_25partition_config_selectorILNS1_17partition_subalgoE8ElNS0_10empty_typeEbEEZZNS1_14partition_implILS5_8ELb0ES3_jPlPS6_PKS6_NS0_5tupleIJS9_S6_EEENSD_IJSA_SA_EEENS0_18inequality_wrapperIZN2at6native12_GLOBAL__N_124unique_dim_cuda_templateItEESt5tupleIJNSH_6TensorESM_SM_EERKSM_lbbbEUlllE0_EEPmJS6_EEE10hipError_tPvRmT3_T4_T5_T6_T7_T9_mT8_P12ihipStream_tbDpT10_ENKUlT_T0_E_clISt17integral_constantIbLb1EES1B_IbLb0EEEEDaS17_S18_EUlS17_E_NS1_11comp_targetILNS1_3genE4ELNS1_11target_archE910ELNS1_3gpuE8ELNS1_3repE0EEENS1_30default_config_static_selectorELNS0_4arch9wavefront6targetE1EEEvT1_,comdat
	.globl	_ZN7rocprim17ROCPRIM_400000_NS6detail17trampoline_kernelINS0_14default_configENS1_25partition_config_selectorILNS1_17partition_subalgoE8ElNS0_10empty_typeEbEEZZNS1_14partition_implILS5_8ELb0ES3_jPlPS6_PKS6_NS0_5tupleIJS9_S6_EEENSD_IJSA_SA_EEENS0_18inequality_wrapperIZN2at6native12_GLOBAL__N_124unique_dim_cuda_templateItEESt5tupleIJNSH_6TensorESM_SM_EERKSM_lbbbEUlllE0_EEPmJS6_EEE10hipError_tPvRmT3_T4_T5_T6_T7_T9_mT8_P12ihipStream_tbDpT10_ENKUlT_T0_E_clISt17integral_constantIbLb1EES1B_IbLb0EEEEDaS17_S18_EUlS17_E_NS1_11comp_targetILNS1_3genE4ELNS1_11target_archE910ELNS1_3gpuE8ELNS1_3repE0EEENS1_30default_config_static_selectorELNS0_4arch9wavefront6targetE1EEEvT1_ ; -- Begin function _ZN7rocprim17ROCPRIM_400000_NS6detail17trampoline_kernelINS0_14default_configENS1_25partition_config_selectorILNS1_17partition_subalgoE8ElNS0_10empty_typeEbEEZZNS1_14partition_implILS5_8ELb0ES3_jPlPS6_PKS6_NS0_5tupleIJS9_S6_EEENSD_IJSA_SA_EEENS0_18inequality_wrapperIZN2at6native12_GLOBAL__N_124unique_dim_cuda_templateItEESt5tupleIJNSH_6TensorESM_SM_EERKSM_lbbbEUlllE0_EEPmJS6_EEE10hipError_tPvRmT3_T4_T5_T6_T7_T9_mT8_P12ihipStream_tbDpT10_ENKUlT_T0_E_clISt17integral_constantIbLb1EES1B_IbLb0EEEEDaS17_S18_EUlS17_E_NS1_11comp_targetILNS1_3genE4ELNS1_11target_archE910ELNS1_3gpuE8ELNS1_3repE0EEENS1_30default_config_static_selectorELNS0_4arch9wavefront6targetE1EEEvT1_
	.p2align	8
	.type	_ZN7rocprim17ROCPRIM_400000_NS6detail17trampoline_kernelINS0_14default_configENS1_25partition_config_selectorILNS1_17partition_subalgoE8ElNS0_10empty_typeEbEEZZNS1_14partition_implILS5_8ELb0ES3_jPlPS6_PKS6_NS0_5tupleIJS9_S6_EEENSD_IJSA_SA_EEENS0_18inequality_wrapperIZN2at6native12_GLOBAL__N_124unique_dim_cuda_templateItEESt5tupleIJNSH_6TensorESM_SM_EERKSM_lbbbEUlllE0_EEPmJS6_EEE10hipError_tPvRmT3_T4_T5_T6_T7_T9_mT8_P12ihipStream_tbDpT10_ENKUlT_T0_E_clISt17integral_constantIbLb1EES1B_IbLb0EEEEDaS17_S18_EUlS17_E_NS1_11comp_targetILNS1_3genE4ELNS1_11target_archE910ELNS1_3gpuE8ELNS1_3repE0EEENS1_30default_config_static_selectorELNS0_4arch9wavefront6targetE1EEEvT1_,@function
_ZN7rocprim17ROCPRIM_400000_NS6detail17trampoline_kernelINS0_14default_configENS1_25partition_config_selectorILNS1_17partition_subalgoE8ElNS0_10empty_typeEbEEZZNS1_14partition_implILS5_8ELb0ES3_jPlPS6_PKS6_NS0_5tupleIJS9_S6_EEENSD_IJSA_SA_EEENS0_18inequality_wrapperIZN2at6native12_GLOBAL__N_124unique_dim_cuda_templateItEESt5tupleIJNSH_6TensorESM_SM_EERKSM_lbbbEUlllE0_EEPmJS6_EEE10hipError_tPvRmT3_T4_T5_T6_T7_T9_mT8_P12ihipStream_tbDpT10_ENKUlT_T0_E_clISt17integral_constantIbLb1EES1B_IbLb0EEEEDaS17_S18_EUlS17_E_NS1_11comp_targetILNS1_3genE4ELNS1_11target_archE910ELNS1_3gpuE8ELNS1_3repE0EEENS1_30default_config_static_selectorELNS0_4arch9wavefront6targetE1EEEvT1_: ; @_ZN7rocprim17ROCPRIM_400000_NS6detail17trampoline_kernelINS0_14default_configENS1_25partition_config_selectorILNS1_17partition_subalgoE8ElNS0_10empty_typeEbEEZZNS1_14partition_implILS5_8ELb0ES3_jPlPS6_PKS6_NS0_5tupleIJS9_S6_EEENSD_IJSA_SA_EEENS0_18inequality_wrapperIZN2at6native12_GLOBAL__N_124unique_dim_cuda_templateItEESt5tupleIJNSH_6TensorESM_SM_EERKSM_lbbbEUlllE0_EEPmJS6_EEE10hipError_tPvRmT3_T4_T5_T6_T7_T9_mT8_P12ihipStream_tbDpT10_ENKUlT_T0_E_clISt17integral_constantIbLb1EES1B_IbLb0EEEEDaS17_S18_EUlS17_E_NS1_11comp_targetILNS1_3genE4ELNS1_11target_archE910ELNS1_3gpuE8ELNS1_3repE0EEENS1_30default_config_static_selectorELNS0_4arch9wavefront6targetE1EEEvT1_
; %bb.0:
	s_load_dwordx8 s[20:27], s[4:5], 0x40
	s_load_dwordx4 s[0:3], s[4:5], 0x8
	s_load_dwordx4 s[28:31], s[4:5], 0x60
	s_load_dword s7, s[4:5], 0x70
	s_waitcnt lgkmcnt(0)
	v_mov_b32_e32 v2, s24
	s_lshl_b64 s[8:9], s[2:3], 3
	s_add_u32 s12, s0, s8
	s_mul_i32 s8, s7, 0x500
	s_addc_u32 s13, s1, s9
	s_add_i32 s1, s8, s2
	s_add_i32 s10, s7, -1
	s_sub_i32 s7, s24, s1
	s_add_u32 s8, s2, s8
	s_addc_u32 s9, s3, 0
	v_mov_b32_e32 v3, s25
	s_cmp_eq_u32 s6, s10
	s_load_dwordx2 s[22:23], s[22:23], 0x0
	v_cmp_ge_u64_e32 vcc, s[8:9], v[2:3]
	s_cselect_b64 s[24:25], -1, 0
	s_mul_i32 s0, s6, 0x500
	s_mov_b32 s1, 0
	s_and_b64 s[10:11], s[24:25], vcc
	s_xor_b64 s[34:35], s[10:11], -1
	s_lshl_b64 s[0:1], s[0:1], 3
	s_add_u32 s0, s12, s0
	s_mov_b64 s[8:9], -1
	s_addc_u32 s1, s13, s1
	s_and_b64 vcc, exec, s[34:35]
	s_cbranch_vccz .LBB1435_2
; %bb.1:
	v_lshlrev_b32_e32 v1, 3, v0
	v_mov_b32_e32 v2, s1
	v_add_co_u32_e32 v12, vcc, s0, v1
	v_addc_co_u32_e32 v13, vcc, 0, v2, vcc
	v_add_co_u32_e32 v2, vcc, 0x1000, v12
	v_addc_co_u32_e32 v3, vcc, 0, v13, vcc
	global_load_dwordx2 v[4:5], v1, s[0:1]
	global_load_dwordx2 v[6:7], v1, s[0:1] offset:2048
	global_load_dwordx2 v[8:9], v[2:3], off
	global_load_dwordx2 v[10:11], v[2:3], off offset:2048
	v_add_co_u32_e32 v2, vcc, 0x2000, v12
	v_addc_co_u32_e32 v3, vcc, 0, v13, vcc
	global_load_dwordx2 v[2:3], v[2:3], off
	s_mov_b64 s[8:9], 0
	s_waitcnt vmcnt(3)
	ds_write2st64_b64 v1, v[4:5], v[6:7] offset1:4
	s_waitcnt vmcnt(1)
	ds_write2st64_b64 v1, v[8:9], v[10:11] offset0:8 offset1:12
	s_waitcnt vmcnt(0)
	ds_write_b64 v1, v[2:3] offset:8192
	s_waitcnt lgkmcnt(0)
	s_barrier
.LBB1435_2:
	s_andn2_b64 vcc, exec, s[8:9]
	s_addk_i32 s7, 0x500
	s_cbranch_vccnz .LBB1435_14
; %bb.3:
	v_cmp_gt_u32_e32 vcc, s7, v0
                                        ; implicit-def: $vgpr2_vgpr3_vgpr4_vgpr5_vgpr6_vgpr7_vgpr8_vgpr9_vgpr10_vgpr11_vgpr12_vgpr13_vgpr14_vgpr15_vgpr16_vgpr17
	s_and_saveexec_b64 s[8:9], vcc
	s_cbranch_execz .LBB1435_5
; %bb.4:
	v_lshlrev_b32_e32 v1, 3, v0
	global_load_dwordx2 v[2:3], v1, s[0:1]
.LBB1435_5:
	s_or_b64 exec, exec, s[8:9]
	v_or_b32_e32 v1, 0x100, v0
	v_cmp_gt_u32_e32 vcc, s7, v1
	s_and_saveexec_b64 s[8:9], vcc
	s_cbranch_execz .LBB1435_7
; %bb.6:
	v_lshlrev_b32_e32 v1, 3, v0
	global_load_dwordx2 v[4:5], v1, s[0:1] offset:2048
.LBB1435_7:
	s_or_b64 exec, exec, s[8:9]
	v_or_b32_e32 v1, 0x200, v0
	v_cmp_gt_u32_e32 vcc, s7, v1
	s_and_saveexec_b64 s[8:9], vcc
	s_cbranch_execz .LBB1435_9
; %bb.8:
	v_lshlrev_b32_e32 v1, 3, v1
	global_load_dwordx2 v[6:7], v1, s[0:1]
.LBB1435_9:
	s_or_b64 exec, exec, s[8:9]
	v_or_b32_e32 v1, 0x300, v0
	v_cmp_gt_u32_e32 vcc, s7, v1
	s_and_saveexec_b64 s[8:9], vcc
	s_cbranch_execz .LBB1435_11
; %bb.10:
	v_lshlrev_b32_e32 v1, 3, v1
	global_load_dwordx2 v[8:9], v1, s[0:1]
.LBB1435_11:
	;; [unrolled: 9-line block ×3, first 2 shown]
	s_or_b64 exec, exec, s[8:9]
	v_lshlrev_b32_e32 v1, 3, v0
	s_waitcnt vmcnt(0)
	ds_write2st64_b64 v1, v[2:3], v[4:5] offset1:4
	ds_write2st64_b64 v1, v[6:7], v[8:9] offset0:8 offset1:12
	ds_write_b64 v1, v[10:11] offset:8192
	s_waitcnt lgkmcnt(0)
	s_barrier
.LBB1435_14:
	v_mul_u32_u24_e32 v1, 5, v0
	v_lshlrev_b32_e32 v20, 3, v1
	s_waitcnt lgkmcnt(0)
	ds_read2_b64 v[6:9], v20 offset1:1
	ds_read2_b64 v[2:5], v20 offset0:2 offset1:3
	ds_read_b64 v[10:11], v20 offset:32
	s_cmp_lg_u32 s6, 0
	s_cselect_b64 s[16:17], -1, 0
	s_cmp_lg_u64 s[2:3], 0
	s_cselect_b64 s[2:3], -1, 0
	s_or_b64 s[2:3], s[16:17], s[2:3]
	v_mad_u32_u24 v24, v0, 5, 1
	v_mad_u32_u24 v22, v0, 5, 2
	;; [unrolled: 1-line block ×4, first 2 shown]
	s_mov_b64 s[12:13], 0
	s_and_b64 vcc, exec, s[2:3]
	v_cmp_gt_i64_e64 s[2:3], s[26:27], 0
	s_waitcnt lgkmcnt(0)
	s_barrier
	s_cbranch_vccz .LBB1435_23
; %bb.15:
	s_add_u32 s0, s0, -8
	s_addc_u32 s1, s1, -1
	s_load_dwordx2 s[12:13], s[0:1], 0x0
	v_cndmask_b32_e64 v12, 0, 1, s[2:3]
	v_lshlrev_b32_e32 v21, 3, v0
	s_mov_b64 s[14:15], 0
	s_and_b64 vcc, exec, s[34:35]
	v_cmp_ne_u32_e64 s[0:1], 1, v12
	ds_write_b64 v21, v[10:11]
	s_cbranch_vccz .LBB1435_24
; %bb.16:
	v_mul_lo_u32 v14, v5, s26
	v_mul_lo_u32 v15, v4, s27
	v_mad_u64_u32 v[12:13], s[2:3], v4, s26, 0
	v_add3_u32 v13, v13, v15, v14
	s_and_b64 vcc, exec, s[0:1]
	v_lshlrev_b64 v[12:13], 1, v[12:13]
	s_cbranch_vccnz .LBB1435_27
; %bb.17:
	v_mul_lo_u32 v16, v11, s26
	v_mul_lo_u32 v17, v10, s27
	v_mad_u64_u32 v[14:15], s[2:3], v10, s26, 0
	v_add3_u32 v15, v15, v17, v16
	v_mov_b32_e32 v17, s29
	v_add_co_u32_e32 v16, vcc, s28, v12
	v_addc_co_u32_e64 v17, s[2:3], v17, v13, vcc
	v_lshlrev_b64 v[14:15], 1, v[14:15]
	v_mov_b32_e32 v19, s29
	v_add_co_u32_e64 v18, s[2:3], s28, v14
	v_addc_co_u32_e64 v19, s[8:9], v19, v15, s[2:3]
	global_load_ushort v14, v[16:17], off
	global_load_ushort v26, v[18:19], off
	s_mov_b64 s[14:15], -1
	s_waitcnt vmcnt(0)
	v_cmp_eq_u16_e64 s[8:9], v14, v26
	s_and_saveexec_b64 s[18:19], s[8:9]
	s_cbranch_execz .LBB1435_26
; %bb.18:
	v_mov_b32_e32 v14, s29
	v_addc_co_u32_e64 v15, s[2:3], v15, v14, s[2:3]
	v_add_co_u32_e64 v14, s[2:3], 2, v18
	v_mov_b32_e32 v17, s29
	v_addc_co_u32_e64 v15, s[2:3], 0, v15, s[2:3]
	v_addc_co_u32_e32 v17, vcc, v13, v17, vcc
	v_add_co_u32_e32 v16, vcc, 2, v16
	s_add_u32 s2, s26, -1
	v_addc_co_u32_e32 v17, vcc, 0, v17, vcc
	s_addc_u32 s3, s27, -1
	s_mov_b64 s[8:9], 0
	s_mov_b64 s[36:37], 0
                                        ; implicit-def: $sgpr14_sgpr15
	s_branch .LBB1435_21
.LBB1435_19:                            ;   in Loop: Header=BB1435_21 Depth=1
	global_load_ushort v18, v[16:17], off
	global_load_ushort v19, v[14:15], off
	v_add_co_u32_e32 v14, vcc, 2, v14
	v_addc_co_u32_e32 v15, vcc, 0, v15, vcc
	v_add_co_u32_e32 v16, vcc, 2, v16
	v_addc_co_u32_e32 v17, vcc, 0, v17, vcc
	s_add_u32 s36, s36, 1
	s_addc_u32 s37, s37, 0
	s_andn2_b64 s[14:15], s[14:15], exec
	s_waitcnt vmcnt(0)
	v_cmp_ne_u16_e32 vcc, v18, v19
	s_and_b64 s[38:39], vcc, exec
	s_or_b64 s[14:15], s[14:15], s[38:39]
.LBB1435_20:                            ;   in Loop: Header=BB1435_21 Depth=1
	s_and_b64 s[38:39], exec, s[14:15]
	s_or_b64 s[8:9], s[38:39], s[8:9]
	v_pk_mov_b32 v[18:19], s[36:37], s[36:37] op_sel:[0,1]
	s_andn2_b64 exec, exec, s[8:9]
	s_cbranch_execz .LBB1435_25
.LBB1435_21:                            ; =>This Inner Loop Header: Depth=1
	s_or_b64 s[14:15], s[14:15], exec
	s_cmp_eq_u64 s[2:3], s[36:37]
	s_cbranch_scc0 .LBB1435_19
; %bb.22:                               ;   in Loop: Header=BB1435_21 Depth=1
                                        ; implicit-def: $vgpr14_vgpr15
                                        ; implicit-def: $vgpr16_vgpr17
	s_mov_b64 s[36:37], s[26:27]
	s_branch .LBB1435_20
.LBB1435_23:
                                        ; implicit-def: $sgpr18_sgpr19
                                        ; implicit-def: $vgpr13
                                        ; implicit-def: $vgpr16
	s_branch .LBB1435_125
.LBB1435_24:
                                        ; implicit-def: $sgpr18_sgpr19
                                        ; implicit-def: $vgpr13
                                        ; implicit-def: $vgpr16
	s_cbranch_execnz .LBB1435_66
	s_branch .LBB1435_124
.LBB1435_25:
	s_or_b64 exec, exec, s[8:9]
	v_cmp_gt_i64_e32 vcc, s[26:27], v[18:19]
	s_orn2_b64 s[14:15], vcc, exec
.LBB1435_26:
	s_or_b64 exec, exec, s[18:19]
.LBB1435_27:
	v_mul_lo_u32 v16, v3, s26
	v_mul_lo_u32 v17, v2, s27
	v_mad_u64_u32 v[14:15], s[2:3], v2, s26, 0
	v_add3_u32 v15, v15, v17, v16
	s_mov_b64 s[18:19], 0
	s_and_b64 vcc, exec, s[0:1]
	v_lshlrev_b64 v[16:17], 1, v[14:15]
	s_mov_b64 s[36:37], 0
	s_cbranch_vccnz .LBB1435_36
; %bb.28:
	v_mov_b32_e32 v15, s29
	v_add_co_u32_e32 v14, vcc, s28, v16
	v_addc_co_u32_e64 v15, s[2:3], v15, v17, vcc
	v_mov_b32_e32 v19, s29
	v_add_co_u32_e64 v18, s[2:3], s28, v12
	v_addc_co_u32_e64 v19, s[8:9], v19, v13, s[2:3]
	global_load_ushort v12, v[14:15], off
	global_load_ushort v26, v[18:19], off
	s_mov_b64 s[36:37], -1
	s_waitcnt vmcnt(0)
	v_cmp_eq_u16_e64 s[8:9], v12, v26
	s_and_saveexec_b64 s[38:39], s[8:9]
	s_cbranch_execz .LBB1435_35
; %bb.29:
	v_mov_b32_e32 v12, s29
	v_addc_co_u32_e64 v13, s[2:3], v13, v12, s[2:3]
	v_add_co_u32_e64 v12, s[2:3], 2, v18
	v_mov_b32_e32 v15, s29
	v_addc_co_u32_e64 v13, s[2:3], 0, v13, s[2:3]
	v_addc_co_u32_e32 v15, vcc, v17, v15, vcc
	v_add_co_u32_e32 v14, vcc, 2, v14
	s_add_u32 s2, s26, -1
	v_addc_co_u32_e32 v15, vcc, 0, v15, vcc
	s_addc_u32 s3, s27, -1
	s_mov_b64 s[8:9], 0
	s_mov_b64 s[40:41], 0
                                        ; implicit-def: $sgpr36_sgpr37
	s_branch .LBB1435_32
.LBB1435_30:                            ;   in Loop: Header=BB1435_32 Depth=1
	global_load_ushort v18, v[14:15], off
	global_load_ushort v19, v[12:13], off
	v_add_co_u32_e32 v12, vcc, 2, v12
	v_addc_co_u32_e32 v13, vcc, 0, v13, vcc
	v_add_co_u32_e32 v14, vcc, 2, v14
	v_addc_co_u32_e32 v15, vcc, 0, v15, vcc
	s_add_u32 s40, s40, 1
	s_addc_u32 s41, s41, 0
	s_andn2_b64 s[36:37], s[36:37], exec
	s_waitcnt vmcnt(0)
	v_cmp_ne_u16_e32 vcc, v18, v19
	s_and_b64 s[42:43], vcc, exec
	s_or_b64 s[36:37], s[36:37], s[42:43]
.LBB1435_31:                            ;   in Loop: Header=BB1435_32 Depth=1
	s_and_b64 s[42:43], exec, s[36:37]
	s_or_b64 s[8:9], s[42:43], s[8:9]
	v_pk_mov_b32 v[18:19], s[40:41], s[40:41] op_sel:[0,1]
	s_andn2_b64 exec, exec, s[8:9]
	s_cbranch_execz .LBB1435_34
.LBB1435_32:                            ; =>This Inner Loop Header: Depth=1
	s_or_b64 s[36:37], s[36:37], exec
	s_cmp_eq_u64 s[2:3], s[40:41]
	s_cbranch_scc0 .LBB1435_30
; %bb.33:                               ;   in Loop: Header=BB1435_32 Depth=1
                                        ; implicit-def: $vgpr12_vgpr13
                                        ; implicit-def: $vgpr14_vgpr15
	s_mov_b64 s[40:41], s[26:27]
	s_branch .LBB1435_31
.LBB1435_34:
	s_or_b64 exec, exec, s[8:9]
	v_cmp_gt_i64_e32 vcc, s[26:27], v[18:19]
	s_orn2_b64 s[36:37], vcc, exec
.LBB1435_35:
	s_or_b64 exec, exec, s[38:39]
.LBB1435_36:
	v_mul_lo_u32 v14, v9, s26
	v_mul_lo_u32 v15, v8, s27
	v_mad_u64_u32 v[12:13], s[2:3], v8, s26, 0
	v_add3_u32 v13, v13, v15, v14
	s_and_b64 vcc, exec, s[0:1]
	v_lshlrev_b64 v[14:15], 1, v[12:13]
	s_cbranch_vccnz .LBB1435_45
; %bb.37:
	v_mov_b32_e32 v12, s29
	v_add_co_u32_e32 v18, vcc, s28, v14
	v_addc_co_u32_e64 v19, s[2:3], v12, v15, vcc
	v_mov_b32_e32 v13, s29
	v_add_co_u32_e64 v12, s[2:3], s28, v16
	v_addc_co_u32_e64 v13, s[8:9], v13, v17, s[2:3]
	global_load_ushort v16, v[18:19], off
	global_load_ushort v26, v[12:13], off
	s_mov_b64 s[18:19], -1
	s_waitcnt vmcnt(0)
	v_cmp_eq_u16_e64 s[8:9], v16, v26
	s_and_saveexec_b64 s[38:39], s[8:9]
	s_cbranch_execz .LBB1435_44
; %bb.38:
	v_mov_b32_e32 v13, s29
	v_addc_co_u32_e64 v13, s[2:3], v17, v13, s[2:3]
	v_add_co_u32_e64 v12, s[2:3], 2, v12
	v_mov_b32_e32 v16, s29
	v_addc_co_u32_e64 v13, s[2:3], 0, v13, s[2:3]
	v_addc_co_u32_e32 v17, vcc, v15, v16, vcc
	v_add_co_u32_e32 v16, vcc, 2, v18
	s_add_u32 s2, s26, -1
	v_addc_co_u32_e32 v17, vcc, 0, v17, vcc
	s_addc_u32 s3, s27, -1
	s_mov_b64 s[8:9], 0
	s_mov_b64 s[40:41], 0
                                        ; implicit-def: $sgpr18_sgpr19
	s_branch .LBB1435_41
.LBB1435_39:                            ;   in Loop: Header=BB1435_41 Depth=1
	global_load_ushort v18, v[16:17], off
	global_load_ushort v19, v[12:13], off
	v_add_co_u32_e32 v12, vcc, 2, v12
	v_addc_co_u32_e32 v13, vcc, 0, v13, vcc
	v_add_co_u32_e32 v16, vcc, 2, v16
	v_addc_co_u32_e32 v17, vcc, 0, v17, vcc
	s_add_u32 s40, s40, 1
	s_addc_u32 s41, s41, 0
	s_andn2_b64 s[18:19], s[18:19], exec
	s_waitcnt vmcnt(0)
	v_cmp_ne_u16_e32 vcc, v18, v19
	s_and_b64 s[42:43], vcc, exec
	s_or_b64 s[18:19], s[18:19], s[42:43]
.LBB1435_40:                            ;   in Loop: Header=BB1435_41 Depth=1
	s_and_b64 s[42:43], exec, s[18:19]
	s_or_b64 s[8:9], s[42:43], s[8:9]
	v_pk_mov_b32 v[18:19], s[40:41], s[40:41] op_sel:[0,1]
	s_andn2_b64 exec, exec, s[8:9]
	s_cbranch_execz .LBB1435_43
.LBB1435_41:                            ; =>This Inner Loop Header: Depth=1
	s_or_b64 s[18:19], s[18:19], exec
	s_cmp_eq_u64 s[2:3], s[40:41]
	s_cbranch_scc0 .LBB1435_39
; %bb.42:                               ;   in Loop: Header=BB1435_41 Depth=1
                                        ; implicit-def: $vgpr12_vgpr13
                                        ; implicit-def: $vgpr16_vgpr17
	s_mov_b64 s[40:41], s[26:27]
	s_branch .LBB1435_40
.LBB1435_43:
	s_or_b64 exec, exec, s[8:9]
	v_cmp_gt_i64_e32 vcc, s[26:27], v[18:19]
	s_orn2_b64 s[18:19], vcc, exec
.LBB1435_44:
	s_or_b64 exec, exec, s[38:39]
.LBB1435_45:
	v_mul_lo_u32 v16, v7, s26
	v_mul_lo_u32 v17, v6, s27
	v_mad_u64_u32 v[12:13], s[2:3], v6, s26, 0
	v_add3_u32 v13, v13, v17, v16
	s_mov_b64 s[40:41], 0
	s_and_b64 vcc, exec, s[0:1]
	v_lshlrev_b64 v[12:13], 1, v[12:13]
	s_cbranch_vccnz .LBB1435_54
; %bb.46:
	v_mov_b32_e32 v17, s29
	v_add_co_u32_e32 v16, vcc, s28, v12
	v_addc_co_u32_e64 v17, s[2:3], v17, v13, vcc
	v_mov_b32_e32 v19, s29
	v_add_co_u32_e64 v18, s[2:3], s28, v14
	v_addc_co_u32_e64 v19, s[8:9], v19, v15, s[2:3]
	global_load_ushort v14, v[16:17], off
	global_load_ushort v26, v[18:19], off
	s_mov_b64 s[40:41], -1
	s_waitcnt vmcnt(0)
	v_cmp_eq_u16_e64 s[8:9], v14, v26
	s_and_saveexec_b64 s[38:39], s[8:9]
	s_cbranch_execz .LBB1435_53
; %bb.47:
	v_mov_b32_e32 v14, s29
	v_addc_co_u32_e64 v15, s[2:3], v15, v14, s[2:3]
	v_add_co_u32_e64 v14, s[2:3], 2, v18
	v_mov_b32_e32 v17, s29
	v_addc_co_u32_e64 v15, s[2:3], 0, v15, s[2:3]
	v_addc_co_u32_e32 v17, vcc, v13, v17, vcc
	v_add_co_u32_e32 v16, vcc, 2, v16
	s_add_u32 s2, s26, -1
	v_addc_co_u32_e32 v17, vcc, 0, v17, vcc
	s_addc_u32 s3, s27, -1
	s_mov_b64 s[8:9], 0
	s_mov_b64 s[42:43], 0
                                        ; implicit-def: $sgpr40_sgpr41
	s_branch .LBB1435_50
.LBB1435_48:                            ;   in Loop: Header=BB1435_50 Depth=1
	global_load_ushort v18, v[16:17], off
	global_load_ushort v19, v[14:15], off
	v_add_co_u32_e32 v14, vcc, 2, v14
	v_addc_co_u32_e32 v15, vcc, 0, v15, vcc
	v_add_co_u32_e32 v16, vcc, 2, v16
	v_addc_co_u32_e32 v17, vcc, 0, v17, vcc
	s_add_u32 s42, s42, 1
	s_addc_u32 s43, s43, 0
	s_andn2_b64 s[40:41], s[40:41], exec
	s_waitcnt vmcnt(0)
	v_cmp_ne_u16_e32 vcc, v18, v19
	s_and_b64 s[44:45], vcc, exec
	s_or_b64 s[40:41], s[40:41], s[44:45]
.LBB1435_49:                            ;   in Loop: Header=BB1435_50 Depth=1
	s_and_b64 s[44:45], exec, s[40:41]
	s_or_b64 s[8:9], s[44:45], s[8:9]
	v_pk_mov_b32 v[18:19], s[42:43], s[42:43] op_sel:[0,1]
	s_andn2_b64 exec, exec, s[8:9]
	s_cbranch_execz .LBB1435_52
.LBB1435_50:                            ; =>This Inner Loop Header: Depth=1
	s_or_b64 s[40:41], s[40:41], exec
	s_cmp_eq_u64 s[2:3], s[42:43]
	s_cbranch_scc0 .LBB1435_48
; %bb.51:                               ;   in Loop: Header=BB1435_50 Depth=1
                                        ; implicit-def: $vgpr14_vgpr15
                                        ; implicit-def: $vgpr16_vgpr17
	s_mov_b64 s[42:43], s[26:27]
	s_branch .LBB1435_49
.LBB1435_52:
	s_or_b64 exec, exec, s[8:9]
	v_cmp_gt_i64_e32 vcc, s[26:27], v[18:19]
	s_orn2_b64 s[40:41], vcc, exec
.LBB1435_53:
	s_or_b64 exec, exec, s[38:39]
.LBB1435_54:
	v_cmp_ne_u32_e32 vcc, 0, v0
	s_waitcnt lgkmcnt(0)
	v_pk_mov_b32 v[14:15], s[12:13], s[12:13] op_sel:[0,1]
	s_barrier
	s_and_saveexec_b64 s[2:3], vcc
	s_cbranch_execz .LBB1435_56
; %bb.55:
	v_add_u32_e32 v14, -8, v21
	ds_read_b64 v[14:15], v14
.LBB1435_56:
	s_or_b64 exec, exec, s[2:3]
	v_cndmask_b32_e64 v17, 0, 1, s[36:37]
	v_cndmask_b32_e64 v16, 0, 1, s[18:19]
	;; [unrolled: 1-line block ×3, first 2 shown]
	v_lshlrev_b16_e32 v17, 8, v17
	v_lshlrev_b16_e32 v26, 8, v18
	v_or_b32_sdwa v27, v16, v17 dst_sel:WORD_1 dst_unused:UNUSED_PAD src0_sel:DWORD src1_sel:DWORD
	s_mov_b64 s[36:37], 0
	s_and_b64 vcc, exec, s[0:1]
	s_mov_b64 s[18:19], 0
	s_cbranch_vccnz .LBB1435_65
; %bb.57:
	s_waitcnt lgkmcnt(0)
	v_mul_lo_u32 v16, v15, s26
	v_mul_lo_u32 v17, v14, s27
	v_mad_u64_u32 v[14:15], s[2:3], v14, s26, 0
	v_add3_u32 v15, v15, v17, v16
	v_lshlrev_b64 v[14:15], 1, v[14:15]
	v_mov_b32_e32 v17, s29
	v_add_co_u32_e32 v16, vcc, s28, v14
	v_addc_co_u32_e64 v17, s[2:3], v17, v15, vcc
	v_mov_b32_e32 v14, s29
	v_add_co_u32_e64 v18, s[2:3], s28, v12
	v_addc_co_u32_e64 v19, s[8:9], v14, v13, s[2:3]
	global_load_ushort v12, v[16:17], off
	global_load_ushort v14, v[18:19], off
	s_mov_b64 s[18:19], -1
	s_waitcnt vmcnt(0)
	v_cmp_eq_u16_e64 s[8:9], v12, v14
	s_and_saveexec_b64 s[38:39], s[8:9]
	s_cbranch_execz .LBB1435_64
; %bb.58:
	v_mov_b32_e32 v12, s29
	v_addc_co_u32_e64 v13, s[2:3], v13, v12, s[2:3]
	v_add_co_u32_e64 v12, s[2:3], 2, v18
	v_mov_b32_e32 v14, s29
	v_addc_co_u32_e64 v13, s[2:3], 0, v13, s[2:3]
	v_addc_co_u32_e32 v15, vcc, v15, v14, vcc
	v_add_co_u32_e32 v14, vcc, 2, v16
	s_add_u32 s2, s26, -1
	v_addc_co_u32_e32 v15, vcc, 0, v15, vcc
	s_addc_u32 s3, s27, -1
	s_mov_b64 s[8:9], 0
	s_mov_b64 s[40:41], 0
                                        ; implicit-def: $sgpr18_sgpr19
	s_branch .LBB1435_61
.LBB1435_59:                            ;   in Loop: Header=BB1435_61 Depth=1
	global_load_ushort v16, v[14:15], off
	global_load_ushort v17, v[12:13], off
	v_add_co_u32_e32 v12, vcc, 2, v12
	v_addc_co_u32_e32 v13, vcc, 0, v13, vcc
	v_add_co_u32_e32 v14, vcc, 2, v14
	v_addc_co_u32_e32 v15, vcc, 0, v15, vcc
	s_add_u32 s40, s40, 1
	s_addc_u32 s41, s41, 0
	s_andn2_b64 s[18:19], s[18:19], exec
	s_waitcnt vmcnt(0)
	v_cmp_ne_u16_e32 vcc, v16, v17
	s_and_b64 s[42:43], vcc, exec
	s_or_b64 s[18:19], s[18:19], s[42:43]
.LBB1435_60:                            ;   in Loop: Header=BB1435_61 Depth=1
	s_and_b64 s[42:43], exec, s[18:19]
	s_or_b64 s[8:9], s[42:43], s[8:9]
	v_pk_mov_b32 v[16:17], s[40:41], s[40:41] op_sel:[0,1]
	s_andn2_b64 exec, exec, s[8:9]
	s_cbranch_execz .LBB1435_63
.LBB1435_61:                            ; =>This Inner Loop Header: Depth=1
	s_or_b64 s[18:19], s[18:19], exec
	s_cmp_eq_u64 s[2:3], s[40:41]
	s_cbranch_scc0 .LBB1435_59
; %bb.62:                               ;   in Loop: Header=BB1435_61 Depth=1
                                        ; implicit-def: $vgpr12_vgpr13
                                        ; implicit-def: $vgpr14_vgpr15
	s_mov_b64 s[40:41], s[26:27]
	s_branch .LBB1435_60
.LBB1435_63:
	s_or_b64 exec, exec, s[8:9]
	v_cmp_gt_i64_e32 vcc, s[26:27], v[16:17]
	s_orn2_b64 s[18:19], vcc, exec
.LBB1435_64:
	s_or_b64 exec, exec, s[38:39]
.LBB1435_65:
	v_cndmask_b32_e64 v13, 0, 1, s[14:15]
	v_or_b32_e32 v16, v26, v27
	s_and_b64 vcc, exec, s[36:37]
	s_cbranch_vccz .LBB1435_124
.LBB1435_66:
	v_cmp_gt_u32_e32 vcc, s7, v23
	s_mov_b64 s[18:19], 0
	s_mov_b64 s[14:15], 0
	s_and_saveexec_b64 s[36:37], vcc
	s_cbranch_execz .LBB1435_77
; %bb.67:
	s_and_b64 vcc, exec, s[0:1]
	s_mov_b64 s[38:39], 0
	s_cbranch_vccnz .LBB1435_76
; %bb.68:
	s_waitcnt lgkmcnt(0)
	v_mul_lo_u32 v14, v5, s26
	v_mul_lo_u32 v15, v4, s27
	v_mad_u64_u32 v[12:13], s[2:3], v4, s26, 0
	v_add3_u32 v13, v13, v15, v14
	v_mul_lo_u32 v14, v11, s26
	v_mul_lo_u32 v15, v10, s27
	v_mad_u64_u32 v[18:19], s[2:3], v10, s26, 0
	v_add3_u32 v19, v19, v15, v14
	v_lshlrev_b64 v[14:15], 1, v[12:13]
	v_mov_b32_e32 v12, s29
	v_add_co_u32_e32 v16, vcc, s28, v14
	v_addc_co_u32_e64 v17, s[2:3], v12, v15, vcc
	v_lshlrev_b64 v[12:13], 1, v[18:19]
	v_mov_b32_e32 v14, s29
	v_add_co_u32_e64 v18, s[2:3], s28, v12
	v_addc_co_u32_e64 v19, s[8:9], v14, v13, s[2:3]
	global_load_ushort v12, v[16:17], off
	global_load_ushort v14, v[18:19], off
	s_mov_b64 s[38:39], -1
	s_waitcnt vmcnt(0)
	v_cmp_eq_u16_e64 s[8:9], v12, v14
	s_and_saveexec_b64 s[14:15], s[8:9]
	s_cbranch_execz .LBB1435_75
; %bb.69:
	v_mov_b32_e32 v12, s29
	v_addc_co_u32_e64 v13, s[2:3], v13, v12, s[2:3]
	v_add_co_u32_e64 v12, s[2:3], 2, v18
	v_mov_b32_e32 v14, s29
	v_addc_co_u32_e64 v13, s[2:3], 0, v13, s[2:3]
	v_addc_co_u32_e32 v15, vcc, v15, v14, vcc
	v_add_co_u32_e32 v14, vcc, 2, v16
	s_add_u32 s2, s26, -1
	v_addc_co_u32_e32 v15, vcc, 0, v15, vcc
	s_addc_u32 s3, s27, -1
	s_mov_b64 s[8:9], 0
	s_mov_b64 s[40:41], 0
                                        ; implicit-def: $sgpr38_sgpr39
	s_branch .LBB1435_72
.LBB1435_70:                            ;   in Loop: Header=BB1435_72 Depth=1
	global_load_ushort v16, v[14:15], off
	global_load_ushort v17, v[12:13], off
	v_add_co_u32_e32 v12, vcc, 2, v12
	v_addc_co_u32_e32 v13, vcc, 0, v13, vcc
	v_add_co_u32_e32 v14, vcc, 2, v14
	v_addc_co_u32_e32 v15, vcc, 0, v15, vcc
	s_add_u32 s40, s40, 1
	s_addc_u32 s41, s41, 0
	s_andn2_b64 s[38:39], s[38:39], exec
	s_waitcnt vmcnt(0)
	v_cmp_ne_u16_e32 vcc, v16, v17
	s_and_b64 s[42:43], vcc, exec
	s_or_b64 s[38:39], s[38:39], s[42:43]
.LBB1435_71:                            ;   in Loop: Header=BB1435_72 Depth=1
	s_and_b64 s[42:43], exec, s[38:39]
	s_or_b64 s[8:9], s[42:43], s[8:9]
	v_pk_mov_b32 v[16:17], s[40:41], s[40:41] op_sel:[0,1]
	s_andn2_b64 exec, exec, s[8:9]
	s_cbranch_execz .LBB1435_74
.LBB1435_72:                            ; =>This Inner Loop Header: Depth=1
	s_or_b64 s[38:39], s[38:39], exec
	s_cmp_eq_u64 s[2:3], s[40:41]
	s_cbranch_scc0 .LBB1435_70
; %bb.73:                               ;   in Loop: Header=BB1435_72 Depth=1
                                        ; implicit-def: $vgpr12_vgpr13
                                        ; implicit-def: $vgpr14_vgpr15
	s_mov_b64 s[40:41], s[26:27]
	s_branch .LBB1435_71
.LBB1435_74:
	s_or_b64 exec, exec, s[8:9]
	v_cmp_gt_i64_e32 vcc, s[26:27], v[16:17]
	s_orn2_b64 s[38:39], vcc, exec
.LBB1435_75:
	s_or_b64 exec, exec, s[14:15]
.LBB1435_76:
	s_and_b64 s[14:15], s[38:39], exec
.LBB1435_77:
	s_or_b64 exec, exec, s[36:37]
	v_cmp_gt_u32_e32 vcc, s7, v25
	s_and_saveexec_b64 s[36:37], vcc
	s_cbranch_execz .LBB1435_88
; %bb.78:
	s_and_b64 vcc, exec, s[0:1]
	s_mov_b64 s[38:39], 0
	s_cbranch_vccnz .LBB1435_87
; %bb.79:
	s_waitcnt lgkmcnt(0)
	v_mul_lo_u32 v14, v3, s26
	v_mul_lo_u32 v15, v2, s27
	v_mad_u64_u32 v[12:13], s[2:3], v2, s26, 0
	v_add3_u32 v13, v13, v15, v14
	v_mul_lo_u32 v14, v5, s26
	v_mul_lo_u32 v15, v4, s27
	v_mad_u64_u32 v[18:19], s[2:3], v4, s26, 0
	v_add3_u32 v19, v19, v15, v14
	v_lshlrev_b64 v[14:15], 1, v[12:13]
	v_mov_b32_e32 v12, s29
	v_add_co_u32_e32 v16, vcc, s28, v14
	v_addc_co_u32_e64 v17, s[2:3], v12, v15, vcc
	v_lshlrev_b64 v[12:13], 1, v[18:19]
	v_mov_b32_e32 v14, s29
	v_add_co_u32_e64 v18, s[2:3], s28, v12
	v_addc_co_u32_e64 v19, s[8:9], v14, v13, s[2:3]
	global_load_ushort v12, v[16:17], off
	global_load_ushort v14, v[18:19], off
	s_mov_b64 s[38:39], -1
	s_waitcnt vmcnt(0)
	v_cmp_eq_u16_e64 s[8:9], v12, v14
	s_and_saveexec_b64 s[18:19], s[8:9]
	s_cbranch_execz .LBB1435_86
; %bb.80:
	v_mov_b32_e32 v12, s29
	v_addc_co_u32_e64 v13, s[2:3], v13, v12, s[2:3]
	v_add_co_u32_e64 v12, s[2:3], 2, v18
	v_mov_b32_e32 v14, s29
	v_addc_co_u32_e64 v13, s[2:3], 0, v13, s[2:3]
	v_addc_co_u32_e32 v15, vcc, v15, v14, vcc
	v_add_co_u32_e32 v14, vcc, 2, v16
	s_add_u32 s2, s26, -1
	v_addc_co_u32_e32 v15, vcc, 0, v15, vcc
	s_addc_u32 s3, s27, -1
	s_mov_b64 s[8:9], 0
	s_mov_b64 s[40:41], 0
                                        ; implicit-def: $sgpr38_sgpr39
	s_branch .LBB1435_83
.LBB1435_81:                            ;   in Loop: Header=BB1435_83 Depth=1
	global_load_ushort v16, v[14:15], off
	global_load_ushort v17, v[12:13], off
	v_add_co_u32_e32 v12, vcc, 2, v12
	v_addc_co_u32_e32 v13, vcc, 0, v13, vcc
	v_add_co_u32_e32 v14, vcc, 2, v14
	v_addc_co_u32_e32 v15, vcc, 0, v15, vcc
	s_add_u32 s40, s40, 1
	s_addc_u32 s41, s41, 0
	s_andn2_b64 s[38:39], s[38:39], exec
	s_waitcnt vmcnt(0)
	v_cmp_ne_u16_e32 vcc, v16, v17
	s_and_b64 s[42:43], vcc, exec
	s_or_b64 s[38:39], s[38:39], s[42:43]
.LBB1435_82:                            ;   in Loop: Header=BB1435_83 Depth=1
	s_and_b64 s[42:43], exec, s[38:39]
	s_or_b64 s[8:9], s[42:43], s[8:9]
	v_pk_mov_b32 v[16:17], s[40:41], s[40:41] op_sel:[0,1]
	s_andn2_b64 exec, exec, s[8:9]
	s_cbranch_execz .LBB1435_85
.LBB1435_83:                            ; =>This Inner Loop Header: Depth=1
	s_or_b64 s[38:39], s[38:39], exec
	s_cmp_eq_u64 s[2:3], s[40:41]
	s_cbranch_scc0 .LBB1435_81
; %bb.84:                               ;   in Loop: Header=BB1435_83 Depth=1
                                        ; implicit-def: $vgpr12_vgpr13
                                        ; implicit-def: $vgpr14_vgpr15
	s_mov_b64 s[40:41], s[26:27]
	s_branch .LBB1435_82
.LBB1435_85:
	s_or_b64 exec, exec, s[8:9]
	v_cmp_gt_i64_e32 vcc, s[26:27], v[16:17]
	s_orn2_b64 s[38:39], vcc, exec
.LBB1435_86:
	s_or_b64 exec, exec, s[18:19]
.LBB1435_87:
	s_and_b64 s[18:19], s[38:39], exec
.LBB1435_88:
	s_or_b64 exec, exec, s[36:37]
	v_cmp_gt_u32_e32 vcc, s7, v22
	s_mov_b64 s[36:37], 0
	s_mov_b64 s[38:39], 0
	s_and_saveexec_b64 s[40:41], vcc
	s_cbranch_execz .LBB1435_99
; %bb.89:
	s_and_b64 vcc, exec, s[0:1]
	s_mov_b64 s[42:43], 0
	s_cbranch_vccnz .LBB1435_98
; %bb.90:
	s_waitcnt lgkmcnt(0)
	v_mul_lo_u32 v14, v9, s26
	v_mul_lo_u32 v15, v8, s27
	v_mad_u64_u32 v[12:13], s[2:3], v8, s26, 0
	v_add3_u32 v13, v13, v15, v14
	v_mul_lo_u32 v14, v3, s26
	v_mul_lo_u32 v15, v2, s27
	v_mad_u64_u32 v[18:19], s[2:3], v2, s26, 0
	v_add3_u32 v19, v19, v15, v14
	v_lshlrev_b64 v[14:15], 1, v[12:13]
	v_mov_b32_e32 v12, s29
	v_add_co_u32_e32 v16, vcc, s28, v14
	v_addc_co_u32_e64 v17, s[2:3], v12, v15, vcc
	v_lshlrev_b64 v[12:13], 1, v[18:19]
	v_mov_b32_e32 v14, s29
	v_add_co_u32_e64 v18, s[2:3], s28, v12
	v_addc_co_u32_e64 v19, s[8:9], v14, v13, s[2:3]
	global_load_ushort v12, v[16:17], off
	global_load_ushort v14, v[18:19], off
	s_mov_b64 s[42:43], -1
	s_waitcnt vmcnt(0)
	v_cmp_eq_u16_e64 s[8:9], v12, v14
	s_and_saveexec_b64 s[38:39], s[8:9]
	s_cbranch_execz .LBB1435_97
; %bb.91:
	v_mov_b32_e32 v12, s29
	v_addc_co_u32_e64 v13, s[2:3], v13, v12, s[2:3]
	v_add_co_u32_e64 v12, s[2:3], 2, v18
	v_mov_b32_e32 v14, s29
	v_addc_co_u32_e64 v13, s[2:3], 0, v13, s[2:3]
	v_addc_co_u32_e32 v15, vcc, v15, v14, vcc
	v_add_co_u32_e32 v14, vcc, 2, v16
	s_add_u32 s2, s26, -1
	v_addc_co_u32_e32 v15, vcc, 0, v15, vcc
	s_addc_u32 s3, s27, -1
	s_mov_b64 s[8:9], 0
	s_mov_b64 s[44:45], 0
                                        ; implicit-def: $sgpr42_sgpr43
	s_branch .LBB1435_94
.LBB1435_92:                            ;   in Loop: Header=BB1435_94 Depth=1
	global_load_ushort v16, v[14:15], off
	global_load_ushort v17, v[12:13], off
	v_add_co_u32_e32 v12, vcc, 2, v12
	v_addc_co_u32_e32 v13, vcc, 0, v13, vcc
	v_add_co_u32_e32 v14, vcc, 2, v14
	v_addc_co_u32_e32 v15, vcc, 0, v15, vcc
	s_add_u32 s44, s44, 1
	s_addc_u32 s45, s45, 0
	s_andn2_b64 s[42:43], s[42:43], exec
	s_waitcnt vmcnt(0)
	v_cmp_ne_u16_e32 vcc, v16, v17
	s_and_b64 s[46:47], vcc, exec
	s_or_b64 s[42:43], s[42:43], s[46:47]
.LBB1435_93:                            ;   in Loop: Header=BB1435_94 Depth=1
	s_and_b64 s[46:47], exec, s[42:43]
	s_or_b64 s[8:9], s[46:47], s[8:9]
	v_pk_mov_b32 v[16:17], s[44:45], s[44:45] op_sel:[0,1]
	s_andn2_b64 exec, exec, s[8:9]
	s_cbranch_execz .LBB1435_96
.LBB1435_94:                            ; =>This Inner Loop Header: Depth=1
	s_or_b64 s[42:43], s[42:43], exec
	s_cmp_eq_u64 s[2:3], s[44:45]
	s_cbranch_scc0 .LBB1435_92
; %bb.95:                               ;   in Loop: Header=BB1435_94 Depth=1
                                        ; implicit-def: $vgpr12_vgpr13
                                        ; implicit-def: $vgpr14_vgpr15
	s_mov_b64 s[44:45], s[26:27]
	s_branch .LBB1435_93
.LBB1435_96:
	s_or_b64 exec, exec, s[8:9]
	v_cmp_gt_i64_e32 vcc, s[26:27], v[16:17]
	s_orn2_b64 s[42:43], vcc, exec
.LBB1435_97:
	s_or_b64 exec, exec, s[38:39]
.LBB1435_98:
	s_and_b64 s[38:39], s[42:43], exec
.LBB1435_99:
	s_or_b64 exec, exec, s[40:41]
	v_cmp_gt_u32_e32 vcc, s7, v24
	s_and_saveexec_b64 s[40:41], vcc
	s_cbranch_execz .LBB1435_110
; %bb.100:
	s_and_b64 vcc, exec, s[0:1]
	s_mov_b64 s[42:43], 0
	s_cbranch_vccnz .LBB1435_109
; %bb.101:
	s_waitcnt lgkmcnt(0)
	v_mul_lo_u32 v14, v7, s26
	v_mul_lo_u32 v15, v6, s27
	v_mad_u64_u32 v[12:13], s[2:3], v6, s26, 0
	v_add3_u32 v13, v13, v15, v14
	v_mul_lo_u32 v14, v9, s26
	v_mul_lo_u32 v15, v8, s27
	v_mad_u64_u32 v[18:19], s[2:3], v8, s26, 0
	v_add3_u32 v19, v19, v15, v14
	v_lshlrev_b64 v[14:15], 1, v[12:13]
	v_mov_b32_e32 v12, s29
	v_add_co_u32_e32 v16, vcc, s28, v14
	v_addc_co_u32_e64 v17, s[2:3], v12, v15, vcc
	v_lshlrev_b64 v[12:13], 1, v[18:19]
	v_mov_b32_e32 v14, s29
	v_add_co_u32_e64 v18, s[2:3], s28, v12
	v_addc_co_u32_e64 v19, s[8:9], v14, v13, s[2:3]
	global_load_ushort v12, v[16:17], off
	global_load_ushort v14, v[18:19], off
	s_mov_b64 s[42:43], -1
	s_waitcnt vmcnt(0)
	v_cmp_eq_u16_e64 s[8:9], v12, v14
	s_and_saveexec_b64 s[36:37], s[8:9]
	s_cbranch_execz .LBB1435_108
; %bb.102:
	v_mov_b32_e32 v12, s29
	v_addc_co_u32_e64 v13, s[2:3], v13, v12, s[2:3]
	v_add_co_u32_e64 v12, s[2:3], 2, v18
	v_mov_b32_e32 v14, s29
	v_addc_co_u32_e64 v13, s[2:3], 0, v13, s[2:3]
	v_addc_co_u32_e32 v15, vcc, v15, v14, vcc
	v_add_co_u32_e32 v14, vcc, 2, v16
	s_add_u32 s2, s26, -1
	v_addc_co_u32_e32 v15, vcc, 0, v15, vcc
	s_addc_u32 s3, s27, -1
	s_mov_b64 s[8:9], 0
	s_mov_b64 s[44:45], 0
                                        ; implicit-def: $sgpr42_sgpr43
	s_branch .LBB1435_105
.LBB1435_103:                           ;   in Loop: Header=BB1435_105 Depth=1
	global_load_ushort v16, v[14:15], off
	global_load_ushort v17, v[12:13], off
	v_add_co_u32_e32 v12, vcc, 2, v12
	v_addc_co_u32_e32 v13, vcc, 0, v13, vcc
	v_add_co_u32_e32 v14, vcc, 2, v14
	v_addc_co_u32_e32 v15, vcc, 0, v15, vcc
	s_add_u32 s44, s44, 1
	s_addc_u32 s45, s45, 0
	s_andn2_b64 s[42:43], s[42:43], exec
	s_waitcnt vmcnt(0)
	v_cmp_ne_u16_e32 vcc, v16, v17
	s_and_b64 s[46:47], vcc, exec
	s_or_b64 s[42:43], s[42:43], s[46:47]
.LBB1435_104:                           ;   in Loop: Header=BB1435_105 Depth=1
	s_and_b64 s[46:47], exec, s[42:43]
	s_or_b64 s[8:9], s[46:47], s[8:9]
	v_pk_mov_b32 v[16:17], s[44:45], s[44:45] op_sel:[0,1]
	s_andn2_b64 exec, exec, s[8:9]
	s_cbranch_execz .LBB1435_107
.LBB1435_105:                           ; =>This Inner Loop Header: Depth=1
	s_or_b64 s[42:43], s[42:43], exec
	s_cmp_eq_u64 s[2:3], s[44:45]
	s_cbranch_scc0 .LBB1435_103
; %bb.106:                              ;   in Loop: Header=BB1435_105 Depth=1
                                        ; implicit-def: $vgpr12_vgpr13
                                        ; implicit-def: $vgpr14_vgpr15
	s_mov_b64 s[44:45], s[26:27]
	s_branch .LBB1435_104
.LBB1435_107:
	s_or_b64 exec, exec, s[8:9]
	v_cmp_gt_i64_e32 vcc, s[26:27], v[16:17]
	s_orn2_b64 s[42:43], vcc, exec
.LBB1435_108:
	s_or_b64 exec, exec, s[36:37]
.LBB1435_109:
	s_and_b64 s[36:37], s[42:43], exec
.LBB1435_110:
	s_or_b64 exec, exec, s[40:41]
	v_cmp_ne_u32_e32 vcc, 0, v0
	s_waitcnt lgkmcnt(0)
	v_pk_mov_b32 v[12:13], s[12:13], s[12:13] op_sel:[0,1]
	s_barrier
	s_and_saveexec_b64 s[2:3], vcc
	s_cbranch_execz .LBB1435_112
; %bb.111:
	v_add_u32_e32 v12, -8, v21
	ds_read_b64 v[12:13], v12
.LBB1435_112:
	s_or_b64 exec, exec, s[2:3]
	v_cndmask_b32_e64 v15, 0, 1, s[18:19]
	v_cndmask_b32_e64 v14, 0, 1, s[38:39]
	;; [unrolled: 1-line block ×3, first 2 shown]
	v_lshlrev_b16_e32 v15, 8, v15
	v_cmp_gt_u32_e32 vcc, s7, v1
	v_lshlrev_b16_e32 v21, 8, v16
	v_or_b32_sdwa v26, v14, v15 dst_sel:WORD_1 dst_unused:UNUSED_PAD src0_sel:DWORD src1_sel:DWORD
	s_mov_b64 s[18:19], 0
	s_and_saveexec_b64 s[8:9], vcc
	s_cbranch_execz .LBB1435_123
; %bb.113:
	s_and_b64 vcc, exec, s[0:1]
	s_cbranch_vccnz .LBB1435_122
; %bb.114:
	s_waitcnt lgkmcnt(0)
	v_mul_lo_u32 v14, v13, s26
	v_mul_lo_u32 v15, v12, s27
	v_mad_u64_u32 v[12:13], s[0:1], v12, s26, 0
	v_add3_u32 v13, v13, v15, v14
	v_mul_lo_u32 v14, v7, s26
	v_mul_lo_u32 v15, v6, s27
	v_mad_u64_u32 v[18:19], s[0:1], v6, s26, 0
	v_add3_u32 v19, v19, v15, v14
	v_lshlrev_b64 v[14:15], 1, v[12:13]
	v_mov_b32_e32 v12, s29
	v_add_co_u32_e32 v16, vcc, s28, v14
	v_addc_co_u32_e64 v17, s[0:1], v12, v15, vcc
	v_lshlrev_b64 v[12:13], 1, v[18:19]
	v_mov_b32_e32 v14, s29
	v_add_co_u32_e64 v18, s[0:1], s28, v12
	v_addc_co_u32_e64 v19, s[2:3], v14, v13, s[0:1]
	global_load_ushort v12, v[16:17], off
	global_load_ushort v14, v[18:19], off
	s_mov_b64 s[18:19], -1
	s_waitcnt vmcnt(0)
	v_cmp_eq_u16_e64 s[2:3], v12, v14
	s_and_saveexec_b64 s[12:13], s[2:3]
	s_cbranch_execz .LBB1435_121
; %bb.115:
	v_mov_b32_e32 v12, s29
	v_addc_co_u32_e64 v13, s[0:1], v13, v12, s[0:1]
	v_add_co_u32_e64 v12, s[0:1], 2, v18
	v_mov_b32_e32 v14, s29
	v_addc_co_u32_e64 v13, s[0:1], 0, v13, s[0:1]
	v_addc_co_u32_e32 v15, vcc, v15, v14, vcc
	v_add_co_u32_e32 v14, vcc, 2, v16
	s_add_u32 s0, s26, -1
	v_addc_co_u32_e32 v15, vcc, 0, v15, vcc
	s_addc_u32 s1, s27, -1
	s_mov_b64 s[2:3], 0
	s_mov_b64 s[36:37], 0
                                        ; implicit-def: $sgpr18_sgpr19
	s_branch .LBB1435_118
.LBB1435_116:                           ;   in Loop: Header=BB1435_118 Depth=1
	global_load_ushort v16, v[14:15], off
	global_load_ushort v17, v[12:13], off
	v_add_co_u32_e32 v12, vcc, 2, v12
	v_addc_co_u32_e32 v13, vcc, 0, v13, vcc
	v_add_co_u32_e32 v14, vcc, 2, v14
	v_addc_co_u32_e32 v15, vcc, 0, v15, vcc
	s_add_u32 s36, s36, 1
	s_addc_u32 s37, s37, 0
	s_andn2_b64 s[18:19], s[18:19], exec
	s_waitcnt vmcnt(0)
	v_cmp_ne_u16_e32 vcc, v16, v17
	s_and_b64 s[38:39], vcc, exec
	s_or_b64 s[18:19], s[18:19], s[38:39]
.LBB1435_117:                           ;   in Loop: Header=BB1435_118 Depth=1
	s_and_b64 s[38:39], exec, s[18:19]
	s_or_b64 s[2:3], s[38:39], s[2:3]
	v_pk_mov_b32 v[16:17], s[36:37], s[36:37] op_sel:[0,1]
	s_andn2_b64 exec, exec, s[2:3]
	s_cbranch_execz .LBB1435_120
.LBB1435_118:                           ; =>This Inner Loop Header: Depth=1
	s_or_b64 s[18:19], s[18:19], exec
	s_cmp_eq_u64 s[0:1], s[36:37]
	s_cbranch_scc0 .LBB1435_116
; %bb.119:                              ;   in Loop: Header=BB1435_118 Depth=1
                                        ; implicit-def: $vgpr12_vgpr13
                                        ; implicit-def: $vgpr14_vgpr15
	s_mov_b64 s[36:37], s[26:27]
	s_branch .LBB1435_117
.LBB1435_120:
	s_or_b64 exec, exec, s[2:3]
	v_cmp_gt_i64_e32 vcc, s[26:27], v[16:17]
	s_orn2_b64 s[18:19], vcc, exec
.LBB1435_121:
	s_or_b64 exec, exec, s[12:13]
.LBB1435_122:
	s_and_b64 s[18:19], s[18:19], exec
.LBB1435_123:
	s_or_b64 exec, exec, s[8:9]
	s_waitcnt lgkmcnt(0)
	v_cndmask_b32_e64 v13, 0, 1, s[14:15]
	v_or_b32_e32 v16, v21, v26
.LBB1435_124:
	s_waitcnt lgkmcnt(0)
	s_mov_b64 s[12:13], -1
	s_cbranch_execnz .LBB1435_233
.LBB1435_125:
	v_lshlrev_b32_e32 v12, 5, v0
	v_sub_u32_e32 v26, v20, v12
	s_mov_b64 s[18:19], 0
	v_cmp_gt_i64_e64 s[14:15], s[26:27], 0
	s_and_b64 vcc, exec, s[34:35]
	ds_write_b64 v26, v[10:11]
	s_cbranch_vccz .LBB1435_133
; %bb.126:
	v_mul_lo_u32 v14, v5, s26
	v_mul_lo_u32 v15, v4, s27
	v_mad_u64_u32 v[12:13], s[0:1], v4, s26, 0
	v_add3_u32 v13, v13, v15, v14
	v_cndmask_b32_e64 v14, 0, 1, s[14:15]
	v_cmp_ne_u32_e64 s[0:1], 1, v14
	s_andn2_b64 vcc, exec, s[14:15]
	v_lshlrev_b64 v[12:13], 1, v[12:13]
	s_cbranch_vccnz .LBB1435_136
; %bb.127:
	v_mul_lo_u32 v16, v11, s26
	v_mul_lo_u32 v17, v10, s27
	v_mad_u64_u32 v[14:15], s[2:3], v10, s26, 0
	v_add3_u32 v15, v15, v17, v16
	v_mov_b32_e32 v17, s29
	v_add_co_u32_e32 v16, vcc, s28, v12
	v_addc_co_u32_e64 v17, s[2:3], v17, v13, vcc
	v_lshlrev_b64 v[14:15], 1, v[14:15]
	v_mov_b32_e32 v19, s29
	v_add_co_u32_e64 v18, s[2:3], s28, v14
	v_addc_co_u32_e64 v19, s[8:9], v19, v15, s[2:3]
	global_load_ushort v14, v[16:17], off
	global_load_ushort v20, v[18:19], off
	s_mov_b64 s[18:19], -1
	s_waitcnt vmcnt(0)
	v_cmp_eq_u16_e64 s[8:9], v14, v20
	s_and_saveexec_b64 s[36:37], s[8:9]
	s_cbranch_execz .LBB1435_135
; %bb.128:
	v_mov_b32_e32 v14, s29
	v_addc_co_u32_e64 v15, s[2:3], v15, v14, s[2:3]
	v_add_co_u32_e64 v14, s[2:3], 2, v18
	v_mov_b32_e32 v17, s29
	v_addc_co_u32_e64 v15, s[2:3], 0, v15, s[2:3]
	v_addc_co_u32_e32 v17, vcc, v13, v17, vcc
	v_add_co_u32_e32 v16, vcc, 2, v16
	s_add_u32 s2, s26, -1
	v_addc_co_u32_e32 v17, vcc, 0, v17, vcc
	s_addc_u32 s3, s27, -1
	s_mov_b64 s[8:9], 0
	s_mov_b64 s[38:39], 0
                                        ; implicit-def: $sgpr18_sgpr19
	s_branch .LBB1435_131
.LBB1435_129:                           ;   in Loop: Header=BB1435_131 Depth=1
	global_load_ushort v18, v[16:17], off
	global_load_ushort v19, v[14:15], off
	v_add_co_u32_e32 v14, vcc, 2, v14
	v_addc_co_u32_e32 v15, vcc, 0, v15, vcc
	v_add_co_u32_e32 v16, vcc, 2, v16
	v_addc_co_u32_e32 v17, vcc, 0, v17, vcc
	s_add_u32 s38, s38, 1
	s_addc_u32 s39, s39, 0
	s_andn2_b64 s[18:19], s[18:19], exec
	s_waitcnt vmcnt(0)
	v_cmp_ne_u16_e32 vcc, v18, v19
	s_and_b64 s[40:41], vcc, exec
	s_or_b64 s[18:19], s[18:19], s[40:41]
.LBB1435_130:                           ;   in Loop: Header=BB1435_131 Depth=1
	s_and_b64 s[40:41], exec, s[18:19]
	s_or_b64 s[8:9], s[40:41], s[8:9]
	v_pk_mov_b32 v[18:19], s[38:39], s[38:39] op_sel:[0,1]
	s_andn2_b64 exec, exec, s[8:9]
	s_cbranch_execz .LBB1435_134
.LBB1435_131:                           ; =>This Inner Loop Header: Depth=1
	s_or_b64 s[18:19], s[18:19], exec
	s_cmp_eq_u64 s[2:3], s[38:39]
	s_cbranch_scc0 .LBB1435_129
; %bb.132:                              ;   in Loop: Header=BB1435_131 Depth=1
                                        ; implicit-def: $vgpr14_vgpr15
                                        ; implicit-def: $vgpr16_vgpr17
	s_mov_b64 s[38:39], s[26:27]
	s_branch .LBB1435_130
.LBB1435_133:
                                        ; implicit-def: $sgpr18_sgpr19
                                        ; implicit-def: $vgpr13
                                        ; implicit-def: $vgpr16
	s_cbranch_execnz .LBB1435_175
	s_branch .LBB1435_233
.LBB1435_134:
	s_or_b64 exec, exec, s[8:9]
	v_cmp_gt_i64_e32 vcc, s[26:27], v[18:19]
	s_orn2_b64 s[18:19], vcc, exec
.LBB1435_135:
	s_or_b64 exec, exec, s[36:37]
.LBB1435_136:
	v_mul_lo_u32 v16, v3, s26
	v_mul_lo_u32 v17, v2, s27
	v_mad_u64_u32 v[14:15], s[2:3], v2, s26, 0
	v_add3_u32 v15, v15, v17, v16
	s_mov_b64 s[36:37], 0
	s_and_b64 vcc, exec, s[0:1]
	v_lshlrev_b64 v[14:15], 1, v[14:15]
	s_mov_b64 s[38:39], 0
	s_cbranch_vccnz .LBB1435_145
; %bb.137:
	v_mov_b32_e32 v17, s29
	v_add_co_u32_e32 v16, vcc, s28, v14
	v_addc_co_u32_e64 v17, s[2:3], v17, v15, vcc
	v_mov_b32_e32 v19, s29
	v_add_co_u32_e64 v18, s[2:3], s28, v12
	v_addc_co_u32_e64 v19, s[8:9], v19, v13, s[2:3]
	global_load_ushort v12, v[16:17], off
	global_load_ushort v20, v[18:19], off
	s_mov_b64 s[38:39], -1
	s_waitcnt vmcnt(0)
	v_cmp_eq_u16_e64 s[8:9], v12, v20
	s_and_saveexec_b64 s[40:41], s[8:9]
	s_cbranch_execz .LBB1435_144
; %bb.138:
	v_mov_b32_e32 v12, s29
	v_addc_co_u32_e64 v13, s[2:3], v13, v12, s[2:3]
	v_add_co_u32_e64 v12, s[2:3], 2, v18
	v_mov_b32_e32 v17, s29
	v_addc_co_u32_e64 v13, s[2:3], 0, v13, s[2:3]
	v_addc_co_u32_e32 v17, vcc, v15, v17, vcc
	v_add_co_u32_e32 v16, vcc, 2, v16
	s_add_u32 s2, s26, -1
	v_addc_co_u32_e32 v17, vcc, 0, v17, vcc
	s_addc_u32 s3, s27, -1
	s_mov_b64 s[8:9], 0
	s_mov_b64 s[42:43], 0
                                        ; implicit-def: $sgpr38_sgpr39
	s_branch .LBB1435_141
.LBB1435_139:                           ;   in Loop: Header=BB1435_141 Depth=1
	global_load_ushort v18, v[16:17], off
	global_load_ushort v19, v[12:13], off
	v_add_co_u32_e32 v12, vcc, 2, v12
	v_addc_co_u32_e32 v13, vcc, 0, v13, vcc
	v_add_co_u32_e32 v16, vcc, 2, v16
	v_addc_co_u32_e32 v17, vcc, 0, v17, vcc
	s_add_u32 s42, s42, 1
	s_addc_u32 s43, s43, 0
	s_andn2_b64 s[38:39], s[38:39], exec
	s_waitcnt vmcnt(0)
	v_cmp_ne_u16_e32 vcc, v18, v19
	s_and_b64 s[44:45], vcc, exec
	s_or_b64 s[38:39], s[38:39], s[44:45]
.LBB1435_140:                           ;   in Loop: Header=BB1435_141 Depth=1
	s_and_b64 s[44:45], exec, s[38:39]
	s_or_b64 s[8:9], s[44:45], s[8:9]
	v_pk_mov_b32 v[18:19], s[42:43], s[42:43] op_sel:[0,1]
	s_andn2_b64 exec, exec, s[8:9]
	s_cbranch_execz .LBB1435_143
.LBB1435_141:                           ; =>This Inner Loop Header: Depth=1
	s_or_b64 s[38:39], s[38:39], exec
	s_cmp_eq_u64 s[2:3], s[42:43]
	s_cbranch_scc0 .LBB1435_139
; %bb.142:                              ;   in Loop: Header=BB1435_141 Depth=1
                                        ; implicit-def: $vgpr12_vgpr13
                                        ; implicit-def: $vgpr16_vgpr17
	s_mov_b64 s[42:43], s[26:27]
	s_branch .LBB1435_140
.LBB1435_143:
	s_or_b64 exec, exec, s[8:9]
	v_cmp_gt_i64_e32 vcc, s[26:27], v[18:19]
	s_orn2_b64 s[38:39], vcc, exec
.LBB1435_144:
	s_or_b64 exec, exec, s[40:41]
.LBB1435_145:
	v_mul_lo_u32 v16, v9, s26
	v_mul_lo_u32 v17, v8, s27
	v_mad_u64_u32 v[12:13], s[2:3], v8, s26, 0
	v_add3_u32 v13, v13, v17, v16
	s_and_b64 vcc, exec, s[0:1]
	v_lshlrev_b64 v[12:13], 1, v[12:13]
	s_cbranch_vccnz .LBB1435_154
; %bb.146:
	v_mov_b32_e32 v17, s29
	v_add_co_u32_e32 v16, vcc, s28, v12
	v_addc_co_u32_e64 v17, s[2:3], v17, v13, vcc
	v_mov_b32_e32 v19, s29
	v_add_co_u32_e64 v18, s[2:3], s28, v14
	v_addc_co_u32_e64 v19, s[8:9], v19, v15, s[2:3]
	global_load_ushort v14, v[16:17], off
	global_load_ushort v20, v[18:19], off
	s_mov_b64 s[36:37], -1
	s_waitcnt vmcnt(0)
	v_cmp_eq_u16_e64 s[8:9], v14, v20
	s_and_saveexec_b64 s[40:41], s[8:9]
	s_cbranch_execz .LBB1435_153
; %bb.147:
	v_mov_b32_e32 v14, s29
	v_addc_co_u32_e64 v15, s[2:3], v15, v14, s[2:3]
	v_add_co_u32_e64 v14, s[2:3], 2, v18
	v_mov_b32_e32 v17, s29
	v_addc_co_u32_e64 v15, s[2:3], 0, v15, s[2:3]
	v_addc_co_u32_e32 v17, vcc, v13, v17, vcc
	v_add_co_u32_e32 v16, vcc, 2, v16
	s_add_u32 s2, s26, -1
	v_addc_co_u32_e32 v17, vcc, 0, v17, vcc
	s_addc_u32 s3, s27, -1
	s_mov_b64 s[8:9], 0
	s_mov_b64 s[42:43], 0
                                        ; implicit-def: $sgpr36_sgpr37
	s_branch .LBB1435_150
.LBB1435_148:                           ;   in Loop: Header=BB1435_150 Depth=1
	global_load_ushort v18, v[16:17], off
	global_load_ushort v19, v[14:15], off
	v_add_co_u32_e32 v14, vcc, 2, v14
	v_addc_co_u32_e32 v15, vcc, 0, v15, vcc
	v_add_co_u32_e32 v16, vcc, 2, v16
	v_addc_co_u32_e32 v17, vcc, 0, v17, vcc
	s_add_u32 s42, s42, 1
	s_addc_u32 s43, s43, 0
	s_andn2_b64 s[36:37], s[36:37], exec
	s_waitcnt vmcnt(0)
	v_cmp_ne_u16_e32 vcc, v18, v19
	s_and_b64 s[44:45], vcc, exec
	s_or_b64 s[36:37], s[36:37], s[44:45]
.LBB1435_149:                           ;   in Loop: Header=BB1435_150 Depth=1
	s_and_b64 s[44:45], exec, s[36:37]
	s_or_b64 s[8:9], s[44:45], s[8:9]
	v_pk_mov_b32 v[18:19], s[42:43], s[42:43] op_sel:[0,1]
	s_andn2_b64 exec, exec, s[8:9]
	s_cbranch_execz .LBB1435_152
.LBB1435_150:                           ; =>This Inner Loop Header: Depth=1
	s_or_b64 s[36:37], s[36:37], exec
	s_cmp_eq_u64 s[2:3], s[42:43]
	s_cbranch_scc0 .LBB1435_148
; %bb.151:                              ;   in Loop: Header=BB1435_150 Depth=1
                                        ; implicit-def: $vgpr14_vgpr15
                                        ; implicit-def: $vgpr16_vgpr17
	s_mov_b64 s[42:43], s[26:27]
	s_branch .LBB1435_149
.LBB1435_152:
	s_or_b64 exec, exec, s[8:9]
	v_cmp_gt_i64_e32 vcc, s[26:27], v[18:19]
	s_orn2_b64 s[36:37], vcc, exec
.LBB1435_153:
	s_or_b64 exec, exec, s[40:41]
.LBB1435_154:
	v_mul_lo_u32 v16, v7, s26
	v_mul_lo_u32 v17, v6, s27
	v_mad_u64_u32 v[14:15], s[2:3], v6, s26, 0
	v_add3_u32 v15, v15, v17, v16
	s_and_b64 vcc, exec, s[0:1]
	s_mov_b64 s[42:43], 0
	s_cbranch_vccnz .LBB1435_163
; %bb.155:
	v_lshlrev_b64 v[16:17], 1, v[14:15]
	v_mov_b32_e32 v19, s29
	v_add_co_u32_e32 v18, vcc, s28, v16
	v_addc_co_u32_e64 v19, s[2:3], v19, v17, vcc
	v_mov_b32_e32 v16, s29
	v_add_co_u32_e64 v20, s[2:3], s28, v12
	v_addc_co_u32_e64 v21, s[8:9], v16, v13, s[2:3]
	global_load_ushort v12, v[18:19], off
	global_load_ushort v16, v[20:21], off
	s_mov_b64 s[42:43], -1
	s_waitcnt vmcnt(0)
	v_cmp_eq_u16_e64 s[8:9], v12, v16
	s_and_saveexec_b64 s[40:41], s[8:9]
	s_cbranch_execz .LBB1435_162
; %bb.156:
	v_mov_b32_e32 v12, s29
	v_addc_co_u32_e64 v13, s[2:3], v13, v12, s[2:3]
	v_add_co_u32_e64 v12, s[2:3], 2, v20
	v_mov_b32_e32 v16, s29
	v_addc_co_u32_e64 v13, s[2:3], 0, v13, s[2:3]
	v_addc_co_u32_e32 v17, vcc, v17, v16, vcc
	v_add_co_u32_e32 v16, vcc, 2, v18
	s_add_u32 s2, s26, -1
	v_addc_co_u32_e32 v17, vcc, 0, v17, vcc
	s_addc_u32 s3, s27, -1
	s_mov_b64 s[8:9], 0
	s_mov_b64 s[44:45], 0
                                        ; implicit-def: $sgpr42_sgpr43
	s_branch .LBB1435_159
.LBB1435_157:                           ;   in Loop: Header=BB1435_159 Depth=1
	global_load_ushort v18, v[16:17], off
	global_load_ushort v19, v[12:13], off
	v_add_co_u32_e32 v12, vcc, 2, v12
	v_addc_co_u32_e32 v13, vcc, 0, v13, vcc
	v_add_co_u32_e32 v16, vcc, 2, v16
	v_addc_co_u32_e32 v17, vcc, 0, v17, vcc
	s_add_u32 s44, s44, 1
	s_addc_u32 s45, s45, 0
	s_andn2_b64 s[42:43], s[42:43], exec
	s_waitcnt vmcnt(0)
	v_cmp_ne_u16_e32 vcc, v18, v19
	s_and_b64 s[46:47], vcc, exec
	s_or_b64 s[42:43], s[42:43], s[46:47]
.LBB1435_158:                           ;   in Loop: Header=BB1435_159 Depth=1
	s_and_b64 s[46:47], exec, s[42:43]
	s_or_b64 s[8:9], s[46:47], s[8:9]
	v_pk_mov_b32 v[18:19], s[44:45], s[44:45] op_sel:[0,1]
	s_andn2_b64 exec, exec, s[8:9]
	s_cbranch_execz .LBB1435_161
.LBB1435_159:                           ; =>This Inner Loop Header: Depth=1
	s_or_b64 s[42:43], s[42:43], exec
	s_cmp_eq_u64 s[2:3], s[44:45]
	s_cbranch_scc0 .LBB1435_157
; %bb.160:                              ;   in Loop: Header=BB1435_159 Depth=1
                                        ; implicit-def: $vgpr12_vgpr13
                                        ; implicit-def: $vgpr16_vgpr17
	s_mov_b64 s[44:45], s[26:27]
	s_branch .LBB1435_158
.LBB1435_161:
	s_or_b64 exec, exec, s[8:9]
	v_cmp_gt_i64_e32 vcc, s[26:27], v[18:19]
	s_orn2_b64 s[42:43], vcc, exec
.LBB1435_162:
	s_or_b64 exec, exec, s[40:41]
.LBB1435_163:
	v_cndmask_b32_e64 v13, 0, 1, s[38:39]
	v_cndmask_b32_e64 v16, 0, 1, s[42:43]
	;; [unrolled: 1-line block ×3, first 2 shown]
	v_lshlrev_b16_e32 v16, 8, v16
	v_lshlrev_b16_e32 v13, 8, v13
	v_or_b32_e32 v16, 1, v16
	v_or_b32_sdwa v12, v12, v13 dst_sel:WORD_1 dst_unused:UNUSED_PAD src0_sel:DWORD src1_sel:DWORD
	v_or_b32_sdwa v12, v16, v12 dst_sel:DWORD dst_unused:UNUSED_PAD src0_sel:WORD_0 src1_sel:DWORD
	v_cndmask_b32_e64 v13, 0, 1, s[18:19]
	v_cmp_ne_u32_e32 vcc, 0, v0
	s_waitcnt lgkmcnt(0)
	s_barrier
	s_waitcnt lgkmcnt(0)
                                        ; implicit-def: $sgpr18_sgpr19
                                        ; implicit-def: $vgpr16
	s_and_saveexec_b64 s[2:3], vcc
	s_xor_b64 s[8:9], exec, s[2:3]
	s_cbranch_execz .LBB1435_174
; %bb.164:
	s_mov_b32 s33, 0x3020104
	s_and_b64 vcc, exec, s[0:1]
	s_mov_b64 s[36:37], 0
	s_cbranch_vccnz .LBB1435_173
; %bb.165:
	v_add_u32_e32 v16, -8, v26
	ds_read_b64 v[16:17], v16
	v_mov_b32_e32 v19, s29
	v_lshlrev_b64 v[14:15], 1, v[14:15]
	s_mov_b64 s[36:37], -1
	s_waitcnt lgkmcnt(0)
	v_mul_lo_u32 v18, v17, s26
	v_mul_lo_u32 v20, v16, s27
	v_mad_u64_u32 v[16:17], s[0:1], v16, s26, 0
	v_add3_u32 v17, v17, v20, v18
	v_lshlrev_b64 v[16:17], 1, v[16:17]
	v_add_co_u32_e32 v18, vcc, s28, v16
	v_addc_co_u32_e64 v19, s[0:1], v19, v17, vcc
	v_mov_b32_e32 v16, s29
	v_add_co_u32_e64 v20, s[0:1], s28, v14
	v_addc_co_u32_e64 v21, s[2:3], v16, v15, s[0:1]
	global_load_ushort v14, v[18:19], off
	global_load_ushort v16, v[20:21], off
	s_waitcnt vmcnt(0)
	v_cmp_eq_u16_e64 s[2:3], v14, v16
	s_and_saveexec_b64 s[18:19], s[2:3]
	s_cbranch_execz .LBB1435_172
; %bb.166:
	v_mov_b32_e32 v14, s29
	v_addc_co_u32_e64 v15, s[0:1], v15, v14, s[0:1]
	v_add_co_u32_e64 v14, s[0:1], 2, v20
	v_mov_b32_e32 v16, s29
	v_addc_co_u32_e64 v15, s[0:1], 0, v15, s[0:1]
	v_addc_co_u32_e32 v17, vcc, v17, v16, vcc
	v_add_co_u32_e32 v16, vcc, 2, v18
	s_add_u32 s0, s26, -1
	v_addc_co_u32_e32 v17, vcc, 0, v17, vcc
	s_addc_u32 s1, s27, -1
	s_mov_b64 s[2:3], 0
	s_mov_b64 s[38:39], 0
                                        ; implicit-def: $sgpr36_sgpr37
	s_branch .LBB1435_169
.LBB1435_167:                           ;   in Loop: Header=BB1435_169 Depth=1
	global_load_ushort v18, v[16:17], off
	global_load_ushort v19, v[14:15], off
	v_add_co_u32_e32 v14, vcc, 2, v14
	v_addc_co_u32_e32 v15, vcc, 0, v15, vcc
	v_add_co_u32_e32 v16, vcc, 2, v16
	v_addc_co_u32_e32 v17, vcc, 0, v17, vcc
	s_add_u32 s38, s38, 1
	s_addc_u32 s39, s39, 0
	s_andn2_b64 s[36:37], s[36:37], exec
	s_waitcnt vmcnt(0)
	v_cmp_ne_u16_e32 vcc, v18, v19
	s_and_b64 s[40:41], vcc, exec
	s_or_b64 s[36:37], s[36:37], s[40:41]
.LBB1435_168:                           ;   in Loop: Header=BB1435_169 Depth=1
	s_and_b64 s[40:41], exec, s[36:37]
	s_or_b64 s[2:3], s[40:41], s[2:3]
	v_pk_mov_b32 v[18:19], s[38:39], s[38:39] op_sel:[0,1]
	s_andn2_b64 exec, exec, s[2:3]
	s_cbranch_execz .LBB1435_171
.LBB1435_169:                           ; =>This Inner Loop Header: Depth=1
	s_or_b64 s[36:37], s[36:37], exec
	s_cmp_eq_u64 s[0:1], s[38:39]
	s_cbranch_scc0 .LBB1435_167
; %bb.170:                              ;   in Loop: Header=BB1435_169 Depth=1
                                        ; implicit-def: $vgpr14_vgpr15
                                        ; implicit-def: $vgpr16_vgpr17
	s_mov_b64 s[38:39], s[26:27]
	s_branch .LBB1435_168
.LBB1435_171:
	s_or_b64 exec, exec, s[2:3]
	v_cmp_gt_i64_e32 vcc, s[26:27], v[18:19]
	s_orn2_b64 s[36:37], vcc, exec
.LBB1435_172:
	s_or_b64 exec, exec, s[18:19]
.LBB1435_173:
	v_perm_b32 v16, v12, v12, s33
	s_and_b64 s[18:19], s[36:37], exec
	s_or_b64 s[12:13], s[12:13], exec
.LBB1435_174:
	s_or_b64 exec, exec, s[8:9]
	s_branch .LBB1435_233
.LBB1435_175:
	v_cmp_gt_u32_e32 vcc, s7, v23
	s_mov_b64 s[18:19], 0
	s_mov_b64 s[8:9], 0
	s_and_saveexec_b64 s[36:37], vcc
	s_cbranch_execz .LBB1435_186
; %bb.176:
	s_andn2_b64 vcc, exec, s[14:15]
	s_mov_b64 s[38:39], 0
	s_cbranch_vccnz .LBB1435_185
; %bb.177:
	v_mul_lo_u32 v14, v5, s26
	v_mul_lo_u32 v15, v4, s27
	v_mad_u64_u32 v[12:13], s[0:1], v4, s26, 0
	v_add3_u32 v13, v13, v15, v14
	v_mul_lo_u32 v14, v11, s26
	v_mul_lo_u32 v15, v10, s27
	v_mad_u64_u32 v[18:19], s[0:1], v10, s26, 0
	v_add3_u32 v19, v19, v15, v14
	v_lshlrev_b64 v[14:15], 1, v[12:13]
	v_mov_b32_e32 v12, s29
	v_add_co_u32_e32 v16, vcc, s28, v14
	v_addc_co_u32_e64 v17, s[0:1], v12, v15, vcc
	v_lshlrev_b64 v[12:13], 1, v[18:19]
	v_mov_b32_e32 v14, s29
	v_add_co_u32_e64 v18, s[0:1], s28, v12
	v_addc_co_u32_e64 v19, s[2:3], v14, v13, s[0:1]
	global_load_ushort v12, v[16:17], off
	global_load_ushort v14, v[18:19], off
	s_mov_b64 s[38:39], -1
	s_waitcnt vmcnt(0)
	v_cmp_eq_u16_e64 s[2:3], v12, v14
	s_and_saveexec_b64 s[8:9], s[2:3]
	s_cbranch_execz .LBB1435_184
; %bb.178:
	v_mov_b32_e32 v12, s29
	v_addc_co_u32_e64 v13, s[0:1], v13, v12, s[0:1]
	v_add_co_u32_e64 v12, s[0:1], 2, v18
	v_mov_b32_e32 v14, s29
	v_addc_co_u32_e64 v13, s[0:1], 0, v13, s[0:1]
	v_addc_co_u32_e32 v15, vcc, v15, v14, vcc
	v_add_co_u32_e32 v14, vcc, 2, v16
	s_add_u32 s0, s26, -1
	v_addc_co_u32_e32 v15, vcc, 0, v15, vcc
	s_addc_u32 s1, s27, -1
	s_mov_b64 s[2:3], 0
	s_mov_b64 s[40:41], 0
                                        ; implicit-def: $sgpr38_sgpr39
	s_branch .LBB1435_181
.LBB1435_179:                           ;   in Loop: Header=BB1435_181 Depth=1
	global_load_ushort v16, v[14:15], off
	global_load_ushort v17, v[12:13], off
	v_add_co_u32_e32 v12, vcc, 2, v12
	v_addc_co_u32_e32 v13, vcc, 0, v13, vcc
	v_add_co_u32_e32 v14, vcc, 2, v14
	v_addc_co_u32_e32 v15, vcc, 0, v15, vcc
	s_add_u32 s40, s40, 1
	s_addc_u32 s41, s41, 0
	s_andn2_b64 s[38:39], s[38:39], exec
	s_waitcnt vmcnt(0)
	v_cmp_ne_u16_e32 vcc, v16, v17
	s_and_b64 s[42:43], vcc, exec
	s_or_b64 s[38:39], s[38:39], s[42:43]
.LBB1435_180:                           ;   in Loop: Header=BB1435_181 Depth=1
	s_and_b64 s[42:43], exec, s[38:39]
	s_or_b64 s[2:3], s[42:43], s[2:3]
	v_pk_mov_b32 v[16:17], s[40:41], s[40:41] op_sel:[0,1]
	s_andn2_b64 exec, exec, s[2:3]
	s_cbranch_execz .LBB1435_183
.LBB1435_181:                           ; =>This Inner Loop Header: Depth=1
	s_or_b64 s[38:39], s[38:39], exec
	s_cmp_eq_u64 s[0:1], s[40:41]
	s_cbranch_scc0 .LBB1435_179
; %bb.182:                              ;   in Loop: Header=BB1435_181 Depth=1
                                        ; implicit-def: $vgpr12_vgpr13
                                        ; implicit-def: $vgpr14_vgpr15
	s_mov_b64 s[40:41], s[26:27]
	s_branch .LBB1435_180
.LBB1435_183:
	s_or_b64 exec, exec, s[2:3]
	v_cmp_gt_i64_e32 vcc, s[26:27], v[16:17]
	s_orn2_b64 s[38:39], vcc, exec
.LBB1435_184:
	s_or_b64 exec, exec, s[8:9]
.LBB1435_185:
	s_and_b64 s[8:9], s[38:39], exec
.LBB1435_186:
	s_or_b64 exec, exec, s[36:37]
	v_cmp_gt_u32_e32 vcc, s7, v25
	s_and_saveexec_b64 s[36:37], vcc
	s_cbranch_execz .LBB1435_197
; %bb.187:
	s_andn2_b64 vcc, exec, s[14:15]
	s_mov_b64 s[38:39], 0
	s_cbranch_vccnz .LBB1435_196
; %bb.188:
	v_mul_lo_u32 v14, v3, s26
	v_mul_lo_u32 v15, v2, s27
	v_mad_u64_u32 v[12:13], s[0:1], v2, s26, 0
	v_add3_u32 v13, v13, v15, v14
	v_mul_lo_u32 v14, v5, s26
	v_mul_lo_u32 v15, v4, s27
	v_mad_u64_u32 v[18:19], s[0:1], v4, s26, 0
	v_add3_u32 v19, v19, v15, v14
	v_lshlrev_b64 v[14:15], 1, v[12:13]
	v_mov_b32_e32 v12, s29
	v_add_co_u32_e32 v16, vcc, s28, v14
	v_addc_co_u32_e64 v17, s[0:1], v12, v15, vcc
	v_lshlrev_b64 v[12:13], 1, v[18:19]
	v_mov_b32_e32 v14, s29
	v_add_co_u32_e64 v18, s[0:1], s28, v12
	v_addc_co_u32_e64 v19, s[2:3], v14, v13, s[0:1]
	global_load_ushort v12, v[16:17], off
	global_load_ushort v14, v[18:19], off
	s_mov_b64 s[38:39], -1
	s_waitcnt vmcnt(0)
	v_cmp_eq_u16_e64 s[2:3], v12, v14
	s_and_saveexec_b64 s[18:19], s[2:3]
	s_cbranch_execz .LBB1435_195
; %bb.189:
	v_mov_b32_e32 v12, s29
	v_addc_co_u32_e64 v13, s[0:1], v13, v12, s[0:1]
	v_add_co_u32_e64 v12, s[0:1], 2, v18
	v_mov_b32_e32 v14, s29
	v_addc_co_u32_e64 v13, s[0:1], 0, v13, s[0:1]
	v_addc_co_u32_e32 v15, vcc, v15, v14, vcc
	v_add_co_u32_e32 v14, vcc, 2, v16
	s_add_u32 s0, s26, -1
	v_addc_co_u32_e32 v15, vcc, 0, v15, vcc
	s_addc_u32 s1, s27, -1
	s_mov_b64 s[2:3], 0
	s_mov_b64 s[40:41], 0
                                        ; implicit-def: $sgpr38_sgpr39
	s_branch .LBB1435_192
.LBB1435_190:                           ;   in Loop: Header=BB1435_192 Depth=1
	global_load_ushort v16, v[14:15], off
	global_load_ushort v17, v[12:13], off
	v_add_co_u32_e32 v12, vcc, 2, v12
	v_addc_co_u32_e32 v13, vcc, 0, v13, vcc
	v_add_co_u32_e32 v14, vcc, 2, v14
	v_addc_co_u32_e32 v15, vcc, 0, v15, vcc
	s_add_u32 s40, s40, 1
	s_addc_u32 s41, s41, 0
	s_andn2_b64 s[38:39], s[38:39], exec
	s_waitcnt vmcnt(0)
	v_cmp_ne_u16_e32 vcc, v16, v17
	s_and_b64 s[42:43], vcc, exec
	s_or_b64 s[38:39], s[38:39], s[42:43]
.LBB1435_191:                           ;   in Loop: Header=BB1435_192 Depth=1
	s_and_b64 s[42:43], exec, s[38:39]
	s_or_b64 s[2:3], s[42:43], s[2:3]
	v_pk_mov_b32 v[16:17], s[40:41], s[40:41] op_sel:[0,1]
	s_andn2_b64 exec, exec, s[2:3]
	s_cbranch_execz .LBB1435_194
.LBB1435_192:                           ; =>This Inner Loop Header: Depth=1
	s_or_b64 s[38:39], s[38:39], exec
	s_cmp_eq_u64 s[0:1], s[40:41]
	s_cbranch_scc0 .LBB1435_190
; %bb.193:                              ;   in Loop: Header=BB1435_192 Depth=1
                                        ; implicit-def: $vgpr12_vgpr13
                                        ; implicit-def: $vgpr14_vgpr15
	s_mov_b64 s[40:41], s[26:27]
	s_branch .LBB1435_191
.LBB1435_194:
	s_or_b64 exec, exec, s[2:3]
	v_cmp_gt_i64_e32 vcc, s[26:27], v[16:17]
	s_orn2_b64 s[38:39], vcc, exec
.LBB1435_195:
	s_or_b64 exec, exec, s[18:19]
.LBB1435_196:
	s_and_b64 s[18:19], s[38:39], exec
.LBB1435_197:
	s_or_b64 exec, exec, s[36:37]
	v_cmp_gt_u32_e32 vcc, s7, v22
	s_mov_b64 s[36:37], 0
	s_mov_b64 s[38:39], 0
	s_and_saveexec_b64 s[40:41], vcc
	s_cbranch_execz .LBB1435_208
; %bb.198:
	s_andn2_b64 vcc, exec, s[14:15]
	s_mov_b64 s[42:43], 0
	s_cbranch_vccnz .LBB1435_207
; %bb.199:
	v_mul_lo_u32 v14, v9, s26
	v_mul_lo_u32 v15, v8, s27
	v_mad_u64_u32 v[12:13], s[0:1], v8, s26, 0
	v_add3_u32 v13, v13, v15, v14
	v_mul_lo_u32 v14, v3, s26
	v_mul_lo_u32 v15, v2, s27
	v_mad_u64_u32 v[18:19], s[0:1], v2, s26, 0
	v_add3_u32 v19, v19, v15, v14
	v_lshlrev_b64 v[14:15], 1, v[12:13]
	v_mov_b32_e32 v12, s29
	v_add_co_u32_e32 v16, vcc, s28, v14
	v_addc_co_u32_e64 v17, s[0:1], v12, v15, vcc
	v_lshlrev_b64 v[12:13], 1, v[18:19]
	v_mov_b32_e32 v14, s29
	v_add_co_u32_e64 v18, s[0:1], s28, v12
	v_addc_co_u32_e64 v19, s[2:3], v14, v13, s[0:1]
	global_load_ushort v12, v[16:17], off
	global_load_ushort v14, v[18:19], off
	s_mov_b64 s[42:43], -1
	s_waitcnt vmcnt(0)
	v_cmp_eq_u16_e64 s[2:3], v12, v14
	s_and_saveexec_b64 s[38:39], s[2:3]
	s_cbranch_execz .LBB1435_206
; %bb.200:
	v_mov_b32_e32 v12, s29
	v_addc_co_u32_e64 v13, s[0:1], v13, v12, s[0:1]
	v_add_co_u32_e64 v12, s[0:1], 2, v18
	v_mov_b32_e32 v14, s29
	v_addc_co_u32_e64 v13, s[0:1], 0, v13, s[0:1]
	v_addc_co_u32_e32 v15, vcc, v15, v14, vcc
	v_add_co_u32_e32 v14, vcc, 2, v16
	s_add_u32 s0, s26, -1
	v_addc_co_u32_e32 v15, vcc, 0, v15, vcc
	s_addc_u32 s1, s27, -1
	s_mov_b64 s[2:3], 0
	s_mov_b64 s[44:45], 0
                                        ; implicit-def: $sgpr42_sgpr43
	s_branch .LBB1435_203
.LBB1435_201:                           ;   in Loop: Header=BB1435_203 Depth=1
	global_load_ushort v16, v[14:15], off
	global_load_ushort v17, v[12:13], off
	v_add_co_u32_e32 v12, vcc, 2, v12
	v_addc_co_u32_e32 v13, vcc, 0, v13, vcc
	v_add_co_u32_e32 v14, vcc, 2, v14
	v_addc_co_u32_e32 v15, vcc, 0, v15, vcc
	s_add_u32 s44, s44, 1
	s_addc_u32 s45, s45, 0
	s_andn2_b64 s[42:43], s[42:43], exec
	s_waitcnt vmcnt(0)
	v_cmp_ne_u16_e32 vcc, v16, v17
	s_and_b64 s[46:47], vcc, exec
	s_or_b64 s[42:43], s[42:43], s[46:47]
.LBB1435_202:                           ;   in Loop: Header=BB1435_203 Depth=1
	s_and_b64 s[46:47], exec, s[42:43]
	s_or_b64 s[2:3], s[46:47], s[2:3]
	v_pk_mov_b32 v[16:17], s[44:45], s[44:45] op_sel:[0,1]
	s_andn2_b64 exec, exec, s[2:3]
	s_cbranch_execz .LBB1435_205
.LBB1435_203:                           ; =>This Inner Loop Header: Depth=1
	s_or_b64 s[42:43], s[42:43], exec
	s_cmp_eq_u64 s[0:1], s[44:45]
	s_cbranch_scc0 .LBB1435_201
; %bb.204:                              ;   in Loop: Header=BB1435_203 Depth=1
                                        ; implicit-def: $vgpr12_vgpr13
                                        ; implicit-def: $vgpr14_vgpr15
	s_mov_b64 s[44:45], s[26:27]
	s_branch .LBB1435_202
.LBB1435_205:
	s_or_b64 exec, exec, s[2:3]
	v_cmp_gt_i64_e32 vcc, s[26:27], v[16:17]
	s_orn2_b64 s[42:43], vcc, exec
.LBB1435_206:
	s_or_b64 exec, exec, s[38:39]
.LBB1435_207:
	s_and_b64 s[38:39], s[42:43], exec
.LBB1435_208:
	s_or_b64 exec, exec, s[40:41]
	v_cmp_gt_u32_e32 vcc, s7, v24
	s_and_saveexec_b64 s[40:41], vcc
	s_cbranch_execz .LBB1435_219
; %bb.209:
	s_andn2_b64 vcc, exec, s[14:15]
	s_mov_b64 s[42:43], 0
	s_cbranch_vccnz .LBB1435_218
; %bb.210:
	v_mul_lo_u32 v14, v7, s26
	v_mul_lo_u32 v15, v6, s27
	v_mad_u64_u32 v[12:13], s[0:1], v6, s26, 0
	v_add3_u32 v13, v13, v15, v14
	v_mul_lo_u32 v14, v9, s26
	v_mul_lo_u32 v15, v8, s27
	v_mad_u64_u32 v[18:19], s[0:1], v8, s26, 0
	v_add3_u32 v19, v19, v15, v14
	v_lshlrev_b64 v[14:15], 1, v[12:13]
	v_mov_b32_e32 v12, s29
	v_add_co_u32_e32 v16, vcc, s28, v14
	v_addc_co_u32_e64 v17, s[0:1], v12, v15, vcc
	v_lshlrev_b64 v[12:13], 1, v[18:19]
	v_mov_b32_e32 v14, s29
	v_add_co_u32_e64 v18, s[0:1], s28, v12
	v_addc_co_u32_e64 v19, s[2:3], v14, v13, s[0:1]
	global_load_ushort v12, v[16:17], off
	global_load_ushort v14, v[18:19], off
	s_mov_b64 s[42:43], -1
	s_waitcnt vmcnt(0)
	v_cmp_eq_u16_e64 s[2:3], v12, v14
	s_and_saveexec_b64 s[36:37], s[2:3]
	s_cbranch_execz .LBB1435_217
; %bb.211:
	v_mov_b32_e32 v12, s29
	v_addc_co_u32_e64 v13, s[0:1], v13, v12, s[0:1]
	v_add_co_u32_e64 v12, s[0:1], 2, v18
	v_mov_b32_e32 v14, s29
	v_addc_co_u32_e64 v13, s[0:1], 0, v13, s[0:1]
	v_addc_co_u32_e32 v15, vcc, v15, v14, vcc
	v_add_co_u32_e32 v14, vcc, 2, v16
	s_add_u32 s0, s26, -1
	v_addc_co_u32_e32 v15, vcc, 0, v15, vcc
	s_addc_u32 s1, s27, -1
	s_mov_b64 s[2:3], 0
	s_mov_b64 s[44:45], 0
                                        ; implicit-def: $sgpr42_sgpr43
	s_branch .LBB1435_214
.LBB1435_212:                           ;   in Loop: Header=BB1435_214 Depth=1
	global_load_ushort v16, v[14:15], off
	global_load_ushort v17, v[12:13], off
	v_add_co_u32_e32 v12, vcc, 2, v12
	v_addc_co_u32_e32 v13, vcc, 0, v13, vcc
	v_add_co_u32_e32 v14, vcc, 2, v14
	v_addc_co_u32_e32 v15, vcc, 0, v15, vcc
	s_add_u32 s44, s44, 1
	s_addc_u32 s45, s45, 0
	s_andn2_b64 s[42:43], s[42:43], exec
	s_waitcnt vmcnt(0)
	v_cmp_ne_u16_e32 vcc, v16, v17
	s_and_b64 s[46:47], vcc, exec
	s_or_b64 s[42:43], s[42:43], s[46:47]
.LBB1435_213:                           ;   in Loop: Header=BB1435_214 Depth=1
	s_and_b64 s[46:47], exec, s[42:43]
	s_or_b64 s[2:3], s[46:47], s[2:3]
	v_pk_mov_b32 v[16:17], s[44:45], s[44:45] op_sel:[0,1]
	s_andn2_b64 exec, exec, s[2:3]
	s_cbranch_execz .LBB1435_216
.LBB1435_214:                           ; =>This Inner Loop Header: Depth=1
	s_or_b64 s[42:43], s[42:43], exec
	s_cmp_eq_u64 s[0:1], s[44:45]
	s_cbranch_scc0 .LBB1435_212
; %bb.215:                              ;   in Loop: Header=BB1435_214 Depth=1
                                        ; implicit-def: $vgpr12_vgpr13
                                        ; implicit-def: $vgpr14_vgpr15
	s_mov_b64 s[44:45], s[26:27]
	s_branch .LBB1435_213
.LBB1435_216:
	s_or_b64 exec, exec, s[2:3]
	v_cmp_gt_i64_e32 vcc, s[26:27], v[16:17]
	s_orn2_b64 s[42:43], vcc, exec
.LBB1435_217:
	s_or_b64 exec, exec, s[36:37]
.LBB1435_218:
	s_and_b64 s[36:37], s[42:43], exec
.LBB1435_219:
	s_or_b64 exec, exec, s[40:41]
	v_cndmask_b32_e64 v13, 0, 1, s[18:19]
	v_cndmask_b32_e64 v14, 0, 1, s[36:37]
	;; [unrolled: 1-line block ×3, first 2 shown]
	v_lshlrev_b16_e32 v14, 8, v14
	v_lshlrev_b16_e32 v13, 8, v13
	v_or_b32_e32 v14, 1, v14
	v_or_b32_sdwa v12, v12, v13 dst_sel:WORD_1 dst_unused:UNUSED_PAD src0_sel:DWORD src1_sel:DWORD
	v_or_b32_sdwa v12, v14, v12 dst_sel:DWORD dst_unused:UNUSED_PAD src0_sel:WORD_0 src1_sel:DWORD
	v_cndmask_b32_e64 v13, 0, 1, s[8:9]
	v_cmp_ne_u32_e32 vcc, 0, v0
	s_waitcnt lgkmcnt(0)
	s_barrier
	s_waitcnt lgkmcnt(0)
                                        ; implicit-def: $sgpr18_sgpr19
                                        ; implicit-def: $vgpr16
	s_and_saveexec_b64 s[8:9], vcc
	s_cbranch_execz .LBB1435_232
; %bb.220:
	v_cmp_gt_u32_e32 vcc, s7, v1
	s_mov_b32 s33, 0x3020104
	s_mov_b64 s[0:1], 0
	s_and_saveexec_b64 s[18:19], vcc
	s_cbranch_execz .LBB1435_231
; %bb.221:
	s_andn2_b64 vcc, exec, s[14:15]
	s_mov_b64 s[36:37], 0
	s_cbranch_vccnz .LBB1435_230
; %bb.222:
	v_add_u32_e32 v14, -8, v26
	ds_read_b64 v[14:15], v14
	v_mul_lo_u32 v16, v7, s26
	v_mad_u64_u32 v[20:21], s[0:1], v6, s26, 0
	s_mov_b64 s[36:37], -1
	s_waitcnt lgkmcnt(0)
	v_mul_lo_u32 v17, v15, s26
	v_mul_lo_u32 v18, v14, s27
	v_mad_u64_u32 v[14:15], s[0:1], v14, s26, 0
	v_add3_u32 v15, v15, v18, v17
	v_mul_lo_u32 v17, v6, s27
	v_add3_u32 v21, v21, v17, v16
	v_lshlrev_b64 v[16:17], 1, v[14:15]
	v_mov_b32_e32 v14, s29
	v_add_co_u32_e32 v18, vcc, s28, v16
	v_addc_co_u32_e64 v19, s[0:1], v14, v17, vcc
	v_lshlrev_b64 v[14:15], 1, v[20:21]
	v_mov_b32_e32 v16, s29
	v_add_co_u32_e64 v20, s[0:1], s28, v14
	v_addc_co_u32_e64 v21, s[2:3], v16, v15, s[0:1]
	global_load_ushort v14, v[18:19], off
	global_load_ushort v16, v[20:21], off
	s_waitcnt vmcnt(0)
	v_cmp_eq_u16_e64 s[2:3], v14, v16
	s_and_saveexec_b64 s[14:15], s[2:3]
	s_cbranch_execz .LBB1435_229
; %bb.223:
	v_mov_b32_e32 v14, s29
	v_addc_co_u32_e64 v15, s[0:1], v15, v14, s[0:1]
	v_add_co_u32_e64 v14, s[0:1], 2, v20
	v_mov_b32_e32 v16, s29
	v_addc_co_u32_e64 v15, s[0:1], 0, v15, s[0:1]
	v_addc_co_u32_e32 v17, vcc, v17, v16, vcc
	v_add_co_u32_e32 v16, vcc, 2, v18
	s_add_u32 s0, s26, -1
	v_addc_co_u32_e32 v17, vcc, 0, v17, vcc
	s_addc_u32 s1, s27, -1
	s_mov_b64 s[2:3], 0
	s_mov_b64 s[36:37], 0
                                        ; implicit-def: $sgpr28_sgpr29
	s_branch .LBB1435_226
.LBB1435_224:                           ;   in Loop: Header=BB1435_226 Depth=1
	global_load_ushort v18, v[16:17], off
	global_load_ushort v19, v[14:15], off
	v_add_co_u32_e32 v14, vcc, 2, v14
	v_addc_co_u32_e32 v15, vcc, 0, v15, vcc
	v_add_co_u32_e32 v16, vcc, 2, v16
	v_addc_co_u32_e32 v17, vcc, 0, v17, vcc
	s_add_u32 s36, s36, 1
	s_addc_u32 s37, s37, 0
	s_andn2_b64 s[28:29], s[28:29], exec
	s_waitcnt vmcnt(0)
	v_cmp_ne_u16_e32 vcc, v18, v19
	s_and_b64 s[38:39], vcc, exec
	s_or_b64 s[28:29], s[28:29], s[38:39]
.LBB1435_225:                           ;   in Loop: Header=BB1435_226 Depth=1
	s_and_b64 s[38:39], exec, s[28:29]
	s_or_b64 s[2:3], s[38:39], s[2:3]
	v_pk_mov_b32 v[18:19], s[36:37], s[36:37] op_sel:[0,1]
	s_andn2_b64 exec, exec, s[2:3]
	s_cbranch_execz .LBB1435_228
.LBB1435_226:                           ; =>This Inner Loop Header: Depth=1
	s_or_b64 s[28:29], s[28:29], exec
	s_cmp_eq_u64 s[0:1], s[36:37]
	s_cbranch_scc0 .LBB1435_224
; %bb.227:                              ;   in Loop: Header=BB1435_226 Depth=1
                                        ; implicit-def: $vgpr14_vgpr15
                                        ; implicit-def: $vgpr16_vgpr17
	s_mov_b64 s[36:37], s[26:27]
	s_branch .LBB1435_225
.LBB1435_228:
	s_or_b64 exec, exec, s[2:3]
	v_cmp_gt_i64_e32 vcc, s[26:27], v[18:19]
	s_orn2_b64 s[36:37], vcc, exec
.LBB1435_229:
	s_or_b64 exec, exec, s[14:15]
.LBB1435_230:
	s_and_b64 s[0:1], s[36:37], exec
.LBB1435_231:
	s_or_b64 exec, exec, s[18:19]
	v_perm_b32 v16, v12, v12, s33
	s_and_b64 s[18:19], s[0:1], exec
	s_or_b64 s[12:13], s[12:13], exec
.LBB1435_232:
	s_or_b64 exec, exec, s[8:9]
.LBB1435_233:
	s_and_saveexec_b64 s[0:1], s[12:13]
	s_cbranch_execz .LBB1435_235
; %bb.234:
	v_lshrrev_b32_e32 v14, 24, v16
	s_movk_i32 s2, 0xff
	v_lshlrev_b16_e32 v14, 8, v14
	v_and_b32_sdwa v15, v16, s2 dst_sel:DWORD dst_unused:UNUSED_PAD src0_sel:WORD_1 src1_sel:DWORD
	v_or_b32_sdwa v14, v15, v14 dst_sel:WORD_1 dst_unused:UNUSED_PAD src0_sel:DWORD src1_sel:DWORD
	v_mov_b32_e32 v15, 8
	v_cndmask_b32_e64 v12, 0, 1, s[18:19]
	v_lshrrev_b32_sdwa v15, v15, v16 dst_sel:BYTE_1 dst_unused:UNUSED_PAD src0_sel:DWORD src1_sel:DWORD
	v_or_b32_e32 v12, v12, v15
	s_mov_b32 s2, 0xffff
	v_or_b32_sdwa v12, v12, v14 dst_sel:DWORD dst_unused:UNUSED_PAD src0_sel:WORD_0 src1_sel:DWORD
	v_and_b32_sdwa v13, s2, v13 dst_sel:DWORD dst_unused:UNUSED_PAD src0_sel:DWORD src1_sel:BYTE_0
.LBB1435_235:
	s_or_b64 exec, exec, s[0:1]
	s_andn2_b64 vcc, exec, s[10:11]
	s_cbranch_vccnz .LBB1435_237
; %bb.236:
	v_cmp_gt_u32_e32 vcc, s7, v1
	v_cndmask_b32_e32 v1, 0, v12, vcc
	v_and_b32_e32 v1, 0xffff00ff, v1
	v_cmp_gt_u32_e64 s[0:1], s7, v24
	v_cndmask_b32_e64 v1, v1, v12, s[0:1]
	v_lshrrev_b32_e32 v14, 24, v1
	s_mov_b32 s2, 0x40c0100
	v_perm_b32 v1, v14, v1, s2
	v_cmp_gt_u32_e64 s[2:3], s7, v22
	v_cmp_gt_u32_e64 s[8:9], s7, v25
	v_cndmask_b32_e64 v1, v1, v12, s[2:3]
	s_or_b64 s[2:3], s[8:9], s[2:3]
	s_or_b64 s[0:1], s[2:3], s[0:1]
	s_or_b64 vcc, s[0:1], vcc
	v_and_b32_e32 v1, 0xffffff, v1
	v_cndmask_b32_e32 v14, 0, v13, vcc
	v_cndmask_b32_e64 v1, v1, v12, s[8:9]
	v_and_b32_e32 v14, 0xffffff00, v14
	v_cmp_gt_u32_e32 vcc, s7, v23
	v_cndmask_b32_e32 v1, v1, v12, vcc
	v_cndmask_b32_e32 v12, v14, v13, vcc
	s_mov_b32 s0, 0x3020104
	v_and_b32_e32 v13, 0xff, v12
	v_perm_b32 v12, v1, v1, s0
.LBB1435_237:
	v_and_b32_e32 v1, 0xff, v12
	v_bfe_u32 v25, v12, 8, 8
	v_bfe_u32 v27, v12, 16, 8
	v_alignbit_b32 v14, v13, v12, 24
	v_and_b32_e32 v28, 0xff, v14
	v_and_b32_e32 v14, 0xff, v13
	v_add3_u32 v15, v25, v1, v27
	v_add3_u32 v31, v15, v28, v14
	v_mbcnt_lo_u32_b32 v14, -1, 0
	v_mbcnt_hi_u32_b32 v29, -1, v14
	v_and_b32_e32 v14, 15, v29
	v_cmp_eq_u32_e64 s[14:15], 0, v14
	v_cmp_lt_u32_e64 s[12:13], 1, v14
	v_cmp_lt_u32_e64 s[10:11], 3, v14
	;; [unrolled: 1-line block ×3, first 2 shown]
	v_and_b32_e32 v14, 16, v29
	v_cmp_eq_u32_e64 s[18:19], 0, v14
	v_or_b32_e32 v14, 63, v0
	v_cmp_lt_u32_e64 s[0:1], 31, v29
	v_lshrrev_b32_e32 v30, 6, v0
	v_cmp_eq_u32_e64 s[2:3], v14, v0
	s_and_b64 vcc, exec, s[16:17]
	s_waitcnt lgkmcnt(0)
	s_barrier
	s_cbranch_vccz .LBB1435_268
; %bb.238:
	v_mov_b32_dpp v14, v31 row_shr:1 row_mask:0xf bank_mask:0xf
	v_cndmask_b32_e64 v14, v14, 0, s[14:15]
	v_add_u32_e32 v14, v14, v31
	s_nop 1
	v_mov_b32_dpp v15, v14 row_shr:2 row_mask:0xf bank_mask:0xf
	v_cndmask_b32_e64 v15, 0, v15, s[12:13]
	v_add_u32_e32 v14, v14, v15
	s_nop 1
	;; [unrolled: 4-line block ×4, first 2 shown]
	v_mov_b32_dpp v15, v14 row_bcast:15 row_mask:0xf bank_mask:0xf
	v_cndmask_b32_e64 v15, v15, 0, s[18:19]
	v_add_u32_e32 v14, v14, v15
	s_nop 1
	v_mov_b32_dpp v15, v14 row_bcast:31 row_mask:0xf bank_mask:0xf
	v_cndmask_b32_e64 v15, 0, v15, s[0:1]
	v_add_u32_e32 v14, v14, v15
	s_and_saveexec_b64 s[16:17], s[2:3]
	s_cbranch_execz .LBB1435_240
; %bb.239:
	v_lshlrev_b32_e32 v15, 2, v30
	ds_write_b32 v15, v14
.LBB1435_240:
	s_or_b64 exec, exec, s[16:17]
	v_cmp_gt_u32_e32 vcc, 4, v0
	s_waitcnt lgkmcnt(0)
	s_barrier
	s_and_saveexec_b64 s[16:17], vcc
	s_cbranch_execz .LBB1435_242
; %bb.241:
	v_lshlrev_b32_e32 v15, 2, v0
	ds_read_b32 v16, v15
	v_and_b32_e32 v17, 3, v29
	v_cmp_ne_u32_e32 vcc, 0, v17
	s_waitcnt lgkmcnt(0)
	v_mov_b32_dpp v18, v16 row_shr:1 row_mask:0xf bank_mask:0xf
	v_cndmask_b32_e32 v18, 0, v18, vcc
	v_add_u32_e32 v16, v18, v16
	v_cmp_lt_u32_e32 vcc, 1, v17
	s_nop 0
	v_mov_b32_dpp v18, v16 row_shr:2 row_mask:0xf bank_mask:0xf
	v_cndmask_b32_e32 v17, 0, v18, vcc
	v_add_u32_e32 v16, v16, v17
	ds_write_b32 v15, v16
.LBB1435_242:
	s_or_b64 exec, exec, s[16:17]
	v_cmp_gt_u32_e32 vcc, 64, v0
	v_cmp_lt_u32_e64 s[16:17], 63, v0
	s_waitcnt lgkmcnt(0)
	s_barrier
	s_waitcnt lgkmcnt(0)
                                        ; implicit-def: $vgpr24
	s_and_saveexec_b64 s[26:27], s[16:17]
	s_cbranch_execz .LBB1435_244
; %bb.243:
	v_lshl_add_u32 v15, v30, 2, -4
	ds_read_b32 v24, v15
	s_waitcnt lgkmcnt(0)
	v_add_u32_e32 v14, v24, v14
.LBB1435_244:
	s_or_b64 exec, exec, s[26:27]
	v_add_u32_e32 v15, -1, v29
	v_and_b32_e32 v16, 64, v29
	v_cmp_lt_i32_e64 s[16:17], v15, v16
	v_cndmask_b32_e64 v15, v15, v29, s[16:17]
	v_lshlrev_b32_e32 v15, 2, v15
	ds_bpermute_b32 v26, v15, v14
	v_cmp_eq_u32_e64 s[16:17], 0, v29
	s_and_saveexec_b64 s[26:27], vcc
	s_cbranch_execz .LBB1435_267
; %bb.245:
	v_mov_b32_e32 v23, 0
	ds_read_b32 v14, v23 offset:12
	s_and_saveexec_b64 s[28:29], s[16:17]
	s_cbranch_execz .LBB1435_247
; %bb.246:
	s_add_i32 s36, s6, 64
	s_mov_b32 s37, 0
	s_lshl_b64 s[36:37], s[36:37], 3
	s_add_u32 s36, s30, s36
	v_mov_b32_e32 v15, 1
	s_addc_u32 s37, s31, s37
	s_waitcnt lgkmcnt(0)
	global_store_dwordx2 v23, v[14:15], s[36:37]
.LBB1435_247:
	s_or_b64 exec, exec, s[28:29]
	v_xad_u32 v16, v29, -1, s6
	v_add_u32_e32 v22, 64, v16
	v_lshlrev_b64 v[18:19], 3, v[22:23]
	v_mov_b32_e32 v15, s31
	v_add_co_u32_e32 v18, vcc, s30, v18
	v_addc_co_u32_e32 v19, vcc, v15, v19, vcc
	global_load_dwordx2 v[20:21], v[18:19], off glc
	s_waitcnt vmcnt(0)
	v_cmp_eq_u16_sdwa s[36:37], v21, v23 src0_sel:BYTE_0 src1_sel:DWORD
	s_and_saveexec_b64 s[28:29], s[36:37]
	s_cbranch_execz .LBB1435_253
; %bb.248:
	s_mov_b32 s7, 1
	s_mov_b64 s[36:37], 0
	v_mov_b32_e32 v15, 0
.LBB1435_249:                           ; =>This Loop Header: Depth=1
                                        ;     Child Loop BB1435_250 Depth 2
	s_max_u32 s33, s7, 1
.LBB1435_250:                           ;   Parent Loop BB1435_249 Depth=1
                                        ; =>  This Inner Loop Header: Depth=2
	s_add_i32 s33, s33, -1
	s_cmp_eq_u32 s33, 0
	s_sleep 1
	s_cbranch_scc0 .LBB1435_250
; %bb.251:                              ;   in Loop: Header=BB1435_249 Depth=1
	global_load_dwordx2 v[20:21], v[18:19], off glc
	s_cmp_lt_u32 s7, 32
	s_cselect_b64 s[38:39], -1, 0
	s_cmp_lg_u64 s[38:39], 0
	s_addc_u32 s7, s7, 0
	s_waitcnt vmcnt(0)
	v_cmp_ne_u16_sdwa s[38:39], v21, v15 src0_sel:BYTE_0 src1_sel:DWORD
	s_or_b64 s[36:37], s[38:39], s[36:37]
	s_andn2_b64 exec, exec, s[36:37]
	s_cbranch_execnz .LBB1435_249
; %bb.252:
	s_or_b64 exec, exec, s[36:37]
.LBB1435_253:
	s_or_b64 exec, exec, s[28:29]
	v_and_b32_e32 v32, 63, v29
	v_mov_b32_e32 v15, 2
	v_cmp_ne_u32_e32 vcc, 63, v32
	v_cmp_eq_u16_sdwa s[28:29], v21, v15 src0_sel:BYTE_0 src1_sel:DWORD
	v_lshlrev_b64 v[18:19], v29, -1
	v_addc_co_u32_e32 v23, vcc, 0, v29, vcc
	v_and_b32_e32 v17, s29, v19
	v_lshlrev_b32_e32 v33, 2, v23
	v_or_b32_e32 v17, 0x80000000, v17
	ds_bpermute_b32 v23, v33, v20
	v_and_b32_e32 v22, s28, v18
	v_ffbl_b32_e32 v17, v17
	v_add_u32_e32 v17, 32, v17
	v_ffbl_b32_e32 v22, v22
	v_min_u32_e32 v17, v22, v17
	v_cmp_lt_u32_e32 vcc, v32, v17
	s_waitcnt lgkmcnt(0)
	v_cndmask_b32_e32 v22, 0, v23, vcc
	v_cmp_gt_u32_e32 vcc, 62, v32
	v_add_u32_e32 v20, v22, v20
	v_cndmask_b32_e64 v22, 0, 1, vcc
	v_lshlrev_b32_e32 v22, 1, v22
	v_add_lshl_u32 v34, v22, v29, 2
	ds_bpermute_b32 v22, v34, v20
	v_add_u32_e32 v35, 2, v32
	v_cmp_le_u32_e32 vcc, v35, v17
	v_add_u32_e32 v37, 4, v32
	v_add_u32_e32 v39, 8, v32
	s_waitcnt lgkmcnt(0)
	v_cndmask_b32_e32 v22, 0, v22, vcc
	v_cmp_gt_u32_e32 vcc, 60, v32
	v_add_u32_e32 v20, v20, v22
	v_cndmask_b32_e64 v22, 0, 1, vcc
	v_lshlrev_b32_e32 v22, 2, v22
	v_add_lshl_u32 v36, v22, v29, 2
	ds_bpermute_b32 v22, v36, v20
	v_cmp_le_u32_e32 vcc, v37, v17
	v_add_u32_e32 v42, 16, v32
	v_add_u32_e32 v44, 32, v32
	s_waitcnt lgkmcnt(0)
	v_cndmask_b32_e32 v22, 0, v22, vcc
	v_cmp_gt_u32_e32 vcc, 56, v32
	v_add_u32_e32 v20, v20, v22
	v_cndmask_b32_e64 v22, 0, 1, vcc
	v_lshlrev_b32_e32 v22, 3, v22
	v_add_lshl_u32 v38, v22, v29, 2
	ds_bpermute_b32 v22, v38, v20
	v_cmp_le_u32_e32 vcc, v39, v17
	s_waitcnt lgkmcnt(0)
	v_cndmask_b32_e32 v22, 0, v22, vcc
	v_cmp_gt_u32_e32 vcc, 48, v32
	v_add_u32_e32 v20, v20, v22
	v_cndmask_b32_e64 v22, 0, 1, vcc
	v_lshlrev_b32_e32 v22, 4, v22
	v_add_lshl_u32 v41, v22, v29, 2
	ds_bpermute_b32 v22, v41, v20
	v_cmp_le_u32_e32 vcc, v42, v17
	;; [unrolled: 9-line block ×3, first 2 shown]
	s_waitcnt lgkmcnt(0)
	v_cndmask_b32_e32 v17, 0, v22, vcc
	v_add_u32_e32 v20, v20, v17
	v_mov_b32_e32 v17, 0
	s_branch .LBB1435_255
.LBB1435_254:                           ;   in Loop: Header=BB1435_255 Depth=1
	s_or_b64 exec, exec, s[28:29]
	v_cmp_eq_u16_sdwa s[28:29], v21, v15 src0_sel:BYTE_0 src1_sel:DWORD
	v_and_b32_e32 v22, s29, v19
	v_or_b32_e32 v22, 0x80000000, v22
	ds_bpermute_b32 v45, v33, v20
	v_and_b32_e32 v23, s28, v18
	v_ffbl_b32_e32 v22, v22
	v_add_u32_e32 v22, 32, v22
	v_ffbl_b32_e32 v23, v23
	v_min_u32_e32 v22, v23, v22
	v_cmp_lt_u32_e32 vcc, v32, v22
	s_waitcnt lgkmcnt(0)
	v_cndmask_b32_e32 v23, 0, v45, vcc
	v_add_u32_e32 v20, v23, v20
	ds_bpermute_b32 v23, v34, v20
	v_cmp_le_u32_e32 vcc, v35, v22
	v_subrev_u32_e32 v16, 64, v16
	s_waitcnt lgkmcnt(0)
	v_cndmask_b32_e32 v23, 0, v23, vcc
	v_add_u32_e32 v20, v20, v23
	ds_bpermute_b32 v23, v36, v20
	v_cmp_le_u32_e32 vcc, v37, v22
	s_waitcnt lgkmcnt(0)
	v_cndmask_b32_e32 v23, 0, v23, vcc
	v_add_u32_e32 v20, v20, v23
	ds_bpermute_b32 v23, v38, v20
	v_cmp_le_u32_e32 vcc, v39, v22
	;; [unrolled: 5-line block ×4, first 2 shown]
	s_waitcnt lgkmcnt(0)
	v_cndmask_b32_e32 v22, 0, v23, vcc
	v_add3_u32 v20, v22, v40, v20
.LBB1435_255:                           ; =>This Loop Header: Depth=1
                                        ;     Child Loop BB1435_258 Depth 2
                                        ;       Child Loop BB1435_259 Depth 3
	v_cmp_ne_u16_sdwa s[28:29], v21, v15 src0_sel:BYTE_0 src1_sel:DWORD
	v_cndmask_b32_e64 v21, 0, 1, s[28:29]
	;;#ASMSTART
	;;#ASMEND
	v_cmp_ne_u32_e32 vcc, 0, v21
	s_cmp_lg_u64 vcc, exec
	v_mov_b32_e32 v40, v20
	s_cbranch_scc1 .LBB1435_262
; %bb.256:                              ;   in Loop: Header=BB1435_255 Depth=1
	v_lshlrev_b64 v[20:21], 3, v[16:17]
	v_mov_b32_e32 v23, s31
	v_add_co_u32_e32 v22, vcc, s30, v20
	v_addc_co_u32_e32 v23, vcc, v23, v21, vcc
	global_load_dwordx2 v[20:21], v[22:23], off glc
	s_waitcnt vmcnt(0)
	v_cmp_eq_u16_sdwa s[36:37], v21, v17 src0_sel:BYTE_0 src1_sel:DWORD
	s_and_saveexec_b64 s[28:29], s[36:37]
	s_cbranch_execz .LBB1435_254
; %bb.257:                              ;   in Loop: Header=BB1435_255 Depth=1
	s_mov_b32 s7, 1
	s_mov_b64 s[36:37], 0
.LBB1435_258:                           ;   Parent Loop BB1435_255 Depth=1
                                        ; =>  This Loop Header: Depth=2
                                        ;       Child Loop BB1435_259 Depth 3
	s_max_u32 s33, s7, 1
.LBB1435_259:                           ;   Parent Loop BB1435_255 Depth=1
                                        ;     Parent Loop BB1435_258 Depth=2
                                        ; =>    This Inner Loop Header: Depth=3
	s_add_i32 s33, s33, -1
	s_cmp_eq_u32 s33, 0
	s_sleep 1
	s_cbranch_scc0 .LBB1435_259
; %bb.260:                              ;   in Loop: Header=BB1435_258 Depth=2
	global_load_dwordx2 v[20:21], v[22:23], off glc
	s_cmp_lt_u32 s7, 32
	s_cselect_b64 s[38:39], -1, 0
	s_cmp_lg_u64 s[38:39], 0
	s_addc_u32 s7, s7, 0
	s_waitcnt vmcnt(0)
	v_cmp_ne_u16_sdwa s[38:39], v21, v17 src0_sel:BYTE_0 src1_sel:DWORD
	s_or_b64 s[36:37], s[38:39], s[36:37]
	s_andn2_b64 exec, exec, s[36:37]
	s_cbranch_execnz .LBB1435_258
; %bb.261:                              ;   in Loop: Header=BB1435_255 Depth=1
	s_or_b64 exec, exec, s[36:37]
	s_branch .LBB1435_254
.LBB1435_262:                           ;   in Loop: Header=BB1435_255 Depth=1
                                        ; implicit-def: $vgpr20
                                        ; implicit-def: $vgpr21
	s_cbranch_execz .LBB1435_255
; %bb.263:
	s_and_saveexec_b64 s[28:29], s[16:17]
	s_cbranch_execz .LBB1435_265
; %bb.264:
	s_add_i32 s6, s6, 64
	s_mov_b32 s7, 0
	s_lshl_b64 s[6:7], s[6:7], 3
	s_add_u32 s6, s30, s6
	v_add_u32_e32 v16, v40, v14
	v_mov_b32_e32 v17, 2
	s_addc_u32 s7, s31, s7
	v_mov_b32_e32 v15, 0
	global_store_dwordx2 v15, v[16:17], s[6:7]
	s_movk_i32 s6, 0x2800
	v_add_u32_e64 v15, s6, 0
	ds_write2_b32 v15, v14, v40 offset1:2
.LBB1435_265:
	s_or_b64 exec, exec, s[28:29]
	v_cmp_eq_u32_e32 vcc, 0, v0
	s_and_b64 exec, exec, vcc
	s_cbranch_execz .LBB1435_267
; %bb.266:
	v_mov_b32_e32 v14, 0
	ds_write_b32 v14, v40 offset:12
.LBB1435_267:
	s_or_b64 exec, exec, s[26:27]
	v_mov_b32_e32 v14, 0
	s_waitcnt lgkmcnt(0)
	s_barrier
	ds_read_b32 v14, v14 offset:12
	v_cndmask_b32_e64 v15, v26, v24, s[16:17]
	v_cmp_ne_u32_e32 vcc, 0, v0
	v_cndmask_b32_e32 v15, 0, v15, vcc
	s_movk_i32 s6, 0x2800
	s_waitcnt lgkmcnt(0)
	v_add_u32_e32 v26, v14, v15
	v_add_u32_e64 v14, s6, 0
	s_barrier
	ds_read2_b32 v[14:15], v14 offset1:2
	v_add_u32_e32 v24, v26, v1
	v_add_u32_e32 v22, v24, v25
	;; [unrolled: 1-line block ×4, first 2 shown]
	s_load_dwordx2 s[4:5], s[4:5], 0x28
	v_lshrrev_b64 v[16:17], 24, v[12:13]
	s_branch .LBB1435_278
.LBB1435_268:
                                        ; implicit-def: $vgpr18
                                        ; implicit-def: $vgpr20
                                        ; implicit-def: $vgpr22
                                        ; implicit-def: $vgpr24
                                        ; implicit-def: $vgpr26
                                        ; implicit-def: $vgpr15
	s_load_dwordx2 s[4:5], s[4:5], 0x28
	v_lshrrev_b64 v[16:17], 24, v[12:13]
	s_cbranch_execz .LBB1435_278
; %bb.269:
	s_waitcnt lgkmcnt(0)
	v_mov_b32_dpp v14, v31 row_shr:1 row_mask:0xf bank_mask:0xf
	v_cndmask_b32_e64 v14, v14, 0, s[14:15]
	v_add_u32_e32 v14, v14, v31
	s_nop 1
	v_mov_b32_dpp v15, v14 row_shr:2 row_mask:0xf bank_mask:0xf
	v_cndmask_b32_e64 v15, 0, v15, s[12:13]
	v_add_u32_e32 v14, v14, v15
	s_nop 1
	;; [unrolled: 4-line block ×4, first 2 shown]
	v_mov_b32_dpp v15, v14 row_bcast:15 row_mask:0xf bank_mask:0xf
	v_cndmask_b32_e64 v15, v15, 0, s[18:19]
	v_add_u32_e32 v14, v14, v15
	s_nop 1
	v_mov_b32_dpp v15, v14 row_bcast:31 row_mask:0xf bank_mask:0xf
	v_cndmask_b32_e64 v15, 0, v15, s[0:1]
	v_add_u32_e32 v14, v14, v15
	s_and_saveexec_b64 s[0:1], s[2:3]
	s_cbranch_execz .LBB1435_271
; %bb.270:
	v_lshlrev_b32_e32 v15, 2, v30
	ds_write_b32 v15, v14
.LBB1435_271:
	s_or_b64 exec, exec, s[0:1]
	v_cmp_gt_u32_e32 vcc, 4, v0
	s_waitcnt lgkmcnt(0)
	s_barrier
	s_and_saveexec_b64 s[0:1], vcc
	s_cbranch_execz .LBB1435_273
; %bb.272:
	v_lshlrev_b32_e32 v15, 2, v0
	ds_read_b32 v17, v15
	v_and_b32_e32 v18, 3, v29
	v_cmp_ne_u32_e32 vcc, 0, v18
	s_waitcnt lgkmcnt(0)
	v_mov_b32_dpp v19, v17 row_shr:1 row_mask:0xf bank_mask:0xf
	v_cndmask_b32_e32 v19, 0, v19, vcc
	v_add_u32_e32 v17, v19, v17
	v_cmp_lt_u32_e32 vcc, 1, v18
	s_nop 0
	v_mov_b32_dpp v19, v17 row_shr:2 row_mask:0xf bank_mask:0xf
	v_cndmask_b32_e32 v18, 0, v19, vcc
	v_add_u32_e32 v17, v17, v18
	ds_write_b32 v15, v17
.LBB1435_273:
	s_or_b64 exec, exec, s[0:1]
	v_cmp_lt_u32_e32 vcc, 63, v0
	v_mov_b32_e32 v15, 0
	v_mov_b32_e32 v17, 0
	s_waitcnt lgkmcnt(0)
	s_barrier
	s_and_saveexec_b64 s[0:1], vcc
	s_cbranch_execz .LBB1435_275
; %bb.274:
	v_lshl_add_u32 v17, v30, 2, -4
	ds_read_b32 v17, v17
.LBB1435_275:
	s_or_b64 exec, exec, s[0:1]
	v_add_u32_e32 v18, -1, v29
	v_and_b32_e32 v19, 64, v29
	v_cmp_lt_i32_e32 vcc, v18, v19
	v_cndmask_b32_e32 v18, v18, v29, vcc
	s_waitcnt lgkmcnt(0)
	v_add_u32_e32 v14, v17, v14
	v_lshlrev_b32_e32 v18, 2, v18
	ds_bpermute_b32 v18, v18, v14
	ds_read_b32 v14, v15 offset:12
	v_cmp_eq_u32_e32 vcc, 0, v0
	s_and_saveexec_b64 s[0:1], vcc
	s_cbranch_execz .LBB1435_277
; %bb.276:
	v_mov_b32_e32 v19, 0
	v_mov_b32_e32 v15, 2
	s_waitcnt lgkmcnt(0)
	global_store_dwordx2 v19, v[14:15], s[30:31] offset:512
.LBB1435_277:
	s_or_b64 exec, exec, s[0:1]
	v_cmp_eq_u32_e64 s[0:1], 0, v29
	s_waitcnt lgkmcnt(1)
	v_cndmask_b32_e64 v17, v18, v17, s[0:1]
	v_cndmask_b32_e64 v26, v17, 0, vcc
	v_add_u32_e32 v24, v26, v1
	v_add_u32_e32 v22, v24, v25
	;; [unrolled: 1-line block ×3, first 2 shown]
	v_mov_b32_e32 v15, 0
	v_add_u32_e32 v18, v20, v28
	s_waitcnt lgkmcnt(0)
	s_barrier
.LBB1435_278:
	s_movk_i32 s0, 0x101
	s_waitcnt lgkmcnt(0)
	v_cmp_gt_u32_e32 vcc, s0, v14
	v_lshrrev_b32_e32 v1, 8, v12
	s_mov_b64 s[0:1], -1
	s_cbranch_vccnz .LBB1435_282
; %bb.279:
	s_and_b64 vcc, exec, s[0:1]
	s_cbranch_vccnz .LBB1435_298
.LBB1435_280:
	v_cmp_eq_u32_e32 vcc, 0, v0
	s_and_b64 s[0:1], vcc, s[24:25]
	s_and_saveexec_b64 s[2:3], s[0:1]
	s_cbranch_execnz .LBB1435_312
.LBB1435_281:
	s_endpgm
.LBB1435_282:
	v_add_u32_e32 v17, v15, v14
	v_cmp_lt_u32_e32 vcc, v26, v17
	s_or_b64 s[2:3], s[34:35], vcc
	s_and_saveexec_b64 s[0:1], s[2:3]
	s_cbranch_execz .LBB1435_285
; %bb.283:
	v_and_b32_e32 v19, 1, v12
	v_cmp_eq_u32_e32 vcc, 1, v19
	s_and_b64 exec, exec, vcc
	s_cbranch_execz .LBB1435_285
; %bb.284:
	s_lshl_b64 s[2:3], s[22:23], 3
	s_add_u32 s2, s4, s2
	v_mov_b32_e32 v27, 0
	s_addc_u32 s3, s5, s3
	v_lshlrev_b64 v[28:29], 3, v[26:27]
	v_mov_b32_e32 v19, s3
	v_add_co_u32_e32 v28, vcc, s2, v28
	v_addc_co_u32_e32 v29, vcc, v19, v29, vcc
	global_store_dwordx2 v[28:29], v[6:7], off
.LBB1435_285:
	s_or_b64 exec, exec, s[0:1]
	v_cmp_lt_u32_e32 vcc, v24, v17
	s_or_b64 s[2:3], s[34:35], vcc
	s_and_saveexec_b64 s[0:1], s[2:3]
	s_cbranch_execz .LBB1435_288
; %bb.286:
	v_and_b32_e32 v19, 1, v1
	v_cmp_eq_u32_e32 vcc, 1, v19
	s_and_b64 exec, exec, vcc
	s_cbranch_execz .LBB1435_288
; %bb.287:
	s_lshl_b64 s[2:3], s[22:23], 3
	s_add_u32 s2, s4, s2
	v_mov_b32_e32 v25, 0
	s_addc_u32 s3, s5, s3
	v_lshlrev_b64 v[28:29], 3, v[24:25]
	v_mov_b32_e32 v19, s3
	v_add_co_u32_e32 v28, vcc, s2, v28
	v_addc_co_u32_e32 v29, vcc, v19, v29, vcc
	global_store_dwordx2 v[28:29], v[8:9], off
.LBB1435_288:
	s_or_b64 exec, exec, s[0:1]
	v_cmp_lt_u32_e32 vcc, v22, v17
	s_or_b64 s[2:3], s[34:35], vcc
	s_and_saveexec_b64 s[0:1], s[2:3]
	s_cbranch_execz .LBB1435_291
; %bb.289:
	v_mov_b32_e32 v19, 1
	v_and_b32_sdwa v19, v19, v12 dst_sel:DWORD dst_unused:UNUSED_PAD src0_sel:DWORD src1_sel:WORD_1
	v_cmp_eq_u32_e32 vcc, 1, v19
	s_and_b64 exec, exec, vcc
	s_cbranch_execz .LBB1435_291
; %bb.290:
	s_lshl_b64 s[2:3], s[22:23], 3
	s_add_u32 s2, s4, s2
	v_mov_b32_e32 v23, 0
	s_addc_u32 s3, s5, s3
	v_lshlrev_b64 v[28:29], 3, v[22:23]
	v_mov_b32_e32 v19, s3
	v_add_co_u32_e32 v28, vcc, s2, v28
	v_addc_co_u32_e32 v29, vcc, v19, v29, vcc
	global_store_dwordx2 v[28:29], v[2:3], off
.LBB1435_291:
	s_or_b64 exec, exec, s[0:1]
	v_cmp_lt_u32_e32 vcc, v20, v17
	s_or_b64 s[2:3], s[34:35], vcc
	s_and_saveexec_b64 s[0:1], s[2:3]
	s_cbranch_execz .LBB1435_294
; %bb.292:
	v_and_b32_e32 v19, 1, v16
	v_cmp_eq_u32_e32 vcc, 1, v19
	s_and_b64 exec, exec, vcc
	s_cbranch_execz .LBB1435_294
; %bb.293:
	s_lshl_b64 s[2:3], s[22:23], 3
	s_add_u32 s2, s4, s2
	v_mov_b32_e32 v21, 0
	s_addc_u32 s3, s5, s3
	v_lshlrev_b64 v[28:29], 3, v[20:21]
	v_mov_b32_e32 v19, s3
	v_add_co_u32_e32 v28, vcc, s2, v28
	v_addc_co_u32_e32 v29, vcc, v19, v29, vcc
	global_store_dwordx2 v[28:29], v[4:5], off
.LBB1435_294:
	s_or_b64 exec, exec, s[0:1]
	v_cmp_lt_u32_e32 vcc, v18, v17
	s_or_b64 s[2:3], s[34:35], vcc
	s_and_saveexec_b64 s[0:1], s[2:3]
	s_cbranch_execz .LBB1435_297
; %bb.295:
	v_and_b32_e32 v17, 1, v13
	v_cmp_eq_u32_e32 vcc, 1, v17
	s_and_b64 exec, exec, vcc
	s_cbranch_execz .LBB1435_297
; %bb.296:
	s_lshl_b64 s[2:3], s[22:23], 3
	s_add_u32 s2, s4, s2
	v_mov_b32_e32 v19, 0
	s_addc_u32 s3, s5, s3
	v_lshlrev_b64 v[28:29], 3, v[18:19]
	v_mov_b32_e32 v17, s3
	v_add_co_u32_e32 v28, vcc, s2, v28
	v_addc_co_u32_e32 v29, vcc, v17, v29, vcc
	global_store_dwordx2 v[28:29], v[10:11], off
.LBB1435_297:
	s_or_b64 exec, exec, s[0:1]
	s_branch .LBB1435_280
.LBB1435_298:
	v_and_b32_e32 v17, 1, v12
	v_cmp_eq_u32_e32 vcc, 1, v17
	s_and_saveexec_b64 s[0:1], vcc
	s_cbranch_execz .LBB1435_300
; %bb.299:
	v_sub_u32_e32 v17, v26, v15
	v_lshlrev_b32_e32 v17, 3, v17
	ds_write_b64 v17, v[6:7]
.LBB1435_300:
	s_or_b64 exec, exec, s[0:1]
	v_and_b32_e32 v1, 1, v1
	v_cmp_eq_u32_e32 vcc, 1, v1
	s_and_saveexec_b64 s[0:1], vcc
	s_cbranch_execz .LBB1435_302
; %bb.301:
	v_sub_u32_e32 v1, v24, v15
	v_lshlrev_b32_e32 v1, 3, v1
	ds_write_b64 v1, v[8:9]
.LBB1435_302:
	s_or_b64 exec, exec, s[0:1]
	v_mov_b32_e32 v1, 1
	v_and_b32_sdwa v1, v1, v12 dst_sel:DWORD dst_unused:UNUSED_PAD src0_sel:DWORD src1_sel:WORD_1
	v_cmp_eq_u32_e32 vcc, 1, v1
	s_and_saveexec_b64 s[0:1], vcc
	s_cbranch_execz .LBB1435_304
; %bb.303:
	v_sub_u32_e32 v1, v22, v15
	v_lshlrev_b32_e32 v1, 3, v1
	ds_write_b64 v1, v[2:3]
.LBB1435_304:
	s_or_b64 exec, exec, s[0:1]
	v_and_b32_e32 v1, 1, v16
	v_cmp_eq_u32_e32 vcc, 1, v1
	s_and_saveexec_b64 s[0:1], vcc
	s_cbranch_execz .LBB1435_306
; %bb.305:
	v_sub_u32_e32 v1, v20, v15
	v_lshlrev_b32_e32 v1, 3, v1
	ds_write_b64 v1, v[4:5]
.LBB1435_306:
	s_or_b64 exec, exec, s[0:1]
	v_and_b32_e32 v1, 1, v13
	v_cmp_eq_u32_e32 vcc, 1, v1
	s_and_saveexec_b64 s[0:1], vcc
	s_cbranch_execz .LBB1435_308
; %bb.307:
	v_sub_u32_e32 v1, v18, v15
	v_lshlrev_b32_e32 v1, 3, v1
	ds_write_b64 v1, v[10:11]
.LBB1435_308:
	s_or_b64 exec, exec, s[0:1]
	v_cmp_lt_u32_e32 vcc, v0, v14
	s_waitcnt lgkmcnt(0)
	s_barrier
	s_and_saveexec_b64 s[0:1], vcc
	s_cbranch_execz .LBB1435_311
; %bb.309:
	v_mov_b32_e32 v3, 0
	v_mov_b32_e32 v2, v15
	v_lshlrev_b64 v[4:5], 3, v[2:3]
	v_mov_b32_e32 v1, s5
	v_add_co_u32_e32 v2, vcc, s4, v4
	v_addc_co_u32_e32 v4, vcc, v1, v5, vcc
	s_lshl_b64 s[2:3], s[22:23], 3
	v_mov_b32_e32 v5, s3
	v_add_co_u32_e32 v1, vcc, s2, v2
	v_addc_co_u32_e32 v4, vcc, v4, v5, vcc
	v_lshlrev_b32_e32 v5, 3, v0
	s_mov_b64 s[2:3], 0
	v_mov_b32_e32 v2, v0
.LBB1435_310:                           ; =>This Inner Loop Header: Depth=1
	ds_read_b64 v[6:7], v5
	v_lshlrev_b64 v[8:9], 3, v[2:3]
	v_add_co_u32_e32 v8, vcc, v1, v8
	v_add_u32_e32 v2, 0x100, v2
	v_addc_co_u32_e32 v9, vcc, v4, v9, vcc
	v_cmp_ge_u32_e32 vcc, v2, v14
	v_add_u32_e32 v5, 0x800, v5
	s_or_b64 s[2:3], vcc, s[2:3]
	s_waitcnt lgkmcnt(0)
	global_store_dwordx2 v[8:9], v[6:7], off
	s_andn2_b64 exec, exec, s[2:3]
	s_cbranch_execnz .LBB1435_310
.LBB1435_311:
	s_or_b64 exec, exec, s[0:1]
	v_cmp_eq_u32_e32 vcc, 0, v0
	s_and_b64 s[0:1], vcc, s[24:25]
	s_and_saveexec_b64 s[2:3], s[0:1]
	s_cbranch_execz .LBB1435_281
.LBB1435_312:
	v_mov_b32_e32 v0, s23
	v_add_co_u32_e32 v1, vcc, s22, v14
	v_addc_co_u32_e32 v3, vcc, 0, v0, vcc
	v_add_co_u32_e32 v0, vcc, v1, v15
	v_mov_b32_e32 v2, 0
	v_addc_co_u32_e32 v1, vcc, 0, v3, vcc
	global_store_dwordx2 v2, v[0:1], s[20:21]
	s_endpgm
	.section	.rodata,"a",@progbits
	.p2align	6, 0x0
	.amdhsa_kernel _ZN7rocprim17ROCPRIM_400000_NS6detail17trampoline_kernelINS0_14default_configENS1_25partition_config_selectorILNS1_17partition_subalgoE8ElNS0_10empty_typeEbEEZZNS1_14partition_implILS5_8ELb0ES3_jPlPS6_PKS6_NS0_5tupleIJS9_S6_EEENSD_IJSA_SA_EEENS0_18inequality_wrapperIZN2at6native12_GLOBAL__N_124unique_dim_cuda_templateItEESt5tupleIJNSH_6TensorESM_SM_EERKSM_lbbbEUlllE0_EEPmJS6_EEE10hipError_tPvRmT3_T4_T5_T6_T7_T9_mT8_P12ihipStream_tbDpT10_ENKUlT_T0_E_clISt17integral_constantIbLb1EES1B_IbLb0EEEEDaS17_S18_EUlS17_E_NS1_11comp_targetILNS1_3genE4ELNS1_11target_archE910ELNS1_3gpuE8ELNS1_3repE0EEENS1_30default_config_static_selectorELNS0_4arch9wavefront6targetE1EEEvT1_
		.amdhsa_group_segment_fixed_size 10252
		.amdhsa_private_segment_fixed_size 0
		.amdhsa_kernarg_size 120
		.amdhsa_user_sgpr_count 6
		.amdhsa_user_sgpr_private_segment_buffer 1
		.amdhsa_user_sgpr_dispatch_ptr 0
		.amdhsa_user_sgpr_queue_ptr 0
		.amdhsa_user_sgpr_kernarg_segment_ptr 1
		.amdhsa_user_sgpr_dispatch_id 0
		.amdhsa_user_sgpr_flat_scratch_init 0
		.amdhsa_user_sgpr_kernarg_preload_length 0
		.amdhsa_user_sgpr_kernarg_preload_offset 0
		.amdhsa_user_sgpr_private_segment_size 0
		.amdhsa_uses_dynamic_stack 0
		.amdhsa_system_sgpr_private_segment_wavefront_offset 0
		.amdhsa_system_sgpr_workgroup_id_x 1
		.amdhsa_system_sgpr_workgroup_id_y 0
		.amdhsa_system_sgpr_workgroup_id_z 0
		.amdhsa_system_sgpr_workgroup_info 0
		.amdhsa_system_vgpr_workitem_id 0
		.amdhsa_next_free_vgpr 46
		.amdhsa_next_free_sgpr 48
		.amdhsa_accum_offset 48
		.amdhsa_reserve_vcc 1
		.amdhsa_reserve_flat_scratch 0
		.amdhsa_float_round_mode_32 0
		.amdhsa_float_round_mode_16_64 0
		.amdhsa_float_denorm_mode_32 3
		.amdhsa_float_denorm_mode_16_64 3
		.amdhsa_dx10_clamp 1
		.amdhsa_ieee_mode 1
		.amdhsa_fp16_overflow 0
		.amdhsa_tg_split 0
		.amdhsa_exception_fp_ieee_invalid_op 0
		.amdhsa_exception_fp_denorm_src 0
		.amdhsa_exception_fp_ieee_div_zero 0
		.amdhsa_exception_fp_ieee_overflow 0
		.amdhsa_exception_fp_ieee_underflow 0
		.amdhsa_exception_fp_ieee_inexact 0
		.amdhsa_exception_int_div_zero 0
	.end_amdhsa_kernel
	.section	.text._ZN7rocprim17ROCPRIM_400000_NS6detail17trampoline_kernelINS0_14default_configENS1_25partition_config_selectorILNS1_17partition_subalgoE8ElNS0_10empty_typeEbEEZZNS1_14partition_implILS5_8ELb0ES3_jPlPS6_PKS6_NS0_5tupleIJS9_S6_EEENSD_IJSA_SA_EEENS0_18inequality_wrapperIZN2at6native12_GLOBAL__N_124unique_dim_cuda_templateItEESt5tupleIJNSH_6TensorESM_SM_EERKSM_lbbbEUlllE0_EEPmJS6_EEE10hipError_tPvRmT3_T4_T5_T6_T7_T9_mT8_P12ihipStream_tbDpT10_ENKUlT_T0_E_clISt17integral_constantIbLb1EES1B_IbLb0EEEEDaS17_S18_EUlS17_E_NS1_11comp_targetILNS1_3genE4ELNS1_11target_archE910ELNS1_3gpuE8ELNS1_3repE0EEENS1_30default_config_static_selectorELNS0_4arch9wavefront6targetE1EEEvT1_,"axG",@progbits,_ZN7rocprim17ROCPRIM_400000_NS6detail17trampoline_kernelINS0_14default_configENS1_25partition_config_selectorILNS1_17partition_subalgoE8ElNS0_10empty_typeEbEEZZNS1_14partition_implILS5_8ELb0ES3_jPlPS6_PKS6_NS0_5tupleIJS9_S6_EEENSD_IJSA_SA_EEENS0_18inequality_wrapperIZN2at6native12_GLOBAL__N_124unique_dim_cuda_templateItEESt5tupleIJNSH_6TensorESM_SM_EERKSM_lbbbEUlllE0_EEPmJS6_EEE10hipError_tPvRmT3_T4_T5_T6_T7_T9_mT8_P12ihipStream_tbDpT10_ENKUlT_T0_E_clISt17integral_constantIbLb1EES1B_IbLb0EEEEDaS17_S18_EUlS17_E_NS1_11comp_targetILNS1_3genE4ELNS1_11target_archE910ELNS1_3gpuE8ELNS1_3repE0EEENS1_30default_config_static_selectorELNS0_4arch9wavefront6targetE1EEEvT1_,comdat
.Lfunc_end1435:
	.size	_ZN7rocprim17ROCPRIM_400000_NS6detail17trampoline_kernelINS0_14default_configENS1_25partition_config_selectorILNS1_17partition_subalgoE8ElNS0_10empty_typeEbEEZZNS1_14partition_implILS5_8ELb0ES3_jPlPS6_PKS6_NS0_5tupleIJS9_S6_EEENSD_IJSA_SA_EEENS0_18inequality_wrapperIZN2at6native12_GLOBAL__N_124unique_dim_cuda_templateItEESt5tupleIJNSH_6TensorESM_SM_EERKSM_lbbbEUlllE0_EEPmJS6_EEE10hipError_tPvRmT3_T4_T5_T6_T7_T9_mT8_P12ihipStream_tbDpT10_ENKUlT_T0_E_clISt17integral_constantIbLb1EES1B_IbLb0EEEEDaS17_S18_EUlS17_E_NS1_11comp_targetILNS1_3genE4ELNS1_11target_archE910ELNS1_3gpuE8ELNS1_3repE0EEENS1_30default_config_static_selectorELNS0_4arch9wavefront6targetE1EEEvT1_, .Lfunc_end1435-_ZN7rocprim17ROCPRIM_400000_NS6detail17trampoline_kernelINS0_14default_configENS1_25partition_config_selectorILNS1_17partition_subalgoE8ElNS0_10empty_typeEbEEZZNS1_14partition_implILS5_8ELb0ES3_jPlPS6_PKS6_NS0_5tupleIJS9_S6_EEENSD_IJSA_SA_EEENS0_18inequality_wrapperIZN2at6native12_GLOBAL__N_124unique_dim_cuda_templateItEESt5tupleIJNSH_6TensorESM_SM_EERKSM_lbbbEUlllE0_EEPmJS6_EEE10hipError_tPvRmT3_T4_T5_T6_T7_T9_mT8_P12ihipStream_tbDpT10_ENKUlT_T0_E_clISt17integral_constantIbLb1EES1B_IbLb0EEEEDaS17_S18_EUlS17_E_NS1_11comp_targetILNS1_3genE4ELNS1_11target_archE910ELNS1_3gpuE8ELNS1_3repE0EEENS1_30default_config_static_selectorELNS0_4arch9wavefront6targetE1EEEvT1_
                                        ; -- End function
	.section	.AMDGPU.csdata,"",@progbits
; Kernel info:
; codeLenInByte = 11456
; NumSgprs: 52
; NumVgprs: 46
; NumAgprs: 0
; TotalNumVgprs: 46
; ScratchSize: 0
; MemoryBound: 0
; FloatMode: 240
; IeeeMode: 1
; LDSByteSize: 10252 bytes/workgroup (compile time only)
; SGPRBlocks: 6
; VGPRBlocks: 5
; NumSGPRsForWavesPerEU: 52
; NumVGPRsForWavesPerEU: 46
; AccumOffset: 48
; Occupancy: 6
; WaveLimiterHint : 1
; COMPUTE_PGM_RSRC2:SCRATCH_EN: 0
; COMPUTE_PGM_RSRC2:USER_SGPR: 6
; COMPUTE_PGM_RSRC2:TRAP_HANDLER: 0
; COMPUTE_PGM_RSRC2:TGID_X_EN: 1
; COMPUTE_PGM_RSRC2:TGID_Y_EN: 0
; COMPUTE_PGM_RSRC2:TGID_Z_EN: 0
; COMPUTE_PGM_RSRC2:TIDIG_COMP_CNT: 0
; COMPUTE_PGM_RSRC3_GFX90A:ACCUM_OFFSET: 11
; COMPUTE_PGM_RSRC3_GFX90A:TG_SPLIT: 0
	.section	.text._ZN7rocprim17ROCPRIM_400000_NS6detail17trampoline_kernelINS0_14default_configENS1_25partition_config_selectorILNS1_17partition_subalgoE8ElNS0_10empty_typeEbEEZZNS1_14partition_implILS5_8ELb0ES3_jPlPS6_PKS6_NS0_5tupleIJS9_S6_EEENSD_IJSA_SA_EEENS0_18inequality_wrapperIZN2at6native12_GLOBAL__N_124unique_dim_cuda_templateItEESt5tupleIJNSH_6TensorESM_SM_EERKSM_lbbbEUlllE0_EEPmJS6_EEE10hipError_tPvRmT3_T4_T5_T6_T7_T9_mT8_P12ihipStream_tbDpT10_ENKUlT_T0_E_clISt17integral_constantIbLb1EES1B_IbLb0EEEEDaS17_S18_EUlS17_E_NS1_11comp_targetILNS1_3genE3ELNS1_11target_archE908ELNS1_3gpuE7ELNS1_3repE0EEENS1_30default_config_static_selectorELNS0_4arch9wavefront6targetE1EEEvT1_,"axG",@progbits,_ZN7rocprim17ROCPRIM_400000_NS6detail17trampoline_kernelINS0_14default_configENS1_25partition_config_selectorILNS1_17partition_subalgoE8ElNS0_10empty_typeEbEEZZNS1_14partition_implILS5_8ELb0ES3_jPlPS6_PKS6_NS0_5tupleIJS9_S6_EEENSD_IJSA_SA_EEENS0_18inequality_wrapperIZN2at6native12_GLOBAL__N_124unique_dim_cuda_templateItEESt5tupleIJNSH_6TensorESM_SM_EERKSM_lbbbEUlllE0_EEPmJS6_EEE10hipError_tPvRmT3_T4_T5_T6_T7_T9_mT8_P12ihipStream_tbDpT10_ENKUlT_T0_E_clISt17integral_constantIbLb1EES1B_IbLb0EEEEDaS17_S18_EUlS17_E_NS1_11comp_targetILNS1_3genE3ELNS1_11target_archE908ELNS1_3gpuE7ELNS1_3repE0EEENS1_30default_config_static_selectorELNS0_4arch9wavefront6targetE1EEEvT1_,comdat
	.globl	_ZN7rocprim17ROCPRIM_400000_NS6detail17trampoline_kernelINS0_14default_configENS1_25partition_config_selectorILNS1_17partition_subalgoE8ElNS0_10empty_typeEbEEZZNS1_14partition_implILS5_8ELb0ES3_jPlPS6_PKS6_NS0_5tupleIJS9_S6_EEENSD_IJSA_SA_EEENS0_18inequality_wrapperIZN2at6native12_GLOBAL__N_124unique_dim_cuda_templateItEESt5tupleIJNSH_6TensorESM_SM_EERKSM_lbbbEUlllE0_EEPmJS6_EEE10hipError_tPvRmT3_T4_T5_T6_T7_T9_mT8_P12ihipStream_tbDpT10_ENKUlT_T0_E_clISt17integral_constantIbLb1EES1B_IbLb0EEEEDaS17_S18_EUlS17_E_NS1_11comp_targetILNS1_3genE3ELNS1_11target_archE908ELNS1_3gpuE7ELNS1_3repE0EEENS1_30default_config_static_selectorELNS0_4arch9wavefront6targetE1EEEvT1_ ; -- Begin function _ZN7rocprim17ROCPRIM_400000_NS6detail17trampoline_kernelINS0_14default_configENS1_25partition_config_selectorILNS1_17partition_subalgoE8ElNS0_10empty_typeEbEEZZNS1_14partition_implILS5_8ELb0ES3_jPlPS6_PKS6_NS0_5tupleIJS9_S6_EEENSD_IJSA_SA_EEENS0_18inequality_wrapperIZN2at6native12_GLOBAL__N_124unique_dim_cuda_templateItEESt5tupleIJNSH_6TensorESM_SM_EERKSM_lbbbEUlllE0_EEPmJS6_EEE10hipError_tPvRmT3_T4_T5_T6_T7_T9_mT8_P12ihipStream_tbDpT10_ENKUlT_T0_E_clISt17integral_constantIbLb1EES1B_IbLb0EEEEDaS17_S18_EUlS17_E_NS1_11comp_targetILNS1_3genE3ELNS1_11target_archE908ELNS1_3gpuE7ELNS1_3repE0EEENS1_30default_config_static_selectorELNS0_4arch9wavefront6targetE1EEEvT1_
	.p2align	8
	.type	_ZN7rocprim17ROCPRIM_400000_NS6detail17trampoline_kernelINS0_14default_configENS1_25partition_config_selectorILNS1_17partition_subalgoE8ElNS0_10empty_typeEbEEZZNS1_14partition_implILS5_8ELb0ES3_jPlPS6_PKS6_NS0_5tupleIJS9_S6_EEENSD_IJSA_SA_EEENS0_18inequality_wrapperIZN2at6native12_GLOBAL__N_124unique_dim_cuda_templateItEESt5tupleIJNSH_6TensorESM_SM_EERKSM_lbbbEUlllE0_EEPmJS6_EEE10hipError_tPvRmT3_T4_T5_T6_T7_T9_mT8_P12ihipStream_tbDpT10_ENKUlT_T0_E_clISt17integral_constantIbLb1EES1B_IbLb0EEEEDaS17_S18_EUlS17_E_NS1_11comp_targetILNS1_3genE3ELNS1_11target_archE908ELNS1_3gpuE7ELNS1_3repE0EEENS1_30default_config_static_selectorELNS0_4arch9wavefront6targetE1EEEvT1_,@function
_ZN7rocprim17ROCPRIM_400000_NS6detail17trampoline_kernelINS0_14default_configENS1_25partition_config_selectorILNS1_17partition_subalgoE8ElNS0_10empty_typeEbEEZZNS1_14partition_implILS5_8ELb0ES3_jPlPS6_PKS6_NS0_5tupleIJS9_S6_EEENSD_IJSA_SA_EEENS0_18inequality_wrapperIZN2at6native12_GLOBAL__N_124unique_dim_cuda_templateItEESt5tupleIJNSH_6TensorESM_SM_EERKSM_lbbbEUlllE0_EEPmJS6_EEE10hipError_tPvRmT3_T4_T5_T6_T7_T9_mT8_P12ihipStream_tbDpT10_ENKUlT_T0_E_clISt17integral_constantIbLb1EES1B_IbLb0EEEEDaS17_S18_EUlS17_E_NS1_11comp_targetILNS1_3genE3ELNS1_11target_archE908ELNS1_3gpuE7ELNS1_3repE0EEENS1_30default_config_static_selectorELNS0_4arch9wavefront6targetE1EEEvT1_: ; @_ZN7rocprim17ROCPRIM_400000_NS6detail17trampoline_kernelINS0_14default_configENS1_25partition_config_selectorILNS1_17partition_subalgoE8ElNS0_10empty_typeEbEEZZNS1_14partition_implILS5_8ELb0ES3_jPlPS6_PKS6_NS0_5tupleIJS9_S6_EEENSD_IJSA_SA_EEENS0_18inequality_wrapperIZN2at6native12_GLOBAL__N_124unique_dim_cuda_templateItEESt5tupleIJNSH_6TensorESM_SM_EERKSM_lbbbEUlllE0_EEPmJS6_EEE10hipError_tPvRmT3_T4_T5_T6_T7_T9_mT8_P12ihipStream_tbDpT10_ENKUlT_T0_E_clISt17integral_constantIbLb1EES1B_IbLb0EEEEDaS17_S18_EUlS17_E_NS1_11comp_targetILNS1_3genE3ELNS1_11target_archE908ELNS1_3gpuE7ELNS1_3repE0EEENS1_30default_config_static_selectorELNS0_4arch9wavefront6targetE1EEEvT1_
; %bb.0:
	.section	.rodata,"a",@progbits
	.p2align	6, 0x0
	.amdhsa_kernel _ZN7rocprim17ROCPRIM_400000_NS6detail17trampoline_kernelINS0_14default_configENS1_25partition_config_selectorILNS1_17partition_subalgoE8ElNS0_10empty_typeEbEEZZNS1_14partition_implILS5_8ELb0ES3_jPlPS6_PKS6_NS0_5tupleIJS9_S6_EEENSD_IJSA_SA_EEENS0_18inequality_wrapperIZN2at6native12_GLOBAL__N_124unique_dim_cuda_templateItEESt5tupleIJNSH_6TensorESM_SM_EERKSM_lbbbEUlllE0_EEPmJS6_EEE10hipError_tPvRmT3_T4_T5_T6_T7_T9_mT8_P12ihipStream_tbDpT10_ENKUlT_T0_E_clISt17integral_constantIbLb1EES1B_IbLb0EEEEDaS17_S18_EUlS17_E_NS1_11comp_targetILNS1_3genE3ELNS1_11target_archE908ELNS1_3gpuE7ELNS1_3repE0EEENS1_30default_config_static_selectorELNS0_4arch9wavefront6targetE1EEEvT1_
		.amdhsa_group_segment_fixed_size 0
		.amdhsa_private_segment_fixed_size 0
		.amdhsa_kernarg_size 120
		.amdhsa_user_sgpr_count 6
		.amdhsa_user_sgpr_private_segment_buffer 1
		.amdhsa_user_sgpr_dispatch_ptr 0
		.amdhsa_user_sgpr_queue_ptr 0
		.amdhsa_user_sgpr_kernarg_segment_ptr 1
		.amdhsa_user_sgpr_dispatch_id 0
		.amdhsa_user_sgpr_flat_scratch_init 0
		.amdhsa_user_sgpr_kernarg_preload_length 0
		.amdhsa_user_sgpr_kernarg_preload_offset 0
		.amdhsa_user_sgpr_private_segment_size 0
		.amdhsa_uses_dynamic_stack 0
		.amdhsa_system_sgpr_private_segment_wavefront_offset 0
		.amdhsa_system_sgpr_workgroup_id_x 1
		.amdhsa_system_sgpr_workgroup_id_y 0
		.amdhsa_system_sgpr_workgroup_id_z 0
		.amdhsa_system_sgpr_workgroup_info 0
		.amdhsa_system_vgpr_workitem_id 0
		.amdhsa_next_free_vgpr 1
		.amdhsa_next_free_sgpr 0
		.amdhsa_accum_offset 4
		.amdhsa_reserve_vcc 0
		.amdhsa_reserve_flat_scratch 0
		.amdhsa_float_round_mode_32 0
		.amdhsa_float_round_mode_16_64 0
		.amdhsa_float_denorm_mode_32 3
		.amdhsa_float_denorm_mode_16_64 3
		.amdhsa_dx10_clamp 1
		.amdhsa_ieee_mode 1
		.amdhsa_fp16_overflow 0
		.amdhsa_tg_split 0
		.amdhsa_exception_fp_ieee_invalid_op 0
		.amdhsa_exception_fp_denorm_src 0
		.amdhsa_exception_fp_ieee_div_zero 0
		.amdhsa_exception_fp_ieee_overflow 0
		.amdhsa_exception_fp_ieee_underflow 0
		.amdhsa_exception_fp_ieee_inexact 0
		.amdhsa_exception_int_div_zero 0
	.end_amdhsa_kernel
	.section	.text._ZN7rocprim17ROCPRIM_400000_NS6detail17trampoline_kernelINS0_14default_configENS1_25partition_config_selectorILNS1_17partition_subalgoE8ElNS0_10empty_typeEbEEZZNS1_14partition_implILS5_8ELb0ES3_jPlPS6_PKS6_NS0_5tupleIJS9_S6_EEENSD_IJSA_SA_EEENS0_18inequality_wrapperIZN2at6native12_GLOBAL__N_124unique_dim_cuda_templateItEESt5tupleIJNSH_6TensorESM_SM_EERKSM_lbbbEUlllE0_EEPmJS6_EEE10hipError_tPvRmT3_T4_T5_T6_T7_T9_mT8_P12ihipStream_tbDpT10_ENKUlT_T0_E_clISt17integral_constantIbLb1EES1B_IbLb0EEEEDaS17_S18_EUlS17_E_NS1_11comp_targetILNS1_3genE3ELNS1_11target_archE908ELNS1_3gpuE7ELNS1_3repE0EEENS1_30default_config_static_selectorELNS0_4arch9wavefront6targetE1EEEvT1_,"axG",@progbits,_ZN7rocprim17ROCPRIM_400000_NS6detail17trampoline_kernelINS0_14default_configENS1_25partition_config_selectorILNS1_17partition_subalgoE8ElNS0_10empty_typeEbEEZZNS1_14partition_implILS5_8ELb0ES3_jPlPS6_PKS6_NS0_5tupleIJS9_S6_EEENSD_IJSA_SA_EEENS0_18inequality_wrapperIZN2at6native12_GLOBAL__N_124unique_dim_cuda_templateItEESt5tupleIJNSH_6TensorESM_SM_EERKSM_lbbbEUlllE0_EEPmJS6_EEE10hipError_tPvRmT3_T4_T5_T6_T7_T9_mT8_P12ihipStream_tbDpT10_ENKUlT_T0_E_clISt17integral_constantIbLb1EES1B_IbLb0EEEEDaS17_S18_EUlS17_E_NS1_11comp_targetILNS1_3genE3ELNS1_11target_archE908ELNS1_3gpuE7ELNS1_3repE0EEENS1_30default_config_static_selectorELNS0_4arch9wavefront6targetE1EEEvT1_,comdat
.Lfunc_end1436:
	.size	_ZN7rocprim17ROCPRIM_400000_NS6detail17trampoline_kernelINS0_14default_configENS1_25partition_config_selectorILNS1_17partition_subalgoE8ElNS0_10empty_typeEbEEZZNS1_14partition_implILS5_8ELb0ES3_jPlPS6_PKS6_NS0_5tupleIJS9_S6_EEENSD_IJSA_SA_EEENS0_18inequality_wrapperIZN2at6native12_GLOBAL__N_124unique_dim_cuda_templateItEESt5tupleIJNSH_6TensorESM_SM_EERKSM_lbbbEUlllE0_EEPmJS6_EEE10hipError_tPvRmT3_T4_T5_T6_T7_T9_mT8_P12ihipStream_tbDpT10_ENKUlT_T0_E_clISt17integral_constantIbLb1EES1B_IbLb0EEEEDaS17_S18_EUlS17_E_NS1_11comp_targetILNS1_3genE3ELNS1_11target_archE908ELNS1_3gpuE7ELNS1_3repE0EEENS1_30default_config_static_selectorELNS0_4arch9wavefront6targetE1EEEvT1_, .Lfunc_end1436-_ZN7rocprim17ROCPRIM_400000_NS6detail17trampoline_kernelINS0_14default_configENS1_25partition_config_selectorILNS1_17partition_subalgoE8ElNS0_10empty_typeEbEEZZNS1_14partition_implILS5_8ELb0ES3_jPlPS6_PKS6_NS0_5tupleIJS9_S6_EEENSD_IJSA_SA_EEENS0_18inequality_wrapperIZN2at6native12_GLOBAL__N_124unique_dim_cuda_templateItEESt5tupleIJNSH_6TensorESM_SM_EERKSM_lbbbEUlllE0_EEPmJS6_EEE10hipError_tPvRmT3_T4_T5_T6_T7_T9_mT8_P12ihipStream_tbDpT10_ENKUlT_T0_E_clISt17integral_constantIbLb1EES1B_IbLb0EEEEDaS17_S18_EUlS17_E_NS1_11comp_targetILNS1_3genE3ELNS1_11target_archE908ELNS1_3gpuE7ELNS1_3repE0EEENS1_30default_config_static_selectorELNS0_4arch9wavefront6targetE1EEEvT1_
                                        ; -- End function
	.section	.AMDGPU.csdata,"",@progbits
; Kernel info:
; codeLenInByte = 0
; NumSgprs: 4
; NumVgprs: 0
; NumAgprs: 0
; TotalNumVgprs: 0
; ScratchSize: 0
; MemoryBound: 0
; FloatMode: 240
; IeeeMode: 1
; LDSByteSize: 0 bytes/workgroup (compile time only)
; SGPRBlocks: 0
; VGPRBlocks: 0
; NumSGPRsForWavesPerEU: 4
; NumVGPRsForWavesPerEU: 1
; AccumOffset: 4
; Occupancy: 8
; WaveLimiterHint : 0
; COMPUTE_PGM_RSRC2:SCRATCH_EN: 0
; COMPUTE_PGM_RSRC2:USER_SGPR: 6
; COMPUTE_PGM_RSRC2:TRAP_HANDLER: 0
; COMPUTE_PGM_RSRC2:TGID_X_EN: 1
; COMPUTE_PGM_RSRC2:TGID_Y_EN: 0
; COMPUTE_PGM_RSRC2:TGID_Z_EN: 0
; COMPUTE_PGM_RSRC2:TIDIG_COMP_CNT: 0
; COMPUTE_PGM_RSRC3_GFX90A:ACCUM_OFFSET: 0
; COMPUTE_PGM_RSRC3_GFX90A:TG_SPLIT: 0
	.section	.text._ZN7rocprim17ROCPRIM_400000_NS6detail17trampoline_kernelINS0_14default_configENS1_25partition_config_selectorILNS1_17partition_subalgoE8ElNS0_10empty_typeEbEEZZNS1_14partition_implILS5_8ELb0ES3_jPlPS6_PKS6_NS0_5tupleIJS9_S6_EEENSD_IJSA_SA_EEENS0_18inequality_wrapperIZN2at6native12_GLOBAL__N_124unique_dim_cuda_templateItEESt5tupleIJNSH_6TensorESM_SM_EERKSM_lbbbEUlllE0_EEPmJS6_EEE10hipError_tPvRmT3_T4_T5_T6_T7_T9_mT8_P12ihipStream_tbDpT10_ENKUlT_T0_E_clISt17integral_constantIbLb1EES1B_IbLb0EEEEDaS17_S18_EUlS17_E_NS1_11comp_targetILNS1_3genE2ELNS1_11target_archE906ELNS1_3gpuE6ELNS1_3repE0EEENS1_30default_config_static_selectorELNS0_4arch9wavefront6targetE1EEEvT1_,"axG",@progbits,_ZN7rocprim17ROCPRIM_400000_NS6detail17trampoline_kernelINS0_14default_configENS1_25partition_config_selectorILNS1_17partition_subalgoE8ElNS0_10empty_typeEbEEZZNS1_14partition_implILS5_8ELb0ES3_jPlPS6_PKS6_NS0_5tupleIJS9_S6_EEENSD_IJSA_SA_EEENS0_18inequality_wrapperIZN2at6native12_GLOBAL__N_124unique_dim_cuda_templateItEESt5tupleIJNSH_6TensorESM_SM_EERKSM_lbbbEUlllE0_EEPmJS6_EEE10hipError_tPvRmT3_T4_T5_T6_T7_T9_mT8_P12ihipStream_tbDpT10_ENKUlT_T0_E_clISt17integral_constantIbLb1EES1B_IbLb0EEEEDaS17_S18_EUlS17_E_NS1_11comp_targetILNS1_3genE2ELNS1_11target_archE906ELNS1_3gpuE6ELNS1_3repE0EEENS1_30default_config_static_selectorELNS0_4arch9wavefront6targetE1EEEvT1_,comdat
	.globl	_ZN7rocprim17ROCPRIM_400000_NS6detail17trampoline_kernelINS0_14default_configENS1_25partition_config_selectorILNS1_17partition_subalgoE8ElNS0_10empty_typeEbEEZZNS1_14partition_implILS5_8ELb0ES3_jPlPS6_PKS6_NS0_5tupleIJS9_S6_EEENSD_IJSA_SA_EEENS0_18inequality_wrapperIZN2at6native12_GLOBAL__N_124unique_dim_cuda_templateItEESt5tupleIJNSH_6TensorESM_SM_EERKSM_lbbbEUlllE0_EEPmJS6_EEE10hipError_tPvRmT3_T4_T5_T6_T7_T9_mT8_P12ihipStream_tbDpT10_ENKUlT_T0_E_clISt17integral_constantIbLb1EES1B_IbLb0EEEEDaS17_S18_EUlS17_E_NS1_11comp_targetILNS1_3genE2ELNS1_11target_archE906ELNS1_3gpuE6ELNS1_3repE0EEENS1_30default_config_static_selectorELNS0_4arch9wavefront6targetE1EEEvT1_ ; -- Begin function _ZN7rocprim17ROCPRIM_400000_NS6detail17trampoline_kernelINS0_14default_configENS1_25partition_config_selectorILNS1_17partition_subalgoE8ElNS0_10empty_typeEbEEZZNS1_14partition_implILS5_8ELb0ES3_jPlPS6_PKS6_NS0_5tupleIJS9_S6_EEENSD_IJSA_SA_EEENS0_18inequality_wrapperIZN2at6native12_GLOBAL__N_124unique_dim_cuda_templateItEESt5tupleIJNSH_6TensorESM_SM_EERKSM_lbbbEUlllE0_EEPmJS6_EEE10hipError_tPvRmT3_T4_T5_T6_T7_T9_mT8_P12ihipStream_tbDpT10_ENKUlT_T0_E_clISt17integral_constantIbLb1EES1B_IbLb0EEEEDaS17_S18_EUlS17_E_NS1_11comp_targetILNS1_3genE2ELNS1_11target_archE906ELNS1_3gpuE6ELNS1_3repE0EEENS1_30default_config_static_selectorELNS0_4arch9wavefront6targetE1EEEvT1_
	.p2align	8
	.type	_ZN7rocprim17ROCPRIM_400000_NS6detail17trampoline_kernelINS0_14default_configENS1_25partition_config_selectorILNS1_17partition_subalgoE8ElNS0_10empty_typeEbEEZZNS1_14partition_implILS5_8ELb0ES3_jPlPS6_PKS6_NS0_5tupleIJS9_S6_EEENSD_IJSA_SA_EEENS0_18inequality_wrapperIZN2at6native12_GLOBAL__N_124unique_dim_cuda_templateItEESt5tupleIJNSH_6TensorESM_SM_EERKSM_lbbbEUlllE0_EEPmJS6_EEE10hipError_tPvRmT3_T4_T5_T6_T7_T9_mT8_P12ihipStream_tbDpT10_ENKUlT_T0_E_clISt17integral_constantIbLb1EES1B_IbLb0EEEEDaS17_S18_EUlS17_E_NS1_11comp_targetILNS1_3genE2ELNS1_11target_archE906ELNS1_3gpuE6ELNS1_3repE0EEENS1_30default_config_static_selectorELNS0_4arch9wavefront6targetE1EEEvT1_,@function
_ZN7rocprim17ROCPRIM_400000_NS6detail17trampoline_kernelINS0_14default_configENS1_25partition_config_selectorILNS1_17partition_subalgoE8ElNS0_10empty_typeEbEEZZNS1_14partition_implILS5_8ELb0ES3_jPlPS6_PKS6_NS0_5tupleIJS9_S6_EEENSD_IJSA_SA_EEENS0_18inequality_wrapperIZN2at6native12_GLOBAL__N_124unique_dim_cuda_templateItEESt5tupleIJNSH_6TensorESM_SM_EERKSM_lbbbEUlllE0_EEPmJS6_EEE10hipError_tPvRmT3_T4_T5_T6_T7_T9_mT8_P12ihipStream_tbDpT10_ENKUlT_T0_E_clISt17integral_constantIbLb1EES1B_IbLb0EEEEDaS17_S18_EUlS17_E_NS1_11comp_targetILNS1_3genE2ELNS1_11target_archE906ELNS1_3gpuE6ELNS1_3repE0EEENS1_30default_config_static_selectorELNS0_4arch9wavefront6targetE1EEEvT1_: ; @_ZN7rocprim17ROCPRIM_400000_NS6detail17trampoline_kernelINS0_14default_configENS1_25partition_config_selectorILNS1_17partition_subalgoE8ElNS0_10empty_typeEbEEZZNS1_14partition_implILS5_8ELb0ES3_jPlPS6_PKS6_NS0_5tupleIJS9_S6_EEENSD_IJSA_SA_EEENS0_18inequality_wrapperIZN2at6native12_GLOBAL__N_124unique_dim_cuda_templateItEESt5tupleIJNSH_6TensorESM_SM_EERKSM_lbbbEUlllE0_EEPmJS6_EEE10hipError_tPvRmT3_T4_T5_T6_T7_T9_mT8_P12ihipStream_tbDpT10_ENKUlT_T0_E_clISt17integral_constantIbLb1EES1B_IbLb0EEEEDaS17_S18_EUlS17_E_NS1_11comp_targetILNS1_3genE2ELNS1_11target_archE906ELNS1_3gpuE6ELNS1_3repE0EEENS1_30default_config_static_selectorELNS0_4arch9wavefront6targetE1EEEvT1_
; %bb.0:
	.section	.rodata,"a",@progbits
	.p2align	6, 0x0
	.amdhsa_kernel _ZN7rocprim17ROCPRIM_400000_NS6detail17trampoline_kernelINS0_14default_configENS1_25partition_config_selectorILNS1_17partition_subalgoE8ElNS0_10empty_typeEbEEZZNS1_14partition_implILS5_8ELb0ES3_jPlPS6_PKS6_NS0_5tupleIJS9_S6_EEENSD_IJSA_SA_EEENS0_18inequality_wrapperIZN2at6native12_GLOBAL__N_124unique_dim_cuda_templateItEESt5tupleIJNSH_6TensorESM_SM_EERKSM_lbbbEUlllE0_EEPmJS6_EEE10hipError_tPvRmT3_T4_T5_T6_T7_T9_mT8_P12ihipStream_tbDpT10_ENKUlT_T0_E_clISt17integral_constantIbLb1EES1B_IbLb0EEEEDaS17_S18_EUlS17_E_NS1_11comp_targetILNS1_3genE2ELNS1_11target_archE906ELNS1_3gpuE6ELNS1_3repE0EEENS1_30default_config_static_selectorELNS0_4arch9wavefront6targetE1EEEvT1_
		.amdhsa_group_segment_fixed_size 0
		.amdhsa_private_segment_fixed_size 0
		.amdhsa_kernarg_size 120
		.amdhsa_user_sgpr_count 6
		.amdhsa_user_sgpr_private_segment_buffer 1
		.amdhsa_user_sgpr_dispatch_ptr 0
		.amdhsa_user_sgpr_queue_ptr 0
		.amdhsa_user_sgpr_kernarg_segment_ptr 1
		.amdhsa_user_sgpr_dispatch_id 0
		.amdhsa_user_sgpr_flat_scratch_init 0
		.amdhsa_user_sgpr_kernarg_preload_length 0
		.amdhsa_user_sgpr_kernarg_preload_offset 0
		.amdhsa_user_sgpr_private_segment_size 0
		.amdhsa_uses_dynamic_stack 0
		.amdhsa_system_sgpr_private_segment_wavefront_offset 0
		.amdhsa_system_sgpr_workgroup_id_x 1
		.amdhsa_system_sgpr_workgroup_id_y 0
		.amdhsa_system_sgpr_workgroup_id_z 0
		.amdhsa_system_sgpr_workgroup_info 0
		.amdhsa_system_vgpr_workitem_id 0
		.amdhsa_next_free_vgpr 1
		.amdhsa_next_free_sgpr 0
		.amdhsa_accum_offset 4
		.amdhsa_reserve_vcc 0
		.amdhsa_reserve_flat_scratch 0
		.amdhsa_float_round_mode_32 0
		.amdhsa_float_round_mode_16_64 0
		.amdhsa_float_denorm_mode_32 3
		.amdhsa_float_denorm_mode_16_64 3
		.amdhsa_dx10_clamp 1
		.amdhsa_ieee_mode 1
		.amdhsa_fp16_overflow 0
		.amdhsa_tg_split 0
		.amdhsa_exception_fp_ieee_invalid_op 0
		.amdhsa_exception_fp_denorm_src 0
		.amdhsa_exception_fp_ieee_div_zero 0
		.amdhsa_exception_fp_ieee_overflow 0
		.amdhsa_exception_fp_ieee_underflow 0
		.amdhsa_exception_fp_ieee_inexact 0
		.amdhsa_exception_int_div_zero 0
	.end_amdhsa_kernel
	.section	.text._ZN7rocprim17ROCPRIM_400000_NS6detail17trampoline_kernelINS0_14default_configENS1_25partition_config_selectorILNS1_17partition_subalgoE8ElNS0_10empty_typeEbEEZZNS1_14partition_implILS5_8ELb0ES3_jPlPS6_PKS6_NS0_5tupleIJS9_S6_EEENSD_IJSA_SA_EEENS0_18inequality_wrapperIZN2at6native12_GLOBAL__N_124unique_dim_cuda_templateItEESt5tupleIJNSH_6TensorESM_SM_EERKSM_lbbbEUlllE0_EEPmJS6_EEE10hipError_tPvRmT3_T4_T5_T6_T7_T9_mT8_P12ihipStream_tbDpT10_ENKUlT_T0_E_clISt17integral_constantIbLb1EES1B_IbLb0EEEEDaS17_S18_EUlS17_E_NS1_11comp_targetILNS1_3genE2ELNS1_11target_archE906ELNS1_3gpuE6ELNS1_3repE0EEENS1_30default_config_static_selectorELNS0_4arch9wavefront6targetE1EEEvT1_,"axG",@progbits,_ZN7rocprim17ROCPRIM_400000_NS6detail17trampoline_kernelINS0_14default_configENS1_25partition_config_selectorILNS1_17partition_subalgoE8ElNS0_10empty_typeEbEEZZNS1_14partition_implILS5_8ELb0ES3_jPlPS6_PKS6_NS0_5tupleIJS9_S6_EEENSD_IJSA_SA_EEENS0_18inequality_wrapperIZN2at6native12_GLOBAL__N_124unique_dim_cuda_templateItEESt5tupleIJNSH_6TensorESM_SM_EERKSM_lbbbEUlllE0_EEPmJS6_EEE10hipError_tPvRmT3_T4_T5_T6_T7_T9_mT8_P12ihipStream_tbDpT10_ENKUlT_T0_E_clISt17integral_constantIbLb1EES1B_IbLb0EEEEDaS17_S18_EUlS17_E_NS1_11comp_targetILNS1_3genE2ELNS1_11target_archE906ELNS1_3gpuE6ELNS1_3repE0EEENS1_30default_config_static_selectorELNS0_4arch9wavefront6targetE1EEEvT1_,comdat
.Lfunc_end1437:
	.size	_ZN7rocprim17ROCPRIM_400000_NS6detail17trampoline_kernelINS0_14default_configENS1_25partition_config_selectorILNS1_17partition_subalgoE8ElNS0_10empty_typeEbEEZZNS1_14partition_implILS5_8ELb0ES3_jPlPS6_PKS6_NS0_5tupleIJS9_S6_EEENSD_IJSA_SA_EEENS0_18inequality_wrapperIZN2at6native12_GLOBAL__N_124unique_dim_cuda_templateItEESt5tupleIJNSH_6TensorESM_SM_EERKSM_lbbbEUlllE0_EEPmJS6_EEE10hipError_tPvRmT3_T4_T5_T6_T7_T9_mT8_P12ihipStream_tbDpT10_ENKUlT_T0_E_clISt17integral_constantIbLb1EES1B_IbLb0EEEEDaS17_S18_EUlS17_E_NS1_11comp_targetILNS1_3genE2ELNS1_11target_archE906ELNS1_3gpuE6ELNS1_3repE0EEENS1_30default_config_static_selectorELNS0_4arch9wavefront6targetE1EEEvT1_, .Lfunc_end1437-_ZN7rocprim17ROCPRIM_400000_NS6detail17trampoline_kernelINS0_14default_configENS1_25partition_config_selectorILNS1_17partition_subalgoE8ElNS0_10empty_typeEbEEZZNS1_14partition_implILS5_8ELb0ES3_jPlPS6_PKS6_NS0_5tupleIJS9_S6_EEENSD_IJSA_SA_EEENS0_18inequality_wrapperIZN2at6native12_GLOBAL__N_124unique_dim_cuda_templateItEESt5tupleIJNSH_6TensorESM_SM_EERKSM_lbbbEUlllE0_EEPmJS6_EEE10hipError_tPvRmT3_T4_T5_T6_T7_T9_mT8_P12ihipStream_tbDpT10_ENKUlT_T0_E_clISt17integral_constantIbLb1EES1B_IbLb0EEEEDaS17_S18_EUlS17_E_NS1_11comp_targetILNS1_3genE2ELNS1_11target_archE906ELNS1_3gpuE6ELNS1_3repE0EEENS1_30default_config_static_selectorELNS0_4arch9wavefront6targetE1EEEvT1_
                                        ; -- End function
	.section	.AMDGPU.csdata,"",@progbits
; Kernel info:
; codeLenInByte = 0
; NumSgprs: 4
; NumVgprs: 0
; NumAgprs: 0
; TotalNumVgprs: 0
; ScratchSize: 0
; MemoryBound: 0
; FloatMode: 240
; IeeeMode: 1
; LDSByteSize: 0 bytes/workgroup (compile time only)
; SGPRBlocks: 0
; VGPRBlocks: 0
; NumSGPRsForWavesPerEU: 4
; NumVGPRsForWavesPerEU: 1
; AccumOffset: 4
; Occupancy: 8
; WaveLimiterHint : 0
; COMPUTE_PGM_RSRC2:SCRATCH_EN: 0
; COMPUTE_PGM_RSRC2:USER_SGPR: 6
; COMPUTE_PGM_RSRC2:TRAP_HANDLER: 0
; COMPUTE_PGM_RSRC2:TGID_X_EN: 1
; COMPUTE_PGM_RSRC2:TGID_Y_EN: 0
; COMPUTE_PGM_RSRC2:TGID_Z_EN: 0
; COMPUTE_PGM_RSRC2:TIDIG_COMP_CNT: 0
; COMPUTE_PGM_RSRC3_GFX90A:ACCUM_OFFSET: 0
; COMPUTE_PGM_RSRC3_GFX90A:TG_SPLIT: 0
	.section	.text._ZN7rocprim17ROCPRIM_400000_NS6detail17trampoline_kernelINS0_14default_configENS1_25partition_config_selectorILNS1_17partition_subalgoE8ElNS0_10empty_typeEbEEZZNS1_14partition_implILS5_8ELb0ES3_jPlPS6_PKS6_NS0_5tupleIJS9_S6_EEENSD_IJSA_SA_EEENS0_18inequality_wrapperIZN2at6native12_GLOBAL__N_124unique_dim_cuda_templateItEESt5tupleIJNSH_6TensorESM_SM_EERKSM_lbbbEUlllE0_EEPmJS6_EEE10hipError_tPvRmT3_T4_T5_T6_T7_T9_mT8_P12ihipStream_tbDpT10_ENKUlT_T0_E_clISt17integral_constantIbLb1EES1B_IbLb0EEEEDaS17_S18_EUlS17_E_NS1_11comp_targetILNS1_3genE10ELNS1_11target_archE1200ELNS1_3gpuE4ELNS1_3repE0EEENS1_30default_config_static_selectorELNS0_4arch9wavefront6targetE1EEEvT1_,"axG",@progbits,_ZN7rocprim17ROCPRIM_400000_NS6detail17trampoline_kernelINS0_14default_configENS1_25partition_config_selectorILNS1_17partition_subalgoE8ElNS0_10empty_typeEbEEZZNS1_14partition_implILS5_8ELb0ES3_jPlPS6_PKS6_NS0_5tupleIJS9_S6_EEENSD_IJSA_SA_EEENS0_18inequality_wrapperIZN2at6native12_GLOBAL__N_124unique_dim_cuda_templateItEESt5tupleIJNSH_6TensorESM_SM_EERKSM_lbbbEUlllE0_EEPmJS6_EEE10hipError_tPvRmT3_T4_T5_T6_T7_T9_mT8_P12ihipStream_tbDpT10_ENKUlT_T0_E_clISt17integral_constantIbLb1EES1B_IbLb0EEEEDaS17_S18_EUlS17_E_NS1_11comp_targetILNS1_3genE10ELNS1_11target_archE1200ELNS1_3gpuE4ELNS1_3repE0EEENS1_30default_config_static_selectorELNS0_4arch9wavefront6targetE1EEEvT1_,comdat
	.globl	_ZN7rocprim17ROCPRIM_400000_NS6detail17trampoline_kernelINS0_14default_configENS1_25partition_config_selectorILNS1_17partition_subalgoE8ElNS0_10empty_typeEbEEZZNS1_14partition_implILS5_8ELb0ES3_jPlPS6_PKS6_NS0_5tupleIJS9_S6_EEENSD_IJSA_SA_EEENS0_18inequality_wrapperIZN2at6native12_GLOBAL__N_124unique_dim_cuda_templateItEESt5tupleIJNSH_6TensorESM_SM_EERKSM_lbbbEUlllE0_EEPmJS6_EEE10hipError_tPvRmT3_T4_T5_T6_T7_T9_mT8_P12ihipStream_tbDpT10_ENKUlT_T0_E_clISt17integral_constantIbLb1EES1B_IbLb0EEEEDaS17_S18_EUlS17_E_NS1_11comp_targetILNS1_3genE10ELNS1_11target_archE1200ELNS1_3gpuE4ELNS1_3repE0EEENS1_30default_config_static_selectorELNS0_4arch9wavefront6targetE1EEEvT1_ ; -- Begin function _ZN7rocprim17ROCPRIM_400000_NS6detail17trampoline_kernelINS0_14default_configENS1_25partition_config_selectorILNS1_17partition_subalgoE8ElNS0_10empty_typeEbEEZZNS1_14partition_implILS5_8ELb0ES3_jPlPS6_PKS6_NS0_5tupleIJS9_S6_EEENSD_IJSA_SA_EEENS0_18inequality_wrapperIZN2at6native12_GLOBAL__N_124unique_dim_cuda_templateItEESt5tupleIJNSH_6TensorESM_SM_EERKSM_lbbbEUlllE0_EEPmJS6_EEE10hipError_tPvRmT3_T4_T5_T6_T7_T9_mT8_P12ihipStream_tbDpT10_ENKUlT_T0_E_clISt17integral_constantIbLb1EES1B_IbLb0EEEEDaS17_S18_EUlS17_E_NS1_11comp_targetILNS1_3genE10ELNS1_11target_archE1200ELNS1_3gpuE4ELNS1_3repE0EEENS1_30default_config_static_selectorELNS0_4arch9wavefront6targetE1EEEvT1_
	.p2align	8
	.type	_ZN7rocprim17ROCPRIM_400000_NS6detail17trampoline_kernelINS0_14default_configENS1_25partition_config_selectorILNS1_17partition_subalgoE8ElNS0_10empty_typeEbEEZZNS1_14partition_implILS5_8ELb0ES3_jPlPS6_PKS6_NS0_5tupleIJS9_S6_EEENSD_IJSA_SA_EEENS0_18inequality_wrapperIZN2at6native12_GLOBAL__N_124unique_dim_cuda_templateItEESt5tupleIJNSH_6TensorESM_SM_EERKSM_lbbbEUlllE0_EEPmJS6_EEE10hipError_tPvRmT3_T4_T5_T6_T7_T9_mT8_P12ihipStream_tbDpT10_ENKUlT_T0_E_clISt17integral_constantIbLb1EES1B_IbLb0EEEEDaS17_S18_EUlS17_E_NS1_11comp_targetILNS1_3genE10ELNS1_11target_archE1200ELNS1_3gpuE4ELNS1_3repE0EEENS1_30default_config_static_selectorELNS0_4arch9wavefront6targetE1EEEvT1_,@function
_ZN7rocprim17ROCPRIM_400000_NS6detail17trampoline_kernelINS0_14default_configENS1_25partition_config_selectorILNS1_17partition_subalgoE8ElNS0_10empty_typeEbEEZZNS1_14partition_implILS5_8ELb0ES3_jPlPS6_PKS6_NS0_5tupleIJS9_S6_EEENSD_IJSA_SA_EEENS0_18inequality_wrapperIZN2at6native12_GLOBAL__N_124unique_dim_cuda_templateItEESt5tupleIJNSH_6TensorESM_SM_EERKSM_lbbbEUlllE0_EEPmJS6_EEE10hipError_tPvRmT3_T4_T5_T6_T7_T9_mT8_P12ihipStream_tbDpT10_ENKUlT_T0_E_clISt17integral_constantIbLb1EES1B_IbLb0EEEEDaS17_S18_EUlS17_E_NS1_11comp_targetILNS1_3genE10ELNS1_11target_archE1200ELNS1_3gpuE4ELNS1_3repE0EEENS1_30default_config_static_selectorELNS0_4arch9wavefront6targetE1EEEvT1_: ; @_ZN7rocprim17ROCPRIM_400000_NS6detail17trampoline_kernelINS0_14default_configENS1_25partition_config_selectorILNS1_17partition_subalgoE8ElNS0_10empty_typeEbEEZZNS1_14partition_implILS5_8ELb0ES3_jPlPS6_PKS6_NS0_5tupleIJS9_S6_EEENSD_IJSA_SA_EEENS0_18inequality_wrapperIZN2at6native12_GLOBAL__N_124unique_dim_cuda_templateItEESt5tupleIJNSH_6TensorESM_SM_EERKSM_lbbbEUlllE0_EEPmJS6_EEE10hipError_tPvRmT3_T4_T5_T6_T7_T9_mT8_P12ihipStream_tbDpT10_ENKUlT_T0_E_clISt17integral_constantIbLb1EES1B_IbLb0EEEEDaS17_S18_EUlS17_E_NS1_11comp_targetILNS1_3genE10ELNS1_11target_archE1200ELNS1_3gpuE4ELNS1_3repE0EEENS1_30default_config_static_selectorELNS0_4arch9wavefront6targetE1EEEvT1_
; %bb.0:
	.section	.rodata,"a",@progbits
	.p2align	6, 0x0
	.amdhsa_kernel _ZN7rocprim17ROCPRIM_400000_NS6detail17trampoline_kernelINS0_14default_configENS1_25partition_config_selectorILNS1_17partition_subalgoE8ElNS0_10empty_typeEbEEZZNS1_14partition_implILS5_8ELb0ES3_jPlPS6_PKS6_NS0_5tupleIJS9_S6_EEENSD_IJSA_SA_EEENS0_18inequality_wrapperIZN2at6native12_GLOBAL__N_124unique_dim_cuda_templateItEESt5tupleIJNSH_6TensorESM_SM_EERKSM_lbbbEUlllE0_EEPmJS6_EEE10hipError_tPvRmT3_T4_T5_T6_T7_T9_mT8_P12ihipStream_tbDpT10_ENKUlT_T0_E_clISt17integral_constantIbLb1EES1B_IbLb0EEEEDaS17_S18_EUlS17_E_NS1_11comp_targetILNS1_3genE10ELNS1_11target_archE1200ELNS1_3gpuE4ELNS1_3repE0EEENS1_30default_config_static_selectorELNS0_4arch9wavefront6targetE1EEEvT1_
		.amdhsa_group_segment_fixed_size 0
		.amdhsa_private_segment_fixed_size 0
		.amdhsa_kernarg_size 120
		.amdhsa_user_sgpr_count 6
		.amdhsa_user_sgpr_private_segment_buffer 1
		.amdhsa_user_sgpr_dispatch_ptr 0
		.amdhsa_user_sgpr_queue_ptr 0
		.amdhsa_user_sgpr_kernarg_segment_ptr 1
		.amdhsa_user_sgpr_dispatch_id 0
		.amdhsa_user_sgpr_flat_scratch_init 0
		.amdhsa_user_sgpr_kernarg_preload_length 0
		.amdhsa_user_sgpr_kernarg_preload_offset 0
		.amdhsa_user_sgpr_private_segment_size 0
		.amdhsa_uses_dynamic_stack 0
		.amdhsa_system_sgpr_private_segment_wavefront_offset 0
		.amdhsa_system_sgpr_workgroup_id_x 1
		.amdhsa_system_sgpr_workgroup_id_y 0
		.amdhsa_system_sgpr_workgroup_id_z 0
		.amdhsa_system_sgpr_workgroup_info 0
		.amdhsa_system_vgpr_workitem_id 0
		.amdhsa_next_free_vgpr 1
		.amdhsa_next_free_sgpr 0
		.amdhsa_accum_offset 4
		.amdhsa_reserve_vcc 0
		.amdhsa_reserve_flat_scratch 0
		.amdhsa_float_round_mode_32 0
		.amdhsa_float_round_mode_16_64 0
		.amdhsa_float_denorm_mode_32 3
		.amdhsa_float_denorm_mode_16_64 3
		.amdhsa_dx10_clamp 1
		.amdhsa_ieee_mode 1
		.amdhsa_fp16_overflow 0
		.amdhsa_tg_split 0
		.amdhsa_exception_fp_ieee_invalid_op 0
		.amdhsa_exception_fp_denorm_src 0
		.amdhsa_exception_fp_ieee_div_zero 0
		.amdhsa_exception_fp_ieee_overflow 0
		.amdhsa_exception_fp_ieee_underflow 0
		.amdhsa_exception_fp_ieee_inexact 0
		.amdhsa_exception_int_div_zero 0
	.end_amdhsa_kernel
	.section	.text._ZN7rocprim17ROCPRIM_400000_NS6detail17trampoline_kernelINS0_14default_configENS1_25partition_config_selectorILNS1_17partition_subalgoE8ElNS0_10empty_typeEbEEZZNS1_14partition_implILS5_8ELb0ES3_jPlPS6_PKS6_NS0_5tupleIJS9_S6_EEENSD_IJSA_SA_EEENS0_18inequality_wrapperIZN2at6native12_GLOBAL__N_124unique_dim_cuda_templateItEESt5tupleIJNSH_6TensorESM_SM_EERKSM_lbbbEUlllE0_EEPmJS6_EEE10hipError_tPvRmT3_T4_T5_T6_T7_T9_mT8_P12ihipStream_tbDpT10_ENKUlT_T0_E_clISt17integral_constantIbLb1EES1B_IbLb0EEEEDaS17_S18_EUlS17_E_NS1_11comp_targetILNS1_3genE10ELNS1_11target_archE1200ELNS1_3gpuE4ELNS1_3repE0EEENS1_30default_config_static_selectorELNS0_4arch9wavefront6targetE1EEEvT1_,"axG",@progbits,_ZN7rocprim17ROCPRIM_400000_NS6detail17trampoline_kernelINS0_14default_configENS1_25partition_config_selectorILNS1_17partition_subalgoE8ElNS0_10empty_typeEbEEZZNS1_14partition_implILS5_8ELb0ES3_jPlPS6_PKS6_NS0_5tupleIJS9_S6_EEENSD_IJSA_SA_EEENS0_18inequality_wrapperIZN2at6native12_GLOBAL__N_124unique_dim_cuda_templateItEESt5tupleIJNSH_6TensorESM_SM_EERKSM_lbbbEUlllE0_EEPmJS6_EEE10hipError_tPvRmT3_T4_T5_T6_T7_T9_mT8_P12ihipStream_tbDpT10_ENKUlT_T0_E_clISt17integral_constantIbLb1EES1B_IbLb0EEEEDaS17_S18_EUlS17_E_NS1_11comp_targetILNS1_3genE10ELNS1_11target_archE1200ELNS1_3gpuE4ELNS1_3repE0EEENS1_30default_config_static_selectorELNS0_4arch9wavefront6targetE1EEEvT1_,comdat
.Lfunc_end1438:
	.size	_ZN7rocprim17ROCPRIM_400000_NS6detail17trampoline_kernelINS0_14default_configENS1_25partition_config_selectorILNS1_17partition_subalgoE8ElNS0_10empty_typeEbEEZZNS1_14partition_implILS5_8ELb0ES3_jPlPS6_PKS6_NS0_5tupleIJS9_S6_EEENSD_IJSA_SA_EEENS0_18inequality_wrapperIZN2at6native12_GLOBAL__N_124unique_dim_cuda_templateItEESt5tupleIJNSH_6TensorESM_SM_EERKSM_lbbbEUlllE0_EEPmJS6_EEE10hipError_tPvRmT3_T4_T5_T6_T7_T9_mT8_P12ihipStream_tbDpT10_ENKUlT_T0_E_clISt17integral_constantIbLb1EES1B_IbLb0EEEEDaS17_S18_EUlS17_E_NS1_11comp_targetILNS1_3genE10ELNS1_11target_archE1200ELNS1_3gpuE4ELNS1_3repE0EEENS1_30default_config_static_selectorELNS0_4arch9wavefront6targetE1EEEvT1_, .Lfunc_end1438-_ZN7rocprim17ROCPRIM_400000_NS6detail17trampoline_kernelINS0_14default_configENS1_25partition_config_selectorILNS1_17partition_subalgoE8ElNS0_10empty_typeEbEEZZNS1_14partition_implILS5_8ELb0ES3_jPlPS6_PKS6_NS0_5tupleIJS9_S6_EEENSD_IJSA_SA_EEENS0_18inequality_wrapperIZN2at6native12_GLOBAL__N_124unique_dim_cuda_templateItEESt5tupleIJNSH_6TensorESM_SM_EERKSM_lbbbEUlllE0_EEPmJS6_EEE10hipError_tPvRmT3_T4_T5_T6_T7_T9_mT8_P12ihipStream_tbDpT10_ENKUlT_T0_E_clISt17integral_constantIbLb1EES1B_IbLb0EEEEDaS17_S18_EUlS17_E_NS1_11comp_targetILNS1_3genE10ELNS1_11target_archE1200ELNS1_3gpuE4ELNS1_3repE0EEENS1_30default_config_static_selectorELNS0_4arch9wavefront6targetE1EEEvT1_
                                        ; -- End function
	.section	.AMDGPU.csdata,"",@progbits
; Kernel info:
; codeLenInByte = 0
; NumSgprs: 4
; NumVgprs: 0
; NumAgprs: 0
; TotalNumVgprs: 0
; ScratchSize: 0
; MemoryBound: 0
; FloatMode: 240
; IeeeMode: 1
; LDSByteSize: 0 bytes/workgroup (compile time only)
; SGPRBlocks: 0
; VGPRBlocks: 0
; NumSGPRsForWavesPerEU: 4
; NumVGPRsForWavesPerEU: 1
; AccumOffset: 4
; Occupancy: 8
; WaveLimiterHint : 0
; COMPUTE_PGM_RSRC2:SCRATCH_EN: 0
; COMPUTE_PGM_RSRC2:USER_SGPR: 6
; COMPUTE_PGM_RSRC2:TRAP_HANDLER: 0
; COMPUTE_PGM_RSRC2:TGID_X_EN: 1
; COMPUTE_PGM_RSRC2:TGID_Y_EN: 0
; COMPUTE_PGM_RSRC2:TGID_Z_EN: 0
; COMPUTE_PGM_RSRC2:TIDIG_COMP_CNT: 0
; COMPUTE_PGM_RSRC3_GFX90A:ACCUM_OFFSET: 0
; COMPUTE_PGM_RSRC3_GFX90A:TG_SPLIT: 0
	.section	.text._ZN7rocprim17ROCPRIM_400000_NS6detail17trampoline_kernelINS0_14default_configENS1_25partition_config_selectorILNS1_17partition_subalgoE8ElNS0_10empty_typeEbEEZZNS1_14partition_implILS5_8ELb0ES3_jPlPS6_PKS6_NS0_5tupleIJS9_S6_EEENSD_IJSA_SA_EEENS0_18inequality_wrapperIZN2at6native12_GLOBAL__N_124unique_dim_cuda_templateItEESt5tupleIJNSH_6TensorESM_SM_EERKSM_lbbbEUlllE0_EEPmJS6_EEE10hipError_tPvRmT3_T4_T5_T6_T7_T9_mT8_P12ihipStream_tbDpT10_ENKUlT_T0_E_clISt17integral_constantIbLb1EES1B_IbLb0EEEEDaS17_S18_EUlS17_E_NS1_11comp_targetILNS1_3genE9ELNS1_11target_archE1100ELNS1_3gpuE3ELNS1_3repE0EEENS1_30default_config_static_selectorELNS0_4arch9wavefront6targetE1EEEvT1_,"axG",@progbits,_ZN7rocprim17ROCPRIM_400000_NS6detail17trampoline_kernelINS0_14default_configENS1_25partition_config_selectorILNS1_17partition_subalgoE8ElNS0_10empty_typeEbEEZZNS1_14partition_implILS5_8ELb0ES3_jPlPS6_PKS6_NS0_5tupleIJS9_S6_EEENSD_IJSA_SA_EEENS0_18inequality_wrapperIZN2at6native12_GLOBAL__N_124unique_dim_cuda_templateItEESt5tupleIJNSH_6TensorESM_SM_EERKSM_lbbbEUlllE0_EEPmJS6_EEE10hipError_tPvRmT3_T4_T5_T6_T7_T9_mT8_P12ihipStream_tbDpT10_ENKUlT_T0_E_clISt17integral_constantIbLb1EES1B_IbLb0EEEEDaS17_S18_EUlS17_E_NS1_11comp_targetILNS1_3genE9ELNS1_11target_archE1100ELNS1_3gpuE3ELNS1_3repE0EEENS1_30default_config_static_selectorELNS0_4arch9wavefront6targetE1EEEvT1_,comdat
	.globl	_ZN7rocprim17ROCPRIM_400000_NS6detail17trampoline_kernelINS0_14default_configENS1_25partition_config_selectorILNS1_17partition_subalgoE8ElNS0_10empty_typeEbEEZZNS1_14partition_implILS5_8ELb0ES3_jPlPS6_PKS6_NS0_5tupleIJS9_S6_EEENSD_IJSA_SA_EEENS0_18inequality_wrapperIZN2at6native12_GLOBAL__N_124unique_dim_cuda_templateItEESt5tupleIJNSH_6TensorESM_SM_EERKSM_lbbbEUlllE0_EEPmJS6_EEE10hipError_tPvRmT3_T4_T5_T6_T7_T9_mT8_P12ihipStream_tbDpT10_ENKUlT_T0_E_clISt17integral_constantIbLb1EES1B_IbLb0EEEEDaS17_S18_EUlS17_E_NS1_11comp_targetILNS1_3genE9ELNS1_11target_archE1100ELNS1_3gpuE3ELNS1_3repE0EEENS1_30default_config_static_selectorELNS0_4arch9wavefront6targetE1EEEvT1_ ; -- Begin function _ZN7rocprim17ROCPRIM_400000_NS6detail17trampoline_kernelINS0_14default_configENS1_25partition_config_selectorILNS1_17partition_subalgoE8ElNS0_10empty_typeEbEEZZNS1_14partition_implILS5_8ELb0ES3_jPlPS6_PKS6_NS0_5tupleIJS9_S6_EEENSD_IJSA_SA_EEENS0_18inequality_wrapperIZN2at6native12_GLOBAL__N_124unique_dim_cuda_templateItEESt5tupleIJNSH_6TensorESM_SM_EERKSM_lbbbEUlllE0_EEPmJS6_EEE10hipError_tPvRmT3_T4_T5_T6_T7_T9_mT8_P12ihipStream_tbDpT10_ENKUlT_T0_E_clISt17integral_constantIbLb1EES1B_IbLb0EEEEDaS17_S18_EUlS17_E_NS1_11comp_targetILNS1_3genE9ELNS1_11target_archE1100ELNS1_3gpuE3ELNS1_3repE0EEENS1_30default_config_static_selectorELNS0_4arch9wavefront6targetE1EEEvT1_
	.p2align	8
	.type	_ZN7rocprim17ROCPRIM_400000_NS6detail17trampoline_kernelINS0_14default_configENS1_25partition_config_selectorILNS1_17partition_subalgoE8ElNS0_10empty_typeEbEEZZNS1_14partition_implILS5_8ELb0ES3_jPlPS6_PKS6_NS0_5tupleIJS9_S6_EEENSD_IJSA_SA_EEENS0_18inequality_wrapperIZN2at6native12_GLOBAL__N_124unique_dim_cuda_templateItEESt5tupleIJNSH_6TensorESM_SM_EERKSM_lbbbEUlllE0_EEPmJS6_EEE10hipError_tPvRmT3_T4_T5_T6_T7_T9_mT8_P12ihipStream_tbDpT10_ENKUlT_T0_E_clISt17integral_constantIbLb1EES1B_IbLb0EEEEDaS17_S18_EUlS17_E_NS1_11comp_targetILNS1_3genE9ELNS1_11target_archE1100ELNS1_3gpuE3ELNS1_3repE0EEENS1_30default_config_static_selectorELNS0_4arch9wavefront6targetE1EEEvT1_,@function
_ZN7rocprim17ROCPRIM_400000_NS6detail17trampoline_kernelINS0_14default_configENS1_25partition_config_selectorILNS1_17partition_subalgoE8ElNS0_10empty_typeEbEEZZNS1_14partition_implILS5_8ELb0ES3_jPlPS6_PKS6_NS0_5tupleIJS9_S6_EEENSD_IJSA_SA_EEENS0_18inequality_wrapperIZN2at6native12_GLOBAL__N_124unique_dim_cuda_templateItEESt5tupleIJNSH_6TensorESM_SM_EERKSM_lbbbEUlllE0_EEPmJS6_EEE10hipError_tPvRmT3_T4_T5_T6_T7_T9_mT8_P12ihipStream_tbDpT10_ENKUlT_T0_E_clISt17integral_constantIbLb1EES1B_IbLb0EEEEDaS17_S18_EUlS17_E_NS1_11comp_targetILNS1_3genE9ELNS1_11target_archE1100ELNS1_3gpuE3ELNS1_3repE0EEENS1_30default_config_static_selectorELNS0_4arch9wavefront6targetE1EEEvT1_: ; @_ZN7rocprim17ROCPRIM_400000_NS6detail17trampoline_kernelINS0_14default_configENS1_25partition_config_selectorILNS1_17partition_subalgoE8ElNS0_10empty_typeEbEEZZNS1_14partition_implILS5_8ELb0ES3_jPlPS6_PKS6_NS0_5tupleIJS9_S6_EEENSD_IJSA_SA_EEENS0_18inequality_wrapperIZN2at6native12_GLOBAL__N_124unique_dim_cuda_templateItEESt5tupleIJNSH_6TensorESM_SM_EERKSM_lbbbEUlllE0_EEPmJS6_EEE10hipError_tPvRmT3_T4_T5_T6_T7_T9_mT8_P12ihipStream_tbDpT10_ENKUlT_T0_E_clISt17integral_constantIbLb1EES1B_IbLb0EEEEDaS17_S18_EUlS17_E_NS1_11comp_targetILNS1_3genE9ELNS1_11target_archE1100ELNS1_3gpuE3ELNS1_3repE0EEENS1_30default_config_static_selectorELNS0_4arch9wavefront6targetE1EEEvT1_
; %bb.0:
	.section	.rodata,"a",@progbits
	.p2align	6, 0x0
	.amdhsa_kernel _ZN7rocprim17ROCPRIM_400000_NS6detail17trampoline_kernelINS0_14default_configENS1_25partition_config_selectorILNS1_17partition_subalgoE8ElNS0_10empty_typeEbEEZZNS1_14partition_implILS5_8ELb0ES3_jPlPS6_PKS6_NS0_5tupleIJS9_S6_EEENSD_IJSA_SA_EEENS0_18inequality_wrapperIZN2at6native12_GLOBAL__N_124unique_dim_cuda_templateItEESt5tupleIJNSH_6TensorESM_SM_EERKSM_lbbbEUlllE0_EEPmJS6_EEE10hipError_tPvRmT3_T4_T5_T6_T7_T9_mT8_P12ihipStream_tbDpT10_ENKUlT_T0_E_clISt17integral_constantIbLb1EES1B_IbLb0EEEEDaS17_S18_EUlS17_E_NS1_11comp_targetILNS1_3genE9ELNS1_11target_archE1100ELNS1_3gpuE3ELNS1_3repE0EEENS1_30default_config_static_selectorELNS0_4arch9wavefront6targetE1EEEvT1_
		.amdhsa_group_segment_fixed_size 0
		.amdhsa_private_segment_fixed_size 0
		.amdhsa_kernarg_size 120
		.amdhsa_user_sgpr_count 6
		.amdhsa_user_sgpr_private_segment_buffer 1
		.amdhsa_user_sgpr_dispatch_ptr 0
		.amdhsa_user_sgpr_queue_ptr 0
		.amdhsa_user_sgpr_kernarg_segment_ptr 1
		.amdhsa_user_sgpr_dispatch_id 0
		.amdhsa_user_sgpr_flat_scratch_init 0
		.amdhsa_user_sgpr_kernarg_preload_length 0
		.amdhsa_user_sgpr_kernarg_preload_offset 0
		.amdhsa_user_sgpr_private_segment_size 0
		.amdhsa_uses_dynamic_stack 0
		.amdhsa_system_sgpr_private_segment_wavefront_offset 0
		.amdhsa_system_sgpr_workgroup_id_x 1
		.amdhsa_system_sgpr_workgroup_id_y 0
		.amdhsa_system_sgpr_workgroup_id_z 0
		.amdhsa_system_sgpr_workgroup_info 0
		.amdhsa_system_vgpr_workitem_id 0
		.amdhsa_next_free_vgpr 1
		.amdhsa_next_free_sgpr 0
		.amdhsa_accum_offset 4
		.amdhsa_reserve_vcc 0
		.amdhsa_reserve_flat_scratch 0
		.amdhsa_float_round_mode_32 0
		.amdhsa_float_round_mode_16_64 0
		.amdhsa_float_denorm_mode_32 3
		.amdhsa_float_denorm_mode_16_64 3
		.amdhsa_dx10_clamp 1
		.amdhsa_ieee_mode 1
		.amdhsa_fp16_overflow 0
		.amdhsa_tg_split 0
		.amdhsa_exception_fp_ieee_invalid_op 0
		.amdhsa_exception_fp_denorm_src 0
		.amdhsa_exception_fp_ieee_div_zero 0
		.amdhsa_exception_fp_ieee_overflow 0
		.amdhsa_exception_fp_ieee_underflow 0
		.amdhsa_exception_fp_ieee_inexact 0
		.amdhsa_exception_int_div_zero 0
	.end_amdhsa_kernel
	.section	.text._ZN7rocprim17ROCPRIM_400000_NS6detail17trampoline_kernelINS0_14default_configENS1_25partition_config_selectorILNS1_17partition_subalgoE8ElNS0_10empty_typeEbEEZZNS1_14partition_implILS5_8ELb0ES3_jPlPS6_PKS6_NS0_5tupleIJS9_S6_EEENSD_IJSA_SA_EEENS0_18inequality_wrapperIZN2at6native12_GLOBAL__N_124unique_dim_cuda_templateItEESt5tupleIJNSH_6TensorESM_SM_EERKSM_lbbbEUlllE0_EEPmJS6_EEE10hipError_tPvRmT3_T4_T5_T6_T7_T9_mT8_P12ihipStream_tbDpT10_ENKUlT_T0_E_clISt17integral_constantIbLb1EES1B_IbLb0EEEEDaS17_S18_EUlS17_E_NS1_11comp_targetILNS1_3genE9ELNS1_11target_archE1100ELNS1_3gpuE3ELNS1_3repE0EEENS1_30default_config_static_selectorELNS0_4arch9wavefront6targetE1EEEvT1_,"axG",@progbits,_ZN7rocprim17ROCPRIM_400000_NS6detail17trampoline_kernelINS0_14default_configENS1_25partition_config_selectorILNS1_17partition_subalgoE8ElNS0_10empty_typeEbEEZZNS1_14partition_implILS5_8ELb0ES3_jPlPS6_PKS6_NS0_5tupleIJS9_S6_EEENSD_IJSA_SA_EEENS0_18inequality_wrapperIZN2at6native12_GLOBAL__N_124unique_dim_cuda_templateItEESt5tupleIJNSH_6TensorESM_SM_EERKSM_lbbbEUlllE0_EEPmJS6_EEE10hipError_tPvRmT3_T4_T5_T6_T7_T9_mT8_P12ihipStream_tbDpT10_ENKUlT_T0_E_clISt17integral_constantIbLb1EES1B_IbLb0EEEEDaS17_S18_EUlS17_E_NS1_11comp_targetILNS1_3genE9ELNS1_11target_archE1100ELNS1_3gpuE3ELNS1_3repE0EEENS1_30default_config_static_selectorELNS0_4arch9wavefront6targetE1EEEvT1_,comdat
.Lfunc_end1439:
	.size	_ZN7rocprim17ROCPRIM_400000_NS6detail17trampoline_kernelINS0_14default_configENS1_25partition_config_selectorILNS1_17partition_subalgoE8ElNS0_10empty_typeEbEEZZNS1_14partition_implILS5_8ELb0ES3_jPlPS6_PKS6_NS0_5tupleIJS9_S6_EEENSD_IJSA_SA_EEENS0_18inequality_wrapperIZN2at6native12_GLOBAL__N_124unique_dim_cuda_templateItEESt5tupleIJNSH_6TensorESM_SM_EERKSM_lbbbEUlllE0_EEPmJS6_EEE10hipError_tPvRmT3_T4_T5_T6_T7_T9_mT8_P12ihipStream_tbDpT10_ENKUlT_T0_E_clISt17integral_constantIbLb1EES1B_IbLb0EEEEDaS17_S18_EUlS17_E_NS1_11comp_targetILNS1_3genE9ELNS1_11target_archE1100ELNS1_3gpuE3ELNS1_3repE0EEENS1_30default_config_static_selectorELNS0_4arch9wavefront6targetE1EEEvT1_, .Lfunc_end1439-_ZN7rocprim17ROCPRIM_400000_NS6detail17trampoline_kernelINS0_14default_configENS1_25partition_config_selectorILNS1_17partition_subalgoE8ElNS0_10empty_typeEbEEZZNS1_14partition_implILS5_8ELb0ES3_jPlPS6_PKS6_NS0_5tupleIJS9_S6_EEENSD_IJSA_SA_EEENS0_18inequality_wrapperIZN2at6native12_GLOBAL__N_124unique_dim_cuda_templateItEESt5tupleIJNSH_6TensorESM_SM_EERKSM_lbbbEUlllE0_EEPmJS6_EEE10hipError_tPvRmT3_T4_T5_T6_T7_T9_mT8_P12ihipStream_tbDpT10_ENKUlT_T0_E_clISt17integral_constantIbLb1EES1B_IbLb0EEEEDaS17_S18_EUlS17_E_NS1_11comp_targetILNS1_3genE9ELNS1_11target_archE1100ELNS1_3gpuE3ELNS1_3repE0EEENS1_30default_config_static_selectorELNS0_4arch9wavefront6targetE1EEEvT1_
                                        ; -- End function
	.section	.AMDGPU.csdata,"",@progbits
; Kernel info:
; codeLenInByte = 0
; NumSgprs: 4
; NumVgprs: 0
; NumAgprs: 0
; TotalNumVgprs: 0
; ScratchSize: 0
; MemoryBound: 0
; FloatMode: 240
; IeeeMode: 1
; LDSByteSize: 0 bytes/workgroup (compile time only)
; SGPRBlocks: 0
; VGPRBlocks: 0
; NumSGPRsForWavesPerEU: 4
; NumVGPRsForWavesPerEU: 1
; AccumOffset: 4
; Occupancy: 8
; WaveLimiterHint : 0
; COMPUTE_PGM_RSRC2:SCRATCH_EN: 0
; COMPUTE_PGM_RSRC2:USER_SGPR: 6
; COMPUTE_PGM_RSRC2:TRAP_HANDLER: 0
; COMPUTE_PGM_RSRC2:TGID_X_EN: 1
; COMPUTE_PGM_RSRC2:TGID_Y_EN: 0
; COMPUTE_PGM_RSRC2:TGID_Z_EN: 0
; COMPUTE_PGM_RSRC2:TIDIG_COMP_CNT: 0
; COMPUTE_PGM_RSRC3_GFX90A:ACCUM_OFFSET: 0
; COMPUTE_PGM_RSRC3_GFX90A:TG_SPLIT: 0
	.section	.text._ZN7rocprim17ROCPRIM_400000_NS6detail17trampoline_kernelINS0_14default_configENS1_25partition_config_selectorILNS1_17partition_subalgoE8ElNS0_10empty_typeEbEEZZNS1_14partition_implILS5_8ELb0ES3_jPlPS6_PKS6_NS0_5tupleIJS9_S6_EEENSD_IJSA_SA_EEENS0_18inequality_wrapperIZN2at6native12_GLOBAL__N_124unique_dim_cuda_templateItEESt5tupleIJNSH_6TensorESM_SM_EERKSM_lbbbEUlllE0_EEPmJS6_EEE10hipError_tPvRmT3_T4_T5_T6_T7_T9_mT8_P12ihipStream_tbDpT10_ENKUlT_T0_E_clISt17integral_constantIbLb1EES1B_IbLb0EEEEDaS17_S18_EUlS17_E_NS1_11comp_targetILNS1_3genE8ELNS1_11target_archE1030ELNS1_3gpuE2ELNS1_3repE0EEENS1_30default_config_static_selectorELNS0_4arch9wavefront6targetE1EEEvT1_,"axG",@progbits,_ZN7rocprim17ROCPRIM_400000_NS6detail17trampoline_kernelINS0_14default_configENS1_25partition_config_selectorILNS1_17partition_subalgoE8ElNS0_10empty_typeEbEEZZNS1_14partition_implILS5_8ELb0ES3_jPlPS6_PKS6_NS0_5tupleIJS9_S6_EEENSD_IJSA_SA_EEENS0_18inequality_wrapperIZN2at6native12_GLOBAL__N_124unique_dim_cuda_templateItEESt5tupleIJNSH_6TensorESM_SM_EERKSM_lbbbEUlllE0_EEPmJS6_EEE10hipError_tPvRmT3_T4_T5_T6_T7_T9_mT8_P12ihipStream_tbDpT10_ENKUlT_T0_E_clISt17integral_constantIbLb1EES1B_IbLb0EEEEDaS17_S18_EUlS17_E_NS1_11comp_targetILNS1_3genE8ELNS1_11target_archE1030ELNS1_3gpuE2ELNS1_3repE0EEENS1_30default_config_static_selectorELNS0_4arch9wavefront6targetE1EEEvT1_,comdat
	.globl	_ZN7rocprim17ROCPRIM_400000_NS6detail17trampoline_kernelINS0_14default_configENS1_25partition_config_selectorILNS1_17partition_subalgoE8ElNS0_10empty_typeEbEEZZNS1_14partition_implILS5_8ELb0ES3_jPlPS6_PKS6_NS0_5tupleIJS9_S6_EEENSD_IJSA_SA_EEENS0_18inequality_wrapperIZN2at6native12_GLOBAL__N_124unique_dim_cuda_templateItEESt5tupleIJNSH_6TensorESM_SM_EERKSM_lbbbEUlllE0_EEPmJS6_EEE10hipError_tPvRmT3_T4_T5_T6_T7_T9_mT8_P12ihipStream_tbDpT10_ENKUlT_T0_E_clISt17integral_constantIbLb1EES1B_IbLb0EEEEDaS17_S18_EUlS17_E_NS1_11comp_targetILNS1_3genE8ELNS1_11target_archE1030ELNS1_3gpuE2ELNS1_3repE0EEENS1_30default_config_static_selectorELNS0_4arch9wavefront6targetE1EEEvT1_ ; -- Begin function _ZN7rocprim17ROCPRIM_400000_NS6detail17trampoline_kernelINS0_14default_configENS1_25partition_config_selectorILNS1_17partition_subalgoE8ElNS0_10empty_typeEbEEZZNS1_14partition_implILS5_8ELb0ES3_jPlPS6_PKS6_NS0_5tupleIJS9_S6_EEENSD_IJSA_SA_EEENS0_18inequality_wrapperIZN2at6native12_GLOBAL__N_124unique_dim_cuda_templateItEESt5tupleIJNSH_6TensorESM_SM_EERKSM_lbbbEUlllE0_EEPmJS6_EEE10hipError_tPvRmT3_T4_T5_T6_T7_T9_mT8_P12ihipStream_tbDpT10_ENKUlT_T0_E_clISt17integral_constantIbLb1EES1B_IbLb0EEEEDaS17_S18_EUlS17_E_NS1_11comp_targetILNS1_3genE8ELNS1_11target_archE1030ELNS1_3gpuE2ELNS1_3repE0EEENS1_30default_config_static_selectorELNS0_4arch9wavefront6targetE1EEEvT1_
	.p2align	8
	.type	_ZN7rocprim17ROCPRIM_400000_NS6detail17trampoline_kernelINS0_14default_configENS1_25partition_config_selectorILNS1_17partition_subalgoE8ElNS0_10empty_typeEbEEZZNS1_14partition_implILS5_8ELb0ES3_jPlPS6_PKS6_NS0_5tupleIJS9_S6_EEENSD_IJSA_SA_EEENS0_18inequality_wrapperIZN2at6native12_GLOBAL__N_124unique_dim_cuda_templateItEESt5tupleIJNSH_6TensorESM_SM_EERKSM_lbbbEUlllE0_EEPmJS6_EEE10hipError_tPvRmT3_T4_T5_T6_T7_T9_mT8_P12ihipStream_tbDpT10_ENKUlT_T0_E_clISt17integral_constantIbLb1EES1B_IbLb0EEEEDaS17_S18_EUlS17_E_NS1_11comp_targetILNS1_3genE8ELNS1_11target_archE1030ELNS1_3gpuE2ELNS1_3repE0EEENS1_30default_config_static_selectorELNS0_4arch9wavefront6targetE1EEEvT1_,@function
_ZN7rocprim17ROCPRIM_400000_NS6detail17trampoline_kernelINS0_14default_configENS1_25partition_config_selectorILNS1_17partition_subalgoE8ElNS0_10empty_typeEbEEZZNS1_14partition_implILS5_8ELb0ES3_jPlPS6_PKS6_NS0_5tupleIJS9_S6_EEENSD_IJSA_SA_EEENS0_18inequality_wrapperIZN2at6native12_GLOBAL__N_124unique_dim_cuda_templateItEESt5tupleIJNSH_6TensorESM_SM_EERKSM_lbbbEUlllE0_EEPmJS6_EEE10hipError_tPvRmT3_T4_T5_T6_T7_T9_mT8_P12ihipStream_tbDpT10_ENKUlT_T0_E_clISt17integral_constantIbLb1EES1B_IbLb0EEEEDaS17_S18_EUlS17_E_NS1_11comp_targetILNS1_3genE8ELNS1_11target_archE1030ELNS1_3gpuE2ELNS1_3repE0EEENS1_30default_config_static_selectorELNS0_4arch9wavefront6targetE1EEEvT1_: ; @_ZN7rocprim17ROCPRIM_400000_NS6detail17trampoline_kernelINS0_14default_configENS1_25partition_config_selectorILNS1_17partition_subalgoE8ElNS0_10empty_typeEbEEZZNS1_14partition_implILS5_8ELb0ES3_jPlPS6_PKS6_NS0_5tupleIJS9_S6_EEENSD_IJSA_SA_EEENS0_18inequality_wrapperIZN2at6native12_GLOBAL__N_124unique_dim_cuda_templateItEESt5tupleIJNSH_6TensorESM_SM_EERKSM_lbbbEUlllE0_EEPmJS6_EEE10hipError_tPvRmT3_T4_T5_T6_T7_T9_mT8_P12ihipStream_tbDpT10_ENKUlT_T0_E_clISt17integral_constantIbLb1EES1B_IbLb0EEEEDaS17_S18_EUlS17_E_NS1_11comp_targetILNS1_3genE8ELNS1_11target_archE1030ELNS1_3gpuE2ELNS1_3repE0EEENS1_30default_config_static_selectorELNS0_4arch9wavefront6targetE1EEEvT1_
; %bb.0:
	.section	.rodata,"a",@progbits
	.p2align	6, 0x0
	.amdhsa_kernel _ZN7rocprim17ROCPRIM_400000_NS6detail17trampoline_kernelINS0_14default_configENS1_25partition_config_selectorILNS1_17partition_subalgoE8ElNS0_10empty_typeEbEEZZNS1_14partition_implILS5_8ELb0ES3_jPlPS6_PKS6_NS0_5tupleIJS9_S6_EEENSD_IJSA_SA_EEENS0_18inequality_wrapperIZN2at6native12_GLOBAL__N_124unique_dim_cuda_templateItEESt5tupleIJNSH_6TensorESM_SM_EERKSM_lbbbEUlllE0_EEPmJS6_EEE10hipError_tPvRmT3_T4_T5_T6_T7_T9_mT8_P12ihipStream_tbDpT10_ENKUlT_T0_E_clISt17integral_constantIbLb1EES1B_IbLb0EEEEDaS17_S18_EUlS17_E_NS1_11comp_targetILNS1_3genE8ELNS1_11target_archE1030ELNS1_3gpuE2ELNS1_3repE0EEENS1_30default_config_static_selectorELNS0_4arch9wavefront6targetE1EEEvT1_
		.amdhsa_group_segment_fixed_size 0
		.amdhsa_private_segment_fixed_size 0
		.amdhsa_kernarg_size 120
		.amdhsa_user_sgpr_count 6
		.amdhsa_user_sgpr_private_segment_buffer 1
		.amdhsa_user_sgpr_dispatch_ptr 0
		.amdhsa_user_sgpr_queue_ptr 0
		.amdhsa_user_sgpr_kernarg_segment_ptr 1
		.amdhsa_user_sgpr_dispatch_id 0
		.amdhsa_user_sgpr_flat_scratch_init 0
		.amdhsa_user_sgpr_kernarg_preload_length 0
		.amdhsa_user_sgpr_kernarg_preload_offset 0
		.amdhsa_user_sgpr_private_segment_size 0
		.amdhsa_uses_dynamic_stack 0
		.amdhsa_system_sgpr_private_segment_wavefront_offset 0
		.amdhsa_system_sgpr_workgroup_id_x 1
		.amdhsa_system_sgpr_workgroup_id_y 0
		.amdhsa_system_sgpr_workgroup_id_z 0
		.amdhsa_system_sgpr_workgroup_info 0
		.amdhsa_system_vgpr_workitem_id 0
		.amdhsa_next_free_vgpr 1
		.amdhsa_next_free_sgpr 0
		.amdhsa_accum_offset 4
		.amdhsa_reserve_vcc 0
		.amdhsa_reserve_flat_scratch 0
		.amdhsa_float_round_mode_32 0
		.amdhsa_float_round_mode_16_64 0
		.amdhsa_float_denorm_mode_32 3
		.amdhsa_float_denorm_mode_16_64 3
		.amdhsa_dx10_clamp 1
		.amdhsa_ieee_mode 1
		.amdhsa_fp16_overflow 0
		.amdhsa_tg_split 0
		.amdhsa_exception_fp_ieee_invalid_op 0
		.amdhsa_exception_fp_denorm_src 0
		.amdhsa_exception_fp_ieee_div_zero 0
		.amdhsa_exception_fp_ieee_overflow 0
		.amdhsa_exception_fp_ieee_underflow 0
		.amdhsa_exception_fp_ieee_inexact 0
		.amdhsa_exception_int_div_zero 0
	.end_amdhsa_kernel
	.section	.text._ZN7rocprim17ROCPRIM_400000_NS6detail17trampoline_kernelINS0_14default_configENS1_25partition_config_selectorILNS1_17partition_subalgoE8ElNS0_10empty_typeEbEEZZNS1_14partition_implILS5_8ELb0ES3_jPlPS6_PKS6_NS0_5tupleIJS9_S6_EEENSD_IJSA_SA_EEENS0_18inequality_wrapperIZN2at6native12_GLOBAL__N_124unique_dim_cuda_templateItEESt5tupleIJNSH_6TensorESM_SM_EERKSM_lbbbEUlllE0_EEPmJS6_EEE10hipError_tPvRmT3_T4_T5_T6_T7_T9_mT8_P12ihipStream_tbDpT10_ENKUlT_T0_E_clISt17integral_constantIbLb1EES1B_IbLb0EEEEDaS17_S18_EUlS17_E_NS1_11comp_targetILNS1_3genE8ELNS1_11target_archE1030ELNS1_3gpuE2ELNS1_3repE0EEENS1_30default_config_static_selectorELNS0_4arch9wavefront6targetE1EEEvT1_,"axG",@progbits,_ZN7rocprim17ROCPRIM_400000_NS6detail17trampoline_kernelINS0_14default_configENS1_25partition_config_selectorILNS1_17partition_subalgoE8ElNS0_10empty_typeEbEEZZNS1_14partition_implILS5_8ELb0ES3_jPlPS6_PKS6_NS0_5tupleIJS9_S6_EEENSD_IJSA_SA_EEENS0_18inequality_wrapperIZN2at6native12_GLOBAL__N_124unique_dim_cuda_templateItEESt5tupleIJNSH_6TensorESM_SM_EERKSM_lbbbEUlllE0_EEPmJS6_EEE10hipError_tPvRmT3_T4_T5_T6_T7_T9_mT8_P12ihipStream_tbDpT10_ENKUlT_T0_E_clISt17integral_constantIbLb1EES1B_IbLb0EEEEDaS17_S18_EUlS17_E_NS1_11comp_targetILNS1_3genE8ELNS1_11target_archE1030ELNS1_3gpuE2ELNS1_3repE0EEENS1_30default_config_static_selectorELNS0_4arch9wavefront6targetE1EEEvT1_,comdat
.Lfunc_end1440:
	.size	_ZN7rocprim17ROCPRIM_400000_NS6detail17trampoline_kernelINS0_14default_configENS1_25partition_config_selectorILNS1_17partition_subalgoE8ElNS0_10empty_typeEbEEZZNS1_14partition_implILS5_8ELb0ES3_jPlPS6_PKS6_NS0_5tupleIJS9_S6_EEENSD_IJSA_SA_EEENS0_18inequality_wrapperIZN2at6native12_GLOBAL__N_124unique_dim_cuda_templateItEESt5tupleIJNSH_6TensorESM_SM_EERKSM_lbbbEUlllE0_EEPmJS6_EEE10hipError_tPvRmT3_T4_T5_T6_T7_T9_mT8_P12ihipStream_tbDpT10_ENKUlT_T0_E_clISt17integral_constantIbLb1EES1B_IbLb0EEEEDaS17_S18_EUlS17_E_NS1_11comp_targetILNS1_3genE8ELNS1_11target_archE1030ELNS1_3gpuE2ELNS1_3repE0EEENS1_30default_config_static_selectorELNS0_4arch9wavefront6targetE1EEEvT1_, .Lfunc_end1440-_ZN7rocprim17ROCPRIM_400000_NS6detail17trampoline_kernelINS0_14default_configENS1_25partition_config_selectorILNS1_17partition_subalgoE8ElNS0_10empty_typeEbEEZZNS1_14partition_implILS5_8ELb0ES3_jPlPS6_PKS6_NS0_5tupleIJS9_S6_EEENSD_IJSA_SA_EEENS0_18inequality_wrapperIZN2at6native12_GLOBAL__N_124unique_dim_cuda_templateItEESt5tupleIJNSH_6TensorESM_SM_EERKSM_lbbbEUlllE0_EEPmJS6_EEE10hipError_tPvRmT3_T4_T5_T6_T7_T9_mT8_P12ihipStream_tbDpT10_ENKUlT_T0_E_clISt17integral_constantIbLb1EES1B_IbLb0EEEEDaS17_S18_EUlS17_E_NS1_11comp_targetILNS1_3genE8ELNS1_11target_archE1030ELNS1_3gpuE2ELNS1_3repE0EEENS1_30default_config_static_selectorELNS0_4arch9wavefront6targetE1EEEvT1_
                                        ; -- End function
	.section	.AMDGPU.csdata,"",@progbits
; Kernel info:
; codeLenInByte = 0
; NumSgprs: 4
; NumVgprs: 0
; NumAgprs: 0
; TotalNumVgprs: 0
; ScratchSize: 0
; MemoryBound: 0
; FloatMode: 240
; IeeeMode: 1
; LDSByteSize: 0 bytes/workgroup (compile time only)
; SGPRBlocks: 0
; VGPRBlocks: 0
; NumSGPRsForWavesPerEU: 4
; NumVGPRsForWavesPerEU: 1
; AccumOffset: 4
; Occupancy: 8
; WaveLimiterHint : 0
; COMPUTE_PGM_RSRC2:SCRATCH_EN: 0
; COMPUTE_PGM_RSRC2:USER_SGPR: 6
; COMPUTE_PGM_RSRC2:TRAP_HANDLER: 0
; COMPUTE_PGM_RSRC2:TGID_X_EN: 1
; COMPUTE_PGM_RSRC2:TGID_Y_EN: 0
; COMPUTE_PGM_RSRC2:TGID_Z_EN: 0
; COMPUTE_PGM_RSRC2:TIDIG_COMP_CNT: 0
; COMPUTE_PGM_RSRC3_GFX90A:ACCUM_OFFSET: 0
; COMPUTE_PGM_RSRC3_GFX90A:TG_SPLIT: 0
	.section	.text._ZN7rocprim17ROCPRIM_400000_NS6detail17trampoline_kernelINS0_14default_configENS1_25partition_config_selectorILNS1_17partition_subalgoE8ElNS0_10empty_typeEbEEZZNS1_14partition_implILS5_8ELb0ES3_jPlPS6_PKS6_NS0_5tupleIJS9_S6_EEENSD_IJSA_SA_EEENS0_18inequality_wrapperIZN2at6native12_GLOBAL__N_124unique_dim_cuda_templateItEESt5tupleIJNSH_6TensorESM_SM_EERKSM_lbbbEUlllE0_EEPmJS6_EEE10hipError_tPvRmT3_T4_T5_T6_T7_T9_mT8_P12ihipStream_tbDpT10_ENKUlT_T0_E_clISt17integral_constantIbLb0EES1B_IbLb1EEEEDaS17_S18_EUlS17_E_NS1_11comp_targetILNS1_3genE0ELNS1_11target_archE4294967295ELNS1_3gpuE0ELNS1_3repE0EEENS1_30default_config_static_selectorELNS0_4arch9wavefront6targetE1EEEvT1_,"axG",@progbits,_ZN7rocprim17ROCPRIM_400000_NS6detail17trampoline_kernelINS0_14default_configENS1_25partition_config_selectorILNS1_17partition_subalgoE8ElNS0_10empty_typeEbEEZZNS1_14partition_implILS5_8ELb0ES3_jPlPS6_PKS6_NS0_5tupleIJS9_S6_EEENSD_IJSA_SA_EEENS0_18inequality_wrapperIZN2at6native12_GLOBAL__N_124unique_dim_cuda_templateItEESt5tupleIJNSH_6TensorESM_SM_EERKSM_lbbbEUlllE0_EEPmJS6_EEE10hipError_tPvRmT3_T4_T5_T6_T7_T9_mT8_P12ihipStream_tbDpT10_ENKUlT_T0_E_clISt17integral_constantIbLb0EES1B_IbLb1EEEEDaS17_S18_EUlS17_E_NS1_11comp_targetILNS1_3genE0ELNS1_11target_archE4294967295ELNS1_3gpuE0ELNS1_3repE0EEENS1_30default_config_static_selectorELNS0_4arch9wavefront6targetE1EEEvT1_,comdat
	.globl	_ZN7rocprim17ROCPRIM_400000_NS6detail17trampoline_kernelINS0_14default_configENS1_25partition_config_selectorILNS1_17partition_subalgoE8ElNS0_10empty_typeEbEEZZNS1_14partition_implILS5_8ELb0ES3_jPlPS6_PKS6_NS0_5tupleIJS9_S6_EEENSD_IJSA_SA_EEENS0_18inequality_wrapperIZN2at6native12_GLOBAL__N_124unique_dim_cuda_templateItEESt5tupleIJNSH_6TensorESM_SM_EERKSM_lbbbEUlllE0_EEPmJS6_EEE10hipError_tPvRmT3_T4_T5_T6_T7_T9_mT8_P12ihipStream_tbDpT10_ENKUlT_T0_E_clISt17integral_constantIbLb0EES1B_IbLb1EEEEDaS17_S18_EUlS17_E_NS1_11comp_targetILNS1_3genE0ELNS1_11target_archE4294967295ELNS1_3gpuE0ELNS1_3repE0EEENS1_30default_config_static_selectorELNS0_4arch9wavefront6targetE1EEEvT1_ ; -- Begin function _ZN7rocprim17ROCPRIM_400000_NS6detail17trampoline_kernelINS0_14default_configENS1_25partition_config_selectorILNS1_17partition_subalgoE8ElNS0_10empty_typeEbEEZZNS1_14partition_implILS5_8ELb0ES3_jPlPS6_PKS6_NS0_5tupleIJS9_S6_EEENSD_IJSA_SA_EEENS0_18inequality_wrapperIZN2at6native12_GLOBAL__N_124unique_dim_cuda_templateItEESt5tupleIJNSH_6TensorESM_SM_EERKSM_lbbbEUlllE0_EEPmJS6_EEE10hipError_tPvRmT3_T4_T5_T6_T7_T9_mT8_P12ihipStream_tbDpT10_ENKUlT_T0_E_clISt17integral_constantIbLb0EES1B_IbLb1EEEEDaS17_S18_EUlS17_E_NS1_11comp_targetILNS1_3genE0ELNS1_11target_archE4294967295ELNS1_3gpuE0ELNS1_3repE0EEENS1_30default_config_static_selectorELNS0_4arch9wavefront6targetE1EEEvT1_
	.p2align	8
	.type	_ZN7rocprim17ROCPRIM_400000_NS6detail17trampoline_kernelINS0_14default_configENS1_25partition_config_selectorILNS1_17partition_subalgoE8ElNS0_10empty_typeEbEEZZNS1_14partition_implILS5_8ELb0ES3_jPlPS6_PKS6_NS0_5tupleIJS9_S6_EEENSD_IJSA_SA_EEENS0_18inequality_wrapperIZN2at6native12_GLOBAL__N_124unique_dim_cuda_templateItEESt5tupleIJNSH_6TensorESM_SM_EERKSM_lbbbEUlllE0_EEPmJS6_EEE10hipError_tPvRmT3_T4_T5_T6_T7_T9_mT8_P12ihipStream_tbDpT10_ENKUlT_T0_E_clISt17integral_constantIbLb0EES1B_IbLb1EEEEDaS17_S18_EUlS17_E_NS1_11comp_targetILNS1_3genE0ELNS1_11target_archE4294967295ELNS1_3gpuE0ELNS1_3repE0EEENS1_30default_config_static_selectorELNS0_4arch9wavefront6targetE1EEEvT1_,@function
_ZN7rocprim17ROCPRIM_400000_NS6detail17trampoline_kernelINS0_14default_configENS1_25partition_config_selectorILNS1_17partition_subalgoE8ElNS0_10empty_typeEbEEZZNS1_14partition_implILS5_8ELb0ES3_jPlPS6_PKS6_NS0_5tupleIJS9_S6_EEENSD_IJSA_SA_EEENS0_18inequality_wrapperIZN2at6native12_GLOBAL__N_124unique_dim_cuda_templateItEESt5tupleIJNSH_6TensorESM_SM_EERKSM_lbbbEUlllE0_EEPmJS6_EEE10hipError_tPvRmT3_T4_T5_T6_T7_T9_mT8_P12ihipStream_tbDpT10_ENKUlT_T0_E_clISt17integral_constantIbLb0EES1B_IbLb1EEEEDaS17_S18_EUlS17_E_NS1_11comp_targetILNS1_3genE0ELNS1_11target_archE4294967295ELNS1_3gpuE0ELNS1_3repE0EEENS1_30default_config_static_selectorELNS0_4arch9wavefront6targetE1EEEvT1_: ; @_ZN7rocprim17ROCPRIM_400000_NS6detail17trampoline_kernelINS0_14default_configENS1_25partition_config_selectorILNS1_17partition_subalgoE8ElNS0_10empty_typeEbEEZZNS1_14partition_implILS5_8ELb0ES3_jPlPS6_PKS6_NS0_5tupleIJS9_S6_EEENSD_IJSA_SA_EEENS0_18inequality_wrapperIZN2at6native12_GLOBAL__N_124unique_dim_cuda_templateItEESt5tupleIJNSH_6TensorESM_SM_EERKSM_lbbbEUlllE0_EEPmJS6_EEE10hipError_tPvRmT3_T4_T5_T6_T7_T9_mT8_P12ihipStream_tbDpT10_ENKUlT_T0_E_clISt17integral_constantIbLb0EES1B_IbLb1EEEEDaS17_S18_EUlS17_E_NS1_11comp_targetILNS1_3genE0ELNS1_11target_archE4294967295ELNS1_3gpuE0ELNS1_3repE0EEENS1_30default_config_static_selectorELNS0_4arch9wavefront6targetE1EEEvT1_
; %bb.0:
	.section	.rodata,"a",@progbits
	.p2align	6, 0x0
	.amdhsa_kernel _ZN7rocprim17ROCPRIM_400000_NS6detail17trampoline_kernelINS0_14default_configENS1_25partition_config_selectorILNS1_17partition_subalgoE8ElNS0_10empty_typeEbEEZZNS1_14partition_implILS5_8ELb0ES3_jPlPS6_PKS6_NS0_5tupleIJS9_S6_EEENSD_IJSA_SA_EEENS0_18inequality_wrapperIZN2at6native12_GLOBAL__N_124unique_dim_cuda_templateItEESt5tupleIJNSH_6TensorESM_SM_EERKSM_lbbbEUlllE0_EEPmJS6_EEE10hipError_tPvRmT3_T4_T5_T6_T7_T9_mT8_P12ihipStream_tbDpT10_ENKUlT_T0_E_clISt17integral_constantIbLb0EES1B_IbLb1EEEEDaS17_S18_EUlS17_E_NS1_11comp_targetILNS1_3genE0ELNS1_11target_archE4294967295ELNS1_3gpuE0ELNS1_3repE0EEENS1_30default_config_static_selectorELNS0_4arch9wavefront6targetE1EEEvT1_
		.amdhsa_group_segment_fixed_size 0
		.amdhsa_private_segment_fixed_size 0
		.amdhsa_kernarg_size 136
		.amdhsa_user_sgpr_count 6
		.amdhsa_user_sgpr_private_segment_buffer 1
		.amdhsa_user_sgpr_dispatch_ptr 0
		.amdhsa_user_sgpr_queue_ptr 0
		.amdhsa_user_sgpr_kernarg_segment_ptr 1
		.amdhsa_user_sgpr_dispatch_id 0
		.amdhsa_user_sgpr_flat_scratch_init 0
		.amdhsa_user_sgpr_kernarg_preload_length 0
		.amdhsa_user_sgpr_kernarg_preload_offset 0
		.amdhsa_user_sgpr_private_segment_size 0
		.amdhsa_uses_dynamic_stack 0
		.amdhsa_system_sgpr_private_segment_wavefront_offset 0
		.amdhsa_system_sgpr_workgroup_id_x 1
		.amdhsa_system_sgpr_workgroup_id_y 0
		.amdhsa_system_sgpr_workgroup_id_z 0
		.amdhsa_system_sgpr_workgroup_info 0
		.amdhsa_system_vgpr_workitem_id 0
		.amdhsa_next_free_vgpr 1
		.amdhsa_next_free_sgpr 0
		.amdhsa_accum_offset 4
		.amdhsa_reserve_vcc 0
		.amdhsa_reserve_flat_scratch 0
		.amdhsa_float_round_mode_32 0
		.amdhsa_float_round_mode_16_64 0
		.amdhsa_float_denorm_mode_32 3
		.amdhsa_float_denorm_mode_16_64 3
		.amdhsa_dx10_clamp 1
		.amdhsa_ieee_mode 1
		.amdhsa_fp16_overflow 0
		.amdhsa_tg_split 0
		.amdhsa_exception_fp_ieee_invalid_op 0
		.amdhsa_exception_fp_denorm_src 0
		.amdhsa_exception_fp_ieee_div_zero 0
		.amdhsa_exception_fp_ieee_overflow 0
		.amdhsa_exception_fp_ieee_underflow 0
		.amdhsa_exception_fp_ieee_inexact 0
		.amdhsa_exception_int_div_zero 0
	.end_amdhsa_kernel
	.section	.text._ZN7rocprim17ROCPRIM_400000_NS6detail17trampoline_kernelINS0_14default_configENS1_25partition_config_selectorILNS1_17partition_subalgoE8ElNS0_10empty_typeEbEEZZNS1_14partition_implILS5_8ELb0ES3_jPlPS6_PKS6_NS0_5tupleIJS9_S6_EEENSD_IJSA_SA_EEENS0_18inequality_wrapperIZN2at6native12_GLOBAL__N_124unique_dim_cuda_templateItEESt5tupleIJNSH_6TensorESM_SM_EERKSM_lbbbEUlllE0_EEPmJS6_EEE10hipError_tPvRmT3_T4_T5_T6_T7_T9_mT8_P12ihipStream_tbDpT10_ENKUlT_T0_E_clISt17integral_constantIbLb0EES1B_IbLb1EEEEDaS17_S18_EUlS17_E_NS1_11comp_targetILNS1_3genE0ELNS1_11target_archE4294967295ELNS1_3gpuE0ELNS1_3repE0EEENS1_30default_config_static_selectorELNS0_4arch9wavefront6targetE1EEEvT1_,"axG",@progbits,_ZN7rocprim17ROCPRIM_400000_NS6detail17trampoline_kernelINS0_14default_configENS1_25partition_config_selectorILNS1_17partition_subalgoE8ElNS0_10empty_typeEbEEZZNS1_14partition_implILS5_8ELb0ES3_jPlPS6_PKS6_NS0_5tupleIJS9_S6_EEENSD_IJSA_SA_EEENS0_18inequality_wrapperIZN2at6native12_GLOBAL__N_124unique_dim_cuda_templateItEESt5tupleIJNSH_6TensorESM_SM_EERKSM_lbbbEUlllE0_EEPmJS6_EEE10hipError_tPvRmT3_T4_T5_T6_T7_T9_mT8_P12ihipStream_tbDpT10_ENKUlT_T0_E_clISt17integral_constantIbLb0EES1B_IbLb1EEEEDaS17_S18_EUlS17_E_NS1_11comp_targetILNS1_3genE0ELNS1_11target_archE4294967295ELNS1_3gpuE0ELNS1_3repE0EEENS1_30default_config_static_selectorELNS0_4arch9wavefront6targetE1EEEvT1_,comdat
.Lfunc_end1441:
	.size	_ZN7rocprim17ROCPRIM_400000_NS6detail17trampoline_kernelINS0_14default_configENS1_25partition_config_selectorILNS1_17partition_subalgoE8ElNS0_10empty_typeEbEEZZNS1_14partition_implILS5_8ELb0ES3_jPlPS6_PKS6_NS0_5tupleIJS9_S6_EEENSD_IJSA_SA_EEENS0_18inequality_wrapperIZN2at6native12_GLOBAL__N_124unique_dim_cuda_templateItEESt5tupleIJNSH_6TensorESM_SM_EERKSM_lbbbEUlllE0_EEPmJS6_EEE10hipError_tPvRmT3_T4_T5_T6_T7_T9_mT8_P12ihipStream_tbDpT10_ENKUlT_T0_E_clISt17integral_constantIbLb0EES1B_IbLb1EEEEDaS17_S18_EUlS17_E_NS1_11comp_targetILNS1_3genE0ELNS1_11target_archE4294967295ELNS1_3gpuE0ELNS1_3repE0EEENS1_30default_config_static_selectorELNS0_4arch9wavefront6targetE1EEEvT1_, .Lfunc_end1441-_ZN7rocprim17ROCPRIM_400000_NS6detail17trampoline_kernelINS0_14default_configENS1_25partition_config_selectorILNS1_17partition_subalgoE8ElNS0_10empty_typeEbEEZZNS1_14partition_implILS5_8ELb0ES3_jPlPS6_PKS6_NS0_5tupleIJS9_S6_EEENSD_IJSA_SA_EEENS0_18inequality_wrapperIZN2at6native12_GLOBAL__N_124unique_dim_cuda_templateItEESt5tupleIJNSH_6TensorESM_SM_EERKSM_lbbbEUlllE0_EEPmJS6_EEE10hipError_tPvRmT3_T4_T5_T6_T7_T9_mT8_P12ihipStream_tbDpT10_ENKUlT_T0_E_clISt17integral_constantIbLb0EES1B_IbLb1EEEEDaS17_S18_EUlS17_E_NS1_11comp_targetILNS1_3genE0ELNS1_11target_archE4294967295ELNS1_3gpuE0ELNS1_3repE0EEENS1_30default_config_static_selectorELNS0_4arch9wavefront6targetE1EEEvT1_
                                        ; -- End function
	.section	.AMDGPU.csdata,"",@progbits
; Kernel info:
; codeLenInByte = 0
; NumSgprs: 4
; NumVgprs: 0
; NumAgprs: 0
; TotalNumVgprs: 0
; ScratchSize: 0
; MemoryBound: 0
; FloatMode: 240
; IeeeMode: 1
; LDSByteSize: 0 bytes/workgroup (compile time only)
; SGPRBlocks: 0
; VGPRBlocks: 0
; NumSGPRsForWavesPerEU: 4
; NumVGPRsForWavesPerEU: 1
; AccumOffset: 4
; Occupancy: 8
; WaveLimiterHint : 0
; COMPUTE_PGM_RSRC2:SCRATCH_EN: 0
; COMPUTE_PGM_RSRC2:USER_SGPR: 6
; COMPUTE_PGM_RSRC2:TRAP_HANDLER: 0
; COMPUTE_PGM_RSRC2:TGID_X_EN: 1
; COMPUTE_PGM_RSRC2:TGID_Y_EN: 0
; COMPUTE_PGM_RSRC2:TGID_Z_EN: 0
; COMPUTE_PGM_RSRC2:TIDIG_COMP_CNT: 0
; COMPUTE_PGM_RSRC3_GFX90A:ACCUM_OFFSET: 0
; COMPUTE_PGM_RSRC3_GFX90A:TG_SPLIT: 0
	.section	.text._ZN7rocprim17ROCPRIM_400000_NS6detail17trampoline_kernelINS0_14default_configENS1_25partition_config_selectorILNS1_17partition_subalgoE8ElNS0_10empty_typeEbEEZZNS1_14partition_implILS5_8ELb0ES3_jPlPS6_PKS6_NS0_5tupleIJS9_S6_EEENSD_IJSA_SA_EEENS0_18inequality_wrapperIZN2at6native12_GLOBAL__N_124unique_dim_cuda_templateItEESt5tupleIJNSH_6TensorESM_SM_EERKSM_lbbbEUlllE0_EEPmJS6_EEE10hipError_tPvRmT3_T4_T5_T6_T7_T9_mT8_P12ihipStream_tbDpT10_ENKUlT_T0_E_clISt17integral_constantIbLb0EES1B_IbLb1EEEEDaS17_S18_EUlS17_E_NS1_11comp_targetILNS1_3genE5ELNS1_11target_archE942ELNS1_3gpuE9ELNS1_3repE0EEENS1_30default_config_static_selectorELNS0_4arch9wavefront6targetE1EEEvT1_,"axG",@progbits,_ZN7rocprim17ROCPRIM_400000_NS6detail17trampoline_kernelINS0_14default_configENS1_25partition_config_selectorILNS1_17partition_subalgoE8ElNS0_10empty_typeEbEEZZNS1_14partition_implILS5_8ELb0ES3_jPlPS6_PKS6_NS0_5tupleIJS9_S6_EEENSD_IJSA_SA_EEENS0_18inequality_wrapperIZN2at6native12_GLOBAL__N_124unique_dim_cuda_templateItEESt5tupleIJNSH_6TensorESM_SM_EERKSM_lbbbEUlllE0_EEPmJS6_EEE10hipError_tPvRmT3_T4_T5_T6_T7_T9_mT8_P12ihipStream_tbDpT10_ENKUlT_T0_E_clISt17integral_constantIbLb0EES1B_IbLb1EEEEDaS17_S18_EUlS17_E_NS1_11comp_targetILNS1_3genE5ELNS1_11target_archE942ELNS1_3gpuE9ELNS1_3repE0EEENS1_30default_config_static_selectorELNS0_4arch9wavefront6targetE1EEEvT1_,comdat
	.globl	_ZN7rocprim17ROCPRIM_400000_NS6detail17trampoline_kernelINS0_14default_configENS1_25partition_config_selectorILNS1_17partition_subalgoE8ElNS0_10empty_typeEbEEZZNS1_14partition_implILS5_8ELb0ES3_jPlPS6_PKS6_NS0_5tupleIJS9_S6_EEENSD_IJSA_SA_EEENS0_18inequality_wrapperIZN2at6native12_GLOBAL__N_124unique_dim_cuda_templateItEESt5tupleIJNSH_6TensorESM_SM_EERKSM_lbbbEUlllE0_EEPmJS6_EEE10hipError_tPvRmT3_T4_T5_T6_T7_T9_mT8_P12ihipStream_tbDpT10_ENKUlT_T0_E_clISt17integral_constantIbLb0EES1B_IbLb1EEEEDaS17_S18_EUlS17_E_NS1_11comp_targetILNS1_3genE5ELNS1_11target_archE942ELNS1_3gpuE9ELNS1_3repE0EEENS1_30default_config_static_selectorELNS0_4arch9wavefront6targetE1EEEvT1_ ; -- Begin function _ZN7rocprim17ROCPRIM_400000_NS6detail17trampoline_kernelINS0_14default_configENS1_25partition_config_selectorILNS1_17partition_subalgoE8ElNS0_10empty_typeEbEEZZNS1_14partition_implILS5_8ELb0ES3_jPlPS6_PKS6_NS0_5tupleIJS9_S6_EEENSD_IJSA_SA_EEENS0_18inequality_wrapperIZN2at6native12_GLOBAL__N_124unique_dim_cuda_templateItEESt5tupleIJNSH_6TensorESM_SM_EERKSM_lbbbEUlllE0_EEPmJS6_EEE10hipError_tPvRmT3_T4_T5_T6_T7_T9_mT8_P12ihipStream_tbDpT10_ENKUlT_T0_E_clISt17integral_constantIbLb0EES1B_IbLb1EEEEDaS17_S18_EUlS17_E_NS1_11comp_targetILNS1_3genE5ELNS1_11target_archE942ELNS1_3gpuE9ELNS1_3repE0EEENS1_30default_config_static_selectorELNS0_4arch9wavefront6targetE1EEEvT1_
	.p2align	8
	.type	_ZN7rocprim17ROCPRIM_400000_NS6detail17trampoline_kernelINS0_14default_configENS1_25partition_config_selectorILNS1_17partition_subalgoE8ElNS0_10empty_typeEbEEZZNS1_14partition_implILS5_8ELb0ES3_jPlPS6_PKS6_NS0_5tupleIJS9_S6_EEENSD_IJSA_SA_EEENS0_18inequality_wrapperIZN2at6native12_GLOBAL__N_124unique_dim_cuda_templateItEESt5tupleIJNSH_6TensorESM_SM_EERKSM_lbbbEUlllE0_EEPmJS6_EEE10hipError_tPvRmT3_T4_T5_T6_T7_T9_mT8_P12ihipStream_tbDpT10_ENKUlT_T0_E_clISt17integral_constantIbLb0EES1B_IbLb1EEEEDaS17_S18_EUlS17_E_NS1_11comp_targetILNS1_3genE5ELNS1_11target_archE942ELNS1_3gpuE9ELNS1_3repE0EEENS1_30default_config_static_selectorELNS0_4arch9wavefront6targetE1EEEvT1_,@function
_ZN7rocprim17ROCPRIM_400000_NS6detail17trampoline_kernelINS0_14default_configENS1_25partition_config_selectorILNS1_17partition_subalgoE8ElNS0_10empty_typeEbEEZZNS1_14partition_implILS5_8ELb0ES3_jPlPS6_PKS6_NS0_5tupleIJS9_S6_EEENSD_IJSA_SA_EEENS0_18inequality_wrapperIZN2at6native12_GLOBAL__N_124unique_dim_cuda_templateItEESt5tupleIJNSH_6TensorESM_SM_EERKSM_lbbbEUlllE0_EEPmJS6_EEE10hipError_tPvRmT3_T4_T5_T6_T7_T9_mT8_P12ihipStream_tbDpT10_ENKUlT_T0_E_clISt17integral_constantIbLb0EES1B_IbLb1EEEEDaS17_S18_EUlS17_E_NS1_11comp_targetILNS1_3genE5ELNS1_11target_archE942ELNS1_3gpuE9ELNS1_3repE0EEENS1_30default_config_static_selectorELNS0_4arch9wavefront6targetE1EEEvT1_: ; @_ZN7rocprim17ROCPRIM_400000_NS6detail17trampoline_kernelINS0_14default_configENS1_25partition_config_selectorILNS1_17partition_subalgoE8ElNS0_10empty_typeEbEEZZNS1_14partition_implILS5_8ELb0ES3_jPlPS6_PKS6_NS0_5tupleIJS9_S6_EEENSD_IJSA_SA_EEENS0_18inequality_wrapperIZN2at6native12_GLOBAL__N_124unique_dim_cuda_templateItEESt5tupleIJNSH_6TensorESM_SM_EERKSM_lbbbEUlllE0_EEPmJS6_EEE10hipError_tPvRmT3_T4_T5_T6_T7_T9_mT8_P12ihipStream_tbDpT10_ENKUlT_T0_E_clISt17integral_constantIbLb0EES1B_IbLb1EEEEDaS17_S18_EUlS17_E_NS1_11comp_targetILNS1_3genE5ELNS1_11target_archE942ELNS1_3gpuE9ELNS1_3repE0EEENS1_30default_config_static_selectorELNS0_4arch9wavefront6targetE1EEEvT1_
; %bb.0:
	.section	.rodata,"a",@progbits
	.p2align	6, 0x0
	.amdhsa_kernel _ZN7rocprim17ROCPRIM_400000_NS6detail17trampoline_kernelINS0_14default_configENS1_25partition_config_selectorILNS1_17partition_subalgoE8ElNS0_10empty_typeEbEEZZNS1_14partition_implILS5_8ELb0ES3_jPlPS6_PKS6_NS0_5tupleIJS9_S6_EEENSD_IJSA_SA_EEENS0_18inequality_wrapperIZN2at6native12_GLOBAL__N_124unique_dim_cuda_templateItEESt5tupleIJNSH_6TensorESM_SM_EERKSM_lbbbEUlllE0_EEPmJS6_EEE10hipError_tPvRmT3_T4_T5_T6_T7_T9_mT8_P12ihipStream_tbDpT10_ENKUlT_T0_E_clISt17integral_constantIbLb0EES1B_IbLb1EEEEDaS17_S18_EUlS17_E_NS1_11comp_targetILNS1_3genE5ELNS1_11target_archE942ELNS1_3gpuE9ELNS1_3repE0EEENS1_30default_config_static_selectorELNS0_4arch9wavefront6targetE1EEEvT1_
		.amdhsa_group_segment_fixed_size 0
		.amdhsa_private_segment_fixed_size 0
		.amdhsa_kernarg_size 136
		.amdhsa_user_sgpr_count 6
		.amdhsa_user_sgpr_private_segment_buffer 1
		.amdhsa_user_sgpr_dispatch_ptr 0
		.amdhsa_user_sgpr_queue_ptr 0
		.amdhsa_user_sgpr_kernarg_segment_ptr 1
		.amdhsa_user_sgpr_dispatch_id 0
		.amdhsa_user_sgpr_flat_scratch_init 0
		.amdhsa_user_sgpr_kernarg_preload_length 0
		.amdhsa_user_sgpr_kernarg_preload_offset 0
		.amdhsa_user_sgpr_private_segment_size 0
		.amdhsa_uses_dynamic_stack 0
		.amdhsa_system_sgpr_private_segment_wavefront_offset 0
		.amdhsa_system_sgpr_workgroup_id_x 1
		.amdhsa_system_sgpr_workgroup_id_y 0
		.amdhsa_system_sgpr_workgroup_id_z 0
		.amdhsa_system_sgpr_workgroup_info 0
		.amdhsa_system_vgpr_workitem_id 0
		.amdhsa_next_free_vgpr 1
		.amdhsa_next_free_sgpr 0
		.amdhsa_accum_offset 4
		.amdhsa_reserve_vcc 0
		.amdhsa_reserve_flat_scratch 0
		.amdhsa_float_round_mode_32 0
		.amdhsa_float_round_mode_16_64 0
		.amdhsa_float_denorm_mode_32 3
		.amdhsa_float_denorm_mode_16_64 3
		.amdhsa_dx10_clamp 1
		.amdhsa_ieee_mode 1
		.amdhsa_fp16_overflow 0
		.amdhsa_tg_split 0
		.amdhsa_exception_fp_ieee_invalid_op 0
		.amdhsa_exception_fp_denorm_src 0
		.amdhsa_exception_fp_ieee_div_zero 0
		.amdhsa_exception_fp_ieee_overflow 0
		.amdhsa_exception_fp_ieee_underflow 0
		.amdhsa_exception_fp_ieee_inexact 0
		.amdhsa_exception_int_div_zero 0
	.end_amdhsa_kernel
	.section	.text._ZN7rocprim17ROCPRIM_400000_NS6detail17trampoline_kernelINS0_14default_configENS1_25partition_config_selectorILNS1_17partition_subalgoE8ElNS0_10empty_typeEbEEZZNS1_14partition_implILS5_8ELb0ES3_jPlPS6_PKS6_NS0_5tupleIJS9_S6_EEENSD_IJSA_SA_EEENS0_18inequality_wrapperIZN2at6native12_GLOBAL__N_124unique_dim_cuda_templateItEESt5tupleIJNSH_6TensorESM_SM_EERKSM_lbbbEUlllE0_EEPmJS6_EEE10hipError_tPvRmT3_T4_T5_T6_T7_T9_mT8_P12ihipStream_tbDpT10_ENKUlT_T0_E_clISt17integral_constantIbLb0EES1B_IbLb1EEEEDaS17_S18_EUlS17_E_NS1_11comp_targetILNS1_3genE5ELNS1_11target_archE942ELNS1_3gpuE9ELNS1_3repE0EEENS1_30default_config_static_selectorELNS0_4arch9wavefront6targetE1EEEvT1_,"axG",@progbits,_ZN7rocprim17ROCPRIM_400000_NS6detail17trampoline_kernelINS0_14default_configENS1_25partition_config_selectorILNS1_17partition_subalgoE8ElNS0_10empty_typeEbEEZZNS1_14partition_implILS5_8ELb0ES3_jPlPS6_PKS6_NS0_5tupleIJS9_S6_EEENSD_IJSA_SA_EEENS0_18inequality_wrapperIZN2at6native12_GLOBAL__N_124unique_dim_cuda_templateItEESt5tupleIJNSH_6TensorESM_SM_EERKSM_lbbbEUlllE0_EEPmJS6_EEE10hipError_tPvRmT3_T4_T5_T6_T7_T9_mT8_P12ihipStream_tbDpT10_ENKUlT_T0_E_clISt17integral_constantIbLb0EES1B_IbLb1EEEEDaS17_S18_EUlS17_E_NS1_11comp_targetILNS1_3genE5ELNS1_11target_archE942ELNS1_3gpuE9ELNS1_3repE0EEENS1_30default_config_static_selectorELNS0_4arch9wavefront6targetE1EEEvT1_,comdat
.Lfunc_end1442:
	.size	_ZN7rocprim17ROCPRIM_400000_NS6detail17trampoline_kernelINS0_14default_configENS1_25partition_config_selectorILNS1_17partition_subalgoE8ElNS0_10empty_typeEbEEZZNS1_14partition_implILS5_8ELb0ES3_jPlPS6_PKS6_NS0_5tupleIJS9_S6_EEENSD_IJSA_SA_EEENS0_18inequality_wrapperIZN2at6native12_GLOBAL__N_124unique_dim_cuda_templateItEESt5tupleIJNSH_6TensorESM_SM_EERKSM_lbbbEUlllE0_EEPmJS6_EEE10hipError_tPvRmT3_T4_T5_T6_T7_T9_mT8_P12ihipStream_tbDpT10_ENKUlT_T0_E_clISt17integral_constantIbLb0EES1B_IbLb1EEEEDaS17_S18_EUlS17_E_NS1_11comp_targetILNS1_3genE5ELNS1_11target_archE942ELNS1_3gpuE9ELNS1_3repE0EEENS1_30default_config_static_selectorELNS0_4arch9wavefront6targetE1EEEvT1_, .Lfunc_end1442-_ZN7rocprim17ROCPRIM_400000_NS6detail17trampoline_kernelINS0_14default_configENS1_25partition_config_selectorILNS1_17partition_subalgoE8ElNS0_10empty_typeEbEEZZNS1_14partition_implILS5_8ELb0ES3_jPlPS6_PKS6_NS0_5tupleIJS9_S6_EEENSD_IJSA_SA_EEENS0_18inequality_wrapperIZN2at6native12_GLOBAL__N_124unique_dim_cuda_templateItEESt5tupleIJNSH_6TensorESM_SM_EERKSM_lbbbEUlllE0_EEPmJS6_EEE10hipError_tPvRmT3_T4_T5_T6_T7_T9_mT8_P12ihipStream_tbDpT10_ENKUlT_T0_E_clISt17integral_constantIbLb0EES1B_IbLb1EEEEDaS17_S18_EUlS17_E_NS1_11comp_targetILNS1_3genE5ELNS1_11target_archE942ELNS1_3gpuE9ELNS1_3repE0EEENS1_30default_config_static_selectorELNS0_4arch9wavefront6targetE1EEEvT1_
                                        ; -- End function
	.section	.AMDGPU.csdata,"",@progbits
; Kernel info:
; codeLenInByte = 0
; NumSgprs: 4
; NumVgprs: 0
; NumAgprs: 0
; TotalNumVgprs: 0
; ScratchSize: 0
; MemoryBound: 0
; FloatMode: 240
; IeeeMode: 1
; LDSByteSize: 0 bytes/workgroup (compile time only)
; SGPRBlocks: 0
; VGPRBlocks: 0
; NumSGPRsForWavesPerEU: 4
; NumVGPRsForWavesPerEU: 1
; AccumOffset: 4
; Occupancy: 8
; WaveLimiterHint : 0
; COMPUTE_PGM_RSRC2:SCRATCH_EN: 0
; COMPUTE_PGM_RSRC2:USER_SGPR: 6
; COMPUTE_PGM_RSRC2:TRAP_HANDLER: 0
; COMPUTE_PGM_RSRC2:TGID_X_EN: 1
; COMPUTE_PGM_RSRC2:TGID_Y_EN: 0
; COMPUTE_PGM_RSRC2:TGID_Z_EN: 0
; COMPUTE_PGM_RSRC2:TIDIG_COMP_CNT: 0
; COMPUTE_PGM_RSRC3_GFX90A:ACCUM_OFFSET: 0
; COMPUTE_PGM_RSRC3_GFX90A:TG_SPLIT: 0
	.section	.text._ZN7rocprim17ROCPRIM_400000_NS6detail17trampoline_kernelINS0_14default_configENS1_25partition_config_selectorILNS1_17partition_subalgoE8ElNS0_10empty_typeEbEEZZNS1_14partition_implILS5_8ELb0ES3_jPlPS6_PKS6_NS0_5tupleIJS9_S6_EEENSD_IJSA_SA_EEENS0_18inequality_wrapperIZN2at6native12_GLOBAL__N_124unique_dim_cuda_templateItEESt5tupleIJNSH_6TensorESM_SM_EERKSM_lbbbEUlllE0_EEPmJS6_EEE10hipError_tPvRmT3_T4_T5_T6_T7_T9_mT8_P12ihipStream_tbDpT10_ENKUlT_T0_E_clISt17integral_constantIbLb0EES1B_IbLb1EEEEDaS17_S18_EUlS17_E_NS1_11comp_targetILNS1_3genE4ELNS1_11target_archE910ELNS1_3gpuE8ELNS1_3repE0EEENS1_30default_config_static_selectorELNS0_4arch9wavefront6targetE1EEEvT1_,"axG",@progbits,_ZN7rocprim17ROCPRIM_400000_NS6detail17trampoline_kernelINS0_14default_configENS1_25partition_config_selectorILNS1_17partition_subalgoE8ElNS0_10empty_typeEbEEZZNS1_14partition_implILS5_8ELb0ES3_jPlPS6_PKS6_NS0_5tupleIJS9_S6_EEENSD_IJSA_SA_EEENS0_18inequality_wrapperIZN2at6native12_GLOBAL__N_124unique_dim_cuda_templateItEESt5tupleIJNSH_6TensorESM_SM_EERKSM_lbbbEUlllE0_EEPmJS6_EEE10hipError_tPvRmT3_T4_T5_T6_T7_T9_mT8_P12ihipStream_tbDpT10_ENKUlT_T0_E_clISt17integral_constantIbLb0EES1B_IbLb1EEEEDaS17_S18_EUlS17_E_NS1_11comp_targetILNS1_3genE4ELNS1_11target_archE910ELNS1_3gpuE8ELNS1_3repE0EEENS1_30default_config_static_selectorELNS0_4arch9wavefront6targetE1EEEvT1_,comdat
	.globl	_ZN7rocprim17ROCPRIM_400000_NS6detail17trampoline_kernelINS0_14default_configENS1_25partition_config_selectorILNS1_17partition_subalgoE8ElNS0_10empty_typeEbEEZZNS1_14partition_implILS5_8ELb0ES3_jPlPS6_PKS6_NS0_5tupleIJS9_S6_EEENSD_IJSA_SA_EEENS0_18inequality_wrapperIZN2at6native12_GLOBAL__N_124unique_dim_cuda_templateItEESt5tupleIJNSH_6TensorESM_SM_EERKSM_lbbbEUlllE0_EEPmJS6_EEE10hipError_tPvRmT3_T4_T5_T6_T7_T9_mT8_P12ihipStream_tbDpT10_ENKUlT_T0_E_clISt17integral_constantIbLb0EES1B_IbLb1EEEEDaS17_S18_EUlS17_E_NS1_11comp_targetILNS1_3genE4ELNS1_11target_archE910ELNS1_3gpuE8ELNS1_3repE0EEENS1_30default_config_static_selectorELNS0_4arch9wavefront6targetE1EEEvT1_ ; -- Begin function _ZN7rocprim17ROCPRIM_400000_NS6detail17trampoline_kernelINS0_14default_configENS1_25partition_config_selectorILNS1_17partition_subalgoE8ElNS0_10empty_typeEbEEZZNS1_14partition_implILS5_8ELb0ES3_jPlPS6_PKS6_NS0_5tupleIJS9_S6_EEENSD_IJSA_SA_EEENS0_18inequality_wrapperIZN2at6native12_GLOBAL__N_124unique_dim_cuda_templateItEESt5tupleIJNSH_6TensorESM_SM_EERKSM_lbbbEUlllE0_EEPmJS6_EEE10hipError_tPvRmT3_T4_T5_T6_T7_T9_mT8_P12ihipStream_tbDpT10_ENKUlT_T0_E_clISt17integral_constantIbLb0EES1B_IbLb1EEEEDaS17_S18_EUlS17_E_NS1_11comp_targetILNS1_3genE4ELNS1_11target_archE910ELNS1_3gpuE8ELNS1_3repE0EEENS1_30default_config_static_selectorELNS0_4arch9wavefront6targetE1EEEvT1_
	.p2align	8
	.type	_ZN7rocprim17ROCPRIM_400000_NS6detail17trampoline_kernelINS0_14default_configENS1_25partition_config_selectorILNS1_17partition_subalgoE8ElNS0_10empty_typeEbEEZZNS1_14partition_implILS5_8ELb0ES3_jPlPS6_PKS6_NS0_5tupleIJS9_S6_EEENSD_IJSA_SA_EEENS0_18inequality_wrapperIZN2at6native12_GLOBAL__N_124unique_dim_cuda_templateItEESt5tupleIJNSH_6TensorESM_SM_EERKSM_lbbbEUlllE0_EEPmJS6_EEE10hipError_tPvRmT3_T4_T5_T6_T7_T9_mT8_P12ihipStream_tbDpT10_ENKUlT_T0_E_clISt17integral_constantIbLb0EES1B_IbLb1EEEEDaS17_S18_EUlS17_E_NS1_11comp_targetILNS1_3genE4ELNS1_11target_archE910ELNS1_3gpuE8ELNS1_3repE0EEENS1_30default_config_static_selectorELNS0_4arch9wavefront6targetE1EEEvT1_,@function
_ZN7rocprim17ROCPRIM_400000_NS6detail17trampoline_kernelINS0_14default_configENS1_25partition_config_selectorILNS1_17partition_subalgoE8ElNS0_10empty_typeEbEEZZNS1_14partition_implILS5_8ELb0ES3_jPlPS6_PKS6_NS0_5tupleIJS9_S6_EEENSD_IJSA_SA_EEENS0_18inequality_wrapperIZN2at6native12_GLOBAL__N_124unique_dim_cuda_templateItEESt5tupleIJNSH_6TensorESM_SM_EERKSM_lbbbEUlllE0_EEPmJS6_EEE10hipError_tPvRmT3_T4_T5_T6_T7_T9_mT8_P12ihipStream_tbDpT10_ENKUlT_T0_E_clISt17integral_constantIbLb0EES1B_IbLb1EEEEDaS17_S18_EUlS17_E_NS1_11comp_targetILNS1_3genE4ELNS1_11target_archE910ELNS1_3gpuE8ELNS1_3repE0EEENS1_30default_config_static_selectorELNS0_4arch9wavefront6targetE1EEEvT1_: ; @_ZN7rocprim17ROCPRIM_400000_NS6detail17trampoline_kernelINS0_14default_configENS1_25partition_config_selectorILNS1_17partition_subalgoE8ElNS0_10empty_typeEbEEZZNS1_14partition_implILS5_8ELb0ES3_jPlPS6_PKS6_NS0_5tupleIJS9_S6_EEENSD_IJSA_SA_EEENS0_18inequality_wrapperIZN2at6native12_GLOBAL__N_124unique_dim_cuda_templateItEESt5tupleIJNSH_6TensorESM_SM_EERKSM_lbbbEUlllE0_EEPmJS6_EEE10hipError_tPvRmT3_T4_T5_T6_T7_T9_mT8_P12ihipStream_tbDpT10_ENKUlT_T0_E_clISt17integral_constantIbLb0EES1B_IbLb1EEEEDaS17_S18_EUlS17_E_NS1_11comp_targetILNS1_3genE4ELNS1_11target_archE910ELNS1_3gpuE8ELNS1_3repE0EEENS1_30default_config_static_selectorELNS0_4arch9wavefront6targetE1EEEvT1_
; %bb.0:
	s_load_dwordx2 s[28:29], s[4:5], 0x28
	s_load_dwordx8 s[20:27], s[4:5], 0x40
	s_load_dwordx4 s[16:19], s[4:5], 0x60
	v_cmp_ne_u32_e64 s[2:3], 0, v0
	v_cmp_eq_u32_e64 s[0:1], 0, v0
	s_and_saveexec_b64 s[6:7], s[0:1]
	s_cbranch_execz .LBB1443_4
; %bb.1:
	s_mov_b64 s[10:11], exec
	v_mbcnt_lo_u32_b32 v1, s10, 0
	v_mbcnt_hi_u32_b32 v1, s11, v1
	v_cmp_eq_u32_e32 vcc, 0, v1
                                        ; implicit-def: $vgpr2
	s_and_saveexec_b64 s[8:9], vcc
	s_cbranch_execz .LBB1443_3
; %bb.2:
	s_load_dwordx2 s[12:13], s[4:5], 0x78
	s_bcnt1_i32_b64 s10, s[10:11]
	v_mov_b32_e32 v2, 0
	v_mov_b32_e32 v3, s10
	s_waitcnt lgkmcnt(0)
	global_atomic_add v2, v2, v3, s[12:13] glc
.LBB1443_3:
	s_or_b64 exec, exec, s[8:9]
	s_waitcnt vmcnt(0)
	v_readfirstlane_b32 s8, v2
	v_add_u32_e32 v1, s8, v1
	v_mov_b32_e32 v2, 0
	ds_write_b32 v2, v1
.LBB1443_4:
	s_or_b64 exec, exec, s[6:7]
	v_mov_b32_e32 v3, 0
	s_load_dwordx4 s[8:11], s[4:5], 0x8
	s_load_dword s12, s[4:5], 0x70
	s_waitcnt lgkmcnt(0)
	s_barrier
	ds_read_b32 v1, v3
	s_waitcnt lgkmcnt(0)
	s_barrier
	global_load_dwordx2 v[4:5], v3, s[22:23]
	s_lshl_b64 s[4:5], s[10:11], 3
	s_mul_i32 s14, s12, 0x500
	s_add_u32 s8, s8, s4
	s_addc_u32 s4, s9, s5
	s_add_i32 s5, s14, s10
	s_add_i32 s12, s12, -1
	s_sub_i32 s48, s24, s5
	v_mov_b32_e32 v8, s4
	s_add_u32 s4, s10, s14
	s_addc_u32 s5, s11, 0
	v_readfirstlane_b32 s33, v1
	v_mov_b32_e32 v6, s24
	v_mov_b32_e32 v7, s25
	s_movk_i32 s13, 0x500
	s_cmp_eq_u32 s33, s12
	v_mul_lo_u32 v2, v1, s13
	v_cmp_ge_u64_e32 vcc, s[4:5], v[6:7]
	s_cselect_b64 s[24:25], -1, 0
	v_lshlrev_b64 v[2:3], 3, v[2:3]
	s_and_b64 s[12:13], vcc, s[24:25]
	v_add_co_u32_e64 v18, s[4:5], s8, v2
	s_xor_b64 s[30:31], s[12:13], -1
	s_mov_b64 s[6:7], -1
	v_addc_co_u32_e64 v19, s[4:5], v8, v3, s[4:5]
	s_and_b64 vcc, exec, s[30:31]
	s_waitcnt vmcnt(0)
	v_readfirstlane_b32 s22, v4
	v_readfirstlane_b32 s23, v5
	s_cbranch_vccz .LBB1443_6
; %bb.5:
	v_lshlrev_b32_e32 v1, 3, v0
	v_add_co_u32_e32 v12, vcc, v18, v1
	v_addc_co_u32_e32 v13, vcc, 0, v19, vcc
	v_add_co_u32_e32 v2, vcc, 0x1000, v12
	v_readfirstlane_b32 s4, v18
	v_readfirstlane_b32 s5, v19
	v_addc_co_u32_e32 v3, vcc, 0, v13, vcc
	s_nop 3
	global_load_dwordx2 v[4:5], v1, s[4:5]
	global_load_dwordx2 v[6:7], v1, s[4:5] offset:2048
	global_load_dwordx2 v[8:9], v[2:3], off
	global_load_dwordx2 v[10:11], v[2:3], off offset:2048
	v_add_co_u32_e32 v2, vcc, 0x2000, v12
	v_addc_co_u32_e32 v3, vcc, 0, v13, vcc
	global_load_dwordx2 v[2:3], v[2:3], off
	s_mov_b64 s[6:7], 0
	s_waitcnt vmcnt(3)
	ds_write2st64_b64 v1, v[4:5], v[6:7] offset1:4
	s_waitcnt vmcnt(1)
	ds_write2st64_b64 v1, v[8:9], v[10:11] offset0:8 offset1:12
	s_waitcnt vmcnt(0)
	ds_write_b64 v1, v[2:3] offset:8192
	s_waitcnt lgkmcnt(0)
	s_barrier
.LBB1443_6:
	s_andn2_b64 vcc, exec, s[6:7]
	s_addk_i32 s48, 0x500
	s_cbranch_vccnz .LBB1443_18
; %bb.7:
	v_cmp_gt_u32_e32 vcc, s48, v0
                                        ; implicit-def: $vgpr2_vgpr3_vgpr4_vgpr5_vgpr6_vgpr7_vgpr8_vgpr9_vgpr10_vgpr11_vgpr12_vgpr13_vgpr14_vgpr15_vgpr16_vgpr17
	s_and_saveexec_b64 s[4:5], vcc
	s_cbranch_execz .LBB1443_9
; %bb.8:
	v_lshlrev_b32_e32 v1, 3, v0
	v_readfirstlane_b32 s6, v18
	v_readfirstlane_b32 s7, v19
	s_nop 4
	global_load_dwordx2 v[2:3], v1, s[6:7]
.LBB1443_9:
	s_or_b64 exec, exec, s[4:5]
	v_or_b32_e32 v1, 0x100, v0
	v_cmp_gt_u32_e32 vcc, s48, v1
	s_and_saveexec_b64 s[4:5], vcc
	s_cbranch_execz .LBB1443_11
; %bb.10:
	v_lshlrev_b32_e32 v1, 3, v0
	v_readfirstlane_b32 s6, v18
	v_readfirstlane_b32 s7, v19
	s_nop 4
	global_load_dwordx2 v[4:5], v1, s[6:7] offset:2048
.LBB1443_11:
	s_or_b64 exec, exec, s[4:5]
	v_or_b32_e32 v1, 0x200, v0
	v_cmp_gt_u32_e32 vcc, s48, v1
	s_and_saveexec_b64 s[4:5], vcc
	s_cbranch_execz .LBB1443_13
; %bb.12:
	v_lshlrev_b32_e32 v1, 3, v1
	v_readfirstlane_b32 s6, v18
	v_readfirstlane_b32 s7, v19
	s_nop 4
	global_load_dwordx2 v[6:7], v1, s[6:7]
.LBB1443_13:
	s_or_b64 exec, exec, s[4:5]
	v_or_b32_e32 v1, 0x300, v0
	v_cmp_gt_u32_e32 vcc, s48, v1
	s_and_saveexec_b64 s[4:5], vcc
	s_cbranch_execz .LBB1443_15
; %bb.14:
	v_lshlrev_b32_e32 v1, 3, v1
	v_readfirstlane_b32 s6, v18
	v_readfirstlane_b32 s7, v19
	s_nop 4
	global_load_dwordx2 v[8:9], v1, s[6:7]
.LBB1443_15:
	;; [unrolled: 12-line block ×3, first 2 shown]
	s_or_b64 exec, exec, s[4:5]
	v_lshlrev_b32_e32 v1, 3, v0
	s_waitcnt vmcnt(0)
	ds_write2st64_b64 v1, v[2:3], v[4:5] offset1:4
	ds_write2st64_b64 v1, v[6:7], v[8:9] offset0:8 offset1:12
	ds_write_b64 v1, v[10:11] offset:8192
	s_waitcnt lgkmcnt(0)
	s_barrier
.LBB1443_18:
	v_mul_u32_u24_e32 v1, 5, v0
	v_lshlrev_b32_e32 v26, 3, v1
	ds_read2_b64 v[6:9], v26 offset1:1
	ds_read2_b64 v[2:5], v26 offset0:2 offset1:3
	ds_read_b64 v[10:11], v26 offset:32
	s_cmp_lg_u32 s33, 0
	s_cselect_b64 s[34:35], -1, 0
	s_cmp_lg_u64 s[10:11], 0
	s_cselect_b64 s[4:5], -1, 0
	s_or_b64 s[4:5], s[4:5], s[34:35]
	v_mad_u32_u24 v24, v0, 5, 1
	v_mad_u32_u24 v22, v0, 5, 2
	;; [unrolled: 1-line block ×4, first 2 shown]
	s_mov_b64 s[14:15], 0
	s_and_b64 vcc, exec, s[4:5]
	v_cmp_gt_i64_e64 s[4:5], s[26:27], 0
	s_waitcnt lgkmcnt(0)
	s_barrier
	s_cbranch_vccz .LBB1443_27
; %bb.19:
	global_load_dwordx2 v[14:15], v[18:19], off offset:-8
	v_cndmask_b32_e64 v12, 0, 1, s[4:5]
	v_lshlrev_b32_e32 v27, 3, v0
	s_mov_b64 s[10:11], 0
	s_and_b64 vcc, exec, s[30:31]
	v_cmp_ne_u32_e64 s[4:5], 1, v12
	ds_write_b64 v27, v[10:11]
	s_cbranch_vccz .LBB1443_28
; %bb.20:
	v_mul_lo_u32 v16, v5, s26
	v_mul_lo_u32 v17, v4, s27
	v_mad_u64_u32 v[12:13], s[6:7], v4, s26, 0
	v_add3_u32 v13, v13, v17, v16
	s_and_b64 vcc, exec, s[4:5]
	v_lshlrev_b64 v[12:13], 1, v[12:13]
	s_cbranch_vccnz .LBB1443_31
; %bb.21:
	v_mul_lo_u32 v18, v11, s26
	v_mul_lo_u32 v19, v10, s27
	v_mad_u64_u32 v[16:17], s[6:7], v10, s26, 0
	v_add3_u32 v17, v17, v19, v18
	v_mov_b32_e32 v19, s17
	v_add_co_u32_e32 v18, vcc, s16, v12
	v_addc_co_u32_e64 v19, s[6:7], v19, v13, vcc
	v_lshlrev_b64 v[16:17], 1, v[16:17]
	v_mov_b32_e32 v21, s17
	v_add_co_u32_e64 v20, s[6:7], s16, v16
	v_addc_co_u32_e64 v21, s[8:9], v21, v17, s[6:7]
	global_load_ushort v16, v[18:19], off
	global_load_ushort v28, v[20:21], off
	s_mov_b64 s[10:11], -1
	s_waitcnt vmcnt(0)
	v_cmp_eq_u16_e64 s[8:9], v16, v28
	s_and_saveexec_b64 s[14:15], s[8:9]
	s_cbranch_execz .LBB1443_30
; %bb.22:
	v_mov_b32_e32 v16, s17
	v_addc_co_u32_e64 v17, s[6:7], v17, v16, s[6:7]
	v_add_co_u32_e64 v16, s[6:7], 2, v20
	v_mov_b32_e32 v19, s17
	v_addc_co_u32_e64 v17, s[6:7], 0, v17, s[6:7]
	v_addc_co_u32_e32 v19, vcc, v13, v19, vcc
	v_add_co_u32_e32 v18, vcc, 2, v18
	s_add_u32 s6, s26, -1
	v_addc_co_u32_e32 v19, vcc, 0, v19, vcc
	s_addc_u32 s7, s27, -1
	s_mov_b64 s[8:9], 0
	s_mov_b64 s[36:37], 0
                                        ; implicit-def: $sgpr10_sgpr11
	s_branch .LBB1443_25
.LBB1443_23:                            ;   in Loop: Header=BB1443_25 Depth=1
	global_load_ushort v20, v[18:19], off
	global_load_ushort v21, v[16:17], off
	v_add_co_u32_e32 v16, vcc, 2, v16
	v_addc_co_u32_e32 v17, vcc, 0, v17, vcc
	v_add_co_u32_e32 v18, vcc, 2, v18
	v_addc_co_u32_e32 v19, vcc, 0, v19, vcc
	s_add_u32 s36, s36, 1
	s_addc_u32 s37, s37, 0
	s_andn2_b64 s[10:11], s[10:11], exec
	s_waitcnt vmcnt(0)
	v_cmp_ne_u16_e32 vcc, v20, v21
	s_and_b64 s[38:39], vcc, exec
	s_or_b64 s[10:11], s[10:11], s[38:39]
.LBB1443_24:                            ;   in Loop: Header=BB1443_25 Depth=1
	s_and_b64 s[38:39], exec, s[10:11]
	s_or_b64 s[8:9], s[38:39], s[8:9]
	v_pk_mov_b32 v[20:21], s[36:37], s[36:37] op_sel:[0,1]
	s_andn2_b64 exec, exec, s[8:9]
	s_cbranch_execz .LBB1443_29
.LBB1443_25:                            ; =>This Inner Loop Header: Depth=1
	s_or_b64 s[10:11], s[10:11], exec
	s_cmp_eq_u64 s[6:7], s[36:37]
	s_cbranch_scc0 .LBB1443_23
; %bb.26:                               ;   in Loop: Header=BB1443_25 Depth=1
                                        ; implicit-def: $vgpr16_vgpr17
                                        ; implicit-def: $vgpr18_vgpr19
	s_mov_b64 s[36:37], s[26:27]
	s_branch .LBB1443_24
.LBB1443_27:
                                        ; implicit-def: $sgpr36_sgpr37
                                        ; implicit-def: $vgpr13
                                        ; implicit-def: $vgpr16
	s_branch .LBB1443_129
.LBB1443_28:
                                        ; implicit-def: $sgpr36_sgpr37
                                        ; implicit-def: $vgpr13
                                        ; implicit-def: $vgpr16
	s_cbranch_execnz .LBB1443_70
	s_branch .LBB1443_128
.LBB1443_29:
	s_or_b64 exec, exec, s[8:9]
	v_cmp_gt_i64_e32 vcc, s[26:27], v[20:21]
	s_orn2_b64 s[10:11], vcc, exec
.LBB1443_30:
	s_or_b64 exec, exec, s[14:15]
.LBB1443_31:
	v_mul_lo_u32 v18, v3, s26
	v_mul_lo_u32 v19, v2, s27
	v_mad_u64_u32 v[16:17], s[6:7], v2, s26, 0
	v_add3_u32 v17, v17, v19, v18
	s_mov_b64 s[14:15], 0
	s_and_b64 vcc, exec, s[4:5]
	v_lshlrev_b64 v[18:19], 1, v[16:17]
	s_mov_b64 s[36:37], 0
	s_cbranch_vccnz .LBB1443_40
; %bb.32:
	v_mov_b32_e32 v17, s17
	v_add_co_u32_e32 v16, vcc, s16, v18
	v_addc_co_u32_e64 v17, s[6:7], v17, v19, vcc
	v_mov_b32_e32 v21, s17
	v_add_co_u32_e64 v20, s[6:7], s16, v12
	v_addc_co_u32_e64 v21, s[8:9], v21, v13, s[6:7]
	global_load_ushort v12, v[16:17], off
	global_load_ushort v28, v[20:21], off
	s_mov_b64 s[36:37], -1
	s_waitcnt vmcnt(0)
	v_cmp_eq_u16_e64 s[8:9], v12, v28
	s_and_saveexec_b64 s[38:39], s[8:9]
	s_cbranch_execz .LBB1443_39
; %bb.33:
	v_mov_b32_e32 v12, s17
	v_addc_co_u32_e64 v13, s[6:7], v13, v12, s[6:7]
	v_add_co_u32_e64 v12, s[6:7], 2, v20
	v_mov_b32_e32 v17, s17
	v_addc_co_u32_e64 v13, s[6:7], 0, v13, s[6:7]
	v_addc_co_u32_e32 v17, vcc, v19, v17, vcc
	v_add_co_u32_e32 v16, vcc, 2, v16
	s_add_u32 s6, s26, -1
	v_addc_co_u32_e32 v17, vcc, 0, v17, vcc
	s_addc_u32 s7, s27, -1
	s_mov_b64 s[8:9], 0
	s_mov_b64 s[40:41], 0
                                        ; implicit-def: $sgpr36_sgpr37
	s_branch .LBB1443_36
.LBB1443_34:                            ;   in Loop: Header=BB1443_36 Depth=1
	global_load_ushort v20, v[16:17], off
	global_load_ushort v21, v[12:13], off
	v_add_co_u32_e32 v12, vcc, 2, v12
	v_addc_co_u32_e32 v13, vcc, 0, v13, vcc
	v_add_co_u32_e32 v16, vcc, 2, v16
	v_addc_co_u32_e32 v17, vcc, 0, v17, vcc
	s_add_u32 s40, s40, 1
	s_addc_u32 s41, s41, 0
	s_andn2_b64 s[36:37], s[36:37], exec
	s_waitcnt vmcnt(0)
	v_cmp_ne_u16_e32 vcc, v20, v21
	s_and_b64 s[42:43], vcc, exec
	s_or_b64 s[36:37], s[36:37], s[42:43]
.LBB1443_35:                            ;   in Loop: Header=BB1443_36 Depth=1
	s_and_b64 s[42:43], exec, s[36:37]
	s_or_b64 s[8:9], s[42:43], s[8:9]
	v_pk_mov_b32 v[20:21], s[40:41], s[40:41] op_sel:[0,1]
	s_andn2_b64 exec, exec, s[8:9]
	s_cbranch_execz .LBB1443_38
.LBB1443_36:                            ; =>This Inner Loop Header: Depth=1
	s_or_b64 s[36:37], s[36:37], exec
	s_cmp_eq_u64 s[6:7], s[40:41]
	s_cbranch_scc0 .LBB1443_34
; %bb.37:                               ;   in Loop: Header=BB1443_36 Depth=1
                                        ; implicit-def: $vgpr12_vgpr13
                                        ; implicit-def: $vgpr16_vgpr17
	s_mov_b64 s[40:41], s[26:27]
	s_branch .LBB1443_35
.LBB1443_38:
	s_or_b64 exec, exec, s[8:9]
	v_cmp_gt_i64_e32 vcc, s[26:27], v[20:21]
	s_orn2_b64 s[36:37], vcc, exec
.LBB1443_39:
	s_or_b64 exec, exec, s[38:39]
.LBB1443_40:
	v_mul_lo_u32 v16, v9, s26
	v_mul_lo_u32 v17, v8, s27
	v_mad_u64_u32 v[12:13], s[6:7], v8, s26, 0
	v_add3_u32 v13, v13, v17, v16
	s_and_b64 vcc, exec, s[4:5]
	v_lshlrev_b64 v[16:17], 1, v[12:13]
	s_cbranch_vccnz .LBB1443_49
; %bb.41:
	v_mov_b32_e32 v12, s17
	v_add_co_u32_e32 v20, vcc, s16, v16
	v_addc_co_u32_e64 v21, s[6:7], v12, v17, vcc
	v_mov_b32_e32 v13, s17
	v_add_co_u32_e64 v12, s[6:7], s16, v18
	v_addc_co_u32_e64 v13, s[8:9], v13, v19, s[6:7]
	global_load_ushort v18, v[20:21], off
	global_load_ushort v28, v[12:13], off
	s_mov_b64 s[14:15], -1
	s_waitcnt vmcnt(0)
	v_cmp_eq_u16_e64 s[8:9], v18, v28
	s_and_saveexec_b64 s[38:39], s[8:9]
	s_cbranch_execz .LBB1443_48
; %bb.42:
	v_mov_b32_e32 v13, s17
	v_addc_co_u32_e64 v13, s[6:7], v19, v13, s[6:7]
	v_add_co_u32_e64 v12, s[6:7], 2, v12
	v_mov_b32_e32 v18, s17
	v_addc_co_u32_e64 v13, s[6:7], 0, v13, s[6:7]
	v_addc_co_u32_e32 v19, vcc, v17, v18, vcc
	v_add_co_u32_e32 v18, vcc, 2, v20
	s_add_u32 s6, s26, -1
	v_addc_co_u32_e32 v19, vcc, 0, v19, vcc
	s_addc_u32 s7, s27, -1
	s_mov_b64 s[8:9], 0
	s_mov_b64 s[40:41], 0
                                        ; implicit-def: $sgpr14_sgpr15
	s_branch .LBB1443_45
.LBB1443_43:                            ;   in Loop: Header=BB1443_45 Depth=1
	global_load_ushort v20, v[18:19], off
	global_load_ushort v21, v[12:13], off
	v_add_co_u32_e32 v12, vcc, 2, v12
	v_addc_co_u32_e32 v13, vcc, 0, v13, vcc
	v_add_co_u32_e32 v18, vcc, 2, v18
	v_addc_co_u32_e32 v19, vcc, 0, v19, vcc
	s_add_u32 s40, s40, 1
	s_addc_u32 s41, s41, 0
	s_andn2_b64 s[14:15], s[14:15], exec
	s_waitcnt vmcnt(0)
	v_cmp_ne_u16_e32 vcc, v20, v21
	s_and_b64 s[42:43], vcc, exec
	s_or_b64 s[14:15], s[14:15], s[42:43]
.LBB1443_44:                            ;   in Loop: Header=BB1443_45 Depth=1
	s_and_b64 s[42:43], exec, s[14:15]
	s_or_b64 s[8:9], s[42:43], s[8:9]
	v_pk_mov_b32 v[20:21], s[40:41], s[40:41] op_sel:[0,1]
	s_andn2_b64 exec, exec, s[8:9]
	s_cbranch_execz .LBB1443_47
.LBB1443_45:                            ; =>This Inner Loop Header: Depth=1
	s_or_b64 s[14:15], s[14:15], exec
	s_cmp_eq_u64 s[6:7], s[40:41]
	s_cbranch_scc0 .LBB1443_43
; %bb.46:                               ;   in Loop: Header=BB1443_45 Depth=1
                                        ; implicit-def: $vgpr12_vgpr13
                                        ; implicit-def: $vgpr18_vgpr19
	s_mov_b64 s[40:41], s[26:27]
	s_branch .LBB1443_44
.LBB1443_47:
	s_or_b64 exec, exec, s[8:9]
	v_cmp_gt_i64_e32 vcc, s[26:27], v[20:21]
	s_orn2_b64 s[14:15], vcc, exec
.LBB1443_48:
	s_or_b64 exec, exec, s[38:39]
.LBB1443_49:
	v_mul_lo_u32 v18, v7, s26
	v_mul_lo_u32 v19, v6, s27
	v_mad_u64_u32 v[12:13], s[6:7], v6, s26, 0
	v_add3_u32 v13, v13, v19, v18
	s_mov_b64 s[40:41], 0
	s_and_b64 vcc, exec, s[4:5]
	v_lshlrev_b64 v[12:13], 1, v[12:13]
	s_cbranch_vccnz .LBB1443_58
; %bb.50:
	v_mov_b32_e32 v19, s17
	v_add_co_u32_e32 v18, vcc, s16, v12
	v_addc_co_u32_e64 v19, s[6:7], v19, v13, vcc
	v_mov_b32_e32 v21, s17
	v_add_co_u32_e64 v20, s[6:7], s16, v16
	v_addc_co_u32_e64 v21, s[8:9], v21, v17, s[6:7]
	global_load_ushort v16, v[18:19], off
	global_load_ushort v28, v[20:21], off
	s_mov_b64 s[40:41], -1
	s_waitcnt vmcnt(0)
	v_cmp_eq_u16_e64 s[8:9], v16, v28
	s_and_saveexec_b64 s[38:39], s[8:9]
	s_cbranch_execz .LBB1443_57
; %bb.51:
	v_mov_b32_e32 v16, s17
	v_addc_co_u32_e64 v17, s[6:7], v17, v16, s[6:7]
	v_add_co_u32_e64 v16, s[6:7], 2, v20
	v_mov_b32_e32 v19, s17
	v_addc_co_u32_e64 v17, s[6:7], 0, v17, s[6:7]
	v_addc_co_u32_e32 v19, vcc, v13, v19, vcc
	v_add_co_u32_e32 v18, vcc, 2, v18
	s_add_u32 s6, s26, -1
	v_addc_co_u32_e32 v19, vcc, 0, v19, vcc
	s_addc_u32 s7, s27, -1
	s_mov_b64 s[8:9], 0
	s_mov_b64 s[42:43], 0
                                        ; implicit-def: $sgpr40_sgpr41
	s_branch .LBB1443_54
.LBB1443_52:                            ;   in Loop: Header=BB1443_54 Depth=1
	global_load_ushort v20, v[18:19], off
	global_load_ushort v21, v[16:17], off
	v_add_co_u32_e32 v16, vcc, 2, v16
	v_addc_co_u32_e32 v17, vcc, 0, v17, vcc
	v_add_co_u32_e32 v18, vcc, 2, v18
	v_addc_co_u32_e32 v19, vcc, 0, v19, vcc
	s_add_u32 s42, s42, 1
	s_addc_u32 s43, s43, 0
	s_andn2_b64 s[40:41], s[40:41], exec
	s_waitcnt vmcnt(0)
	v_cmp_ne_u16_e32 vcc, v20, v21
	s_and_b64 s[44:45], vcc, exec
	s_or_b64 s[40:41], s[40:41], s[44:45]
.LBB1443_53:                            ;   in Loop: Header=BB1443_54 Depth=1
	s_and_b64 s[44:45], exec, s[40:41]
	s_or_b64 s[8:9], s[44:45], s[8:9]
	v_pk_mov_b32 v[20:21], s[42:43], s[42:43] op_sel:[0,1]
	s_andn2_b64 exec, exec, s[8:9]
	s_cbranch_execz .LBB1443_56
.LBB1443_54:                            ; =>This Inner Loop Header: Depth=1
	s_or_b64 s[40:41], s[40:41], exec
	s_cmp_eq_u64 s[6:7], s[42:43]
	s_cbranch_scc0 .LBB1443_52
; %bb.55:                               ;   in Loop: Header=BB1443_54 Depth=1
                                        ; implicit-def: $vgpr16_vgpr17
                                        ; implicit-def: $vgpr18_vgpr19
	s_mov_b64 s[42:43], s[26:27]
	s_branch .LBB1443_53
.LBB1443_56:
	s_or_b64 exec, exec, s[8:9]
	v_cmp_gt_i64_e32 vcc, s[26:27], v[20:21]
	s_orn2_b64 s[40:41], vcc, exec
.LBB1443_57:
	s_or_b64 exec, exec, s[38:39]
.LBB1443_58:
	s_waitcnt vmcnt(0)
	v_pk_mov_b32 v[16:17], v[14:15], v[14:15] op_sel:[0,1]
	s_waitcnt lgkmcnt(0)
	s_barrier
	s_and_saveexec_b64 s[6:7], s[2:3]
	s_cbranch_execz .LBB1443_60
; %bb.59:
	v_add_u32_e32 v16, -8, v27
	ds_read_b64 v[16:17], v16
.LBB1443_60:
	s_or_b64 exec, exec, s[6:7]
	v_cndmask_b32_e64 v19, 0, 1, s[36:37]
	v_cndmask_b32_e64 v18, 0, 1, s[14:15]
	;; [unrolled: 1-line block ×3, first 2 shown]
	v_lshlrev_b16_e32 v19, 8, v19
	v_lshlrev_b16_e32 v28, 8, v20
	v_or_b32_sdwa v29, v18, v19 dst_sel:WORD_1 dst_unused:UNUSED_PAD src0_sel:DWORD src1_sel:DWORD
	s_mov_b64 s[14:15], 0
	s_and_b64 vcc, exec, s[4:5]
	s_mov_b64 s[36:37], 0
	s_cbranch_vccnz .LBB1443_69
; %bb.61:
	s_waitcnt lgkmcnt(0)
	v_mul_lo_u32 v18, v17, s26
	v_mul_lo_u32 v19, v16, s27
	v_mad_u64_u32 v[16:17], s[6:7], v16, s26, 0
	v_add3_u32 v17, v17, v19, v18
	v_lshlrev_b64 v[16:17], 1, v[16:17]
	v_mov_b32_e32 v19, s17
	v_add_co_u32_e32 v18, vcc, s16, v16
	v_addc_co_u32_e64 v19, s[6:7], v19, v17, vcc
	v_mov_b32_e32 v16, s17
	v_add_co_u32_e64 v20, s[6:7], s16, v12
	v_addc_co_u32_e64 v21, s[8:9], v16, v13, s[6:7]
	global_load_ushort v12, v[18:19], off
	global_load_ushort v16, v[20:21], off
	s_mov_b64 s[36:37], -1
	s_waitcnt vmcnt(0)
	v_cmp_eq_u16_e64 s[8:9], v12, v16
	s_and_saveexec_b64 s[38:39], s[8:9]
	s_cbranch_execz .LBB1443_68
; %bb.62:
	v_mov_b32_e32 v12, s17
	v_addc_co_u32_e64 v13, s[6:7], v13, v12, s[6:7]
	v_add_co_u32_e64 v12, s[6:7], 2, v20
	v_mov_b32_e32 v16, s17
	v_addc_co_u32_e64 v13, s[6:7], 0, v13, s[6:7]
	v_addc_co_u32_e32 v17, vcc, v17, v16, vcc
	v_add_co_u32_e32 v16, vcc, 2, v18
	s_add_u32 s6, s26, -1
	v_addc_co_u32_e32 v17, vcc, 0, v17, vcc
	s_addc_u32 s7, s27, -1
	s_mov_b64 s[8:9], 0
	s_mov_b64 s[40:41], 0
                                        ; implicit-def: $sgpr36_sgpr37
	s_branch .LBB1443_65
.LBB1443_63:                            ;   in Loop: Header=BB1443_65 Depth=1
	global_load_ushort v18, v[16:17], off
	global_load_ushort v19, v[12:13], off
	v_add_co_u32_e32 v12, vcc, 2, v12
	v_addc_co_u32_e32 v13, vcc, 0, v13, vcc
	v_add_co_u32_e32 v16, vcc, 2, v16
	v_addc_co_u32_e32 v17, vcc, 0, v17, vcc
	s_add_u32 s40, s40, 1
	s_addc_u32 s41, s41, 0
	s_andn2_b64 s[36:37], s[36:37], exec
	s_waitcnt vmcnt(0)
	v_cmp_ne_u16_e32 vcc, v18, v19
	s_and_b64 s[42:43], vcc, exec
	s_or_b64 s[36:37], s[36:37], s[42:43]
.LBB1443_64:                            ;   in Loop: Header=BB1443_65 Depth=1
	s_and_b64 s[42:43], exec, s[36:37]
	s_or_b64 s[8:9], s[42:43], s[8:9]
	v_pk_mov_b32 v[18:19], s[40:41], s[40:41] op_sel:[0,1]
	s_andn2_b64 exec, exec, s[8:9]
	s_cbranch_execz .LBB1443_67
.LBB1443_65:                            ; =>This Inner Loop Header: Depth=1
	s_or_b64 s[36:37], s[36:37], exec
	s_cmp_eq_u64 s[6:7], s[40:41]
	s_cbranch_scc0 .LBB1443_63
; %bb.66:                               ;   in Loop: Header=BB1443_65 Depth=1
                                        ; implicit-def: $vgpr12_vgpr13
                                        ; implicit-def: $vgpr16_vgpr17
	s_mov_b64 s[40:41], s[26:27]
	s_branch .LBB1443_64
.LBB1443_67:
	s_or_b64 exec, exec, s[8:9]
	v_cmp_gt_i64_e32 vcc, s[26:27], v[18:19]
	s_orn2_b64 s[36:37], vcc, exec
.LBB1443_68:
	s_or_b64 exec, exec, s[38:39]
.LBB1443_69:
	v_cndmask_b32_e64 v13, 0, 1, s[10:11]
	s_waitcnt lgkmcnt(0)
	v_or_b32_e32 v16, v28, v29
	s_and_b64 vcc, exec, s[14:15]
	s_cbranch_vccz .LBB1443_128
.LBB1443_70:
	v_cmp_gt_u32_e32 vcc, s48, v23
	s_mov_b64 s[14:15], 0
	s_mov_b64 s[10:11], 0
	s_and_saveexec_b64 s[36:37], vcc
	s_cbranch_execz .LBB1443_81
; %bb.71:
	s_and_b64 vcc, exec, s[4:5]
	s_mov_b64 s[38:39], 0
	s_cbranch_vccnz .LBB1443_80
; %bb.72:
	v_mul_lo_u32 v16, v5, s26
	v_mul_lo_u32 v17, v4, s27
	v_mad_u64_u32 v[12:13], s[6:7], v4, s26, 0
	v_add3_u32 v13, v13, v17, v16
	v_mul_lo_u32 v16, v11, s26
	v_mul_lo_u32 v17, v10, s27
	v_mad_u64_u32 v[20:21], s[6:7], v10, s26, 0
	v_add3_u32 v21, v21, v17, v16
	v_lshlrev_b64 v[16:17], 1, v[12:13]
	v_mov_b32_e32 v12, s17
	v_add_co_u32_e32 v18, vcc, s16, v16
	v_addc_co_u32_e64 v19, s[6:7], v12, v17, vcc
	v_lshlrev_b64 v[12:13], 1, v[20:21]
	v_mov_b32_e32 v16, s17
	v_add_co_u32_e64 v20, s[6:7], s16, v12
	v_addc_co_u32_e64 v21, s[8:9], v16, v13, s[6:7]
	global_load_ushort v12, v[18:19], off
	global_load_ushort v16, v[20:21], off
	s_mov_b64 s[38:39], -1
	s_waitcnt vmcnt(0)
	v_cmp_eq_u16_e64 s[8:9], v12, v16
	s_and_saveexec_b64 s[10:11], s[8:9]
	s_cbranch_execz .LBB1443_79
; %bb.73:
	v_mov_b32_e32 v12, s17
	v_addc_co_u32_e64 v13, s[6:7], v13, v12, s[6:7]
	v_add_co_u32_e64 v12, s[6:7], 2, v20
	v_mov_b32_e32 v16, s17
	v_addc_co_u32_e64 v13, s[6:7], 0, v13, s[6:7]
	v_addc_co_u32_e32 v17, vcc, v17, v16, vcc
	v_add_co_u32_e32 v16, vcc, 2, v18
	s_add_u32 s6, s26, -1
	v_addc_co_u32_e32 v17, vcc, 0, v17, vcc
	s_addc_u32 s7, s27, -1
	s_mov_b64 s[8:9], 0
	s_mov_b64 s[40:41], 0
                                        ; implicit-def: $sgpr38_sgpr39
	s_branch .LBB1443_76
.LBB1443_74:                            ;   in Loop: Header=BB1443_76 Depth=1
	global_load_ushort v18, v[16:17], off
	global_load_ushort v19, v[12:13], off
	v_add_co_u32_e32 v12, vcc, 2, v12
	v_addc_co_u32_e32 v13, vcc, 0, v13, vcc
	v_add_co_u32_e32 v16, vcc, 2, v16
	v_addc_co_u32_e32 v17, vcc, 0, v17, vcc
	s_add_u32 s40, s40, 1
	s_addc_u32 s41, s41, 0
	s_andn2_b64 s[38:39], s[38:39], exec
	s_waitcnt vmcnt(0)
	v_cmp_ne_u16_e32 vcc, v18, v19
	s_and_b64 s[42:43], vcc, exec
	s_or_b64 s[38:39], s[38:39], s[42:43]
.LBB1443_75:                            ;   in Loop: Header=BB1443_76 Depth=1
	s_and_b64 s[42:43], exec, s[38:39]
	s_or_b64 s[8:9], s[42:43], s[8:9]
	v_pk_mov_b32 v[18:19], s[40:41], s[40:41] op_sel:[0,1]
	s_andn2_b64 exec, exec, s[8:9]
	s_cbranch_execz .LBB1443_78
.LBB1443_76:                            ; =>This Inner Loop Header: Depth=1
	s_or_b64 s[38:39], s[38:39], exec
	s_cmp_eq_u64 s[6:7], s[40:41]
	s_cbranch_scc0 .LBB1443_74
; %bb.77:                               ;   in Loop: Header=BB1443_76 Depth=1
                                        ; implicit-def: $vgpr12_vgpr13
                                        ; implicit-def: $vgpr16_vgpr17
	s_mov_b64 s[40:41], s[26:27]
	s_branch .LBB1443_75
.LBB1443_78:
	s_or_b64 exec, exec, s[8:9]
	v_cmp_gt_i64_e32 vcc, s[26:27], v[18:19]
	s_orn2_b64 s[38:39], vcc, exec
.LBB1443_79:
	s_or_b64 exec, exec, s[10:11]
.LBB1443_80:
	s_and_b64 s[10:11], s[38:39], exec
.LBB1443_81:
	s_or_b64 exec, exec, s[36:37]
	v_cmp_gt_u32_e32 vcc, s48, v25
	s_and_saveexec_b64 s[36:37], vcc
	s_cbranch_execz .LBB1443_92
; %bb.82:
	s_and_b64 vcc, exec, s[4:5]
	s_mov_b64 s[38:39], 0
	s_cbranch_vccnz .LBB1443_91
; %bb.83:
	v_mul_lo_u32 v16, v3, s26
	v_mul_lo_u32 v17, v2, s27
	v_mad_u64_u32 v[12:13], s[6:7], v2, s26, 0
	v_add3_u32 v13, v13, v17, v16
	v_mul_lo_u32 v16, v5, s26
	v_mul_lo_u32 v17, v4, s27
	v_mad_u64_u32 v[20:21], s[6:7], v4, s26, 0
	v_add3_u32 v21, v21, v17, v16
	v_lshlrev_b64 v[16:17], 1, v[12:13]
	v_mov_b32_e32 v12, s17
	v_add_co_u32_e32 v18, vcc, s16, v16
	v_addc_co_u32_e64 v19, s[6:7], v12, v17, vcc
	v_lshlrev_b64 v[12:13], 1, v[20:21]
	v_mov_b32_e32 v16, s17
	v_add_co_u32_e64 v20, s[6:7], s16, v12
	v_addc_co_u32_e64 v21, s[8:9], v16, v13, s[6:7]
	global_load_ushort v12, v[18:19], off
	global_load_ushort v16, v[20:21], off
	s_mov_b64 s[38:39], -1
	s_waitcnt vmcnt(0)
	v_cmp_eq_u16_e64 s[8:9], v12, v16
	s_and_saveexec_b64 s[14:15], s[8:9]
	s_cbranch_execz .LBB1443_90
; %bb.84:
	v_mov_b32_e32 v12, s17
	v_addc_co_u32_e64 v13, s[6:7], v13, v12, s[6:7]
	v_add_co_u32_e64 v12, s[6:7], 2, v20
	v_mov_b32_e32 v16, s17
	v_addc_co_u32_e64 v13, s[6:7], 0, v13, s[6:7]
	v_addc_co_u32_e32 v17, vcc, v17, v16, vcc
	v_add_co_u32_e32 v16, vcc, 2, v18
	s_add_u32 s6, s26, -1
	v_addc_co_u32_e32 v17, vcc, 0, v17, vcc
	s_addc_u32 s7, s27, -1
	s_mov_b64 s[8:9], 0
	s_mov_b64 s[40:41], 0
                                        ; implicit-def: $sgpr38_sgpr39
	s_branch .LBB1443_87
.LBB1443_85:                            ;   in Loop: Header=BB1443_87 Depth=1
	global_load_ushort v18, v[16:17], off
	global_load_ushort v19, v[12:13], off
	v_add_co_u32_e32 v12, vcc, 2, v12
	v_addc_co_u32_e32 v13, vcc, 0, v13, vcc
	v_add_co_u32_e32 v16, vcc, 2, v16
	v_addc_co_u32_e32 v17, vcc, 0, v17, vcc
	s_add_u32 s40, s40, 1
	s_addc_u32 s41, s41, 0
	s_andn2_b64 s[38:39], s[38:39], exec
	s_waitcnt vmcnt(0)
	v_cmp_ne_u16_e32 vcc, v18, v19
	s_and_b64 s[42:43], vcc, exec
	s_or_b64 s[38:39], s[38:39], s[42:43]
.LBB1443_86:                            ;   in Loop: Header=BB1443_87 Depth=1
	s_and_b64 s[42:43], exec, s[38:39]
	s_or_b64 s[8:9], s[42:43], s[8:9]
	v_pk_mov_b32 v[18:19], s[40:41], s[40:41] op_sel:[0,1]
	s_andn2_b64 exec, exec, s[8:9]
	s_cbranch_execz .LBB1443_89
.LBB1443_87:                            ; =>This Inner Loop Header: Depth=1
	s_or_b64 s[38:39], s[38:39], exec
	s_cmp_eq_u64 s[6:7], s[40:41]
	s_cbranch_scc0 .LBB1443_85
; %bb.88:                               ;   in Loop: Header=BB1443_87 Depth=1
                                        ; implicit-def: $vgpr12_vgpr13
                                        ; implicit-def: $vgpr16_vgpr17
	s_mov_b64 s[40:41], s[26:27]
	s_branch .LBB1443_86
.LBB1443_89:
	s_or_b64 exec, exec, s[8:9]
	v_cmp_gt_i64_e32 vcc, s[26:27], v[18:19]
	s_orn2_b64 s[38:39], vcc, exec
.LBB1443_90:
	s_or_b64 exec, exec, s[14:15]
.LBB1443_91:
	s_and_b64 s[14:15], s[38:39], exec
.LBB1443_92:
	s_or_b64 exec, exec, s[36:37]
	v_cmp_gt_u32_e32 vcc, s48, v22
	s_mov_b64 s[36:37], 0
	s_mov_b64 s[38:39], 0
	s_and_saveexec_b64 s[40:41], vcc
	s_cbranch_execz .LBB1443_103
; %bb.93:
	s_and_b64 vcc, exec, s[4:5]
	s_mov_b64 s[42:43], 0
	s_cbranch_vccnz .LBB1443_102
; %bb.94:
	v_mul_lo_u32 v16, v9, s26
	v_mul_lo_u32 v17, v8, s27
	v_mad_u64_u32 v[12:13], s[6:7], v8, s26, 0
	v_add3_u32 v13, v13, v17, v16
	v_mul_lo_u32 v16, v3, s26
	v_mul_lo_u32 v17, v2, s27
	v_mad_u64_u32 v[20:21], s[6:7], v2, s26, 0
	v_add3_u32 v21, v21, v17, v16
	v_lshlrev_b64 v[16:17], 1, v[12:13]
	v_mov_b32_e32 v12, s17
	v_add_co_u32_e32 v18, vcc, s16, v16
	v_addc_co_u32_e64 v19, s[6:7], v12, v17, vcc
	v_lshlrev_b64 v[12:13], 1, v[20:21]
	v_mov_b32_e32 v16, s17
	v_add_co_u32_e64 v20, s[6:7], s16, v12
	v_addc_co_u32_e64 v21, s[8:9], v16, v13, s[6:7]
	global_load_ushort v12, v[18:19], off
	global_load_ushort v16, v[20:21], off
	s_mov_b64 s[42:43], -1
	s_waitcnt vmcnt(0)
	v_cmp_eq_u16_e64 s[8:9], v12, v16
	s_and_saveexec_b64 s[38:39], s[8:9]
	s_cbranch_execz .LBB1443_101
; %bb.95:
	v_mov_b32_e32 v12, s17
	v_addc_co_u32_e64 v13, s[6:7], v13, v12, s[6:7]
	v_add_co_u32_e64 v12, s[6:7], 2, v20
	v_mov_b32_e32 v16, s17
	v_addc_co_u32_e64 v13, s[6:7], 0, v13, s[6:7]
	v_addc_co_u32_e32 v17, vcc, v17, v16, vcc
	v_add_co_u32_e32 v16, vcc, 2, v18
	s_add_u32 s6, s26, -1
	v_addc_co_u32_e32 v17, vcc, 0, v17, vcc
	s_addc_u32 s7, s27, -1
	s_mov_b64 s[8:9], 0
	s_mov_b64 s[44:45], 0
                                        ; implicit-def: $sgpr42_sgpr43
	s_branch .LBB1443_98
.LBB1443_96:                            ;   in Loop: Header=BB1443_98 Depth=1
	global_load_ushort v18, v[16:17], off
	global_load_ushort v19, v[12:13], off
	v_add_co_u32_e32 v12, vcc, 2, v12
	v_addc_co_u32_e32 v13, vcc, 0, v13, vcc
	v_add_co_u32_e32 v16, vcc, 2, v16
	v_addc_co_u32_e32 v17, vcc, 0, v17, vcc
	s_add_u32 s44, s44, 1
	s_addc_u32 s45, s45, 0
	s_andn2_b64 s[42:43], s[42:43], exec
	s_waitcnt vmcnt(0)
	v_cmp_ne_u16_e32 vcc, v18, v19
	s_and_b64 s[46:47], vcc, exec
	s_or_b64 s[42:43], s[42:43], s[46:47]
.LBB1443_97:                            ;   in Loop: Header=BB1443_98 Depth=1
	s_and_b64 s[46:47], exec, s[42:43]
	s_or_b64 s[8:9], s[46:47], s[8:9]
	v_pk_mov_b32 v[18:19], s[44:45], s[44:45] op_sel:[0,1]
	s_andn2_b64 exec, exec, s[8:9]
	s_cbranch_execz .LBB1443_100
.LBB1443_98:                            ; =>This Inner Loop Header: Depth=1
	s_or_b64 s[42:43], s[42:43], exec
	s_cmp_eq_u64 s[6:7], s[44:45]
	s_cbranch_scc0 .LBB1443_96
; %bb.99:                               ;   in Loop: Header=BB1443_98 Depth=1
                                        ; implicit-def: $vgpr12_vgpr13
                                        ; implicit-def: $vgpr16_vgpr17
	s_mov_b64 s[44:45], s[26:27]
	s_branch .LBB1443_97
.LBB1443_100:
	s_or_b64 exec, exec, s[8:9]
	v_cmp_gt_i64_e32 vcc, s[26:27], v[18:19]
	s_orn2_b64 s[42:43], vcc, exec
.LBB1443_101:
	s_or_b64 exec, exec, s[38:39]
.LBB1443_102:
	s_and_b64 s[38:39], s[42:43], exec
.LBB1443_103:
	s_or_b64 exec, exec, s[40:41]
	v_cmp_gt_u32_e32 vcc, s48, v24
	s_and_saveexec_b64 s[40:41], vcc
	s_cbranch_execz .LBB1443_114
; %bb.104:
	s_and_b64 vcc, exec, s[4:5]
	s_mov_b64 s[42:43], 0
	s_cbranch_vccnz .LBB1443_113
; %bb.105:
	v_mul_lo_u32 v16, v7, s26
	v_mul_lo_u32 v17, v6, s27
	v_mad_u64_u32 v[12:13], s[6:7], v6, s26, 0
	v_add3_u32 v13, v13, v17, v16
	v_mul_lo_u32 v16, v9, s26
	v_mul_lo_u32 v17, v8, s27
	v_mad_u64_u32 v[20:21], s[6:7], v8, s26, 0
	v_add3_u32 v21, v21, v17, v16
	v_lshlrev_b64 v[16:17], 1, v[12:13]
	v_mov_b32_e32 v12, s17
	v_add_co_u32_e32 v18, vcc, s16, v16
	v_addc_co_u32_e64 v19, s[6:7], v12, v17, vcc
	v_lshlrev_b64 v[12:13], 1, v[20:21]
	v_mov_b32_e32 v16, s17
	v_add_co_u32_e64 v20, s[6:7], s16, v12
	v_addc_co_u32_e64 v21, s[8:9], v16, v13, s[6:7]
	global_load_ushort v12, v[18:19], off
	global_load_ushort v16, v[20:21], off
	s_mov_b64 s[42:43], -1
	s_waitcnt vmcnt(0)
	v_cmp_eq_u16_e64 s[8:9], v12, v16
	s_and_saveexec_b64 s[36:37], s[8:9]
	s_cbranch_execz .LBB1443_112
; %bb.106:
	v_mov_b32_e32 v12, s17
	v_addc_co_u32_e64 v13, s[6:7], v13, v12, s[6:7]
	v_add_co_u32_e64 v12, s[6:7], 2, v20
	v_mov_b32_e32 v16, s17
	v_addc_co_u32_e64 v13, s[6:7], 0, v13, s[6:7]
	v_addc_co_u32_e32 v17, vcc, v17, v16, vcc
	v_add_co_u32_e32 v16, vcc, 2, v18
	s_add_u32 s6, s26, -1
	v_addc_co_u32_e32 v17, vcc, 0, v17, vcc
	s_addc_u32 s7, s27, -1
	s_mov_b64 s[8:9], 0
	s_mov_b64 s[44:45], 0
                                        ; implicit-def: $sgpr42_sgpr43
	s_branch .LBB1443_109
.LBB1443_107:                           ;   in Loop: Header=BB1443_109 Depth=1
	global_load_ushort v18, v[16:17], off
	global_load_ushort v19, v[12:13], off
	v_add_co_u32_e32 v12, vcc, 2, v12
	v_addc_co_u32_e32 v13, vcc, 0, v13, vcc
	v_add_co_u32_e32 v16, vcc, 2, v16
	v_addc_co_u32_e32 v17, vcc, 0, v17, vcc
	s_add_u32 s44, s44, 1
	s_addc_u32 s45, s45, 0
	s_andn2_b64 s[42:43], s[42:43], exec
	s_waitcnt vmcnt(0)
	v_cmp_ne_u16_e32 vcc, v18, v19
	s_and_b64 s[46:47], vcc, exec
	s_or_b64 s[42:43], s[42:43], s[46:47]
.LBB1443_108:                           ;   in Loop: Header=BB1443_109 Depth=1
	s_and_b64 s[46:47], exec, s[42:43]
	s_or_b64 s[8:9], s[46:47], s[8:9]
	v_pk_mov_b32 v[18:19], s[44:45], s[44:45] op_sel:[0,1]
	s_andn2_b64 exec, exec, s[8:9]
	s_cbranch_execz .LBB1443_111
.LBB1443_109:                           ; =>This Inner Loop Header: Depth=1
	s_or_b64 s[42:43], s[42:43], exec
	s_cmp_eq_u64 s[6:7], s[44:45]
	s_cbranch_scc0 .LBB1443_107
; %bb.110:                              ;   in Loop: Header=BB1443_109 Depth=1
                                        ; implicit-def: $vgpr12_vgpr13
                                        ; implicit-def: $vgpr16_vgpr17
	s_mov_b64 s[44:45], s[26:27]
	s_branch .LBB1443_108
.LBB1443_111:
	s_or_b64 exec, exec, s[8:9]
	v_cmp_gt_i64_e32 vcc, s[26:27], v[18:19]
	s_orn2_b64 s[42:43], vcc, exec
.LBB1443_112:
	s_or_b64 exec, exec, s[36:37]
.LBB1443_113:
	s_and_b64 s[36:37], s[42:43], exec
.LBB1443_114:
	s_or_b64 exec, exec, s[40:41]
	s_waitcnt lgkmcnt(0)
	s_barrier
	s_and_saveexec_b64 s[6:7], s[2:3]
	s_cbranch_execz .LBB1443_116
; %bb.115:
	v_add_u32_e32 v12, -8, v27
	s_waitcnt vmcnt(0)
	ds_read_b64 v[14:15], v12
.LBB1443_116:
	s_or_b64 exec, exec, s[6:7]
	v_cndmask_b32_e64 v13, 0, 1, s[14:15]
	v_cndmask_b32_e64 v12, 0, 1, s[38:39]
	;; [unrolled: 1-line block ×3, first 2 shown]
	v_lshlrev_b16_e32 v13, 8, v13
	v_cmp_gt_u32_e32 vcc, s48, v1
	v_lshlrev_b16_e32 v20, 8, v16
	v_or_b32_sdwa v21, v12, v13 dst_sel:WORD_1 dst_unused:UNUSED_PAD src0_sel:DWORD src1_sel:DWORD
	s_mov_b64 s[36:37], 0
	s_and_saveexec_b64 s[8:9], vcc
	s_cbranch_execz .LBB1443_127
; %bb.117:
	s_and_b64 vcc, exec, s[4:5]
	s_cbranch_vccnz .LBB1443_126
; %bb.118:
	s_waitcnt vmcnt(0) lgkmcnt(0)
	v_mul_lo_u32 v15, v15, s26
	v_mul_lo_u32 v16, v14, s27
	v_mad_u64_u32 v[12:13], s[4:5], v14, s26, 0
	v_add3_u32 v13, v13, v16, v15
	v_mul_lo_u32 v14, v7, s26
	v_mul_lo_u32 v15, v6, s27
	v_mad_u64_u32 v[18:19], s[4:5], v6, s26, 0
	v_add3_u32 v19, v19, v15, v14
	v_lshlrev_b64 v[14:15], 1, v[12:13]
	v_mov_b32_e32 v12, s17
	v_add_co_u32_e32 v16, vcc, s16, v14
	v_addc_co_u32_e64 v17, s[4:5], v12, v15, vcc
	v_lshlrev_b64 v[12:13], 1, v[18:19]
	v_mov_b32_e32 v14, s17
	v_add_co_u32_e64 v18, s[4:5], s16, v12
	v_addc_co_u32_e64 v19, s[6:7], v14, v13, s[4:5]
	global_load_ushort v12, v[16:17], off
	global_load_ushort v14, v[18:19], off
	s_mov_b64 s[36:37], -1
	s_waitcnt vmcnt(0)
	v_cmp_eq_u16_e64 s[6:7], v12, v14
	s_and_saveexec_b64 s[14:15], s[6:7]
	s_cbranch_execz .LBB1443_125
; %bb.119:
	v_mov_b32_e32 v12, s17
	v_addc_co_u32_e64 v13, s[4:5], v13, v12, s[4:5]
	v_add_co_u32_e64 v12, s[4:5], 2, v18
	v_mov_b32_e32 v14, s17
	v_addc_co_u32_e64 v13, s[4:5], 0, v13, s[4:5]
	v_addc_co_u32_e32 v15, vcc, v15, v14, vcc
	v_add_co_u32_e32 v14, vcc, 2, v16
	s_add_u32 s4, s26, -1
	v_addc_co_u32_e32 v15, vcc, 0, v15, vcc
	s_addc_u32 s5, s27, -1
	s_mov_b64 s[6:7], 0
	s_mov_b64 s[38:39], 0
                                        ; implicit-def: $sgpr36_sgpr37
	s_branch .LBB1443_122
.LBB1443_120:                           ;   in Loop: Header=BB1443_122 Depth=1
	global_load_ushort v16, v[14:15], off
	global_load_ushort v17, v[12:13], off
	v_add_co_u32_e32 v12, vcc, 2, v12
	v_addc_co_u32_e32 v13, vcc, 0, v13, vcc
	v_add_co_u32_e32 v14, vcc, 2, v14
	v_addc_co_u32_e32 v15, vcc, 0, v15, vcc
	s_add_u32 s38, s38, 1
	s_addc_u32 s39, s39, 0
	s_andn2_b64 s[36:37], s[36:37], exec
	s_waitcnt vmcnt(0)
	v_cmp_ne_u16_e32 vcc, v16, v17
	s_and_b64 s[40:41], vcc, exec
	s_or_b64 s[36:37], s[36:37], s[40:41]
.LBB1443_121:                           ;   in Loop: Header=BB1443_122 Depth=1
	s_and_b64 s[40:41], exec, s[36:37]
	s_or_b64 s[6:7], s[40:41], s[6:7]
	v_pk_mov_b32 v[16:17], s[38:39], s[38:39] op_sel:[0,1]
	s_andn2_b64 exec, exec, s[6:7]
	s_cbranch_execz .LBB1443_124
.LBB1443_122:                           ; =>This Inner Loop Header: Depth=1
	s_or_b64 s[36:37], s[36:37], exec
	s_cmp_eq_u64 s[4:5], s[38:39]
	s_cbranch_scc0 .LBB1443_120
; %bb.123:                              ;   in Loop: Header=BB1443_122 Depth=1
                                        ; implicit-def: $vgpr12_vgpr13
                                        ; implicit-def: $vgpr14_vgpr15
	s_mov_b64 s[38:39], s[26:27]
	s_branch .LBB1443_121
.LBB1443_124:
	s_or_b64 exec, exec, s[6:7]
	v_cmp_gt_i64_e32 vcc, s[26:27], v[16:17]
	s_orn2_b64 s[36:37], vcc, exec
.LBB1443_125:
	s_or_b64 exec, exec, s[14:15]
.LBB1443_126:
	s_and_b64 s[36:37], s[36:37], exec
.LBB1443_127:
	s_or_b64 exec, exec, s[8:9]
	v_cndmask_b32_e64 v13, 0, 1, s[10:11]
	v_or_b32_e32 v16, v20, v21
.LBB1443_128:
	s_mov_b64 s[14:15], -1
	s_cbranch_execnz .LBB1443_237
.LBB1443_129:
	v_lshlrev_b32_e32 v12, 5, v0
	v_sub_u32_e32 v26, v26, v12
	s_mov_b64 s[36:37], 0
	v_cmp_gt_i64_e64 s[10:11], s[26:27], 0
	s_and_b64 vcc, exec, s[30:31]
	ds_write_b64 v26, v[10:11]
	s_cbranch_vccz .LBB1443_137
; %bb.130:
	s_waitcnt vmcnt(0) lgkmcnt(1)
	v_mul_lo_u32 v14, v5, s26
	v_mul_lo_u32 v15, v4, s27
	v_mad_u64_u32 v[12:13], s[4:5], v4, s26, 0
	v_add3_u32 v13, v13, v15, v14
	v_cndmask_b32_e64 v14, 0, 1, s[10:11]
	v_cmp_ne_u32_e64 s[4:5], 1, v14
	s_andn2_b64 vcc, exec, s[10:11]
	v_lshlrev_b64 v[12:13], 1, v[12:13]
	s_cbranch_vccnz .LBB1443_140
; %bb.131:
	v_mul_lo_u32 v16, v11, s26
	v_mul_lo_u32 v17, v10, s27
	v_mad_u64_u32 v[14:15], s[6:7], v10, s26, 0
	v_add3_u32 v15, v15, v17, v16
	v_mov_b32_e32 v17, s17
	v_add_co_u32_e32 v16, vcc, s16, v12
	v_addc_co_u32_e64 v17, s[6:7], v17, v13, vcc
	v_lshlrev_b64 v[14:15], 1, v[14:15]
	v_mov_b32_e32 v19, s17
	v_add_co_u32_e64 v18, s[6:7], s16, v14
	v_addc_co_u32_e64 v19, s[8:9], v19, v15, s[6:7]
	global_load_ushort v14, v[16:17], off
	global_load_ushort v20, v[18:19], off
	s_mov_b64 s[36:37], -1
	s_waitcnt vmcnt(0)
	v_cmp_eq_u16_e64 s[8:9], v14, v20
	s_and_saveexec_b64 s[38:39], s[8:9]
	s_cbranch_execz .LBB1443_139
; %bb.132:
	v_mov_b32_e32 v14, s17
	v_addc_co_u32_e64 v15, s[6:7], v15, v14, s[6:7]
	v_add_co_u32_e64 v14, s[6:7], 2, v18
	v_mov_b32_e32 v17, s17
	v_addc_co_u32_e64 v15, s[6:7], 0, v15, s[6:7]
	v_addc_co_u32_e32 v17, vcc, v13, v17, vcc
	v_add_co_u32_e32 v16, vcc, 2, v16
	s_add_u32 s6, s26, -1
	v_addc_co_u32_e32 v17, vcc, 0, v17, vcc
	s_addc_u32 s7, s27, -1
	s_mov_b64 s[8:9], 0
	s_mov_b64 s[40:41], 0
                                        ; implicit-def: $sgpr36_sgpr37
	s_branch .LBB1443_135
.LBB1443_133:                           ;   in Loop: Header=BB1443_135 Depth=1
	global_load_ushort v18, v[16:17], off
	global_load_ushort v19, v[14:15], off
	v_add_co_u32_e32 v14, vcc, 2, v14
	v_addc_co_u32_e32 v15, vcc, 0, v15, vcc
	v_add_co_u32_e32 v16, vcc, 2, v16
	v_addc_co_u32_e32 v17, vcc, 0, v17, vcc
	s_add_u32 s40, s40, 1
	s_addc_u32 s41, s41, 0
	s_andn2_b64 s[36:37], s[36:37], exec
	s_waitcnt vmcnt(0)
	v_cmp_ne_u16_e32 vcc, v18, v19
	s_and_b64 s[42:43], vcc, exec
	s_or_b64 s[36:37], s[36:37], s[42:43]
.LBB1443_134:                           ;   in Loop: Header=BB1443_135 Depth=1
	s_and_b64 s[42:43], exec, s[36:37]
	s_or_b64 s[8:9], s[42:43], s[8:9]
	v_pk_mov_b32 v[18:19], s[40:41], s[40:41] op_sel:[0,1]
	s_andn2_b64 exec, exec, s[8:9]
	s_cbranch_execz .LBB1443_138
.LBB1443_135:                           ; =>This Inner Loop Header: Depth=1
	s_or_b64 s[36:37], s[36:37], exec
	s_cmp_eq_u64 s[6:7], s[40:41]
	s_cbranch_scc0 .LBB1443_133
; %bb.136:                              ;   in Loop: Header=BB1443_135 Depth=1
                                        ; implicit-def: $vgpr14_vgpr15
                                        ; implicit-def: $vgpr16_vgpr17
	s_mov_b64 s[40:41], s[26:27]
	s_branch .LBB1443_134
.LBB1443_137:
                                        ; implicit-def: $sgpr36_sgpr37
                                        ; implicit-def: $vgpr13
                                        ; implicit-def: $vgpr16
	s_cbranch_execnz .LBB1443_179
	s_branch .LBB1443_237
.LBB1443_138:
	s_or_b64 exec, exec, s[8:9]
	v_cmp_gt_i64_e32 vcc, s[26:27], v[18:19]
	s_orn2_b64 s[36:37], vcc, exec
.LBB1443_139:
	s_or_b64 exec, exec, s[38:39]
.LBB1443_140:
	v_mul_lo_u32 v16, v3, s26
	v_mul_lo_u32 v17, v2, s27
	v_mad_u64_u32 v[14:15], s[6:7], v2, s26, 0
	v_add3_u32 v15, v15, v17, v16
	s_mov_b64 s[38:39], 0
	s_and_b64 vcc, exec, s[4:5]
	v_lshlrev_b64 v[14:15], 1, v[14:15]
	s_mov_b64 s[40:41], 0
	s_cbranch_vccnz .LBB1443_149
; %bb.141:
	v_mov_b32_e32 v17, s17
	v_add_co_u32_e32 v16, vcc, s16, v14
	v_addc_co_u32_e64 v17, s[6:7], v17, v15, vcc
	v_mov_b32_e32 v19, s17
	v_add_co_u32_e64 v18, s[6:7], s16, v12
	v_addc_co_u32_e64 v19, s[8:9], v19, v13, s[6:7]
	global_load_ushort v12, v[16:17], off
	global_load_ushort v20, v[18:19], off
	s_mov_b64 s[40:41], -1
	s_waitcnt vmcnt(0)
	v_cmp_eq_u16_e64 s[8:9], v12, v20
	s_and_saveexec_b64 s[42:43], s[8:9]
	s_cbranch_execz .LBB1443_148
; %bb.142:
	v_mov_b32_e32 v12, s17
	v_addc_co_u32_e64 v13, s[6:7], v13, v12, s[6:7]
	v_add_co_u32_e64 v12, s[6:7], 2, v18
	v_mov_b32_e32 v17, s17
	v_addc_co_u32_e64 v13, s[6:7], 0, v13, s[6:7]
	v_addc_co_u32_e32 v17, vcc, v15, v17, vcc
	v_add_co_u32_e32 v16, vcc, 2, v16
	s_add_u32 s6, s26, -1
	v_addc_co_u32_e32 v17, vcc, 0, v17, vcc
	s_addc_u32 s7, s27, -1
	s_mov_b64 s[8:9], 0
	s_mov_b64 s[44:45], 0
                                        ; implicit-def: $sgpr40_sgpr41
	s_branch .LBB1443_145
.LBB1443_143:                           ;   in Loop: Header=BB1443_145 Depth=1
	global_load_ushort v18, v[16:17], off
	global_load_ushort v19, v[12:13], off
	v_add_co_u32_e32 v12, vcc, 2, v12
	v_addc_co_u32_e32 v13, vcc, 0, v13, vcc
	v_add_co_u32_e32 v16, vcc, 2, v16
	v_addc_co_u32_e32 v17, vcc, 0, v17, vcc
	s_add_u32 s44, s44, 1
	s_addc_u32 s45, s45, 0
	s_andn2_b64 s[40:41], s[40:41], exec
	s_waitcnt vmcnt(0)
	v_cmp_ne_u16_e32 vcc, v18, v19
	s_and_b64 s[46:47], vcc, exec
	s_or_b64 s[40:41], s[40:41], s[46:47]
.LBB1443_144:                           ;   in Loop: Header=BB1443_145 Depth=1
	s_and_b64 s[46:47], exec, s[40:41]
	s_or_b64 s[8:9], s[46:47], s[8:9]
	v_pk_mov_b32 v[18:19], s[44:45], s[44:45] op_sel:[0,1]
	s_andn2_b64 exec, exec, s[8:9]
	s_cbranch_execz .LBB1443_147
.LBB1443_145:                           ; =>This Inner Loop Header: Depth=1
	s_or_b64 s[40:41], s[40:41], exec
	s_cmp_eq_u64 s[6:7], s[44:45]
	s_cbranch_scc0 .LBB1443_143
; %bb.146:                              ;   in Loop: Header=BB1443_145 Depth=1
                                        ; implicit-def: $vgpr12_vgpr13
                                        ; implicit-def: $vgpr16_vgpr17
	s_mov_b64 s[44:45], s[26:27]
	s_branch .LBB1443_144
.LBB1443_147:
	s_or_b64 exec, exec, s[8:9]
	v_cmp_gt_i64_e32 vcc, s[26:27], v[18:19]
	s_orn2_b64 s[40:41], vcc, exec
.LBB1443_148:
	s_or_b64 exec, exec, s[42:43]
.LBB1443_149:
	v_mul_lo_u32 v16, v9, s26
	v_mul_lo_u32 v17, v8, s27
	v_mad_u64_u32 v[12:13], s[6:7], v8, s26, 0
	v_add3_u32 v13, v13, v17, v16
	s_and_b64 vcc, exec, s[4:5]
	v_lshlrev_b64 v[12:13], 1, v[12:13]
	s_cbranch_vccnz .LBB1443_158
; %bb.150:
	v_mov_b32_e32 v17, s17
	v_add_co_u32_e32 v16, vcc, s16, v12
	v_addc_co_u32_e64 v17, s[6:7], v17, v13, vcc
	v_mov_b32_e32 v19, s17
	v_add_co_u32_e64 v18, s[6:7], s16, v14
	v_addc_co_u32_e64 v19, s[8:9], v19, v15, s[6:7]
	global_load_ushort v14, v[16:17], off
	global_load_ushort v20, v[18:19], off
	s_mov_b64 s[38:39], -1
	s_waitcnt vmcnt(0)
	v_cmp_eq_u16_e64 s[8:9], v14, v20
	s_and_saveexec_b64 s[42:43], s[8:9]
	s_cbranch_execz .LBB1443_157
; %bb.151:
	v_mov_b32_e32 v14, s17
	v_addc_co_u32_e64 v15, s[6:7], v15, v14, s[6:7]
	v_add_co_u32_e64 v14, s[6:7], 2, v18
	v_mov_b32_e32 v17, s17
	v_addc_co_u32_e64 v15, s[6:7], 0, v15, s[6:7]
	v_addc_co_u32_e32 v17, vcc, v13, v17, vcc
	v_add_co_u32_e32 v16, vcc, 2, v16
	s_add_u32 s6, s26, -1
	v_addc_co_u32_e32 v17, vcc, 0, v17, vcc
	s_addc_u32 s7, s27, -1
	s_mov_b64 s[8:9], 0
	s_mov_b64 s[44:45], 0
                                        ; implicit-def: $sgpr38_sgpr39
	s_branch .LBB1443_154
.LBB1443_152:                           ;   in Loop: Header=BB1443_154 Depth=1
	global_load_ushort v18, v[16:17], off
	global_load_ushort v19, v[14:15], off
	v_add_co_u32_e32 v14, vcc, 2, v14
	v_addc_co_u32_e32 v15, vcc, 0, v15, vcc
	v_add_co_u32_e32 v16, vcc, 2, v16
	v_addc_co_u32_e32 v17, vcc, 0, v17, vcc
	s_add_u32 s44, s44, 1
	s_addc_u32 s45, s45, 0
	s_andn2_b64 s[38:39], s[38:39], exec
	s_waitcnt vmcnt(0)
	v_cmp_ne_u16_e32 vcc, v18, v19
	s_and_b64 s[46:47], vcc, exec
	s_or_b64 s[38:39], s[38:39], s[46:47]
.LBB1443_153:                           ;   in Loop: Header=BB1443_154 Depth=1
	s_and_b64 s[46:47], exec, s[38:39]
	s_or_b64 s[8:9], s[46:47], s[8:9]
	v_pk_mov_b32 v[18:19], s[44:45], s[44:45] op_sel:[0,1]
	s_andn2_b64 exec, exec, s[8:9]
	s_cbranch_execz .LBB1443_156
.LBB1443_154:                           ; =>This Inner Loop Header: Depth=1
	s_or_b64 s[38:39], s[38:39], exec
	s_cmp_eq_u64 s[6:7], s[44:45]
	s_cbranch_scc0 .LBB1443_152
; %bb.155:                              ;   in Loop: Header=BB1443_154 Depth=1
                                        ; implicit-def: $vgpr14_vgpr15
                                        ; implicit-def: $vgpr16_vgpr17
	s_mov_b64 s[44:45], s[26:27]
	s_branch .LBB1443_153
.LBB1443_156:
	s_or_b64 exec, exec, s[8:9]
	v_cmp_gt_i64_e32 vcc, s[26:27], v[18:19]
	s_orn2_b64 s[38:39], vcc, exec
.LBB1443_157:
	s_or_b64 exec, exec, s[42:43]
.LBB1443_158:
	v_mul_lo_u32 v16, v7, s26
	v_mul_lo_u32 v17, v6, s27
	v_mad_u64_u32 v[14:15], s[6:7], v6, s26, 0
	v_add3_u32 v15, v15, v17, v16
	s_and_b64 vcc, exec, s[4:5]
	s_mov_b64 s[44:45], 0
	s_cbranch_vccnz .LBB1443_167
; %bb.159:
	v_lshlrev_b64 v[16:17], 1, v[14:15]
	v_mov_b32_e32 v19, s17
	v_add_co_u32_e32 v18, vcc, s16, v16
	v_addc_co_u32_e64 v19, s[6:7], v19, v17, vcc
	v_mov_b32_e32 v16, s17
	v_add_co_u32_e64 v20, s[6:7], s16, v12
	v_addc_co_u32_e64 v21, s[8:9], v16, v13, s[6:7]
	global_load_ushort v12, v[18:19], off
	global_load_ushort v16, v[20:21], off
	s_mov_b64 s[44:45], -1
	s_waitcnt vmcnt(0)
	v_cmp_eq_u16_e64 s[8:9], v12, v16
	s_and_saveexec_b64 s[42:43], s[8:9]
	s_cbranch_execz .LBB1443_166
; %bb.160:
	v_mov_b32_e32 v12, s17
	v_addc_co_u32_e64 v13, s[6:7], v13, v12, s[6:7]
	v_add_co_u32_e64 v12, s[6:7], 2, v20
	v_mov_b32_e32 v16, s17
	v_addc_co_u32_e64 v13, s[6:7], 0, v13, s[6:7]
	v_addc_co_u32_e32 v17, vcc, v17, v16, vcc
	v_add_co_u32_e32 v16, vcc, 2, v18
	s_add_u32 s6, s26, -1
	v_addc_co_u32_e32 v17, vcc, 0, v17, vcc
	s_addc_u32 s7, s27, -1
	s_mov_b64 s[8:9], 0
	s_mov_b64 s[46:47], 0
                                        ; implicit-def: $sgpr44_sgpr45
	s_branch .LBB1443_163
.LBB1443_161:                           ;   in Loop: Header=BB1443_163 Depth=1
	global_load_ushort v18, v[16:17], off
	global_load_ushort v19, v[12:13], off
	v_add_co_u32_e32 v12, vcc, 2, v12
	v_addc_co_u32_e32 v13, vcc, 0, v13, vcc
	v_add_co_u32_e32 v16, vcc, 2, v16
	v_addc_co_u32_e32 v17, vcc, 0, v17, vcc
	s_add_u32 s46, s46, 1
	s_addc_u32 s47, s47, 0
	s_andn2_b64 s[44:45], s[44:45], exec
	s_waitcnt vmcnt(0)
	v_cmp_ne_u16_e32 vcc, v18, v19
	s_and_b64 s[50:51], vcc, exec
	s_or_b64 s[44:45], s[44:45], s[50:51]
.LBB1443_162:                           ;   in Loop: Header=BB1443_163 Depth=1
	s_and_b64 s[50:51], exec, s[44:45]
	s_or_b64 s[8:9], s[50:51], s[8:9]
	v_pk_mov_b32 v[18:19], s[46:47], s[46:47] op_sel:[0,1]
	s_andn2_b64 exec, exec, s[8:9]
	s_cbranch_execz .LBB1443_165
.LBB1443_163:                           ; =>This Inner Loop Header: Depth=1
	s_or_b64 s[44:45], s[44:45], exec
	s_cmp_eq_u64 s[6:7], s[46:47]
	s_cbranch_scc0 .LBB1443_161
; %bb.164:                              ;   in Loop: Header=BB1443_163 Depth=1
                                        ; implicit-def: $vgpr12_vgpr13
                                        ; implicit-def: $vgpr16_vgpr17
	s_mov_b64 s[46:47], s[26:27]
	s_branch .LBB1443_162
.LBB1443_165:
	s_or_b64 exec, exec, s[8:9]
	v_cmp_gt_i64_e32 vcc, s[26:27], v[18:19]
	s_orn2_b64 s[44:45], vcc, exec
.LBB1443_166:
	s_or_b64 exec, exec, s[42:43]
.LBB1443_167:
	v_cndmask_b32_e64 v13, 0, 1, s[40:41]
	v_cndmask_b32_e64 v16, 0, 1, s[44:45]
	;; [unrolled: 1-line block ×3, first 2 shown]
	v_lshlrev_b16_e32 v16, 8, v16
	v_lshlrev_b16_e32 v13, 8, v13
	v_or_b32_e32 v16, 1, v16
	v_or_b32_sdwa v12, v12, v13 dst_sel:WORD_1 dst_unused:UNUSED_PAD src0_sel:DWORD src1_sel:DWORD
	v_or_b32_sdwa v12, v16, v12 dst_sel:DWORD dst_unused:UNUSED_PAD src0_sel:WORD_0 src1_sel:DWORD
	v_cndmask_b32_e64 v13, 0, 1, s[36:37]
	s_waitcnt lgkmcnt(0)
	s_barrier
	s_waitcnt lgkmcnt(0)
                                        ; implicit-def: $sgpr36_sgpr37
                                        ; implicit-def: $vgpr16
	s_and_saveexec_b64 s[6:7], s[2:3]
	s_xor_b64 s[8:9], exec, s[6:7]
	s_cbranch_execz .LBB1443_178
; %bb.168:
	s_mov_b32 s42, 0x3020104
	s_and_b64 vcc, exec, s[4:5]
	s_mov_b64 s[38:39], 0
	s_cbranch_vccnz .LBB1443_177
; %bb.169:
	v_add_u32_e32 v16, -8, v26
	ds_read_b64 v[16:17], v16
	v_mov_b32_e32 v19, s17
	v_lshlrev_b64 v[14:15], 1, v[14:15]
	s_mov_b64 s[38:39], -1
	s_waitcnt lgkmcnt(0)
	v_mul_lo_u32 v18, v17, s26
	v_mul_lo_u32 v20, v16, s27
	v_mad_u64_u32 v[16:17], s[4:5], v16, s26, 0
	v_add3_u32 v17, v17, v20, v18
	v_lshlrev_b64 v[16:17], 1, v[16:17]
	v_add_co_u32_e32 v18, vcc, s16, v16
	v_addc_co_u32_e64 v19, s[4:5], v19, v17, vcc
	v_mov_b32_e32 v16, s17
	v_add_co_u32_e64 v20, s[4:5], s16, v14
	v_addc_co_u32_e64 v21, s[6:7], v16, v15, s[4:5]
	global_load_ushort v14, v[18:19], off
	global_load_ushort v16, v[20:21], off
	s_waitcnt vmcnt(0)
	v_cmp_eq_u16_e64 s[6:7], v14, v16
	s_and_saveexec_b64 s[36:37], s[6:7]
	s_cbranch_execz .LBB1443_176
; %bb.170:
	v_mov_b32_e32 v14, s17
	v_addc_co_u32_e64 v15, s[4:5], v15, v14, s[4:5]
	v_add_co_u32_e64 v14, s[4:5], 2, v20
	v_mov_b32_e32 v16, s17
	v_addc_co_u32_e64 v15, s[4:5], 0, v15, s[4:5]
	v_addc_co_u32_e32 v17, vcc, v17, v16, vcc
	v_add_co_u32_e32 v16, vcc, 2, v18
	s_add_u32 s4, s26, -1
	v_addc_co_u32_e32 v17, vcc, 0, v17, vcc
	s_addc_u32 s5, s27, -1
	s_mov_b64 s[6:7], 0
	s_mov_b64 s[40:41], 0
                                        ; implicit-def: $sgpr38_sgpr39
	s_branch .LBB1443_173
.LBB1443_171:                           ;   in Loop: Header=BB1443_173 Depth=1
	global_load_ushort v18, v[16:17], off
	global_load_ushort v19, v[14:15], off
	v_add_co_u32_e32 v14, vcc, 2, v14
	v_addc_co_u32_e32 v15, vcc, 0, v15, vcc
	v_add_co_u32_e32 v16, vcc, 2, v16
	v_addc_co_u32_e32 v17, vcc, 0, v17, vcc
	s_add_u32 s40, s40, 1
	s_addc_u32 s41, s41, 0
	s_andn2_b64 s[38:39], s[38:39], exec
	s_waitcnt vmcnt(0)
	v_cmp_ne_u16_e32 vcc, v18, v19
	s_and_b64 s[44:45], vcc, exec
	s_or_b64 s[38:39], s[38:39], s[44:45]
.LBB1443_172:                           ;   in Loop: Header=BB1443_173 Depth=1
	s_and_b64 s[44:45], exec, s[38:39]
	s_or_b64 s[6:7], s[44:45], s[6:7]
	v_pk_mov_b32 v[18:19], s[40:41], s[40:41] op_sel:[0,1]
	s_andn2_b64 exec, exec, s[6:7]
	s_cbranch_execz .LBB1443_175
.LBB1443_173:                           ; =>This Inner Loop Header: Depth=1
	s_or_b64 s[38:39], s[38:39], exec
	s_cmp_eq_u64 s[4:5], s[40:41]
	s_cbranch_scc0 .LBB1443_171
; %bb.174:                              ;   in Loop: Header=BB1443_173 Depth=1
                                        ; implicit-def: $vgpr14_vgpr15
                                        ; implicit-def: $vgpr16_vgpr17
	s_mov_b64 s[40:41], s[26:27]
	s_branch .LBB1443_172
.LBB1443_175:
	s_or_b64 exec, exec, s[6:7]
	v_cmp_gt_i64_e32 vcc, s[26:27], v[18:19]
	s_orn2_b64 s[38:39], vcc, exec
.LBB1443_176:
	s_or_b64 exec, exec, s[36:37]
.LBB1443_177:
	v_perm_b32 v16, v12, v12, s42
	s_and_b64 s[36:37], s[38:39], exec
	s_or_b64 s[14:15], s[14:15], exec
.LBB1443_178:
	s_or_b64 exec, exec, s[8:9]
	s_branch .LBB1443_237
.LBB1443_179:
	v_cmp_gt_u32_e32 vcc, s48, v23
	s_mov_b64 s[36:37], 0
	s_mov_b64 s[8:9], 0
	s_and_saveexec_b64 s[38:39], vcc
	s_cbranch_execz .LBB1443_190
; %bb.180:
	s_andn2_b64 vcc, exec, s[10:11]
	s_mov_b64 s[40:41], 0
	s_cbranch_vccnz .LBB1443_189
; %bb.181:
	s_waitcnt vmcnt(0) lgkmcnt(1)
	v_mul_lo_u32 v14, v5, s26
	v_mul_lo_u32 v15, v4, s27
	v_mad_u64_u32 v[12:13], s[4:5], v4, s26, 0
	v_add3_u32 v13, v13, v15, v14
	v_mul_lo_u32 v14, v11, s26
	v_mul_lo_u32 v15, v10, s27
	v_mad_u64_u32 v[18:19], s[4:5], v10, s26, 0
	v_add3_u32 v19, v19, v15, v14
	v_lshlrev_b64 v[14:15], 1, v[12:13]
	v_mov_b32_e32 v12, s17
	v_add_co_u32_e32 v16, vcc, s16, v14
	v_addc_co_u32_e64 v17, s[4:5], v12, v15, vcc
	v_lshlrev_b64 v[12:13], 1, v[18:19]
	v_mov_b32_e32 v14, s17
	v_add_co_u32_e64 v18, s[4:5], s16, v12
	v_addc_co_u32_e64 v19, s[6:7], v14, v13, s[4:5]
	global_load_ushort v12, v[16:17], off
	global_load_ushort v14, v[18:19], off
	s_mov_b64 s[40:41], -1
	s_waitcnt vmcnt(0)
	v_cmp_eq_u16_e64 s[6:7], v12, v14
	s_and_saveexec_b64 s[8:9], s[6:7]
	s_cbranch_execz .LBB1443_188
; %bb.182:
	v_mov_b32_e32 v12, s17
	v_addc_co_u32_e64 v13, s[4:5], v13, v12, s[4:5]
	v_add_co_u32_e64 v12, s[4:5], 2, v18
	v_mov_b32_e32 v14, s17
	v_addc_co_u32_e64 v13, s[4:5], 0, v13, s[4:5]
	v_addc_co_u32_e32 v15, vcc, v15, v14, vcc
	v_add_co_u32_e32 v14, vcc, 2, v16
	s_add_u32 s4, s26, -1
	v_addc_co_u32_e32 v15, vcc, 0, v15, vcc
	s_addc_u32 s5, s27, -1
	s_mov_b64 s[6:7], 0
	s_mov_b64 s[42:43], 0
                                        ; implicit-def: $sgpr40_sgpr41
	s_branch .LBB1443_185
.LBB1443_183:                           ;   in Loop: Header=BB1443_185 Depth=1
	global_load_ushort v16, v[14:15], off
	global_load_ushort v17, v[12:13], off
	v_add_co_u32_e32 v12, vcc, 2, v12
	v_addc_co_u32_e32 v13, vcc, 0, v13, vcc
	v_add_co_u32_e32 v14, vcc, 2, v14
	v_addc_co_u32_e32 v15, vcc, 0, v15, vcc
	s_add_u32 s42, s42, 1
	s_addc_u32 s43, s43, 0
	s_andn2_b64 s[40:41], s[40:41], exec
	s_waitcnt vmcnt(0)
	v_cmp_ne_u16_e32 vcc, v16, v17
	s_and_b64 s[44:45], vcc, exec
	s_or_b64 s[40:41], s[40:41], s[44:45]
.LBB1443_184:                           ;   in Loop: Header=BB1443_185 Depth=1
	s_and_b64 s[44:45], exec, s[40:41]
	s_or_b64 s[6:7], s[44:45], s[6:7]
	v_pk_mov_b32 v[16:17], s[42:43], s[42:43] op_sel:[0,1]
	s_andn2_b64 exec, exec, s[6:7]
	s_cbranch_execz .LBB1443_187
.LBB1443_185:                           ; =>This Inner Loop Header: Depth=1
	s_or_b64 s[40:41], s[40:41], exec
	s_cmp_eq_u64 s[4:5], s[42:43]
	s_cbranch_scc0 .LBB1443_183
; %bb.186:                              ;   in Loop: Header=BB1443_185 Depth=1
                                        ; implicit-def: $vgpr12_vgpr13
                                        ; implicit-def: $vgpr14_vgpr15
	s_mov_b64 s[42:43], s[26:27]
	s_branch .LBB1443_184
.LBB1443_187:
	s_or_b64 exec, exec, s[6:7]
	v_cmp_gt_i64_e32 vcc, s[26:27], v[16:17]
	s_orn2_b64 s[40:41], vcc, exec
.LBB1443_188:
	s_or_b64 exec, exec, s[8:9]
.LBB1443_189:
	s_and_b64 s[8:9], s[40:41], exec
.LBB1443_190:
	s_or_b64 exec, exec, s[38:39]
	v_cmp_gt_u32_e32 vcc, s48, v25
	s_and_saveexec_b64 s[38:39], vcc
	s_cbranch_execz .LBB1443_201
; %bb.191:
	s_andn2_b64 vcc, exec, s[10:11]
	s_mov_b64 s[40:41], 0
	s_cbranch_vccnz .LBB1443_200
; %bb.192:
	s_waitcnt vmcnt(0) lgkmcnt(1)
	v_mul_lo_u32 v14, v3, s26
	v_mul_lo_u32 v15, v2, s27
	v_mad_u64_u32 v[12:13], s[4:5], v2, s26, 0
	v_add3_u32 v13, v13, v15, v14
	v_mul_lo_u32 v14, v5, s26
	v_mul_lo_u32 v15, v4, s27
	v_mad_u64_u32 v[18:19], s[4:5], v4, s26, 0
	v_add3_u32 v19, v19, v15, v14
	v_lshlrev_b64 v[14:15], 1, v[12:13]
	v_mov_b32_e32 v12, s17
	v_add_co_u32_e32 v16, vcc, s16, v14
	v_addc_co_u32_e64 v17, s[4:5], v12, v15, vcc
	v_lshlrev_b64 v[12:13], 1, v[18:19]
	v_mov_b32_e32 v14, s17
	v_add_co_u32_e64 v18, s[4:5], s16, v12
	v_addc_co_u32_e64 v19, s[6:7], v14, v13, s[4:5]
	global_load_ushort v12, v[16:17], off
	global_load_ushort v14, v[18:19], off
	s_mov_b64 s[40:41], -1
	s_waitcnt vmcnt(0)
	v_cmp_eq_u16_e64 s[6:7], v12, v14
	s_and_saveexec_b64 s[36:37], s[6:7]
	s_cbranch_execz .LBB1443_199
; %bb.193:
	v_mov_b32_e32 v12, s17
	v_addc_co_u32_e64 v13, s[4:5], v13, v12, s[4:5]
	v_add_co_u32_e64 v12, s[4:5], 2, v18
	v_mov_b32_e32 v14, s17
	v_addc_co_u32_e64 v13, s[4:5], 0, v13, s[4:5]
	v_addc_co_u32_e32 v15, vcc, v15, v14, vcc
	v_add_co_u32_e32 v14, vcc, 2, v16
	s_add_u32 s4, s26, -1
	v_addc_co_u32_e32 v15, vcc, 0, v15, vcc
	s_addc_u32 s5, s27, -1
	s_mov_b64 s[6:7], 0
	s_mov_b64 s[42:43], 0
                                        ; implicit-def: $sgpr40_sgpr41
	s_branch .LBB1443_196
.LBB1443_194:                           ;   in Loop: Header=BB1443_196 Depth=1
	global_load_ushort v16, v[14:15], off
	global_load_ushort v17, v[12:13], off
	v_add_co_u32_e32 v12, vcc, 2, v12
	v_addc_co_u32_e32 v13, vcc, 0, v13, vcc
	v_add_co_u32_e32 v14, vcc, 2, v14
	v_addc_co_u32_e32 v15, vcc, 0, v15, vcc
	s_add_u32 s42, s42, 1
	s_addc_u32 s43, s43, 0
	s_andn2_b64 s[40:41], s[40:41], exec
	s_waitcnt vmcnt(0)
	v_cmp_ne_u16_e32 vcc, v16, v17
	s_and_b64 s[44:45], vcc, exec
	s_or_b64 s[40:41], s[40:41], s[44:45]
.LBB1443_195:                           ;   in Loop: Header=BB1443_196 Depth=1
	s_and_b64 s[44:45], exec, s[40:41]
	s_or_b64 s[6:7], s[44:45], s[6:7]
	v_pk_mov_b32 v[16:17], s[42:43], s[42:43] op_sel:[0,1]
	s_andn2_b64 exec, exec, s[6:7]
	s_cbranch_execz .LBB1443_198
.LBB1443_196:                           ; =>This Inner Loop Header: Depth=1
	s_or_b64 s[40:41], s[40:41], exec
	s_cmp_eq_u64 s[4:5], s[42:43]
	s_cbranch_scc0 .LBB1443_194
; %bb.197:                              ;   in Loop: Header=BB1443_196 Depth=1
                                        ; implicit-def: $vgpr12_vgpr13
                                        ; implicit-def: $vgpr14_vgpr15
	s_mov_b64 s[42:43], s[26:27]
	s_branch .LBB1443_195
.LBB1443_198:
	s_or_b64 exec, exec, s[6:7]
	v_cmp_gt_i64_e32 vcc, s[26:27], v[16:17]
	s_orn2_b64 s[40:41], vcc, exec
.LBB1443_199:
	s_or_b64 exec, exec, s[36:37]
.LBB1443_200:
	s_and_b64 s[36:37], s[40:41], exec
.LBB1443_201:
	s_or_b64 exec, exec, s[38:39]
	v_cmp_gt_u32_e32 vcc, s48, v22
	s_mov_b64 s[38:39], 0
	s_mov_b64 s[40:41], 0
	s_and_saveexec_b64 s[42:43], vcc
	s_cbranch_execz .LBB1443_212
; %bb.202:
	s_andn2_b64 vcc, exec, s[10:11]
	s_mov_b64 s[44:45], 0
	s_cbranch_vccnz .LBB1443_211
; %bb.203:
	s_waitcnt vmcnt(0) lgkmcnt(1)
	v_mul_lo_u32 v14, v9, s26
	v_mul_lo_u32 v15, v8, s27
	v_mad_u64_u32 v[12:13], s[4:5], v8, s26, 0
	v_add3_u32 v13, v13, v15, v14
	v_mul_lo_u32 v14, v3, s26
	v_mul_lo_u32 v15, v2, s27
	v_mad_u64_u32 v[18:19], s[4:5], v2, s26, 0
	v_add3_u32 v19, v19, v15, v14
	v_lshlrev_b64 v[14:15], 1, v[12:13]
	v_mov_b32_e32 v12, s17
	v_add_co_u32_e32 v16, vcc, s16, v14
	v_addc_co_u32_e64 v17, s[4:5], v12, v15, vcc
	v_lshlrev_b64 v[12:13], 1, v[18:19]
	v_mov_b32_e32 v14, s17
	v_add_co_u32_e64 v18, s[4:5], s16, v12
	v_addc_co_u32_e64 v19, s[6:7], v14, v13, s[4:5]
	global_load_ushort v12, v[16:17], off
	global_load_ushort v14, v[18:19], off
	s_mov_b64 s[44:45], -1
	s_waitcnt vmcnt(0)
	v_cmp_eq_u16_e64 s[6:7], v12, v14
	s_and_saveexec_b64 s[40:41], s[6:7]
	s_cbranch_execz .LBB1443_210
; %bb.204:
	v_mov_b32_e32 v12, s17
	v_addc_co_u32_e64 v13, s[4:5], v13, v12, s[4:5]
	v_add_co_u32_e64 v12, s[4:5], 2, v18
	v_mov_b32_e32 v14, s17
	v_addc_co_u32_e64 v13, s[4:5], 0, v13, s[4:5]
	v_addc_co_u32_e32 v15, vcc, v15, v14, vcc
	v_add_co_u32_e32 v14, vcc, 2, v16
	s_add_u32 s4, s26, -1
	v_addc_co_u32_e32 v15, vcc, 0, v15, vcc
	s_addc_u32 s5, s27, -1
	s_mov_b64 s[6:7], 0
	s_mov_b64 s[46:47], 0
                                        ; implicit-def: $sgpr44_sgpr45
	s_branch .LBB1443_207
.LBB1443_205:                           ;   in Loop: Header=BB1443_207 Depth=1
	global_load_ushort v16, v[14:15], off
	global_load_ushort v17, v[12:13], off
	v_add_co_u32_e32 v12, vcc, 2, v12
	v_addc_co_u32_e32 v13, vcc, 0, v13, vcc
	v_add_co_u32_e32 v14, vcc, 2, v14
	v_addc_co_u32_e32 v15, vcc, 0, v15, vcc
	s_add_u32 s46, s46, 1
	s_addc_u32 s47, s47, 0
	s_andn2_b64 s[44:45], s[44:45], exec
	s_waitcnt vmcnt(0)
	v_cmp_ne_u16_e32 vcc, v16, v17
	s_and_b64 s[50:51], vcc, exec
	s_or_b64 s[44:45], s[44:45], s[50:51]
.LBB1443_206:                           ;   in Loop: Header=BB1443_207 Depth=1
	s_and_b64 s[50:51], exec, s[44:45]
	s_or_b64 s[6:7], s[50:51], s[6:7]
	v_pk_mov_b32 v[16:17], s[46:47], s[46:47] op_sel:[0,1]
	s_andn2_b64 exec, exec, s[6:7]
	s_cbranch_execz .LBB1443_209
.LBB1443_207:                           ; =>This Inner Loop Header: Depth=1
	s_or_b64 s[44:45], s[44:45], exec
	s_cmp_eq_u64 s[4:5], s[46:47]
	s_cbranch_scc0 .LBB1443_205
; %bb.208:                              ;   in Loop: Header=BB1443_207 Depth=1
                                        ; implicit-def: $vgpr12_vgpr13
                                        ; implicit-def: $vgpr14_vgpr15
	s_mov_b64 s[46:47], s[26:27]
	s_branch .LBB1443_206
.LBB1443_209:
	s_or_b64 exec, exec, s[6:7]
	v_cmp_gt_i64_e32 vcc, s[26:27], v[16:17]
	s_orn2_b64 s[44:45], vcc, exec
.LBB1443_210:
	s_or_b64 exec, exec, s[40:41]
.LBB1443_211:
	s_and_b64 s[40:41], s[44:45], exec
.LBB1443_212:
	s_or_b64 exec, exec, s[42:43]
	v_cmp_gt_u32_e32 vcc, s48, v24
	s_and_saveexec_b64 s[42:43], vcc
	s_cbranch_execz .LBB1443_223
; %bb.213:
	s_andn2_b64 vcc, exec, s[10:11]
	s_mov_b64 s[44:45], 0
	s_cbranch_vccnz .LBB1443_222
; %bb.214:
	s_waitcnt vmcnt(0) lgkmcnt(1)
	v_mul_lo_u32 v14, v7, s26
	v_mul_lo_u32 v15, v6, s27
	v_mad_u64_u32 v[12:13], s[4:5], v6, s26, 0
	v_add3_u32 v13, v13, v15, v14
	v_mul_lo_u32 v14, v9, s26
	v_mul_lo_u32 v15, v8, s27
	v_mad_u64_u32 v[18:19], s[4:5], v8, s26, 0
	v_add3_u32 v19, v19, v15, v14
	v_lshlrev_b64 v[14:15], 1, v[12:13]
	v_mov_b32_e32 v12, s17
	v_add_co_u32_e32 v16, vcc, s16, v14
	v_addc_co_u32_e64 v17, s[4:5], v12, v15, vcc
	v_lshlrev_b64 v[12:13], 1, v[18:19]
	v_mov_b32_e32 v14, s17
	v_add_co_u32_e64 v18, s[4:5], s16, v12
	v_addc_co_u32_e64 v19, s[6:7], v14, v13, s[4:5]
	global_load_ushort v12, v[16:17], off
	global_load_ushort v14, v[18:19], off
	s_mov_b64 s[44:45], -1
	s_waitcnt vmcnt(0)
	v_cmp_eq_u16_e64 s[6:7], v12, v14
	s_and_saveexec_b64 s[38:39], s[6:7]
	s_cbranch_execz .LBB1443_221
; %bb.215:
	v_mov_b32_e32 v12, s17
	v_addc_co_u32_e64 v13, s[4:5], v13, v12, s[4:5]
	v_add_co_u32_e64 v12, s[4:5], 2, v18
	v_mov_b32_e32 v14, s17
	v_addc_co_u32_e64 v13, s[4:5], 0, v13, s[4:5]
	v_addc_co_u32_e32 v15, vcc, v15, v14, vcc
	v_add_co_u32_e32 v14, vcc, 2, v16
	s_add_u32 s4, s26, -1
	v_addc_co_u32_e32 v15, vcc, 0, v15, vcc
	s_addc_u32 s5, s27, -1
	s_mov_b64 s[6:7], 0
	s_mov_b64 s[46:47], 0
                                        ; implicit-def: $sgpr44_sgpr45
	s_branch .LBB1443_218
.LBB1443_216:                           ;   in Loop: Header=BB1443_218 Depth=1
	global_load_ushort v16, v[14:15], off
	global_load_ushort v17, v[12:13], off
	v_add_co_u32_e32 v12, vcc, 2, v12
	v_addc_co_u32_e32 v13, vcc, 0, v13, vcc
	v_add_co_u32_e32 v14, vcc, 2, v14
	v_addc_co_u32_e32 v15, vcc, 0, v15, vcc
	s_add_u32 s46, s46, 1
	s_addc_u32 s47, s47, 0
	s_andn2_b64 s[44:45], s[44:45], exec
	s_waitcnt vmcnt(0)
	v_cmp_ne_u16_e32 vcc, v16, v17
	s_and_b64 s[50:51], vcc, exec
	s_or_b64 s[44:45], s[44:45], s[50:51]
.LBB1443_217:                           ;   in Loop: Header=BB1443_218 Depth=1
	s_and_b64 s[50:51], exec, s[44:45]
	s_or_b64 s[6:7], s[50:51], s[6:7]
	v_pk_mov_b32 v[16:17], s[46:47], s[46:47] op_sel:[0,1]
	s_andn2_b64 exec, exec, s[6:7]
	s_cbranch_execz .LBB1443_220
.LBB1443_218:                           ; =>This Inner Loop Header: Depth=1
	s_or_b64 s[44:45], s[44:45], exec
	s_cmp_eq_u64 s[4:5], s[46:47]
	s_cbranch_scc0 .LBB1443_216
; %bb.219:                              ;   in Loop: Header=BB1443_218 Depth=1
                                        ; implicit-def: $vgpr12_vgpr13
                                        ; implicit-def: $vgpr14_vgpr15
	s_mov_b64 s[46:47], s[26:27]
	s_branch .LBB1443_217
.LBB1443_220:
	s_or_b64 exec, exec, s[6:7]
	v_cmp_gt_i64_e32 vcc, s[26:27], v[16:17]
	s_orn2_b64 s[44:45], vcc, exec
.LBB1443_221:
	s_or_b64 exec, exec, s[38:39]
.LBB1443_222:
	s_and_b64 s[38:39], s[44:45], exec
.LBB1443_223:
	s_or_b64 exec, exec, s[42:43]
	v_cndmask_b32_e64 v13, 0, 1, s[36:37]
	s_waitcnt vmcnt(0) lgkmcnt(1)
	v_cndmask_b32_e64 v14, 0, 1, s[38:39]
	v_cndmask_b32_e64 v12, 0, 1, s[40:41]
	v_lshlrev_b16_e32 v14, 8, v14
	v_lshlrev_b16_e32 v13, 8, v13
	v_or_b32_e32 v14, 1, v14
	v_or_b32_sdwa v12, v12, v13 dst_sel:WORD_1 dst_unused:UNUSED_PAD src0_sel:DWORD src1_sel:DWORD
	v_or_b32_sdwa v12, v14, v12 dst_sel:DWORD dst_unused:UNUSED_PAD src0_sel:WORD_0 src1_sel:DWORD
	v_cndmask_b32_e64 v13, 0, 1, s[8:9]
	s_waitcnt lgkmcnt(0)
	s_barrier
	s_waitcnt lgkmcnt(0)
                                        ; implicit-def: $sgpr36_sgpr37
                                        ; implicit-def: $vgpr16
	s_and_saveexec_b64 s[6:7], s[2:3]
	s_cbranch_execz .LBB1443_236
; %bb.224:
	v_cmp_gt_u32_e32 vcc, s48, v1
	s_mov_b32 s38, 0x3020104
	s_mov_b64 s[2:3], 0
	s_and_saveexec_b64 s[8:9], vcc
	s_cbranch_execz .LBB1443_235
; %bb.225:
	s_andn2_b64 vcc, exec, s[10:11]
	s_mov_b64 s[36:37], 0
	s_cbranch_vccnz .LBB1443_234
; %bb.226:
	v_add_u32_e32 v14, -8, v26
	ds_read_b64 v[14:15], v14
	v_mul_lo_u32 v16, v7, s26
	v_mad_u64_u32 v[20:21], s[2:3], v6, s26, 0
	s_mov_b64 s[36:37], -1
	s_waitcnt lgkmcnt(0)
	v_mul_lo_u32 v17, v15, s26
	v_mul_lo_u32 v18, v14, s27
	v_mad_u64_u32 v[14:15], s[2:3], v14, s26, 0
	v_add3_u32 v15, v15, v18, v17
	v_mul_lo_u32 v17, v6, s27
	v_add3_u32 v21, v21, v17, v16
	v_lshlrev_b64 v[16:17], 1, v[14:15]
	v_mov_b32_e32 v14, s17
	v_add_co_u32_e32 v18, vcc, s16, v16
	v_addc_co_u32_e64 v19, s[2:3], v14, v17, vcc
	v_lshlrev_b64 v[14:15], 1, v[20:21]
	v_mov_b32_e32 v16, s17
	v_add_co_u32_e64 v20, s[2:3], s16, v14
	v_addc_co_u32_e64 v21, s[4:5], v16, v15, s[2:3]
	global_load_ushort v14, v[18:19], off
	global_load_ushort v16, v[20:21], off
	s_waitcnt vmcnt(0)
	v_cmp_eq_u16_e64 s[4:5], v14, v16
	s_and_saveexec_b64 s[10:11], s[4:5]
	s_cbranch_execz .LBB1443_233
; %bb.227:
	v_mov_b32_e32 v14, s17
	v_addc_co_u32_e64 v15, s[2:3], v15, v14, s[2:3]
	v_add_co_u32_e64 v14, s[2:3], 2, v20
	v_mov_b32_e32 v16, s17
	v_addc_co_u32_e64 v15, s[2:3], 0, v15, s[2:3]
	v_addc_co_u32_e32 v17, vcc, v17, v16, vcc
	v_add_co_u32_e32 v16, vcc, 2, v18
	s_add_u32 s2, s26, -1
	v_addc_co_u32_e32 v17, vcc, 0, v17, vcc
	s_addc_u32 s3, s27, -1
	s_mov_b64 s[4:5], 0
	s_mov_b64 s[36:37], 0
                                        ; implicit-def: $sgpr16_sgpr17
	s_branch .LBB1443_230
.LBB1443_228:                           ;   in Loop: Header=BB1443_230 Depth=1
	global_load_ushort v18, v[16:17], off
	global_load_ushort v19, v[14:15], off
	v_add_co_u32_e32 v14, vcc, 2, v14
	v_addc_co_u32_e32 v15, vcc, 0, v15, vcc
	v_add_co_u32_e32 v16, vcc, 2, v16
	v_addc_co_u32_e32 v17, vcc, 0, v17, vcc
	s_add_u32 s36, s36, 1
	s_addc_u32 s37, s37, 0
	s_andn2_b64 s[16:17], s[16:17], exec
	s_waitcnt vmcnt(0)
	v_cmp_ne_u16_e32 vcc, v18, v19
	s_and_b64 s[40:41], vcc, exec
	s_or_b64 s[16:17], s[16:17], s[40:41]
.LBB1443_229:                           ;   in Loop: Header=BB1443_230 Depth=1
	s_and_b64 s[40:41], exec, s[16:17]
	s_or_b64 s[4:5], s[40:41], s[4:5]
	v_pk_mov_b32 v[18:19], s[36:37], s[36:37] op_sel:[0,1]
	s_andn2_b64 exec, exec, s[4:5]
	s_cbranch_execz .LBB1443_232
.LBB1443_230:                           ; =>This Inner Loop Header: Depth=1
	s_or_b64 s[16:17], s[16:17], exec
	s_cmp_eq_u64 s[2:3], s[36:37]
	s_cbranch_scc0 .LBB1443_228
; %bb.231:                              ;   in Loop: Header=BB1443_230 Depth=1
                                        ; implicit-def: $vgpr14_vgpr15
                                        ; implicit-def: $vgpr16_vgpr17
	s_mov_b64 s[36:37], s[26:27]
	s_branch .LBB1443_229
.LBB1443_232:
	s_or_b64 exec, exec, s[4:5]
	v_cmp_gt_i64_e32 vcc, s[26:27], v[18:19]
	s_orn2_b64 s[36:37], vcc, exec
.LBB1443_233:
	s_or_b64 exec, exec, s[10:11]
.LBB1443_234:
	s_and_b64 s[2:3], s[36:37], exec
.LBB1443_235:
	s_or_b64 exec, exec, s[8:9]
	v_perm_b32 v16, v12, v12, s38
	s_and_b64 s[36:37], s[2:3], exec
	s_or_b64 s[14:15], s[14:15], exec
.LBB1443_236:
	s_or_b64 exec, exec, s[6:7]
.LBB1443_237:
	s_and_saveexec_b64 s[2:3], s[14:15]
	s_cbranch_execz .LBB1443_239
; %bb.238:
	s_waitcnt vmcnt(0) lgkmcnt(0)
	v_lshrrev_b32_e32 v14, 24, v16
	s_movk_i32 s4, 0xff
	v_lshlrev_b16_e32 v14, 8, v14
	v_and_b32_sdwa v15, v16, s4 dst_sel:DWORD dst_unused:UNUSED_PAD src0_sel:WORD_1 src1_sel:DWORD
	v_or_b32_sdwa v14, v15, v14 dst_sel:WORD_1 dst_unused:UNUSED_PAD src0_sel:DWORD src1_sel:DWORD
	v_mov_b32_e32 v15, 8
	v_cndmask_b32_e64 v12, 0, 1, s[36:37]
	v_lshrrev_b32_sdwa v15, v15, v16 dst_sel:BYTE_1 dst_unused:UNUSED_PAD src0_sel:DWORD src1_sel:DWORD
	v_or_b32_e32 v12, v12, v15
	s_mov_b32 s4, 0xffff
	v_or_b32_sdwa v12, v12, v14 dst_sel:DWORD dst_unused:UNUSED_PAD src0_sel:WORD_0 src1_sel:DWORD
	v_and_b32_sdwa v13, s4, v13 dst_sel:DWORD dst_unused:UNUSED_PAD src0_sel:DWORD src1_sel:BYTE_0
.LBB1443_239:
	s_or_b64 exec, exec, s[2:3]
	s_andn2_b64 vcc, exec, s[12:13]
	s_cbranch_vccnz .LBB1443_241
; %bb.240:
	v_cmp_gt_u32_e32 vcc, s48, v1
	v_cndmask_b32_e32 v1, 0, v12, vcc
	v_and_b32_e32 v1, 0xffff00ff, v1
	v_cmp_gt_u32_e64 s[2:3], s48, v24
	v_cndmask_b32_e64 v1, v1, v12, s[2:3]
	s_waitcnt vmcnt(0) lgkmcnt(0)
	v_lshrrev_b32_e32 v14, 24, v1
	s_mov_b32 s4, 0x40c0100
	v_perm_b32 v1, v14, v1, s4
	v_cmp_gt_u32_e64 s[4:5], s48, v22
	v_cmp_gt_u32_e64 s[6:7], s48, v25
	v_cndmask_b32_e64 v1, v1, v12, s[4:5]
	s_or_b64 s[4:5], s[6:7], s[4:5]
	s_or_b64 s[2:3], s[4:5], s[2:3]
	s_or_b64 vcc, s[2:3], vcc
	v_and_b32_e32 v1, 0xffffff, v1
	v_cndmask_b32_e32 v14, 0, v13, vcc
	v_cndmask_b32_e64 v1, v1, v12, s[6:7]
	v_and_b32_e32 v14, 0xffffff00, v14
	v_cmp_gt_u32_e32 vcc, s48, v23
	v_cndmask_b32_e32 v1, v1, v12, vcc
	v_cndmask_b32_e32 v12, v14, v13, vcc
	s_mov_b32 s2, 0x3020104
	v_and_b32_e32 v13, 0xff, v12
	v_perm_b32 v12, v1, v1, s2
.LBB1443_241:
	v_and_b32_e32 v1, 0xff, v12
	v_bfe_u32 v25, v12, 8, 8
	v_bfe_u32 v27, v12, 16, 8
	s_waitcnt vmcnt(0) lgkmcnt(0)
	v_alignbit_b32 v14, v13, v12, 24
	v_and_b32_e32 v28, 0xff, v14
	v_and_b32_e32 v14, 0xff, v13
	v_add3_u32 v15, v25, v1, v27
	v_add3_u32 v31, v15, v28, v14
	v_mbcnt_lo_u32_b32 v14, -1, 0
	v_mbcnt_hi_u32_b32 v29, -1, v14
	v_and_b32_e32 v14, 15, v29
	v_cmp_eq_u32_e64 s[14:15], 0, v14
	v_cmp_lt_u32_e64 s[12:13], 1, v14
	v_cmp_lt_u32_e64 s[10:11], 3, v14
	;; [unrolled: 1-line block ×3, first 2 shown]
	v_and_b32_e32 v14, 16, v29
	v_cmp_eq_u32_e64 s[6:7], 0, v14
	v_or_b32_e32 v14, 63, v0
	v_cmp_lt_u32_e64 s[2:3], 31, v29
	v_lshrrev_b32_e32 v30, 6, v0
	v_cmp_eq_u32_e64 s[4:5], v14, v0
	s_and_b64 vcc, exec, s[34:35]
	s_barrier
	s_cbranch_vccz .LBB1443_268
; %bb.242:
	v_mov_b32_dpp v14, v31 row_shr:1 row_mask:0xf bank_mask:0xf
	v_cndmask_b32_e64 v14, v14, 0, s[14:15]
	v_add_u32_e32 v14, v14, v31
	s_nop 1
	v_mov_b32_dpp v15, v14 row_shr:2 row_mask:0xf bank_mask:0xf
	v_cndmask_b32_e64 v15, 0, v15, s[12:13]
	v_add_u32_e32 v14, v14, v15
	s_nop 1
	;; [unrolled: 4-line block ×4, first 2 shown]
	v_mov_b32_dpp v15, v14 row_bcast:15 row_mask:0xf bank_mask:0xf
	v_cndmask_b32_e64 v15, v15, 0, s[6:7]
	v_add_u32_e32 v14, v14, v15
	s_nop 1
	v_mov_b32_dpp v15, v14 row_bcast:31 row_mask:0xf bank_mask:0xf
	v_cndmask_b32_e64 v15, 0, v15, s[2:3]
	v_add_u32_e32 v14, v14, v15
	s_and_saveexec_b64 s[16:17], s[4:5]
	s_cbranch_execz .LBB1443_244
; %bb.243:
	v_lshlrev_b32_e32 v15, 2, v30
	ds_write_b32 v15, v14
.LBB1443_244:
	s_or_b64 exec, exec, s[16:17]
	v_cmp_gt_u32_e32 vcc, 4, v0
	s_waitcnt lgkmcnt(0)
	s_barrier
	s_and_saveexec_b64 s[16:17], vcc
	s_cbranch_execz .LBB1443_246
; %bb.245:
	v_lshlrev_b32_e32 v15, 2, v0
	ds_read_b32 v16, v15
	v_and_b32_e32 v17, 3, v29
	v_cmp_ne_u32_e32 vcc, 0, v17
	s_waitcnt lgkmcnt(0)
	v_mov_b32_dpp v18, v16 row_shr:1 row_mask:0xf bank_mask:0xf
	v_cndmask_b32_e32 v18, 0, v18, vcc
	v_add_u32_e32 v16, v18, v16
	v_cmp_lt_u32_e32 vcc, 1, v17
	s_nop 0
	v_mov_b32_dpp v18, v16 row_shr:2 row_mask:0xf bank_mask:0xf
	v_cndmask_b32_e32 v17, 0, v18, vcc
	v_add_u32_e32 v16, v16, v17
	ds_write_b32 v15, v16
.LBB1443_246:
	s_or_b64 exec, exec, s[16:17]
	v_cmp_gt_u32_e32 vcc, 64, v0
	v_cmp_lt_u32_e64 s[16:17], 63, v0
	s_waitcnt lgkmcnt(0)
	s_barrier
	s_waitcnt lgkmcnt(0)
                                        ; implicit-def: $vgpr24
	s_and_saveexec_b64 s[26:27], s[16:17]
	s_cbranch_execz .LBB1443_248
; %bb.247:
	v_lshl_add_u32 v15, v30, 2, -4
	ds_read_b32 v24, v15
	s_waitcnt lgkmcnt(0)
	v_add_u32_e32 v14, v24, v14
.LBB1443_248:
	s_or_b64 exec, exec, s[26:27]
	v_add_u32_e32 v15, -1, v29
	v_and_b32_e32 v16, 64, v29
	v_cmp_lt_i32_e64 s[16:17], v15, v16
	v_cndmask_b32_e64 v15, v15, v29, s[16:17]
	v_lshlrev_b32_e32 v15, 2, v15
	ds_bpermute_b32 v26, v15, v14
	v_cmp_eq_u32_e64 s[16:17], 0, v29
	s_and_saveexec_b64 s[26:27], vcc
	s_cbranch_execz .LBB1443_267
; %bb.249:
	v_mov_b32_e32 v21, 0
	ds_read_b32 v14, v21 offset:12
	s_and_saveexec_b64 s[34:35], s[16:17]
	s_cbranch_execz .LBB1443_251
; %bb.250:
	s_add_i32 s36, s33, 64
	s_mov_b32 s37, 0
	s_lshl_b64 s[36:37], s[36:37], 3
	s_add_u32 s36, s18, s36
	v_mov_b32_e32 v15, 1
	s_addc_u32 s37, s19, s37
	s_waitcnt lgkmcnt(0)
	global_store_dwordx2 v21, v[14:15], s[36:37]
.LBB1443_251:
	s_or_b64 exec, exec, s[34:35]
	v_xad_u32 v16, v29, -1, s33
	v_add_u32_e32 v20, 64, v16
	v_lshlrev_b64 v[18:19], 3, v[20:21]
	v_mov_b32_e32 v15, s19
	v_add_co_u32_e32 v22, vcc, s18, v18
	v_addc_co_u32_e32 v23, vcc, v15, v19, vcc
	global_load_dwordx2 v[18:19], v[22:23], off glc
	s_waitcnt vmcnt(0)
	v_cmp_eq_u16_sdwa s[36:37], v19, v21 src0_sel:BYTE_0 src1_sel:DWORD
	s_and_saveexec_b64 s[34:35], s[36:37]
	s_cbranch_execz .LBB1443_255
; %bb.252:
	s_mov_b64 s[36:37], 0
	v_mov_b32_e32 v15, 0
.LBB1443_253:                           ; =>This Inner Loop Header: Depth=1
	global_load_dwordx2 v[18:19], v[22:23], off glc
	s_waitcnt vmcnt(0)
	v_cmp_ne_u16_sdwa s[38:39], v19, v15 src0_sel:BYTE_0 src1_sel:DWORD
	s_or_b64 s[36:37], s[38:39], s[36:37]
	s_andn2_b64 exec, exec, s[36:37]
	s_cbranch_execnz .LBB1443_253
; %bb.254:
	s_or_b64 exec, exec, s[36:37]
.LBB1443_255:
	s_or_b64 exec, exec, s[34:35]
	v_and_b32_e32 v32, 63, v29
	v_mov_b32_e32 v15, 2
	v_cmp_ne_u32_e32 vcc, 63, v32
	v_cmp_eq_u16_sdwa s[34:35], v19, v15 src0_sel:BYTE_0 src1_sel:DWORD
	v_lshlrev_b64 v[20:21], v29, -1
	v_addc_co_u32_e32 v23, vcc, 0, v29, vcc
	v_and_b32_e32 v17, s35, v21
	v_lshlrev_b32_e32 v33, 2, v23
	v_or_b32_e32 v17, 0x80000000, v17
	ds_bpermute_b32 v23, v33, v18
	v_and_b32_e32 v22, s34, v20
	v_ffbl_b32_e32 v17, v17
	v_add_u32_e32 v17, 32, v17
	v_ffbl_b32_e32 v22, v22
	v_min_u32_e32 v17, v22, v17
	v_cmp_lt_u32_e32 vcc, v32, v17
	s_waitcnt lgkmcnt(0)
	v_cndmask_b32_e32 v22, 0, v23, vcc
	v_cmp_gt_u32_e32 vcc, 62, v32
	v_add_u32_e32 v18, v22, v18
	v_cndmask_b32_e64 v22, 0, 1, vcc
	v_lshlrev_b32_e32 v22, 1, v22
	v_add_lshl_u32 v34, v22, v29, 2
	ds_bpermute_b32 v22, v34, v18
	v_add_u32_e32 v35, 2, v32
	v_cmp_le_u32_e32 vcc, v35, v17
	v_add_u32_e32 v37, 4, v32
	v_add_u32_e32 v39, 8, v32
	s_waitcnt lgkmcnt(0)
	v_cndmask_b32_e32 v22, 0, v22, vcc
	v_cmp_gt_u32_e32 vcc, 60, v32
	v_add_u32_e32 v18, v18, v22
	v_cndmask_b32_e64 v22, 0, 1, vcc
	v_lshlrev_b32_e32 v22, 2, v22
	v_add_lshl_u32 v36, v22, v29, 2
	ds_bpermute_b32 v22, v36, v18
	v_cmp_le_u32_e32 vcc, v37, v17
	v_add_u32_e32 v42, 16, v32
	v_add_u32_e32 v44, 32, v32
	s_waitcnt lgkmcnt(0)
	v_cndmask_b32_e32 v22, 0, v22, vcc
	v_cmp_gt_u32_e32 vcc, 56, v32
	v_add_u32_e32 v18, v18, v22
	v_cndmask_b32_e64 v22, 0, 1, vcc
	v_lshlrev_b32_e32 v22, 3, v22
	v_add_lshl_u32 v38, v22, v29, 2
	ds_bpermute_b32 v22, v38, v18
	v_cmp_le_u32_e32 vcc, v39, v17
	s_waitcnt lgkmcnt(0)
	v_cndmask_b32_e32 v22, 0, v22, vcc
	v_cmp_gt_u32_e32 vcc, 48, v32
	v_add_u32_e32 v18, v18, v22
	v_cndmask_b32_e64 v22, 0, 1, vcc
	v_lshlrev_b32_e32 v22, 4, v22
	v_add_lshl_u32 v41, v22, v29, 2
	ds_bpermute_b32 v22, v41, v18
	v_cmp_le_u32_e32 vcc, v42, v17
	;; [unrolled: 9-line block ×3, first 2 shown]
	s_waitcnt lgkmcnt(0)
	v_cndmask_b32_e32 v17, 0, v22, vcc
	v_add_u32_e32 v18, v18, v17
	v_mov_b32_e32 v17, 0
	s_branch .LBB1443_257
.LBB1443_256:                           ;   in Loop: Header=BB1443_257 Depth=1
	s_or_b64 exec, exec, s[34:35]
	v_cmp_eq_u16_sdwa s[34:35], v19, v15 src0_sel:BYTE_0 src1_sel:DWORD
	v_and_b32_e32 v22, s35, v21
	v_or_b32_e32 v22, 0x80000000, v22
	ds_bpermute_b32 v45, v33, v18
	v_and_b32_e32 v23, s34, v20
	v_ffbl_b32_e32 v22, v22
	v_add_u32_e32 v22, 32, v22
	v_ffbl_b32_e32 v23, v23
	v_min_u32_e32 v22, v23, v22
	v_cmp_lt_u32_e32 vcc, v32, v22
	s_waitcnt lgkmcnt(0)
	v_cndmask_b32_e32 v23, 0, v45, vcc
	v_add_u32_e32 v18, v23, v18
	ds_bpermute_b32 v23, v34, v18
	v_cmp_le_u32_e32 vcc, v35, v22
	v_subrev_u32_e32 v16, 64, v16
	s_waitcnt lgkmcnt(0)
	v_cndmask_b32_e32 v23, 0, v23, vcc
	v_add_u32_e32 v18, v18, v23
	ds_bpermute_b32 v23, v36, v18
	v_cmp_le_u32_e32 vcc, v37, v22
	s_waitcnt lgkmcnt(0)
	v_cndmask_b32_e32 v23, 0, v23, vcc
	v_add_u32_e32 v18, v18, v23
	ds_bpermute_b32 v23, v38, v18
	v_cmp_le_u32_e32 vcc, v39, v22
	;; [unrolled: 5-line block ×4, first 2 shown]
	s_waitcnt lgkmcnt(0)
	v_cndmask_b32_e32 v22, 0, v23, vcc
	v_add3_u32 v18, v22, v40, v18
.LBB1443_257:                           ; =>This Loop Header: Depth=1
                                        ;     Child Loop BB1443_260 Depth 2
	v_cmp_ne_u16_sdwa s[34:35], v19, v15 src0_sel:BYTE_0 src1_sel:DWORD
	v_cndmask_b32_e64 v19, 0, 1, s[34:35]
	;;#ASMSTART
	;;#ASMEND
	v_cmp_ne_u32_e32 vcc, 0, v19
	s_cmp_lg_u64 vcc, exec
	v_mov_b32_e32 v40, v18
	s_cbranch_scc1 .LBB1443_262
; %bb.258:                              ;   in Loop: Header=BB1443_257 Depth=1
	v_lshlrev_b64 v[18:19], 3, v[16:17]
	v_mov_b32_e32 v23, s19
	v_add_co_u32_e32 v22, vcc, s18, v18
	v_addc_co_u32_e32 v23, vcc, v23, v19, vcc
	global_load_dwordx2 v[18:19], v[22:23], off glc
	s_waitcnt vmcnt(0)
	v_cmp_eq_u16_sdwa s[36:37], v19, v17 src0_sel:BYTE_0 src1_sel:DWORD
	s_and_saveexec_b64 s[34:35], s[36:37]
	s_cbranch_execz .LBB1443_256
; %bb.259:                              ;   in Loop: Header=BB1443_257 Depth=1
	s_mov_b64 s[36:37], 0
.LBB1443_260:                           ;   Parent Loop BB1443_257 Depth=1
                                        ; =>  This Inner Loop Header: Depth=2
	global_load_dwordx2 v[18:19], v[22:23], off glc
	s_waitcnt vmcnt(0)
	v_cmp_ne_u16_sdwa s[38:39], v19, v17 src0_sel:BYTE_0 src1_sel:DWORD
	s_or_b64 s[36:37], s[38:39], s[36:37]
	s_andn2_b64 exec, exec, s[36:37]
	s_cbranch_execnz .LBB1443_260
; %bb.261:                              ;   in Loop: Header=BB1443_257 Depth=1
	s_or_b64 exec, exec, s[36:37]
	s_branch .LBB1443_256
.LBB1443_262:                           ;   in Loop: Header=BB1443_257 Depth=1
                                        ; implicit-def: $vgpr18
                                        ; implicit-def: $vgpr19
	s_cbranch_execz .LBB1443_257
; %bb.263:
	s_and_saveexec_b64 s[34:35], s[16:17]
	s_cbranch_execz .LBB1443_265
; %bb.264:
	s_add_i32 s36, s33, 64
	s_mov_b32 s37, 0
	s_lshl_b64 s[36:37], s[36:37], 3
	s_add_u32 s36, s18, s36
	v_add_u32_e32 v16, v40, v14
	v_mov_b32_e32 v17, 2
	s_addc_u32 s37, s19, s37
	v_mov_b32_e32 v15, 0
	s_movk_i32 s33, 0x2800
	global_store_dwordx2 v15, v[16:17], s[36:37]
	v_add_u32_e64 v15, s33, 0
	ds_write2_b32 v15, v14, v40 offset1:2
.LBB1443_265:
	s_or_b64 exec, exec, s[34:35]
	s_and_b64 exec, exec, s[0:1]
	s_cbranch_execz .LBB1443_267
; %bb.266:
	v_mov_b32_e32 v14, 0
	ds_write_b32 v14, v40 offset:12
.LBB1443_267:
	s_or_b64 exec, exec, s[26:27]
	v_mov_b32_e32 v14, 0
	s_waitcnt lgkmcnt(0)
	s_barrier
	ds_read_b32 v14, v14 offset:12
	v_cndmask_b32_e64 v15, v26, v24, s[16:17]
	v_cndmask_b32_e64 v15, v15, 0, s[0:1]
	s_movk_i32 s16, 0x2800
	s_waitcnt lgkmcnt(0)
	v_add_u32_e32 v26, v14, v15
	v_add_u32_e64 v14, s16, 0
	s_barrier
	ds_read2_b32 v[14:15], v14 offset1:2
	v_add_u32_e32 v24, v26, v1
	v_add_u32_e32 v22, v24, v25
	;; [unrolled: 1-line block ×4, first 2 shown]
	v_lshrrev_b64 v[16:17], 24, v[12:13]
	s_branch .LBB1443_278
.LBB1443_268:
                                        ; implicit-def: $vgpr18
                                        ; implicit-def: $vgpr20
                                        ; implicit-def: $vgpr22
                                        ; implicit-def: $vgpr24
                                        ; implicit-def: $vgpr26
                                        ; implicit-def: $vgpr15
	v_lshrrev_b64 v[16:17], 24, v[12:13]
	s_cbranch_execz .LBB1443_278
; %bb.269:
	s_waitcnt lgkmcnt(0)
	v_mov_b32_dpp v14, v31 row_shr:1 row_mask:0xf bank_mask:0xf
	v_cndmask_b32_e64 v14, v14, 0, s[14:15]
	v_add_u32_e32 v14, v14, v31
	s_nop 1
	v_mov_b32_dpp v15, v14 row_shr:2 row_mask:0xf bank_mask:0xf
	v_cndmask_b32_e64 v15, 0, v15, s[12:13]
	v_add_u32_e32 v14, v14, v15
	s_nop 1
	;; [unrolled: 4-line block ×4, first 2 shown]
	v_mov_b32_dpp v15, v14 row_bcast:15 row_mask:0xf bank_mask:0xf
	v_cndmask_b32_e64 v15, v15, 0, s[6:7]
	v_add_u32_e32 v14, v14, v15
	s_nop 1
	v_mov_b32_dpp v15, v14 row_bcast:31 row_mask:0xf bank_mask:0xf
	v_cndmask_b32_e64 v15, 0, v15, s[2:3]
	v_add_u32_e32 v14, v14, v15
	s_and_saveexec_b64 s[2:3], s[4:5]
	s_cbranch_execz .LBB1443_271
; %bb.270:
	v_lshlrev_b32_e32 v15, 2, v30
	ds_write_b32 v15, v14
.LBB1443_271:
	s_or_b64 exec, exec, s[2:3]
	v_cmp_gt_u32_e32 vcc, 4, v0
	s_waitcnt lgkmcnt(0)
	s_barrier
	s_and_saveexec_b64 s[2:3], vcc
	s_cbranch_execz .LBB1443_273
; %bb.272:
	v_lshlrev_b32_e32 v15, 2, v0
	ds_read_b32 v17, v15
	v_and_b32_e32 v18, 3, v29
	v_cmp_ne_u32_e32 vcc, 0, v18
	s_waitcnt lgkmcnt(0)
	v_mov_b32_dpp v19, v17 row_shr:1 row_mask:0xf bank_mask:0xf
	v_cndmask_b32_e32 v19, 0, v19, vcc
	v_add_u32_e32 v17, v19, v17
	v_cmp_lt_u32_e32 vcc, 1, v18
	s_nop 0
	v_mov_b32_dpp v19, v17 row_shr:2 row_mask:0xf bank_mask:0xf
	v_cndmask_b32_e32 v18, 0, v19, vcc
	v_add_u32_e32 v17, v17, v18
	ds_write_b32 v15, v17
.LBB1443_273:
	s_or_b64 exec, exec, s[2:3]
	v_cmp_lt_u32_e32 vcc, 63, v0
	v_mov_b32_e32 v15, 0
	v_mov_b32_e32 v17, 0
	s_waitcnt lgkmcnt(0)
	s_barrier
	s_and_saveexec_b64 s[2:3], vcc
	s_cbranch_execz .LBB1443_275
; %bb.274:
	v_lshl_add_u32 v17, v30, 2, -4
	ds_read_b32 v17, v17
.LBB1443_275:
	s_or_b64 exec, exec, s[2:3]
	v_add_u32_e32 v18, -1, v29
	v_and_b32_e32 v19, 64, v29
	v_cmp_lt_i32_e32 vcc, v18, v19
	v_cndmask_b32_e32 v18, v18, v29, vcc
	s_waitcnt lgkmcnt(0)
	v_add_u32_e32 v14, v17, v14
	v_lshlrev_b32_e32 v18, 2, v18
	ds_bpermute_b32 v18, v18, v14
	ds_read_b32 v14, v15 offset:12
	s_and_saveexec_b64 s[2:3], s[0:1]
	s_cbranch_execz .LBB1443_277
; %bb.276:
	v_mov_b32_e32 v19, 0
	v_mov_b32_e32 v15, 2
	s_waitcnt lgkmcnt(0)
	global_store_dwordx2 v19, v[14:15], s[18:19] offset:512
.LBB1443_277:
	s_or_b64 exec, exec, s[2:3]
	v_cmp_eq_u32_e32 vcc, 0, v29
	s_waitcnt lgkmcnt(1)
	v_cndmask_b32_e32 v17, v18, v17, vcc
	v_cndmask_b32_e64 v26, v17, 0, s[0:1]
	v_add_u32_e32 v24, v26, v1
	v_add_u32_e32 v22, v24, v25
	;; [unrolled: 1-line block ×3, first 2 shown]
	v_mov_b32_e32 v15, 0
	v_add_u32_e32 v18, v20, v28
	s_waitcnt lgkmcnt(0)
	s_barrier
.LBB1443_278:
	s_movk_i32 s2, 0x101
	s_waitcnt lgkmcnt(0)
	v_cmp_gt_u32_e32 vcc, s2, v14
	v_lshrrev_b32_e32 v1, 8, v12
	s_mov_b64 s[2:3], -1
	s_cbranch_vccnz .LBB1443_282
; %bb.279:
	s_and_b64 vcc, exec, s[2:3]
	s_cbranch_vccnz .LBB1443_298
.LBB1443_280:
	s_and_b64 s[0:1], s[0:1], s[24:25]
	s_and_saveexec_b64 s[2:3], s[0:1]
	s_cbranch_execnz .LBB1443_312
.LBB1443_281:
	s_endpgm
.LBB1443_282:
	v_add_u32_e32 v17, v15, v14
	v_cmp_lt_u32_e32 vcc, v26, v17
	s_or_b64 s[4:5], s[30:31], vcc
	s_and_saveexec_b64 s[2:3], s[4:5]
	s_cbranch_execz .LBB1443_285
; %bb.283:
	v_and_b32_e32 v19, 1, v12
	v_cmp_eq_u32_e32 vcc, 1, v19
	s_and_b64 exec, exec, vcc
	s_cbranch_execz .LBB1443_285
; %bb.284:
	s_lshl_b64 s[4:5], s[22:23], 3
	s_add_u32 s4, s28, s4
	v_mov_b32_e32 v27, 0
	s_addc_u32 s5, s29, s5
	v_lshlrev_b64 v[28:29], 3, v[26:27]
	v_mov_b32_e32 v19, s5
	v_add_co_u32_e32 v28, vcc, s4, v28
	v_addc_co_u32_e32 v29, vcc, v19, v29, vcc
	global_store_dwordx2 v[28:29], v[6:7], off
.LBB1443_285:
	s_or_b64 exec, exec, s[2:3]
	v_cmp_lt_u32_e32 vcc, v24, v17
	s_or_b64 s[4:5], s[30:31], vcc
	s_and_saveexec_b64 s[2:3], s[4:5]
	s_cbranch_execz .LBB1443_288
; %bb.286:
	v_and_b32_e32 v19, 1, v1
	v_cmp_eq_u32_e32 vcc, 1, v19
	s_and_b64 exec, exec, vcc
	s_cbranch_execz .LBB1443_288
; %bb.287:
	s_lshl_b64 s[4:5], s[22:23], 3
	s_add_u32 s4, s28, s4
	v_mov_b32_e32 v25, 0
	s_addc_u32 s5, s29, s5
	v_lshlrev_b64 v[28:29], 3, v[24:25]
	v_mov_b32_e32 v19, s5
	v_add_co_u32_e32 v28, vcc, s4, v28
	v_addc_co_u32_e32 v29, vcc, v19, v29, vcc
	global_store_dwordx2 v[28:29], v[8:9], off
.LBB1443_288:
	s_or_b64 exec, exec, s[2:3]
	v_cmp_lt_u32_e32 vcc, v22, v17
	s_or_b64 s[4:5], s[30:31], vcc
	s_and_saveexec_b64 s[2:3], s[4:5]
	s_cbranch_execz .LBB1443_291
; %bb.289:
	v_mov_b32_e32 v19, 1
	v_and_b32_sdwa v19, v19, v12 dst_sel:DWORD dst_unused:UNUSED_PAD src0_sel:DWORD src1_sel:WORD_1
	v_cmp_eq_u32_e32 vcc, 1, v19
	s_and_b64 exec, exec, vcc
	s_cbranch_execz .LBB1443_291
; %bb.290:
	s_lshl_b64 s[4:5], s[22:23], 3
	s_add_u32 s4, s28, s4
	v_mov_b32_e32 v23, 0
	s_addc_u32 s5, s29, s5
	v_lshlrev_b64 v[28:29], 3, v[22:23]
	v_mov_b32_e32 v19, s5
	v_add_co_u32_e32 v28, vcc, s4, v28
	v_addc_co_u32_e32 v29, vcc, v19, v29, vcc
	global_store_dwordx2 v[28:29], v[2:3], off
.LBB1443_291:
	s_or_b64 exec, exec, s[2:3]
	v_cmp_lt_u32_e32 vcc, v20, v17
	s_or_b64 s[4:5], s[30:31], vcc
	s_and_saveexec_b64 s[2:3], s[4:5]
	s_cbranch_execz .LBB1443_294
; %bb.292:
	v_and_b32_e32 v19, 1, v16
	v_cmp_eq_u32_e32 vcc, 1, v19
	s_and_b64 exec, exec, vcc
	s_cbranch_execz .LBB1443_294
; %bb.293:
	s_lshl_b64 s[4:5], s[22:23], 3
	s_add_u32 s4, s28, s4
	v_mov_b32_e32 v21, 0
	s_addc_u32 s5, s29, s5
	v_lshlrev_b64 v[28:29], 3, v[20:21]
	v_mov_b32_e32 v19, s5
	v_add_co_u32_e32 v28, vcc, s4, v28
	v_addc_co_u32_e32 v29, vcc, v19, v29, vcc
	global_store_dwordx2 v[28:29], v[4:5], off
.LBB1443_294:
	s_or_b64 exec, exec, s[2:3]
	v_cmp_lt_u32_e32 vcc, v18, v17
	s_or_b64 s[4:5], s[30:31], vcc
	s_and_saveexec_b64 s[2:3], s[4:5]
	s_cbranch_execz .LBB1443_297
; %bb.295:
	v_and_b32_e32 v17, 1, v13
	v_cmp_eq_u32_e32 vcc, 1, v17
	s_and_b64 exec, exec, vcc
	s_cbranch_execz .LBB1443_297
; %bb.296:
	s_lshl_b64 s[4:5], s[22:23], 3
	s_add_u32 s4, s28, s4
	v_mov_b32_e32 v19, 0
	s_addc_u32 s5, s29, s5
	v_lshlrev_b64 v[28:29], 3, v[18:19]
	v_mov_b32_e32 v17, s5
	v_add_co_u32_e32 v28, vcc, s4, v28
	v_addc_co_u32_e32 v29, vcc, v17, v29, vcc
	global_store_dwordx2 v[28:29], v[10:11], off
.LBB1443_297:
	s_or_b64 exec, exec, s[2:3]
	s_branch .LBB1443_280
.LBB1443_298:
	v_and_b32_e32 v17, 1, v12
	v_cmp_eq_u32_e32 vcc, 1, v17
	s_and_saveexec_b64 s[2:3], vcc
	s_cbranch_execz .LBB1443_300
; %bb.299:
	v_sub_u32_e32 v17, v26, v15
	v_lshlrev_b32_e32 v17, 3, v17
	ds_write_b64 v17, v[6:7]
.LBB1443_300:
	s_or_b64 exec, exec, s[2:3]
	v_and_b32_e32 v1, 1, v1
	v_cmp_eq_u32_e32 vcc, 1, v1
	s_and_saveexec_b64 s[2:3], vcc
	s_cbranch_execz .LBB1443_302
; %bb.301:
	v_sub_u32_e32 v1, v24, v15
	v_lshlrev_b32_e32 v1, 3, v1
	ds_write_b64 v1, v[8:9]
.LBB1443_302:
	s_or_b64 exec, exec, s[2:3]
	v_mov_b32_e32 v1, 1
	v_and_b32_sdwa v1, v1, v12 dst_sel:DWORD dst_unused:UNUSED_PAD src0_sel:DWORD src1_sel:WORD_1
	v_cmp_eq_u32_e32 vcc, 1, v1
	s_and_saveexec_b64 s[2:3], vcc
	s_cbranch_execz .LBB1443_304
; %bb.303:
	v_sub_u32_e32 v1, v22, v15
	v_lshlrev_b32_e32 v1, 3, v1
	ds_write_b64 v1, v[2:3]
.LBB1443_304:
	s_or_b64 exec, exec, s[2:3]
	v_and_b32_e32 v1, 1, v16
	v_cmp_eq_u32_e32 vcc, 1, v1
	s_and_saveexec_b64 s[2:3], vcc
	s_cbranch_execz .LBB1443_306
; %bb.305:
	v_sub_u32_e32 v1, v20, v15
	v_lshlrev_b32_e32 v1, 3, v1
	ds_write_b64 v1, v[4:5]
.LBB1443_306:
	s_or_b64 exec, exec, s[2:3]
	v_and_b32_e32 v1, 1, v13
	v_cmp_eq_u32_e32 vcc, 1, v1
	s_and_saveexec_b64 s[2:3], vcc
	s_cbranch_execz .LBB1443_308
; %bb.307:
	v_sub_u32_e32 v1, v18, v15
	v_lshlrev_b32_e32 v1, 3, v1
	ds_write_b64 v1, v[10:11]
.LBB1443_308:
	s_or_b64 exec, exec, s[2:3]
	v_cmp_lt_u32_e32 vcc, v0, v14
	s_waitcnt lgkmcnt(0)
	s_barrier
	s_and_saveexec_b64 s[2:3], vcc
	s_cbranch_execz .LBB1443_311
; %bb.309:
	v_mov_b32_e32 v1, 0
	v_mov_b32_e32 v2, v15
	;; [unrolled: 1-line block ×3, first 2 shown]
	v_lshlrev_b64 v[2:3], 3, v[2:3]
	v_mov_b32_e32 v4, s29
	v_add_co_u32_e32 v2, vcc, s28, v2
	v_addc_co_u32_e32 v3, vcc, v4, v3, vcc
	s_lshl_b64 s[4:5], s[22:23], 3
	v_mov_b32_e32 v4, s5
	v_add_co_u32_e32 v2, vcc, s4, v2
	v_addc_co_u32_e32 v3, vcc, v3, v4, vcc
	v_lshlrev_b32_e32 v4, 3, v0
	s_mov_b64 s[4:5], 0
.LBB1443_310:                           ; =>This Inner Loop Header: Depth=1
	ds_read_b64 v[6:7], v4
	v_lshlrev_b64 v[8:9], 3, v[0:1]
	v_add_co_u32_e32 v8, vcc, v2, v8
	v_add_u32_e32 v0, 0x100, v0
	v_addc_co_u32_e32 v9, vcc, v3, v9, vcc
	v_cmp_ge_u32_e32 vcc, v0, v14
	v_add_u32_e32 v4, 0x800, v4
	s_or_b64 s[4:5], vcc, s[4:5]
	s_waitcnt lgkmcnt(0)
	global_store_dwordx2 v[8:9], v[6:7], off
	s_andn2_b64 exec, exec, s[4:5]
	s_cbranch_execnz .LBB1443_310
.LBB1443_311:
	s_or_b64 exec, exec, s[2:3]
	s_and_b64 s[0:1], s[0:1], s[24:25]
	s_and_saveexec_b64 s[2:3], s[0:1]
	s_cbranch_execz .LBB1443_281
.LBB1443_312:
	v_mov_b32_e32 v0, s23
	v_add_co_u32_e32 v1, vcc, s22, v14
	v_addc_co_u32_e32 v3, vcc, 0, v0, vcc
	v_add_co_u32_e32 v0, vcc, v1, v15
	v_mov_b32_e32 v2, 0
	v_addc_co_u32_e32 v1, vcc, 0, v3, vcc
	global_store_dwordx2 v2, v[0:1], s[20:21]
	s_endpgm
	.section	.rodata,"a",@progbits
	.p2align	6, 0x0
	.amdhsa_kernel _ZN7rocprim17ROCPRIM_400000_NS6detail17trampoline_kernelINS0_14default_configENS1_25partition_config_selectorILNS1_17partition_subalgoE8ElNS0_10empty_typeEbEEZZNS1_14partition_implILS5_8ELb0ES3_jPlPS6_PKS6_NS0_5tupleIJS9_S6_EEENSD_IJSA_SA_EEENS0_18inequality_wrapperIZN2at6native12_GLOBAL__N_124unique_dim_cuda_templateItEESt5tupleIJNSH_6TensorESM_SM_EERKSM_lbbbEUlllE0_EEPmJS6_EEE10hipError_tPvRmT3_T4_T5_T6_T7_T9_mT8_P12ihipStream_tbDpT10_ENKUlT_T0_E_clISt17integral_constantIbLb0EES1B_IbLb1EEEEDaS17_S18_EUlS17_E_NS1_11comp_targetILNS1_3genE4ELNS1_11target_archE910ELNS1_3gpuE8ELNS1_3repE0EEENS1_30default_config_static_selectorELNS0_4arch9wavefront6targetE1EEEvT1_
		.amdhsa_group_segment_fixed_size 10252
		.amdhsa_private_segment_fixed_size 0
		.amdhsa_kernarg_size 136
		.amdhsa_user_sgpr_count 6
		.amdhsa_user_sgpr_private_segment_buffer 1
		.amdhsa_user_sgpr_dispatch_ptr 0
		.amdhsa_user_sgpr_queue_ptr 0
		.amdhsa_user_sgpr_kernarg_segment_ptr 1
		.amdhsa_user_sgpr_dispatch_id 0
		.amdhsa_user_sgpr_flat_scratch_init 0
		.amdhsa_user_sgpr_kernarg_preload_length 0
		.amdhsa_user_sgpr_kernarg_preload_offset 0
		.amdhsa_user_sgpr_private_segment_size 0
		.amdhsa_uses_dynamic_stack 0
		.amdhsa_system_sgpr_private_segment_wavefront_offset 0
		.amdhsa_system_sgpr_workgroup_id_x 1
		.amdhsa_system_sgpr_workgroup_id_y 0
		.amdhsa_system_sgpr_workgroup_id_z 0
		.amdhsa_system_sgpr_workgroup_info 0
		.amdhsa_system_vgpr_workitem_id 0
		.amdhsa_next_free_vgpr 46
		.amdhsa_next_free_sgpr 52
		.amdhsa_accum_offset 48
		.amdhsa_reserve_vcc 1
		.amdhsa_reserve_flat_scratch 0
		.amdhsa_float_round_mode_32 0
		.amdhsa_float_round_mode_16_64 0
		.amdhsa_float_denorm_mode_32 3
		.amdhsa_float_denorm_mode_16_64 3
		.amdhsa_dx10_clamp 1
		.amdhsa_ieee_mode 1
		.amdhsa_fp16_overflow 0
		.amdhsa_tg_split 0
		.amdhsa_exception_fp_ieee_invalid_op 0
		.amdhsa_exception_fp_denorm_src 0
		.amdhsa_exception_fp_ieee_div_zero 0
		.amdhsa_exception_fp_ieee_overflow 0
		.amdhsa_exception_fp_ieee_underflow 0
		.amdhsa_exception_fp_ieee_inexact 0
		.amdhsa_exception_int_div_zero 0
	.end_amdhsa_kernel
	.section	.text._ZN7rocprim17ROCPRIM_400000_NS6detail17trampoline_kernelINS0_14default_configENS1_25partition_config_selectorILNS1_17partition_subalgoE8ElNS0_10empty_typeEbEEZZNS1_14partition_implILS5_8ELb0ES3_jPlPS6_PKS6_NS0_5tupleIJS9_S6_EEENSD_IJSA_SA_EEENS0_18inequality_wrapperIZN2at6native12_GLOBAL__N_124unique_dim_cuda_templateItEESt5tupleIJNSH_6TensorESM_SM_EERKSM_lbbbEUlllE0_EEPmJS6_EEE10hipError_tPvRmT3_T4_T5_T6_T7_T9_mT8_P12ihipStream_tbDpT10_ENKUlT_T0_E_clISt17integral_constantIbLb0EES1B_IbLb1EEEEDaS17_S18_EUlS17_E_NS1_11comp_targetILNS1_3genE4ELNS1_11target_archE910ELNS1_3gpuE8ELNS1_3repE0EEENS1_30default_config_static_selectorELNS0_4arch9wavefront6targetE1EEEvT1_,"axG",@progbits,_ZN7rocprim17ROCPRIM_400000_NS6detail17trampoline_kernelINS0_14default_configENS1_25partition_config_selectorILNS1_17partition_subalgoE8ElNS0_10empty_typeEbEEZZNS1_14partition_implILS5_8ELb0ES3_jPlPS6_PKS6_NS0_5tupleIJS9_S6_EEENSD_IJSA_SA_EEENS0_18inequality_wrapperIZN2at6native12_GLOBAL__N_124unique_dim_cuda_templateItEESt5tupleIJNSH_6TensorESM_SM_EERKSM_lbbbEUlllE0_EEPmJS6_EEE10hipError_tPvRmT3_T4_T5_T6_T7_T9_mT8_P12ihipStream_tbDpT10_ENKUlT_T0_E_clISt17integral_constantIbLb0EES1B_IbLb1EEEEDaS17_S18_EUlS17_E_NS1_11comp_targetILNS1_3genE4ELNS1_11target_archE910ELNS1_3gpuE8ELNS1_3repE0EEENS1_30default_config_static_selectorELNS0_4arch9wavefront6targetE1EEEvT1_,comdat
.Lfunc_end1443:
	.size	_ZN7rocprim17ROCPRIM_400000_NS6detail17trampoline_kernelINS0_14default_configENS1_25partition_config_selectorILNS1_17partition_subalgoE8ElNS0_10empty_typeEbEEZZNS1_14partition_implILS5_8ELb0ES3_jPlPS6_PKS6_NS0_5tupleIJS9_S6_EEENSD_IJSA_SA_EEENS0_18inequality_wrapperIZN2at6native12_GLOBAL__N_124unique_dim_cuda_templateItEESt5tupleIJNSH_6TensorESM_SM_EERKSM_lbbbEUlllE0_EEPmJS6_EEE10hipError_tPvRmT3_T4_T5_T6_T7_T9_mT8_P12ihipStream_tbDpT10_ENKUlT_T0_E_clISt17integral_constantIbLb0EES1B_IbLb1EEEEDaS17_S18_EUlS17_E_NS1_11comp_targetILNS1_3genE4ELNS1_11target_archE910ELNS1_3gpuE8ELNS1_3repE0EEENS1_30default_config_static_selectorELNS0_4arch9wavefront6targetE1EEEvT1_, .Lfunc_end1443-_ZN7rocprim17ROCPRIM_400000_NS6detail17trampoline_kernelINS0_14default_configENS1_25partition_config_selectorILNS1_17partition_subalgoE8ElNS0_10empty_typeEbEEZZNS1_14partition_implILS5_8ELb0ES3_jPlPS6_PKS6_NS0_5tupleIJS9_S6_EEENSD_IJSA_SA_EEENS0_18inequality_wrapperIZN2at6native12_GLOBAL__N_124unique_dim_cuda_templateItEESt5tupleIJNSH_6TensorESM_SM_EERKSM_lbbbEUlllE0_EEPmJS6_EEE10hipError_tPvRmT3_T4_T5_T6_T7_T9_mT8_P12ihipStream_tbDpT10_ENKUlT_T0_E_clISt17integral_constantIbLb0EES1B_IbLb1EEEEDaS17_S18_EUlS17_E_NS1_11comp_targetILNS1_3genE4ELNS1_11target_archE910ELNS1_3gpuE8ELNS1_3repE0EEENS1_30default_config_static_selectorELNS0_4arch9wavefront6targetE1EEEvT1_
                                        ; -- End function
	.section	.AMDGPU.csdata,"",@progbits
; Kernel info:
; codeLenInByte = 11572
; NumSgprs: 56
; NumVgprs: 46
; NumAgprs: 0
; TotalNumVgprs: 46
; ScratchSize: 0
; MemoryBound: 0
; FloatMode: 240
; IeeeMode: 1
; LDSByteSize: 10252 bytes/workgroup (compile time only)
; SGPRBlocks: 6
; VGPRBlocks: 5
; NumSGPRsForWavesPerEU: 56
; NumVGPRsForWavesPerEU: 46
; AccumOffset: 48
; Occupancy: 6
; WaveLimiterHint : 1
; COMPUTE_PGM_RSRC2:SCRATCH_EN: 0
; COMPUTE_PGM_RSRC2:USER_SGPR: 6
; COMPUTE_PGM_RSRC2:TRAP_HANDLER: 0
; COMPUTE_PGM_RSRC2:TGID_X_EN: 1
; COMPUTE_PGM_RSRC2:TGID_Y_EN: 0
; COMPUTE_PGM_RSRC2:TGID_Z_EN: 0
; COMPUTE_PGM_RSRC2:TIDIG_COMP_CNT: 0
; COMPUTE_PGM_RSRC3_GFX90A:ACCUM_OFFSET: 11
; COMPUTE_PGM_RSRC3_GFX90A:TG_SPLIT: 0
	.section	.text._ZN7rocprim17ROCPRIM_400000_NS6detail17trampoline_kernelINS0_14default_configENS1_25partition_config_selectorILNS1_17partition_subalgoE8ElNS0_10empty_typeEbEEZZNS1_14partition_implILS5_8ELb0ES3_jPlPS6_PKS6_NS0_5tupleIJS9_S6_EEENSD_IJSA_SA_EEENS0_18inequality_wrapperIZN2at6native12_GLOBAL__N_124unique_dim_cuda_templateItEESt5tupleIJNSH_6TensorESM_SM_EERKSM_lbbbEUlllE0_EEPmJS6_EEE10hipError_tPvRmT3_T4_T5_T6_T7_T9_mT8_P12ihipStream_tbDpT10_ENKUlT_T0_E_clISt17integral_constantIbLb0EES1B_IbLb1EEEEDaS17_S18_EUlS17_E_NS1_11comp_targetILNS1_3genE3ELNS1_11target_archE908ELNS1_3gpuE7ELNS1_3repE0EEENS1_30default_config_static_selectorELNS0_4arch9wavefront6targetE1EEEvT1_,"axG",@progbits,_ZN7rocprim17ROCPRIM_400000_NS6detail17trampoline_kernelINS0_14default_configENS1_25partition_config_selectorILNS1_17partition_subalgoE8ElNS0_10empty_typeEbEEZZNS1_14partition_implILS5_8ELb0ES3_jPlPS6_PKS6_NS0_5tupleIJS9_S6_EEENSD_IJSA_SA_EEENS0_18inequality_wrapperIZN2at6native12_GLOBAL__N_124unique_dim_cuda_templateItEESt5tupleIJNSH_6TensorESM_SM_EERKSM_lbbbEUlllE0_EEPmJS6_EEE10hipError_tPvRmT3_T4_T5_T6_T7_T9_mT8_P12ihipStream_tbDpT10_ENKUlT_T0_E_clISt17integral_constantIbLb0EES1B_IbLb1EEEEDaS17_S18_EUlS17_E_NS1_11comp_targetILNS1_3genE3ELNS1_11target_archE908ELNS1_3gpuE7ELNS1_3repE0EEENS1_30default_config_static_selectorELNS0_4arch9wavefront6targetE1EEEvT1_,comdat
	.globl	_ZN7rocprim17ROCPRIM_400000_NS6detail17trampoline_kernelINS0_14default_configENS1_25partition_config_selectorILNS1_17partition_subalgoE8ElNS0_10empty_typeEbEEZZNS1_14partition_implILS5_8ELb0ES3_jPlPS6_PKS6_NS0_5tupleIJS9_S6_EEENSD_IJSA_SA_EEENS0_18inequality_wrapperIZN2at6native12_GLOBAL__N_124unique_dim_cuda_templateItEESt5tupleIJNSH_6TensorESM_SM_EERKSM_lbbbEUlllE0_EEPmJS6_EEE10hipError_tPvRmT3_T4_T5_T6_T7_T9_mT8_P12ihipStream_tbDpT10_ENKUlT_T0_E_clISt17integral_constantIbLb0EES1B_IbLb1EEEEDaS17_S18_EUlS17_E_NS1_11comp_targetILNS1_3genE3ELNS1_11target_archE908ELNS1_3gpuE7ELNS1_3repE0EEENS1_30default_config_static_selectorELNS0_4arch9wavefront6targetE1EEEvT1_ ; -- Begin function _ZN7rocprim17ROCPRIM_400000_NS6detail17trampoline_kernelINS0_14default_configENS1_25partition_config_selectorILNS1_17partition_subalgoE8ElNS0_10empty_typeEbEEZZNS1_14partition_implILS5_8ELb0ES3_jPlPS6_PKS6_NS0_5tupleIJS9_S6_EEENSD_IJSA_SA_EEENS0_18inequality_wrapperIZN2at6native12_GLOBAL__N_124unique_dim_cuda_templateItEESt5tupleIJNSH_6TensorESM_SM_EERKSM_lbbbEUlllE0_EEPmJS6_EEE10hipError_tPvRmT3_T4_T5_T6_T7_T9_mT8_P12ihipStream_tbDpT10_ENKUlT_T0_E_clISt17integral_constantIbLb0EES1B_IbLb1EEEEDaS17_S18_EUlS17_E_NS1_11comp_targetILNS1_3genE3ELNS1_11target_archE908ELNS1_3gpuE7ELNS1_3repE0EEENS1_30default_config_static_selectorELNS0_4arch9wavefront6targetE1EEEvT1_
	.p2align	8
	.type	_ZN7rocprim17ROCPRIM_400000_NS6detail17trampoline_kernelINS0_14default_configENS1_25partition_config_selectorILNS1_17partition_subalgoE8ElNS0_10empty_typeEbEEZZNS1_14partition_implILS5_8ELb0ES3_jPlPS6_PKS6_NS0_5tupleIJS9_S6_EEENSD_IJSA_SA_EEENS0_18inequality_wrapperIZN2at6native12_GLOBAL__N_124unique_dim_cuda_templateItEESt5tupleIJNSH_6TensorESM_SM_EERKSM_lbbbEUlllE0_EEPmJS6_EEE10hipError_tPvRmT3_T4_T5_T6_T7_T9_mT8_P12ihipStream_tbDpT10_ENKUlT_T0_E_clISt17integral_constantIbLb0EES1B_IbLb1EEEEDaS17_S18_EUlS17_E_NS1_11comp_targetILNS1_3genE3ELNS1_11target_archE908ELNS1_3gpuE7ELNS1_3repE0EEENS1_30default_config_static_selectorELNS0_4arch9wavefront6targetE1EEEvT1_,@function
_ZN7rocprim17ROCPRIM_400000_NS6detail17trampoline_kernelINS0_14default_configENS1_25partition_config_selectorILNS1_17partition_subalgoE8ElNS0_10empty_typeEbEEZZNS1_14partition_implILS5_8ELb0ES3_jPlPS6_PKS6_NS0_5tupleIJS9_S6_EEENSD_IJSA_SA_EEENS0_18inequality_wrapperIZN2at6native12_GLOBAL__N_124unique_dim_cuda_templateItEESt5tupleIJNSH_6TensorESM_SM_EERKSM_lbbbEUlllE0_EEPmJS6_EEE10hipError_tPvRmT3_T4_T5_T6_T7_T9_mT8_P12ihipStream_tbDpT10_ENKUlT_T0_E_clISt17integral_constantIbLb0EES1B_IbLb1EEEEDaS17_S18_EUlS17_E_NS1_11comp_targetILNS1_3genE3ELNS1_11target_archE908ELNS1_3gpuE7ELNS1_3repE0EEENS1_30default_config_static_selectorELNS0_4arch9wavefront6targetE1EEEvT1_: ; @_ZN7rocprim17ROCPRIM_400000_NS6detail17trampoline_kernelINS0_14default_configENS1_25partition_config_selectorILNS1_17partition_subalgoE8ElNS0_10empty_typeEbEEZZNS1_14partition_implILS5_8ELb0ES3_jPlPS6_PKS6_NS0_5tupleIJS9_S6_EEENSD_IJSA_SA_EEENS0_18inequality_wrapperIZN2at6native12_GLOBAL__N_124unique_dim_cuda_templateItEESt5tupleIJNSH_6TensorESM_SM_EERKSM_lbbbEUlllE0_EEPmJS6_EEE10hipError_tPvRmT3_T4_T5_T6_T7_T9_mT8_P12ihipStream_tbDpT10_ENKUlT_T0_E_clISt17integral_constantIbLb0EES1B_IbLb1EEEEDaS17_S18_EUlS17_E_NS1_11comp_targetILNS1_3genE3ELNS1_11target_archE908ELNS1_3gpuE7ELNS1_3repE0EEENS1_30default_config_static_selectorELNS0_4arch9wavefront6targetE1EEEvT1_
; %bb.0:
	.section	.rodata,"a",@progbits
	.p2align	6, 0x0
	.amdhsa_kernel _ZN7rocprim17ROCPRIM_400000_NS6detail17trampoline_kernelINS0_14default_configENS1_25partition_config_selectorILNS1_17partition_subalgoE8ElNS0_10empty_typeEbEEZZNS1_14partition_implILS5_8ELb0ES3_jPlPS6_PKS6_NS0_5tupleIJS9_S6_EEENSD_IJSA_SA_EEENS0_18inequality_wrapperIZN2at6native12_GLOBAL__N_124unique_dim_cuda_templateItEESt5tupleIJNSH_6TensorESM_SM_EERKSM_lbbbEUlllE0_EEPmJS6_EEE10hipError_tPvRmT3_T4_T5_T6_T7_T9_mT8_P12ihipStream_tbDpT10_ENKUlT_T0_E_clISt17integral_constantIbLb0EES1B_IbLb1EEEEDaS17_S18_EUlS17_E_NS1_11comp_targetILNS1_3genE3ELNS1_11target_archE908ELNS1_3gpuE7ELNS1_3repE0EEENS1_30default_config_static_selectorELNS0_4arch9wavefront6targetE1EEEvT1_
		.amdhsa_group_segment_fixed_size 0
		.amdhsa_private_segment_fixed_size 0
		.amdhsa_kernarg_size 136
		.amdhsa_user_sgpr_count 6
		.amdhsa_user_sgpr_private_segment_buffer 1
		.amdhsa_user_sgpr_dispatch_ptr 0
		.amdhsa_user_sgpr_queue_ptr 0
		.amdhsa_user_sgpr_kernarg_segment_ptr 1
		.amdhsa_user_sgpr_dispatch_id 0
		.amdhsa_user_sgpr_flat_scratch_init 0
		.amdhsa_user_sgpr_kernarg_preload_length 0
		.amdhsa_user_sgpr_kernarg_preload_offset 0
		.amdhsa_user_sgpr_private_segment_size 0
		.amdhsa_uses_dynamic_stack 0
		.amdhsa_system_sgpr_private_segment_wavefront_offset 0
		.amdhsa_system_sgpr_workgroup_id_x 1
		.amdhsa_system_sgpr_workgroup_id_y 0
		.amdhsa_system_sgpr_workgroup_id_z 0
		.amdhsa_system_sgpr_workgroup_info 0
		.amdhsa_system_vgpr_workitem_id 0
		.amdhsa_next_free_vgpr 1
		.amdhsa_next_free_sgpr 0
		.amdhsa_accum_offset 4
		.amdhsa_reserve_vcc 0
		.amdhsa_reserve_flat_scratch 0
		.amdhsa_float_round_mode_32 0
		.amdhsa_float_round_mode_16_64 0
		.amdhsa_float_denorm_mode_32 3
		.amdhsa_float_denorm_mode_16_64 3
		.amdhsa_dx10_clamp 1
		.amdhsa_ieee_mode 1
		.amdhsa_fp16_overflow 0
		.amdhsa_tg_split 0
		.amdhsa_exception_fp_ieee_invalid_op 0
		.amdhsa_exception_fp_denorm_src 0
		.amdhsa_exception_fp_ieee_div_zero 0
		.amdhsa_exception_fp_ieee_overflow 0
		.amdhsa_exception_fp_ieee_underflow 0
		.amdhsa_exception_fp_ieee_inexact 0
		.amdhsa_exception_int_div_zero 0
	.end_amdhsa_kernel
	.section	.text._ZN7rocprim17ROCPRIM_400000_NS6detail17trampoline_kernelINS0_14default_configENS1_25partition_config_selectorILNS1_17partition_subalgoE8ElNS0_10empty_typeEbEEZZNS1_14partition_implILS5_8ELb0ES3_jPlPS6_PKS6_NS0_5tupleIJS9_S6_EEENSD_IJSA_SA_EEENS0_18inequality_wrapperIZN2at6native12_GLOBAL__N_124unique_dim_cuda_templateItEESt5tupleIJNSH_6TensorESM_SM_EERKSM_lbbbEUlllE0_EEPmJS6_EEE10hipError_tPvRmT3_T4_T5_T6_T7_T9_mT8_P12ihipStream_tbDpT10_ENKUlT_T0_E_clISt17integral_constantIbLb0EES1B_IbLb1EEEEDaS17_S18_EUlS17_E_NS1_11comp_targetILNS1_3genE3ELNS1_11target_archE908ELNS1_3gpuE7ELNS1_3repE0EEENS1_30default_config_static_selectorELNS0_4arch9wavefront6targetE1EEEvT1_,"axG",@progbits,_ZN7rocprim17ROCPRIM_400000_NS6detail17trampoline_kernelINS0_14default_configENS1_25partition_config_selectorILNS1_17partition_subalgoE8ElNS0_10empty_typeEbEEZZNS1_14partition_implILS5_8ELb0ES3_jPlPS6_PKS6_NS0_5tupleIJS9_S6_EEENSD_IJSA_SA_EEENS0_18inequality_wrapperIZN2at6native12_GLOBAL__N_124unique_dim_cuda_templateItEESt5tupleIJNSH_6TensorESM_SM_EERKSM_lbbbEUlllE0_EEPmJS6_EEE10hipError_tPvRmT3_T4_T5_T6_T7_T9_mT8_P12ihipStream_tbDpT10_ENKUlT_T0_E_clISt17integral_constantIbLb0EES1B_IbLb1EEEEDaS17_S18_EUlS17_E_NS1_11comp_targetILNS1_3genE3ELNS1_11target_archE908ELNS1_3gpuE7ELNS1_3repE0EEENS1_30default_config_static_selectorELNS0_4arch9wavefront6targetE1EEEvT1_,comdat
.Lfunc_end1444:
	.size	_ZN7rocprim17ROCPRIM_400000_NS6detail17trampoline_kernelINS0_14default_configENS1_25partition_config_selectorILNS1_17partition_subalgoE8ElNS0_10empty_typeEbEEZZNS1_14partition_implILS5_8ELb0ES3_jPlPS6_PKS6_NS0_5tupleIJS9_S6_EEENSD_IJSA_SA_EEENS0_18inequality_wrapperIZN2at6native12_GLOBAL__N_124unique_dim_cuda_templateItEESt5tupleIJNSH_6TensorESM_SM_EERKSM_lbbbEUlllE0_EEPmJS6_EEE10hipError_tPvRmT3_T4_T5_T6_T7_T9_mT8_P12ihipStream_tbDpT10_ENKUlT_T0_E_clISt17integral_constantIbLb0EES1B_IbLb1EEEEDaS17_S18_EUlS17_E_NS1_11comp_targetILNS1_3genE3ELNS1_11target_archE908ELNS1_3gpuE7ELNS1_3repE0EEENS1_30default_config_static_selectorELNS0_4arch9wavefront6targetE1EEEvT1_, .Lfunc_end1444-_ZN7rocprim17ROCPRIM_400000_NS6detail17trampoline_kernelINS0_14default_configENS1_25partition_config_selectorILNS1_17partition_subalgoE8ElNS0_10empty_typeEbEEZZNS1_14partition_implILS5_8ELb0ES3_jPlPS6_PKS6_NS0_5tupleIJS9_S6_EEENSD_IJSA_SA_EEENS0_18inequality_wrapperIZN2at6native12_GLOBAL__N_124unique_dim_cuda_templateItEESt5tupleIJNSH_6TensorESM_SM_EERKSM_lbbbEUlllE0_EEPmJS6_EEE10hipError_tPvRmT3_T4_T5_T6_T7_T9_mT8_P12ihipStream_tbDpT10_ENKUlT_T0_E_clISt17integral_constantIbLb0EES1B_IbLb1EEEEDaS17_S18_EUlS17_E_NS1_11comp_targetILNS1_3genE3ELNS1_11target_archE908ELNS1_3gpuE7ELNS1_3repE0EEENS1_30default_config_static_selectorELNS0_4arch9wavefront6targetE1EEEvT1_
                                        ; -- End function
	.section	.AMDGPU.csdata,"",@progbits
; Kernel info:
; codeLenInByte = 0
; NumSgprs: 4
; NumVgprs: 0
; NumAgprs: 0
; TotalNumVgprs: 0
; ScratchSize: 0
; MemoryBound: 0
; FloatMode: 240
; IeeeMode: 1
; LDSByteSize: 0 bytes/workgroup (compile time only)
; SGPRBlocks: 0
; VGPRBlocks: 0
; NumSGPRsForWavesPerEU: 4
; NumVGPRsForWavesPerEU: 1
; AccumOffset: 4
; Occupancy: 8
; WaveLimiterHint : 0
; COMPUTE_PGM_RSRC2:SCRATCH_EN: 0
; COMPUTE_PGM_RSRC2:USER_SGPR: 6
; COMPUTE_PGM_RSRC2:TRAP_HANDLER: 0
; COMPUTE_PGM_RSRC2:TGID_X_EN: 1
; COMPUTE_PGM_RSRC2:TGID_Y_EN: 0
; COMPUTE_PGM_RSRC2:TGID_Z_EN: 0
; COMPUTE_PGM_RSRC2:TIDIG_COMP_CNT: 0
; COMPUTE_PGM_RSRC3_GFX90A:ACCUM_OFFSET: 0
; COMPUTE_PGM_RSRC3_GFX90A:TG_SPLIT: 0
	.section	.text._ZN7rocprim17ROCPRIM_400000_NS6detail17trampoline_kernelINS0_14default_configENS1_25partition_config_selectorILNS1_17partition_subalgoE8ElNS0_10empty_typeEbEEZZNS1_14partition_implILS5_8ELb0ES3_jPlPS6_PKS6_NS0_5tupleIJS9_S6_EEENSD_IJSA_SA_EEENS0_18inequality_wrapperIZN2at6native12_GLOBAL__N_124unique_dim_cuda_templateItEESt5tupleIJNSH_6TensorESM_SM_EERKSM_lbbbEUlllE0_EEPmJS6_EEE10hipError_tPvRmT3_T4_T5_T6_T7_T9_mT8_P12ihipStream_tbDpT10_ENKUlT_T0_E_clISt17integral_constantIbLb0EES1B_IbLb1EEEEDaS17_S18_EUlS17_E_NS1_11comp_targetILNS1_3genE2ELNS1_11target_archE906ELNS1_3gpuE6ELNS1_3repE0EEENS1_30default_config_static_selectorELNS0_4arch9wavefront6targetE1EEEvT1_,"axG",@progbits,_ZN7rocprim17ROCPRIM_400000_NS6detail17trampoline_kernelINS0_14default_configENS1_25partition_config_selectorILNS1_17partition_subalgoE8ElNS0_10empty_typeEbEEZZNS1_14partition_implILS5_8ELb0ES3_jPlPS6_PKS6_NS0_5tupleIJS9_S6_EEENSD_IJSA_SA_EEENS0_18inequality_wrapperIZN2at6native12_GLOBAL__N_124unique_dim_cuda_templateItEESt5tupleIJNSH_6TensorESM_SM_EERKSM_lbbbEUlllE0_EEPmJS6_EEE10hipError_tPvRmT3_T4_T5_T6_T7_T9_mT8_P12ihipStream_tbDpT10_ENKUlT_T0_E_clISt17integral_constantIbLb0EES1B_IbLb1EEEEDaS17_S18_EUlS17_E_NS1_11comp_targetILNS1_3genE2ELNS1_11target_archE906ELNS1_3gpuE6ELNS1_3repE0EEENS1_30default_config_static_selectorELNS0_4arch9wavefront6targetE1EEEvT1_,comdat
	.globl	_ZN7rocprim17ROCPRIM_400000_NS6detail17trampoline_kernelINS0_14default_configENS1_25partition_config_selectorILNS1_17partition_subalgoE8ElNS0_10empty_typeEbEEZZNS1_14partition_implILS5_8ELb0ES3_jPlPS6_PKS6_NS0_5tupleIJS9_S6_EEENSD_IJSA_SA_EEENS0_18inequality_wrapperIZN2at6native12_GLOBAL__N_124unique_dim_cuda_templateItEESt5tupleIJNSH_6TensorESM_SM_EERKSM_lbbbEUlllE0_EEPmJS6_EEE10hipError_tPvRmT3_T4_T5_T6_T7_T9_mT8_P12ihipStream_tbDpT10_ENKUlT_T0_E_clISt17integral_constantIbLb0EES1B_IbLb1EEEEDaS17_S18_EUlS17_E_NS1_11comp_targetILNS1_3genE2ELNS1_11target_archE906ELNS1_3gpuE6ELNS1_3repE0EEENS1_30default_config_static_selectorELNS0_4arch9wavefront6targetE1EEEvT1_ ; -- Begin function _ZN7rocprim17ROCPRIM_400000_NS6detail17trampoline_kernelINS0_14default_configENS1_25partition_config_selectorILNS1_17partition_subalgoE8ElNS0_10empty_typeEbEEZZNS1_14partition_implILS5_8ELb0ES3_jPlPS6_PKS6_NS0_5tupleIJS9_S6_EEENSD_IJSA_SA_EEENS0_18inequality_wrapperIZN2at6native12_GLOBAL__N_124unique_dim_cuda_templateItEESt5tupleIJNSH_6TensorESM_SM_EERKSM_lbbbEUlllE0_EEPmJS6_EEE10hipError_tPvRmT3_T4_T5_T6_T7_T9_mT8_P12ihipStream_tbDpT10_ENKUlT_T0_E_clISt17integral_constantIbLb0EES1B_IbLb1EEEEDaS17_S18_EUlS17_E_NS1_11comp_targetILNS1_3genE2ELNS1_11target_archE906ELNS1_3gpuE6ELNS1_3repE0EEENS1_30default_config_static_selectorELNS0_4arch9wavefront6targetE1EEEvT1_
	.p2align	8
	.type	_ZN7rocprim17ROCPRIM_400000_NS6detail17trampoline_kernelINS0_14default_configENS1_25partition_config_selectorILNS1_17partition_subalgoE8ElNS0_10empty_typeEbEEZZNS1_14partition_implILS5_8ELb0ES3_jPlPS6_PKS6_NS0_5tupleIJS9_S6_EEENSD_IJSA_SA_EEENS0_18inequality_wrapperIZN2at6native12_GLOBAL__N_124unique_dim_cuda_templateItEESt5tupleIJNSH_6TensorESM_SM_EERKSM_lbbbEUlllE0_EEPmJS6_EEE10hipError_tPvRmT3_T4_T5_T6_T7_T9_mT8_P12ihipStream_tbDpT10_ENKUlT_T0_E_clISt17integral_constantIbLb0EES1B_IbLb1EEEEDaS17_S18_EUlS17_E_NS1_11comp_targetILNS1_3genE2ELNS1_11target_archE906ELNS1_3gpuE6ELNS1_3repE0EEENS1_30default_config_static_selectorELNS0_4arch9wavefront6targetE1EEEvT1_,@function
_ZN7rocprim17ROCPRIM_400000_NS6detail17trampoline_kernelINS0_14default_configENS1_25partition_config_selectorILNS1_17partition_subalgoE8ElNS0_10empty_typeEbEEZZNS1_14partition_implILS5_8ELb0ES3_jPlPS6_PKS6_NS0_5tupleIJS9_S6_EEENSD_IJSA_SA_EEENS0_18inequality_wrapperIZN2at6native12_GLOBAL__N_124unique_dim_cuda_templateItEESt5tupleIJNSH_6TensorESM_SM_EERKSM_lbbbEUlllE0_EEPmJS6_EEE10hipError_tPvRmT3_T4_T5_T6_T7_T9_mT8_P12ihipStream_tbDpT10_ENKUlT_T0_E_clISt17integral_constantIbLb0EES1B_IbLb1EEEEDaS17_S18_EUlS17_E_NS1_11comp_targetILNS1_3genE2ELNS1_11target_archE906ELNS1_3gpuE6ELNS1_3repE0EEENS1_30default_config_static_selectorELNS0_4arch9wavefront6targetE1EEEvT1_: ; @_ZN7rocprim17ROCPRIM_400000_NS6detail17trampoline_kernelINS0_14default_configENS1_25partition_config_selectorILNS1_17partition_subalgoE8ElNS0_10empty_typeEbEEZZNS1_14partition_implILS5_8ELb0ES3_jPlPS6_PKS6_NS0_5tupleIJS9_S6_EEENSD_IJSA_SA_EEENS0_18inequality_wrapperIZN2at6native12_GLOBAL__N_124unique_dim_cuda_templateItEESt5tupleIJNSH_6TensorESM_SM_EERKSM_lbbbEUlllE0_EEPmJS6_EEE10hipError_tPvRmT3_T4_T5_T6_T7_T9_mT8_P12ihipStream_tbDpT10_ENKUlT_T0_E_clISt17integral_constantIbLb0EES1B_IbLb1EEEEDaS17_S18_EUlS17_E_NS1_11comp_targetILNS1_3genE2ELNS1_11target_archE906ELNS1_3gpuE6ELNS1_3repE0EEENS1_30default_config_static_selectorELNS0_4arch9wavefront6targetE1EEEvT1_
; %bb.0:
	.section	.rodata,"a",@progbits
	.p2align	6, 0x0
	.amdhsa_kernel _ZN7rocprim17ROCPRIM_400000_NS6detail17trampoline_kernelINS0_14default_configENS1_25partition_config_selectorILNS1_17partition_subalgoE8ElNS0_10empty_typeEbEEZZNS1_14partition_implILS5_8ELb0ES3_jPlPS6_PKS6_NS0_5tupleIJS9_S6_EEENSD_IJSA_SA_EEENS0_18inequality_wrapperIZN2at6native12_GLOBAL__N_124unique_dim_cuda_templateItEESt5tupleIJNSH_6TensorESM_SM_EERKSM_lbbbEUlllE0_EEPmJS6_EEE10hipError_tPvRmT3_T4_T5_T6_T7_T9_mT8_P12ihipStream_tbDpT10_ENKUlT_T0_E_clISt17integral_constantIbLb0EES1B_IbLb1EEEEDaS17_S18_EUlS17_E_NS1_11comp_targetILNS1_3genE2ELNS1_11target_archE906ELNS1_3gpuE6ELNS1_3repE0EEENS1_30default_config_static_selectorELNS0_4arch9wavefront6targetE1EEEvT1_
		.amdhsa_group_segment_fixed_size 0
		.amdhsa_private_segment_fixed_size 0
		.amdhsa_kernarg_size 136
		.amdhsa_user_sgpr_count 6
		.amdhsa_user_sgpr_private_segment_buffer 1
		.amdhsa_user_sgpr_dispatch_ptr 0
		.amdhsa_user_sgpr_queue_ptr 0
		.amdhsa_user_sgpr_kernarg_segment_ptr 1
		.amdhsa_user_sgpr_dispatch_id 0
		.amdhsa_user_sgpr_flat_scratch_init 0
		.amdhsa_user_sgpr_kernarg_preload_length 0
		.amdhsa_user_sgpr_kernarg_preload_offset 0
		.amdhsa_user_sgpr_private_segment_size 0
		.amdhsa_uses_dynamic_stack 0
		.amdhsa_system_sgpr_private_segment_wavefront_offset 0
		.amdhsa_system_sgpr_workgroup_id_x 1
		.amdhsa_system_sgpr_workgroup_id_y 0
		.amdhsa_system_sgpr_workgroup_id_z 0
		.amdhsa_system_sgpr_workgroup_info 0
		.amdhsa_system_vgpr_workitem_id 0
		.amdhsa_next_free_vgpr 1
		.amdhsa_next_free_sgpr 0
		.amdhsa_accum_offset 4
		.amdhsa_reserve_vcc 0
		.amdhsa_reserve_flat_scratch 0
		.amdhsa_float_round_mode_32 0
		.amdhsa_float_round_mode_16_64 0
		.amdhsa_float_denorm_mode_32 3
		.amdhsa_float_denorm_mode_16_64 3
		.amdhsa_dx10_clamp 1
		.amdhsa_ieee_mode 1
		.amdhsa_fp16_overflow 0
		.amdhsa_tg_split 0
		.amdhsa_exception_fp_ieee_invalid_op 0
		.amdhsa_exception_fp_denorm_src 0
		.amdhsa_exception_fp_ieee_div_zero 0
		.amdhsa_exception_fp_ieee_overflow 0
		.amdhsa_exception_fp_ieee_underflow 0
		.amdhsa_exception_fp_ieee_inexact 0
		.amdhsa_exception_int_div_zero 0
	.end_amdhsa_kernel
	.section	.text._ZN7rocprim17ROCPRIM_400000_NS6detail17trampoline_kernelINS0_14default_configENS1_25partition_config_selectorILNS1_17partition_subalgoE8ElNS0_10empty_typeEbEEZZNS1_14partition_implILS5_8ELb0ES3_jPlPS6_PKS6_NS0_5tupleIJS9_S6_EEENSD_IJSA_SA_EEENS0_18inequality_wrapperIZN2at6native12_GLOBAL__N_124unique_dim_cuda_templateItEESt5tupleIJNSH_6TensorESM_SM_EERKSM_lbbbEUlllE0_EEPmJS6_EEE10hipError_tPvRmT3_T4_T5_T6_T7_T9_mT8_P12ihipStream_tbDpT10_ENKUlT_T0_E_clISt17integral_constantIbLb0EES1B_IbLb1EEEEDaS17_S18_EUlS17_E_NS1_11comp_targetILNS1_3genE2ELNS1_11target_archE906ELNS1_3gpuE6ELNS1_3repE0EEENS1_30default_config_static_selectorELNS0_4arch9wavefront6targetE1EEEvT1_,"axG",@progbits,_ZN7rocprim17ROCPRIM_400000_NS6detail17trampoline_kernelINS0_14default_configENS1_25partition_config_selectorILNS1_17partition_subalgoE8ElNS0_10empty_typeEbEEZZNS1_14partition_implILS5_8ELb0ES3_jPlPS6_PKS6_NS0_5tupleIJS9_S6_EEENSD_IJSA_SA_EEENS0_18inequality_wrapperIZN2at6native12_GLOBAL__N_124unique_dim_cuda_templateItEESt5tupleIJNSH_6TensorESM_SM_EERKSM_lbbbEUlllE0_EEPmJS6_EEE10hipError_tPvRmT3_T4_T5_T6_T7_T9_mT8_P12ihipStream_tbDpT10_ENKUlT_T0_E_clISt17integral_constantIbLb0EES1B_IbLb1EEEEDaS17_S18_EUlS17_E_NS1_11comp_targetILNS1_3genE2ELNS1_11target_archE906ELNS1_3gpuE6ELNS1_3repE0EEENS1_30default_config_static_selectorELNS0_4arch9wavefront6targetE1EEEvT1_,comdat
.Lfunc_end1445:
	.size	_ZN7rocprim17ROCPRIM_400000_NS6detail17trampoline_kernelINS0_14default_configENS1_25partition_config_selectorILNS1_17partition_subalgoE8ElNS0_10empty_typeEbEEZZNS1_14partition_implILS5_8ELb0ES3_jPlPS6_PKS6_NS0_5tupleIJS9_S6_EEENSD_IJSA_SA_EEENS0_18inequality_wrapperIZN2at6native12_GLOBAL__N_124unique_dim_cuda_templateItEESt5tupleIJNSH_6TensorESM_SM_EERKSM_lbbbEUlllE0_EEPmJS6_EEE10hipError_tPvRmT3_T4_T5_T6_T7_T9_mT8_P12ihipStream_tbDpT10_ENKUlT_T0_E_clISt17integral_constantIbLb0EES1B_IbLb1EEEEDaS17_S18_EUlS17_E_NS1_11comp_targetILNS1_3genE2ELNS1_11target_archE906ELNS1_3gpuE6ELNS1_3repE0EEENS1_30default_config_static_selectorELNS0_4arch9wavefront6targetE1EEEvT1_, .Lfunc_end1445-_ZN7rocprim17ROCPRIM_400000_NS6detail17trampoline_kernelINS0_14default_configENS1_25partition_config_selectorILNS1_17partition_subalgoE8ElNS0_10empty_typeEbEEZZNS1_14partition_implILS5_8ELb0ES3_jPlPS6_PKS6_NS0_5tupleIJS9_S6_EEENSD_IJSA_SA_EEENS0_18inequality_wrapperIZN2at6native12_GLOBAL__N_124unique_dim_cuda_templateItEESt5tupleIJNSH_6TensorESM_SM_EERKSM_lbbbEUlllE0_EEPmJS6_EEE10hipError_tPvRmT3_T4_T5_T6_T7_T9_mT8_P12ihipStream_tbDpT10_ENKUlT_T0_E_clISt17integral_constantIbLb0EES1B_IbLb1EEEEDaS17_S18_EUlS17_E_NS1_11comp_targetILNS1_3genE2ELNS1_11target_archE906ELNS1_3gpuE6ELNS1_3repE0EEENS1_30default_config_static_selectorELNS0_4arch9wavefront6targetE1EEEvT1_
                                        ; -- End function
	.section	.AMDGPU.csdata,"",@progbits
; Kernel info:
; codeLenInByte = 0
; NumSgprs: 4
; NumVgprs: 0
; NumAgprs: 0
; TotalNumVgprs: 0
; ScratchSize: 0
; MemoryBound: 0
; FloatMode: 240
; IeeeMode: 1
; LDSByteSize: 0 bytes/workgroup (compile time only)
; SGPRBlocks: 0
; VGPRBlocks: 0
; NumSGPRsForWavesPerEU: 4
; NumVGPRsForWavesPerEU: 1
; AccumOffset: 4
; Occupancy: 8
; WaveLimiterHint : 0
; COMPUTE_PGM_RSRC2:SCRATCH_EN: 0
; COMPUTE_PGM_RSRC2:USER_SGPR: 6
; COMPUTE_PGM_RSRC2:TRAP_HANDLER: 0
; COMPUTE_PGM_RSRC2:TGID_X_EN: 1
; COMPUTE_PGM_RSRC2:TGID_Y_EN: 0
; COMPUTE_PGM_RSRC2:TGID_Z_EN: 0
; COMPUTE_PGM_RSRC2:TIDIG_COMP_CNT: 0
; COMPUTE_PGM_RSRC3_GFX90A:ACCUM_OFFSET: 0
; COMPUTE_PGM_RSRC3_GFX90A:TG_SPLIT: 0
	.section	.text._ZN7rocprim17ROCPRIM_400000_NS6detail17trampoline_kernelINS0_14default_configENS1_25partition_config_selectorILNS1_17partition_subalgoE8ElNS0_10empty_typeEbEEZZNS1_14partition_implILS5_8ELb0ES3_jPlPS6_PKS6_NS0_5tupleIJS9_S6_EEENSD_IJSA_SA_EEENS0_18inequality_wrapperIZN2at6native12_GLOBAL__N_124unique_dim_cuda_templateItEESt5tupleIJNSH_6TensorESM_SM_EERKSM_lbbbEUlllE0_EEPmJS6_EEE10hipError_tPvRmT3_T4_T5_T6_T7_T9_mT8_P12ihipStream_tbDpT10_ENKUlT_T0_E_clISt17integral_constantIbLb0EES1B_IbLb1EEEEDaS17_S18_EUlS17_E_NS1_11comp_targetILNS1_3genE10ELNS1_11target_archE1200ELNS1_3gpuE4ELNS1_3repE0EEENS1_30default_config_static_selectorELNS0_4arch9wavefront6targetE1EEEvT1_,"axG",@progbits,_ZN7rocprim17ROCPRIM_400000_NS6detail17trampoline_kernelINS0_14default_configENS1_25partition_config_selectorILNS1_17partition_subalgoE8ElNS0_10empty_typeEbEEZZNS1_14partition_implILS5_8ELb0ES3_jPlPS6_PKS6_NS0_5tupleIJS9_S6_EEENSD_IJSA_SA_EEENS0_18inequality_wrapperIZN2at6native12_GLOBAL__N_124unique_dim_cuda_templateItEESt5tupleIJNSH_6TensorESM_SM_EERKSM_lbbbEUlllE0_EEPmJS6_EEE10hipError_tPvRmT3_T4_T5_T6_T7_T9_mT8_P12ihipStream_tbDpT10_ENKUlT_T0_E_clISt17integral_constantIbLb0EES1B_IbLb1EEEEDaS17_S18_EUlS17_E_NS1_11comp_targetILNS1_3genE10ELNS1_11target_archE1200ELNS1_3gpuE4ELNS1_3repE0EEENS1_30default_config_static_selectorELNS0_4arch9wavefront6targetE1EEEvT1_,comdat
	.globl	_ZN7rocprim17ROCPRIM_400000_NS6detail17trampoline_kernelINS0_14default_configENS1_25partition_config_selectorILNS1_17partition_subalgoE8ElNS0_10empty_typeEbEEZZNS1_14partition_implILS5_8ELb0ES3_jPlPS6_PKS6_NS0_5tupleIJS9_S6_EEENSD_IJSA_SA_EEENS0_18inequality_wrapperIZN2at6native12_GLOBAL__N_124unique_dim_cuda_templateItEESt5tupleIJNSH_6TensorESM_SM_EERKSM_lbbbEUlllE0_EEPmJS6_EEE10hipError_tPvRmT3_T4_T5_T6_T7_T9_mT8_P12ihipStream_tbDpT10_ENKUlT_T0_E_clISt17integral_constantIbLb0EES1B_IbLb1EEEEDaS17_S18_EUlS17_E_NS1_11comp_targetILNS1_3genE10ELNS1_11target_archE1200ELNS1_3gpuE4ELNS1_3repE0EEENS1_30default_config_static_selectorELNS0_4arch9wavefront6targetE1EEEvT1_ ; -- Begin function _ZN7rocprim17ROCPRIM_400000_NS6detail17trampoline_kernelINS0_14default_configENS1_25partition_config_selectorILNS1_17partition_subalgoE8ElNS0_10empty_typeEbEEZZNS1_14partition_implILS5_8ELb0ES3_jPlPS6_PKS6_NS0_5tupleIJS9_S6_EEENSD_IJSA_SA_EEENS0_18inequality_wrapperIZN2at6native12_GLOBAL__N_124unique_dim_cuda_templateItEESt5tupleIJNSH_6TensorESM_SM_EERKSM_lbbbEUlllE0_EEPmJS6_EEE10hipError_tPvRmT3_T4_T5_T6_T7_T9_mT8_P12ihipStream_tbDpT10_ENKUlT_T0_E_clISt17integral_constantIbLb0EES1B_IbLb1EEEEDaS17_S18_EUlS17_E_NS1_11comp_targetILNS1_3genE10ELNS1_11target_archE1200ELNS1_3gpuE4ELNS1_3repE0EEENS1_30default_config_static_selectorELNS0_4arch9wavefront6targetE1EEEvT1_
	.p2align	8
	.type	_ZN7rocprim17ROCPRIM_400000_NS6detail17trampoline_kernelINS0_14default_configENS1_25partition_config_selectorILNS1_17partition_subalgoE8ElNS0_10empty_typeEbEEZZNS1_14partition_implILS5_8ELb0ES3_jPlPS6_PKS6_NS0_5tupleIJS9_S6_EEENSD_IJSA_SA_EEENS0_18inequality_wrapperIZN2at6native12_GLOBAL__N_124unique_dim_cuda_templateItEESt5tupleIJNSH_6TensorESM_SM_EERKSM_lbbbEUlllE0_EEPmJS6_EEE10hipError_tPvRmT3_T4_T5_T6_T7_T9_mT8_P12ihipStream_tbDpT10_ENKUlT_T0_E_clISt17integral_constantIbLb0EES1B_IbLb1EEEEDaS17_S18_EUlS17_E_NS1_11comp_targetILNS1_3genE10ELNS1_11target_archE1200ELNS1_3gpuE4ELNS1_3repE0EEENS1_30default_config_static_selectorELNS0_4arch9wavefront6targetE1EEEvT1_,@function
_ZN7rocprim17ROCPRIM_400000_NS6detail17trampoline_kernelINS0_14default_configENS1_25partition_config_selectorILNS1_17partition_subalgoE8ElNS0_10empty_typeEbEEZZNS1_14partition_implILS5_8ELb0ES3_jPlPS6_PKS6_NS0_5tupleIJS9_S6_EEENSD_IJSA_SA_EEENS0_18inequality_wrapperIZN2at6native12_GLOBAL__N_124unique_dim_cuda_templateItEESt5tupleIJNSH_6TensorESM_SM_EERKSM_lbbbEUlllE0_EEPmJS6_EEE10hipError_tPvRmT3_T4_T5_T6_T7_T9_mT8_P12ihipStream_tbDpT10_ENKUlT_T0_E_clISt17integral_constantIbLb0EES1B_IbLb1EEEEDaS17_S18_EUlS17_E_NS1_11comp_targetILNS1_3genE10ELNS1_11target_archE1200ELNS1_3gpuE4ELNS1_3repE0EEENS1_30default_config_static_selectorELNS0_4arch9wavefront6targetE1EEEvT1_: ; @_ZN7rocprim17ROCPRIM_400000_NS6detail17trampoline_kernelINS0_14default_configENS1_25partition_config_selectorILNS1_17partition_subalgoE8ElNS0_10empty_typeEbEEZZNS1_14partition_implILS5_8ELb0ES3_jPlPS6_PKS6_NS0_5tupleIJS9_S6_EEENSD_IJSA_SA_EEENS0_18inequality_wrapperIZN2at6native12_GLOBAL__N_124unique_dim_cuda_templateItEESt5tupleIJNSH_6TensorESM_SM_EERKSM_lbbbEUlllE0_EEPmJS6_EEE10hipError_tPvRmT3_T4_T5_T6_T7_T9_mT8_P12ihipStream_tbDpT10_ENKUlT_T0_E_clISt17integral_constantIbLb0EES1B_IbLb1EEEEDaS17_S18_EUlS17_E_NS1_11comp_targetILNS1_3genE10ELNS1_11target_archE1200ELNS1_3gpuE4ELNS1_3repE0EEENS1_30default_config_static_selectorELNS0_4arch9wavefront6targetE1EEEvT1_
; %bb.0:
	.section	.rodata,"a",@progbits
	.p2align	6, 0x0
	.amdhsa_kernel _ZN7rocprim17ROCPRIM_400000_NS6detail17trampoline_kernelINS0_14default_configENS1_25partition_config_selectorILNS1_17partition_subalgoE8ElNS0_10empty_typeEbEEZZNS1_14partition_implILS5_8ELb0ES3_jPlPS6_PKS6_NS0_5tupleIJS9_S6_EEENSD_IJSA_SA_EEENS0_18inequality_wrapperIZN2at6native12_GLOBAL__N_124unique_dim_cuda_templateItEESt5tupleIJNSH_6TensorESM_SM_EERKSM_lbbbEUlllE0_EEPmJS6_EEE10hipError_tPvRmT3_T4_T5_T6_T7_T9_mT8_P12ihipStream_tbDpT10_ENKUlT_T0_E_clISt17integral_constantIbLb0EES1B_IbLb1EEEEDaS17_S18_EUlS17_E_NS1_11comp_targetILNS1_3genE10ELNS1_11target_archE1200ELNS1_3gpuE4ELNS1_3repE0EEENS1_30default_config_static_selectorELNS0_4arch9wavefront6targetE1EEEvT1_
		.amdhsa_group_segment_fixed_size 0
		.amdhsa_private_segment_fixed_size 0
		.amdhsa_kernarg_size 136
		.amdhsa_user_sgpr_count 6
		.amdhsa_user_sgpr_private_segment_buffer 1
		.amdhsa_user_sgpr_dispatch_ptr 0
		.amdhsa_user_sgpr_queue_ptr 0
		.amdhsa_user_sgpr_kernarg_segment_ptr 1
		.amdhsa_user_sgpr_dispatch_id 0
		.amdhsa_user_sgpr_flat_scratch_init 0
		.amdhsa_user_sgpr_kernarg_preload_length 0
		.amdhsa_user_sgpr_kernarg_preload_offset 0
		.amdhsa_user_sgpr_private_segment_size 0
		.amdhsa_uses_dynamic_stack 0
		.amdhsa_system_sgpr_private_segment_wavefront_offset 0
		.amdhsa_system_sgpr_workgroup_id_x 1
		.amdhsa_system_sgpr_workgroup_id_y 0
		.amdhsa_system_sgpr_workgroup_id_z 0
		.amdhsa_system_sgpr_workgroup_info 0
		.amdhsa_system_vgpr_workitem_id 0
		.amdhsa_next_free_vgpr 1
		.amdhsa_next_free_sgpr 0
		.amdhsa_accum_offset 4
		.amdhsa_reserve_vcc 0
		.amdhsa_reserve_flat_scratch 0
		.amdhsa_float_round_mode_32 0
		.amdhsa_float_round_mode_16_64 0
		.amdhsa_float_denorm_mode_32 3
		.amdhsa_float_denorm_mode_16_64 3
		.amdhsa_dx10_clamp 1
		.amdhsa_ieee_mode 1
		.amdhsa_fp16_overflow 0
		.amdhsa_tg_split 0
		.amdhsa_exception_fp_ieee_invalid_op 0
		.amdhsa_exception_fp_denorm_src 0
		.amdhsa_exception_fp_ieee_div_zero 0
		.amdhsa_exception_fp_ieee_overflow 0
		.amdhsa_exception_fp_ieee_underflow 0
		.amdhsa_exception_fp_ieee_inexact 0
		.amdhsa_exception_int_div_zero 0
	.end_amdhsa_kernel
	.section	.text._ZN7rocprim17ROCPRIM_400000_NS6detail17trampoline_kernelINS0_14default_configENS1_25partition_config_selectorILNS1_17partition_subalgoE8ElNS0_10empty_typeEbEEZZNS1_14partition_implILS5_8ELb0ES3_jPlPS6_PKS6_NS0_5tupleIJS9_S6_EEENSD_IJSA_SA_EEENS0_18inequality_wrapperIZN2at6native12_GLOBAL__N_124unique_dim_cuda_templateItEESt5tupleIJNSH_6TensorESM_SM_EERKSM_lbbbEUlllE0_EEPmJS6_EEE10hipError_tPvRmT3_T4_T5_T6_T7_T9_mT8_P12ihipStream_tbDpT10_ENKUlT_T0_E_clISt17integral_constantIbLb0EES1B_IbLb1EEEEDaS17_S18_EUlS17_E_NS1_11comp_targetILNS1_3genE10ELNS1_11target_archE1200ELNS1_3gpuE4ELNS1_3repE0EEENS1_30default_config_static_selectorELNS0_4arch9wavefront6targetE1EEEvT1_,"axG",@progbits,_ZN7rocprim17ROCPRIM_400000_NS6detail17trampoline_kernelINS0_14default_configENS1_25partition_config_selectorILNS1_17partition_subalgoE8ElNS0_10empty_typeEbEEZZNS1_14partition_implILS5_8ELb0ES3_jPlPS6_PKS6_NS0_5tupleIJS9_S6_EEENSD_IJSA_SA_EEENS0_18inequality_wrapperIZN2at6native12_GLOBAL__N_124unique_dim_cuda_templateItEESt5tupleIJNSH_6TensorESM_SM_EERKSM_lbbbEUlllE0_EEPmJS6_EEE10hipError_tPvRmT3_T4_T5_T6_T7_T9_mT8_P12ihipStream_tbDpT10_ENKUlT_T0_E_clISt17integral_constantIbLb0EES1B_IbLb1EEEEDaS17_S18_EUlS17_E_NS1_11comp_targetILNS1_3genE10ELNS1_11target_archE1200ELNS1_3gpuE4ELNS1_3repE0EEENS1_30default_config_static_selectorELNS0_4arch9wavefront6targetE1EEEvT1_,comdat
.Lfunc_end1446:
	.size	_ZN7rocprim17ROCPRIM_400000_NS6detail17trampoline_kernelINS0_14default_configENS1_25partition_config_selectorILNS1_17partition_subalgoE8ElNS0_10empty_typeEbEEZZNS1_14partition_implILS5_8ELb0ES3_jPlPS6_PKS6_NS0_5tupleIJS9_S6_EEENSD_IJSA_SA_EEENS0_18inequality_wrapperIZN2at6native12_GLOBAL__N_124unique_dim_cuda_templateItEESt5tupleIJNSH_6TensorESM_SM_EERKSM_lbbbEUlllE0_EEPmJS6_EEE10hipError_tPvRmT3_T4_T5_T6_T7_T9_mT8_P12ihipStream_tbDpT10_ENKUlT_T0_E_clISt17integral_constantIbLb0EES1B_IbLb1EEEEDaS17_S18_EUlS17_E_NS1_11comp_targetILNS1_3genE10ELNS1_11target_archE1200ELNS1_3gpuE4ELNS1_3repE0EEENS1_30default_config_static_selectorELNS0_4arch9wavefront6targetE1EEEvT1_, .Lfunc_end1446-_ZN7rocprim17ROCPRIM_400000_NS6detail17trampoline_kernelINS0_14default_configENS1_25partition_config_selectorILNS1_17partition_subalgoE8ElNS0_10empty_typeEbEEZZNS1_14partition_implILS5_8ELb0ES3_jPlPS6_PKS6_NS0_5tupleIJS9_S6_EEENSD_IJSA_SA_EEENS0_18inequality_wrapperIZN2at6native12_GLOBAL__N_124unique_dim_cuda_templateItEESt5tupleIJNSH_6TensorESM_SM_EERKSM_lbbbEUlllE0_EEPmJS6_EEE10hipError_tPvRmT3_T4_T5_T6_T7_T9_mT8_P12ihipStream_tbDpT10_ENKUlT_T0_E_clISt17integral_constantIbLb0EES1B_IbLb1EEEEDaS17_S18_EUlS17_E_NS1_11comp_targetILNS1_3genE10ELNS1_11target_archE1200ELNS1_3gpuE4ELNS1_3repE0EEENS1_30default_config_static_selectorELNS0_4arch9wavefront6targetE1EEEvT1_
                                        ; -- End function
	.section	.AMDGPU.csdata,"",@progbits
; Kernel info:
; codeLenInByte = 0
; NumSgprs: 4
; NumVgprs: 0
; NumAgprs: 0
; TotalNumVgprs: 0
; ScratchSize: 0
; MemoryBound: 0
; FloatMode: 240
; IeeeMode: 1
; LDSByteSize: 0 bytes/workgroup (compile time only)
; SGPRBlocks: 0
; VGPRBlocks: 0
; NumSGPRsForWavesPerEU: 4
; NumVGPRsForWavesPerEU: 1
; AccumOffset: 4
; Occupancy: 8
; WaveLimiterHint : 0
; COMPUTE_PGM_RSRC2:SCRATCH_EN: 0
; COMPUTE_PGM_RSRC2:USER_SGPR: 6
; COMPUTE_PGM_RSRC2:TRAP_HANDLER: 0
; COMPUTE_PGM_RSRC2:TGID_X_EN: 1
; COMPUTE_PGM_RSRC2:TGID_Y_EN: 0
; COMPUTE_PGM_RSRC2:TGID_Z_EN: 0
; COMPUTE_PGM_RSRC2:TIDIG_COMP_CNT: 0
; COMPUTE_PGM_RSRC3_GFX90A:ACCUM_OFFSET: 0
; COMPUTE_PGM_RSRC3_GFX90A:TG_SPLIT: 0
	.section	.text._ZN7rocprim17ROCPRIM_400000_NS6detail17trampoline_kernelINS0_14default_configENS1_25partition_config_selectorILNS1_17partition_subalgoE8ElNS0_10empty_typeEbEEZZNS1_14partition_implILS5_8ELb0ES3_jPlPS6_PKS6_NS0_5tupleIJS9_S6_EEENSD_IJSA_SA_EEENS0_18inequality_wrapperIZN2at6native12_GLOBAL__N_124unique_dim_cuda_templateItEESt5tupleIJNSH_6TensorESM_SM_EERKSM_lbbbEUlllE0_EEPmJS6_EEE10hipError_tPvRmT3_T4_T5_T6_T7_T9_mT8_P12ihipStream_tbDpT10_ENKUlT_T0_E_clISt17integral_constantIbLb0EES1B_IbLb1EEEEDaS17_S18_EUlS17_E_NS1_11comp_targetILNS1_3genE9ELNS1_11target_archE1100ELNS1_3gpuE3ELNS1_3repE0EEENS1_30default_config_static_selectorELNS0_4arch9wavefront6targetE1EEEvT1_,"axG",@progbits,_ZN7rocprim17ROCPRIM_400000_NS6detail17trampoline_kernelINS0_14default_configENS1_25partition_config_selectorILNS1_17partition_subalgoE8ElNS0_10empty_typeEbEEZZNS1_14partition_implILS5_8ELb0ES3_jPlPS6_PKS6_NS0_5tupleIJS9_S6_EEENSD_IJSA_SA_EEENS0_18inequality_wrapperIZN2at6native12_GLOBAL__N_124unique_dim_cuda_templateItEESt5tupleIJNSH_6TensorESM_SM_EERKSM_lbbbEUlllE0_EEPmJS6_EEE10hipError_tPvRmT3_T4_T5_T6_T7_T9_mT8_P12ihipStream_tbDpT10_ENKUlT_T0_E_clISt17integral_constantIbLb0EES1B_IbLb1EEEEDaS17_S18_EUlS17_E_NS1_11comp_targetILNS1_3genE9ELNS1_11target_archE1100ELNS1_3gpuE3ELNS1_3repE0EEENS1_30default_config_static_selectorELNS0_4arch9wavefront6targetE1EEEvT1_,comdat
	.globl	_ZN7rocprim17ROCPRIM_400000_NS6detail17trampoline_kernelINS0_14default_configENS1_25partition_config_selectorILNS1_17partition_subalgoE8ElNS0_10empty_typeEbEEZZNS1_14partition_implILS5_8ELb0ES3_jPlPS6_PKS6_NS0_5tupleIJS9_S6_EEENSD_IJSA_SA_EEENS0_18inequality_wrapperIZN2at6native12_GLOBAL__N_124unique_dim_cuda_templateItEESt5tupleIJNSH_6TensorESM_SM_EERKSM_lbbbEUlllE0_EEPmJS6_EEE10hipError_tPvRmT3_T4_T5_T6_T7_T9_mT8_P12ihipStream_tbDpT10_ENKUlT_T0_E_clISt17integral_constantIbLb0EES1B_IbLb1EEEEDaS17_S18_EUlS17_E_NS1_11comp_targetILNS1_3genE9ELNS1_11target_archE1100ELNS1_3gpuE3ELNS1_3repE0EEENS1_30default_config_static_selectorELNS0_4arch9wavefront6targetE1EEEvT1_ ; -- Begin function _ZN7rocprim17ROCPRIM_400000_NS6detail17trampoline_kernelINS0_14default_configENS1_25partition_config_selectorILNS1_17partition_subalgoE8ElNS0_10empty_typeEbEEZZNS1_14partition_implILS5_8ELb0ES3_jPlPS6_PKS6_NS0_5tupleIJS9_S6_EEENSD_IJSA_SA_EEENS0_18inequality_wrapperIZN2at6native12_GLOBAL__N_124unique_dim_cuda_templateItEESt5tupleIJNSH_6TensorESM_SM_EERKSM_lbbbEUlllE0_EEPmJS6_EEE10hipError_tPvRmT3_T4_T5_T6_T7_T9_mT8_P12ihipStream_tbDpT10_ENKUlT_T0_E_clISt17integral_constantIbLb0EES1B_IbLb1EEEEDaS17_S18_EUlS17_E_NS1_11comp_targetILNS1_3genE9ELNS1_11target_archE1100ELNS1_3gpuE3ELNS1_3repE0EEENS1_30default_config_static_selectorELNS0_4arch9wavefront6targetE1EEEvT1_
	.p2align	8
	.type	_ZN7rocprim17ROCPRIM_400000_NS6detail17trampoline_kernelINS0_14default_configENS1_25partition_config_selectorILNS1_17partition_subalgoE8ElNS0_10empty_typeEbEEZZNS1_14partition_implILS5_8ELb0ES3_jPlPS6_PKS6_NS0_5tupleIJS9_S6_EEENSD_IJSA_SA_EEENS0_18inequality_wrapperIZN2at6native12_GLOBAL__N_124unique_dim_cuda_templateItEESt5tupleIJNSH_6TensorESM_SM_EERKSM_lbbbEUlllE0_EEPmJS6_EEE10hipError_tPvRmT3_T4_T5_T6_T7_T9_mT8_P12ihipStream_tbDpT10_ENKUlT_T0_E_clISt17integral_constantIbLb0EES1B_IbLb1EEEEDaS17_S18_EUlS17_E_NS1_11comp_targetILNS1_3genE9ELNS1_11target_archE1100ELNS1_3gpuE3ELNS1_3repE0EEENS1_30default_config_static_selectorELNS0_4arch9wavefront6targetE1EEEvT1_,@function
_ZN7rocprim17ROCPRIM_400000_NS6detail17trampoline_kernelINS0_14default_configENS1_25partition_config_selectorILNS1_17partition_subalgoE8ElNS0_10empty_typeEbEEZZNS1_14partition_implILS5_8ELb0ES3_jPlPS6_PKS6_NS0_5tupleIJS9_S6_EEENSD_IJSA_SA_EEENS0_18inequality_wrapperIZN2at6native12_GLOBAL__N_124unique_dim_cuda_templateItEESt5tupleIJNSH_6TensorESM_SM_EERKSM_lbbbEUlllE0_EEPmJS6_EEE10hipError_tPvRmT3_T4_T5_T6_T7_T9_mT8_P12ihipStream_tbDpT10_ENKUlT_T0_E_clISt17integral_constantIbLb0EES1B_IbLb1EEEEDaS17_S18_EUlS17_E_NS1_11comp_targetILNS1_3genE9ELNS1_11target_archE1100ELNS1_3gpuE3ELNS1_3repE0EEENS1_30default_config_static_selectorELNS0_4arch9wavefront6targetE1EEEvT1_: ; @_ZN7rocprim17ROCPRIM_400000_NS6detail17trampoline_kernelINS0_14default_configENS1_25partition_config_selectorILNS1_17partition_subalgoE8ElNS0_10empty_typeEbEEZZNS1_14partition_implILS5_8ELb0ES3_jPlPS6_PKS6_NS0_5tupleIJS9_S6_EEENSD_IJSA_SA_EEENS0_18inequality_wrapperIZN2at6native12_GLOBAL__N_124unique_dim_cuda_templateItEESt5tupleIJNSH_6TensorESM_SM_EERKSM_lbbbEUlllE0_EEPmJS6_EEE10hipError_tPvRmT3_T4_T5_T6_T7_T9_mT8_P12ihipStream_tbDpT10_ENKUlT_T0_E_clISt17integral_constantIbLb0EES1B_IbLb1EEEEDaS17_S18_EUlS17_E_NS1_11comp_targetILNS1_3genE9ELNS1_11target_archE1100ELNS1_3gpuE3ELNS1_3repE0EEENS1_30default_config_static_selectorELNS0_4arch9wavefront6targetE1EEEvT1_
; %bb.0:
	.section	.rodata,"a",@progbits
	.p2align	6, 0x0
	.amdhsa_kernel _ZN7rocprim17ROCPRIM_400000_NS6detail17trampoline_kernelINS0_14default_configENS1_25partition_config_selectorILNS1_17partition_subalgoE8ElNS0_10empty_typeEbEEZZNS1_14partition_implILS5_8ELb0ES3_jPlPS6_PKS6_NS0_5tupleIJS9_S6_EEENSD_IJSA_SA_EEENS0_18inequality_wrapperIZN2at6native12_GLOBAL__N_124unique_dim_cuda_templateItEESt5tupleIJNSH_6TensorESM_SM_EERKSM_lbbbEUlllE0_EEPmJS6_EEE10hipError_tPvRmT3_T4_T5_T6_T7_T9_mT8_P12ihipStream_tbDpT10_ENKUlT_T0_E_clISt17integral_constantIbLb0EES1B_IbLb1EEEEDaS17_S18_EUlS17_E_NS1_11comp_targetILNS1_3genE9ELNS1_11target_archE1100ELNS1_3gpuE3ELNS1_3repE0EEENS1_30default_config_static_selectorELNS0_4arch9wavefront6targetE1EEEvT1_
		.amdhsa_group_segment_fixed_size 0
		.amdhsa_private_segment_fixed_size 0
		.amdhsa_kernarg_size 136
		.amdhsa_user_sgpr_count 6
		.amdhsa_user_sgpr_private_segment_buffer 1
		.amdhsa_user_sgpr_dispatch_ptr 0
		.amdhsa_user_sgpr_queue_ptr 0
		.amdhsa_user_sgpr_kernarg_segment_ptr 1
		.amdhsa_user_sgpr_dispatch_id 0
		.amdhsa_user_sgpr_flat_scratch_init 0
		.amdhsa_user_sgpr_kernarg_preload_length 0
		.amdhsa_user_sgpr_kernarg_preload_offset 0
		.amdhsa_user_sgpr_private_segment_size 0
		.amdhsa_uses_dynamic_stack 0
		.amdhsa_system_sgpr_private_segment_wavefront_offset 0
		.amdhsa_system_sgpr_workgroup_id_x 1
		.amdhsa_system_sgpr_workgroup_id_y 0
		.amdhsa_system_sgpr_workgroup_id_z 0
		.amdhsa_system_sgpr_workgroup_info 0
		.amdhsa_system_vgpr_workitem_id 0
		.amdhsa_next_free_vgpr 1
		.amdhsa_next_free_sgpr 0
		.amdhsa_accum_offset 4
		.amdhsa_reserve_vcc 0
		.amdhsa_reserve_flat_scratch 0
		.amdhsa_float_round_mode_32 0
		.amdhsa_float_round_mode_16_64 0
		.amdhsa_float_denorm_mode_32 3
		.amdhsa_float_denorm_mode_16_64 3
		.amdhsa_dx10_clamp 1
		.amdhsa_ieee_mode 1
		.amdhsa_fp16_overflow 0
		.amdhsa_tg_split 0
		.amdhsa_exception_fp_ieee_invalid_op 0
		.amdhsa_exception_fp_denorm_src 0
		.amdhsa_exception_fp_ieee_div_zero 0
		.amdhsa_exception_fp_ieee_overflow 0
		.amdhsa_exception_fp_ieee_underflow 0
		.amdhsa_exception_fp_ieee_inexact 0
		.amdhsa_exception_int_div_zero 0
	.end_amdhsa_kernel
	.section	.text._ZN7rocprim17ROCPRIM_400000_NS6detail17trampoline_kernelINS0_14default_configENS1_25partition_config_selectorILNS1_17partition_subalgoE8ElNS0_10empty_typeEbEEZZNS1_14partition_implILS5_8ELb0ES3_jPlPS6_PKS6_NS0_5tupleIJS9_S6_EEENSD_IJSA_SA_EEENS0_18inequality_wrapperIZN2at6native12_GLOBAL__N_124unique_dim_cuda_templateItEESt5tupleIJNSH_6TensorESM_SM_EERKSM_lbbbEUlllE0_EEPmJS6_EEE10hipError_tPvRmT3_T4_T5_T6_T7_T9_mT8_P12ihipStream_tbDpT10_ENKUlT_T0_E_clISt17integral_constantIbLb0EES1B_IbLb1EEEEDaS17_S18_EUlS17_E_NS1_11comp_targetILNS1_3genE9ELNS1_11target_archE1100ELNS1_3gpuE3ELNS1_3repE0EEENS1_30default_config_static_selectorELNS0_4arch9wavefront6targetE1EEEvT1_,"axG",@progbits,_ZN7rocprim17ROCPRIM_400000_NS6detail17trampoline_kernelINS0_14default_configENS1_25partition_config_selectorILNS1_17partition_subalgoE8ElNS0_10empty_typeEbEEZZNS1_14partition_implILS5_8ELb0ES3_jPlPS6_PKS6_NS0_5tupleIJS9_S6_EEENSD_IJSA_SA_EEENS0_18inequality_wrapperIZN2at6native12_GLOBAL__N_124unique_dim_cuda_templateItEESt5tupleIJNSH_6TensorESM_SM_EERKSM_lbbbEUlllE0_EEPmJS6_EEE10hipError_tPvRmT3_T4_T5_T6_T7_T9_mT8_P12ihipStream_tbDpT10_ENKUlT_T0_E_clISt17integral_constantIbLb0EES1B_IbLb1EEEEDaS17_S18_EUlS17_E_NS1_11comp_targetILNS1_3genE9ELNS1_11target_archE1100ELNS1_3gpuE3ELNS1_3repE0EEENS1_30default_config_static_selectorELNS0_4arch9wavefront6targetE1EEEvT1_,comdat
.Lfunc_end1447:
	.size	_ZN7rocprim17ROCPRIM_400000_NS6detail17trampoline_kernelINS0_14default_configENS1_25partition_config_selectorILNS1_17partition_subalgoE8ElNS0_10empty_typeEbEEZZNS1_14partition_implILS5_8ELb0ES3_jPlPS6_PKS6_NS0_5tupleIJS9_S6_EEENSD_IJSA_SA_EEENS0_18inequality_wrapperIZN2at6native12_GLOBAL__N_124unique_dim_cuda_templateItEESt5tupleIJNSH_6TensorESM_SM_EERKSM_lbbbEUlllE0_EEPmJS6_EEE10hipError_tPvRmT3_T4_T5_T6_T7_T9_mT8_P12ihipStream_tbDpT10_ENKUlT_T0_E_clISt17integral_constantIbLb0EES1B_IbLb1EEEEDaS17_S18_EUlS17_E_NS1_11comp_targetILNS1_3genE9ELNS1_11target_archE1100ELNS1_3gpuE3ELNS1_3repE0EEENS1_30default_config_static_selectorELNS0_4arch9wavefront6targetE1EEEvT1_, .Lfunc_end1447-_ZN7rocprim17ROCPRIM_400000_NS6detail17trampoline_kernelINS0_14default_configENS1_25partition_config_selectorILNS1_17partition_subalgoE8ElNS0_10empty_typeEbEEZZNS1_14partition_implILS5_8ELb0ES3_jPlPS6_PKS6_NS0_5tupleIJS9_S6_EEENSD_IJSA_SA_EEENS0_18inequality_wrapperIZN2at6native12_GLOBAL__N_124unique_dim_cuda_templateItEESt5tupleIJNSH_6TensorESM_SM_EERKSM_lbbbEUlllE0_EEPmJS6_EEE10hipError_tPvRmT3_T4_T5_T6_T7_T9_mT8_P12ihipStream_tbDpT10_ENKUlT_T0_E_clISt17integral_constantIbLb0EES1B_IbLb1EEEEDaS17_S18_EUlS17_E_NS1_11comp_targetILNS1_3genE9ELNS1_11target_archE1100ELNS1_3gpuE3ELNS1_3repE0EEENS1_30default_config_static_selectorELNS0_4arch9wavefront6targetE1EEEvT1_
                                        ; -- End function
	.section	.AMDGPU.csdata,"",@progbits
; Kernel info:
; codeLenInByte = 0
; NumSgprs: 4
; NumVgprs: 0
; NumAgprs: 0
; TotalNumVgprs: 0
; ScratchSize: 0
; MemoryBound: 0
; FloatMode: 240
; IeeeMode: 1
; LDSByteSize: 0 bytes/workgroup (compile time only)
; SGPRBlocks: 0
; VGPRBlocks: 0
; NumSGPRsForWavesPerEU: 4
; NumVGPRsForWavesPerEU: 1
; AccumOffset: 4
; Occupancy: 8
; WaveLimiterHint : 0
; COMPUTE_PGM_RSRC2:SCRATCH_EN: 0
; COMPUTE_PGM_RSRC2:USER_SGPR: 6
; COMPUTE_PGM_RSRC2:TRAP_HANDLER: 0
; COMPUTE_PGM_RSRC2:TGID_X_EN: 1
; COMPUTE_PGM_RSRC2:TGID_Y_EN: 0
; COMPUTE_PGM_RSRC2:TGID_Z_EN: 0
; COMPUTE_PGM_RSRC2:TIDIG_COMP_CNT: 0
; COMPUTE_PGM_RSRC3_GFX90A:ACCUM_OFFSET: 0
; COMPUTE_PGM_RSRC3_GFX90A:TG_SPLIT: 0
	.section	.text._ZN7rocprim17ROCPRIM_400000_NS6detail17trampoline_kernelINS0_14default_configENS1_25partition_config_selectorILNS1_17partition_subalgoE8ElNS0_10empty_typeEbEEZZNS1_14partition_implILS5_8ELb0ES3_jPlPS6_PKS6_NS0_5tupleIJS9_S6_EEENSD_IJSA_SA_EEENS0_18inequality_wrapperIZN2at6native12_GLOBAL__N_124unique_dim_cuda_templateItEESt5tupleIJNSH_6TensorESM_SM_EERKSM_lbbbEUlllE0_EEPmJS6_EEE10hipError_tPvRmT3_T4_T5_T6_T7_T9_mT8_P12ihipStream_tbDpT10_ENKUlT_T0_E_clISt17integral_constantIbLb0EES1B_IbLb1EEEEDaS17_S18_EUlS17_E_NS1_11comp_targetILNS1_3genE8ELNS1_11target_archE1030ELNS1_3gpuE2ELNS1_3repE0EEENS1_30default_config_static_selectorELNS0_4arch9wavefront6targetE1EEEvT1_,"axG",@progbits,_ZN7rocprim17ROCPRIM_400000_NS6detail17trampoline_kernelINS0_14default_configENS1_25partition_config_selectorILNS1_17partition_subalgoE8ElNS0_10empty_typeEbEEZZNS1_14partition_implILS5_8ELb0ES3_jPlPS6_PKS6_NS0_5tupleIJS9_S6_EEENSD_IJSA_SA_EEENS0_18inequality_wrapperIZN2at6native12_GLOBAL__N_124unique_dim_cuda_templateItEESt5tupleIJNSH_6TensorESM_SM_EERKSM_lbbbEUlllE0_EEPmJS6_EEE10hipError_tPvRmT3_T4_T5_T6_T7_T9_mT8_P12ihipStream_tbDpT10_ENKUlT_T0_E_clISt17integral_constantIbLb0EES1B_IbLb1EEEEDaS17_S18_EUlS17_E_NS1_11comp_targetILNS1_3genE8ELNS1_11target_archE1030ELNS1_3gpuE2ELNS1_3repE0EEENS1_30default_config_static_selectorELNS0_4arch9wavefront6targetE1EEEvT1_,comdat
	.globl	_ZN7rocprim17ROCPRIM_400000_NS6detail17trampoline_kernelINS0_14default_configENS1_25partition_config_selectorILNS1_17partition_subalgoE8ElNS0_10empty_typeEbEEZZNS1_14partition_implILS5_8ELb0ES3_jPlPS6_PKS6_NS0_5tupleIJS9_S6_EEENSD_IJSA_SA_EEENS0_18inequality_wrapperIZN2at6native12_GLOBAL__N_124unique_dim_cuda_templateItEESt5tupleIJNSH_6TensorESM_SM_EERKSM_lbbbEUlllE0_EEPmJS6_EEE10hipError_tPvRmT3_T4_T5_T6_T7_T9_mT8_P12ihipStream_tbDpT10_ENKUlT_T0_E_clISt17integral_constantIbLb0EES1B_IbLb1EEEEDaS17_S18_EUlS17_E_NS1_11comp_targetILNS1_3genE8ELNS1_11target_archE1030ELNS1_3gpuE2ELNS1_3repE0EEENS1_30default_config_static_selectorELNS0_4arch9wavefront6targetE1EEEvT1_ ; -- Begin function _ZN7rocprim17ROCPRIM_400000_NS6detail17trampoline_kernelINS0_14default_configENS1_25partition_config_selectorILNS1_17partition_subalgoE8ElNS0_10empty_typeEbEEZZNS1_14partition_implILS5_8ELb0ES3_jPlPS6_PKS6_NS0_5tupleIJS9_S6_EEENSD_IJSA_SA_EEENS0_18inequality_wrapperIZN2at6native12_GLOBAL__N_124unique_dim_cuda_templateItEESt5tupleIJNSH_6TensorESM_SM_EERKSM_lbbbEUlllE0_EEPmJS6_EEE10hipError_tPvRmT3_T4_T5_T6_T7_T9_mT8_P12ihipStream_tbDpT10_ENKUlT_T0_E_clISt17integral_constantIbLb0EES1B_IbLb1EEEEDaS17_S18_EUlS17_E_NS1_11comp_targetILNS1_3genE8ELNS1_11target_archE1030ELNS1_3gpuE2ELNS1_3repE0EEENS1_30default_config_static_selectorELNS0_4arch9wavefront6targetE1EEEvT1_
	.p2align	8
	.type	_ZN7rocprim17ROCPRIM_400000_NS6detail17trampoline_kernelINS0_14default_configENS1_25partition_config_selectorILNS1_17partition_subalgoE8ElNS0_10empty_typeEbEEZZNS1_14partition_implILS5_8ELb0ES3_jPlPS6_PKS6_NS0_5tupleIJS9_S6_EEENSD_IJSA_SA_EEENS0_18inequality_wrapperIZN2at6native12_GLOBAL__N_124unique_dim_cuda_templateItEESt5tupleIJNSH_6TensorESM_SM_EERKSM_lbbbEUlllE0_EEPmJS6_EEE10hipError_tPvRmT3_T4_T5_T6_T7_T9_mT8_P12ihipStream_tbDpT10_ENKUlT_T0_E_clISt17integral_constantIbLb0EES1B_IbLb1EEEEDaS17_S18_EUlS17_E_NS1_11comp_targetILNS1_3genE8ELNS1_11target_archE1030ELNS1_3gpuE2ELNS1_3repE0EEENS1_30default_config_static_selectorELNS0_4arch9wavefront6targetE1EEEvT1_,@function
_ZN7rocprim17ROCPRIM_400000_NS6detail17trampoline_kernelINS0_14default_configENS1_25partition_config_selectorILNS1_17partition_subalgoE8ElNS0_10empty_typeEbEEZZNS1_14partition_implILS5_8ELb0ES3_jPlPS6_PKS6_NS0_5tupleIJS9_S6_EEENSD_IJSA_SA_EEENS0_18inequality_wrapperIZN2at6native12_GLOBAL__N_124unique_dim_cuda_templateItEESt5tupleIJNSH_6TensorESM_SM_EERKSM_lbbbEUlllE0_EEPmJS6_EEE10hipError_tPvRmT3_T4_T5_T6_T7_T9_mT8_P12ihipStream_tbDpT10_ENKUlT_T0_E_clISt17integral_constantIbLb0EES1B_IbLb1EEEEDaS17_S18_EUlS17_E_NS1_11comp_targetILNS1_3genE8ELNS1_11target_archE1030ELNS1_3gpuE2ELNS1_3repE0EEENS1_30default_config_static_selectorELNS0_4arch9wavefront6targetE1EEEvT1_: ; @_ZN7rocprim17ROCPRIM_400000_NS6detail17trampoline_kernelINS0_14default_configENS1_25partition_config_selectorILNS1_17partition_subalgoE8ElNS0_10empty_typeEbEEZZNS1_14partition_implILS5_8ELb0ES3_jPlPS6_PKS6_NS0_5tupleIJS9_S6_EEENSD_IJSA_SA_EEENS0_18inequality_wrapperIZN2at6native12_GLOBAL__N_124unique_dim_cuda_templateItEESt5tupleIJNSH_6TensorESM_SM_EERKSM_lbbbEUlllE0_EEPmJS6_EEE10hipError_tPvRmT3_T4_T5_T6_T7_T9_mT8_P12ihipStream_tbDpT10_ENKUlT_T0_E_clISt17integral_constantIbLb0EES1B_IbLb1EEEEDaS17_S18_EUlS17_E_NS1_11comp_targetILNS1_3genE8ELNS1_11target_archE1030ELNS1_3gpuE2ELNS1_3repE0EEENS1_30default_config_static_selectorELNS0_4arch9wavefront6targetE1EEEvT1_
; %bb.0:
	.section	.rodata,"a",@progbits
	.p2align	6, 0x0
	.amdhsa_kernel _ZN7rocprim17ROCPRIM_400000_NS6detail17trampoline_kernelINS0_14default_configENS1_25partition_config_selectorILNS1_17partition_subalgoE8ElNS0_10empty_typeEbEEZZNS1_14partition_implILS5_8ELb0ES3_jPlPS6_PKS6_NS0_5tupleIJS9_S6_EEENSD_IJSA_SA_EEENS0_18inequality_wrapperIZN2at6native12_GLOBAL__N_124unique_dim_cuda_templateItEESt5tupleIJNSH_6TensorESM_SM_EERKSM_lbbbEUlllE0_EEPmJS6_EEE10hipError_tPvRmT3_T4_T5_T6_T7_T9_mT8_P12ihipStream_tbDpT10_ENKUlT_T0_E_clISt17integral_constantIbLb0EES1B_IbLb1EEEEDaS17_S18_EUlS17_E_NS1_11comp_targetILNS1_3genE8ELNS1_11target_archE1030ELNS1_3gpuE2ELNS1_3repE0EEENS1_30default_config_static_selectorELNS0_4arch9wavefront6targetE1EEEvT1_
		.amdhsa_group_segment_fixed_size 0
		.amdhsa_private_segment_fixed_size 0
		.amdhsa_kernarg_size 136
		.amdhsa_user_sgpr_count 6
		.amdhsa_user_sgpr_private_segment_buffer 1
		.amdhsa_user_sgpr_dispatch_ptr 0
		.amdhsa_user_sgpr_queue_ptr 0
		.amdhsa_user_sgpr_kernarg_segment_ptr 1
		.amdhsa_user_sgpr_dispatch_id 0
		.amdhsa_user_sgpr_flat_scratch_init 0
		.amdhsa_user_sgpr_kernarg_preload_length 0
		.amdhsa_user_sgpr_kernarg_preload_offset 0
		.amdhsa_user_sgpr_private_segment_size 0
		.amdhsa_uses_dynamic_stack 0
		.amdhsa_system_sgpr_private_segment_wavefront_offset 0
		.amdhsa_system_sgpr_workgroup_id_x 1
		.amdhsa_system_sgpr_workgroup_id_y 0
		.amdhsa_system_sgpr_workgroup_id_z 0
		.amdhsa_system_sgpr_workgroup_info 0
		.amdhsa_system_vgpr_workitem_id 0
		.amdhsa_next_free_vgpr 1
		.amdhsa_next_free_sgpr 0
		.amdhsa_accum_offset 4
		.amdhsa_reserve_vcc 0
		.amdhsa_reserve_flat_scratch 0
		.amdhsa_float_round_mode_32 0
		.amdhsa_float_round_mode_16_64 0
		.amdhsa_float_denorm_mode_32 3
		.amdhsa_float_denorm_mode_16_64 3
		.amdhsa_dx10_clamp 1
		.amdhsa_ieee_mode 1
		.amdhsa_fp16_overflow 0
		.amdhsa_tg_split 0
		.amdhsa_exception_fp_ieee_invalid_op 0
		.amdhsa_exception_fp_denorm_src 0
		.amdhsa_exception_fp_ieee_div_zero 0
		.amdhsa_exception_fp_ieee_overflow 0
		.amdhsa_exception_fp_ieee_underflow 0
		.amdhsa_exception_fp_ieee_inexact 0
		.amdhsa_exception_int_div_zero 0
	.end_amdhsa_kernel
	.section	.text._ZN7rocprim17ROCPRIM_400000_NS6detail17trampoline_kernelINS0_14default_configENS1_25partition_config_selectorILNS1_17partition_subalgoE8ElNS0_10empty_typeEbEEZZNS1_14partition_implILS5_8ELb0ES3_jPlPS6_PKS6_NS0_5tupleIJS9_S6_EEENSD_IJSA_SA_EEENS0_18inequality_wrapperIZN2at6native12_GLOBAL__N_124unique_dim_cuda_templateItEESt5tupleIJNSH_6TensorESM_SM_EERKSM_lbbbEUlllE0_EEPmJS6_EEE10hipError_tPvRmT3_T4_T5_T6_T7_T9_mT8_P12ihipStream_tbDpT10_ENKUlT_T0_E_clISt17integral_constantIbLb0EES1B_IbLb1EEEEDaS17_S18_EUlS17_E_NS1_11comp_targetILNS1_3genE8ELNS1_11target_archE1030ELNS1_3gpuE2ELNS1_3repE0EEENS1_30default_config_static_selectorELNS0_4arch9wavefront6targetE1EEEvT1_,"axG",@progbits,_ZN7rocprim17ROCPRIM_400000_NS6detail17trampoline_kernelINS0_14default_configENS1_25partition_config_selectorILNS1_17partition_subalgoE8ElNS0_10empty_typeEbEEZZNS1_14partition_implILS5_8ELb0ES3_jPlPS6_PKS6_NS0_5tupleIJS9_S6_EEENSD_IJSA_SA_EEENS0_18inequality_wrapperIZN2at6native12_GLOBAL__N_124unique_dim_cuda_templateItEESt5tupleIJNSH_6TensorESM_SM_EERKSM_lbbbEUlllE0_EEPmJS6_EEE10hipError_tPvRmT3_T4_T5_T6_T7_T9_mT8_P12ihipStream_tbDpT10_ENKUlT_T0_E_clISt17integral_constantIbLb0EES1B_IbLb1EEEEDaS17_S18_EUlS17_E_NS1_11comp_targetILNS1_3genE8ELNS1_11target_archE1030ELNS1_3gpuE2ELNS1_3repE0EEENS1_30default_config_static_selectorELNS0_4arch9wavefront6targetE1EEEvT1_,comdat
.Lfunc_end1448:
	.size	_ZN7rocprim17ROCPRIM_400000_NS6detail17trampoline_kernelINS0_14default_configENS1_25partition_config_selectorILNS1_17partition_subalgoE8ElNS0_10empty_typeEbEEZZNS1_14partition_implILS5_8ELb0ES3_jPlPS6_PKS6_NS0_5tupleIJS9_S6_EEENSD_IJSA_SA_EEENS0_18inequality_wrapperIZN2at6native12_GLOBAL__N_124unique_dim_cuda_templateItEESt5tupleIJNSH_6TensorESM_SM_EERKSM_lbbbEUlllE0_EEPmJS6_EEE10hipError_tPvRmT3_T4_T5_T6_T7_T9_mT8_P12ihipStream_tbDpT10_ENKUlT_T0_E_clISt17integral_constantIbLb0EES1B_IbLb1EEEEDaS17_S18_EUlS17_E_NS1_11comp_targetILNS1_3genE8ELNS1_11target_archE1030ELNS1_3gpuE2ELNS1_3repE0EEENS1_30default_config_static_selectorELNS0_4arch9wavefront6targetE1EEEvT1_, .Lfunc_end1448-_ZN7rocprim17ROCPRIM_400000_NS6detail17trampoline_kernelINS0_14default_configENS1_25partition_config_selectorILNS1_17partition_subalgoE8ElNS0_10empty_typeEbEEZZNS1_14partition_implILS5_8ELb0ES3_jPlPS6_PKS6_NS0_5tupleIJS9_S6_EEENSD_IJSA_SA_EEENS0_18inequality_wrapperIZN2at6native12_GLOBAL__N_124unique_dim_cuda_templateItEESt5tupleIJNSH_6TensorESM_SM_EERKSM_lbbbEUlllE0_EEPmJS6_EEE10hipError_tPvRmT3_T4_T5_T6_T7_T9_mT8_P12ihipStream_tbDpT10_ENKUlT_T0_E_clISt17integral_constantIbLb0EES1B_IbLb1EEEEDaS17_S18_EUlS17_E_NS1_11comp_targetILNS1_3genE8ELNS1_11target_archE1030ELNS1_3gpuE2ELNS1_3repE0EEENS1_30default_config_static_selectorELNS0_4arch9wavefront6targetE1EEEvT1_
                                        ; -- End function
	.section	.AMDGPU.csdata,"",@progbits
; Kernel info:
; codeLenInByte = 0
; NumSgprs: 4
; NumVgprs: 0
; NumAgprs: 0
; TotalNumVgprs: 0
; ScratchSize: 0
; MemoryBound: 0
; FloatMode: 240
; IeeeMode: 1
; LDSByteSize: 0 bytes/workgroup (compile time only)
; SGPRBlocks: 0
; VGPRBlocks: 0
; NumSGPRsForWavesPerEU: 4
; NumVGPRsForWavesPerEU: 1
; AccumOffset: 4
; Occupancy: 8
; WaveLimiterHint : 0
; COMPUTE_PGM_RSRC2:SCRATCH_EN: 0
; COMPUTE_PGM_RSRC2:USER_SGPR: 6
; COMPUTE_PGM_RSRC2:TRAP_HANDLER: 0
; COMPUTE_PGM_RSRC2:TGID_X_EN: 1
; COMPUTE_PGM_RSRC2:TGID_Y_EN: 0
; COMPUTE_PGM_RSRC2:TGID_Z_EN: 0
; COMPUTE_PGM_RSRC2:TIDIG_COMP_CNT: 0
; COMPUTE_PGM_RSRC3_GFX90A:ACCUM_OFFSET: 0
; COMPUTE_PGM_RSRC3_GFX90A:TG_SPLIT: 0
	.section	.text._ZN7rocprim17ROCPRIM_400000_NS6detail17trampoline_kernelINS0_14default_configENS1_25partition_config_selectorILNS1_17partition_subalgoE9EllbEEZZNS1_14partition_implILS5_9ELb0ES3_jPlS8_PNS0_10empty_typeENS0_5tupleIJS8_S9_EEENSB_IJS8_SA_EEENS0_18inequality_wrapperIZN2at6native12_GLOBAL__N_124unique_dim_cuda_templateItEESt5tupleIJNSF_6TensorESK_SK_EERKSK_lbbbEUlllE0_EEPmJS9_EEE10hipError_tPvRmT3_T4_T5_T6_T7_T9_mT8_P12ihipStream_tbDpT10_ENKUlT_T0_E_clISt17integral_constantIbLb0EES1A_EEDaS15_S16_EUlS15_E_NS1_11comp_targetILNS1_3genE0ELNS1_11target_archE4294967295ELNS1_3gpuE0ELNS1_3repE0EEENS1_30default_config_static_selectorELNS0_4arch9wavefront6targetE1EEEvT1_,"axG",@progbits,_ZN7rocprim17ROCPRIM_400000_NS6detail17trampoline_kernelINS0_14default_configENS1_25partition_config_selectorILNS1_17partition_subalgoE9EllbEEZZNS1_14partition_implILS5_9ELb0ES3_jPlS8_PNS0_10empty_typeENS0_5tupleIJS8_S9_EEENSB_IJS8_SA_EEENS0_18inequality_wrapperIZN2at6native12_GLOBAL__N_124unique_dim_cuda_templateItEESt5tupleIJNSF_6TensorESK_SK_EERKSK_lbbbEUlllE0_EEPmJS9_EEE10hipError_tPvRmT3_T4_T5_T6_T7_T9_mT8_P12ihipStream_tbDpT10_ENKUlT_T0_E_clISt17integral_constantIbLb0EES1A_EEDaS15_S16_EUlS15_E_NS1_11comp_targetILNS1_3genE0ELNS1_11target_archE4294967295ELNS1_3gpuE0ELNS1_3repE0EEENS1_30default_config_static_selectorELNS0_4arch9wavefront6targetE1EEEvT1_,comdat
	.globl	_ZN7rocprim17ROCPRIM_400000_NS6detail17trampoline_kernelINS0_14default_configENS1_25partition_config_selectorILNS1_17partition_subalgoE9EllbEEZZNS1_14partition_implILS5_9ELb0ES3_jPlS8_PNS0_10empty_typeENS0_5tupleIJS8_S9_EEENSB_IJS8_SA_EEENS0_18inequality_wrapperIZN2at6native12_GLOBAL__N_124unique_dim_cuda_templateItEESt5tupleIJNSF_6TensorESK_SK_EERKSK_lbbbEUlllE0_EEPmJS9_EEE10hipError_tPvRmT3_T4_T5_T6_T7_T9_mT8_P12ihipStream_tbDpT10_ENKUlT_T0_E_clISt17integral_constantIbLb0EES1A_EEDaS15_S16_EUlS15_E_NS1_11comp_targetILNS1_3genE0ELNS1_11target_archE4294967295ELNS1_3gpuE0ELNS1_3repE0EEENS1_30default_config_static_selectorELNS0_4arch9wavefront6targetE1EEEvT1_ ; -- Begin function _ZN7rocprim17ROCPRIM_400000_NS6detail17trampoline_kernelINS0_14default_configENS1_25partition_config_selectorILNS1_17partition_subalgoE9EllbEEZZNS1_14partition_implILS5_9ELb0ES3_jPlS8_PNS0_10empty_typeENS0_5tupleIJS8_S9_EEENSB_IJS8_SA_EEENS0_18inequality_wrapperIZN2at6native12_GLOBAL__N_124unique_dim_cuda_templateItEESt5tupleIJNSF_6TensorESK_SK_EERKSK_lbbbEUlllE0_EEPmJS9_EEE10hipError_tPvRmT3_T4_T5_T6_T7_T9_mT8_P12ihipStream_tbDpT10_ENKUlT_T0_E_clISt17integral_constantIbLb0EES1A_EEDaS15_S16_EUlS15_E_NS1_11comp_targetILNS1_3genE0ELNS1_11target_archE4294967295ELNS1_3gpuE0ELNS1_3repE0EEENS1_30default_config_static_selectorELNS0_4arch9wavefront6targetE1EEEvT1_
	.p2align	8
	.type	_ZN7rocprim17ROCPRIM_400000_NS6detail17trampoline_kernelINS0_14default_configENS1_25partition_config_selectorILNS1_17partition_subalgoE9EllbEEZZNS1_14partition_implILS5_9ELb0ES3_jPlS8_PNS0_10empty_typeENS0_5tupleIJS8_S9_EEENSB_IJS8_SA_EEENS0_18inequality_wrapperIZN2at6native12_GLOBAL__N_124unique_dim_cuda_templateItEESt5tupleIJNSF_6TensorESK_SK_EERKSK_lbbbEUlllE0_EEPmJS9_EEE10hipError_tPvRmT3_T4_T5_T6_T7_T9_mT8_P12ihipStream_tbDpT10_ENKUlT_T0_E_clISt17integral_constantIbLb0EES1A_EEDaS15_S16_EUlS15_E_NS1_11comp_targetILNS1_3genE0ELNS1_11target_archE4294967295ELNS1_3gpuE0ELNS1_3repE0EEENS1_30default_config_static_selectorELNS0_4arch9wavefront6targetE1EEEvT1_,@function
_ZN7rocprim17ROCPRIM_400000_NS6detail17trampoline_kernelINS0_14default_configENS1_25partition_config_selectorILNS1_17partition_subalgoE9EllbEEZZNS1_14partition_implILS5_9ELb0ES3_jPlS8_PNS0_10empty_typeENS0_5tupleIJS8_S9_EEENSB_IJS8_SA_EEENS0_18inequality_wrapperIZN2at6native12_GLOBAL__N_124unique_dim_cuda_templateItEESt5tupleIJNSF_6TensorESK_SK_EERKSK_lbbbEUlllE0_EEPmJS9_EEE10hipError_tPvRmT3_T4_T5_T6_T7_T9_mT8_P12ihipStream_tbDpT10_ENKUlT_T0_E_clISt17integral_constantIbLb0EES1A_EEDaS15_S16_EUlS15_E_NS1_11comp_targetILNS1_3genE0ELNS1_11target_archE4294967295ELNS1_3gpuE0ELNS1_3repE0EEENS1_30default_config_static_selectorELNS0_4arch9wavefront6targetE1EEEvT1_: ; @_ZN7rocprim17ROCPRIM_400000_NS6detail17trampoline_kernelINS0_14default_configENS1_25partition_config_selectorILNS1_17partition_subalgoE9EllbEEZZNS1_14partition_implILS5_9ELb0ES3_jPlS8_PNS0_10empty_typeENS0_5tupleIJS8_S9_EEENSB_IJS8_SA_EEENS0_18inequality_wrapperIZN2at6native12_GLOBAL__N_124unique_dim_cuda_templateItEESt5tupleIJNSF_6TensorESK_SK_EERKSK_lbbbEUlllE0_EEPmJS9_EEE10hipError_tPvRmT3_T4_T5_T6_T7_T9_mT8_P12ihipStream_tbDpT10_ENKUlT_T0_E_clISt17integral_constantIbLb0EES1A_EEDaS15_S16_EUlS15_E_NS1_11comp_targetILNS1_3genE0ELNS1_11target_archE4294967295ELNS1_3gpuE0ELNS1_3repE0EEENS1_30default_config_static_selectorELNS0_4arch9wavefront6targetE1EEEvT1_
; %bb.0:
	.section	.rodata,"a",@progbits
	.p2align	6, 0x0
	.amdhsa_kernel _ZN7rocprim17ROCPRIM_400000_NS6detail17trampoline_kernelINS0_14default_configENS1_25partition_config_selectorILNS1_17partition_subalgoE9EllbEEZZNS1_14partition_implILS5_9ELb0ES3_jPlS8_PNS0_10empty_typeENS0_5tupleIJS8_S9_EEENSB_IJS8_SA_EEENS0_18inequality_wrapperIZN2at6native12_GLOBAL__N_124unique_dim_cuda_templateItEESt5tupleIJNSF_6TensorESK_SK_EERKSK_lbbbEUlllE0_EEPmJS9_EEE10hipError_tPvRmT3_T4_T5_T6_T7_T9_mT8_P12ihipStream_tbDpT10_ENKUlT_T0_E_clISt17integral_constantIbLb0EES1A_EEDaS15_S16_EUlS15_E_NS1_11comp_targetILNS1_3genE0ELNS1_11target_archE4294967295ELNS1_3gpuE0ELNS1_3repE0EEENS1_30default_config_static_selectorELNS0_4arch9wavefront6targetE1EEEvT1_
		.amdhsa_group_segment_fixed_size 0
		.amdhsa_private_segment_fixed_size 0
		.amdhsa_kernarg_size 120
		.amdhsa_user_sgpr_count 6
		.amdhsa_user_sgpr_private_segment_buffer 1
		.amdhsa_user_sgpr_dispatch_ptr 0
		.amdhsa_user_sgpr_queue_ptr 0
		.amdhsa_user_sgpr_kernarg_segment_ptr 1
		.amdhsa_user_sgpr_dispatch_id 0
		.amdhsa_user_sgpr_flat_scratch_init 0
		.amdhsa_user_sgpr_kernarg_preload_length 0
		.amdhsa_user_sgpr_kernarg_preload_offset 0
		.amdhsa_user_sgpr_private_segment_size 0
		.amdhsa_uses_dynamic_stack 0
		.amdhsa_system_sgpr_private_segment_wavefront_offset 0
		.amdhsa_system_sgpr_workgroup_id_x 1
		.amdhsa_system_sgpr_workgroup_id_y 0
		.amdhsa_system_sgpr_workgroup_id_z 0
		.amdhsa_system_sgpr_workgroup_info 0
		.amdhsa_system_vgpr_workitem_id 0
		.amdhsa_next_free_vgpr 1
		.amdhsa_next_free_sgpr 0
		.amdhsa_accum_offset 4
		.amdhsa_reserve_vcc 0
		.amdhsa_reserve_flat_scratch 0
		.amdhsa_float_round_mode_32 0
		.amdhsa_float_round_mode_16_64 0
		.amdhsa_float_denorm_mode_32 3
		.amdhsa_float_denorm_mode_16_64 3
		.amdhsa_dx10_clamp 1
		.amdhsa_ieee_mode 1
		.amdhsa_fp16_overflow 0
		.amdhsa_tg_split 0
		.amdhsa_exception_fp_ieee_invalid_op 0
		.amdhsa_exception_fp_denorm_src 0
		.amdhsa_exception_fp_ieee_div_zero 0
		.amdhsa_exception_fp_ieee_overflow 0
		.amdhsa_exception_fp_ieee_underflow 0
		.amdhsa_exception_fp_ieee_inexact 0
		.amdhsa_exception_int_div_zero 0
	.end_amdhsa_kernel
	.section	.text._ZN7rocprim17ROCPRIM_400000_NS6detail17trampoline_kernelINS0_14default_configENS1_25partition_config_selectorILNS1_17partition_subalgoE9EllbEEZZNS1_14partition_implILS5_9ELb0ES3_jPlS8_PNS0_10empty_typeENS0_5tupleIJS8_S9_EEENSB_IJS8_SA_EEENS0_18inequality_wrapperIZN2at6native12_GLOBAL__N_124unique_dim_cuda_templateItEESt5tupleIJNSF_6TensorESK_SK_EERKSK_lbbbEUlllE0_EEPmJS9_EEE10hipError_tPvRmT3_T4_T5_T6_T7_T9_mT8_P12ihipStream_tbDpT10_ENKUlT_T0_E_clISt17integral_constantIbLb0EES1A_EEDaS15_S16_EUlS15_E_NS1_11comp_targetILNS1_3genE0ELNS1_11target_archE4294967295ELNS1_3gpuE0ELNS1_3repE0EEENS1_30default_config_static_selectorELNS0_4arch9wavefront6targetE1EEEvT1_,"axG",@progbits,_ZN7rocprim17ROCPRIM_400000_NS6detail17trampoline_kernelINS0_14default_configENS1_25partition_config_selectorILNS1_17partition_subalgoE9EllbEEZZNS1_14partition_implILS5_9ELb0ES3_jPlS8_PNS0_10empty_typeENS0_5tupleIJS8_S9_EEENSB_IJS8_SA_EEENS0_18inequality_wrapperIZN2at6native12_GLOBAL__N_124unique_dim_cuda_templateItEESt5tupleIJNSF_6TensorESK_SK_EERKSK_lbbbEUlllE0_EEPmJS9_EEE10hipError_tPvRmT3_T4_T5_T6_T7_T9_mT8_P12ihipStream_tbDpT10_ENKUlT_T0_E_clISt17integral_constantIbLb0EES1A_EEDaS15_S16_EUlS15_E_NS1_11comp_targetILNS1_3genE0ELNS1_11target_archE4294967295ELNS1_3gpuE0ELNS1_3repE0EEENS1_30default_config_static_selectorELNS0_4arch9wavefront6targetE1EEEvT1_,comdat
.Lfunc_end1449:
	.size	_ZN7rocprim17ROCPRIM_400000_NS6detail17trampoline_kernelINS0_14default_configENS1_25partition_config_selectorILNS1_17partition_subalgoE9EllbEEZZNS1_14partition_implILS5_9ELb0ES3_jPlS8_PNS0_10empty_typeENS0_5tupleIJS8_S9_EEENSB_IJS8_SA_EEENS0_18inequality_wrapperIZN2at6native12_GLOBAL__N_124unique_dim_cuda_templateItEESt5tupleIJNSF_6TensorESK_SK_EERKSK_lbbbEUlllE0_EEPmJS9_EEE10hipError_tPvRmT3_T4_T5_T6_T7_T9_mT8_P12ihipStream_tbDpT10_ENKUlT_T0_E_clISt17integral_constantIbLb0EES1A_EEDaS15_S16_EUlS15_E_NS1_11comp_targetILNS1_3genE0ELNS1_11target_archE4294967295ELNS1_3gpuE0ELNS1_3repE0EEENS1_30default_config_static_selectorELNS0_4arch9wavefront6targetE1EEEvT1_, .Lfunc_end1449-_ZN7rocprim17ROCPRIM_400000_NS6detail17trampoline_kernelINS0_14default_configENS1_25partition_config_selectorILNS1_17partition_subalgoE9EllbEEZZNS1_14partition_implILS5_9ELb0ES3_jPlS8_PNS0_10empty_typeENS0_5tupleIJS8_S9_EEENSB_IJS8_SA_EEENS0_18inequality_wrapperIZN2at6native12_GLOBAL__N_124unique_dim_cuda_templateItEESt5tupleIJNSF_6TensorESK_SK_EERKSK_lbbbEUlllE0_EEPmJS9_EEE10hipError_tPvRmT3_T4_T5_T6_T7_T9_mT8_P12ihipStream_tbDpT10_ENKUlT_T0_E_clISt17integral_constantIbLb0EES1A_EEDaS15_S16_EUlS15_E_NS1_11comp_targetILNS1_3genE0ELNS1_11target_archE4294967295ELNS1_3gpuE0ELNS1_3repE0EEENS1_30default_config_static_selectorELNS0_4arch9wavefront6targetE1EEEvT1_
                                        ; -- End function
	.section	.AMDGPU.csdata,"",@progbits
; Kernel info:
; codeLenInByte = 0
; NumSgprs: 4
; NumVgprs: 0
; NumAgprs: 0
; TotalNumVgprs: 0
; ScratchSize: 0
; MemoryBound: 0
; FloatMode: 240
; IeeeMode: 1
; LDSByteSize: 0 bytes/workgroup (compile time only)
; SGPRBlocks: 0
; VGPRBlocks: 0
; NumSGPRsForWavesPerEU: 4
; NumVGPRsForWavesPerEU: 1
; AccumOffset: 4
; Occupancy: 8
; WaveLimiterHint : 0
; COMPUTE_PGM_RSRC2:SCRATCH_EN: 0
; COMPUTE_PGM_RSRC2:USER_SGPR: 6
; COMPUTE_PGM_RSRC2:TRAP_HANDLER: 0
; COMPUTE_PGM_RSRC2:TGID_X_EN: 1
; COMPUTE_PGM_RSRC2:TGID_Y_EN: 0
; COMPUTE_PGM_RSRC2:TGID_Z_EN: 0
; COMPUTE_PGM_RSRC2:TIDIG_COMP_CNT: 0
; COMPUTE_PGM_RSRC3_GFX90A:ACCUM_OFFSET: 0
; COMPUTE_PGM_RSRC3_GFX90A:TG_SPLIT: 0
	.section	.text._ZN7rocprim17ROCPRIM_400000_NS6detail17trampoline_kernelINS0_14default_configENS1_25partition_config_selectorILNS1_17partition_subalgoE9EllbEEZZNS1_14partition_implILS5_9ELb0ES3_jPlS8_PNS0_10empty_typeENS0_5tupleIJS8_S9_EEENSB_IJS8_SA_EEENS0_18inequality_wrapperIZN2at6native12_GLOBAL__N_124unique_dim_cuda_templateItEESt5tupleIJNSF_6TensorESK_SK_EERKSK_lbbbEUlllE0_EEPmJS9_EEE10hipError_tPvRmT3_T4_T5_T6_T7_T9_mT8_P12ihipStream_tbDpT10_ENKUlT_T0_E_clISt17integral_constantIbLb0EES1A_EEDaS15_S16_EUlS15_E_NS1_11comp_targetILNS1_3genE5ELNS1_11target_archE942ELNS1_3gpuE9ELNS1_3repE0EEENS1_30default_config_static_selectorELNS0_4arch9wavefront6targetE1EEEvT1_,"axG",@progbits,_ZN7rocprim17ROCPRIM_400000_NS6detail17trampoline_kernelINS0_14default_configENS1_25partition_config_selectorILNS1_17partition_subalgoE9EllbEEZZNS1_14partition_implILS5_9ELb0ES3_jPlS8_PNS0_10empty_typeENS0_5tupleIJS8_S9_EEENSB_IJS8_SA_EEENS0_18inequality_wrapperIZN2at6native12_GLOBAL__N_124unique_dim_cuda_templateItEESt5tupleIJNSF_6TensorESK_SK_EERKSK_lbbbEUlllE0_EEPmJS9_EEE10hipError_tPvRmT3_T4_T5_T6_T7_T9_mT8_P12ihipStream_tbDpT10_ENKUlT_T0_E_clISt17integral_constantIbLb0EES1A_EEDaS15_S16_EUlS15_E_NS1_11comp_targetILNS1_3genE5ELNS1_11target_archE942ELNS1_3gpuE9ELNS1_3repE0EEENS1_30default_config_static_selectorELNS0_4arch9wavefront6targetE1EEEvT1_,comdat
	.globl	_ZN7rocprim17ROCPRIM_400000_NS6detail17trampoline_kernelINS0_14default_configENS1_25partition_config_selectorILNS1_17partition_subalgoE9EllbEEZZNS1_14partition_implILS5_9ELb0ES3_jPlS8_PNS0_10empty_typeENS0_5tupleIJS8_S9_EEENSB_IJS8_SA_EEENS0_18inequality_wrapperIZN2at6native12_GLOBAL__N_124unique_dim_cuda_templateItEESt5tupleIJNSF_6TensorESK_SK_EERKSK_lbbbEUlllE0_EEPmJS9_EEE10hipError_tPvRmT3_T4_T5_T6_T7_T9_mT8_P12ihipStream_tbDpT10_ENKUlT_T0_E_clISt17integral_constantIbLb0EES1A_EEDaS15_S16_EUlS15_E_NS1_11comp_targetILNS1_3genE5ELNS1_11target_archE942ELNS1_3gpuE9ELNS1_3repE0EEENS1_30default_config_static_selectorELNS0_4arch9wavefront6targetE1EEEvT1_ ; -- Begin function _ZN7rocprim17ROCPRIM_400000_NS6detail17trampoline_kernelINS0_14default_configENS1_25partition_config_selectorILNS1_17partition_subalgoE9EllbEEZZNS1_14partition_implILS5_9ELb0ES3_jPlS8_PNS0_10empty_typeENS0_5tupleIJS8_S9_EEENSB_IJS8_SA_EEENS0_18inequality_wrapperIZN2at6native12_GLOBAL__N_124unique_dim_cuda_templateItEESt5tupleIJNSF_6TensorESK_SK_EERKSK_lbbbEUlllE0_EEPmJS9_EEE10hipError_tPvRmT3_T4_T5_T6_T7_T9_mT8_P12ihipStream_tbDpT10_ENKUlT_T0_E_clISt17integral_constantIbLb0EES1A_EEDaS15_S16_EUlS15_E_NS1_11comp_targetILNS1_3genE5ELNS1_11target_archE942ELNS1_3gpuE9ELNS1_3repE0EEENS1_30default_config_static_selectorELNS0_4arch9wavefront6targetE1EEEvT1_
	.p2align	8
	.type	_ZN7rocprim17ROCPRIM_400000_NS6detail17trampoline_kernelINS0_14default_configENS1_25partition_config_selectorILNS1_17partition_subalgoE9EllbEEZZNS1_14partition_implILS5_9ELb0ES3_jPlS8_PNS0_10empty_typeENS0_5tupleIJS8_S9_EEENSB_IJS8_SA_EEENS0_18inequality_wrapperIZN2at6native12_GLOBAL__N_124unique_dim_cuda_templateItEESt5tupleIJNSF_6TensorESK_SK_EERKSK_lbbbEUlllE0_EEPmJS9_EEE10hipError_tPvRmT3_T4_T5_T6_T7_T9_mT8_P12ihipStream_tbDpT10_ENKUlT_T0_E_clISt17integral_constantIbLb0EES1A_EEDaS15_S16_EUlS15_E_NS1_11comp_targetILNS1_3genE5ELNS1_11target_archE942ELNS1_3gpuE9ELNS1_3repE0EEENS1_30default_config_static_selectorELNS0_4arch9wavefront6targetE1EEEvT1_,@function
_ZN7rocprim17ROCPRIM_400000_NS6detail17trampoline_kernelINS0_14default_configENS1_25partition_config_selectorILNS1_17partition_subalgoE9EllbEEZZNS1_14partition_implILS5_9ELb0ES3_jPlS8_PNS0_10empty_typeENS0_5tupleIJS8_S9_EEENSB_IJS8_SA_EEENS0_18inequality_wrapperIZN2at6native12_GLOBAL__N_124unique_dim_cuda_templateItEESt5tupleIJNSF_6TensorESK_SK_EERKSK_lbbbEUlllE0_EEPmJS9_EEE10hipError_tPvRmT3_T4_T5_T6_T7_T9_mT8_P12ihipStream_tbDpT10_ENKUlT_T0_E_clISt17integral_constantIbLb0EES1A_EEDaS15_S16_EUlS15_E_NS1_11comp_targetILNS1_3genE5ELNS1_11target_archE942ELNS1_3gpuE9ELNS1_3repE0EEENS1_30default_config_static_selectorELNS0_4arch9wavefront6targetE1EEEvT1_: ; @_ZN7rocprim17ROCPRIM_400000_NS6detail17trampoline_kernelINS0_14default_configENS1_25partition_config_selectorILNS1_17partition_subalgoE9EllbEEZZNS1_14partition_implILS5_9ELb0ES3_jPlS8_PNS0_10empty_typeENS0_5tupleIJS8_S9_EEENSB_IJS8_SA_EEENS0_18inequality_wrapperIZN2at6native12_GLOBAL__N_124unique_dim_cuda_templateItEESt5tupleIJNSF_6TensorESK_SK_EERKSK_lbbbEUlllE0_EEPmJS9_EEE10hipError_tPvRmT3_T4_T5_T6_T7_T9_mT8_P12ihipStream_tbDpT10_ENKUlT_T0_E_clISt17integral_constantIbLb0EES1A_EEDaS15_S16_EUlS15_E_NS1_11comp_targetILNS1_3genE5ELNS1_11target_archE942ELNS1_3gpuE9ELNS1_3repE0EEENS1_30default_config_static_selectorELNS0_4arch9wavefront6targetE1EEEvT1_
; %bb.0:
	.section	.rodata,"a",@progbits
	.p2align	6, 0x0
	.amdhsa_kernel _ZN7rocprim17ROCPRIM_400000_NS6detail17trampoline_kernelINS0_14default_configENS1_25partition_config_selectorILNS1_17partition_subalgoE9EllbEEZZNS1_14partition_implILS5_9ELb0ES3_jPlS8_PNS0_10empty_typeENS0_5tupleIJS8_S9_EEENSB_IJS8_SA_EEENS0_18inequality_wrapperIZN2at6native12_GLOBAL__N_124unique_dim_cuda_templateItEESt5tupleIJNSF_6TensorESK_SK_EERKSK_lbbbEUlllE0_EEPmJS9_EEE10hipError_tPvRmT3_T4_T5_T6_T7_T9_mT8_P12ihipStream_tbDpT10_ENKUlT_T0_E_clISt17integral_constantIbLb0EES1A_EEDaS15_S16_EUlS15_E_NS1_11comp_targetILNS1_3genE5ELNS1_11target_archE942ELNS1_3gpuE9ELNS1_3repE0EEENS1_30default_config_static_selectorELNS0_4arch9wavefront6targetE1EEEvT1_
		.amdhsa_group_segment_fixed_size 0
		.amdhsa_private_segment_fixed_size 0
		.amdhsa_kernarg_size 120
		.amdhsa_user_sgpr_count 6
		.amdhsa_user_sgpr_private_segment_buffer 1
		.amdhsa_user_sgpr_dispatch_ptr 0
		.amdhsa_user_sgpr_queue_ptr 0
		.amdhsa_user_sgpr_kernarg_segment_ptr 1
		.amdhsa_user_sgpr_dispatch_id 0
		.amdhsa_user_sgpr_flat_scratch_init 0
		.amdhsa_user_sgpr_kernarg_preload_length 0
		.amdhsa_user_sgpr_kernarg_preload_offset 0
		.amdhsa_user_sgpr_private_segment_size 0
		.amdhsa_uses_dynamic_stack 0
		.amdhsa_system_sgpr_private_segment_wavefront_offset 0
		.amdhsa_system_sgpr_workgroup_id_x 1
		.amdhsa_system_sgpr_workgroup_id_y 0
		.amdhsa_system_sgpr_workgroup_id_z 0
		.amdhsa_system_sgpr_workgroup_info 0
		.amdhsa_system_vgpr_workitem_id 0
		.amdhsa_next_free_vgpr 1
		.amdhsa_next_free_sgpr 0
		.amdhsa_accum_offset 4
		.amdhsa_reserve_vcc 0
		.amdhsa_reserve_flat_scratch 0
		.amdhsa_float_round_mode_32 0
		.amdhsa_float_round_mode_16_64 0
		.amdhsa_float_denorm_mode_32 3
		.amdhsa_float_denorm_mode_16_64 3
		.amdhsa_dx10_clamp 1
		.amdhsa_ieee_mode 1
		.amdhsa_fp16_overflow 0
		.amdhsa_tg_split 0
		.amdhsa_exception_fp_ieee_invalid_op 0
		.amdhsa_exception_fp_denorm_src 0
		.amdhsa_exception_fp_ieee_div_zero 0
		.amdhsa_exception_fp_ieee_overflow 0
		.amdhsa_exception_fp_ieee_underflow 0
		.amdhsa_exception_fp_ieee_inexact 0
		.amdhsa_exception_int_div_zero 0
	.end_amdhsa_kernel
	.section	.text._ZN7rocprim17ROCPRIM_400000_NS6detail17trampoline_kernelINS0_14default_configENS1_25partition_config_selectorILNS1_17partition_subalgoE9EllbEEZZNS1_14partition_implILS5_9ELb0ES3_jPlS8_PNS0_10empty_typeENS0_5tupleIJS8_S9_EEENSB_IJS8_SA_EEENS0_18inequality_wrapperIZN2at6native12_GLOBAL__N_124unique_dim_cuda_templateItEESt5tupleIJNSF_6TensorESK_SK_EERKSK_lbbbEUlllE0_EEPmJS9_EEE10hipError_tPvRmT3_T4_T5_T6_T7_T9_mT8_P12ihipStream_tbDpT10_ENKUlT_T0_E_clISt17integral_constantIbLb0EES1A_EEDaS15_S16_EUlS15_E_NS1_11comp_targetILNS1_3genE5ELNS1_11target_archE942ELNS1_3gpuE9ELNS1_3repE0EEENS1_30default_config_static_selectorELNS0_4arch9wavefront6targetE1EEEvT1_,"axG",@progbits,_ZN7rocprim17ROCPRIM_400000_NS6detail17trampoline_kernelINS0_14default_configENS1_25partition_config_selectorILNS1_17partition_subalgoE9EllbEEZZNS1_14partition_implILS5_9ELb0ES3_jPlS8_PNS0_10empty_typeENS0_5tupleIJS8_S9_EEENSB_IJS8_SA_EEENS0_18inequality_wrapperIZN2at6native12_GLOBAL__N_124unique_dim_cuda_templateItEESt5tupleIJNSF_6TensorESK_SK_EERKSK_lbbbEUlllE0_EEPmJS9_EEE10hipError_tPvRmT3_T4_T5_T6_T7_T9_mT8_P12ihipStream_tbDpT10_ENKUlT_T0_E_clISt17integral_constantIbLb0EES1A_EEDaS15_S16_EUlS15_E_NS1_11comp_targetILNS1_3genE5ELNS1_11target_archE942ELNS1_3gpuE9ELNS1_3repE0EEENS1_30default_config_static_selectorELNS0_4arch9wavefront6targetE1EEEvT1_,comdat
.Lfunc_end1450:
	.size	_ZN7rocprim17ROCPRIM_400000_NS6detail17trampoline_kernelINS0_14default_configENS1_25partition_config_selectorILNS1_17partition_subalgoE9EllbEEZZNS1_14partition_implILS5_9ELb0ES3_jPlS8_PNS0_10empty_typeENS0_5tupleIJS8_S9_EEENSB_IJS8_SA_EEENS0_18inequality_wrapperIZN2at6native12_GLOBAL__N_124unique_dim_cuda_templateItEESt5tupleIJNSF_6TensorESK_SK_EERKSK_lbbbEUlllE0_EEPmJS9_EEE10hipError_tPvRmT3_T4_T5_T6_T7_T9_mT8_P12ihipStream_tbDpT10_ENKUlT_T0_E_clISt17integral_constantIbLb0EES1A_EEDaS15_S16_EUlS15_E_NS1_11comp_targetILNS1_3genE5ELNS1_11target_archE942ELNS1_3gpuE9ELNS1_3repE0EEENS1_30default_config_static_selectorELNS0_4arch9wavefront6targetE1EEEvT1_, .Lfunc_end1450-_ZN7rocprim17ROCPRIM_400000_NS6detail17trampoline_kernelINS0_14default_configENS1_25partition_config_selectorILNS1_17partition_subalgoE9EllbEEZZNS1_14partition_implILS5_9ELb0ES3_jPlS8_PNS0_10empty_typeENS0_5tupleIJS8_S9_EEENSB_IJS8_SA_EEENS0_18inequality_wrapperIZN2at6native12_GLOBAL__N_124unique_dim_cuda_templateItEESt5tupleIJNSF_6TensorESK_SK_EERKSK_lbbbEUlllE0_EEPmJS9_EEE10hipError_tPvRmT3_T4_T5_T6_T7_T9_mT8_P12ihipStream_tbDpT10_ENKUlT_T0_E_clISt17integral_constantIbLb0EES1A_EEDaS15_S16_EUlS15_E_NS1_11comp_targetILNS1_3genE5ELNS1_11target_archE942ELNS1_3gpuE9ELNS1_3repE0EEENS1_30default_config_static_selectorELNS0_4arch9wavefront6targetE1EEEvT1_
                                        ; -- End function
	.section	.AMDGPU.csdata,"",@progbits
; Kernel info:
; codeLenInByte = 0
; NumSgprs: 4
; NumVgprs: 0
; NumAgprs: 0
; TotalNumVgprs: 0
; ScratchSize: 0
; MemoryBound: 0
; FloatMode: 240
; IeeeMode: 1
; LDSByteSize: 0 bytes/workgroup (compile time only)
; SGPRBlocks: 0
; VGPRBlocks: 0
; NumSGPRsForWavesPerEU: 4
; NumVGPRsForWavesPerEU: 1
; AccumOffset: 4
; Occupancy: 8
; WaveLimiterHint : 0
; COMPUTE_PGM_RSRC2:SCRATCH_EN: 0
; COMPUTE_PGM_RSRC2:USER_SGPR: 6
; COMPUTE_PGM_RSRC2:TRAP_HANDLER: 0
; COMPUTE_PGM_RSRC2:TGID_X_EN: 1
; COMPUTE_PGM_RSRC2:TGID_Y_EN: 0
; COMPUTE_PGM_RSRC2:TGID_Z_EN: 0
; COMPUTE_PGM_RSRC2:TIDIG_COMP_CNT: 0
; COMPUTE_PGM_RSRC3_GFX90A:ACCUM_OFFSET: 0
; COMPUTE_PGM_RSRC3_GFX90A:TG_SPLIT: 0
	.section	.text._ZN7rocprim17ROCPRIM_400000_NS6detail17trampoline_kernelINS0_14default_configENS1_25partition_config_selectorILNS1_17partition_subalgoE9EllbEEZZNS1_14partition_implILS5_9ELb0ES3_jPlS8_PNS0_10empty_typeENS0_5tupleIJS8_S9_EEENSB_IJS8_SA_EEENS0_18inequality_wrapperIZN2at6native12_GLOBAL__N_124unique_dim_cuda_templateItEESt5tupleIJNSF_6TensorESK_SK_EERKSK_lbbbEUlllE0_EEPmJS9_EEE10hipError_tPvRmT3_T4_T5_T6_T7_T9_mT8_P12ihipStream_tbDpT10_ENKUlT_T0_E_clISt17integral_constantIbLb0EES1A_EEDaS15_S16_EUlS15_E_NS1_11comp_targetILNS1_3genE4ELNS1_11target_archE910ELNS1_3gpuE8ELNS1_3repE0EEENS1_30default_config_static_selectorELNS0_4arch9wavefront6targetE1EEEvT1_,"axG",@progbits,_ZN7rocprim17ROCPRIM_400000_NS6detail17trampoline_kernelINS0_14default_configENS1_25partition_config_selectorILNS1_17partition_subalgoE9EllbEEZZNS1_14partition_implILS5_9ELb0ES3_jPlS8_PNS0_10empty_typeENS0_5tupleIJS8_S9_EEENSB_IJS8_SA_EEENS0_18inequality_wrapperIZN2at6native12_GLOBAL__N_124unique_dim_cuda_templateItEESt5tupleIJNSF_6TensorESK_SK_EERKSK_lbbbEUlllE0_EEPmJS9_EEE10hipError_tPvRmT3_T4_T5_T6_T7_T9_mT8_P12ihipStream_tbDpT10_ENKUlT_T0_E_clISt17integral_constantIbLb0EES1A_EEDaS15_S16_EUlS15_E_NS1_11comp_targetILNS1_3genE4ELNS1_11target_archE910ELNS1_3gpuE8ELNS1_3repE0EEENS1_30default_config_static_selectorELNS0_4arch9wavefront6targetE1EEEvT1_,comdat
	.globl	_ZN7rocprim17ROCPRIM_400000_NS6detail17trampoline_kernelINS0_14default_configENS1_25partition_config_selectorILNS1_17partition_subalgoE9EllbEEZZNS1_14partition_implILS5_9ELb0ES3_jPlS8_PNS0_10empty_typeENS0_5tupleIJS8_S9_EEENSB_IJS8_SA_EEENS0_18inequality_wrapperIZN2at6native12_GLOBAL__N_124unique_dim_cuda_templateItEESt5tupleIJNSF_6TensorESK_SK_EERKSK_lbbbEUlllE0_EEPmJS9_EEE10hipError_tPvRmT3_T4_T5_T6_T7_T9_mT8_P12ihipStream_tbDpT10_ENKUlT_T0_E_clISt17integral_constantIbLb0EES1A_EEDaS15_S16_EUlS15_E_NS1_11comp_targetILNS1_3genE4ELNS1_11target_archE910ELNS1_3gpuE8ELNS1_3repE0EEENS1_30default_config_static_selectorELNS0_4arch9wavefront6targetE1EEEvT1_ ; -- Begin function _ZN7rocprim17ROCPRIM_400000_NS6detail17trampoline_kernelINS0_14default_configENS1_25partition_config_selectorILNS1_17partition_subalgoE9EllbEEZZNS1_14partition_implILS5_9ELb0ES3_jPlS8_PNS0_10empty_typeENS0_5tupleIJS8_S9_EEENSB_IJS8_SA_EEENS0_18inequality_wrapperIZN2at6native12_GLOBAL__N_124unique_dim_cuda_templateItEESt5tupleIJNSF_6TensorESK_SK_EERKSK_lbbbEUlllE0_EEPmJS9_EEE10hipError_tPvRmT3_T4_T5_T6_T7_T9_mT8_P12ihipStream_tbDpT10_ENKUlT_T0_E_clISt17integral_constantIbLb0EES1A_EEDaS15_S16_EUlS15_E_NS1_11comp_targetILNS1_3genE4ELNS1_11target_archE910ELNS1_3gpuE8ELNS1_3repE0EEENS1_30default_config_static_selectorELNS0_4arch9wavefront6targetE1EEEvT1_
	.p2align	8
	.type	_ZN7rocprim17ROCPRIM_400000_NS6detail17trampoline_kernelINS0_14default_configENS1_25partition_config_selectorILNS1_17partition_subalgoE9EllbEEZZNS1_14partition_implILS5_9ELb0ES3_jPlS8_PNS0_10empty_typeENS0_5tupleIJS8_S9_EEENSB_IJS8_SA_EEENS0_18inequality_wrapperIZN2at6native12_GLOBAL__N_124unique_dim_cuda_templateItEESt5tupleIJNSF_6TensorESK_SK_EERKSK_lbbbEUlllE0_EEPmJS9_EEE10hipError_tPvRmT3_T4_T5_T6_T7_T9_mT8_P12ihipStream_tbDpT10_ENKUlT_T0_E_clISt17integral_constantIbLb0EES1A_EEDaS15_S16_EUlS15_E_NS1_11comp_targetILNS1_3genE4ELNS1_11target_archE910ELNS1_3gpuE8ELNS1_3repE0EEENS1_30default_config_static_selectorELNS0_4arch9wavefront6targetE1EEEvT1_,@function
_ZN7rocprim17ROCPRIM_400000_NS6detail17trampoline_kernelINS0_14default_configENS1_25partition_config_selectorILNS1_17partition_subalgoE9EllbEEZZNS1_14partition_implILS5_9ELb0ES3_jPlS8_PNS0_10empty_typeENS0_5tupleIJS8_S9_EEENSB_IJS8_SA_EEENS0_18inequality_wrapperIZN2at6native12_GLOBAL__N_124unique_dim_cuda_templateItEESt5tupleIJNSF_6TensorESK_SK_EERKSK_lbbbEUlllE0_EEPmJS9_EEE10hipError_tPvRmT3_T4_T5_T6_T7_T9_mT8_P12ihipStream_tbDpT10_ENKUlT_T0_E_clISt17integral_constantIbLb0EES1A_EEDaS15_S16_EUlS15_E_NS1_11comp_targetILNS1_3genE4ELNS1_11target_archE910ELNS1_3gpuE8ELNS1_3repE0EEENS1_30default_config_static_selectorELNS0_4arch9wavefront6targetE1EEEvT1_: ; @_ZN7rocprim17ROCPRIM_400000_NS6detail17trampoline_kernelINS0_14default_configENS1_25partition_config_selectorILNS1_17partition_subalgoE9EllbEEZZNS1_14partition_implILS5_9ELb0ES3_jPlS8_PNS0_10empty_typeENS0_5tupleIJS8_S9_EEENSB_IJS8_SA_EEENS0_18inequality_wrapperIZN2at6native12_GLOBAL__N_124unique_dim_cuda_templateItEESt5tupleIJNSF_6TensorESK_SK_EERKSK_lbbbEUlllE0_EEPmJS9_EEE10hipError_tPvRmT3_T4_T5_T6_T7_T9_mT8_P12ihipStream_tbDpT10_ENKUlT_T0_E_clISt17integral_constantIbLb0EES1A_EEDaS15_S16_EUlS15_E_NS1_11comp_targetILNS1_3genE4ELNS1_11target_archE910ELNS1_3gpuE8ELNS1_3repE0EEENS1_30default_config_static_selectorELNS0_4arch9wavefront6targetE1EEEvT1_
; %bb.0:
	s_load_dwordx8 s[20:27], s[4:5], 0x40
	s_load_dwordx4 s[0:3], s[4:5], 0x8
	s_load_dwordx2 s[12:13], s[4:5], 0x18
	s_load_dword s9, s[4:5], 0x70
	v_lshrrev_b32_e32 v18, 2, v0
	s_waitcnt lgkmcnt(0)
	v_mov_b32_e32 v2, s24
	s_lshl_b64 s[14:15], s[2:3], 3
	s_add_u32 s18, s0, s14
	s_addc_u32 s19, s1, s15
	s_add_i32 s10, s9, -1
	s_lshl_b32 s0, s10, 9
	s_add_i32 s0, s2, s0
	s_lshl_b32 s8, s6, 9
	s_sub_i32 s7, s24, s0
	s_lshl_b32 s0, s9, 9
	s_add_u32 s0, s2, s0
	s_addc_u32 s1, s3, 0
	v_mov_b32_e32 v3, s25
	s_cmp_eq_u32 s6, s10
	s_load_dwordx2 s[22:23], s[22:23], 0x0
	v_cmp_ge_u64_e32 vcc, s[0:1], v[2:3]
	s_cselect_b64 s[24:25], -1, 0
	s_mov_b32 s9, 0
	s_and_b64 s[10:11], s[24:25], vcc
	s_xor_b64 s[34:35], s[10:11], -1
	s_lshl_b64 s[16:17], s[8:9], 3
	s_add_u32 s8, s18, s16
	s_mov_b64 s[0:1], -1
	s_addc_u32 s9, s19, s17
	s_and_b64 vcc, exec, s[34:35]
	s_cbranch_vccz .LBB1451_2
; %bb.1:
	v_lshlrev_b32_e32 v1, 3, v0
	global_load_dwordx2 v[2:3], v1, s[8:9]
	global_load_dwordx2 v[4:5], v1, s[8:9] offset:1024
	global_load_dwordx2 v[6:7], v1, s[8:9] offset:2048
	;; [unrolled: 1-line block ×3, first 2 shown]
	v_or_b32_e32 v11, 0x80, v0
	v_or_b32_e32 v12, 0x100, v0
	;; [unrolled: 1-line block ×3, first 2 shown]
	v_and_b32_e32 v10, 24, v18
	v_lshrrev_b32_e32 v11, 2, v11
	v_lshrrev_b32_e32 v12, 2, v12
	;; [unrolled: 1-line block ×3, first 2 shown]
	v_add_u32_e32 v10, v10, v1
	v_and_b32_e32 v11, 56, v11
	v_and_b32_e32 v12, 0x58, v12
	;; [unrolled: 1-line block ×3, first 2 shown]
	v_add_u32_e32 v11, v11, v1
	v_add_u32_e32 v12, v12, v1
	;; [unrolled: 1-line block ×3, first 2 shown]
	s_mov_b64 s[0:1], 0
	s_waitcnt vmcnt(3)
	ds_write_b64 v10, v[2:3]
	s_waitcnt vmcnt(2)
	ds_write_b64 v11, v[4:5] offset:1024
	s_waitcnt vmcnt(1)
	ds_write_b64 v12, v[6:7] offset:2048
	;; [unrolled: 2-line block ×3, first 2 shown]
	s_waitcnt lgkmcnt(0)
	s_barrier
.LBB1451_2:
	s_load_dwordx4 s[28:31], s[4:5], 0x60
	s_andn2_b64 vcc, exec, s[0:1]
	v_cmp_gt_u32_e64 s[0:1], s7, v0
	s_cbranch_vccnz .LBB1451_12
; %bb.3:
                                        ; implicit-def: $vgpr2_vgpr3_vgpr4_vgpr5_vgpr6_vgpr7_vgpr8_vgpr9
	s_and_saveexec_b64 s[18:19], s[0:1]
	s_cbranch_execz .LBB1451_5
; %bb.4:
	v_lshlrev_b32_e32 v1, 3, v0
	global_load_dwordx2 v[2:3], v1, s[8:9]
.LBB1451_5:
	s_or_b64 exec, exec, s[18:19]
	v_or_b32_e32 v1, 0x80, v0
	v_cmp_gt_u32_e32 vcc, s7, v1
	s_and_saveexec_b64 s[0:1], vcc
	s_cbranch_execz .LBB1451_7
; %bb.6:
	v_lshlrev_b32_e32 v4, 3, v0
	global_load_dwordx2 v[4:5], v4, s[8:9] offset:1024
.LBB1451_7:
	s_or_b64 exec, exec, s[0:1]
	v_or_b32_e32 v10, 0x100, v0
	v_cmp_gt_u32_e32 vcc, s7, v10
	s_and_saveexec_b64 s[0:1], vcc
	s_cbranch_execz .LBB1451_9
; %bb.8:
	v_lshlrev_b32_e32 v6, 3, v0
	global_load_dwordx2 v[6:7], v6, s[8:9] offset:2048
.LBB1451_9:
	;; [unrolled: 9-line block ×3, first 2 shown]
	s_or_b64 exec, exec, s[0:1]
	v_lshrrev_b32_e32 v1, 2, v1
	v_lshlrev_b32_e32 v13, 3, v0
	v_and_b32_e32 v1, 56, v1
	v_add_u32_e32 v1, v1, v13
	s_waitcnt vmcnt(0)
	ds_write_b64 v1, v[4:5] offset:1024
	v_lshrrev_b32_e32 v1, 2, v10
	v_and_b32_e32 v1, 0x78, v1
	v_add_u32_e32 v1, v1, v13
	ds_write_b64 v1, v[6:7] offset:2048
	v_lshrrev_b32_e32 v1, 2, v11
	v_and_b32_e32 v12, 24, v18
	v_and_b32_e32 v1, 0x78, v1
	v_add_u32_e32 v12, v12, v13
	v_add_u32_e32 v1, v1, v13
	ds_write_b64 v12, v[2:3]
	ds_write_b64 v1, v[8:9] offset:3072
	s_waitcnt lgkmcnt(0)
	s_barrier
.LBB1451_12:
	v_lshlrev_b32_e32 v1, 2, v0
	v_lshrrev_b32_e32 v2, 3, v0
	v_add_lshl_u32 v19, v2, v1, 3
	s_waitcnt lgkmcnt(0)
	ds_read2_b64 v[14:17], v19 offset1:1
	ds_read2_b64 v[10:13], v19 offset0:2 offset1:3
	s_add_u32 s0, s12, s14
	s_addc_u32 s1, s13, s15
	s_add_u32 s0, s0, s16
	s_addc_u32 s1, s1, s17
	s_mov_b64 s[12:13], -1
	s_and_b64 vcc, exec, s[34:35]
	s_waitcnt lgkmcnt(0)
	s_barrier
	s_cbranch_vccz .LBB1451_14
; %bb.13:
	v_lshlrev_b32_e32 v20, 3, v0
	global_load_dwordx2 v[2:3], v20, s[0:1]
	global_load_dwordx2 v[4:5], v20, s[0:1] offset:1024
	global_load_dwordx2 v[6:7], v20, s[0:1] offset:2048
	;; [unrolled: 1-line block ×3, first 2 shown]
	v_or_b32_e32 v22, 0x80, v0
	v_or_b32_e32 v23, 0x100, v0
	;; [unrolled: 1-line block ×3, first 2 shown]
	v_and_b32_e32 v21, 24, v18
	v_lshrrev_b32_e32 v22, 2, v22
	v_lshrrev_b32_e32 v23, 2, v23
	;; [unrolled: 1-line block ×3, first 2 shown]
	v_add_u32_e32 v21, v21, v20
	v_and_b32_e32 v22, 56, v22
	v_and_b32_e32 v23, 0x58, v23
	;; [unrolled: 1-line block ×3, first 2 shown]
	v_add_u32_e32 v22, v22, v20
	v_add_u32_e32 v23, v23, v20
	;; [unrolled: 1-line block ×3, first 2 shown]
	s_mov_b64 s[12:13], 0
	s_waitcnt vmcnt(3)
	ds_write_b64 v21, v[2:3]
	s_waitcnt vmcnt(2)
	ds_write_b64 v22, v[4:5] offset:1024
	s_waitcnt vmcnt(1)
	ds_write_b64 v23, v[6:7] offset:2048
	s_waitcnt vmcnt(0)
	ds_write_b64 v20, v[8:9] offset:3072
	s_waitcnt lgkmcnt(0)
	s_barrier
.LBB1451_14:
	s_andn2_b64 vcc, exec, s[12:13]
	s_cbranch_vccnz .LBB1451_24
; %bb.15:
	v_cmp_gt_u32_e32 vcc, s7, v0
                                        ; implicit-def: $vgpr2_vgpr3
	s_and_saveexec_b64 s[12:13], vcc
	s_cbranch_execz .LBB1451_17
; %bb.16:
	v_lshlrev_b32_e32 v2, 3, v0
	global_load_dwordx2 v[2:3], v2, s[0:1]
.LBB1451_17:
	s_or_b64 exec, exec, s[12:13]
	v_or_b32_e32 v20, 0x80, v0
	v_cmp_gt_u32_e32 vcc, s7, v20
                                        ; implicit-def: $vgpr4_vgpr5
	s_and_saveexec_b64 s[12:13], vcc
	s_cbranch_execz .LBB1451_19
; %bb.18:
	v_lshlrev_b32_e32 v4, 3, v0
	global_load_dwordx2 v[4:5], v4, s[0:1] offset:1024
.LBB1451_19:
	s_or_b64 exec, exec, s[12:13]
	v_or_b32_e32 v21, 0x100, v0
	v_cmp_gt_u32_e32 vcc, s7, v21
                                        ; implicit-def: $vgpr6_vgpr7
	s_and_saveexec_b64 s[12:13], vcc
	s_cbranch_execz .LBB1451_21
; %bb.20:
	v_lshlrev_b32_e32 v6, 3, v0
	global_load_dwordx2 v[6:7], v6, s[0:1] offset:2048
.LBB1451_21:
	s_or_b64 exec, exec, s[12:13]
	v_or_b32_e32 v22, 0x180, v0
	v_cmp_gt_u32_e32 vcc, s7, v22
                                        ; implicit-def: $vgpr8_vgpr9
	s_and_saveexec_b64 s[12:13], vcc
	s_cbranch_execz .LBB1451_23
; %bb.22:
	v_lshlrev_b32_e32 v8, 3, v0
	global_load_dwordx2 v[8:9], v8, s[0:1] offset:3072
.LBB1451_23:
	s_or_b64 exec, exec, s[12:13]
	v_and_b32_e32 v18, 24, v18
	v_lshlrev_b32_e32 v23, 3, v0
	v_add_u32_e32 v18, v18, v23
	s_waitcnt vmcnt(0)
	ds_write_b64 v18, v[2:3]
	v_lshrrev_b32_e32 v2, 2, v20
	v_and_b32_e32 v2, 56, v2
	v_add_u32_e32 v2, v2, v23
	ds_write_b64 v2, v[4:5] offset:1024
	v_lshrrev_b32_e32 v2, 2, v21
	v_and_b32_e32 v2, 0x78, v2
	v_add_u32_e32 v2, v2, v23
	ds_write_b64 v2, v[6:7] offset:2048
	v_lshrrev_b32_e32 v2, 2, v22
	v_and_b32_e32 v2, 0x78, v2
	v_add_u32_e32 v2, v2, v23
	ds_write_b64 v2, v[8:9] offset:3072
	s_waitcnt lgkmcnt(0)
	s_barrier
.LBB1451_24:
	ds_read2_b64 v[6:9], v19 offset1:1
	ds_read2_b64 v[2:5], v19 offset0:2 offset1:3
	s_cmp_lg_u32 s6, 0
	s_cselect_b64 s[16:17], -1, 0
	s_cmp_lg_u64 s[2:3], 0
	s_cselect_b64 s[0:1], -1, 0
	s_or_b64 s[0:1], s[16:17], s[0:1]
	s_mov_b64 s[12:13], 0
	s_and_b64 vcc, exec, s[0:1]
	v_cmp_gt_i64_e64 s[0:1], s[26:27], 0
	s_waitcnt lgkmcnt(0)
	s_barrier
	s_cbranch_vccz .LBB1451_33
; %bb.25:
	s_add_u32 s2, s8, -8
	s_addc_u32 s3, s9, -1
	s_load_dwordx2 s[12:13], s[2:3], 0x0
	v_cndmask_b32_e64 v18, 0, 1, s[0:1]
	v_lshlrev_b32_e32 v26, 3, v0
	s_mov_b64 s[14:15], 0
	s_and_b64 vcc, exec, s[34:35]
	v_cmp_ne_u32_e64 s[0:1], 1, v18
	ds_write_b64 v26, v[12:13]
	s_cbranch_vccz .LBB1451_34
; %bb.26:
	v_mul_lo_u32 v20, v11, s26
	v_mul_lo_u32 v21, v10, s27
	v_mad_u64_u32 v[18:19], s[2:3], v10, s26, 0
	v_add3_u32 v19, v19, v21, v20
	s_and_b64 vcc, exec, s[0:1]
	v_lshlrev_b64 v[18:19], 1, v[18:19]
	s_cbranch_vccnz .LBB1451_37
; %bb.27:
	v_mul_lo_u32 v22, v13, s26
	v_mul_lo_u32 v23, v12, s27
	v_mad_u64_u32 v[20:21], s[2:3], v12, s26, 0
	v_add3_u32 v21, v21, v23, v22
	v_mov_b32_e32 v23, s29
	v_add_co_u32_e32 v22, vcc, s28, v18
	v_addc_co_u32_e64 v23, s[2:3], v23, v19, vcc
	v_lshlrev_b64 v[20:21], 1, v[20:21]
	v_mov_b32_e32 v25, s29
	v_add_co_u32_e64 v24, s[2:3], s28, v20
	v_addc_co_u32_e64 v25, s[8:9], v25, v21, s[2:3]
	global_load_ushort v20, v[22:23], off
	global_load_ushort v27, v[24:25], off
	s_mov_b64 s[14:15], -1
	s_waitcnt vmcnt(0)
	v_cmp_eq_u16_e64 s[8:9], v20, v27
	s_and_saveexec_b64 s[18:19], s[8:9]
	s_cbranch_execz .LBB1451_36
; %bb.28:
	v_mov_b32_e32 v20, s29
	v_addc_co_u32_e64 v21, s[2:3], v21, v20, s[2:3]
	v_add_co_u32_e64 v20, s[2:3], 2, v24
	v_mov_b32_e32 v23, s29
	v_addc_co_u32_e64 v21, s[2:3], 0, v21, s[2:3]
	v_addc_co_u32_e32 v23, vcc, v19, v23, vcc
	v_add_co_u32_e32 v22, vcc, 2, v22
	s_add_u32 s2, s26, -1
	v_addc_co_u32_e32 v23, vcc, 0, v23, vcc
	s_addc_u32 s3, s27, -1
	s_mov_b64 s[8:9], 0
	s_mov_b64 s[36:37], 0
                                        ; implicit-def: $sgpr14_sgpr15
	s_branch .LBB1451_31
.LBB1451_29:                            ;   in Loop: Header=BB1451_31 Depth=1
	global_load_ushort v24, v[22:23], off
	global_load_ushort v25, v[20:21], off
	v_add_co_u32_e32 v20, vcc, 2, v20
	v_addc_co_u32_e32 v21, vcc, 0, v21, vcc
	v_add_co_u32_e32 v22, vcc, 2, v22
	v_addc_co_u32_e32 v23, vcc, 0, v23, vcc
	s_add_u32 s36, s36, 1
	s_addc_u32 s37, s37, 0
	s_andn2_b64 s[14:15], s[14:15], exec
	s_waitcnt vmcnt(0)
	v_cmp_ne_u16_e32 vcc, v24, v25
	s_and_b64 s[38:39], vcc, exec
	s_or_b64 s[14:15], s[14:15], s[38:39]
.LBB1451_30:                            ;   in Loop: Header=BB1451_31 Depth=1
	s_and_b64 s[38:39], exec, s[14:15]
	s_or_b64 s[8:9], s[38:39], s[8:9]
	v_pk_mov_b32 v[24:25], s[36:37], s[36:37] op_sel:[0,1]
	s_andn2_b64 exec, exec, s[8:9]
	s_cbranch_execz .LBB1451_35
.LBB1451_31:                            ; =>This Inner Loop Header: Depth=1
	s_or_b64 s[14:15], s[14:15], exec
	s_cmp_eq_u64 s[2:3], s[36:37]
	s_cbranch_scc0 .LBB1451_29
; %bb.32:                               ;   in Loop: Header=BB1451_31 Depth=1
                                        ; implicit-def: $vgpr20_vgpr21
                                        ; implicit-def: $vgpr22_vgpr23
	s_mov_b64 s[36:37], s[26:27]
	s_branch .LBB1451_30
.LBB1451_33:
                                        ; implicit-def: $sgpr18_sgpr19
                                        ; implicit-def: $vgpr28
	s_branch .LBB1451_115
.LBB1451_34:
                                        ; implicit-def: $sgpr18_sgpr19
                                        ; implicit-def: $vgpr28
	s_cbranch_execnz .LBB1451_67
	s_branch .LBB1451_114
.LBB1451_35:
	s_or_b64 exec, exec, s[8:9]
	v_cmp_gt_i64_e32 vcc, s[26:27], v[24:25]
	s_orn2_b64 s[14:15], vcc, exec
.LBB1451_36:
	s_or_b64 exec, exec, s[18:19]
.LBB1451_37:
	v_mul_lo_u32 v22, v17, s26
	v_mul_lo_u32 v23, v16, s27
	v_mad_u64_u32 v[20:21], s[2:3], v16, s26, 0
	v_add3_u32 v21, v21, v23, v22
	s_mov_b64 s[18:19], 0
	s_and_b64 vcc, exec, s[0:1]
	v_lshlrev_b64 v[20:21], 1, v[20:21]
	s_mov_b64 s[36:37], 0
	s_cbranch_vccnz .LBB1451_46
; %bb.38:
	v_mov_b32_e32 v23, s29
	v_add_co_u32_e32 v22, vcc, s28, v20
	v_addc_co_u32_e64 v23, s[2:3], v23, v21, vcc
	v_mov_b32_e32 v25, s29
	v_add_co_u32_e64 v24, s[2:3], s28, v18
	v_addc_co_u32_e64 v25, s[8:9], v25, v19, s[2:3]
	global_load_ushort v18, v[22:23], off
	global_load_ushort v27, v[24:25], off
	s_mov_b64 s[36:37], -1
	s_waitcnt vmcnt(0)
	v_cmp_eq_u16_e64 s[8:9], v18, v27
	s_and_saveexec_b64 s[38:39], s[8:9]
	s_cbranch_execz .LBB1451_45
; %bb.39:
	v_mov_b32_e32 v18, s29
	v_addc_co_u32_e64 v19, s[2:3], v19, v18, s[2:3]
	v_add_co_u32_e64 v18, s[2:3], 2, v24
	v_mov_b32_e32 v23, s29
	v_addc_co_u32_e64 v19, s[2:3], 0, v19, s[2:3]
	v_addc_co_u32_e32 v23, vcc, v21, v23, vcc
	v_add_co_u32_e32 v22, vcc, 2, v22
	s_add_u32 s2, s26, -1
	v_addc_co_u32_e32 v23, vcc, 0, v23, vcc
	s_addc_u32 s3, s27, -1
	s_mov_b64 s[8:9], 0
	s_mov_b64 s[40:41], 0
                                        ; implicit-def: $sgpr36_sgpr37
	s_branch .LBB1451_42
.LBB1451_40:                            ;   in Loop: Header=BB1451_42 Depth=1
	global_load_ushort v24, v[22:23], off
	global_load_ushort v25, v[18:19], off
	v_add_co_u32_e32 v18, vcc, 2, v18
	v_addc_co_u32_e32 v19, vcc, 0, v19, vcc
	v_add_co_u32_e32 v22, vcc, 2, v22
	v_addc_co_u32_e32 v23, vcc, 0, v23, vcc
	s_add_u32 s40, s40, 1
	s_addc_u32 s41, s41, 0
	s_andn2_b64 s[36:37], s[36:37], exec
	s_waitcnt vmcnt(0)
	v_cmp_ne_u16_e32 vcc, v24, v25
	s_and_b64 s[42:43], vcc, exec
	s_or_b64 s[36:37], s[36:37], s[42:43]
.LBB1451_41:                            ;   in Loop: Header=BB1451_42 Depth=1
	s_and_b64 s[42:43], exec, s[36:37]
	s_or_b64 s[8:9], s[42:43], s[8:9]
	v_pk_mov_b32 v[24:25], s[40:41], s[40:41] op_sel:[0,1]
	s_andn2_b64 exec, exec, s[8:9]
	s_cbranch_execz .LBB1451_44
.LBB1451_42:                            ; =>This Inner Loop Header: Depth=1
	s_or_b64 s[36:37], s[36:37], exec
	s_cmp_eq_u64 s[2:3], s[40:41]
	s_cbranch_scc0 .LBB1451_40
; %bb.43:                               ;   in Loop: Header=BB1451_42 Depth=1
                                        ; implicit-def: $vgpr18_vgpr19
                                        ; implicit-def: $vgpr22_vgpr23
	s_mov_b64 s[40:41], s[26:27]
	s_branch .LBB1451_41
.LBB1451_44:
	s_or_b64 exec, exec, s[8:9]
	v_cmp_gt_i64_e32 vcc, s[26:27], v[24:25]
	s_orn2_b64 s[36:37], vcc, exec
.LBB1451_45:
	s_or_b64 exec, exec, s[38:39]
.LBB1451_46:
	v_mul_lo_u32 v22, v15, s26
	v_mul_lo_u32 v23, v14, s27
	v_mad_u64_u32 v[18:19], s[2:3], v14, s26, 0
	v_add3_u32 v19, v19, v23, v22
	s_and_b64 vcc, exec, s[0:1]
	v_lshlrev_b64 v[18:19], 1, v[18:19]
	s_cbranch_vccnz .LBB1451_55
; %bb.47:
	v_mov_b32_e32 v23, s29
	v_add_co_u32_e32 v22, vcc, s28, v18
	v_addc_co_u32_e64 v23, s[2:3], v23, v19, vcc
	v_mov_b32_e32 v25, s29
	v_add_co_u32_e64 v24, s[2:3], s28, v20
	v_addc_co_u32_e64 v25, s[8:9], v25, v21, s[2:3]
	global_load_ushort v20, v[22:23], off
	global_load_ushort v27, v[24:25], off
	s_mov_b64 s[18:19], -1
	s_waitcnt vmcnt(0)
	v_cmp_eq_u16_e64 s[8:9], v20, v27
	s_and_saveexec_b64 s[38:39], s[8:9]
	s_cbranch_execz .LBB1451_54
; %bb.48:
	v_mov_b32_e32 v20, s29
	v_addc_co_u32_e64 v21, s[2:3], v21, v20, s[2:3]
	v_add_co_u32_e64 v20, s[2:3], 2, v24
	v_mov_b32_e32 v23, s29
	v_addc_co_u32_e64 v21, s[2:3], 0, v21, s[2:3]
	v_addc_co_u32_e32 v23, vcc, v19, v23, vcc
	v_add_co_u32_e32 v22, vcc, 2, v22
	s_add_u32 s2, s26, -1
	v_addc_co_u32_e32 v23, vcc, 0, v23, vcc
	s_addc_u32 s3, s27, -1
	s_mov_b64 s[8:9], 0
	s_mov_b64 s[40:41], 0
                                        ; implicit-def: $sgpr18_sgpr19
	s_branch .LBB1451_51
.LBB1451_49:                            ;   in Loop: Header=BB1451_51 Depth=1
	global_load_ushort v24, v[22:23], off
	global_load_ushort v25, v[20:21], off
	v_add_co_u32_e32 v20, vcc, 2, v20
	v_addc_co_u32_e32 v21, vcc, 0, v21, vcc
	v_add_co_u32_e32 v22, vcc, 2, v22
	v_addc_co_u32_e32 v23, vcc, 0, v23, vcc
	s_add_u32 s40, s40, 1
	s_addc_u32 s41, s41, 0
	s_andn2_b64 s[18:19], s[18:19], exec
	s_waitcnt vmcnt(0)
	v_cmp_ne_u16_e32 vcc, v24, v25
	s_and_b64 s[42:43], vcc, exec
	s_or_b64 s[18:19], s[18:19], s[42:43]
.LBB1451_50:                            ;   in Loop: Header=BB1451_51 Depth=1
	s_and_b64 s[42:43], exec, s[18:19]
	s_or_b64 s[8:9], s[42:43], s[8:9]
	v_pk_mov_b32 v[24:25], s[40:41], s[40:41] op_sel:[0,1]
	s_andn2_b64 exec, exec, s[8:9]
	s_cbranch_execz .LBB1451_53
.LBB1451_51:                            ; =>This Inner Loop Header: Depth=1
	s_or_b64 s[18:19], s[18:19], exec
	s_cmp_eq_u64 s[2:3], s[40:41]
	s_cbranch_scc0 .LBB1451_49
; %bb.52:                               ;   in Loop: Header=BB1451_51 Depth=1
                                        ; implicit-def: $vgpr20_vgpr21
                                        ; implicit-def: $vgpr22_vgpr23
	s_mov_b64 s[40:41], s[26:27]
	s_branch .LBB1451_50
.LBB1451_53:
	s_or_b64 exec, exec, s[8:9]
	v_cmp_gt_i64_e32 vcc, s[26:27], v[24:25]
	s_orn2_b64 s[18:19], vcc, exec
.LBB1451_54:
	s_or_b64 exec, exec, s[38:39]
.LBB1451_55:
	v_cmp_ne_u32_e32 vcc, 0, v0
	s_waitcnt lgkmcnt(0)
	v_pk_mov_b32 v[20:21], s[12:13], s[12:13] op_sel:[0,1]
	s_barrier
	s_and_saveexec_b64 s[2:3], vcc
	s_cbranch_execz .LBB1451_57
; %bb.56:
	v_add_u32_e32 v20, -8, v26
	ds_read_b64 v[20:21], v20
.LBB1451_57:
	s_or_b64 exec, exec, s[2:3]
	v_cndmask_b32_e64 v23, 0, 1, s[14:15]
	v_cndmask_b32_e64 v22, 0, 1, s[36:37]
	;; [unrolled: 1-line block ×3, first 2 shown]
	v_lshlrev_b16_e32 v23, 8, v23
	v_lshlrev_b16_e32 v27, 8, v24
	v_or_b32_sdwa v28, v22, v23 dst_sel:WORD_1 dst_unused:UNUSED_PAD src0_sel:DWORD src1_sel:DWORD
	s_mov_b64 s[14:15], 0
	s_and_b64 vcc, exec, s[0:1]
	s_mov_b64 s[18:19], 0
	s_cbranch_vccnz .LBB1451_66
; %bb.58:
	s_waitcnt lgkmcnt(0)
	v_mul_lo_u32 v22, v21, s26
	v_mul_lo_u32 v23, v20, s27
	v_mad_u64_u32 v[20:21], s[2:3], v20, s26, 0
	v_add3_u32 v21, v21, v23, v22
	v_lshlrev_b64 v[20:21], 1, v[20:21]
	v_mov_b32_e32 v23, s29
	v_add_co_u32_e32 v22, vcc, s28, v20
	v_addc_co_u32_e64 v23, s[2:3], v23, v21, vcc
	v_mov_b32_e32 v20, s29
	v_add_co_u32_e64 v24, s[2:3], s28, v18
	v_addc_co_u32_e64 v25, s[8:9], v20, v19, s[2:3]
	global_load_ushort v18, v[22:23], off
	global_load_ushort v20, v[24:25], off
	s_mov_b64 s[18:19], -1
	s_waitcnt vmcnt(0)
	v_cmp_eq_u16_e64 s[8:9], v18, v20
	s_and_saveexec_b64 s[36:37], s[8:9]
	s_cbranch_execz .LBB1451_65
; %bb.59:
	v_mov_b32_e32 v18, s29
	v_addc_co_u32_e64 v19, s[2:3], v19, v18, s[2:3]
	v_add_co_u32_e64 v18, s[2:3], 2, v24
	v_mov_b32_e32 v20, s29
	v_addc_co_u32_e64 v19, s[2:3], 0, v19, s[2:3]
	v_addc_co_u32_e32 v21, vcc, v21, v20, vcc
	v_add_co_u32_e32 v20, vcc, 2, v22
	s_add_u32 s2, s26, -1
	v_addc_co_u32_e32 v21, vcc, 0, v21, vcc
	s_addc_u32 s3, s27, -1
	s_mov_b64 s[8:9], 0
	s_mov_b64 s[38:39], 0
                                        ; implicit-def: $sgpr18_sgpr19
	s_branch .LBB1451_62
.LBB1451_60:                            ;   in Loop: Header=BB1451_62 Depth=1
	global_load_ushort v22, v[20:21], off
	global_load_ushort v23, v[18:19], off
	v_add_co_u32_e32 v18, vcc, 2, v18
	v_addc_co_u32_e32 v19, vcc, 0, v19, vcc
	v_add_co_u32_e32 v20, vcc, 2, v20
	v_addc_co_u32_e32 v21, vcc, 0, v21, vcc
	s_add_u32 s38, s38, 1
	s_addc_u32 s39, s39, 0
	s_andn2_b64 s[18:19], s[18:19], exec
	s_waitcnt vmcnt(0)
	v_cmp_ne_u16_e32 vcc, v22, v23
	s_and_b64 s[40:41], vcc, exec
	s_or_b64 s[18:19], s[18:19], s[40:41]
.LBB1451_61:                            ;   in Loop: Header=BB1451_62 Depth=1
	s_and_b64 s[40:41], exec, s[18:19]
	s_or_b64 s[8:9], s[40:41], s[8:9]
	v_pk_mov_b32 v[22:23], s[38:39], s[38:39] op_sel:[0,1]
	s_andn2_b64 exec, exec, s[8:9]
	s_cbranch_execz .LBB1451_64
.LBB1451_62:                            ; =>This Inner Loop Header: Depth=1
	s_or_b64 s[18:19], s[18:19], exec
	s_cmp_eq_u64 s[2:3], s[38:39]
	s_cbranch_scc0 .LBB1451_60
; %bb.63:                               ;   in Loop: Header=BB1451_62 Depth=1
                                        ; implicit-def: $vgpr18_vgpr19
                                        ; implicit-def: $vgpr20_vgpr21
	s_mov_b64 s[38:39], s[26:27]
	s_branch .LBB1451_61
.LBB1451_64:
	s_or_b64 exec, exec, s[8:9]
	v_cmp_gt_i64_e32 vcc, s[26:27], v[22:23]
	s_orn2_b64 s[18:19], vcc, exec
.LBB1451_65:
	s_or_b64 exec, exec, s[36:37]
.LBB1451_66:
	v_or_b32_e32 v28, v27, v28
	s_and_b64 vcc, exec, s[14:15]
	s_cbranch_vccz .LBB1451_114
.LBB1451_67:
	v_or_b32_e32 v18, 3, v1
	v_cmp_gt_u32_e32 vcc, s7, v18
	s_mov_b64 s[18:19], 0
	s_mov_b64 s[14:15], 0
	s_and_saveexec_b64 s[36:37], vcc
	s_cbranch_execz .LBB1451_78
; %bb.68:
	s_and_b64 vcc, exec, s[0:1]
	s_mov_b64 s[38:39], 0
	s_cbranch_vccnz .LBB1451_77
; %bb.69:
	s_waitcnt lgkmcnt(0)
	v_mul_lo_u32 v20, v11, s26
	v_mul_lo_u32 v21, v10, s27
	v_mad_u64_u32 v[18:19], s[2:3], v10, s26, 0
	v_add3_u32 v19, v19, v21, v20
	v_mul_lo_u32 v20, v13, s26
	v_mul_lo_u32 v21, v12, s27
	v_mad_u64_u32 v[24:25], s[2:3], v12, s26, 0
	v_add3_u32 v25, v25, v21, v20
	v_lshlrev_b64 v[20:21], 1, v[18:19]
	v_mov_b32_e32 v18, s29
	v_add_co_u32_e32 v22, vcc, s28, v20
	v_addc_co_u32_e64 v23, s[2:3], v18, v21, vcc
	v_lshlrev_b64 v[18:19], 1, v[24:25]
	v_mov_b32_e32 v20, s29
	v_add_co_u32_e64 v24, s[2:3], s28, v18
	v_addc_co_u32_e64 v25, s[8:9], v20, v19, s[2:3]
	global_load_ushort v18, v[22:23], off
	global_load_ushort v20, v[24:25], off
	s_mov_b64 s[38:39], -1
	s_waitcnt vmcnt(0)
	v_cmp_eq_u16_e64 s[8:9], v18, v20
	s_and_saveexec_b64 s[14:15], s[8:9]
	s_cbranch_execz .LBB1451_76
; %bb.70:
	v_mov_b32_e32 v18, s29
	v_addc_co_u32_e64 v19, s[2:3], v19, v18, s[2:3]
	v_add_co_u32_e64 v18, s[2:3], 2, v24
	v_mov_b32_e32 v20, s29
	v_addc_co_u32_e64 v19, s[2:3], 0, v19, s[2:3]
	v_addc_co_u32_e32 v21, vcc, v21, v20, vcc
	v_add_co_u32_e32 v20, vcc, 2, v22
	s_add_u32 s2, s26, -1
	v_addc_co_u32_e32 v21, vcc, 0, v21, vcc
	s_addc_u32 s3, s27, -1
	s_mov_b64 s[8:9], 0
	s_mov_b64 s[40:41], 0
                                        ; implicit-def: $sgpr38_sgpr39
	s_branch .LBB1451_73
.LBB1451_71:                            ;   in Loop: Header=BB1451_73 Depth=1
	global_load_ushort v22, v[20:21], off
	global_load_ushort v23, v[18:19], off
	v_add_co_u32_e32 v18, vcc, 2, v18
	v_addc_co_u32_e32 v19, vcc, 0, v19, vcc
	v_add_co_u32_e32 v20, vcc, 2, v20
	v_addc_co_u32_e32 v21, vcc, 0, v21, vcc
	s_add_u32 s40, s40, 1
	s_addc_u32 s41, s41, 0
	s_andn2_b64 s[38:39], s[38:39], exec
	s_waitcnt vmcnt(0)
	v_cmp_ne_u16_e32 vcc, v22, v23
	s_and_b64 s[42:43], vcc, exec
	s_or_b64 s[38:39], s[38:39], s[42:43]
.LBB1451_72:                            ;   in Loop: Header=BB1451_73 Depth=1
	s_and_b64 s[42:43], exec, s[38:39]
	s_or_b64 s[8:9], s[42:43], s[8:9]
	v_pk_mov_b32 v[22:23], s[40:41], s[40:41] op_sel:[0,1]
	s_andn2_b64 exec, exec, s[8:9]
	s_cbranch_execz .LBB1451_75
.LBB1451_73:                            ; =>This Inner Loop Header: Depth=1
	s_or_b64 s[38:39], s[38:39], exec
	s_cmp_eq_u64 s[2:3], s[40:41]
	s_cbranch_scc0 .LBB1451_71
; %bb.74:                               ;   in Loop: Header=BB1451_73 Depth=1
                                        ; implicit-def: $vgpr18_vgpr19
                                        ; implicit-def: $vgpr20_vgpr21
	s_mov_b64 s[40:41], s[26:27]
	s_branch .LBB1451_72
.LBB1451_75:
	s_or_b64 exec, exec, s[8:9]
	v_cmp_gt_i64_e32 vcc, s[26:27], v[22:23]
	s_orn2_b64 s[38:39], vcc, exec
.LBB1451_76:
	s_or_b64 exec, exec, s[14:15]
.LBB1451_77:
	s_and_b64 s[14:15], s[38:39], exec
.LBB1451_78:
	s_or_b64 exec, exec, s[36:37]
	v_or_b32_e32 v18, 2, v1
	v_cmp_gt_u32_e32 vcc, s7, v18
	s_and_saveexec_b64 s[36:37], vcc
	s_cbranch_execz .LBB1451_89
; %bb.79:
	s_and_b64 vcc, exec, s[0:1]
	s_mov_b64 s[38:39], 0
	s_cbranch_vccnz .LBB1451_88
; %bb.80:
	s_waitcnt lgkmcnt(0)
	v_mul_lo_u32 v20, v17, s26
	v_mul_lo_u32 v21, v16, s27
	v_mad_u64_u32 v[18:19], s[2:3], v16, s26, 0
	v_add3_u32 v19, v19, v21, v20
	v_mul_lo_u32 v20, v11, s26
	v_mul_lo_u32 v21, v10, s27
	v_mad_u64_u32 v[24:25], s[2:3], v10, s26, 0
	v_add3_u32 v25, v25, v21, v20
	v_lshlrev_b64 v[20:21], 1, v[18:19]
	v_mov_b32_e32 v18, s29
	v_add_co_u32_e32 v22, vcc, s28, v20
	v_addc_co_u32_e64 v23, s[2:3], v18, v21, vcc
	v_lshlrev_b64 v[18:19], 1, v[24:25]
	v_mov_b32_e32 v20, s29
	v_add_co_u32_e64 v24, s[2:3], s28, v18
	v_addc_co_u32_e64 v25, s[8:9], v20, v19, s[2:3]
	global_load_ushort v18, v[22:23], off
	global_load_ushort v20, v[24:25], off
	s_mov_b64 s[38:39], -1
	s_waitcnt vmcnt(0)
	v_cmp_eq_u16_e64 s[8:9], v18, v20
	s_and_saveexec_b64 s[18:19], s[8:9]
	s_cbranch_execz .LBB1451_87
; %bb.81:
	v_mov_b32_e32 v18, s29
	v_addc_co_u32_e64 v19, s[2:3], v19, v18, s[2:3]
	v_add_co_u32_e64 v18, s[2:3], 2, v24
	v_mov_b32_e32 v20, s29
	v_addc_co_u32_e64 v19, s[2:3], 0, v19, s[2:3]
	v_addc_co_u32_e32 v21, vcc, v21, v20, vcc
	v_add_co_u32_e32 v20, vcc, 2, v22
	s_add_u32 s2, s26, -1
	v_addc_co_u32_e32 v21, vcc, 0, v21, vcc
	s_addc_u32 s3, s27, -1
	s_mov_b64 s[8:9], 0
	s_mov_b64 s[40:41], 0
                                        ; implicit-def: $sgpr38_sgpr39
	s_branch .LBB1451_84
.LBB1451_82:                            ;   in Loop: Header=BB1451_84 Depth=1
	global_load_ushort v22, v[20:21], off
	global_load_ushort v23, v[18:19], off
	v_add_co_u32_e32 v18, vcc, 2, v18
	v_addc_co_u32_e32 v19, vcc, 0, v19, vcc
	v_add_co_u32_e32 v20, vcc, 2, v20
	v_addc_co_u32_e32 v21, vcc, 0, v21, vcc
	s_add_u32 s40, s40, 1
	s_addc_u32 s41, s41, 0
	s_andn2_b64 s[38:39], s[38:39], exec
	s_waitcnt vmcnt(0)
	v_cmp_ne_u16_e32 vcc, v22, v23
	s_and_b64 s[42:43], vcc, exec
	s_or_b64 s[38:39], s[38:39], s[42:43]
.LBB1451_83:                            ;   in Loop: Header=BB1451_84 Depth=1
	s_and_b64 s[42:43], exec, s[38:39]
	s_or_b64 s[8:9], s[42:43], s[8:9]
	v_pk_mov_b32 v[22:23], s[40:41], s[40:41] op_sel:[0,1]
	s_andn2_b64 exec, exec, s[8:9]
	s_cbranch_execz .LBB1451_86
.LBB1451_84:                            ; =>This Inner Loop Header: Depth=1
	s_or_b64 s[38:39], s[38:39], exec
	s_cmp_eq_u64 s[2:3], s[40:41]
	s_cbranch_scc0 .LBB1451_82
; %bb.85:                               ;   in Loop: Header=BB1451_84 Depth=1
                                        ; implicit-def: $vgpr18_vgpr19
                                        ; implicit-def: $vgpr20_vgpr21
	s_mov_b64 s[40:41], s[26:27]
	s_branch .LBB1451_83
.LBB1451_86:
	s_or_b64 exec, exec, s[8:9]
	v_cmp_gt_i64_e32 vcc, s[26:27], v[22:23]
	s_orn2_b64 s[38:39], vcc, exec
.LBB1451_87:
	s_or_b64 exec, exec, s[18:19]
.LBB1451_88:
	s_and_b64 s[18:19], s[38:39], exec
.LBB1451_89:
	s_or_b64 exec, exec, s[36:37]
	v_or_b32_e32 v18, 1, v1
	v_cmp_gt_u32_e32 vcc, s7, v18
	s_mov_b64 s[2:3], 0
	s_and_saveexec_b64 s[36:37], vcc
	s_cbranch_execz .LBB1451_100
; %bb.90:
	s_and_b64 vcc, exec, s[0:1]
	s_mov_b64 s[40:41], 0
	s_cbranch_vccnz .LBB1451_99
; %bb.91:
	s_waitcnt lgkmcnt(0)
	v_mul_lo_u32 v20, v15, s26
	v_mul_lo_u32 v21, v14, s27
	v_mad_u64_u32 v[18:19], s[2:3], v14, s26, 0
	v_add3_u32 v19, v19, v21, v20
	v_mul_lo_u32 v20, v17, s26
	v_mul_lo_u32 v21, v16, s27
	v_mad_u64_u32 v[24:25], s[2:3], v16, s26, 0
	v_add3_u32 v25, v25, v21, v20
	v_lshlrev_b64 v[20:21], 1, v[18:19]
	v_mov_b32_e32 v18, s29
	v_add_co_u32_e32 v22, vcc, s28, v20
	v_addc_co_u32_e64 v23, s[2:3], v18, v21, vcc
	v_lshlrev_b64 v[18:19], 1, v[24:25]
	v_mov_b32_e32 v20, s29
	v_add_co_u32_e64 v24, s[2:3], s28, v18
	v_addc_co_u32_e64 v25, s[8:9], v20, v19, s[2:3]
	global_load_ushort v18, v[22:23], off
	global_load_ushort v20, v[24:25], off
	s_mov_b64 s[40:41], -1
	s_waitcnt vmcnt(0)
	v_cmp_eq_u16_e64 s[8:9], v18, v20
	s_and_saveexec_b64 s[38:39], s[8:9]
	s_cbranch_execz .LBB1451_98
; %bb.92:
	v_mov_b32_e32 v18, s29
	v_addc_co_u32_e64 v19, s[2:3], v19, v18, s[2:3]
	v_add_co_u32_e64 v18, s[2:3], 2, v24
	v_mov_b32_e32 v20, s29
	v_addc_co_u32_e64 v19, s[2:3], 0, v19, s[2:3]
	v_addc_co_u32_e32 v21, vcc, v21, v20, vcc
	v_add_co_u32_e32 v20, vcc, 2, v22
	s_add_u32 s2, s26, -1
	v_addc_co_u32_e32 v21, vcc, 0, v21, vcc
	s_addc_u32 s3, s27, -1
	s_mov_b64 s[8:9], 0
	s_mov_b64 s[42:43], 0
                                        ; implicit-def: $sgpr40_sgpr41
	s_branch .LBB1451_95
.LBB1451_93:                            ;   in Loop: Header=BB1451_95 Depth=1
	global_load_ushort v22, v[20:21], off
	global_load_ushort v23, v[18:19], off
	v_add_co_u32_e32 v18, vcc, 2, v18
	v_addc_co_u32_e32 v19, vcc, 0, v19, vcc
	v_add_co_u32_e32 v20, vcc, 2, v20
	v_addc_co_u32_e32 v21, vcc, 0, v21, vcc
	s_add_u32 s42, s42, 1
	s_addc_u32 s43, s43, 0
	s_andn2_b64 s[40:41], s[40:41], exec
	s_waitcnt vmcnt(0)
	v_cmp_ne_u16_e32 vcc, v22, v23
	s_and_b64 s[44:45], vcc, exec
	s_or_b64 s[40:41], s[40:41], s[44:45]
.LBB1451_94:                            ;   in Loop: Header=BB1451_95 Depth=1
	s_and_b64 s[44:45], exec, s[40:41]
	s_or_b64 s[8:9], s[44:45], s[8:9]
	v_pk_mov_b32 v[22:23], s[42:43], s[42:43] op_sel:[0,1]
	s_andn2_b64 exec, exec, s[8:9]
	s_cbranch_execz .LBB1451_97
.LBB1451_95:                            ; =>This Inner Loop Header: Depth=1
	s_or_b64 s[40:41], s[40:41], exec
	s_cmp_eq_u64 s[2:3], s[42:43]
	s_cbranch_scc0 .LBB1451_93
; %bb.96:                               ;   in Loop: Header=BB1451_95 Depth=1
                                        ; implicit-def: $vgpr18_vgpr19
                                        ; implicit-def: $vgpr20_vgpr21
	s_mov_b64 s[42:43], s[26:27]
	s_branch .LBB1451_94
.LBB1451_97:
	s_or_b64 exec, exec, s[8:9]
	v_cmp_gt_i64_e32 vcc, s[26:27], v[22:23]
	s_orn2_b64 s[40:41], vcc, exec
.LBB1451_98:
	s_or_b64 exec, exec, s[38:39]
.LBB1451_99:
	s_and_b64 s[2:3], s[40:41], exec
.LBB1451_100:
	s_or_b64 exec, exec, s[36:37]
	v_cmp_ne_u32_e32 vcc, 0, v0
	s_waitcnt lgkmcnt(0)
	v_pk_mov_b32 v[18:19], s[12:13], s[12:13] op_sel:[0,1]
	s_barrier
	s_and_saveexec_b64 s[8:9], vcc
	s_cbranch_execz .LBB1451_102
; %bb.101:
	v_add_u32_e32 v18, -8, v26
	ds_read_b64 v[18:19], v18
.LBB1451_102:
	s_or_b64 exec, exec, s[8:9]
	v_cndmask_b32_e64 v21, 0, 1, s[14:15]
	v_cndmask_b32_e64 v20, 0, 1, s[18:19]
	;; [unrolled: 1-line block ×3, first 2 shown]
	v_lshlrev_b16_e32 v21, 8, v21
	v_lshlrev_b16_e32 v26, 8, v22
	v_or_b32_sdwa v27, v20, v21 dst_sel:WORD_1 dst_unused:UNUSED_PAD src0_sel:DWORD src1_sel:DWORD
	v_cmp_gt_u32_e32 vcc, s7, v1
	s_mov_b64 s[18:19], 0
	s_and_saveexec_b64 s[8:9], vcc
	s_cbranch_execz .LBB1451_113
; %bb.103:
	s_and_b64 vcc, exec, s[0:1]
	s_mov_b64 s[14:15], 0
	s_cbranch_vccnz .LBB1451_112
; %bb.104:
	s_waitcnt lgkmcnt(0)
	v_mul_lo_u32 v20, v19, s26
	v_mul_lo_u32 v21, v18, s27
	v_mad_u64_u32 v[18:19], s[0:1], v18, s26, 0
	v_add3_u32 v19, v19, v21, v20
	v_mul_lo_u32 v20, v15, s26
	v_mul_lo_u32 v21, v14, s27
	v_mad_u64_u32 v[24:25], s[0:1], v14, s26, 0
	v_add3_u32 v25, v25, v21, v20
	v_lshlrev_b64 v[20:21], 1, v[18:19]
	v_mov_b32_e32 v18, s29
	v_add_co_u32_e32 v22, vcc, s28, v20
	v_addc_co_u32_e64 v23, s[0:1], v18, v21, vcc
	v_lshlrev_b64 v[18:19], 1, v[24:25]
	v_mov_b32_e32 v20, s29
	v_add_co_u32_e64 v24, s[0:1], s28, v18
	v_addc_co_u32_e64 v25, s[2:3], v20, v19, s[0:1]
	global_load_ushort v18, v[22:23], off
	global_load_ushort v20, v[24:25], off
	s_mov_b64 s[14:15], -1
	s_waitcnt vmcnt(0)
	v_cmp_eq_u16_e64 s[2:3], v18, v20
	s_and_saveexec_b64 s[12:13], s[2:3]
	s_cbranch_execz .LBB1451_111
; %bb.105:
	v_mov_b32_e32 v18, s29
	v_addc_co_u32_e64 v19, s[0:1], v19, v18, s[0:1]
	v_add_co_u32_e64 v18, s[0:1], 2, v24
	v_mov_b32_e32 v20, s29
	v_addc_co_u32_e64 v19, s[0:1], 0, v19, s[0:1]
	v_addc_co_u32_e32 v21, vcc, v21, v20, vcc
	v_add_co_u32_e32 v20, vcc, 2, v22
	s_add_u32 s0, s26, -1
	v_addc_co_u32_e32 v21, vcc, 0, v21, vcc
	s_addc_u32 s1, s27, -1
	s_mov_b64 s[2:3], 0
                                        ; implicit-def: $sgpr14_sgpr15
	s_branch .LBB1451_108
.LBB1451_106:                           ;   in Loop: Header=BB1451_108 Depth=1
	global_load_ushort v22, v[20:21], off
	global_load_ushort v23, v[18:19], off
	v_add_co_u32_e32 v18, vcc, 2, v18
	v_addc_co_u32_e32 v19, vcc, 0, v19, vcc
	v_add_co_u32_e32 v20, vcc, 2, v20
	v_addc_co_u32_e32 v21, vcc, 0, v21, vcc
	s_add_u32 s18, s18, 1
	s_addc_u32 s19, s19, 0
	s_andn2_b64 s[14:15], s[14:15], exec
	s_waitcnt vmcnt(0)
	v_cmp_ne_u16_e32 vcc, v22, v23
	s_and_b64 s[36:37], vcc, exec
	s_or_b64 s[14:15], s[14:15], s[36:37]
.LBB1451_107:                           ;   in Loop: Header=BB1451_108 Depth=1
	s_and_b64 s[36:37], exec, s[14:15]
	s_or_b64 s[2:3], s[36:37], s[2:3]
	v_pk_mov_b32 v[22:23], s[18:19], s[18:19] op_sel:[0,1]
	s_andn2_b64 exec, exec, s[2:3]
	s_cbranch_execz .LBB1451_110
.LBB1451_108:                           ; =>This Inner Loop Header: Depth=1
	s_or_b64 s[14:15], s[14:15], exec
	s_cmp_eq_u64 s[0:1], s[18:19]
	s_cbranch_scc0 .LBB1451_106
; %bb.109:                              ;   in Loop: Header=BB1451_108 Depth=1
                                        ; implicit-def: $vgpr18_vgpr19
                                        ; implicit-def: $vgpr20_vgpr21
	s_mov_b64 s[18:19], s[26:27]
	s_branch .LBB1451_107
.LBB1451_110:
	s_or_b64 exec, exec, s[2:3]
	v_cmp_gt_i64_e32 vcc, s[26:27], v[22:23]
	s_orn2_b64 s[14:15], vcc, exec
.LBB1451_111:
	s_or_b64 exec, exec, s[12:13]
.LBB1451_112:
	s_and_b64 s[18:19], s[14:15], exec
.LBB1451_113:
	s_or_b64 exec, exec, s[8:9]
	v_or_b32_e32 v28, v26, v27
.LBB1451_114:
	s_waitcnt lgkmcnt(0)
	s_mov_b64 s[12:13], -1
	s_cbranch_execnz .LBB1451_203
.LBB1451_115:
	v_lshlrev_b32_e32 v29, 3, v0
	s_mov_b64 s[18:19], 0
	v_cmp_gt_i64_e64 s[14:15], s[26:27], 0
	s_and_b64 vcc, exec, s[34:35]
	ds_write_b64 v29, v[12:13]
	s_cbranch_vccz .LBB1451_123
; %bb.116:
	v_mul_lo_u32 v20, v11, s26
	v_mul_lo_u32 v21, v10, s27
	v_mad_u64_u32 v[18:19], s[0:1], v10, s26, 0
	v_add3_u32 v19, v19, v21, v20
	v_cndmask_b32_e64 v20, 0, 1, s[14:15]
	v_cmp_ne_u32_e64 s[0:1], 1, v20
	s_andn2_b64 vcc, exec, s[14:15]
	v_lshlrev_b64 v[18:19], 1, v[18:19]
	s_cbranch_vccnz .LBB1451_126
; %bb.117:
	v_mul_lo_u32 v22, v13, s26
	v_mul_lo_u32 v23, v12, s27
	v_mad_u64_u32 v[20:21], s[2:3], v12, s26, 0
	v_add3_u32 v21, v21, v23, v22
	v_mov_b32_e32 v23, s29
	v_add_co_u32_e32 v22, vcc, s28, v18
	v_addc_co_u32_e64 v23, s[2:3], v23, v19, vcc
	v_lshlrev_b64 v[20:21], 1, v[20:21]
	v_mov_b32_e32 v25, s29
	v_add_co_u32_e64 v24, s[2:3], s28, v20
	v_addc_co_u32_e64 v25, s[8:9], v25, v21, s[2:3]
	global_load_ushort v20, v[22:23], off
	global_load_ushort v26, v[24:25], off
	s_mov_b64 s[18:19], -1
	s_waitcnt vmcnt(0)
	v_cmp_eq_u16_e64 s[8:9], v20, v26
	s_and_saveexec_b64 s[36:37], s[8:9]
	s_cbranch_execz .LBB1451_125
; %bb.118:
	v_mov_b32_e32 v20, s29
	v_addc_co_u32_e64 v21, s[2:3], v21, v20, s[2:3]
	v_add_co_u32_e64 v20, s[2:3], 2, v24
	v_mov_b32_e32 v23, s29
	v_addc_co_u32_e64 v21, s[2:3], 0, v21, s[2:3]
	v_addc_co_u32_e32 v23, vcc, v19, v23, vcc
	v_add_co_u32_e32 v22, vcc, 2, v22
	s_add_u32 s2, s26, -1
	v_addc_co_u32_e32 v23, vcc, 0, v23, vcc
	s_addc_u32 s3, s27, -1
	s_mov_b64 s[8:9], 0
	s_mov_b64 s[38:39], 0
                                        ; implicit-def: $sgpr18_sgpr19
	s_branch .LBB1451_121
.LBB1451_119:                           ;   in Loop: Header=BB1451_121 Depth=1
	global_load_ushort v24, v[22:23], off
	global_load_ushort v25, v[20:21], off
	v_add_co_u32_e32 v20, vcc, 2, v20
	v_addc_co_u32_e32 v21, vcc, 0, v21, vcc
	v_add_co_u32_e32 v22, vcc, 2, v22
	v_addc_co_u32_e32 v23, vcc, 0, v23, vcc
	s_add_u32 s38, s38, 1
	s_addc_u32 s39, s39, 0
	s_andn2_b64 s[18:19], s[18:19], exec
	s_waitcnt vmcnt(0)
	v_cmp_ne_u16_e32 vcc, v24, v25
	s_and_b64 s[40:41], vcc, exec
	s_or_b64 s[18:19], s[18:19], s[40:41]
.LBB1451_120:                           ;   in Loop: Header=BB1451_121 Depth=1
	s_and_b64 s[40:41], exec, s[18:19]
	s_or_b64 s[8:9], s[40:41], s[8:9]
	v_pk_mov_b32 v[24:25], s[38:39], s[38:39] op_sel:[0,1]
	s_andn2_b64 exec, exec, s[8:9]
	s_cbranch_execz .LBB1451_124
.LBB1451_121:                           ; =>This Inner Loop Header: Depth=1
	s_or_b64 s[18:19], s[18:19], exec
	s_cmp_eq_u64 s[2:3], s[38:39]
	s_cbranch_scc0 .LBB1451_119
; %bb.122:                              ;   in Loop: Header=BB1451_121 Depth=1
                                        ; implicit-def: $vgpr20_vgpr21
                                        ; implicit-def: $vgpr22_vgpr23
	s_mov_b64 s[38:39], s[26:27]
	s_branch .LBB1451_120
.LBB1451_123:
                                        ; implicit-def: $sgpr18_sgpr19
                                        ; implicit-def: $vgpr28
	s_cbranch_execnz .LBB1451_156
	s_branch .LBB1451_203
.LBB1451_124:
	s_or_b64 exec, exec, s[8:9]
	v_cmp_gt_i64_e32 vcc, s[26:27], v[24:25]
	s_orn2_b64 s[18:19], vcc, exec
.LBB1451_125:
	s_or_b64 exec, exec, s[36:37]
.LBB1451_126:
	v_mul_lo_u32 v22, v17, s26
	v_mul_lo_u32 v23, v16, s27
	v_mad_u64_u32 v[20:21], s[2:3], v16, s26, 0
	v_add3_u32 v21, v21, v23, v22
	s_mov_b64 s[36:37], 0
	s_and_b64 vcc, exec, s[0:1]
	v_lshlrev_b64 v[20:21], 1, v[20:21]
	s_mov_b64 s[38:39], 0
	s_cbranch_vccnz .LBB1451_135
; %bb.127:
	v_mov_b32_e32 v23, s29
	v_add_co_u32_e32 v22, vcc, s28, v20
	v_addc_co_u32_e64 v23, s[2:3], v23, v21, vcc
	v_mov_b32_e32 v25, s29
	v_add_co_u32_e64 v24, s[2:3], s28, v18
	v_addc_co_u32_e64 v25, s[8:9], v25, v19, s[2:3]
	global_load_ushort v18, v[22:23], off
	global_load_ushort v26, v[24:25], off
	s_mov_b64 s[38:39], -1
	s_waitcnt vmcnt(0)
	v_cmp_eq_u16_e64 s[8:9], v18, v26
	s_and_saveexec_b64 s[40:41], s[8:9]
	s_cbranch_execz .LBB1451_134
; %bb.128:
	v_mov_b32_e32 v18, s29
	v_addc_co_u32_e64 v19, s[2:3], v19, v18, s[2:3]
	v_add_co_u32_e64 v18, s[2:3], 2, v24
	v_mov_b32_e32 v23, s29
	v_addc_co_u32_e64 v19, s[2:3], 0, v19, s[2:3]
	v_addc_co_u32_e32 v23, vcc, v21, v23, vcc
	v_add_co_u32_e32 v22, vcc, 2, v22
	s_add_u32 s2, s26, -1
	v_addc_co_u32_e32 v23, vcc, 0, v23, vcc
	s_addc_u32 s3, s27, -1
	s_mov_b64 s[8:9], 0
	s_mov_b64 s[42:43], 0
                                        ; implicit-def: $sgpr38_sgpr39
	s_branch .LBB1451_131
.LBB1451_129:                           ;   in Loop: Header=BB1451_131 Depth=1
	global_load_ushort v24, v[22:23], off
	global_load_ushort v25, v[18:19], off
	v_add_co_u32_e32 v18, vcc, 2, v18
	v_addc_co_u32_e32 v19, vcc, 0, v19, vcc
	v_add_co_u32_e32 v22, vcc, 2, v22
	v_addc_co_u32_e32 v23, vcc, 0, v23, vcc
	s_add_u32 s42, s42, 1
	s_addc_u32 s43, s43, 0
	s_andn2_b64 s[38:39], s[38:39], exec
	s_waitcnt vmcnt(0)
	v_cmp_ne_u16_e32 vcc, v24, v25
	s_and_b64 s[44:45], vcc, exec
	s_or_b64 s[38:39], s[38:39], s[44:45]
.LBB1451_130:                           ;   in Loop: Header=BB1451_131 Depth=1
	s_and_b64 s[44:45], exec, s[38:39]
	s_or_b64 s[8:9], s[44:45], s[8:9]
	v_pk_mov_b32 v[24:25], s[42:43], s[42:43] op_sel:[0,1]
	s_andn2_b64 exec, exec, s[8:9]
	s_cbranch_execz .LBB1451_133
.LBB1451_131:                           ; =>This Inner Loop Header: Depth=1
	s_or_b64 s[38:39], s[38:39], exec
	s_cmp_eq_u64 s[2:3], s[42:43]
	s_cbranch_scc0 .LBB1451_129
; %bb.132:                              ;   in Loop: Header=BB1451_131 Depth=1
                                        ; implicit-def: $vgpr18_vgpr19
                                        ; implicit-def: $vgpr22_vgpr23
	s_mov_b64 s[42:43], s[26:27]
	s_branch .LBB1451_130
.LBB1451_133:
	s_or_b64 exec, exec, s[8:9]
	v_cmp_gt_i64_e32 vcc, s[26:27], v[24:25]
	s_orn2_b64 s[38:39], vcc, exec
.LBB1451_134:
	s_or_b64 exec, exec, s[40:41]
.LBB1451_135:
	v_mul_lo_u32 v22, v15, s26
	v_mul_lo_u32 v23, v14, s27
	v_mad_u64_u32 v[18:19], s[2:3], v14, s26, 0
	s_and_b64 vcc, exec, s[0:1]
	v_add3_u32 v19, v19, v23, v22
	s_cbranch_vccnz .LBB1451_144
; %bb.136:
	v_lshlrev_b64 v[22:23], 1, v[18:19]
	v_mov_b32_e32 v25, s29
	v_add_co_u32_e32 v24, vcc, s28, v22
	v_addc_co_u32_e64 v25, s[2:3], v25, v23, vcc
	v_mov_b32_e32 v22, s29
	v_add_co_u32_e64 v26, s[2:3], s28, v20
	v_addc_co_u32_e64 v27, s[8:9], v22, v21, s[2:3]
	global_load_ushort v20, v[24:25], off
	global_load_ushort v22, v[26:27], off
	s_mov_b64 s[36:37], -1
	s_waitcnt vmcnt(0)
	v_cmp_eq_u16_e64 s[8:9], v20, v22
	s_and_saveexec_b64 s[40:41], s[8:9]
	s_cbranch_execz .LBB1451_143
; %bb.137:
	v_mov_b32_e32 v20, s29
	v_addc_co_u32_e64 v21, s[2:3], v21, v20, s[2:3]
	v_add_co_u32_e64 v20, s[2:3], 2, v26
	v_mov_b32_e32 v22, s29
	v_addc_co_u32_e64 v21, s[2:3], 0, v21, s[2:3]
	v_addc_co_u32_e32 v23, vcc, v23, v22, vcc
	v_add_co_u32_e32 v22, vcc, 2, v24
	s_add_u32 s2, s26, -1
	v_addc_co_u32_e32 v23, vcc, 0, v23, vcc
	s_addc_u32 s3, s27, -1
	s_mov_b64 s[8:9], 0
	s_mov_b64 s[42:43], 0
                                        ; implicit-def: $sgpr36_sgpr37
	s_branch .LBB1451_140
.LBB1451_138:                           ;   in Loop: Header=BB1451_140 Depth=1
	global_load_ushort v24, v[22:23], off
	global_load_ushort v25, v[20:21], off
	v_add_co_u32_e32 v20, vcc, 2, v20
	v_addc_co_u32_e32 v21, vcc, 0, v21, vcc
	v_add_co_u32_e32 v22, vcc, 2, v22
	v_addc_co_u32_e32 v23, vcc, 0, v23, vcc
	s_add_u32 s42, s42, 1
	s_addc_u32 s43, s43, 0
	s_andn2_b64 s[36:37], s[36:37], exec
	s_waitcnt vmcnt(0)
	v_cmp_ne_u16_e32 vcc, v24, v25
	s_and_b64 s[44:45], vcc, exec
	s_or_b64 s[36:37], s[36:37], s[44:45]
.LBB1451_139:                           ;   in Loop: Header=BB1451_140 Depth=1
	s_and_b64 s[44:45], exec, s[36:37]
	s_or_b64 s[8:9], s[44:45], s[8:9]
	v_pk_mov_b32 v[24:25], s[42:43], s[42:43] op_sel:[0,1]
	s_andn2_b64 exec, exec, s[8:9]
	s_cbranch_execz .LBB1451_142
.LBB1451_140:                           ; =>This Inner Loop Header: Depth=1
	s_or_b64 s[36:37], s[36:37], exec
	s_cmp_eq_u64 s[2:3], s[42:43]
	s_cbranch_scc0 .LBB1451_138
; %bb.141:                              ;   in Loop: Header=BB1451_140 Depth=1
                                        ; implicit-def: $vgpr20_vgpr21
                                        ; implicit-def: $vgpr22_vgpr23
	s_mov_b64 s[42:43], s[26:27]
	s_branch .LBB1451_139
.LBB1451_142:
	s_or_b64 exec, exec, s[8:9]
	v_cmp_gt_i64_e32 vcc, s[26:27], v[24:25]
	s_orn2_b64 s[36:37], vcc, exec
.LBB1451_143:
	s_or_b64 exec, exec, s[40:41]
.LBB1451_144:
	v_cndmask_b32_e64 v21, 0, 1, s[18:19]
	v_cndmask_b32_e64 v22, 0, 1, s[36:37]
	;; [unrolled: 1-line block ×3, first 2 shown]
	v_lshlrev_b16_e32 v22, 8, v22
	v_lshlrev_b16_e32 v21, 8, v21
	v_or_b32_e32 v22, 1, v22
	v_or_b32_sdwa v20, v20, v21 dst_sel:WORD_1 dst_unused:UNUSED_PAD src0_sel:DWORD src1_sel:DWORD
	v_or_b32_sdwa v28, v22, v20 dst_sel:DWORD dst_unused:UNUSED_PAD src0_sel:WORD_0 src1_sel:DWORD
	v_cmp_ne_u32_e32 vcc, 0, v0
	s_waitcnt lgkmcnt(0)
	s_barrier
	s_waitcnt lgkmcnt(0)
                                        ; implicit-def: $sgpr18_sgpr19
	s_and_saveexec_b64 s[2:3], vcc
	s_xor_b64 s[8:9], exec, s[2:3]
	s_cbranch_execz .LBB1451_155
; %bb.145:
	s_and_b64 vcc, exec, s[0:1]
	s_mov_b64 s[36:37], 0
	s_cbranch_vccnz .LBB1451_154
; %bb.146:
	v_add_u32_e32 v20, -8, v29
	ds_read_b64 v[20:21], v20
	v_mov_b32_e32 v23, s29
	v_lshlrev_b64 v[18:19], 1, v[18:19]
	s_mov_b64 s[36:37], -1
	s_waitcnt lgkmcnt(0)
	v_mul_lo_u32 v22, v21, s26
	v_mul_lo_u32 v24, v20, s27
	v_mad_u64_u32 v[20:21], s[0:1], v20, s26, 0
	v_add3_u32 v21, v21, v24, v22
	v_lshlrev_b64 v[20:21], 1, v[20:21]
	v_add_co_u32_e32 v22, vcc, s28, v20
	v_addc_co_u32_e64 v23, s[0:1], v23, v21, vcc
	v_mov_b32_e32 v20, s29
	v_add_co_u32_e64 v24, s[0:1], s28, v18
	v_addc_co_u32_e64 v25, s[2:3], v20, v19, s[0:1]
	global_load_ushort v18, v[22:23], off
	global_load_ushort v20, v[24:25], off
	s_waitcnt vmcnt(0)
	v_cmp_eq_u16_e64 s[2:3], v18, v20
	s_and_saveexec_b64 s[18:19], s[2:3]
	s_cbranch_execz .LBB1451_153
; %bb.147:
	v_mov_b32_e32 v18, s29
	v_addc_co_u32_e64 v19, s[0:1], v19, v18, s[0:1]
	v_add_co_u32_e64 v18, s[0:1], 2, v24
	v_mov_b32_e32 v20, s29
	v_addc_co_u32_e64 v19, s[0:1], 0, v19, s[0:1]
	v_addc_co_u32_e32 v21, vcc, v21, v20, vcc
	v_add_co_u32_e32 v20, vcc, 2, v22
	s_add_u32 s0, s26, -1
	v_addc_co_u32_e32 v21, vcc, 0, v21, vcc
	s_addc_u32 s1, s27, -1
	s_mov_b64 s[2:3], 0
	s_mov_b64 s[38:39], 0
                                        ; implicit-def: $sgpr36_sgpr37
	s_branch .LBB1451_150
.LBB1451_148:                           ;   in Loop: Header=BB1451_150 Depth=1
	global_load_ushort v22, v[20:21], off
	global_load_ushort v23, v[18:19], off
	v_add_co_u32_e32 v18, vcc, 2, v18
	v_addc_co_u32_e32 v19, vcc, 0, v19, vcc
	v_add_co_u32_e32 v20, vcc, 2, v20
	v_addc_co_u32_e32 v21, vcc, 0, v21, vcc
	s_add_u32 s38, s38, 1
	s_addc_u32 s39, s39, 0
	s_andn2_b64 s[36:37], s[36:37], exec
	s_waitcnt vmcnt(0)
	v_cmp_ne_u16_e32 vcc, v22, v23
	s_and_b64 s[40:41], vcc, exec
	s_or_b64 s[36:37], s[36:37], s[40:41]
.LBB1451_149:                           ;   in Loop: Header=BB1451_150 Depth=1
	s_and_b64 s[40:41], exec, s[36:37]
	s_or_b64 s[2:3], s[40:41], s[2:3]
	v_pk_mov_b32 v[22:23], s[38:39], s[38:39] op_sel:[0,1]
	s_andn2_b64 exec, exec, s[2:3]
	s_cbranch_execz .LBB1451_152
.LBB1451_150:                           ; =>This Inner Loop Header: Depth=1
	s_or_b64 s[36:37], s[36:37], exec
	s_cmp_eq_u64 s[0:1], s[38:39]
	s_cbranch_scc0 .LBB1451_148
; %bb.151:                              ;   in Loop: Header=BB1451_150 Depth=1
                                        ; implicit-def: $vgpr18_vgpr19
                                        ; implicit-def: $vgpr20_vgpr21
	s_mov_b64 s[38:39], s[26:27]
	s_branch .LBB1451_149
.LBB1451_152:
	s_or_b64 exec, exec, s[2:3]
	v_cmp_gt_i64_e32 vcc, s[26:27], v[22:23]
	s_orn2_b64 s[36:37], vcc, exec
.LBB1451_153:
	s_or_b64 exec, exec, s[18:19]
.LBB1451_154:
	s_and_b64 s[18:19], s[36:37], exec
	s_or_b64 s[12:13], s[12:13], exec
.LBB1451_155:
	s_or_b64 exec, exec, s[8:9]
	s_branch .LBB1451_203
.LBB1451_156:
	v_or_b32_e32 v18, 3, v1
	v_cmp_gt_u32_e32 vcc, s7, v18
	s_mov_b64 s[18:19], 0
	s_mov_b64 s[8:9], 0
	s_and_saveexec_b64 s[36:37], vcc
	s_cbranch_execz .LBB1451_167
; %bb.157:
	s_andn2_b64 vcc, exec, s[14:15]
	s_mov_b64 s[38:39], 0
	s_cbranch_vccnz .LBB1451_166
; %bb.158:
	v_mul_lo_u32 v20, v11, s26
	v_mul_lo_u32 v21, v10, s27
	v_mad_u64_u32 v[18:19], s[0:1], v10, s26, 0
	v_add3_u32 v19, v19, v21, v20
	v_mul_lo_u32 v20, v13, s26
	v_mul_lo_u32 v21, v12, s27
	v_mad_u64_u32 v[24:25], s[0:1], v12, s26, 0
	v_add3_u32 v25, v25, v21, v20
	v_lshlrev_b64 v[20:21], 1, v[18:19]
	v_mov_b32_e32 v18, s29
	v_add_co_u32_e32 v22, vcc, s28, v20
	v_addc_co_u32_e64 v23, s[0:1], v18, v21, vcc
	v_lshlrev_b64 v[18:19], 1, v[24:25]
	v_mov_b32_e32 v20, s29
	v_add_co_u32_e64 v24, s[0:1], s28, v18
	v_addc_co_u32_e64 v25, s[2:3], v20, v19, s[0:1]
	global_load_ushort v18, v[22:23], off
	global_load_ushort v20, v[24:25], off
	s_mov_b64 s[38:39], -1
	s_waitcnt vmcnt(0)
	v_cmp_eq_u16_e64 s[2:3], v18, v20
	s_and_saveexec_b64 s[8:9], s[2:3]
	s_cbranch_execz .LBB1451_165
; %bb.159:
	v_mov_b32_e32 v18, s29
	v_addc_co_u32_e64 v19, s[0:1], v19, v18, s[0:1]
	v_add_co_u32_e64 v18, s[0:1], 2, v24
	v_mov_b32_e32 v20, s29
	v_addc_co_u32_e64 v19, s[0:1], 0, v19, s[0:1]
	v_addc_co_u32_e32 v21, vcc, v21, v20, vcc
	v_add_co_u32_e32 v20, vcc, 2, v22
	s_add_u32 s0, s26, -1
	v_addc_co_u32_e32 v21, vcc, 0, v21, vcc
	s_addc_u32 s1, s27, -1
	s_mov_b64 s[2:3], 0
	s_mov_b64 s[40:41], 0
                                        ; implicit-def: $sgpr38_sgpr39
	s_branch .LBB1451_162
.LBB1451_160:                           ;   in Loop: Header=BB1451_162 Depth=1
	global_load_ushort v22, v[20:21], off
	global_load_ushort v23, v[18:19], off
	v_add_co_u32_e32 v18, vcc, 2, v18
	v_addc_co_u32_e32 v19, vcc, 0, v19, vcc
	v_add_co_u32_e32 v20, vcc, 2, v20
	v_addc_co_u32_e32 v21, vcc, 0, v21, vcc
	s_add_u32 s40, s40, 1
	s_addc_u32 s41, s41, 0
	s_andn2_b64 s[38:39], s[38:39], exec
	s_waitcnt vmcnt(0)
	v_cmp_ne_u16_e32 vcc, v22, v23
	s_and_b64 s[42:43], vcc, exec
	s_or_b64 s[38:39], s[38:39], s[42:43]
.LBB1451_161:                           ;   in Loop: Header=BB1451_162 Depth=1
	s_and_b64 s[42:43], exec, s[38:39]
	s_or_b64 s[2:3], s[42:43], s[2:3]
	v_pk_mov_b32 v[22:23], s[40:41], s[40:41] op_sel:[0,1]
	s_andn2_b64 exec, exec, s[2:3]
	s_cbranch_execz .LBB1451_164
.LBB1451_162:                           ; =>This Inner Loop Header: Depth=1
	s_or_b64 s[38:39], s[38:39], exec
	s_cmp_eq_u64 s[0:1], s[40:41]
	s_cbranch_scc0 .LBB1451_160
; %bb.163:                              ;   in Loop: Header=BB1451_162 Depth=1
                                        ; implicit-def: $vgpr18_vgpr19
                                        ; implicit-def: $vgpr20_vgpr21
	s_mov_b64 s[40:41], s[26:27]
	s_branch .LBB1451_161
.LBB1451_164:
	s_or_b64 exec, exec, s[2:3]
	v_cmp_gt_i64_e32 vcc, s[26:27], v[22:23]
	s_orn2_b64 s[38:39], vcc, exec
.LBB1451_165:
	s_or_b64 exec, exec, s[8:9]
.LBB1451_166:
	s_and_b64 s[8:9], s[38:39], exec
.LBB1451_167:
	s_or_b64 exec, exec, s[36:37]
	v_or_b32_e32 v18, 2, v1
	v_cmp_gt_u32_e32 vcc, s7, v18
	s_and_saveexec_b64 s[36:37], vcc
	s_cbranch_execz .LBB1451_178
; %bb.168:
	s_andn2_b64 vcc, exec, s[14:15]
	s_mov_b64 s[38:39], 0
	s_cbranch_vccnz .LBB1451_177
; %bb.169:
	v_mul_lo_u32 v20, v17, s26
	v_mul_lo_u32 v21, v16, s27
	v_mad_u64_u32 v[18:19], s[0:1], v16, s26, 0
	v_add3_u32 v19, v19, v21, v20
	v_mul_lo_u32 v20, v11, s26
	v_mul_lo_u32 v21, v10, s27
	v_mad_u64_u32 v[24:25], s[0:1], v10, s26, 0
	v_add3_u32 v25, v25, v21, v20
	v_lshlrev_b64 v[20:21], 1, v[18:19]
	v_mov_b32_e32 v18, s29
	v_add_co_u32_e32 v22, vcc, s28, v20
	v_addc_co_u32_e64 v23, s[0:1], v18, v21, vcc
	v_lshlrev_b64 v[18:19], 1, v[24:25]
	v_mov_b32_e32 v20, s29
	v_add_co_u32_e64 v24, s[0:1], s28, v18
	v_addc_co_u32_e64 v25, s[2:3], v20, v19, s[0:1]
	global_load_ushort v18, v[22:23], off
	global_load_ushort v20, v[24:25], off
	s_mov_b64 s[38:39], -1
	s_waitcnt vmcnt(0)
	v_cmp_eq_u16_e64 s[2:3], v18, v20
	s_and_saveexec_b64 s[18:19], s[2:3]
	s_cbranch_execz .LBB1451_176
; %bb.170:
	v_mov_b32_e32 v18, s29
	v_addc_co_u32_e64 v19, s[0:1], v19, v18, s[0:1]
	v_add_co_u32_e64 v18, s[0:1], 2, v24
	v_mov_b32_e32 v20, s29
	v_addc_co_u32_e64 v19, s[0:1], 0, v19, s[0:1]
	v_addc_co_u32_e32 v21, vcc, v21, v20, vcc
	v_add_co_u32_e32 v20, vcc, 2, v22
	s_add_u32 s0, s26, -1
	v_addc_co_u32_e32 v21, vcc, 0, v21, vcc
	s_addc_u32 s1, s27, -1
	s_mov_b64 s[2:3], 0
	s_mov_b64 s[40:41], 0
                                        ; implicit-def: $sgpr38_sgpr39
	s_branch .LBB1451_173
.LBB1451_171:                           ;   in Loop: Header=BB1451_173 Depth=1
	global_load_ushort v22, v[20:21], off
	global_load_ushort v23, v[18:19], off
	v_add_co_u32_e32 v18, vcc, 2, v18
	v_addc_co_u32_e32 v19, vcc, 0, v19, vcc
	v_add_co_u32_e32 v20, vcc, 2, v20
	v_addc_co_u32_e32 v21, vcc, 0, v21, vcc
	s_add_u32 s40, s40, 1
	s_addc_u32 s41, s41, 0
	s_andn2_b64 s[38:39], s[38:39], exec
	s_waitcnt vmcnt(0)
	v_cmp_ne_u16_e32 vcc, v22, v23
	s_and_b64 s[42:43], vcc, exec
	s_or_b64 s[38:39], s[38:39], s[42:43]
.LBB1451_172:                           ;   in Loop: Header=BB1451_173 Depth=1
	s_and_b64 s[42:43], exec, s[38:39]
	s_or_b64 s[2:3], s[42:43], s[2:3]
	v_pk_mov_b32 v[22:23], s[40:41], s[40:41] op_sel:[0,1]
	s_andn2_b64 exec, exec, s[2:3]
	s_cbranch_execz .LBB1451_175
.LBB1451_173:                           ; =>This Inner Loop Header: Depth=1
	s_or_b64 s[38:39], s[38:39], exec
	s_cmp_eq_u64 s[0:1], s[40:41]
	s_cbranch_scc0 .LBB1451_171
; %bb.174:                              ;   in Loop: Header=BB1451_173 Depth=1
                                        ; implicit-def: $vgpr18_vgpr19
                                        ; implicit-def: $vgpr20_vgpr21
	s_mov_b64 s[40:41], s[26:27]
	s_branch .LBB1451_172
.LBB1451_175:
	s_or_b64 exec, exec, s[2:3]
	v_cmp_gt_i64_e32 vcc, s[26:27], v[22:23]
	s_orn2_b64 s[38:39], vcc, exec
.LBB1451_176:
	s_or_b64 exec, exec, s[18:19]
.LBB1451_177:
	s_and_b64 s[18:19], s[38:39], exec
.LBB1451_178:
	s_or_b64 exec, exec, s[36:37]
	v_or_b32_e32 v18, 1, v1
	v_cmp_gt_u32_e32 vcc, s7, v18
	s_mov_b64 s[0:1], 0
	s_and_saveexec_b64 s[36:37], vcc
	s_cbranch_execz .LBB1451_189
; %bb.179:
	s_andn2_b64 vcc, exec, s[14:15]
	s_mov_b64 s[40:41], 0
	s_cbranch_vccnz .LBB1451_188
; %bb.180:
	v_mul_lo_u32 v20, v15, s26
	v_mul_lo_u32 v21, v14, s27
	v_mad_u64_u32 v[18:19], s[0:1], v14, s26, 0
	v_add3_u32 v19, v19, v21, v20
	v_mul_lo_u32 v20, v17, s26
	v_mul_lo_u32 v21, v16, s27
	v_mad_u64_u32 v[24:25], s[0:1], v16, s26, 0
	v_add3_u32 v25, v25, v21, v20
	v_lshlrev_b64 v[20:21], 1, v[18:19]
	v_mov_b32_e32 v18, s29
	v_add_co_u32_e32 v22, vcc, s28, v20
	v_addc_co_u32_e64 v23, s[0:1], v18, v21, vcc
	v_lshlrev_b64 v[18:19], 1, v[24:25]
	v_mov_b32_e32 v20, s29
	v_add_co_u32_e64 v24, s[0:1], s28, v18
	v_addc_co_u32_e64 v25, s[2:3], v20, v19, s[0:1]
	global_load_ushort v18, v[22:23], off
	global_load_ushort v20, v[24:25], off
	s_mov_b64 s[40:41], -1
	s_waitcnt vmcnt(0)
	v_cmp_eq_u16_e64 s[2:3], v18, v20
	s_and_saveexec_b64 s[38:39], s[2:3]
	s_cbranch_execz .LBB1451_187
; %bb.181:
	v_mov_b32_e32 v18, s29
	v_addc_co_u32_e64 v19, s[0:1], v19, v18, s[0:1]
	v_add_co_u32_e64 v18, s[0:1], 2, v24
	v_mov_b32_e32 v20, s29
	v_addc_co_u32_e64 v19, s[0:1], 0, v19, s[0:1]
	v_addc_co_u32_e32 v21, vcc, v21, v20, vcc
	v_add_co_u32_e32 v20, vcc, 2, v22
	s_add_u32 s0, s26, -1
	v_addc_co_u32_e32 v21, vcc, 0, v21, vcc
	s_addc_u32 s1, s27, -1
	s_mov_b64 s[2:3], 0
	s_mov_b64 s[42:43], 0
                                        ; implicit-def: $sgpr40_sgpr41
	s_branch .LBB1451_184
.LBB1451_182:                           ;   in Loop: Header=BB1451_184 Depth=1
	global_load_ushort v22, v[20:21], off
	global_load_ushort v23, v[18:19], off
	v_add_co_u32_e32 v18, vcc, 2, v18
	v_addc_co_u32_e32 v19, vcc, 0, v19, vcc
	v_add_co_u32_e32 v20, vcc, 2, v20
	v_addc_co_u32_e32 v21, vcc, 0, v21, vcc
	s_add_u32 s42, s42, 1
	s_addc_u32 s43, s43, 0
	s_andn2_b64 s[40:41], s[40:41], exec
	s_waitcnt vmcnt(0)
	v_cmp_ne_u16_e32 vcc, v22, v23
	s_and_b64 s[44:45], vcc, exec
	s_or_b64 s[40:41], s[40:41], s[44:45]
.LBB1451_183:                           ;   in Loop: Header=BB1451_184 Depth=1
	s_and_b64 s[44:45], exec, s[40:41]
	s_or_b64 s[2:3], s[44:45], s[2:3]
	v_pk_mov_b32 v[22:23], s[42:43], s[42:43] op_sel:[0,1]
	s_andn2_b64 exec, exec, s[2:3]
	s_cbranch_execz .LBB1451_186
.LBB1451_184:                           ; =>This Inner Loop Header: Depth=1
	s_or_b64 s[40:41], s[40:41], exec
	s_cmp_eq_u64 s[0:1], s[42:43]
	s_cbranch_scc0 .LBB1451_182
; %bb.185:                              ;   in Loop: Header=BB1451_184 Depth=1
                                        ; implicit-def: $vgpr18_vgpr19
                                        ; implicit-def: $vgpr20_vgpr21
	s_mov_b64 s[42:43], s[26:27]
	s_branch .LBB1451_183
.LBB1451_186:
	s_or_b64 exec, exec, s[2:3]
	v_cmp_gt_i64_e32 vcc, s[26:27], v[22:23]
	s_orn2_b64 s[40:41], vcc, exec
.LBB1451_187:
	s_or_b64 exec, exec, s[38:39]
.LBB1451_188:
	s_and_b64 s[0:1], s[40:41], exec
.LBB1451_189:
	s_or_b64 exec, exec, s[36:37]
	v_cndmask_b32_e64 v19, 0, 1, s[8:9]
	v_cndmask_b32_e64 v20, 0, 1, s[0:1]
	;; [unrolled: 1-line block ×3, first 2 shown]
	v_lshlrev_b16_e32 v20, 8, v20
	v_lshlrev_b16_e32 v19, 8, v19
	v_or_b32_e32 v20, 1, v20
	v_or_b32_sdwa v18, v18, v19 dst_sel:WORD_1 dst_unused:UNUSED_PAD src0_sel:DWORD src1_sel:DWORD
	v_or_b32_sdwa v28, v20, v18 dst_sel:DWORD dst_unused:UNUSED_PAD src0_sel:WORD_0 src1_sel:DWORD
	v_cmp_ne_u32_e32 vcc, 0, v0
	s_waitcnt lgkmcnt(0)
	s_barrier
	s_waitcnt lgkmcnt(0)
                                        ; implicit-def: $sgpr18_sgpr19
	s_and_saveexec_b64 s[8:9], vcc
	s_cbranch_execz .LBB1451_202
; %bb.190:
	v_cmp_gt_u32_e32 vcc, s7, v1
	s_mov_b64 s[0:1], 0
	s_and_saveexec_b64 s[18:19], vcc
	s_cbranch_execz .LBB1451_201
; %bb.191:
	s_andn2_b64 vcc, exec, s[14:15]
	s_mov_b64 s[36:37], 0
	s_cbranch_vccnz .LBB1451_200
; %bb.192:
	v_add_u32_e32 v18, -8, v29
	ds_read_b64 v[18:19], v18
	v_mul_lo_u32 v20, v15, s26
	v_mad_u64_u32 v[24:25], s[0:1], v14, s26, 0
	s_mov_b64 s[36:37], -1
	s_waitcnt lgkmcnt(0)
	v_mul_lo_u32 v21, v19, s26
	v_mul_lo_u32 v22, v18, s27
	v_mad_u64_u32 v[18:19], s[0:1], v18, s26, 0
	v_add3_u32 v19, v19, v22, v21
	v_mul_lo_u32 v21, v14, s27
	v_add3_u32 v25, v25, v21, v20
	v_lshlrev_b64 v[20:21], 1, v[18:19]
	v_mov_b32_e32 v18, s29
	v_add_co_u32_e32 v22, vcc, s28, v20
	v_addc_co_u32_e64 v23, s[0:1], v18, v21, vcc
	v_lshlrev_b64 v[18:19], 1, v[24:25]
	v_mov_b32_e32 v20, s29
	v_add_co_u32_e64 v24, s[0:1], s28, v18
	v_addc_co_u32_e64 v25, s[2:3], v20, v19, s[0:1]
	global_load_ushort v18, v[22:23], off
	global_load_ushort v20, v[24:25], off
	s_waitcnt vmcnt(0)
	v_cmp_eq_u16_e64 s[2:3], v18, v20
	s_and_saveexec_b64 s[14:15], s[2:3]
	s_cbranch_execz .LBB1451_199
; %bb.193:
	v_mov_b32_e32 v18, s29
	v_addc_co_u32_e64 v19, s[0:1], v19, v18, s[0:1]
	v_add_co_u32_e64 v18, s[0:1], 2, v24
	v_mov_b32_e32 v20, s29
	v_addc_co_u32_e64 v19, s[0:1], 0, v19, s[0:1]
	v_addc_co_u32_e32 v21, vcc, v21, v20, vcc
	v_add_co_u32_e32 v20, vcc, 2, v22
	s_add_u32 s0, s26, -1
	v_addc_co_u32_e32 v21, vcc, 0, v21, vcc
	s_addc_u32 s1, s27, -1
	s_mov_b64 s[2:3], 0
	s_mov_b64 s[36:37], 0
                                        ; implicit-def: $sgpr28_sgpr29
	s_branch .LBB1451_196
.LBB1451_194:                           ;   in Loop: Header=BB1451_196 Depth=1
	global_load_ushort v22, v[20:21], off
	global_load_ushort v23, v[18:19], off
	v_add_co_u32_e32 v18, vcc, 2, v18
	v_addc_co_u32_e32 v19, vcc, 0, v19, vcc
	v_add_co_u32_e32 v20, vcc, 2, v20
	v_addc_co_u32_e32 v21, vcc, 0, v21, vcc
	s_add_u32 s36, s36, 1
	s_addc_u32 s37, s37, 0
	s_andn2_b64 s[28:29], s[28:29], exec
	s_waitcnt vmcnt(0)
	v_cmp_ne_u16_e32 vcc, v22, v23
	s_and_b64 s[38:39], vcc, exec
	s_or_b64 s[28:29], s[28:29], s[38:39]
.LBB1451_195:                           ;   in Loop: Header=BB1451_196 Depth=1
	s_and_b64 s[38:39], exec, s[28:29]
	s_or_b64 s[2:3], s[38:39], s[2:3]
	v_pk_mov_b32 v[22:23], s[36:37], s[36:37] op_sel:[0,1]
	s_andn2_b64 exec, exec, s[2:3]
	s_cbranch_execz .LBB1451_198
.LBB1451_196:                           ; =>This Inner Loop Header: Depth=1
	s_or_b64 s[28:29], s[28:29], exec
	s_cmp_eq_u64 s[0:1], s[36:37]
	s_cbranch_scc0 .LBB1451_194
; %bb.197:                              ;   in Loop: Header=BB1451_196 Depth=1
                                        ; implicit-def: $vgpr18_vgpr19
                                        ; implicit-def: $vgpr20_vgpr21
	s_mov_b64 s[36:37], s[26:27]
	s_branch .LBB1451_195
.LBB1451_198:
	s_or_b64 exec, exec, s[2:3]
	v_cmp_gt_i64_e32 vcc, s[26:27], v[22:23]
	s_orn2_b64 s[36:37], vcc, exec
.LBB1451_199:
	s_or_b64 exec, exec, s[14:15]
.LBB1451_200:
	s_and_b64 s[0:1], s[36:37], exec
.LBB1451_201:
	s_or_b64 exec, exec, s[18:19]
	s_and_b64 s[18:19], s[0:1], exec
	s_or_b64 s[12:13], s[12:13], exec
.LBB1451_202:
	s_or_b64 exec, exec, s[8:9]
.LBB1451_203:
	s_and_saveexec_b64 s[0:1], s[12:13]
; %bb.204:
	v_and_b32_e32 v18, 0xffffff00, v28
	v_cndmask_b32_e64 v19, 0, 1, s[18:19]
	v_or_b32_e32 v18, v19, v18
	v_and_b32_e32 v18, 0xffff, v18
	s_mov_b32 s2, 0xffff0000
	v_and_or_b32 v28, v28, s2, v18
; %bb.205:
	s_or_b64 exec, exec, s[0:1]
	s_andn2_b64 vcc, exec, s[10:11]
	s_cbranch_vccnz .LBB1451_207
; %bb.206:
	v_cmp_gt_u32_e32 vcc, s7, v1
	v_cndmask_b32_e32 v18, 0, v28, vcc
	v_or_b32_e32 v19, 1, v1
	v_and_b32_e32 v18, 0xff, v18
	v_cmp_gt_u32_e32 vcc, s7, v19
	v_cndmask_b32_e32 v18, v18, v28, vcc
	v_or_b32_e32 v19, 2, v1
	v_and_b32_e32 v18, 0xffff, v18
	v_cmp_gt_u32_e32 vcc, s7, v19
	v_cndmask_b32_e32 v18, v18, v28, vcc
	v_or_b32_e32 v19, 3, v1
	v_and_b32_e32 v18, 0xffffff, v18
	v_cmp_gt_u32_e32 vcc, s7, v19
	v_cndmask_b32_e32 v28, v18, v28, vcc
.LBB1451_207:
	v_bfe_u32 v30, v28, 16, 8
	v_lshrrev_b32_e32 v29, 24, v28
	v_add_u32_sdwa v18, v28, v28 dst_sel:DWORD dst_unused:UNUSED_PAD src0_sel:BYTE_1 src1_sel:BYTE_0
	v_add3_u32 v33, v18, v30, v29
	v_mbcnt_lo_u32_b32 v18, -1, 0
	v_mbcnt_hi_u32_b32 v31, -1, v18
	v_and_b32_e32 v18, 15, v31
	v_cmp_eq_u32_e64 s[14:15], 0, v18
	v_cmp_lt_u32_e64 s[12:13], 1, v18
	v_cmp_lt_u32_e64 s[10:11], 3, v18
	;; [unrolled: 1-line block ×3, first 2 shown]
	v_and_b32_e32 v18, 16, v31
	v_cmp_eq_u32_e64 s[18:19], 0, v18
	v_or_b32_e32 v18, 63, v0
	v_cmp_lt_u32_e64 s[0:1], 31, v31
	v_lshrrev_b32_e32 v32, 6, v0
	v_cmp_eq_u32_e64 s[2:3], v18, v0
	s_and_b64 vcc, exec, s[16:17]
	s_waitcnt lgkmcnt(0)
	s_barrier
	s_cbranch_vccz .LBB1451_234
; %bb.208:
	v_mov_b32_dpp v18, v33 row_shr:1 row_mask:0xf bank_mask:0xf
	v_cndmask_b32_e64 v18, v18, 0, s[14:15]
	v_add_u32_e32 v18, v18, v33
	s_nop 1
	v_mov_b32_dpp v19, v18 row_shr:2 row_mask:0xf bank_mask:0xf
	v_cndmask_b32_e64 v19, 0, v19, s[12:13]
	v_add_u32_e32 v18, v18, v19
	s_nop 1
	;; [unrolled: 4-line block ×4, first 2 shown]
	v_mov_b32_dpp v19, v18 row_bcast:15 row_mask:0xf bank_mask:0xf
	v_cndmask_b32_e64 v19, v19, 0, s[18:19]
	v_add_u32_e32 v18, v18, v19
	s_nop 1
	v_mov_b32_dpp v19, v18 row_bcast:31 row_mask:0xf bank_mask:0xf
	v_cndmask_b32_e64 v19, 0, v19, s[0:1]
	v_add_u32_e32 v18, v18, v19
	s_and_saveexec_b64 s[16:17], s[2:3]
	s_cbranch_execz .LBB1451_210
; %bb.209:
	v_lshlrev_b32_e32 v19, 2, v32
	ds_write_b32 v19, v18
.LBB1451_210:
	s_or_b64 exec, exec, s[16:17]
	v_cmp_gt_u32_e32 vcc, 2, v0
	s_waitcnt lgkmcnt(0)
	s_barrier
	s_and_saveexec_b64 s[16:17], vcc
	s_cbranch_execz .LBB1451_212
; %bb.211:
	ds_read_b32 v19, v1
	v_bfe_i32 v20, v31, 0, 1
	s_waitcnt lgkmcnt(0)
	v_mov_b32_dpp v21, v19 row_shr:1 row_mask:0xf bank_mask:0xf
	v_and_b32_e32 v20, v20, v21
	v_add_u32_e32 v19, v20, v19
	ds_write_b32 v1, v19
.LBB1451_212:
	s_or_b64 exec, exec, s[16:17]
	v_cmp_gt_u32_e32 vcc, 64, v0
	v_cmp_lt_u32_e64 s[16:17], 63, v0
	s_waitcnt lgkmcnt(0)
	s_barrier
	s_waitcnt lgkmcnt(0)
                                        ; implicit-def: $vgpr34
	s_and_saveexec_b64 s[26:27], s[16:17]
	s_cbranch_execz .LBB1451_214
; %bb.213:
	v_lshl_add_u32 v19, v32, 2, -4
	ds_read_b32 v34, v19
	s_waitcnt lgkmcnt(0)
	v_add_u32_e32 v18, v34, v18
.LBB1451_214:
	s_or_b64 exec, exec, s[26:27]
	v_add_u32_e32 v19, -1, v31
	v_and_b32_e32 v20, 64, v31
	v_cmp_lt_i32_e64 s[16:17], v19, v20
	v_cndmask_b32_e64 v19, v19, v31, s[16:17]
	v_lshlrev_b32_e32 v19, 2, v19
	ds_bpermute_b32 v35, v19, v18
	v_cmp_eq_u32_e64 s[16:17], 0, v31
	s_and_saveexec_b64 s[26:27], vcc
	s_cbranch_execz .LBB1451_233
; %bb.215:
	v_mov_b32_e32 v25, 0
	ds_read_b32 v18, v25 offset:4
	s_and_saveexec_b64 s[28:29], s[16:17]
	s_cbranch_execz .LBB1451_217
; %bb.216:
	s_add_i32 s36, s6, 64
	s_mov_b32 s37, 0
	s_lshl_b64 s[36:37], s[36:37], 3
	s_add_u32 s36, s30, s36
	v_mov_b32_e32 v19, 1
	s_addc_u32 s37, s31, s37
	s_waitcnt lgkmcnt(0)
	global_store_dwordx2 v25, v[18:19], s[36:37]
.LBB1451_217:
	s_or_b64 exec, exec, s[28:29]
	v_xad_u32 v20, v31, -1, s6
	v_add_u32_e32 v24, 64, v20
	v_lshlrev_b64 v[22:23], 3, v[24:25]
	v_mov_b32_e32 v19, s31
	v_add_co_u32_e32 v26, vcc, s30, v22
	v_addc_co_u32_e32 v27, vcc, v19, v23, vcc
	global_load_dwordx2 v[22:23], v[26:27], off glc
	s_waitcnt vmcnt(0)
	v_cmp_eq_u16_sdwa s[36:37], v23, v25 src0_sel:BYTE_0 src1_sel:DWORD
	s_and_saveexec_b64 s[28:29], s[36:37]
	s_cbranch_execz .LBB1451_221
; %bb.218:
	s_mov_b64 s[36:37], 0
	v_mov_b32_e32 v19, 0
.LBB1451_219:                           ; =>This Inner Loop Header: Depth=1
	global_load_dwordx2 v[22:23], v[26:27], off glc
	s_waitcnt vmcnt(0)
	v_cmp_ne_u16_sdwa s[38:39], v23, v19 src0_sel:BYTE_0 src1_sel:DWORD
	s_or_b64 s[36:37], s[38:39], s[36:37]
	s_andn2_b64 exec, exec, s[36:37]
	s_cbranch_execnz .LBB1451_219
; %bb.220:
	s_or_b64 exec, exec, s[36:37]
.LBB1451_221:
	s_or_b64 exec, exec, s[28:29]
	v_and_b32_e32 v36, 63, v31
	v_mov_b32_e32 v19, 2
	v_cmp_ne_u32_e32 vcc, 63, v36
	v_cmp_eq_u16_sdwa s[28:29], v23, v19 src0_sel:BYTE_0 src1_sel:DWORD
	v_lshlrev_b64 v[24:25], v31, -1
	v_addc_co_u32_e32 v27, vcc, 0, v31, vcc
	v_and_b32_e32 v21, s29, v25
	v_lshlrev_b32_e32 v37, 2, v27
	v_or_b32_e32 v21, 0x80000000, v21
	ds_bpermute_b32 v27, v37, v22
	v_and_b32_e32 v26, s28, v24
	v_ffbl_b32_e32 v21, v21
	v_add_u32_e32 v21, 32, v21
	v_ffbl_b32_e32 v26, v26
	v_min_u32_e32 v21, v26, v21
	v_cmp_lt_u32_e32 vcc, v36, v21
	s_waitcnt lgkmcnt(0)
	v_cndmask_b32_e32 v26, 0, v27, vcc
	v_cmp_gt_u32_e32 vcc, 62, v36
	v_add_u32_e32 v22, v26, v22
	v_cndmask_b32_e64 v26, 0, 1, vcc
	v_lshlrev_b32_e32 v26, 1, v26
	v_add_lshl_u32 v38, v26, v31, 2
	ds_bpermute_b32 v26, v38, v22
	v_add_u32_e32 v39, 2, v36
	v_cmp_le_u32_e32 vcc, v39, v21
	v_add_u32_e32 v41, 4, v36
	v_add_u32_e32 v43, 8, v36
	s_waitcnt lgkmcnt(0)
	v_cndmask_b32_e32 v26, 0, v26, vcc
	v_cmp_gt_u32_e32 vcc, 60, v36
	v_add_u32_e32 v22, v22, v26
	v_cndmask_b32_e64 v26, 0, 1, vcc
	v_lshlrev_b32_e32 v26, 2, v26
	v_add_lshl_u32 v40, v26, v31, 2
	ds_bpermute_b32 v26, v40, v22
	v_cmp_le_u32_e32 vcc, v41, v21
	v_add_u32_e32 v46, 16, v36
	v_add_u32_e32 v48, 32, v36
	s_waitcnt lgkmcnt(0)
	v_cndmask_b32_e32 v26, 0, v26, vcc
	v_cmp_gt_u32_e32 vcc, 56, v36
	v_add_u32_e32 v22, v22, v26
	v_cndmask_b32_e64 v26, 0, 1, vcc
	v_lshlrev_b32_e32 v26, 3, v26
	v_add_lshl_u32 v42, v26, v31, 2
	ds_bpermute_b32 v26, v42, v22
	v_cmp_le_u32_e32 vcc, v43, v21
	s_waitcnt lgkmcnt(0)
	v_cndmask_b32_e32 v26, 0, v26, vcc
	v_cmp_gt_u32_e32 vcc, 48, v36
	v_add_u32_e32 v22, v22, v26
	v_cndmask_b32_e64 v26, 0, 1, vcc
	v_lshlrev_b32_e32 v26, 4, v26
	v_add_lshl_u32 v45, v26, v31, 2
	ds_bpermute_b32 v26, v45, v22
	v_cmp_le_u32_e32 vcc, v46, v21
	;; [unrolled: 9-line block ×3, first 2 shown]
	s_waitcnt lgkmcnt(0)
	v_cndmask_b32_e32 v21, 0, v26, vcc
	v_add_u32_e32 v22, v22, v21
	v_mov_b32_e32 v21, 0
	s_branch .LBB1451_223
.LBB1451_222:                           ;   in Loop: Header=BB1451_223 Depth=1
	s_or_b64 exec, exec, s[28:29]
	v_cmp_eq_u16_sdwa s[28:29], v23, v19 src0_sel:BYTE_0 src1_sel:DWORD
	v_and_b32_e32 v26, s29, v25
	v_or_b32_e32 v26, 0x80000000, v26
	ds_bpermute_b32 v49, v37, v22
	v_and_b32_e32 v27, s28, v24
	v_ffbl_b32_e32 v26, v26
	v_add_u32_e32 v26, 32, v26
	v_ffbl_b32_e32 v27, v27
	v_min_u32_e32 v26, v27, v26
	v_cmp_lt_u32_e32 vcc, v36, v26
	s_waitcnt lgkmcnt(0)
	v_cndmask_b32_e32 v27, 0, v49, vcc
	v_add_u32_e32 v22, v27, v22
	ds_bpermute_b32 v27, v38, v22
	v_cmp_le_u32_e32 vcc, v39, v26
	v_subrev_u32_e32 v20, 64, v20
	s_waitcnt lgkmcnt(0)
	v_cndmask_b32_e32 v27, 0, v27, vcc
	v_add_u32_e32 v22, v22, v27
	ds_bpermute_b32 v27, v40, v22
	v_cmp_le_u32_e32 vcc, v41, v26
	s_waitcnt lgkmcnt(0)
	v_cndmask_b32_e32 v27, 0, v27, vcc
	v_add_u32_e32 v22, v22, v27
	ds_bpermute_b32 v27, v42, v22
	v_cmp_le_u32_e32 vcc, v43, v26
	;; [unrolled: 5-line block ×4, first 2 shown]
	s_waitcnt lgkmcnt(0)
	v_cndmask_b32_e32 v26, 0, v27, vcc
	v_add3_u32 v22, v26, v44, v22
.LBB1451_223:                           ; =>This Loop Header: Depth=1
                                        ;     Child Loop BB1451_226 Depth 2
	v_cmp_ne_u16_sdwa s[28:29], v23, v19 src0_sel:BYTE_0 src1_sel:DWORD
	v_cndmask_b32_e64 v23, 0, 1, s[28:29]
	;;#ASMSTART
	;;#ASMEND
	v_cmp_ne_u32_e32 vcc, 0, v23
	s_cmp_lg_u64 vcc, exec
	v_mov_b32_e32 v44, v22
	s_cbranch_scc1 .LBB1451_228
; %bb.224:                              ;   in Loop: Header=BB1451_223 Depth=1
	v_lshlrev_b64 v[22:23], 3, v[20:21]
	v_mov_b32_e32 v27, s31
	v_add_co_u32_e32 v26, vcc, s30, v22
	v_addc_co_u32_e32 v27, vcc, v27, v23, vcc
	global_load_dwordx2 v[22:23], v[26:27], off glc
	s_waitcnt vmcnt(0)
	v_cmp_eq_u16_sdwa s[36:37], v23, v21 src0_sel:BYTE_0 src1_sel:DWORD
	s_and_saveexec_b64 s[28:29], s[36:37]
	s_cbranch_execz .LBB1451_222
; %bb.225:                              ;   in Loop: Header=BB1451_223 Depth=1
	s_mov_b64 s[36:37], 0
.LBB1451_226:                           ;   Parent Loop BB1451_223 Depth=1
                                        ; =>  This Inner Loop Header: Depth=2
	global_load_dwordx2 v[22:23], v[26:27], off glc
	s_waitcnt vmcnt(0)
	v_cmp_ne_u16_sdwa s[38:39], v23, v21 src0_sel:BYTE_0 src1_sel:DWORD
	s_or_b64 s[36:37], s[38:39], s[36:37]
	s_andn2_b64 exec, exec, s[36:37]
	s_cbranch_execnz .LBB1451_226
; %bb.227:                              ;   in Loop: Header=BB1451_223 Depth=1
	s_or_b64 exec, exec, s[36:37]
	s_branch .LBB1451_222
.LBB1451_228:                           ;   in Loop: Header=BB1451_223 Depth=1
                                        ; implicit-def: $vgpr22
                                        ; implicit-def: $vgpr23
	s_cbranch_execz .LBB1451_223
; %bb.229:
	s_and_saveexec_b64 s[28:29], s[16:17]
	s_cbranch_execz .LBB1451_231
; %bb.230:
	s_add_i32 s6, s6, 64
	s_mov_b32 s7, 0
	s_lshl_b64 s[6:7], s[6:7], 3
	s_add_u32 s6, s30, s6
	v_add_u32_e32 v20, v44, v18
	v_mov_b32_e32 v21, 2
	s_addc_u32 s7, s31, s7
	v_mov_b32_e32 v19, 0
	global_store_dwordx2 v19, v[20:21], s[6:7]
	s_movk_i32 s6, 0x1000
	v_add_u32_e64 v19, s6, 0
	ds_write2_b32 v19, v18, v44 offset0:32 offset1:34
.LBB1451_231:
	s_or_b64 exec, exec, s[28:29]
	v_cmp_eq_u32_e32 vcc, 0, v0
	s_and_b64 exec, exec, vcc
	s_cbranch_execz .LBB1451_233
; %bb.232:
	v_mov_b32_e32 v18, 0
	ds_write_b32 v18, v44 offset:4
.LBB1451_233:
	s_or_b64 exec, exec, s[26:27]
	v_mov_b32_e32 v19, 0
	s_waitcnt lgkmcnt(0)
	s_barrier
	ds_read_b32 v19, v19 offset:4
	s_movk_i32 s6, 0x1000
	v_add_u32_e64 v20, s6, 0
	v_cndmask_b32_e64 v18, v35, v34, s[16:17]
	v_cmp_ne_u32_e32 vcc, 0, v0
	s_waitcnt lgkmcnt(0)
	s_barrier
	ds_read2_b32 v[26:27], v20 offset0:32 offset1:34
	v_cndmask_b32_e32 v18, 0, v18, vcc
	v_add_u32_e32 v24, v19, v18
	v_add_u32_sdwa v22, v24, v28 dst_sel:DWORD dst_unused:UNUSED_PAD src0_sel:DWORD src1_sel:BYTE_0
	v_add_u32_sdwa v20, v22, v28 dst_sel:DWORD dst_unused:UNUSED_PAD src0_sel:DWORD src1_sel:BYTE_1
	v_add_u32_e32 v18, v20, v30
	s_waitcnt lgkmcnt(0)
	v_readfirstlane_b32 s26, v26
	v_readfirstlane_b32 s16, v27
	s_branch .LBB1451_244
.LBB1451_234:
                                        ; implicit-def: $vgpr18
                                        ; implicit-def: $vgpr20
                                        ; implicit-def: $vgpr22
                                        ; implicit-def: $vgpr24
                                        ; implicit-def: $sgpr16
                                        ; implicit-def: $sgpr26
	s_cbranch_execz .LBB1451_244
; %bb.235:
	s_nop 0
	v_mov_b32_dpp v18, v33 row_shr:1 row_mask:0xf bank_mask:0xf
	v_cndmask_b32_e64 v18, v18, 0, s[14:15]
	v_add_u32_e32 v18, v18, v33
	s_nop 1
	v_mov_b32_dpp v19, v18 row_shr:2 row_mask:0xf bank_mask:0xf
	v_cndmask_b32_e64 v19, 0, v19, s[12:13]
	v_add_u32_e32 v18, v18, v19
	;; [unrolled: 4-line block ×4, first 2 shown]
	s_nop 1
	v_mov_b32_dpp v19, v18 row_bcast:15 row_mask:0xf bank_mask:0xf
	v_cndmask_b32_e64 v19, v19, 0, s[18:19]
	v_add_u32_e32 v18, v18, v19
	s_nop 1
	v_mov_b32_dpp v19, v18 row_bcast:31 row_mask:0xf bank_mask:0xf
	v_cndmask_b32_e64 v19, 0, v19, s[0:1]
	v_add_u32_e32 v18, v18, v19
	s_and_saveexec_b64 s[0:1], s[2:3]
	s_cbranch_execz .LBB1451_237
; %bb.236:
	v_lshlrev_b32_e32 v19, 2, v32
	ds_write_b32 v19, v18
.LBB1451_237:
	s_or_b64 exec, exec, s[0:1]
	v_cmp_gt_u32_e32 vcc, 2, v0
	s_waitcnt lgkmcnt(0)
	s_barrier
	s_and_saveexec_b64 s[0:1], vcc
	s_cbranch_execz .LBB1451_239
; %bb.238:
	ds_read_b32 v19, v1
	v_bfe_i32 v20, v31, 0, 1
	s_waitcnt lgkmcnt(0)
	v_mov_b32_dpp v21, v19 row_shr:1 row_mask:0xf bank_mask:0xf
	v_and_b32_e32 v20, v20, v21
	v_add_u32_e32 v19, v20, v19
	ds_write_b32 v1, v19
.LBB1451_239:
	s_or_b64 exec, exec, s[0:1]
	v_cmp_lt_u32_e32 vcc, 63, v0
	v_mov_b32_e32 v19, 0
	v_mov_b32_e32 v1, 0
	s_waitcnt lgkmcnt(0)
	s_barrier
	s_and_saveexec_b64 s[0:1], vcc
	s_cbranch_execz .LBB1451_241
; %bb.240:
	v_lshl_add_u32 v1, v32, 2, -4
	ds_read_b32 v1, v1
.LBB1451_241:
	s_or_b64 exec, exec, s[0:1]
	v_add_u32_e32 v20, -1, v31
	v_and_b32_e32 v21, 64, v31
	v_cmp_lt_i32_e32 vcc, v20, v21
	v_cndmask_b32_e32 v20, v20, v31, vcc
	s_waitcnt lgkmcnt(0)
	v_add_u32_e32 v18, v1, v18
	v_lshlrev_b32_e32 v20, 2, v20
	ds_read_b32 v19, v19 offset:4
	ds_bpermute_b32 v18, v20, v18
	s_mov_b32 s16, 0
	v_cmp_eq_u32_e32 vcc, 0, v0
	s_waitcnt lgkmcnt(1)
	v_readfirstlane_b32 s26, v19
	s_and_saveexec_b64 s[0:1], vcc
	s_cbranch_execz .LBB1451_243
; %bb.242:
	v_mov_b32_e32 v19, 0
	v_mov_b32_e32 v20, s26
	;; [unrolled: 1-line block ×3, first 2 shown]
	global_store_dwordx2 v19, v[20:21], s[30:31] offset:512
.LBB1451_243:
	s_or_b64 exec, exec, s[0:1]
	v_cmp_eq_u32_e64 s[0:1], 0, v31
	s_waitcnt lgkmcnt(0)
	v_cndmask_b32_e64 v1, v18, v1, s[0:1]
	v_cndmask_b32_e64 v24, v1, 0, vcc
	v_add_u32_sdwa v22, v24, v28 dst_sel:DWORD dst_unused:UNUSED_PAD src0_sel:DWORD src1_sel:BYTE_0
	v_add_u32_sdwa v20, v22, v28 dst_sel:DWORD dst_unused:UNUSED_PAD src0_sel:DWORD src1_sel:BYTE_1
	v_add_u32_e32 v18, v20, v30
	s_barrier
.LBB1451_244:
	s_load_dwordx4 s[4:7], s[4:5], 0x28
	s_cmpk_lt_u32 s26, 0x81
	s_cselect_b64 s[2:3], -1, 0
	v_lshrrev_b32_e32 v1, 8, v28
	s_mov_b64 s[0:1], -1
	s_and_b64 vcc, exec, s[2:3]
	s_cbranch_vccz .LBB1451_258
; %bb.245:
	s_add_i32 s8, s16, s26
	v_cmp_gt_u32_e32 vcc, s8, v24
	s_or_b64 s[10:11], s[34:35], vcc
	s_and_saveexec_b64 s[0:1], s[10:11]
	s_cbranch_execz .LBB1451_248
; %bb.246:
	v_and_b32_e32 v19, 1, v28
	v_cmp_eq_u32_e32 vcc, 1, v19
	s_and_b64 exec, exec, vcc
	s_cbranch_execz .LBB1451_248
; %bb.247:
	s_lshl_b64 s[10:11], s[22:23], 3
	s_waitcnt lgkmcnt(0)
	s_add_u32 s9, s4, s10
	v_mov_b32_e32 v25, 0
	s_addc_u32 s10, s5, s11
	v_lshlrev_b64 v[26:27], 3, v[24:25]
	v_mov_b32_e32 v19, s10
	v_add_co_u32_e32 v26, vcc, s9, v26
	v_addc_co_u32_e32 v27, vcc, v19, v27, vcc
	global_store_dwordx2 v[26:27], v[14:15], off
.LBB1451_248:
	s_or_b64 exec, exec, s[0:1]
	v_cmp_gt_u32_e32 vcc, s8, v22
	s_or_b64 s[10:11], s[34:35], vcc
	s_and_saveexec_b64 s[0:1], s[10:11]
	s_cbranch_execz .LBB1451_251
; %bb.249:
	v_and_b32_e32 v19, 1, v1
	v_cmp_eq_u32_e32 vcc, 1, v19
	s_and_b64 exec, exec, vcc
	s_cbranch_execz .LBB1451_251
; %bb.250:
	s_lshl_b64 s[10:11], s[22:23], 3
	s_waitcnt lgkmcnt(0)
	s_add_u32 s9, s4, s10
	v_mov_b32_e32 v23, 0
	s_addc_u32 s10, s5, s11
	v_lshlrev_b64 v[26:27], 3, v[22:23]
	v_mov_b32_e32 v19, s10
	v_add_co_u32_e32 v26, vcc, s9, v26
	v_addc_co_u32_e32 v27, vcc, v19, v27, vcc
	global_store_dwordx2 v[26:27], v[16:17], off
.LBB1451_251:
	s_or_b64 exec, exec, s[0:1]
	v_cmp_gt_u32_e32 vcc, s8, v20
	s_or_b64 s[10:11], s[34:35], vcc
	s_and_saveexec_b64 s[0:1], s[10:11]
	s_cbranch_execz .LBB1451_254
; %bb.252:
	v_mov_b32_e32 v19, 1
	v_and_b32_sdwa v19, v19, v28 dst_sel:DWORD dst_unused:UNUSED_PAD src0_sel:DWORD src1_sel:WORD_1
	v_cmp_eq_u32_e32 vcc, 1, v19
	s_and_b64 exec, exec, vcc
	s_cbranch_execz .LBB1451_254
; %bb.253:
	s_lshl_b64 s[10:11], s[22:23], 3
	s_waitcnt lgkmcnt(0)
	s_add_u32 s9, s4, s10
	v_mov_b32_e32 v21, 0
	s_addc_u32 s10, s5, s11
	v_lshlrev_b64 v[26:27], 3, v[20:21]
	v_mov_b32_e32 v19, s10
	v_add_co_u32_e32 v26, vcc, s9, v26
	v_addc_co_u32_e32 v27, vcc, v19, v27, vcc
	global_store_dwordx2 v[26:27], v[10:11], off
.LBB1451_254:
	s_or_b64 exec, exec, s[0:1]
	v_cmp_gt_u32_e32 vcc, s8, v18
	s_or_b64 s[8:9], s[34:35], vcc
	s_and_saveexec_b64 s[0:1], s[8:9]
	s_cbranch_execz .LBB1451_257
; %bb.255:
	v_and_b32_e32 v19, 1, v29
	v_cmp_eq_u32_e32 vcc, 1, v19
	s_and_b64 exec, exec, vcc
	s_cbranch_execz .LBB1451_257
; %bb.256:
	s_lshl_b64 s[8:9], s[22:23], 3
	s_waitcnt lgkmcnt(0)
	s_add_u32 s8, s4, s8
	v_mov_b32_e32 v19, 0
	s_addc_u32 s9, s5, s9
	v_lshlrev_b64 v[26:27], 3, v[18:19]
	v_mov_b32_e32 v19, s9
	v_add_co_u32_e32 v26, vcc, s8, v26
	v_addc_co_u32_e32 v27, vcc, v19, v27, vcc
	global_store_dwordx2 v[26:27], v[12:13], off
.LBB1451_257:
	s_or_b64 exec, exec, s[0:1]
	s_mov_b64 s[0:1], 0
.LBB1451_258:
	v_and_b32_e32 v26, 1, v28
	s_and_b64 vcc, exec, s[0:1]
	v_cmp_eq_u32_e64 s[0:1], 1, v26
	s_cbranch_vccz .LBB1451_271
; %bb.259:
	s_and_saveexec_b64 s[8:9], s[0:1]
	s_cbranch_execz .LBB1451_261
; %bb.260:
	v_subrev_u32_e32 v19, s16, v24
	v_lshlrev_b32_e32 v19, 3, v19
	ds_write_b64 v19, v[14:15]
.LBB1451_261:
	s_or_b64 exec, exec, s[8:9]
	v_and_b32_e32 v14, 1, v1
	v_cmp_eq_u32_e32 vcc, 1, v14
	s_and_saveexec_b64 s[0:1], vcc
	s_cbranch_execz .LBB1451_263
; %bb.262:
	v_subrev_u32_e32 v14, s16, v22
	v_lshlrev_b32_e32 v14, 3, v14
	ds_write_b64 v14, v[16:17]
.LBB1451_263:
	s_or_b64 exec, exec, s[0:1]
	v_mov_b32_e32 v14, 1
	v_and_b32_sdwa v14, v14, v28 dst_sel:DWORD dst_unused:UNUSED_PAD src0_sel:DWORD src1_sel:WORD_1
	v_cmp_eq_u32_e32 vcc, 1, v14
	s_and_saveexec_b64 s[0:1], vcc
	s_cbranch_execz .LBB1451_265
; %bb.264:
	v_subrev_u32_e32 v14, s16, v20
	v_lshlrev_b32_e32 v14, 3, v14
	ds_write_b64 v14, v[10:11]
.LBB1451_265:
	s_or_b64 exec, exec, s[0:1]
	v_and_b32_e32 v10, 1, v29
	v_cmp_eq_u32_e32 vcc, 1, v10
	s_and_saveexec_b64 s[0:1], vcc
	s_cbranch_execz .LBB1451_267
; %bb.266:
	v_subrev_u32_e32 v10, s16, v18
	v_lshlrev_b32_e32 v10, 3, v10
	ds_write_b64 v10, v[12:13]
.LBB1451_267:
	s_or_b64 exec, exec, s[0:1]
	v_cmp_gt_u32_e32 vcc, s26, v0
	s_waitcnt lgkmcnt(0)
	s_barrier
	s_and_saveexec_b64 s[0:1], vcc
	s_cbranch_execz .LBB1451_270
; %bb.268:
	s_mov_b32 s17, 0
	s_lshl_b64 s[8:9], s[16:17], 3
	s_add_u32 s8, s4, s8
	s_addc_u32 s9, s5, s9
	s_lshl_b64 s[4:5], s[22:23], 3
	s_add_u32 s8, s8, s4
	s_addc_u32 s9, s9, s5
	v_lshlrev_b32_e32 v12, 3, v0
	s_mov_b64 s[4:5], 0
	v_mov_b32_e32 v11, 0
	v_mov_b32_e32 v13, s9
	;; [unrolled: 1-line block ×3, first 2 shown]
.LBB1451_269:                           ; =>This Inner Loop Header: Depth=1
	ds_read_b64 v[14:15], v12
	v_lshlrev_b64 v[16:17], 3, v[10:11]
	v_add_co_u32_e32 v16, vcc, s8, v16
	v_add_u32_e32 v10, 0x80, v10
	v_addc_co_u32_e32 v17, vcc, v13, v17, vcc
	v_cmp_le_u32_e32 vcc, s26, v10
	v_add_u32_e32 v12, 0x400, v12
	s_or_b64 s[4:5], vcc, s[4:5]
	s_waitcnt lgkmcnt(0)
	global_store_dwordx2 v[16:17], v[14:15], off
	s_andn2_b64 exec, exec, s[4:5]
	s_cbranch_execnz .LBB1451_269
.LBB1451_270:
	s_or_b64 exec, exec, s[0:1]
.LBB1451_271:
	s_mov_b64 s[0:1], -1
	s_and_b64 vcc, exec, s[2:3]
	s_waitcnt lgkmcnt(0)
	s_barrier
	s_cbranch_vccnz .LBB1451_275
; %bb.272:
	s_and_b64 vcc, exec, s[0:1]
	s_cbranch_vccnz .LBB1451_288
.LBB1451_273:
	v_cmp_eq_u32_e32 vcc, 0, v0
	s_and_b64 s[0:1], vcc, s[24:25]
	s_and_saveexec_b64 s[2:3], s[0:1]
	s_cbranch_execnz .LBB1451_300
.LBB1451_274:
	s_endpgm
.LBB1451_275:
	s_add_i32 s2, s16, s26
	v_cmp_gt_u32_e32 vcc, s2, v24
	s_or_b64 s[4:5], s[34:35], vcc
	s_and_saveexec_b64 s[0:1], s[4:5]
	s_cbranch_execz .LBB1451_278
; %bb.276:
	v_cmp_eq_u32_e32 vcc, 1, v26
	s_and_b64 exec, exec, vcc
	s_cbranch_execz .LBB1451_278
; %bb.277:
	s_lshl_b64 s[4:5], s[22:23], 3
	s_add_u32 s3, s6, s4
	v_mov_b32_e32 v25, 0
	s_addc_u32 s4, s7, s5
	v_lshlrev_b64 v[10:11], 3, v[24:25]
	v_mov_b32_e32 v12, s4
	v_add_co_u32_e32 v10, vcc, s3, v10
	v_addc_co_u32_e32 v11, vcc, v12, v11, vcc
	global_store_dwordx2 v[10:11], v[6:7], off
.LBB1451_278:
	s_or_b64 exec, exec, s[0:1]
	v_cmp_gt_u32_e32 vcc, s2, v22
	s_or_b64 s[4:5], s[34:35], vcc
	s_and_saveexec_b64 s[0:1], s[4:5]
	s_cbranch_execz .LBB1451_281
; %bb.279:
	v_and_b32_e32 v10, 1, v1
	v_cmp_eq_u32_e32 vcc, 1, v10
	s_and_b64 exec, exec, vcc
	s_cbranch_execz .LBB1451_281
; %bb.280:
	s_lshl_b64 s[4:5], s[22:23], 3
	s_add_u32 s3, s6, s4
	v_mov_b32_e32 v23, 0
	s_addc_u32 s4, s7, s5
	v_lshlrev_b64 v[10:11], 3, v[22:23]
	v_mov_b32_e32 v12, s4
	v_add_co_u32_e32 v10, vcc, s3, v10
	v_addc_co_u32_e32 v11, vcc, v12, v11, vcc
	global_store_dwordx2 v[10:11], v[8:9], off
.LBB1451_281:
	s_or_b64 exec, exec, s[0:1]
	v_cmp_gt_u32_e32 vcc, s2, v20
	s_or_b64 s[4:5], s[34:35], vcc
	s_and_saveexec_b64 s[0:1], s[4:5]
	s_cbranch_execz .LBB1451_284
; %bb.282:
	v_mov_b32_e32 v10, 1
	v_and_b32_sdwa v10, v10, v28 dst_sel:DWORD dst_unused:UNUSED_PAD src0_sel:DWORD src1_sel:WORD_1
	v_cmp_eq_u32_e32 vcc, 1, v10
	s_and_b64 exec, exec, vcc
	s_cbranch_execz .LBB1451_284
; %bb.283:
	s_lshl_b64 s[4:5], s[22:23], 3
	s_add_u32 s3, s6, s4
	v_mov_b32_e32 v21, 0
	s_addc_u32 s4, s7, s5
	v_lshlrev_b64 v[10:11], 3, v[20:21]
	v_mov_b32_e32 v12, s4
	v_add_co_u32_e32 v10, vcc, s3, v10
	v_addc_co_u32_e32 v11, vcc, v12, v11, vcc
	global_store_dwordx2 v[10:11], v[2:3], off
.LBB1451_284:
	s_or_b64 exec, exec, s[0:1]
	v_cmp_gt_u32_e32 vcc, s2, v18
	s_or_b64 s[2:3], s[34:35], vcc
	s_and_saveexec_b64 s[0:1], s[2:3]
	s_cbranch_execz .LBB1451_287
; %bb.285:
	v_and_b32_e32 v10, 1, v29
	v_cmp_eq_u32_e32 vcc, 1, v10
	s_and_b64 exec, exec, vcc
	s_cbranch_execz .LBB1451_287
; %bb.286:
	s_lshl_b64 s[2:3], s[22:23], 3
	s_add_u32 s2, s6, s2
	v_mov_b32_e32 v19, 0
	s_addc_u32 s3, s7, s3
	v_lshlrev_b64 v[10:11], 3, v[18:19]
	v_mov_b32_e32 v12, s3
	v_add_co_u32_e32 v10, vcc, s2, v10
	v_addc_co_u32_e32 v11, vcc, v12, v11, vcc
	global_store_dwordx2 v[10:11], v[4:5], off
.LBB1451_287:
	s_or_b64 exec, exec, s[0:1]
	s_branch .LBB1451_273
.LBB1451_288:
	v_cmp_eq_u32_e32 vcc, 1, v26
	s_and_saveexec_b64 s[0:1], vcc
	s_cbranch_execz .LBB1451_290
; %bb.289:
	v_subrev_u32_e32 v10, s16, v24
	v_lshlrev_b32_e32 v10, 3, v10
	ds_write_b64 v10, v[6:7]
.LBB1451_290:
	s_or_b64 exec, exec, s[0:1]
	v_and_b32_e32 v1, 1, v1
	v_cmp_eq_u32_e32 vcc, 1, v1
	s_and_saveexec_b64 s[0:1], vcc
	s_cbranch_execz .LBB1451_292
; %bb.291:
	v_subrev_u32_e32 v1, s16, v22
	v_lshlrev_b32_e32 v1, 3, v1
	ds_write_b64 v1, v[8:9]
.LBB1451_292:
	s_or_b64 exec, exec, s[0:1]
	v_mov_b32_e32 v1, 1
	v_and_b32_sdwa v1, v1, v28 dst_sel:DWORD dst_unused:UNUSED_PAD src0_sel:DWORD src1_sel:WORD_1
	v_cmp_eq_u32_e32 vcc, 1, v1
	s_and_saveexec_b64 s[0:1], vcc
	s_cbranch_execz .LBB1451_294
; %bb.293:
	v_subrev_u32_e32 v1, s16, v20
	v_lshlrev_b32_e32 v1, 3, v1
	ds_write_b64 v1, v[2:3]
.LBB1451_294:
	s_or_b64 exec, exec, s[0:1]
	v_and_b32_e32 v1, 1, v29
	v_cmp_eq_u32_e32 vcc, 1, v1
	s_and_saveexec_b64 s[0:1], vcc
	s_cbranch_execz .LBB1451_296
; %bb.295:
	v_subrev_u32_e32 v1, s16, v18
	v_lshlrev_b32_e32 v1, 3, v1
	ds_write_b64 v1, v[4:5]
.LBB1451_296:
	s_or_b64 exec, exec, s[0:1]
	v_cmp_gt_u32_e32 vcc, s26, v0
	s_waitcnt lgkmcnt(0)
	s_barrier
	s_and_saveexec_b64 s[0:1], vcc
	s_cbranch_execz .LBB1451_299
; %bb.297:
	s_mov_b32 s17, 0
	s_lshl_b64 s[2:3], s[16:17], 3
	s_add_u32 s4, s6, s2
	s_addc_u32 s5, s7, s3
	s_lshl_b64 s[2:3], s[22:23], 3
	s_add_u32 s4, s4, s2
	s_addc_u32 s5, s5, s3
	v_lshlrev_b32_e32 v1, 3, v0
	s_mov_b64 s[2:3], 0
	v_mov_b32_e32 v3, 0
	v_mov_b32_e32 v4, s5
	;; [unrolled: 1-line block ×3, first 2 shown]
.LBB1451_298:                           ; =>This Inner Loop Header: Depth=1
	ds_read_b64 v[6:7], v1
	v_lshlrev_b64 v[8:9], 3, v[2:3]
	v_add_co_u32_e32 v8, vcc, s4, v8
	v_add_u32_e32 v2, 0x80, v2
	v_addc_co_u32_e32 v9, vcc, v4, v9, vcc
	v_cmp_le_u32_e32 vcc, s26, v2
	v_add_u32_e32 v1, 0x400, v1
	s_or_b64 s[2:3], vcc, s[2:3]
	s_waitcnt lgkmcnt(0)
	global_store_dwordx2 v[8:9], v[6:7], off
	s_andn2_b64 exec, exec, s[2:3]
	s_cbranch_execnz .LBB1451_298
.LBB1451_299:
	s_or_b64 exec, exec, s[0:1]
	v_cmp_eq_u32_e32 vcc, 0, v0
	s_and_b64 s[0:1], vcc, s[24:25]
	s_and_saveexec_b64 s[2:3], s[0:1]
	s_cbranch_execz .LBB1451_274
.LBB1451_300:
	s_add_u32 s0, s22, s26
	s_addc_u32 s1, s23, 0
	s_add_u32 s0, s0, s16
	s_addc_u32 s1, s1, 0
	v_mov_b32_e32 v2, 0
	v_pk_mov_b32 v[0:1], s[0:1], s[0:1] op_sel:[0,1]
	global_store_dwordx2 v2, v[0:1], s[20:21]
	s_endpgm
	.section	.rodata,"a",@progbits
	.p2align	6, 0x0
	.amdhsa_kernel _ZN7rocprim17ROCPRIM_400000_NS6detail17trampoline_kernelINS0_14default_configENS1_25partition_config_selectorILNS1_17partition_subalgoE9EllbEEZZNS1_14partition_implILS5_9ELb0ES3_jPlS8_PNS0_10empty_typeENS0_5tupleIJS8_S9_EEENSB_IJS8_SA_EEENS0_18inequality_wrapperIZN2at6native12_GLOBAL__N_124unique_dim_cuda_templateItEESt5tupleIJNSF_6TensorESK_SK_EERKSK_lbbbEUlllE0_EEPmJS9_EEE10hipError_tPvRmT3_T4_T5_T6_T7_T9_mT8_P12ihipStream_tbDpT10_ENKUlT_T0_E_clISt17integral_constantIbLb0EES1A_EEDaS15_S16_EUlS15_E_NS1_11comp_targetILNS1_3genE4ELNS1_11target_archE910ELNS1_3gpuE8ELNS1_3repE0EEENS1_30default_config_static_selectorELNS0_4arch9wavefront6targetE1EEEvT1_
		.amdhsa_group_segment_fixed_size 4236
		.amdhsa_private_segment_fixed_size 0
		.amdhsa_kernarg_size 120
		.amdhsa_user_sgpr_count 6
		.amdhsa_user_sgpr_private_segment_buffer 1
		.amdhsa_user_sgpr_dispatch_ptr 0
		.amdhsa_user_sgpr_queue_ptr 0
		.amdhsa_user_sgpr_kernarg_segment_ptr 1
		.amdhsa_user_sgpr_dispatch_id 0
		.amdhsa_user_sgpr_flat_scratch_init 0
		.amdhsa_user_sgpr_kernarg_preload_length 0
		.amdhsa_user_sgpr_kernarg_preload_offset 0
		.amdhsa_user_sgpr_private_segment_size 0
		.amdhsa_uses_dynamic_stack 0
		.amdhsa_system_sgpr_private_segment_wavefront_offset 0
		.amdhsa_system_sgpr_workgroup_id_x 1
		.amdhsa_system_sgpr_workgroup_id_y 0
		.amdhsa_system_sgpr_workgroup_id_z 0
		.amdhsa_system_sgpr_workgroup_info 0
		.amdhsa_system_vgpr_workitem_id 0
		.amdhsa_next_free_vgpr 50
		.amdhsa_next_free_sgpr 46
		.amdhsa_accum_offset 52
		.amdhsa_reserve_vcc 1
		.amdhsa_reserve_flat_scratch 0
		.amdhsa_float_round_mode_32 0
		.amdhsa_float_round_mode_16_64 0
		.amdhsa_float_denorm_mode_32 3
		.amdhsa_float_denorm_mode_16_64 3
		.amdhsa_dx10_clamp 1
		.amdhsa_ieee_mode 1
		.amdhsa_fp16_overflow 0
		.amdhsa_tg_split 0
		.amdhsa_exception_fp_ieee_invalid_op 0
		.amdhsa_exception_fp_denorm_src 0
		.amdhsa_exception_fp_ieee_div_zero 0
		.amdhsa_exception_fp_ieee_overflow 0
		.amdhsa_exception_fp_ieee_underflow 0
		.amdhsa_exception_fp_ieee_inexact 0
		.amdhsa_exception_int_div_zero 0
	.end_amdhsa_kernel
	.section	.text._ZN7rocprim17ROCPRIM_400000_NS6detail17trampoline_kernelINS0_14default_configENS1_25partition_config_selectorILNS1_17partition_subalgoE9EllbEEZZNS1_14partition_implILS5_9ELb0ES3_jPlS8_PNS0_10empty_typeENS0_5tupleIJS8_S9_EEENSB_IJS8_SA_EEENS0_18inequality_wrapperIZN2at6native12_GLOBAL__N_124unique_dim_cuda_templateItEESt5tupleIJNSF_6TensorESK_SK_EERKSK_lbbbEUlllE0_EEPmJS9_EEE10hipError_tPvRmT3_T4_T5_T6_T7_T9_mT8_P12ihipStream_tbDpT10_ENKUlT_T0_E_clISt17integral_constantIbLb0EES1A_EEDaS15_S16_EUlS15_E_NS1_11comp_targetILNS1_3genE4ELNS1_11target_archE910ELNS1_3gpuE8ELNS1_3repE0EEENS1_30default_config_static_selectorELNS0_4arch9wavefront6targetE1EEEvT1_,"axG",@progbits,_ZN7rocprim17ROCPRIM_400000_NS6detail17trampoline_kernelINS0_14default_configENS1_25partition_config_selectorILNS1_17partition_subalgoE9EllbEEZZNS1_14partition_implILS5_9ELb0ES3_jPlS8_PNS0_10empty_typeENS0_5tupleIJS8_S9_EEENSB_IJS8_SA_EEENS0_18inequality_wrapperIZN2at6native12_GLOBAL__N_124unique_dim_cuda_templateItEESt5tupleIJNSF_6TensorESK_SK_EERKSK_lbbbEUlllE0_EEPmJS9_EEE10hipError_tPvRmT3_T4_T5_T6_T7_T9_mT8_P12ihipStream_tbDpT10_ENKUlT_T0_E_clISt17integral_constantIbLb0EES1A_EEDaS15_S16_EUlS15_E_NS1_11comp_targetILNS1_3genE4ELNS1_11target_archE910ELNS1_3gpuE8ELNS1_3repE0EEENS1_30default_config_static_selectorELNS0_4arch9wavefront6targetE1EEEvT1_,comdat
.Lfunc_end1451:
	.size	_ZN7rocprim17ROCPRIM_400000_NS6detail17trampoline_kernelINS0_14default_configENS1_25partition_config_selectorILNS1_17partition_subalgoE9EllbEEZZNS1_14partition_implILS5_9ELb0ES3_jPlS8_PNS0_10empty_typeENS0_5tupleIJS8_S9_EEENSB_IJS8_SA_EEENS0_18inequality_wrapperIZN2at6native12_GLOBAL__N_124unique_dim_cuda_templateItEESt5tupleIJNSF_6TensorESK_SK_EERKSK_lbbbEUlllE0_EEPmJS9_EEE10hipError_tPvRmT3_T4_T5_T6_T7_T9_mT8_P12ihipStream_tbDpT10_ENKUlT_T0_E_clISt17integral_constantIbLb0EES1A_EEDaS15_S16_EUlS15_E_NS1_11comp_targetILNS1_3genE4ELNS1_11target_archE910ELNS1_3gpuE8ELNS1_3repE0EEENS1_30default_config_static_selectorELNS0_4arch9wavefront6targetE1EEEvT1_, .Lfunc_end1451-_ZN7rocprim17ROCPRIM_400000_NS6detail17trampoline_kernelINS0_14default_configENS1_25partition_config_selectorILNS1_17partition_subalgoE9EllbEEZZNS1_14partition_implILS5_9ELb0ES3_jPlS8_PNS0_10empty_typeENS0_5tupleIJS8_S9_EEENSB_IJS8_SA_EEENS0_18inequality_wrapperIZN2at6native12_GLOBAL__N_124unique_dim_cuda_templateItEESt5tupleIJNSF_6TensorESK_SK_EERKSK_lbbbEUlllE0_EEPmJS9_EEE10hipError_tPvRmT3_T4_T5_T6_T7_T9_mT8_P12ihipStream_tbDpT10_ENKUlT_T0_E_clISt17integral_constantIbLb0EES1A_EEDaS15_S16_EUlS15_E_NS1_11comp_targetILNS1_3genE4ELNS1_11target_archE910ELNS1_3gpuE8ELNS1_3repE0EEENS1_30default_config_static_selectorELNS0_4arch9wavefront6targetE1EEEvT1_
                                        ; -- End function
	.section	.AMDGPU.csdata,"",@progbits
; Kernel info:
; codeLenInByte = 10796
; NumSgprs: 50
; NumVgprs: 50
; NumAgprs: 0
; TotalNumVgprs: 50
; ScratchSize: 0
; MemoryBound: 0
; FloatMode: 240
; IeeeMode: 1
; LDSByteSize: 4236 bytes/workgroup (compile time only)
; SGPRBlocks: 6
; VGPRBlocks: 6
; NumSGPRsForWavesPerEU: 50
; NumVGPRsForWavesPerEU: 50
; AccumOffset: 52
; Occupancy: 8
; WaveLimiterHint : 1
; COMPUTE_PGM_RSRC2:SCRATCH_EN: 0
; COMPUTE_PGM_RSRC2:USER_SGPR: 6
; COMPUTE_PGM_RSRC2:TRAP_HANDLER: 0
; COMPUTE_PGM_RSRC2:TGID_X_EN: 1
; COMPUTE_PGM_RSRC2:TGID_Y_EN: 0
; COMPUTE_PGM_RSRC2:TGID_Z_EN: 0
; COMPUTE_PGM_RSRC2:TIDIG_COMP_CNT: 0
; COMPUTE_PGM_RSRC3_GFX90A:ACCUM_OFFSET: 12
; COMPUTE_PGM_RSRC3_GFX90A:TG_SPLIT: 0
	.section	.text._ZN7rocprim17ROCPRIM_400000_NS6detail17trampoline_kernelINS0_14default_configENS1_25partition_config_selectorILNS1_17partition_subalgoE9EllbEEZZNS1_14partition_implILS5_9ELb0ES3_jPlS8_PNS0_10empty_typeENS0_5tupleIJS8_S9_EEENSB_IJS8_SA_EEENS0_18inequality_wrapperIZN2at6native12_GLOBAL__N_124unique_dim_cuda_templateItEESt5tupleIJNSF_6TensorESK_SK_EERKSK_lbbbEUlllE0_EEPmJS9_EEE10hipError_tPvRmT3_T4_T5_T6_T7_T9_mT8_P12ihipStream_tbDpT10_ENKUlT_T0_E_clISt17integral_constantIbLb0EES1A_EEDaS15_S16_EUlS15_E_NS1_11comp_targetILNS1_3genE3ELNS1_11target_archE908ELNS1_3gpuE7ELNS1_3repE0EEENS1_30default_config_static_selectorELNS0_4arch9wavefront6targetE1EEEvT1_,"axG",@progbits,_ZN7rocprim17ROCPRIM_400000_NS6detail17trampoline_kernelINS0_14default_configENS1_25partition_config_selectorILNS1_17partition_subalgoE9EllbEEZZNS1_14partition_implILS5_9ELb0ES3_jPlS8_PNS0_10empty_typeENS0_5tupleIJS8_S9_EEENSB_IJS8_SA_EEENS0_18inequality_wrapperIZN2at6native12_GLOBAL__N_124unique_dim_cuda_templateItEESt5tupleIJNSF_6TensorESK_SK_EERKSK_lbbbEUlllE0_EEPmJS9_EEE10hipError_tPvRmT3_T4_T5_T6_T7_T9_mT8_P12ihipStream_tbDpT10_ENKUlT_T0_E_clISt17integral_constantIbLb0EES1A_EEDaS15_S16_EUlS15_E_NS1_11comp_targetILNS1_3genE3ELNS1_11target_archE908ELNS1_3gpuE7ELNS1_3repE0EEENS1_30default_config_static_selectorELNS0_4arch9wavefront6targetE1EEEvT1_,comdat
	.globl	_ZN7rocprim17ROCPRIM_400000_NS6detail17trampoline_kernelINS0_14default_configENS1_25partition_config_selectorILNS1_17partition_subalgoE9EllbEEZZNS1_14partition_implILS5_9ELb0ES3_jPlS8_PNS0_10empty_typeENS0_5tupleIJS8_S9_EEENSB_IJS8_SA_EEENS0_18inequality_wrapperIZN2at6native12_GLOBAL__N_124unique_dim_cuda_templateItEESt5tupleIJNSF_6TensorESK_SK_EERKSK_lbbbEUlllE0_EEPmJS9_EEE10hipError_tPvRmT3_T4_T5_T6_T7_T9_mT8_P12ihipStream_tbDpT10_ENKUlT_T0_E_clISt17integral_constantIbLb0EES1A_EEDaS15_S16_EUlS15_E_NS1_11comp_targetILNS1_3genE3ELNS1_11target_archE908ELNS1_3gpuE7ELNS1_3repE0EEENS1_30default_config_static_selectorELNS0_4arch9wavefront6targetE1EEEvT1_ ; -- Begin function _ZN7rocprim17ROCPRIM_400000_NS6detail17trampoline_kernelINS0_14default_configENS1_25partition_config_selectorILNS1_17partition_subalgoE9EllbEEZZNS1_14partition_implILS5_9ELb0ES3_jPlS8_PNS0_10empty_typeENS0_5tupleIJS8_S9_EEENSB_IJS8_SA_EEENS0_18inequality_wrapperIZN2at6native12_GLOBAL__N_124unique_dim_cuda_templateItEESt5tupleIJNSF_6TensorESK_SK_EERKSK_lbbbEUlllE0_EEPmJS9_EEE10hipError_tPvRmT3_T4_T5_T6_T7_T9_mT8_P12ihipStream_tbDpT10_ENKUlT_T0_E_clISt17integral_constantIbLb0EES1A_EEDaS15_S16_EUlS15_E_NS1_11comp_targetILNS1_3genE3ELNS1_11target_archE908ELNS1_3gpuE7ELNS1_3repE0EEENS1_30default_config_static_selectorELNS0_4arch9wavefront6targetE1EEEvT1_
	.p2align	8
	.type	_ZN7rocprim17ROCPRIM_400000_NS6detail17trampoline_kernelINS0_14default_configENS1_25partition_config_selectorILNS1_17partition_subalgoE9EllbEEZZNS1_14partition_implILS5_9ELb0ES3_jPlS8_PNS0_10empty_typeENS0_5tupleIJS8_S9_EEENSB_IJS8_SA_EEENS0_18inequality_wrapperIZN2at6native12_GLOBAL__N_124unique_dim_cuda_templateItEESt5tupleIJNSF_6TensorESK_SK_EERKSK_lbbbEUlllE0_EEPmJS9_EEE10hipError_tPvRmT3_T4_T5_T6_T7_T9_mT8_P12ihipStream_tbDpT10_ENKUlT_T0_E_clISt17integral_constantIbLb0EES1A_EEDaS15_S16_EUlS15_E_NS1_11comp_targetILNS1_3genE3ELNS1_11target_archE908ELNS1_3gpuE7ELNS1_3repE0EEENS1_30default_config_static_selectorELNS0_4arch9wavefront6targetE1EEEvT1_,@function
_ZN7rocprim17ROCPRIM_400000_NS6detail17trampoline_kernelINS0_14default_configENS1_25partition_config_selectorILNS1_17partition_subalgoE9EllbEEZZNS1_14partition_implILS5_9ELb0ES3_jPlS8_PNS0_10empty_typeENS0_5tupleIJS8_S9_EEENSB_IJS8_SA_EEENS0_18inequality_wrapperIZN2at6native12_GLOBAL__N_124unique_dim_cuda_templateItEESt5tupleIJNSF_6TensorESK_SK_EERKSK_lbbbEUlllE0_EEPmJS9_EEE10hipError_tPvRmT3_T4_T5_T6_T7_T9_mT8_P12ihipStream_tbDpT10_ENKUlT_T0_E_clISt17integral_constantIbLb0EES1A_EEDaS15_S16_EUlS15_E_NS1_11comp_targetILNS1_3genE3ELNS1_11target_archE908ELNS1_3gpuE7ELNS1_3repE0EEENS1_30default_config_static_selectorELNS0_4arch9wavefront6targetE1EEEvT1_: ; @_ZN7rocprim17ROCPRIM_400000_NS6detail17trampoline_kernelINS0_14default_configENS1_25partition_config_selectorILNS1_17partition_subalgoE9EllbEEZZNS1_14partition_implILS5_9ELb0ES3_jPlS8_PNS0_10empty_typeENS0_5tupleIJS8_S9_EEENSB_IJS8_SA_EEENS0_18inequality_wrapperIZN2at6native12_GLOBAL__N_124unique_dim_cuda_templateItEESt5tupleIJNSF_6TensorESK_SK_EERKSK_lbbbEUlllE0_EEPmJS9_EEE10hipError_tPvRmT3_T4_T5_T6_T7_T9_mT8_P12ihipStream_tbDpT10_ENKUlT_T0_E_clISt17integral_constantIbLb0EES1A_EEDaS15_S16_EUlS15_E_NS1_11comp_targetILNS1_3genE3ELNS1_11target_archE908ELNS1_3gpuE7ELNS1_3repE0EEENS1_30default_config_static_selectorELNS0_4arch9wavefront6targetE1EEEvT1_
; %bb.0:
	.section	.rodata,"a",@progbits
	.p2align	6, 0x0
	.amdhsa_kernel _ZN7rocprim17ROCPRIM_400000_NS6detail17trampoline_kernelINS0_14default_configENS1_25partition_config_selectorILNS1_17partition_subalgoE9EllbEEZZNS1_14partition_implILS5_9ELb0ES3_jPlS8_PNS0_10empty_typeENS0_5tupleIJS8_S9_EEENSB_IJS8_SA_EEENS0_18inequality_wrapperIZN2at6native12_GLOBAL__N_124unique_dim_cuda_templateItEESt5tupleIJNSF_6TensorESK_SK_EERKSK_lbbbEUlllE0_EEPmJS9_EEE10hipError_tPvRmT3_T4_T5_T6_T7_T9_mT8_P12ihipStream_tbDpT10_ENKUlT_T0_E_clISt17integral_constantIbLb0EES1A_EEDaS15_S16_EUlS15_E_NS1_11comp_targetILNS1_3genE3ELNS1_11target_archE908ELNS1_3gpuE7ELNS1_3repE0EEENS1_30default_config_static_selectorELNS0_4arch9wavefront6targetE1EEEvT1_
		.amdhsa_group_segment_fixed_size 0
		.amdhsa_private_segment_fixed_size 0
		.amdhsa_kernarg_size 120
		.amdhsa_user_sgpr_count 6
		.amdhsa_user_sgpr_private_segment_buffer 1
		.amdhsa_user_sgpr_dispatch_ptr 0
		.amdhsa_user_sgpr_queue_ptr 0
		.amdhsa_user_sgpr_kernarg_segment_ptr 1
		.amdhsa_user_sgpr_dispatch_id 0
		.amdhsa_user_sgpr_flat_scratch_init 0
		.amdhsa_user_sgpr_kernarg_preload_length 0
		.amdhsa_user_sgpr_kernarg_preload_offset 0
		.amdhsa_user_sgpr_private_segment_size 0
		.amdhsa_uses_dynamic_stack 0
		.amdhsa_system_sgpr_private_segment_wavefront_offset 0
		.amdhsa_system_sgpr_workgroup_id_x 1
		.amdhsa_system_sgpr_workgroup_id_y 0
		.amdhsa_system_sgpr_workgroup_id_z 0
		.amdhsa_system_sgpr_workgroup_info 0
		.amdhsa_system_vgpr_workitem_id 0
		.amdhsa_next_free_vgpr 1
		.amdhsa_next_free_sgpr 0
		.amdhsa_accum_offset 4
		.amdhsa_reserve_vcc 0
		.amdhsa_reserve_flat_scratch 0
		.amdhsa_float_round_mode_32 0
		.amdhsa_float_round_mode_16_64 0
		.amdhsa_float_denorm_mode_32 3
		.amdhsa_float_denorm_mode_16_64 3
		.amdhsa_dx10_clamp 1
		.amdhsa_ieee_mode 1
		.amdhsa_fp16_overflow 0
		.amdhsa_tg_split 0
		.amdhsa_exception_fp_ieee_invalid_op 0
		.amdhsa_exception_fp_denorm_src 0
		.amdhsa_exception_fp_ieee_div_zero 0
		.amdhsa_exception_fp_ieee_overflow 0
		.amdhsa_exception_fp_ieee_underflow 0
		.amdhsa_exception_fp_ieee_inexact 0
		.amdhsa_exception_int_div_zero 0
	.end_amdhsa_kernel
	.section	.text._ZN7rocprim17ROCPRIM_400000_NS6detail17trampoline_kernelINS0_14default_configENS1_25partition_config_selectorILNS1_17partition_subalgoE9EllbEEZZNS1_14partition_implILS5_9ELb0ES3_jPlS8_PNS0_10empty_typeENS0_5tupleIJS8_S9_EEENSB_IJS8_SA_EEENS0_18inequality_wrapperIZN2at6native12_GLOBAL__N_124unique_dim_cuda_templateItEESt5tupleIJNSF_6TensorESK_SK_EERKSK_lbbbEUlllE0_EEPmJS9_EEE10hipError_tPvRmT3_T4_T5_T6_T7_T9_mT8_P12ihipStream_tbDpT10_ENKUlT_T0_E_clISt17integral_constantIbLb0EES1A_EEDaS15_S16_EUlS15_E_NS1_11comp_targetILNS1_3genE3ELNS1_11target_archE908ELNS1_3gpuE7ELNS1_3repE0EEENS1_30default_config_static_selectorELNS0_4arch9wavefront6targetE1EEEvT1_,"axG",@progbits,_ZN7rocprim17ROCPRIM_400000_NS6detail17trampoline_kernelINS0_14default_configENS1_25partition_config_selectorILNS1_17partition_subalgoE9EllbEEZZNS1_14partition_implILS5_9ELb0ES3_jPlS8_PNS0_10empty_typeENS0_5tupleIJS8_S9_EEENSB_IJS8_SA_EEENS0_18inequality_wrapperIZN2at6native12_GLOBAL__N_124unique_dim_cuda_templateItEESt5tupleIJNSF_6TensorESK_SK_EERKSK_lbbbEUlllE0_EEPmJS9_EEE10hipError_tPvRmT3_T4_T5_T6_T7_T9_mT8_P12ihipStream_tbDpT10_ENKUlT_T0_E_clISt17integral_constantIbLb0EES1A_EEDaS15_S16_EUlS15_E_NS1_11comp_targetILNS1_3genE3ELNS1_11target_archE908ELNS1_3gpuE7ELNS1_3repE0EEENS1_30default_config_static_selectorELNS0_4arch9wavefront6targetE1EEEvT1_,comdat
.Lfunc_end1452:
	.size	_ZN7rocprim17ROCPRIM_400000_NS6detail17trampoline_kernelINS0_14default_configENS1_25partition_config_selectorILNS1_17partition_subalgoE9EllbEEZZNS1_14partition_implILS5_9ELb0ES3_jPlS8_PNS0_10empty_typeENS0_5tupleIJS8_S9_EEENSB_IJS8_SA_EEENS0_18inequality_wrapperIZN2at6native12_GLOBAL__N_124unique_dim_cuda_templateItEESt5tupleIJNSF_6TensorESK_SK_EERKSK_lbbbEUlllE0_EEPmJS9_EEE10hipError_tPvRmT3_T4_T5_T6_T7_T9_mT8_P12ihipStream_tbDpT10_ENKUlT_T0_E_clISt17integral_constantIbLb0EES1A_EEDaS15_S16_EUlS15_E_NS1_11comp_targetILNS1_3genE3ELNS1_11target_archE908ELNS1_3gpuE7ELNS1_3repE0EEENS1_30default_config_static_selectorELNS0_4arch9wavefront6targetE1EEEvT1_, .Lfunc_end1452-_ZN7rocprim17ROCPRIM_400000_NS6detail17trampoline_kernelINS0_14default_configENS1_25partition_config_selectorILNS1_17partition_subalgoE9EllbEEZZNS1_14partition_implILS5_9ELb0ES3_jPlS8_PNS0_10empty_typeENS0_5tupleIJS8_S9_EEENSB_IJS8_SA_EEENS0_18inequality_wrapperIZN2at6native12_GLOBAL__N_124unique_dim_cuda_templateItEESt5tupleIJNSF_6TensorESK_SK_EERKSK_lbbbEUlllE0_EEPmJS9_EEE10hipError_tPvRmT3_T4_T5_T6_T7_T9_mT8_P12ihipStream_tbDpT10_ENKUlT_T0_E_clISt17integral_constantIbLb0EES1A_EEDaS15_S16_EUlS15_E_NS1_11comp_targetILNS1_3genE3ELNS1_11target_archE908ELNS1_3gpuE7ELNS1_3repE0EEENS1_30default_config_static_selectorELNS0_4arch9wavefront6targetE1EEEvT1_
                                        ; -- End function
	.section	.AMDGPU.csdata,"",@progbits
; Kernel info:
; codeLenInByte = 0
; NumSgprs: 4
; NumVgprs: 0
; NumAgprs: 0
; TotalNumVgprs: 0
; ScratchSize: 0
; MemoryBound: 0
; FloatMode: 240
; IeeeMode: 1
; LDSByteSize: 0 bytes/workgroup (compile time only)
; SGPRBlocks: 0
; VGPRBlocks: 0
; NumSGPRsForWavesPerEU: 4
; NumVGPRsForWavesPerEU: 1
; AccumOffset: 4
; Occupancy: 8
; WaveLimiterHint : 0
; COMPUTE_PGM_RSRC2:SCRATCH_EN: 0
; COMPUTE_PGM_RSRC2:USER_SGPR: 6
; COMPUTE_PGM_RSRC2:TRAP_HANDLER: 0
; COMPUTE_PGM_RSRC2:TGID_X_EN: 1
; COMPUTE_PGM_RSRC2:TGID_Y_EN: 0
; COMPUTE_PGM_RSRC2:TGID_Z_EN: 0
; COMPUTE_PGM_RSRC2:TIDIG_COMP_CNT: 0
; COMPUTE_PGM_RSRC3_GFX90A:ACCUM_OFFSET: 0
; COMPUTE_PGM_RSRC3_GFX90A:TG_SPLIT: 0
	.section	.text._ZN7rocprim17ROCPRIM_400000_NS6detail17trampoline_kernelINS0_14default_configENS1_25partition_config_selectorILNS1_17partition_subalgoE9EllbEEZZNS1_14partition_implILS5_9ELb0ES3_jPlS8_PNS0_10empty_typeENS0_5tupleIJS8_S9_EEENSB_IJS8_SA_EEENS0_18inequality_wrapperIZN2at6native12_GLOBAL__N_124unique_dim_cuda_templateItEESt5tupleIJNSF_6TensorESK_SK_EERKSK_lbbbEUlllE0_EEPmJS9_EEE10hipError_tPvRmT3_T4_T5_T6_T7_T9_mT8_P12ihipStream_tbDpT10_ENKUlT_T0_E_clISt17integral_constantIbLb0EES1A_EEDaS15_S16_EUlS15_E_NS1_11comp_targetILNS1_3genE2ELNS1_11target_archE906ELNS1_3gpuE6ELNS1_3repE0EEENS1_30default_config_static_selectorELNS0_4arch9wavefront6targetE1EEEvT1_,"axG",@progbits,_ZN7rocprim17ROCPRIM_400000_NS6detail17trampoline_kernelINS0_14default_configENS1_25partition_config_selectorILNS1_17partition_subalgoE9EllbEEZZNS1_14partition_implILS5_9ELb0ES3_jPlS8_PNS0_10empty_typeENS0_5tupleIJS8_S9_EEENSB_IJS8_SA_EEENS0_18inequality_wrapperIZN2at6native12_GLOBAL__N_124unique_dim_cuda_templateItEESt5tupleIJNSF_6TensorESK_SK_EERKSK_lbbbEUlllE0_EEPmJS9_EEE10hipError_tPvRmT3_T4_T5_T6_T7_T9_mT8_P12ihipStream_tbDpT10_ENKUlT_T0_E_clISt17integral_constantIbLb0EES1A_EEDaS15_S16_EUlS15_E_NS1_11comp_targetILNS1_3genE2ELNS1_11target_archE906ELNS1_3gpuE6ELNS1_3repE0EEENS1_30default_config_static_selectorELNS0_4arch9wavefront6targetE1EEEvT1_,comdat
	.globl	_ZN7rocprim17ROCPRIM_400000_NS6detail17trampoline_kernelINS0_14default_configENS1_25partition_config_selectorILNS1_17partition_subalgoE9EllbEEZZNS1_14partition_implILS5_9ELb0ES3_jPlS8_PNS0_10empty_typeENS0_5tupleIJS8_S9_EEENSB_IJS8_SA_EEENS0_18inequality_wrapperIZN2at6native12_GLOBAL__N_124unique_dim_cuda_templateItEESt5tupleIJNSF_6TensorESK_SK_EERKSK_lbbbEUlllE0_EEPmJS9_EEE10hipError_tPvRmT3_T4_T5_T6_T7_T9_mT8_P12ihipStream_tbDpT10_ENKUlT_T0_E_clISt17integral_constantIbLb0EES1A_EEDaS15_S16_EUlS15_E_NS1_11comp_targetILNS1_3genE2ELNS1_11target_archE906ELNS1_3gpuE6ELNS1_3repE0EEENS1_30default_config_static_selectorELNS0_4arch9wavefront6targetE1EEEvT1_ ; -- Begin function _ZN7rocprim17ROCPRIM_400000_NS6detail17trampoline_kernelINS0_14default_configENS1_25partition_config_selectorILNS1_17partition_subalgoE9EllbEEZZNS1_14partition_implILS5_9ELb0ES3_jPlS8_PNS0_10empty_typeENS0_5tupleIJS8_S9_EEENSB_IJS8_SA_EEENS0_18inequality_wrapperIZN2at6native12_GLOBAL__N_124unique_dim_cuda_templateItEESt5tupleIJNSF_6TensorESK_SK_EERKSK_lbbbEUlllE0_EEPmJS9_EEE10hipError_tPvRmT3_T4_T5_T6_T7_T9_mT8_P12ihipStream_tbDpT10_ENKUlT_T0_E_clISt17integral_constantIbLb0EES1A_EEDaS15_S16_EUlS15_E_NS1_11comp_targetILNS1_3genE2ELNS1_11target_archE906ELNS1_3gpuE6ELNS1_3repE0EEENS1_30default_config_static_selectorELNS0_4arch9wavefront6targetE1EEEvT1_
	.p2align	8
	.type	_ZN7rocprim17ROCPRIM_400000_NS6detail17trampoline_kernelINS0_14default_configENS1_25partition_config_selectorILNS1_17partition_subalgoE9EllbEEZZNS1_14partition_implILS5_9ELb0ES3_jPlS8_PNS0_10empty_typeENS0_5tupleIJS8_S9_EEENSB_IJS8_SA_EEENS0_18inequality_wrapperIZN2at6native12_GLOBAL__N_124unique_dim_cuda_templateItEESt5tupleIJNSF_6TensorESK_SK_EERKSK_lbbbEUlllE0_EEPmJS9_EEE10hipError_tPvRmT3_T4_T5_T6_T7_T9_mT8_P12ihipStream_tbDpT10_ENKUlT_T0_E_clISt17integral_constantIbLb0EES1A_EEDaS15_S16_EUlS15_E_NS1_11comp_targetILNS1_3genE2ELNS1_11target_archE906ELNS1_3gpuE6ELNS1_3repE0EEENS1_30default_config_static_selectorELNS0_4arch9wavefront6targetE1EEEvT1_,@function
_ZN7rocprim17ROCPRIM_400000_NS6detail17trampoline_kernelINS0_14default_configENS1_25partition_config_selectorILNS1_17partition_subalgoE9EllbEEZZNS1_14partition_implILS5_9ELb0ES3_jPlS8_PNS0_10empty_typeENS0_5tupleIJS8_S9_EEENSB_IJS8_SA_EEENS0_18inequality_wrapperIZN2at6native12_GLOBAL__N_124unique_dim_cuda_templateItEESt5tupleIJNSF_6TensorESK_SK_EERKSK_lbbbEUlllE0_EEPmJS9_EEE10hipError_tPvRmT3_T4_T5_T6_T7_T9_mT8_P12ihipStream_tbDpT10_ENKUlT_T0_E_clISt17integral_constantIbLb0EES1A_EEDaS15_S16_EUlS15_E_NS1_11comp_targetILNS1_3genE2ELNS1_11target_archE906ELNS1_3gpuE6ELNS1_3repE0EEENS1_30default_config_static_selectorELNS0_4arch9wavefront6targetE1EEEvT1_: ; @_ZN7rocprim17ROCPRIM_400000_NS6detail17trampoline_kernelINS0_14default_configENS1_25partition_config_selectorILNS1_17partition_subalgoE9EllbEEZZNS1_14partition_implILS5_9ELb0ES3_jPlS8_PNS0_10empty_typeENS0_5tupleIJS8_S9_EEENSB_IJS8_SA_EEENS0_18inequality_wrapperIZN2at6native12_GLOBAL__N_124unique_dim_cuda_templateItEESt5tupleIJNSF_6TensorESK_SK_EERKSK_lbbbEUlllE0_EEPmJS9_EEE10hipError_tPvRmT3_T4_T5_T6_T7_T9_mT8_P12ihipStream_tbDpT10_ENKUlT_T0_E_clISt17integral_constantIbLb0EES1A_EEDaS15_S16_EUlS15_E_NS1_11comp_targetILNS1_3genE2ELNS1_11target_archE906ELNS1_3gpuE6ELNS1_3repE0EEENS1_30default_config_static_selectorELNS0_4arch9wavefront6targetE1EEEvT1_
; %bb.0:
	.section	.rodata,"a",@progbits
	.p2align	6, 0x0
	.amdhsa_kernel _ZN7rocprim17ROCPRIM_400000_NS6detail17trampoline_kernelINS0_14default_configENS1_25partition_config_selectorILNS1_17partition_subalgoE9EllbEEZZNS1_14partition_implILS5_9ELb0ES3_jPlS8_PNS0_10empty_typeENS0_5tupleIJS8_S9_EEENSB_IJS8_SA_EEENS0_18inequality_wrapperIZN2at6native12_GLOBAL__N_124unique_dim_cuda_templateItEESt5tupleIJNSF_6TensorESK_SK_EERKSK_lbbbEUlllE0_EEPmJS9_EEE10hipError_tPvRmT3_T4_T5_T6_T7_T9_mT8_P12ihipStream_tbDpT10_ENKUlT_T0_E_clISt17integral_constantIbLb0EES1A_EEDaS15_S16_EUlS15_E_NS1_11comp_targetILNS1_3genE2ELNS1_11target_archE906ELNS1_3gpuE6ELNS1_3repE0EEENS1_30default_config_static_selectorELNS0_4arch9wavefront6targetE1EEEvT1_
		.amdhsa_group_segment_fixed_size 0
		.amdhsa_private_segment_fixed_size 0
		.amdhsa_kernarg_size 120
		.amdhsa_user_sgpr_count 6
		.amdhsa_user_sgpr_private_segment_buffer 1
		.amdhsa_user_sgpr_dispatch_ptr 0
		.amdhsa_user_sgpr_queue_ptr 0
		.amdhsa_user_sgpr_kernarg_segment_ptr 1
		.amdhsa_user_sgpr_dispatch_id 0
		.amdhsa_user_sgpr_flat_scratch_init 0
		.amdhsa_user_sgpr_kernarg_preload_length 0
		.amdhsa_user_sgpr_kernarg_preload_offset 0
		.amdhsa_user_sgpr_private_segment_size 0
		.amdhsa_uses_dynamic_stack 0
		.amdhsa_system_sgpr_private_segment_wavefront_offset 0
		.amdhsa_system_sgpr_workgroup_id_x 1
		.amdhsa_system_sgpr_workgroup_id_y 0
		.amdhsa_system_sgpr_workgroup_id_z 0
		.amdhsa_system_sgpr_workgroup_info 0
		.amdhsa_system_vgpr_workitem_id 0
		.amdhsa_next_free_vgpr 1
		.amdhsa_next_free_sgpr 0
		.amdhsa_accum_offset 4
		.amdhsa_reserve_vcc 0
		.amdhsa_reserve_flat_scratch 0
		.amdhsa_float_round_mode_32 0
		.amdhsa_float_round_mode_16_64 0
		.amdhsa_float_denorm_mode_32 3
		.amdhsa_float_denorm_mode_16_64 3
		.amdhsa_dx10_clamp 1
		.amdhsa_ieee_mode 1
		.amdhsa_fp16_overflow 0
		.amdhsa_tg_split 0
		.amdhsa_exception_fp_ieee_invalid_op 0
		.amdhsa_exception_fp_denorm_src 0
		.amdhsa_exception_fp_ieee_div_zero 0
		.amdhsa_exception_fp_ieee_overflow 0
		.amdhsa_exception_fp_ieee_underflow 0
		.amdhsa_exception_fp_ieee_inexact 0
		.amdhsa_exception_int_div_zero 0
	.end_amdhsa_kernel
	.section	.text._ZN7rocprim17ROCPRIM_400000_NS6detail17trampoline_kernelINS0_14default_configENS1_25partition_config_selectorILNS1_17partition_subalgoE9EllbEEZZNS1_14partition_implILS5_9ELb0ES3_jPlS8_PNS0_10empty_typeENS0_5tupleIJS8_S9_EEENSB_IJS8_SA_EEENS0_18inequality_wrapperIZN2at6native12_GLOBAL__N_124unique_dim_cuda_templateItEESt5tupleIJNSF_6TensorESK_SK_EERKSK_lbbbEUlllE0_EEPmJS9_EEE10hipError_tPvRmT3_T4_T5_T6_T7_T9_mT8_P12ihipStream_tbDpT10_ENKUlT_T0_E_clISt17integral_constantIbLb0EES1A_EEDaS15_S16_EUlS15_E_NS1_11comp_targetILNS1_3genE2ELNS1_11target_archE906ELNS1_3gpuE6ELNS1_3repE0EEENS1_30default_config_static_selectorELNS0_4arch9wavefront6targetE1EEEvT1_,"axG",@progbits,_ZN7rocprim17ROCPRIM_400000_NS6detail17trampoline_kernelINS0_14default_configENS1_25partition_config_selectorILNS1_17partition_subalgoE9EllbEEZZNS1_14partition_implILS5_9ELb0ES3_jPlS8_PNS0_10empty_typeENS0_5tupleIJS8_S9_EEENSB_IJS8_SA_EEENS0_18inequality_wrapperIZN2at6native12_GLOBAL__N_124unique_dim_cuda_templateItEESt5tupleIJNSF_6TensorESK_SK_EERKSK_lbbbEUlllE0_EEPmJS9_EEE10hipError_tPvRmT3_T4_T5_T6_T7_T9_mT8_P12ihipStream_tbDpT10_ENKUlT_T0_E_clISt17integral_constantIbLb0EES1A_EEDaS15_S16_EUlS15_E_NS1_11comp_targetILNS1_3genE2ELNS1_11target_archE906ELNS1_3gpuE6ELNS1_3repE0EEENS1_30default_config_static_selectorELNS0_4arch9wavefront6targetE1EEEvT1_,comdat
.Lfunc_end1453:
	.size	_ZN7rocprim17ROCPRIM_400000_NS6detail17trampoline_kernelINS0_14default_configENS1_25partition_config_selectorILNS1_17partition_subalgoE9EllbEEZZNS1_14partition_implILS5_9ELb0ES3_jPlS8_PNS0_10empty_typeENS0_5tupleIJS8_S9_EEENSB_IJS8_SA_EEENS0_18inequality_wrapperIZN2at6native12_GLOBAL__N_124unique_dim_cuda_templateItEESt5tupleIJNSF_6TensorESK_SK_EERKSK_lbbbEUlllE0_EEPmJS9_EEE10hipError_tPvRmT3_T4_T5_T6_T7_T9_mT8_P12ihipStream_tbDpT10_ENKUlT_T0_E_clISt17integral_constantIbLb0EES1A_EEDaS15_S16_EUlS15_E_NS1_11comp_targetILNS1_3genE2ELNS1_11target_archE906ELNS1_3gpuE6ELNS1_3repE0EEENS1_30default_config_static_selectorELNS0_4arch9wavefront6targetE1EEEvT1_, .Lfunc_end1453-_ZN7rocprim17ROCPRIM_400000_NS6detail17trampoline_kernelINS0_14default_configENS1_25partition_config_selectorILNS1_17partition_subalgoE9EllbEEZZNS1_14partition_implILS5_9ELb0ES3_jPlS8_PNS0_10empty_typeENS0_5tupleIJS8_S9_EEENSB_IJS8_SA_EEENS0_18inequality_wrapperIZN2at6native12_GLOBAL__N_124unique_dim_cuda_templateItEESt5tupleIJNSF_6TensorESK_SK_EERKSK_lbbbEUlllE0_EEPmJS9_EEE10hipError_tPvRmT3_T4_T5_T6_T7_T9_mT8_P12ihipStream_tbDpT10_ENKUlT_T0_E_clISt17integral_constantIbLb0EES1A_EEDaS15_S16_EUlS15_E_NS1_11comp_targetILNS1_3genE2ELNS1_11target_archE906ELNS1_3gpuE6ELNS1_3repE0EEENS1_30default_config_static_selectorELNS0_4arch9wavefront6targetE1EEEvT1_
                                        ; -- End function
	.section	.AMDGPU.csdata,"",@progbits
; Kernel info:
; codeLenInByte = 0
; NumSgprs: 4
; NumVgprs: 0
; NumAgprs: 0
; TotalNumVgprs: 0
; ScratchSize: 0
; MemoryBound: 0
; FloatMode: 240
; IeeeMode: 1
; LDSByteSize: 0 bytes/workgroup (compile time only)
; SGPRBlocks: 0
; VGPRBlocks: 0
; NumSGPRsForWavesPerEU: 4
; NumVGPRsForWavesPerEU: 1
; AccumOffset: 4
; Occupancy: 8
; WaveLimiterHint : 0
; COMPUTE_PGM_RSRC2:SCRATCH_EN: 0
; COMPUTE_PGM_RSRC2:USER_SGPR: 6
; COMPUTE_PGM_RSRC2:TRAP_HANDLER: 0
; COMPUTE_PGM_RSRC2:TGID_X_EN: 1
; COMPUTE_PGM_RSRC2:TGID_Y_EN: 0
; COMPUTE_PGM_RSRC2:TGID_Z_EN: 0
; COMPUTE_PGM_RSRC2:TIDIG_COMP_CNT: 0
; COMPUTE_PGM_RSRC3_GFX90A:ACCUM_OFFSET: 0
; COMPUTE_PGM_RSRC3_GFX90A:TG_SPLIT: 0
	.section	.text._ZN7rocprim17ROCPRIM_400000_NS6detail17trampoline_kernelINS0_14default_configENS1_25partition_config_selectorILNS1_17partition_subalgoE9EllbEEZZNS1_14partition_implILS5_9ELb0ES3_jPlS8_PNS0_10empty_typeENS0_5tupleIJS8_S9_EEENSB_IJS8_SA_EEENS0_18inequality_wrapperIZN2at6native12_GLOBAL__N_124unique_dim_cuda_templateItEESt5tupleIJNSF_6TensorESK_SK_EERKSK_lbbbEUlllE0_EEPmJS9_EEE10hipError_tPvRmT3_T4_T5_T6_T7_T9_mT8_P12ihipStream_tbDpT10_ENKUlT_T0_E_clISt17integral_constantIbLb0EES1A_EEDaS15_S16_EUlS15_E_NS1_11comp_targetILNS1_3genE10ELNS1_11target_archE1200ELNS1_3gpuE4ELNS1_3repE0EEENS1_30default_config_static_selectorELNS0_4arch9wavefront6targetE1EEEvT1_,"axG",@progbits,_ZN7rocprim17ROCPRIM_400000_NS6detail17trampoline_kernelINS0_14default_configENS1_25partition_config_selectorILNS1_17partition_subalgoE9EllbEEZZNS1_14partition_implILS5_9ELb0ES3_jPlS8_PNS0_10empty_typeENS0_5tupleIJS8_S9_EEENSB_IJS8_SA_EEENS0_18inequality_wrapperIZN2at6native12_GLOBAL__N_124unique_dim_cuda_templateItEESt5tupleIJNSF_6TensorESK_SK_EERKSK_lbbbEUlllE0_EEPmJS9_EEE10hipError_tPvRmT3_T4_T5_T6_T7_T9_mT8_P12ihipStream_tbDpT10_ENKUlT_T0_E_clISt17integral_constantIbLb0EES1A_EEDaS15_S16_EUlS15_E_NS1_11comp_targetILNS1_3genE10ELNS1_11target_archE1200ELNS1_3gpuE4ELNS1_3repE0EEENS1_30default_config_static_selectorELNS0_4arch9wavefront6targetE1EEEvT1_,comdat
	.globl	_ZN7rocprim17ROCPRIM_400000_NS6detail17trampoline_kernelINS0_14default_configENS1_25partition_config_selectorILNS1_17partition_subalgoE9EllbEEZZNS1_14partition_implILS5_9ELb0ES3_jPlS8_PNS0_10empty_typeENS0_5tupleIJS8_S9_EEENSB_IJS8_SA_EEENS0_18inequality_wrapperIZN2at6native12_GLOBAL__N_124unique_dim_cuda_templateItEESt5tupleIJNSF_6TensorESK_SK_EERKSK_lbbbEUlllE0_EEPmJS9_EEE10hipError_tPvRmT3_T4_T5_T6_T7_T9_mT8_P12ihipStream_tbDpT10_ENKUlT_T0_E_clISt17integral_constantIbLb0EES1A_EEDaS15_S16_EUlS15_E_NS1_11comp_targetILNS1_3genE10ELNS1_11target_archE1200ELNS1_3gpuE4ELNS1_3repE0EEENS1_30default_config_static_selectorELNS0_4arch9wavefront6targetE1EEEvT1_ ; -- Begin function _ZN7rocprim17ROCPRIM_400000_NS6detail17trampoline_kernelINS0_14default_configENS1_25partition_config_selectorILNS1_17partition_subalgoE9EllbEEZZNS1_14partition_implILS5_9ELb0ES3_jPlS8_PNS0_10empty_typeENS0_5tupleIJS8_S9_EEENSB_IJS8_SA_EEENS0_18inequality_wrapperIZN2at6native12_GLOBAL__N_124unique_dim_cuda_templateItEESt5tupleIJNSF_6TensorESK_SK_EERKSK_lbbbEUlllE0_EEPmJS9_EEE10hipError_tPvRmT3_T4_T5_T6_T7_T9_mT8_P12ihipStream_tbDpT10_ENKUlT_T0_E_clISt17integral_constantIbLb0EES1A_EEDaS15_S16_EUlS15_E_NS1_11comp_targetILNS1_3genE10ELNS1_11target_archE1200ELNS1_3gpuE4ELNS1_3repE0EEENS1_30default_config_static_selectorELNS0_4arch9wavefront6targetE1EEEvT1_
	.p2align	8
	.type	_ZN7rocprim17ROCPRIM_400000_NS6detail17trampoline_kernelINS0_14default_configENS1_25partition_config_selectorILNS1_17partition_subalgoE9EllbEEZZNS1_14partition_implILS5_9ELb0ES3_jPlS8_PNS0_10empty_typeENS0_5tupleIJS8_S9_EEENSB_IJS8_SA_EEENS0_18inequality_wrapperIZN2at6native12_GLOBAL__N_124unique_dim_cuda_templateItEESt5tupleIJNSF_6TensorESK_SK_EERKSK_lbbbEUlllE0_EEPmJS9_EEE10hipError_tPvRmT3_T4_T5_T6_T7_T9_mT8_P12ihipStream_tbDpT10_ENKUlT_T0_E_clISt17integral_constantIbLb0EES1A_EEDaS15_S16_EUlS15_E_NS1_11comp_targetILNS1_3genE10ELNS1_11target_archE1200ELNS1_3gpuE4ELNS1_3repE0EEENS1_30default_config_static_selectorELNS0_4arch9wavefront6targetE1EEEvT1_,@function
_ZN7rocprim17ROCPRIM_400000_NS6detail17trampoline_kernelINS0_14default_configENS1_25partition_config_selectorILNS1_17partition_subalgoE9EllbEEZZNS1_14partition_implILS5_9ELb0ES3_jPlS8_PNS0_10empty_typeENS0_5tupleIJS8_S9_EEENSB_IJS8_SA_EEENS0_18inequality_wrapperIZN2at6native12_GLOBAL__N_124unique_dim_cuda_templateItEESt5tupleIJNSF_6TensorESK_SK_EERKSK_lbbbEUlllE0_EEPmJS9_EEE10hipError_tPvRmT3_T4_T5_T6_T7_T9_mT8_P12ihipStream_tbDpT10_ENKUlT_T0_E_clISt17integral_constantIbLb0EES1A_EEDaS15_S16_EUlS15_E_NS1_11comp_targetILNS1_3genE10ELNS1_11target_archE1200ELNS1_3gpuE4ELNS1_3repE0EEENS1_30default_config_static_selectorELNS0_4arch9wavefront6targetE1EEEvT1_: ; @_ZN7rocprim17ROCPRIM_400000_NS6detail17trampoline_kernelINS0_14default_configENS1_25partition_config_selectorILNS1_17partition_subalgoE9EllbEEZZNS1_14partition_implILS5_9ELb0ES3_jPlS8_PNS0_10empty_typeENS0_5tupleIJS8_S9_EEENSB_IJS8_SA_EEENS0_18inequality_wrapperIZN2at6native12_GLOBAL__N_124unique_dim_cuda_templateItEESt5tupleIJNSF_6TensorESK_SK_EERKSK_lbbbEUlllE0_EEPmJS9_EEE10hipError_tPvRmT3_T4_T5_T6_T7_T9_mT8_P12ihipStream_tbDpT10_ENKUlT_T0_E_clISt17integral_constantIbLb0EES1A_EEDaS15_S16_EUlS15_E_NS1_11comp_targetILNS1_3genE10ELNS1_11target_archE1200ELNS1_3gpuE4ELNS1_3repE0EEENS1_30default_config_static_selectorELNS0_4arch9wavefront6targetE1EEEvT1_
; %bb.0:
	.section	.rodata,"a",@progbits
	.p2align	6, 0x0
	.amdhsa_kernel _ZN7rocprim17ROCPRIM_400000_NS6detail17trampoline_kernelINS0_14default_configENS1_25partition_config_selectorILNS1_17partition_subalgoE9EllbEEZZNS1_14partition_implILS5_9ELb0ES3_jPlS8_PNS0_10empty_typeENS0_5tupleIJS8_S9_EEENSB_IJS8_SA_EEENS0_18inequality_wrapperIZN2at6native12_GLOBAL__N_124unique_dim_cuda_templateItEESt5tupleIJNSF_6TensorESK_SK_EERKSK_lbbbEUlllE0_EEPmJS9_EEE10hipError_tPvRmT3_T4_T5_T6_T7_T9_mT8_P12ihipStream_tbDpT10_ENKUlT_T0_E_clISt17integral_constantIbLb0EES1A_EEDaS15_S16_EUlS15_E_NS1_11comp_targetILNS1_3genE10ELNS1_11target_archE1200ELNS1_3gpuE4ELNS1_3repE0EEENS1_30default_config_static_selectorELNS0_4arch9wavefront6targetE1EEEvT1_
		.amdhsa_group_segment_fixed_size 0
		.amdhsa_private_segment_fixed_size 0
		.amdhsa_kernarg_size 120
		.amdhsa_user_sgpr_count 6
		.amdhsa_user_sgpr_private_segment_buffer 1
		.amdhsa_user_sgpr_dispatch_ptr 0
		.amdhsa_user_sgpr_queue_ptr 0
		.amdhsa_user_sgpr_kernarg_segment_ptr 1
		.amdhsa_user_sgpr_dispatch_id 0
		.amdhsa_user_sgpr_flat_scratch_init 0
		.amdhsa_user_sgpr_kernarg_preload_length 0
		.amdhsa_user_sgpr_kernarg_preload_offset 0
		.amdhsa_user_sgpr_private_segment_size 0
		.amdhsa_uses_dynamic_stack 0
		.amdhsa_system_sgpr_private_segment_wavefront_offset 0
		.amdhsa_system_sgpr_workgroup_id_x 1
		.amdhsa_system_sgpr_workgroup_id_y 0
		.amdhsa_system_sgpr_workgroup_id_z 0
		.amdhsa_system_sgpr_workgroup_info 0
		.amdhsa_system_vgpr_workitem_id 0
		.amdhsa_next_free_vgpr 1
		.amdhsa_next_free_sgpr 0
		.amdhsa_accum_offset 4
		.amdhsa_reserve_vcc 0
		.amdhsa_reserve_flat_scratch 0
		.amdhsa_float_round_mode_32 0
		.amdhsa_float_round_mode_16_64 0
		.amdhsa_float_denorm_mode_32 3
		.amdhsa_float_denorm_mode_16_64 3
		.amdhsa_dx10_clamp 1
		.amdhsa_ieee_mode 1
		.amdhsa_fp16_overflow 0
		.amdhsa_tg_split 0
		.amdhsa_exception_fp_ieee_invalid_op 0
		.amdhsa_exception_fp_denorm_src 0
		.amdhsa_exception_fp_ieee_div_zero 0
		.amdhsa_exception_fp_ieee_overflow 0
		.amdhsa_exception_fp_ieee_underflow 0
		.amdhsa_exception_fp_ieee_inexact 0
		.amdhsa_exception_int_div_zero 0
	.end_amdhsa_kernel
	.section	.text._ZN7rocprim17ROCPRIM_400000_NS6detail17trampoline_kernelINS0_14default_configENS1_25partition_config_selectorILNS1_17partition_subalgoE9EllbEEZZNS1_14partition_implILS5_9ELb0ES3_jPlS8_PNS0_10empty_typeENS0_5tupleIJS8_S9_EEENSB_IJS8_SA_EEENS0_18inequality_wrapperIZN2at6native12_GLOBAL__N_124unique_dim_cuda_templateItEESt5tupleIJNSF_6TensorESK_SK_EERKSK_lbbbEUlllE0_EEPmJS9_EEE10hipError_tPvRmT3_T4_T5_T6_T7_T9_mT8_P12ihipStream_tbDpT10_ENKUlT_T0_E_clISt17integral_constantIbLb0EES1A_EEDaS15_S16_EUlS15_E_NS1_11comp_targetILNS1_3genE10ELNS1_11target_archE1200ELNS1_3gpuE4ELNS1_3repE0EEENS1_30default_config_static_selectorELNS0_4arch9wavefront6targetE1EEEvT1_,"axG",@progbits,_ZN7rocprim17ROCPRIM_400000_NS6detail17trampoline_kernelINS0_14default_configENS1_25partition_config_selectorILNS1_17partition_subalgoE9EllbEEZZNS1_14partition_implILS5_9ELb0ES3_jPlS8_PNS0_10empty_typeENS0_5tupleIJS8_S9_EEENSB_IJS8_SA_EEENS0_18inequality_wrapperIZN2at6native12_GLOBAL__N_124unique_dim_cuda_templateItEESt5tupleIJNSF_6TensorESK_SK_EERKSK_lbbbEUlllE0_EEPmJS9_EEE10hipError_tPvRmT3_T4_T5_T6_T7_T9_mT8_P12ihipStream_tbDpT10_ENKUlT_T0_E_clISt17integral_constantIbLb0EES1A_EEDaS15_S16_EUlS15_E_NS1_11comp_targetILNS1_3genE10ELNS1_11target_archE1200ELNS1_3gpuE4ELNS1_3repE0EEENS1_30default_config_static_selectorELNS0_4arch9wavefront6targetE1EEEvT1_,comdat
.Lfunc_end1454:
	.size	_ZN7rocprim17ROCPRIM_400000_NS6detail17trampoline_kernelINS0_14default_configENS1_25partition_config_selectorILNS1_17partition_subalgoE9EllbEEZZNS1_14partition_implILS5_9ELb0ES3_jPlS8_PNS0_10empty_typeENS0_5tupleIJS8_S9_EEENSB_IJS8_SA_EEENS0_18inequality_wrapperIZN2at6native12_GLOBAL__N_124unique_dim_cuda_templateItEESt5tupleIJNSF_6TensorESK_SK_EERKSK_lbbbEUlllE0_EEPmJS9_EEE10hipError_tPvRmT3_T4_T5_T6_T7_T9_mT8_P12ihipStream_tbDpT10_ENKUlT_T0_E_clISt17integral_constantIbLb0EES1A_EEDaS15_S16_EUlS15_E_NS1_11comp_targetILNS1_3genE10ELNS1_11target_archE1200ELNS1_3gpuE4ELNS1_3repE0EEENS1_30default_config_static_selectorELNS0_4arch9wavefront6targetE1EEEvT1_, .Lfunc_end1454-_ZN7rocprim17ROCPRIM_400000_NS6detail17trampoline_kernelINS0_14default_configENS1_25partition_config_selectorILNS1_17partition_subalgoE9EllbEEZZNS1_14partition_implILS5_9ELb0ES3_jPlS8_PNS0_10empty_typeENS0_5tupleIJS8_S9_EEENSB_IJS8_SA_EEENS0_18inequality_wrapperIZN2at6native12_GLOBAL__N_124unique_dim_cuda_templateItEESt5tupleIJNSF_6TensorESK_SK_EERKSK_lbbbEUlllE0_EEPmJS9_EEE10hipError_tPvRmT3_T4_T5_T6_T7_T9_mT8_P12ihipStream_tbDpT10_ENKUlT_T0_E_clISt17integral_constantIbLb0EES1A_EEDaS15_S16_EUlS15_E_NS1_11comp_targetILNS1_3genE10ELNS1_11target_archE1200ELNS1_3gpuE4ELNS1_3repE0EEENS1_30default_config_static_selectorELNS0_4arch9wavefront6targetE1EEEvT1_
                                        ; -- End function
	.section	.AMDGPU.csdata,"",@progbits
; Kernel info:
; codeLenInByte = 0
; NumSgprs: 4
; NumVgprs: 0
; NumAgprs: 0
; TotalNumVgprs: 0
; ScratchSize: 0
; MemoryBound: 0
; FloatMode: 240
; IeeeMode: 1
; LDSByteSize: 0 bytes/workgroup (compile time only)
; SGPRBlocks: 0
; VGPRBlocks: 0
; NumSGPRsForWavesPerEU: 4
; NumVGPRsForWavesPerEU: 1
; AccumOffset: 4
; Occupancy: 8
; WaveLimiterHint : 0
; COMPUTE_PGM_RSRC2:SCRATCH_EN: 0
; COMPUTE_PGM_RSRC2:USER_SGPR: 6
; COMPUTE_PGM_RSRC2:TRAP_HANDLER: 0
; COMPUTE_PGM_RSRC2:TGID_X_EN: 1
; COMPUTE_PGM_RSRC2:TGID_Y_EN: 0
; COMPUTE_PGM_RSRC2:TGID_Z_EN: 0
; COMPUTE_PGM_RSRC2:TIDIG_COMP_CNT: 0
; COMPUTE_PGM_RSRC3_GFX90A:ACCUM_OFFSET: 0
; COMPUTE_PGM_RSRC3_GFX90A:TG_SPLIT: 0
	.section	.text._ZN7rocprim17ROCPRIM_400000_NS6detail17trampoline_kernelINS0_14default_configENS1_25partition_config_selectorILNS1_17partition_subalgoE9EllbEEZZNS1_14partition_implILS5_9ELb0ES3_jPlS8_PNS0_10empty_typeENS0_5tupleIJS8_S9_EEENSB_IJS8_SA_EEENS0_18inequality_wrapperIZN2at6native12_GLOBAL__N_124unique_dim_cuda_templateItEESt5tupleIJNSF_6TensorESK_SK_EERKSK_lbbbEUlllE0_EEPmJS9_EEE10hipError_tPvRmT3_T4_T5_T6_T7_T9_mT8_P12ihipStream_tbDpT10_ENKUlT_T0_E_clISt17integral_constantIbLb0EES1A_EEDaS15_S16_EUlS15_E_NS1_11comp_targetILNS1_3genE9ELNS1_11target_archE1100ELNS1_3gpuE3ELNS1_3repE0EEENS1_30default_config_static_selectorELNS0_4arch9wavefront6targetE1EEEvT1_,"axG",@progbits,_ZN7rocprim17ROCPRIM_400000_NS6detail17trampoline_kernelINS0_14default_configENS1_25partition_config_selectorILNS1_17partition_subalgoE9EllbEEZZNS1_14partition_implILS5_9ELb0ES3_jPlS8_PNS0_10empty_typeENS0_5tupleIJS8_S9_EEENSB_IJS8_SA_EEENS0_18inequality_wrapperIZN2at6native12_GLOBAL__N_124unique_dim_cuda_templateItEESt5tupleIJNSF_6TensorESK_SK_EERKSK_lbbbEUlllE0_EEPmJS9_EEE10hipError_tPvRmT3_T4_T5_T6_T7_T9_mT8_P12ihipStream_tbDpT10_ENKUlT_T0_E_clISt17integral_constantIbLb0EES1A_EEDaS15_S16_EUlS15_E_NS1_11comp_targetILNS1_3genE9ELNS1_11target_archE1100ELNS1_3gpuE3ELNS1_3repE0EEENS1_30default_config_static_selectorELNS0_4arch9wavefront6targetE1EEEvT1_,comdat
	.globl	_ZN7rocprim17ROCPRIM_400000_NS6detail17trampoline_kernelINS0_14default_configENS1_25partition_config_selectorILNS1_17partition_subalgoE9EllbEEZZNS1_14partition_implILS5_9ELb0ES3_jPlS8_PNS0_10empty_typeENS0_5tupleIJS8_S9_EEENSB_IJS8_SA_EEENS0_18inequality_wrapperIZN2at6native12_GLOBAL__N_124unique_dim_cuda_templateItEESt5tupleIJNSF_6TensorESK_SK_EERKSK_lbbbEUlllE0_EEPmJS9_EEE10hipError_tPvRmT3_T4_T5_T6_T7_T9_mT8_P12ihipStream_tbDpT10_ENKUlT_T0_E_clISt17integral_constantIbLb0EES1A_EEDaS15_S16_EUlS15_E_NS1_11comp_targetILNS1_3genE9ELNS1_11target_archE1100ELNS1_3gpuE3ELNS1_3repE0EEENS1_30default_config_static_selectorELNS0_4arch9wavefront6targetE1EEEvT1_ ; -- Begin function _ZN7rocprim17ROCPRIM_400000_NS6detail17trampoline_kernelINS0_14default_configENS1_25partition_config_selectorILNS1_17partition_subalgoE9EllbEEZZNS1_14partition_implILS5_9ELb0ES3_jPlS8_PNS0_10empty_typeENS0_5tupleIJS8_S9_EEENSB_IJS8_SA_EEENS0_18inequality_wrapperIZN2at6native12_GLOBAL__N_124unique_dim_cuda_templateItEESt5tupleIJNSF_6TensorESK_SK_EERKSK_lbbbEUlllE0_EEPmJS9_EEE10hipError_tPvRmT3_T4_T5_T6_T7_T9_mT8_P12ihipStream_tbDpT10_ENKUlT_T0_E_clISt17integral_constantIbLb0EES1A_EEDaS15_S16_EUlS15_E_NS1_11comp_targetILNS1_3genE9ELNS1_11target_archE1100ELNS1_3gpuE3ELNS1_3repE0EEENS1_30default_config_static_selectorELNS0_4arch9wavefront6targetE1EEEvT1_
	.p2align	8
	.type	_ZN7rocprim17ROCPRIM_400000_NS6detail17trampoline_kernelINS0_14default_configENS1_25partition_config_selectorILNS1_17partition_subalgoE9EllbEEZZNS1_14partition_implILS5_9ELb0ES3_jPlS8_PNS0_10empty_typeENS0_5tupleIJS8_S9_EEENSB_IJS8_SA_EEENS0_18inequality_wrapperIZN2at6native12_GLOBAL__N_124unique_dim_cuda_templateItEESt5tupleIJNSF_6TensorESK_SK_EERKSK_lbbbEUlllE0_EEPmJS9_EEE10hipError_tPvRmT3_T4_T5_T6_T7_T9_mT8_P12ihipStream_tbDpT10_ENKUlT_T0_E_clISt17integral_constantIbLb0EES1A_EEDaS15_S16_EUlS15_E_NS1_11comp_targetILNS1_3genE9ELNS1_11target_archE1100ELNS1_3gpuE3ELNS1_3repE0EEENS1_30default_config_static_selectorELNS0_4arch9wavefront6targetE1EEEvT1_,@function
_ZN7rocprim17ROCPRIM_400000_NS6detail17trampoline_kernelINS0_14default_configENS1_25partition_config_selectorILNS1_17partition_subalgoE9EllbEEZZNS1_14partition_implILS5_9ELb0ES3_jPlS8_PNS0_10empty_typeENS0_5tupleIJS8_S9_EEENSB_IJS8_SA_EEENS0_18inequality_wrapperIZN2at6native12_GLOBAL__N_124unique_dim_cuda_templateItEESt5tupleIJNSF_6TensorESK_SK_EERKSK_lbbbEUlllE0_EEPmJS9_EEE10hipError_tPvRmT3_T4_T5_T6_T7_T9_mT8_P12ihipStream_tbDpT10_ENKUlT_T0_E_clISt17integral_constantIbLb0EES1A_EEDaS15_S16_EUlS15_E_NS1_11comp_targetILNS1_3genE9ELNS1_11target_archE1100ELNS1_3gpuE3ELNS1_3repE0EEENS1_30default_config_static_selectorELNS0_4arch9wavefront6targetE1EEEvT1_: ; @_ZN7rocprim17ROCPRIM_400000_NS6detail17trampoline_kernelINS0_14default_configENS1_25partition_config_selectorILNS1_17partition_subalgoE9EllbEEZZNS1_14partition_implILS5_9ELb0ES3_jPlS8_PNS0_10empty_typeENS0_5tupleIJS8_S9_EEENSB_IJS8_SA_EEENS0_18inequality_wrapperIZN2at6native12_GLOBAL__N_124unique_dim_cuda_templateItEESt5tupleIJNSF_6TensorESK_SK_EERKSK_lbbbEUlllE0_EEPmJS9_EEE10hipError_tPvRmT3_T4_T5_T6_T7_T9_mT8_P12ihipStream_tbDpT10_ENKUlT_T0_E_clISt17integral_constantIbLb0EES1A_EEDaS15_S16_EUlS15_E_NS1_11comp_targetILNS1_3genE9ELNS1_11target_archE1100ELNS1_3gpuE3ELNS1_3repE0EEENS1_30default_config_static_selectorELNS0_4arch9wavefront6targetE1EEEvT1_
; %bb.0:
	.section	.rodata,"a",@progbits
	.p2align	6, 0x0
	.amdhsa_kernel _ZN7rocprim17ROCPRIM_400000_NS6detail17trampoline_kernelINS0_14default_configENS1_25partition_config_selectorILNS1_17partition_subalgoE9EllbEEZZNS1_14partition_implILS5_9ELb0ES3_jPlS8_PNS0_10empty_typeENS0_5tupleIJS8_S9_EEENSB_IJS8_SA_EEENS0_18inequality_wrapperIZN2at6native12_GLOBAL__N_124unique_dim_cuda_templateItEESt5tupleIJNSF_6TensorESK_SK_EERKSK_lbbbEUlllE0_EEPmJS9_EEE10hipError_tPvRmT3_T4_T5_T6_T7_T9_mT8_P12ihipStream_tbDpT10_ENKUlT_T0_E_clISt17integral_constantIbLb0EES1A_EEDaS15_S16_EUlS15_E_NS1_11comp_targetILNS1_3genE9ELNS1_11target_archE1100ELNS1_3gpuE3ELNS1_3repE0EEENS1_30default_config_static_selectorELNS0_4arch9wavefront6targetE1EEEvT1_
		.amdhsa_group_segment_fixed_size 0
		.amdhsa_private_segment_fixed_size 0
		.amdhsa_kernarg_size 120
		.amdhsa_user_sgpr_count 6
		.amdhsa_user_sgpr_private_segment_buffer 1
		.amdhsa_user_sgpr_dispatch_ptr 0
		.amdhsa_user_sgpr_queue_ptr 0
		.amdhsa_user_sgpr_kernarg_segment_ptr 1
		.amdhsa_user_sgpr_dispatch_id 0
		.amdhsa_user_sgpr_flat_scratch_init 0
		.amdhsa_user_sgpr_kernarg_preload_length 0
		.amdhsa_user_sgpr_kernarg_preload_offset 0
		.amdhsa_user_sgpr_private_segment_size 0
		.amdhsa_uses_dynamic_stack 0
		.amdhsa_system_sgpr_private_segment_wavefront_offset 0
		.amdhsa_system_sgpr_workgroup_id_x 1
		.amdhsa_system_sgpr_workgroup_id_y 0
		.amdhsa_system_sgpr_workgroup_id_z 0
		.amdhsa_system_sgpr_workgroup_info 0
		.amdhsa_system_vgpr_workitem_id 0
		.amdhsa_next_free_vgpr 1
		.amdhsa_next_free_sgpr 0
		.amdhsa_accum_offset 4
		.amdhsa_reserve_vcc 0
		.amdhsa_reserve_flat_scratch 0
		.amdhsa_float_round_mode_32 0
		.amdhsa_float_round_mode_16_64 0
		.amdhsa_float_denorm_mode_32 3
		.amdhsa_float_denorm_mode_16_64 3
		.amdhsa_dx10_clamp 1
		.amdhsa_ieee_mode 1
		.amdhsa_fp16_overflow 0
		.amdhsa_tg_split 0
		.amdhsa_exception_fp_ieee_invalid_op 0
		.amdhsa_exception_fp_denorm_src 0
		.amdhsa_exception_fp_ieee_div_zero 0
		.amdhsa_exception_fp_ieee_overflow 0
		.amdhsa_exception_fp_ieee_underflow 0
		.amdhsa_exception_fp_ieee_inexact 0
		.amdhsa_exception_int_div_zero 0
	.end_amdhsa_kernel
	.section	.text._ZN7rocprim17ROCPRIM_400000_NS6detail17trampoline_kernelINS0_14default_configENS1_25partition_config_selectorILNS1_17partition_subalgoE9EllbEEZZNS1_14partition_implILS5_9ELb0ES3_jPlS8_PNS0_10empty_typeENS0_5tupleIJS8_S9_EEENSB_IJS8_SA_EEENS0_18inequality_wrapperIZN2at6native12_GLOBAL__N_124unique_dim_cuda_templateItEESt5tupleIJNSF_6TensorESK_SK_EERKSK_lbbbEUlllE0_EEPmJS9_EEE10hipError_tPvRmT3_T4_T5_T6_T7_T9_mT8_P12ihipStream_tbDpT10_ENKUlT_T0_E_clISt17integral_constantIbLb0EES1A_EEDaS15_S16_EUlS15_E_NS1_11comp_targetILNS1_3genE9ELNS1_11target_archE1100ELNS1_3gpuE3ELNS1_3repE0EEENS1_30default_config_static_selectorELNS0_4arch9wavefront6targetE1EEEvT1_,"axG",@progbits,_ZN7rocprim17ROCPRIM_400000_NS6detail17trampoline_kernelINS0_14default_configENS1_25partition_config_selectorILNS1_17partition_subalgoE9EllbEEZZNS1_14partition_implILS5_9ELb0ES3_jPlS8_PNS0_10empty_typeENS0_5tupleIJS8_S9_EEENSB_IJS8_SA_EEENS0_18inequality_wrapperIZN2at6native12_GLOBAL__N_124unique_dim_cuda_templateItEESt5tupleIJNSF_6TensorESK_SK_EERKSK_lbbbEUlllE0_EEPmJS9_EEE10hipError_tPvRmT3_T4_T5_T6_T7_T9_mT8_P12ihipStream_tbDpT10_ENKUlT_T0_E_clISt17integral_constantIbLb0EES1A_EEDaS15_S16_EUlS15_E_NS1_11comp_targetILNS1_3genE9ELNS1_11target_archE1100ELNS1_3gpuE3ELNS1_3repE0EEENS1_30default_config_static_selectorELNS0_4arch9wavefront6targetE1EEEvT1_,comdat
.Lfunc_end1455:
	.size	_ZN7rocprim17ROCPRIM_400000_NS6detail17trampoline_kernelINS0_14default_configENS1_25partition_config_selectorILNS1_17partition_subalgoE9EllbEEZZNS1_14partition_implILS5_9ELb0ES3_jPlS8_PNS0_10empty_typeENS0_5tupleIJS8_S9_EEENSB_IJS8_SA_EEENS0_18inequality_wrapperIZN2at6native12_GLOBAL__N_124unique_dim_cuda_templateItEESt5tupleIJNSF_6TensorESK_SK_EERKSK_lbbbEUlllE0_EEPmJS9_EEE10hipError_tPvRmT3_T4_T5_T6_T7_T9_mT8_P12ihipStream_tbDpT10_ENKUlT_T0_E_clISt17integral_constantIbLb0EES1A_EEDaS15_S16_EUlS15_E_NS1_11comp_targetILNS1_3genE9ELNS1_11target_archE1100ELNS1_3gpuE3ELNS1_3repE0EEENS1_30default_config_static_selectorELNS0_4arch9wavefront6targetE1EEEvT1_, .Lfunc_end1455-_ZN7rocprim17ROCPRIM_400000_NS6detail17trampoline_kernelINS0_14default_configENS1_25partition_config_selectorILNS1_17partition_subalgoE9EllbEEZZNS1_14partition_implILS5_9ELb0ES3_jPlS8_PNS0_10empty_typeENS0_5tupleIJS8_S9_EEENSB_IJS8_SA_EEENS0_18inequality_wrapperIZN2at6native12_GLOBAL__N_124unique_dim_cuda_templateItEESt5tupleIJNSF_6TensorESK_SK_EERKSK_lbbbEUlllE0_EEPmJS9_EEE10hipError_tPvRmT3_T4_T5_T6_T7_T9_mT8_P12ihipStream_tbDpT10_ENKUlT_T0_E_clISt17integral_constantIbLb0EES1A_EEDaS15_S16_EUlS15_E_NS1_11comp_targetILNS1_3genE9ELNS1_11target_archE1100ELNS1_3gpuE3ELNS1_3repE0EEENS1_30default_config_static_selectorELNS0_4arch9wavefront6targetE1EEEvT1_
                                        ; -- End function
	.section	.AMDGPU.csdata,"",@progbits
; Kernel info:
; codeLenInByte = 0
; NumSgprs: 4
; NumVgprs: 0
; NumAgprs: 0
; TotalNumVgprs: 0
; ScratchSize: 0
; MemoryBound: 0
; FloatMode: 240
; IeeeMode: 1
; LDSByteSize: 0 bytes/workgroup (compile time only)
; SGPRBlocks: 0
; VGPRBlocks: 0
; NumSGPRsForWavesPerEU: 4
; NumVGPRsForWavesPerEU: 1
; AccumOffset: 4
; Occupancy: 8
; WaveLimiterHint : 0
; COMPUTE_PGM_RSRC2:SCRATCH_EN: 0
; COMPUTE_PGM_RSRC2:USER_SGPR: 6
; COMPUTE_PGM_RSRC2:TRAP_HANDLER: 0
; COMPUTE_PGM_RSRC2:TGID_X_EN: 1
; COMPUTE_PGM_RSRC2:TGID_Y_EN: 0
; COMPUTE_PGM_RSRC2:TGID_Z_EN: 0
; COMPUTE_PGM_RSRC2:TIDIG_COMP_CNT: 0
; COMPUTE_PGM_RSRC3_GFX90A:ACCUM_OFFSET: 0
; COMPUTE_PGM_RSRC3_GFX90A:TG_SPLIT: 0
	.section	.text._ZN7rocprim17ROCPRIM_400000_NS6detail17trampoline_kernelINS0_14default_configENS1_25partition_config_selectorILNS1_17partition_subalgoE9EllbEEZZNS1_14partition_implILS5_9ELb0ES3_jPlS8_PNS0_10empty_typeENS0_5tupleIJS8_S9_EEENSB_IJS8_SA_EEENS0_18inequality_wrapperIZN2at6native12_GLOBAL__N_124unique_dim_cuda_templateItEESt5tupleIJNSF_6TensorESK_SK_EERKSK_lbbbEUlllE0_EEPmJS9_EEE10hipError_tPvRmT3_T4_T5_T6_T7_T9_mT8_P12ihipStream_tbDpT10_ENKUlT_T0_E_clISt17integral_constantIbLb0EES1A_EEDaS15_S16_EUlS15_E_NS1_11comp_targetILNS1_3genE8ELNS1_11target_archE1030ELNS1_3gpuE2ELNS1_3repE0EEENS1_30default_config_static_selectorELNS0_4arch9wavefront6targetE1EEEvT1_,"axG",@progbits,_ZN7rocprim17ROCPRIM_400000_NS6detail17trampoline_kernelINS0_14default_configENS1_25partition_config_selectorILNS1_17partition_subalgoE9EllbEEZZNS1_14partition_implILS5_9ELb0ES3_jPlS8_PNS0_10empty_typeENS0_5tupleIJS8_S9_EEENSB_IJS8_SA_EEENS0_18inequality_wrapperIZN2at6native12_GLOBAL__N_124unique_dim_cuda_templateItEESt5tupleIJNSF_6TensorESK_SK_EERKSK_lbbbEUlllE0_EEPmJS9_EEE10hipError_tPvRmT3_T4_T5_T6_T7_T9_mT8_P12ihipStream_tbDpT10_ENKUlT_T0_E_clISt17integral_constantIbLb0EES1A_EEDaS15_S16_EUlS15_E_NS1_11comp_targetILNS1_3genE8ELNS1_11target_archE1030ELNS1_3gpuE2ELNS1_3repE0EEENS1_30default_config_static_selectorELNS0_4arch9wavefront6targetE1EEEvT1_,comdat
	.globl	_ZN7rocprim17ROCPRIM_400000_NS6detail17trampoline_kernelINS0_14default_configENS1_25partition_config_selectorILNS1_17partition_subalgoE9EllbEEZZNS1_14partition_implILS5_9ELb0ES3_jPlS8_PNS0_10empty_typeENS0_5tupleIJS8_S9_EEENSB_IJS8_SA_EEENS0_18inequality_wrapperIZN2at6native12_GLOBAL__N_124unique_dim_cuda_templateItEESt5tupleIJNSF_6TensorESK_SK_EERKSK_lbbbEUlllE0_EEPmJS9_EEE10hipError_tPvRmT3_T4_T5_T6_T7_T9_mT8_P12ihipStream_tbDpT10_ENKUlT_T0_E_clISt17integral_constantIbLb0EES1A_EEDaS15_S16_EUlS15_E_NS1_11comp_targetILNS1_3genE8ELNS1_11target_archE1030ELNS1_3gpuE2ELNS1_3repE0EEENS1_30default_config_static_selectorELNS0_4arch9wavefront6targetE1EEEvT1_ ; -- Begin function _ZN7rocprim17ROCPRIM_400000_NS6detail17trampoline_kernelINS0_14default_configENS1_25partition_config_selectorILNS1_17partition_subalgoE9EllbEEZZNS1_14partition_implILS5_9ELb0ES3_jPlS8_PNS0_10empty_typeENS0_5tupleIJS8_S9_EEENSB_IJS8_SA_EEENS0_18inequality_wrapperIZN2at6native12_GLOBAL__N_124unique_dim_cuda_templateItEESt5tupleIJNSF_6TensorESK_SK_EERKSK_lbbbEUlllE0_EEPmJS9_EEE10hipError_tPvRmT3_T4_T5_T6_T7_T9_mT8_P12ihipStream_tbDpT10_ENKUlT_T0_E_clISt17integral_constantIbLb0EES1A_EEDaS15_S16_EUlS15_E_NS1_11comp_targetILNS1_3genE8ELNS1_11target_archE1030ELNS1_3gpuE2ELNS1_3repE0EEENS1_30default_config_static_selectorELNS0_4arch9wavefront6targetE1EEEvT1_
	.p2align	8
	.type	_ZN7rocprim17ROCPRIM_400000_NS6detail17trampoline_kernelINS0_14default_configENS1_25partition_config_selectorILNS1_17partition_subalgoE9EllbEEZZNS1_14partition_implILS5_9ELb0ES3_jPlS8_PNS0_10empty_typeENS0_5tupleIJS8_S9_EEENSB_IJS8_SA_EEENS0_18inequality_wrapperIZN2at6native12_GLOBAL__N_124unique_dim_cuda_templateItEESt5tupleIJNSF_6TensorESK_SK_EERKSK_lbbbEUlllE0_EEPmJS9_EEE10hipError_tPvRmT3_T4_T5_T6_T7_T9_mT8_P12ihipStream_tbDpT10_ENKUlT_T0_E_clISt17integral_constantIbLb0EES1A_EEDaS15_S16_EUlS15_E_NS1_11comp_targetILNS1_3genE8ELNS1_11target_archE1030ELNS1_3gpuE2ELNS1_3repE0EEENS1_30default_config_static_selectorELNS0_4arch9wavefront6targetE1EEEvT1_,@function
_ZN7rocprim17ROCPRIM_400000_NS6detail17trampoline_kernelINS0_14default_configENS1_25partition_config_selectorILNS1_17partition_subalgoE9EllbEEZZNS1_14partition_implILS5_9ELb0ES3_jPlS8_PNS0_10empty_typeENS0_5tupleIJS8_S9_EEENSB_IJS8_SA_EEENS0_18inequality_wrapperIZN2at6native12_GLOBAL__N_124unique_dim_cuda_templateItEESt5tupleIJNSF_6TensorESK_SK_EERKSK_lbbbEUlllE0_EEPmJS9_EEE10hipError_tPvRmT3_T4_T5_T6_T7_T9_mT8_P12ihipStream_tbDpT10_ENKUlT_T0_E_clISt17integral_constantIbLb0EES1A_EEDaS15_S16_EUlS15_E_NS1_11comp_targetILNS1_3genE8ELNS1_11target_archE1030ELNS1_3gpuE2ELNS1_3repE0EEENS1_30default_config_static_selectorELNS0_4arch9wavefront6targetE1EEEvT1_: ; @_ZN7rocprim17ROCPRIM_400000_NS6detail17trampoline_kernelINS0_14default_configENS1_25partition_config_selectorILNS1_17partition_subalgoE9EllbEEZZNS1_14partition_implILS5_9ELb0ES3_jPlS8_PNS0_10empty_typeENS0_5tupleIJS8_S9_EEENSB_IJS8_SA_EEENS0_18inequality_wrapperIZN2at6native12_GLOBAL__N_124unique_dim_cuda_templateItEESt5tupleIJNSF_6TensorESK_SK_EERKSK_lbbbEUlllE0_EEPmJS9_EEE10hipError_tPvRmT3_T4_T5_T6_T7_T9_mT8_P12ihipStream_tbDpT10_ENKUlT_T0_E_clISt17integral_constantIbLb0EES1A_EEDaS15_S16_EUlS15_E_NS1_11comp_targetILNS1_3genE8ELNS1_11target_archE1030ELNS1_3gpuE2ELNS1_3repE0EEENS1_30default_config_static_selectorELNS0_4arch9wavefront6targetE1EEEvT1_
; %bb.0:
	.section	.rodata,"a",@progbits
	.p2align	6, 0x0
	.amdhsa_kernel _ZN7rocprim17ROCPRIM_400000_NS6detail17trampoline_kernelINS0_14default_configENS1_25partition_config_selectorILNS1_17partition_subalgoE9EllbEEZZNS1_14partition_implILS5_9ELb0ES3_jPlS8_PNS0_10empty_typeENS0_5tupleIJS8_S9_EEENSB_IJS8_SA_EEENS0_18inequality_wrapperIZN2at6native12_GLOBAL__N_124unique_dim_cuda_templateItEESt5tupleIJNSF_6TensorESK_SK_EERKSK_lbbbEUlllE0_EEPmJS9_EEE10hipError_tPvRmT3_T4_T5_T6_T7_T9_mT8_P12ihipStream_tbDpT10_ENKUlT_T0_E_clISt17integral_constantIbLb0EES1A_EEDaS15_S16_EUlS15_E_NS1_11comp_targetILNS1_3genE8ELNS1_11target_archE1030ELNS1_3gpuE2ELNS1_3repE0EEENS1_30default_config_static_selectorELNS0_4arch9wavefront6targetE1EEEvT1_
		.amdhsa_group_segment_fixed_size 0
		.amdhsa_private_segment_fixed_size 0
		.amdhsa_kernarg_size 120
		.amdhsa_user_sgpr_count 6
		.amdhsa_user_sgpr_private_segment_buffer 1
		.amdhsa_user_sgpr_dispatch_ptr 0
		.amdhsa_user_sgpr_queue_ptr 0
		.amdhsa_user_sgpr_kernarg_segment_ptr 1
		.amdhsa_user_sgpr_dispatch_id 0
		.amdhsa_user_sgpr_flat_scratch_init 0
		.amdhsa_user_sgpr_kernarg_preload_length 0
		.amdhsa_user_sgpr_kernarg_preload_offset 0
		.amdhsa_user_sgpr_private_segment_size 0
		.amdhsa_uses_dynamic_stack 0
		.amdhsa_system_sgpr_private_segment_wavefront_offset 0
		.amdhsa_system_sgpr_workgroup_id_x 1
		.amdhsa_system_sgpr_workgroup_id_y 0
		.amdhsa_system_sgpr_workgroup_id_z 0
		.amdhsa_system_sgpr_workgroup_info 0
		.amdhsa_system_vgpr_workitem_id 0
		.amdhsa_next_free_vgpr 1
		.amdhsa_next_free_sgpr 0
		.amdhsa_accum_offset 4
		.amdhsa_reserve_vcc 0
		.amdhsa_reserve_flat_scratch 0
		.amdhsa_float_round_mode_32 0
		.amdhsa_float_round_mode_16_64 0
		.amdhsa_float_denorm_mode_32 3
		.amdhsa_float_denorm_mode_16_64 3
		.amdhsa_dx10_clamp 1
		.amdhsa_ieee_mode 1
		.amdhsa_fp16_overflow 0
		.amdhsa_tg_split 0
		.amdhsa_exception_fp_ieee_invalid_op 0
		.amdhsa_exception_fp_denorm_src 0
		.amdhsa_exception_fp_ieee_div_zero 0
		.amdhsa_exception_fp_ieee_overflow 0
		.amdhsa_exception_fp_ieee_underflow 0
		.amdhsa_exception_fp_ieee_inexact 0
		.amdhsa_exception_int_div_zero 0
	.end_amdhsa_kernel
	.section	.text._ZN7rocprim17ROCPRIM_400000_NS6detail17trampoline_kernelINS0_14default_configENS1_25partition_config_selectorILNS1_17partition_subalgoE9EllbEEZZNS1_14partition_implILS5_9ELb0ES3_jPlS8_PNS0_10empty_typeENS0_5tupleIJS8_S9_EEENSB_IJS8_SA_EEENS0_18inequality_wrapperIZN2at6native12_GLOBAL__N_124unique_dim_cuda_templateItEESt5tupleIJNSF_6TensorESK_SK_EERKSK_lbbbEUlllE0_EEPmJS9_EEE10hipError_tPvRmT3_T4_T5_T6_T7_T9_mT8_P12ihipStream_tbDpT10_ENKUlT_T0_E_clISt17integral_constantIbLb0EES1A_EEDaS15_S16_EUlS15_E_NS1_11comp_targetILNS1_3genE8ELNS1_11target_archE1030ELNS1_3gpuE2ELNS1_3repE0EEENS1_30default_config_static_selectorELNS0_4arch9wavefront6targetE1EEEvT1_,"axG",@progbits,_ZN7rocprim17ROCPRIM_400000_NS6detail17trampoline_kernelINS0_14default_configENS1_25partition_config_selectorILNS1_17partition_subalgoE9EllbEEZZNS1_14partition_implILS5_9ELb0ES3_jPlS8_PNS0_10empty_typeENS0_5tupleIJS8_S9_EEENSB_IJS8_SA_EEENS0_18inequality_wrapperIZN2at6native12_GLOBAL__N_124unique_dim_cuda_templateItEESt5tupleIJNSF_6TensorESK_SK_EERKSK_lbbbEUlllE0_EEPmJS9_EEE10hipError_tPvRmT3_T4_T5_T6_T7_T9_mT8_P12ihipStream_tbDpT10_ENKUlT_T0_E_clISt17integral_constantIbLb0EES1A_EEDaS15_S16_EUlS15_E_NS1_11comp_targetILNS1_3genE8ELNS1_11target_archE1030ELNS1_3gpuE2ELNS1_3repE0EEENS1_30default_config_static_selectorELNS0_4arch9wavefront6targetE1EEEvT1_,comdat
.Lfunc_end1456:
	.size	_ZN7rocprim17ROCPRIM_400000_NS6detail17trampoline_kernelINS0_14default_configENS1_25partition_config_selectorILNS1_17partition_subalgoE9EllbEEZZNS1_14partition_implILS5_9ELb0ES3_jPlS8_PNS0_10empty_typeENS0_5tupleIJS8_S9_EEENSB_IJS8_SA_EEENS0_18inequality_wrapperIZN2at6native12_GLOBAL__N_124unique_dim_cuda_templateItEESt5tupleIJNSF_6TensorESK_SK_EERKSK_lbbbEUlllE0_EEPmJS9_EEE10hipError_tPvRmT3_T4_T5_T6_T7_T9_mT8_P12ihipStream_tbDpT10_ENKUlT_T0_E_clISt17integral_constantIbLb0EES1A_EEDaS15_S16_EUlS15_E_NS1_11comp_targetILNS1_3genE8ELNS1_11target_archE1030ELNS1_3gpuE2ELNS1_3repE0EEENS1_30default_config_static_selectorELNS0_4arch9wavefront6targetE1EEEvT1_, .Lfunc_end1456-_ZN7rocprim17ROCPRIM_400000_NS6detail17trampoline_kernelINS0_14default_configENS1_25partition_config_selectorILNS1_17partition_subalgoE9EllbEEZZNS1_14partition_implILS5_9ELb0ES3_jPlS8_PNS0_10empty_typeENS0_5tupleIJS8_S9_EEENSB_IJS8_SA_EEENS0_18inequality_wrapperIZN2at6native12_GLOBAL__N_124unique_dim_cuda_templateItEESt5tupleIJNSF_6TensorESK_SK_EERKSK_lbbbEUlllE0_EEPmJS9_EEE10hipError_tPvRmT3_T4_T5_T6_T7_T9_mT8_P12ihipStream_tbDpT10_ENKUlT_T0_E_clISt17integral_constantIbLb0EES1A_EEDaS15_S16_EUlS15_E_NS1_11comp_targetILNS1_3genE8ELNS1_11target_archE1030ELNS1_3gpuE2ELNS1_3repE0EEENS1_30default_config_static_selectorELNS0_4arch9wavefront6targetE1EEEvT1_
                                        ; -- End function
	.section	.AMDGPU.csdata,"",@progbits
; Kernel info:
; codeLenInByte = 0
; NumSgprs: 4
; NumVgprs: 0
; NumAgprs: 0
; TotalNumVgprs: 0
; ScratchSize: 0
; MemoryBound: 0
; FloatMode: 240
; IeeeMode: 1
; LDSByteSize: 0 bytes/workgroup (compile time only)
; SGPRBlocks: 0
; VGPRBlocks: 0
; NumSGPRsForWavesPerEU: 4
; NumVGPRsForWavesPerEU: 1
; AccumOffset: 4
; Occupancy: 8
; WaveLimiterHint : 0
; COMPUTE_PGM_RSRC2:SCRATCH_EN: 0
; COMPUTE_PGM_RSRC2:USER_SGPR: 6
; COMPUTE_PGM_RSRC2:TRAP_HANDLER: 0
; COMPUTE_PGM_RSRC2:TGID_X_EN: 1
; COMPUTE_PGM_RSRC2:TGID_Y_EN: 0
; COMPUTE_PGM_RSRC2:TGID_Z_EN: 0
; COMPUTE_PGM_RSRC2:TIDIG_COMP_CNT: 0
; COMPUTE_PGM_RSRC3_GFX90A:ACCUM_OFFSET: 0
; COMPUTE_PGM_RSRC3_GFX90A:TG_SPLIT: 0
	.section	.text._ZN7rocprim17ROCPRIM_400000_NS6detail17trampoline_kernelINS0_14default_configENS1_25partition_config_selectorILNS1_17partition_subalgoE9EllbEEZZNS1_14partition_implILS5_9ELb0ES3_jPlS8_PNS0_10empty_typeENS0_5tupleIJS8_S9_EEENSB_IJS8_SA_EEENS0_18inequality_wrapperIZN2at6native12_GLOBAL__N_124unique_dim_cuda_templateItEESt5tupleIJNSF_6TensorESK_SK_EERKSK_lbbbEUlllE0_EEPmJS9_EEE10hipError_tPvRmT3_T4_T5_T6_T7_T9_mT8_P12ihipStream_tbDpT10_ENKUlT_T0_E_clISt17integral_constantIbLb1EES1A_EEDaS15_S16_EUlS15_E_NS1_11comp_targetILNS1_3genE0ELNS1_11target_archE4294967295ELNS1_3gpuE0ELNS1_3repE0EEENS1_30default_config_static_selectorELNS0_4arch9wavefront6targetE1EEEvT1_,"axG",@progbits,_ZN7rocprim17ROCPRIM_400000_NS6detail17trampoline_kernelINS0_14default_configENS1_25partition_config_selectorILNS1_17partition_subalgoE9EllbEEZZNS1_14partition_implILS5_9ELb0ES3_jPlS8_PNS0_10empty_typeENS0_5tupleIJS8_S9_EEENSB_IJS8_SA_EEENS0_18inequality_wrapperIZN2at6native12_GLOBAL__N_124unique_dim_cuda_templateItEESt5tupleIJNSF_6TensorESK_SK_EERKSK_lbbbEUlllE0_EEPmJS9_EEE10hipError_tPvRmT3_T4_T5_T6_T7_T9_mT8_P12ihipStream_tbDpT10_ENKUlT_T0_E_clISt17integral_constantIbLb1EES1A_EEDaS15_S16_EUlS15_E_NS1_11comp_targetILNS1_3genE0ELNS1_11target_archE4294967295ELNS1_3gpuE0ELNS1_3repE0EEENS1_30default_config_static_selectorELNS0_4arch9wavefront6targetE1EEEvT1_,comdat
	.globl	_ZN7rocprim17ROCPRIM_400000_NS6detail17trampoline_kernelINS0_14default_configENS1_25partition_config_selectorILNS1_17partition_subalgoE9EllbEEZZNS1_14partition_implILS5_9ELb0ES3_jPlS8_PNS0_10empty_typeENS0_5tupleIJS8_S9_EEENSB_IJS8_SA_EEENS0_18inequality_wrapperIZN2at6native12_GLOBAL__N_124unique_dim_cuda_templateItEESt5tupleIJNSF_6TensorESK_SK_EERKSK_lbbbEUlllE0_EEPmJS9_EEE10hipError_tPvRmT3_T4_T5_T6_T7_T9_mT8_P12ihipStream_tbDpT10_ENKUlT_T0_E_clISt17integral_constantIbLb1EES1A_EEDaS15_S16_EUlS15_E_NS1_11comp_targetILNS1_3genE0ELNS1_11target_archE4294967295ELNS1_3gpuE0ELNS1_3repE0EEENS1_30default_config_static_selectorELNS0_4arch9wavefront6targetE1EEEvT1_ ; -- Begin function _ZN7rocprim17ROCPRIM_400000_NS6detail17trampoline_kernelINS0_14default_configENS1_25partition_config_selectorILNS1_17partition_subalgoE9EllbEEZZNS1_14partition_implILS5_9ELb0ES3_jPlS8_PNS0_10empty_typeENS0_5tupleIJS8_S9_EEENSB_IJS8_SA_EEENS0_18inequality_wrapperIZN2at6native12_GLOBAL__N_124unique_dim_cuda_templateItEESt5tupleIJNSF_6TensorESK_SK_EERKSK_lbbbEUlllE0_EEPmJS9_EEE10hipError_tPvRmT3_T4_T5_T6_T7_T9_mT8_P12ihipStream_tbDpT10_ENKUlT_T0_E_clISt17integral_constantIbLb1EES1A_EEDaS15_S16_EUlS15_E_NS1_11comp_targetILNS1_3genE0ELNS1_11target_archE4294967295ELNS1_3gpuE0ELNS1_3repE0EEENS1_30default_config_static_selectorELNS0_4arch9wavefront6targetE1EEEvT1_
	.p2align	8
	.type	_ZN7rocprim17ROCPRIM_400000_NS6detail17trampoline_kernelINS0_14default_configENS1_25partition_config_selectorILNS1_17partition_subalgoE9EllbEEZZNS1_14partition_implILS5_9ELb0ES3_jPlS8_PNS0_10empty_typeENS0_5tupleIJS8_S9_EEENSB_IJS8_SA_EEENS0_18inequality_wrapperIZN2at6native12_GLOBAL__N_124unique_dim_cuda_templateItEESt5tupleIJNSF_6TensorESK_SK_EERKSK_lbbbEUlllE0_EEPmJS9_EEE10hipError_tPvRmT3_T4_T5_T6_T7_T9_mT8_P12ihipStream_tbDpT10_ENKUlT_T0_E_clISt17integral_constantIbLb1EES1A_EEDaS15_S16_EUlS15_E_NS1_11comp_targetILNS1_3genE0ELNS1_11target_archE4294967295ELNS1_3gpuE0ELNS1_3repE0EEENS1_30default_config_static_selectorELNS0_4arch9wavefront6targetE1EEEvT1_,@function
_ZN7rocprim17ROCPRIM_400000_NS6detail17trampoline_kernelINS0_14default_configENS1_25partition_config_selectorILNS1_17partition_subalgoE9EllbEEZZNS1_14partition_implILS5_9ELb0ES3_jPlS8_PNS0_10empty_typeENS0_5tupleIJS8_S9_EEENSB_IJS8_SA_EEENS0_18inequality_wrapperIZN2at6native12_GLOBAL__N_124unique_dim_cuda_templateItEESt5tupleIJNSF_6TensorESK_SK_EERKSK_lbbbEUlllE0_EEPmJS9_EEE10hipError_tPvRmT3_T4_T5_T6_T7_T9_mT8_P12ihipStream_tbDpT10_ENKUlT_T0_E_clISt17integral_constantIbLb1EES1A_EEDaS15_S16_EUlS15_E_NS1_11comp_targetILNS1_3genE0ELNS1_11target_archE4294967295ELNS1_3gpuE0ELNS1_3repE0EEENS1_30default_config_static_selectorELNS0_4arch9wavefront6targetE1EEEvT1_: ; @_ZN7rocprim17ROCPRIM_400000_NS6detail17trampoline_kernelINS0_14default_configENS1_25partition_config_selectorILNS1_17partition_subalgoE9EllbEEZZNS1_14partition_implILS5_9ELb0ES3_jPlS8_PNS0_10empty_typeENS0_5tupleIJS8_S9_EEENSB_IJS8_SA_EEENS0_18inequality_wrapperIZN2at6native12_GLOBAL__N_124unique_dim_cuda_templateItEESt5tupleIJNSF_6TensorESK_SK_EERKSK_lbbbEUlllE0_EEPmJS9_EEE10hipError_tPvRmT3_T4_T5_T6_T7_T9_mT8_P12ihipStream_tbDpT10_ENKUlT_T0_E_clISt17integral_constantIbLb1EES1A_EEDaS15_S16_EUlS15_E_NS1_11comp_targetILNS1_3genE0ELNS1_11target_archE4294967295ELNS1_3gpuE0ELNS1_3repE0EEENS1_30default_config_static_selectorELNS0_4arch9wavefront6targetE1EEEvT1_
; %bb.0:
	.section	.rodata,"a",@progbits
	.p2align	6, 0x0
	.amdhsa_kernel _ZN7rocprim17ROCPRIM_400000_NS6detail17trampoline_kernelINS0_14default_configENS1_25partition_config_selectorILNS1_17partition_subalgoE9EllbEEZZNS1_14partition_implILS5_9ELb0ES3_jPlS8_PNS0_10empty_typeENS0_5tupleIJS8_S9_EEENSB_IJS8_SA_EEENS0_18inequality_wrapperIZN2at6native12_GLOBAL__N_124unique_dim_cuda_templateItEESt5tupleIJNSF_6TensorESK_SK_EERKSK_lbbbEUlllE0_EEPmJS9_EEE10hipError_tPvRmT3_T4_T5_T6_T7_T9_mT8_P12ihipStream_tbDpT10_ENKUlT_T0_E_clISt17integral_constantIbLb1EES1A_EEDaS15_S16_EUlS15_E_NS1_11comp_targetILNS1_3genE0ELNS1_11target_archE4294967295ELNS1_3gpuE0ELNS1_3repE0EEENS1_30default_config_static_selectorELNS0_4arch9wavefront6targetE1EEEvT1_
		.amdhsa_group_segment_fixed_size 0
		.amdhsa_private_segment_fixed_size 0
		.amdhsa_kernarg_size 136
		.amdhsa_user_sgpr_count 6
		.amdhsa_user_sgpr_private_segment_buffer 1
		.amdhsa_user_sgpr_dispatch_ptr 0
		.amdhsa_user_sgpr_queue_ptr 0
		.amdhsa_user_sgpr_kernarg_segment_ptr 1
		.amdhsa_user_sgpr_dispatch_id 0
		.amdhsa_user_sgpr_flat_scratch_init 0
		.amdhsa_user_sgpr_kernarg_preload_length 0
		.amdhsa_user_sgpr_kernarg_preload_offset 0
		.amdhsa_user_sgpr_private_segment_size 0
		.amdhsa_uses_dynamic_stack 0
		.amdhsa_system_sgpr_private_segment_wavefront_offset 0
		.amdhsa_system_sgpr_workgroup_id_x 1
		.amdhsa_system_sgpr_workgroup_id_y 0
		.amdhsa_system_sgpr_workgroup_id_z 0
		.amdhsa_system_sgpr_workgroup_info 0
		.amdhsa_system_vgpr_workitem_id 0
		.amdhsa_next_free_vgpr 1
		.amdhsa_next_free_sgpr 0
		.amdhsa_accum_offset 4
		.amdhsa_reserve_vcc 0
		.amdhsa_reserve_flat_scratch 0
		.amdhsa_float_round_mode_32 0
		.amdhsa_float_round_mode_16_64 0
		.amdhsa_float_denorm_mode_32 3
		.amdhsa_float_denorm_mode_16_64 3
		.amdhsa_dx10_clamp 1
		.amdhsa_ieee_mode 1
		.amdhsa_fp16_overflow 0
		.amdhsa_tg_split 0
		.amdhsa_exception_fp_ieee_invalid_op 0
		.amdhsa_exception_fp_denorm_src 0
		.amdhsa_exception_fp_ieee_div_zero 0
		.amdhsa_exception_fp_ieee_overflow 0
		.amdhsa_exception_fp_ieee_underflow 0
		.amdhsa_exception_fp_ieee_inexact 0
		.amdhsa_exception_int_div_zero 0
	.end_amdhsa_kernel
	.section	.text._ZN7rocprim17ROCPRIM_400000_NS6detail17trampoline_kernelINS0_14default_configENS1_25partition_config_selectorILNS1_17partition_subalgoE9EllbEEZZNS1_14partition_implILS5_9ELb0ES3_jPlS8_PNS0_10empty_typeENS0_5tupleIJS8_S9_EEENSB_IJS8_SA_EEENS0_18inequality_wrapperIZN2at6native12_GLOBAL__N_124unique_dim_cuda_templateItEESt5tupleIJNSF_6TensorESK_SK_EERKSK_lbbbEUlllE0_EEPmJS9_EEE10hipError_tPvRmT3_T4_T5_T6_T7_T9_mT8_P12ihipStream_tbDpT10_ENKUlT_T0_E_clISt17integral_constantIbLb1EES1A_EEDaS15_S16_EUlS15_E_NS1_11comp_targetILNS1_3genE0ELNS1_11target_archE4294967295ELNS1_3gpuE0ELNS1_3repE0EEENS1_30default_config_static_selectorELNS0_4arch9wavefront6targetE1EEEvT1_,"axG",@progbits,_ZN7rocprim17ROCPRIM_400000_NS6detail17trampoline_kernelINS0_14default_configENS1_25partition_config_selectorILNS1_17partition_subalgoE9EllbEEZZNS1_14partition_implILS5_9ELb0ES3_jPlS8_PNS0_10empty_typeENS0_5tupleIJS8_S9_EEENSB_IJS8_SA_EEENS0_18inequality_wrapperIZN2at6native12_GLOBAL__N_124unique_dim_cuda_templateItEESt5tupleIJNSF_6TensorESK_SK_EERKSK_lbbbEUlllE0_EEPmJS9_EEE10hipError_tPvRmT3_T4_T5_T6_T7_T9_mT8_P12ihipStream_tbDpT10_ENKUlT_T0_E_clISt17integral_constantIbLb1EES1A_EEDaS15_S16_EUlS15_E_NS1_11comp_targetILNS1_3genE0ELNS1_11target_archE4294967295ELNS1_3gpuE0ELNS1_3repE0EEENS1_30default_config_static_selectorELNS0_4arch9wavefront6targetE1EEEvT1_,comdat
.Lfunc_end1457:
	.size	_ZN7rocprim17ROCPRIM_400000_NS6detail17trampoline_kernelINS0_14default_configENS1_25partition_config_selectorILNS1_17partition_subalgoE9EllbEEZZNS1_14partition_implILS5_9ELb0ES3_jPlS8_PNS0_10empty_typeENS0_5tupleIJS8_S9_EEENSB_IJS8_SA_EEENS0_18inequality_wrapperIZN2at6native12_GLOBAL__N_124unique_dim_cuda_templateItEESt5tupleIJNSF_6TensorESK_SK_EERKSK_lbbbEUlllE0_EEPmJS9_EEE10hipError_tPvRmT3_T4_T5_T6_T7_T9_mT8_P12ihipStream_tbDpT10_ENKUlT_T0_E_clISt17integral_constantIbLb1EES1A_EEDaS15_S16_EUlS15_E_NS1_11comp_targetILNS1_3genE0ELNS1_11target_archE4294967295ELNS1_3gpuE0ELNS1_3repE0EEENS1_30default_config_static_selectorELNS0_4arch9wavefront6targetE1EEEvT1_, .Lfunc_end1457-_ZN7rocprim17ROCPRIM_400000_NS6detail17trampoline_kernelINS0_14default_configENS1_25partition_config_selectorILNS1_17partition_subalgoE9EllbEEZZNS1_14partition_implILS5_9ELb0ES3_jPlS8_PNS0_10empty_typeENS0_5tupleIJS8_S9_EEENSB_IJS8_SA_EEENS0_18inequality_wrapperIZN2at6native12_GLOBAL__N_124unique_dim_cuda_templateItEESt5tupleIJNSF_6TensorESK_SK_EERKSK_lbbbEUlllE0_EEPmJS9_EEE10hipError_tPvRmT3_T4_T5_T6_T7_T9_mT8_P12ihipStream_tbDpT10_ENKUlT_T0_E_clISt17integral_constantIbLb1EES1A_EEDaS15_S16_EUlS15_E_NS1_11comp_targetILNS1_3genE0ELNS1_11target_archE4294967295ELNS1_3gpuE0ELNS1_3repE0EEENS1_30default_config_static_selectorELNS0_4arch9wavefront6targetE1EEEvT1_
                                        ; -- End function
	.section	.AMDGPU.csdata,"",@progbits
; Kernel info:
; codeLenInByte = 0
; NumSgprs: 4
; NumVgprs: 0
; NumAgprs: 0
; TotalNumVgprs: 0
; ScratchSize: 0
; MemoryBound: 0
; FloatMode: 240
; IeeeMode: 1
; LDSByteSize: 0 bytes/workgroup (compile time only)
; SGPRBlocks: 0
; VGPRBlocks: 0
; NumSGPRsForWavesPerEU: 4
; NumVGPRsForWavesPerEU: 1
; AccumOffset: 4
; Occupancy: 8
; WaveLimiterHint : 0
; COMPUTE_PGM_RSRC2:SCRATCH_EN: 0
; COMPUTE_PGM_RSRC2:USER_SGPR: 6
; COMPUTE_PGM_RSRC2:TRAP_HANDLER: 0
; COMPUTE_PGM_RSRC2:TGID_X_EN: 1
; COMPUTE_PGM_RSRC2:TGID_Y_EN: 0
; COMPUTE_PGM_RSRC2:TGID_Z_EN: 0
; COMPUTE_PGM_RSRC2:TIDIG_COMP_CNT: 0
; COMPUTE_PGM_RSRC3_GFX90A:ACCUM_OFFSET: 0
; COMPUTE_PGM_RSRC3_GFX90A:TG_SPLIT: 0
	.section	.text._ZN7rocprim17ROCPRIM_400000_NS6detail17trampoline_kernelINS0_14default_configENS1_25partition_config_selectorILNS1_17partition_subalgoE9EllbEEZZNS1_14partition_implILS5_9ELb0ES3_jPlS8_PNS0_10empty_typeENS0_5tupleIJS8_S9_EEENSB_IJS8_SA_EEENS0_18inequality_wrapperIZN2at6native12_GLOBAL__N_124unique_dim_cuda_templateItEESt5tupleIJNSF_6TensorESK_SK_EERKSK_lbbbEUlllE0_EEPmJS9_EEE10hipError_tPvRmT3_T4_T5_T6_T7_T9_mT8_P12ihipStream_tbDpT10_ENKUlT_T0_E_clISt17integral_constantIbLb1EES1A_EEDaS15_S16_EUlS15_E_NS1_11comp_targetILNS1_3genE5ELNS1_11target_archE942ELNS1_3gpuE9ELNS1_3repE0EEENS1_30default_config_static_selectorELNS0_4arch9wavefront6targetE1EEEvT1_,"axG",@progbits,_ZN7rocprim17ROCPRIM_400000_NS6detail17trampoline_kernelINS0_14default_configENS1_25partition_config_selectorILNS1_17partition_subalgoE9EllbEEZZNS1_14partition_implILS5_9ELb0ES3_jPlS8_PNS0_10empty_typeENS0_5tupleIJS8_S9_EEENSB_IJS8_SA_EEENS0_18inequality_wrapperIZN2at6native12_GLOBAL__N_124unique_dim_cuda_templateItEESt5tupleIJNSF_6TensorESK_SK_EERKSK_lbbbEUlllE0_EEPmJS9_EEE10hipError_tPvRmT3_T4_T5_T6_T7_T9_mT8_P12ihipStream_tbDpT10_ENKUlT_T0_E_clISt17integral_constantIbLb1EES1A_EEDaS15_S16_EUlS15_E_NS1_11comp_targetILNS1_3genE5ELNS1_11target_archE942ELNS1_3gpuE9ELNS1_3repE0EEENS1_30default_config_static_selectorELNS0_4arch9wavefront6targetE1EEEvT1_,comdat
	.globl	_ZN7rocprim17ROCPRIM_400000_NS6detail17trampoline_kernelINS0_14default_configENS1_25partition_config_selectorILNS1_17partition_subalgoE9EllbEEZZNS1_14partition_implILS5_9ELb0ES3_jPlS8_PNS0_10empty_typeENS0_5tupleIJS8_S9_EEENSB_IJS8_SA_EEENS0_18inequality_wrapperIZN2at6native12_GLOBAL__N_124unique_dim_cuda_templateItEESt5tupleIJNSF_6TensorESK_SK_EERKSK_lbbbEUlllE0_EEPmJS9_EEE10hipError_tPvRmT3_T4_T5_T6_T7_T9_mT8_P12ihipStream_tbDpT10_ENKUlT_T0_E_clISt17integral_constantIbLb1EES1A_EEDaS15_S16_EUlS15_E_NS1_11comp_targetILNS1_3genE5ELNS1_11target_archE942ELNS1_3gpuE9ELNS1_3repE0EEENS1_30default_config_static_selectorELNS0_4arch9wavefront6targetE1EEEvT1_ ; -- Begin function _ZN7rocprim17ROCPRIM_400000_NS6detail17trampoline_kernelINS0_14default_configENS1_25partition_config_selectorILNS1_17partition_subalgoE9EllbEEZZNS1_14partition_implILS5_9ELb0ES3_jPlS8_PNS0_10empty_typeENS0_5tupleIJS8_S9_EEENSB_IJS8_SA_EEENS0_18inequality_wrapperIZN2at6native12_GLOBAL__N_124unique_dim_cuda_templateItEESt5tupleIJNSF_6TensorESK_SK_EERKSK_lbbbEUlllE0_EEPmJS9_EEE10hipError_tPvRmT3_T4_T5_T6_T7_T9_mT8_P12ihipStream_tbDpT10_ENKUlT_T0_E_clISt17integral_constantIbLb1EES1A_EEDaS15_S16_EUlS15_E_NS1_11comp_targetILNS1_3genE5ELNS1_11target_archE942ELNS1_3gpuE9ELNS1_3repE0EEENS1_30default_config_static_selectorELNS0_4arch9wavefront6targetE1EEEvT1_
	.p2align	8
	.type	_ZN7rocprim17ROCPRIM_400000_NS6detail17trampoline_kernelINS0_14default_configENS1_25partition_config_selectorILNS1_17partition_subalgoE9EllbEEZZNS1_14partition_implILS5_9ELb0ES3_jPlS8_PNS0_10empty_typeENS0_5tupleIJS8_S9_EEENSB_IJS8_SA_EEENS0_18inequality_wrapperIZN2at6native12_GLOBAL__N_124unique_dim_cuda_templateItEESt5tupleIJNSF_6TensorESK_SK_EERKSK_lbbbEUlllE0_EEPmJS9_EEE10hipError_tPvRmT3_T4_T5_T6_T7_T9_mT8_P12ihipStream_tbDpT10_ENKUlT_T0_E_clISt17integral_constantIbLb1EES1A_EEDaS15_S16_EUlS15_E_NS1_11comp_targetILNS1_3genE5ELNS1_11target_archE942ELNS1_3gpuE9ELNS1_3repE0EEENS1_30default_config_static_selectorELNS0_4arch9wavefront6targetE1EEEvT1_,@function
_ZN7rocprim17ROCPRIM_400000_NS6detail17trampoline_kernelINS0_14default_configENS1_25partition_config_selectorILNS1_17partition_subalgoE9EllbEEZZNS1_14partition_implILS5_9ELb0ES3_jPlS8_PNS0_10empty_typeENS0_5tupleIJS8_S9_EEENSB_IJS8_SA_EEENS0_18inequality_wrapperIZN2at6native12_GLOBAL__N_124unique_dim_cuda_templateItEESt5tupleIJNSF_6TensorESK_SK_EERKSK_lbbbEUlllE0_EEPmJS9_EEE10hipError_tPvRmT3_T4_T5_T6_T7_T9_mT8_P12ihipStream_tbDpT10_ENKUlT_T0_E_clISt17integral_constantIbLb1EES1A_EEDaS15_S16_EUlS15_E_NS1_11comp_targetILNS1_3genE5ELNS1_11target_archE942ELNS1_3gpuE9ELNS1_3repE0EEENS1_30default_config_static_selectorELNS0_4arch9wavefront6targetE1EEEvT1_: ; @_ZN7rocprim17ROCPRIM_400000_NS6detail17trampoline_kernelINS0_14default_configENS1_25partition_config_selectorILNS1_17partition_subalgoE9EllbEEZZNS1_14partition_implILS5_9ELb0ES3_jPlS8_PNS0_10empty_typeENS0_5tupleIJS8_S9_EEENSB_IJS8_SA_EEENS0_18inequality_wrapperIZN2at6native12_GLOBAL__N_124unique_dim_cuda_templateItEESt5tupleIJNSF_6TensorESK_SK_EERKSK_lbbbEUlllE0_EEPmJS9_EEE10hipError_tPvRmT3_T4_T5_T6_T7_T9_mT8_P12ihipStream_tbDpT10_ENKUlT_T0_E_clISt17integral_constantIbLb1EES1A_EEDaS15_S16_EUlS15_E_NS1_11comp_targetILNS1_3genE5ELNS1_11target_archE942ELNS1_3gpuE9ELNS1_3repE0EEENS1_30default_config_static_selectorELNS0_4arch9wavefront6targetE1EEEvT1_
; %bb.0:
	.section	.rodata,"a",@progbits
	.p2align	6, 0x0
	.amdhsa_kernel _ZN7rocprim17ROCPRIM_400000_NS6detail17trampoline_kernelINS0_14default_configENS1_25partition_config_selectorILNS1_17partition_subalgoE9EllbEEZZNS1_14partition_implILS5_9ELb0ES3_jPlS8_PNS0_10empty_typeENS0_5tupleIJS8_S9_EEENSB_IJS8_SA_EEENS0_18inequality_wrapperIZN2at6native12_GLOBAL__N_124unique_dim_cuda_templateItEESt5tupleIJNSF_6TensorESK_SK_EERKSK_lbbbEUlllE0_EEPmJS9_EEE10hipError_tPvRmT3_T4_T5_T6_T7_T9_mT8_P12ihipStream_tbDpT10_ENKUlT_T0_E_clISt17integral_constantIbLb1EES1A_EEDaS15_S16_EUlS15_E_NS1_11comp_targetILNS1_3genE5ELNS1_11target_archE942ELNS1_3gpuE9ELNS1_3repE0EEENS1_30default_config_static_selectorELNS0_4arch9wavefront6targetE1EEEvT1_
		.amdhsa_group_segment_fixed_size 0
		.amdhsa_private_segment_fixed_size 0
		.amdhsa_kernarg_size 136
		.amdhsa_user_sgpr_count 6
		.amdhsa_user_sgpr_private_segment_buffer 1
		.amdhsa_user_sgpr_dispatch_ptr 0
		.amdhsa_user_sgpr_queue_ptr 0
		.amdhsa_user_sgpr_kernarg_segment_ptr 1
		.amdhsa_user_sgpr_dispatch_id 0
		.amdhsa_user_sgpr_flat_scratch_init 0
		.amdhsa_user_sgpr_kernarg_preload_length 0
		.amdhsa_user_sgpr_kernarg_preload_offset 0
		.amdhsa_user_sgpr_private_segment_size 0
		.amdhsa_uses_dynamic_stack 0
		.amdhsa_system_sgpr_private_segment_wavefront_offset 0
		.amdhsa_system_sgpr_workgroup_id_x 1
		.amdhsa_system_sgpr_workgroup_id_y 0
		.amdhsa_system_sgpr_workgroup_id_z 0
		.amdhsa_system_sgpr_workgroup_info 0
		.amdhsa_system_vgpr_workitem_id 0
		.amdhsa_next_free_vgpr 1
		.amdhsa_next_free_sgpr 0
		.amdhsa_accum_offset 4
		.amdhsa_reserve_vcc 0
		.amdhsa_reserve_flat_scratch 0
		.amdhsa_float_round_mode_32 0
		.amdhsa_float_round_mode_16_64 0
		.amdhsa_float_denorm_mode_32 3
		.amdhsa_float_denorm_mode_16_64 3
		.amdhsa_dx10_clamp 1
		.amdhsa_ieee_mode 1
		.amdhsa_fp16_overflow 0
		.amdhsa_tg_split 0
		.amdhsa_exception_fp_ieee_invalid_op 0
		.amdhsa_exception_fp_denorm_src 0
		.amdhsa_exception_fp_ieee_div_zero 0
		.amdhsa_exception_fp_ieee_overflow 0
		.amdhsa_exception_fp_ieee_underflow 0
		.amdhsa_exception_fp_ieee_inexact 0
		.amdhsa_exception_int_div_zero 0
	.end_amdhsa_kernel
	.section	.text._ZN7rocprim17ROCPRIM_400000_NS6detail17trampoline_kernelINS0_14default_configENS1_25partition_config_selectorILNS1_17partition_subalgoE9EllbEEZZNS1_14partition_implILS5_9ELb0ES3_jPlS8_PNS0_10empty_typeENS0_5tupleIJS8_S9_EEENSB_IJS8_SA_EEENS0_18inequality_wrapperIZN2at6native12_GLOBAL__N_124unique_dim_cuda_templateItEESt5tupleIJNSF_6TensorESK_SK_EERKSK_lbbbEUlllE0_EEPmJS9_EEE10hipError_tPvRmT3_T4_T5_T6_T7_T9_mT8_P12ihipStream_tbDpT10_ENKUlT_T0_E_clISt17integral_constantIbLb1EES1A_EEDaS15_S16_EUlS15_E_NS1_11comp_targetILNS1_3genE5ELNS1_11target_archE942ELNS1_3gpuE9ELNS1_3repE0EEENS1_30default_config_static_selectorELNS0_4arch9wavefront6targetE1EEEvT1_,"axG",@progbits,_ZN7rocprim17ROCPRIM_400000_NS6detail17trampoline_kernelINS0_14default_configENS1_25partition_config_selectorILNS1_17partition_subalgoE9EllbEEZZNS1_14partition_implILS5_9ELb0ES3_jPlS8_PNS0_10empty_typeENS0_5tupleIJS8_S9_EEENSB_IJS8_SA_EEENS0_18inequality_wrapperIZN2at6native12_GLOBAL__N_124unique_dim_cuda_templateItEESt5tupleIJNSF_6TensorESK_SK_EERKSK_lbbbEUlllE0_EEPmJS9_EEE10hipError_tPvRmT3_T4_T5_T6_T7_T9_mT8_P12ihipStream_tbDpT10_ENKUlT_T0_E_clISt17integral_constantIbLb1EES1A_EEDaS15_S16_EUlS15_E_NS1_11comp_targetILNS1_3genE5ELNS1_11target_archE942ELNS1_3gpuE9ELNS1_3repE0EEENS1_30default_config_static_selectorELNS0_4arch9wavefront6targetE1EEEvT1_,comdat
.Lfunc_end1458:
	.size	_ZN7rocprim17ROCPRIM_400000_NS6detail17trampoline_kernelINS0_14default_configENS1_25partition_config_selectorILNS1_17partition_subalgoE9EllbEEZZNS1_14partition_implILS5_9ELb0ES3_jPlS8_PNS0_10empty_typeENS0_5tupleIJS8_S9_EEENSB_IJS8_SA_EEENS0_18inequality_wrapperIZN2at6native12_GLOBAL__N_124unique_dim_cuda_templateItEESt5tupleIJNSF_6TensorESK_SK_EERKSK_lbbbEUlllE0_EEPmJS9_EEE10hipError_tPvRmT3_T4_T5_T6_T7_T9_mT8_P12ihipStream_tbDpT10_ENKUlT_T0_E_clISt17integral_constantIbLb1EES1A_EEDaS15_S16_EUlS15_E_NS1_11comp_targetILNS1_3genE5ELNS1_11target_archE942ELNS1_3gpuE9ELNS1_3repE0EEENS1_30default_config_static_selectorELNS0_4arch9wavefront6targetE1EEEvT1_, .Lfunc_end1458-_ZN7rocprim17ROCPRIM_400000_NS6detail17trampoline_kernelINS0_14default_configENS1_25partition_config_selectorILNS1_17partition_subalgoE9EllbEEZZNS1_14partition_implILS5_9ELb0ES3_jPlS8_PNS0_10empty_typeENS0_5tupleIJS8_S9_EEENSB_IJS8_SA_EEENS0_18inequality_wrapperIZN2at6native12_GLOBAL__N_124unique_dim_cuda_templateItEESt5tupleIJNSF_6TensorESK_SK_EERKSK_lbbbEUlllE0_EEPmJS9_EEE10hipError_tPvRmT3_T4_T5_T6_T7_T9_mT8_P12ihipStream_tbDpT10_ENKUlT_T0_E_clISt17integral_constantIbLb1EES1A_EEDaS15_S16_EUlS15_E_NS1_11comp_targetILNS1_3genE5ELNS1_11target_archE942ELNS1_3gpuE9ELNS1_3repE0EEENS1_30default_config_static_selectorELNS0_4arch9wavefront6targetE1EEEvT1_
                                        ; -- End function
	.section	.AMDGPU.csdata,"",@progbits
; Kernel info:
; codeLenInByte = 0
; NumSgprs: 4
; NumVgprs: 0
; NumAgprs: 0
; TotalNumVgprs: 0
; ScratchSize: 0
; MemoryBound: 0
; FloatMode: 240
; IeeeMode: 1
; LDSByteSize: 0 bytes/workgroup (compile time only)
; SGPRBlocks: 0
; VGPRBlocks: 0
; NumSGPRsForWavesPerEU: 4
; NumVGPRsForWavesPerEU: 1
; AccumOffset: 4
; Occupancy: 8
; WaveLimiterHint : 0
; COMPUTE_PGM_RSRC2:SCRATCH_EN: 0
; COMPUTE_PGM_RSRC2:USER_SGPR: 6
; COMPUTE_PGM_RSRC2:TRAP_HANDLER: 0
; COMPUTE_PGM_RSRC2:TGID_X_EN: 1
; COMPUTE_PGM_RSRC2:TGID_Y_EN: 0
; COMPUTE_PGM_RSRC2:TGID_Z_EN: 0
; COMPUTE_PGM_RSRC2:TIDIG_COMP_CNT: 0
; COMPUTE_PGM_RSRC3_GFX90A:ACCUM_OFFSET: 0
; COMPUTE_PGM_RSRC3_GFX90A:TG_SPLIT: 0
	.section	.text._ZN7rocprim17ROCPRIM_400000_NS6detail17trampoline_kernelINS0_14default_configENS1_25partition_config_selectorILNS1_17partition_subalgoE9EllbEEZZNS1_14partition_implILS5_9ELb0ES3_jPlS8_PNS0_10empty_typeENS0_5tupleIJS8_S9_EEENSB_IJS8_SA_EEENS0_18inequality_wrapperIZN2at6native12_GLOBAL__N_124unique_dim_cuda_templateItEESt5tupleIJNSF_6TensorESK_SK_EERKSK_lbbbEUlllE0_EEPmJS9_EEE10hipError_tPvRmT3_T4_T5_T6_T7_T9_mT8_P12ihipStream_tbDpT10_ENKUlT_T0_E_clISt17integral_constantIbLb1EES1A_EEDaS15_S16_EUlS15_E_NS1_11comp_targetILNS1_3genE4ELNS1_11target_archE910ELNS1_3gpuE8ELNS1_3repE0EEENS1_30default_config_static_selectorELNS0_4arch9wavefront6targetE1EEEvT1_,"axG",@progbits,_ZN7rocprim17ROCPRIM_400000_NS6detail17trampoline_kernelINS0_14default_configENS1_25partition_config_selectorILNS1_17partition_subalgoE9EllbEEZZNS1_14partition_implILS5_9ELb0ES3_jPlS8_PNS0_10empty_typeENS0_5tupleIJS8_S9_EEENSB_IJS8_SA_EEENS0_18inequality_wrapperIZN2at6native12_GLOBAL__N_124unique_dim_cuda_templateItEESt5tupleIJNSF_6TensorESK_SK_EERKSK_lbbbEUlllE0_EEPmJS9_EEE10hipError_tPvRmT3_T4_T5_T6_T7_T9_mT8_P12ihipStream_tbDpT10_ENKUlT_T0_E_clISt17integral_constantIbLb1EES1A_EEDaS15_S16_EUlS15_E_NS1_11comp_targetILNS1_3genE4ELNS1_11target_archE910ELNS1_3gpuE8ELNS1_3repE0EEENS1_30default_config_static_selectorELNS0_4arch9wavefront6targetE1EEEvT1_,comdat
	.globl	_ZN7rocprim17ROCPRIM_400000_NS6detail17trampoline_kernelINS0_14default_configENS1_25partition_config_selectorILNS1_17partition_subalgoE9EllbEEZZNS1_14partition_implILS5_9ELb0ES3_jPlS8_PNS0_10empty_typeENS0_5tupleIJS8_S9_EEENSB_IJS8_SA_EEENS0_18inequality_wrapperIZN2at6native12_GLOBAL__N_124unique_dim_cuda_templateItEESt5tupleIJNSF_6TensorESK_SK_EERKSK_lbbbEUlllE0_EEPmJS9_EEE10hipError_tPvRmT3_T4_T5_T6_T7_T9_mT8_P12ihipStream_tbDpT10_ENKUlT_T0_E_clISt17integral_constantIbLb1EES1A_EEDaS15_S16_EUlS15_E_NS1_11comp_targetILNS1_3genE4ELNS1_11target_archE910ELNS1_3gpuE8ELNS1_3repE0EEENS1_30default_config_static_selectorELNS0_4arch9wavefront6targetE1EEEvT1_ ; -- Begin function _ZN7rocprim17ROCPRIM_400000_NS6detail17trampoline_kernelINS0_14default_configENS1_25partition_config_selectorILNS1_17partition_subalgoE9EllbEEZZNS1_14partition_implILS5_9ELb0ES3_jPlS8_PNS0_10empty_typeENS0_5tupleIJS8_S9_EEENSB_IJS8_SA_EEENS0_18inequality_wrapperIZN2at6native12_GLOBAL__N_124unique_dim_cuda_templateItEESt5tupleIJNSF_6TensorESK_SK_EERKSK_lbbbEUlllE0_EEPmJS9_EEE10hipError_tPvRmT3_T4_T5_T6_T7_T9_mT8_P12ihipStream_tbDpT10_ENKUlT_T0_E_clISt17integral_constantIbLb1EES1A_EEDaS15_S16_EUlS15_E_NS1_11comp_targetILNS1_3genE4ELNS1_11target_archE910ELNS1_3gpuE8ELNS1_3repE0EEENS1_30default_config_static_selectorELNS0_4arch9wavefront6targetE1EEEvT1_
	.p2align	8
	.type	_ZN7rocprim17ROCPRIM_400000_NS6detail17trampoline_kernelINS0_14default_configENS1_25partition_config_selectorILNS1_17partition_subalgoE9EllbEEZZNS1_14partition_implILS5_9ELb0ES3_jPlS8_PNS0_10empty_typeENS0_5tupleIJS8_S9_EEENSB_IJS8_SA_EEENS0_18inequality_wrapperIZN2at6native12_GLOBAL__N_124unique_dim_cuda_templateItEESt5tupleIJNSF_6TensorESK_SK_EERKSK_lbbbEUlllE0_EEPmJS9_EEE10hipError_tPvRmT3_T4_T5_T6_T7_T9_mT8_P12ihipStream_tbDpT10_ENKUlT_T0_E_clISt17integral_constantIbLb1EES1A_EEDaS15_S16_EUlS15_E_NS1_11comp_targetILNS1_3genE4ELNS1_11target_archE910ELNS1_3gpuE8ELNS1_3repE0EEENS1_30default_config_static_selectorELNS0_4arch9wavefront6targetE1EEEvT1_,@function
_ZN7rocprim17ROCPRIM_400000_NS6detail17trampoline_kernelINS0_14default_configENS1_25partition_config_selectorILNS1_17partition_subalgoE9EllbEEZZNS1_14partition_implILS5_9ELb0ES3_jPlS8_PNS0_10empty_typeENS0_5tupleIJS8_S9_EEENSB_IJS8_SA_EEENS0_18inequality_wrapperIZN2at6native12_GLOBAL__N_124unique_dim_cuda_templateItEESt5tupleIJNSF_6TensorESK_SK_EERKSK_lbbbEUlllE0_EEPmJS9_EEE10hipError_tPvRmT3_T4_T5_T6_T7_T9_mT8_P12ihipStream_tbDpT10_ENKUlT_T0_E_clISt17integral_constantIbLb1EES1A_EEDaS15_S16_EUlS15_E_NS1_11comp_targetILNS1_3genE4ELNS1_11target_archE910ELNS1_3gpuE8ELNS1_3repE0EEENS1_30default_config_static_selectorELNS0_4arch9wavefront6targetE1EEEvT1_: ; @_ZN7rocprim17ROCPRIM_400000_NS6detail17trampoline_kernelINS0_14default_configENS1_25partition_config_selectorILNS1_17partition_subalgoE9EllbEEZZNS1_14partition_implILS5_9ELb0ES3_jPlS8_PNS0_10empty_typeENS0_5tupleIJS8_S9_EEENSB_IJS8_SA_EEENS0_18inequality_wrapperIZN2at6native12_GLOBAL__N_124unique_dim_cuda_templateItEESt5tupleIJNSF_6TensorESK_SK_EERKSK_lbbbEUlllE0_EEPmJS9_EEE10hipError_tPvRmT3_T4_T5_T6_T7_T9_mT8_P12ihipStream_tbDpT10_ENKUlT_T0_E_clISt17integral_constantIbLb1EES1A_EEDaS15_S16_EUlS15_E_NS1_11comp_targetILNS1_3genE4ELNS1_11target_archE910ELNS1_3gpuE8ELNS1_3repE0EEENS1_30default_config_static_selectorELNS0_4arch9wavefront6targetE1EEEvT1_
; %bb.0:
	s_load_dwordx4 s[8:11], s[4:5], 0x8
	s_load_dwordx2 s[14:15], s[4:5], 0x18
	s_load_dwordx8 s[20:27], s[4:5], 0x40
	s_load_dwordx4 s[16:19], s[4:5], 0x60
	v_cmp_ne_u32_e64 s[2:3], 0, v0
	v_cmp_eq_u32_e64 s[0:1], 0, v0
	s_and_saveexec_b64 s[6:7], s[0:1]
	s_cbranch_execz .LBB1459_4
; %bb.1:
	s_mov_b64 s[28:29], exec
	v_mbcnt_lo_u32_b32 v1, s28, 0
	v_mbcnt_hi_u32_b32 v1, s29, v1
	v_cmp_eq_u32_e32 vcc, 0, v1
                                        ; implicit-def: $vgpr2
	s_and_saveexec_b64 s[12:13], vcc
	s_cbranch_execz .LBB1459_3
; %bb.2:
	s_load_dwordx2 s[30:31], s[4:5], 0x78
	s_bcnt1_i32_b64 s28, s[28:29]
	v_mov_b32_e32 v2, 0
	v_mov_b32_e32 v3, s28
	s_waitcnt lgkmcnt(0)
	global_atomic_add v2, v2, v3, s[30:31] glc
.LBB1459_3:
	s_or_b64 exec, exec, s[12:13]
	s_waitcnt vmcnt(0)
	v_readfirstlane_b32 s12, v2
	v_add_u32_e32 v1, s12, v1
	v_mov_b32_e32 v2, 0
	ds_write_b32 v2, v1
.LBB1459_4:
	s_or_b64 exec, exec, s[6:7]
	v_mov_b32_e32 v1, 0
	s_load_dwordx4 s[28:31], s[4:5], 0x28
	s_load_dword s6, s[4:5], 0x70
	s_waitcnt lgkmcnt(0)
	s_barrier
	ds_read_b32 v6, v1
	s_waitcnt lgkmcnt(0)
	s_barrier
	global_load_dwordx2 v[2:3], v1, s[22:23]
	s_lshl_b64 s[36:37], s[10:11], 3
	s_add_u32 s22, s8, s36
	s_addc_u32 s23, s9, s37
	s_add_i32 s12, s6, -1
	s_lshl_b32 s8, s6, 9
	s_lshl_b32 s6, s12, 9
	s_add_i32 s6, s10, s6
	v_readfirstlane_b32 s33, v6
	s_sub_i32 s48, s24, s6
	s_lshl_b32 s6, s33, 9
	s_add_u32 s8, s10, s8
	s_addc_u32 s9, s11, 0
	v_mov_b32_e32 v4, s24
	v_mov_b32_e32 v5, s25
	s_cmp_eq_u32 s33, s12
	v_cmp_ge_u64_e32 vcc, s[8:9], v[4:5]
	s_cselect_b64 s[24:25], -1, 0
	s_mov_b32 s7, 0
	s_and_b64 s[12:13], vcc, s[24:25]
	s_lshl_b64 s[8:9], s[6:7], 3
	s_xor_b64 s[34:35], s[12:13], -1
	s_add_u32 s6, s22, s8
	s_mov_b64 s[4:5], -1
	v_lshrrev_b32_e32 v18, 2, v0
	s_addc_u32 s7, s23, s9
	s_and_b64 vcc, exec, s[34:35]
	s_waitcnt vmcnt(0)
	v_readfirstlane_b32 s22, v2
	v_readfirstlane_b32 s23, v3
	s_cbranch_vccz .LBB1459_6
; %bb.5:
	v_lshlrev_b32_e32 v1, 3, v0
	global_load_dwordx2 v[2:3], v1, s[6:7]
	global_load_dwordx2 v[4:5], v1, s[6:7] offset:1024
	global_load_dwordx2 v[6:7], v1, s[6:7] offset:2048
	;; [unrolled: 1-line block ×3, first 2 shown]
	v_or_b32_e32 v11, 0x80, v0
	v_or_b32_e32 v12, 0x100, v0
	;; [unrolled: 1-line block ×3, first 2 shown]
	v_and_b32_e32 v10, 24, v18
	v_lshrrev_b32_e32 v11, 2, v11
	v_lshrrev_b32_e32 v12, 2, v12
	;; [unrolled: 1-line block ×3, first 2 shown]
	v_add_u32_e32 v10, v10, v1
	v_and_b32_e32 v11, 56, v11
	v_and_b32_e32 v12, 0x58, v12
	;; [unrolled: 1-line block ×3, first 2 shown]
	v_add_u32_e32 v11, v11, v1
	v_add_u32_e32 v12, v12, v1
	;; [unrolled: 1-line block ×3, first 2 shown]
	s_mov_b64 s[4:5], 0
	s_waitcnt vmcnt(3)
	ds_write_b64 v10, v[2:3]
	s_waitcnt vmcnt(2)
	ds_write_b64 v11, v[4:5] offset:1024
	s_waitcnt vmcnt(1)
	ds_write_b64 v12, v[6:7] offset:2048
	;; [unrolled: 2-line block ×3, first 2 shown]
	s_waitcnt lgkmcnt(0)
	s_barrier
.LBB1459_6:
	s_andn2_b64 vcc, exec, s[4:5]
	v_cmp_gt_u32_e64 s[4:5], s48, v0
	s_cbranch_vccnz .LBB1459_16
; %bb.7:
                                        ; implicit-def: $vgpr2_vgpr3_vgpr4_vgpr5_vgpr6_vgpr7_vgpr8_vgpr9
	s_and_saveexec_b64 s[38:39], s[4:5]
	s_cbranch_execz .LBB1459_9
; %bb.8:
	v_lshlrev_b32_e32 v1, 3, v0
	global_load_dwordx2 v[2:3], v1, s[6:7]
.LBB1459_9:
	s_or_b64 exec, exec, s[38:39]
	v_or_b32_e32 v1, 0x80, v0
	v_cmp_gt_u32_e32 vcc, s48, v1
	s_and_saveexec_b64 s[4:5], vcc
	s_cbranch_execz .LBB1459_11
; %bb.10:
	v_lshlrev_b32_e32 v4, 3, v0
	global_load_dwordx2 v[4:5], v4, s[6:7] offset:1024
.LBB1459_11:
	s_or_b64 exec, exec, s[4:5]
	v_or_b32_e32 v10, 0x100, v0
	v_cmp_gt_u32_e32 vcc, s48, v10
	s_and_saveexec_b64 s[4:5], vcc
	s_cbranch_execz .LBB1459_13
; %bb.12:
	v_lshlrev_b32_e32 v6, 3, v0
	global_load_dwordx2 v[6:7], v6, s[6:7] offset:2048
.LBB1459_13:
	;; [unrolled: 9-line block ×3, first 2 shown]
	s_or_b64 exec, exec, s[4:5]
	v_lshrrev_b32_e32 v1, 2, v1
	v_lshlrev_b32_e32 v13, 3, v0
	v_and_b32_e32 v1, 56, v1
	v_add_u32_e32 v1, v1, v13
	s_waitcnt vmcnt(0)
	ds_write_b64 v1, v[4:5] offset:1024
	v_lshrrev_b32_e32 v1, 2, v10
	v_and_b32_e32 v1, 0x78, v1
	v_add_u32_e32 v1, v1, v13
	ds_write_b64 v1, v[6:7] offset:2048
	v_lshrrev_b32_e32 v1, 2, v11
	v_and_b32_e32 v12, 24, v18
	v_and_b32_e32 v1, 0x78, v1
	v_add_u32_e32 v12, v12, v13
	v_add_u32_e32 v1, v1, v13
	ds_write_b64 v12, v[2:3]
	ds_write_b64 v1, v[8:9] offset:3072
	s_waitcnt lgkmcnt(0)
	s_barrier
.LBB1459_16:
	v_lshlrev_b32_e32 v1, 2, v0
	v_lshrrev_b32_e32 v2, 3, v0
	v_add_lshl_u32 v19, v2, v1, 3
	ds_read2_b64 v[14:17], v19 offset1:1
	ds_read2_b64 v[10:13], v19 offset0:2 offset1:3
	s_add_u32 s4, s14, s36
	s_addc_u32 s5, s15, s37
	s_add_u32 s4, s4, s8
	s_addc_u32 s5, s5, s9
	s_mov_b64 s[8:9], -1
	s_and_b64 vcc, exec, s[34:35]
	s_waitcnt lgkmcnt(0)
	s_barrier
	s_cbranch_vccz .LBB1459_18
; %bb.17:
	v_lshlrev_b32_e32 v20, 3, v0
	global_load_dwordx2 v[2:3], v20, s[4:5]
	global_load_dwordx2 v[4:5], v20, s[4:5] offset:1024
	global_load_dwordx2 v[6:7], v20, s[4:5] offset:2048
	;; [unrolled: 1-line block ×3, first 2 shown]
	v_or_b32_e32 v22, 0x80, v0
	v_or_b32_e32 v23, 0x100, v0
	;; [unrolled: 1-line block ×3, first 2 shown]
	v_and_b32_e32 v21, 24, v18
	v_lshrrev_b32_e32 v22, 2, v22
	v_lshrrev_b32_e32 v23, 2, v23
	;; [unrolled: 1-line block ×3, first 2 shown]
	v_add_u32_e32 v21, v21, v20
	v_and_b32_e32 v22, 56, v22
	v_and_b32_e32 v23, 0x58, v23
	;; [unrolled: 1-line block ×3, first 2 shown]
	v_add_u32_e32 v22, v22, v20
	v_add_u32_e32 v23, v23, v20
	;; [unrolled: 1-line block ×3, first 2 shown]
	s_mov_b64 s[8:9], 0
	s_waitcnt vmcnt(3)
	ds_write_b64 v21, v[2:3]
	s_waitcnt vmcnt(2)
	ds_write_b64 v22, v[4:5] offset:1024
	s_waitcnt vmcnt(1)
	ds_write_b64 v23, v[6:7] offset:2048
	;; [unrolled: 2-line block ×3, first 2 shown]
	s_waitcnt lgkmcnt(0)
	s_barrier
.LBB1459_18:
	s_andn2_b64 vcc, exec, s[8:9]
	s_cbranch_vccnz .LBB1459_28
; %bb.19:
	v_cmp_gt_u32_e32 vcc, s48, v0
                                        ; implicit-def: $vgpr2_vgpr3
	s_and_saveexec_b64 s[8:9], vcc
	s_cbranch_execz .LBB1459_21
; %bb.20:
	v_lshlrev_b32_e32 v2, 3, v0
	global_load_dwordx2 v[2:3], v2, s[4:5]
.LBB1459_21:
	s_or_b64 exec, exec, s[8:9]
	v_or_b32_e32 v20, 0x80, v0
	v_cmp_gt_u32_e32 vcc, s48, v20
                                        ; implicit-def: $vgpr4_vgpr5
	s_and_saveexec_b64 s[8:9], vcc
	s_cbranch_execz .LBB1459_23
; %bb.22:
	v_lshlrev_b32_e32 v4, 3, v0
	global_load_dwordx2 v[4:5], v4, s[4:5] offset:1024
.LBB1459_23:
	s_or_b64 exec, exec, s[8:9]
	v_or_b32_e32 v21, 0x100, v0
	v_cmp_gt_u32_e32 vcc, s48, v21
                                        ; implicit-def: $vgpr6_vgpr7
	s_and_saveexec_b64 s[8:9], vcc
	s_cbranch_execz .LBB1459_25
; %bb.24:
	v_lshlrev_b32_e32 v6, 3, v0
	global_load_dwordx2 v[6:7], v6, s[4:5] offset:2048
.LBB1459_25:
	s_or_b64 exec, exec, s[8:9]
	v_or_b32_e32 v22, 0x180, v0
	v_cmp_gt_u32_e32 vcc, s48, v22
                                        ; implicit-def: $vgpr8_vgpr9
	s_and_saveexec_b64 s[8:9], vcc
	s_cbranch_execz .LBB1459_27
; %bb.26:
	v_lshlrev_b32_e32 v8, 3, v0
	global_load_dwordx2 v[8:9], v8, s[4:5] offset:3072
.LBB1459_27:
	s_or_b64 exec, exec, s[8:9]
	v_and_b32_e32 v18, 24, v18
	v_lshlrev_b32_e32 v23, 3, v0
	v_add_u32_e32 v18, v18, v23
	s_waitcnt vmcnt(0)
	ds_write_b64 v18, v[2:3]
	v_lshrrev_b32_e32 v2, 2, v20
	v_and_b32_e32 v2, 56, v2
	v_add_u32_e32 v2, v2, v23
	ds_write_b64 v2, v[4:5] offset:1024
	v_lshrrev_b32_e32 v2, 2, v21
	v_and_b32_e32 v2, 0x78, v2
	v_add_u32_e32 v2, v2, v23
	ds_write_b64 v2, v[6:7] offset:2048
	;; [unrolled: 4-line block ×3, first 2 shown]
	s_waitcnt lgkmcnt(0)
	s_barrier
.LBB1459_28:
	ds_read2_b64 v[6:9], v19 offset1:1
	ds_read2_b64 v[2:5], v19 offset0:2 offset1:3
	s_cmp_lg_u32 s33, 0
	s_cselect_b64 s[36:37], -1, 0
	s_cmp_lg_u64 s[10:11], 0
	s_cselect_b64 s[4:5], -1, 0
	s_or_b64 s[4:5], s[4:5], s[36:37]
	s_mov_b64 s[14:15], 0
	s_and_b64 vcc, exec, s[4:5]
	v_cmp_gt_i64_e64 s[4:5], s[26:27], 0
	s_waitcnt lgkmcnt(0)
	s_barrier
	s_cbranch_vccz .LBB1459_37
; %bb.29:
	v_mov_b32_e32 v18, 0
	global_load_dwordx2 v[18:19], v18, s[6:7] offset:-8
	v_cndmask_b32_e64 v20, 0, 1, s[4:5]
	v_lshlrev_b32_e32 v29, 3, v0
	s_mov_b64 s[10:11], 0
	s_and_b64 vcc, exec, s[34:35]
	v_cmp_ne_u32_e64 s[4:5], 1, v20
	ds_write_b64 v29, v[12:13]
	s_cbranch_vccz .LBB1459_38
; %bb.30:
	v_mul_lo_u32 v22, v11, s26
	v_mul_lo_u32 v23, v10, s27
	v_mad_u64_u32 v[20:21], s[6:7], v10, s26, 0
	v_add3_u32 v21, v21, v23, v22
	s_and_b64 vcc, exec, s[4:5]
	v_lshlrev_b64 v[20:21], 1, v[20:21]
	s_cbranch_vccnz .LBB1459_41
; %bb.31:
	v_mul_lo_u32 v24, v13, s26
	v_mul_lo_u32 v25, v12, s27
	v_mad_u64_u32 v[22:23], s[6:7], v12, s26, 0
	v_add3_u32 v23, v23, v25, v24
	v_mov_b32_e32 v25, s17
	v_add_co_u32_e32 v24, vcc, s16, v20
	v_addc_co_u32_e64 v25, s[6:7], v25, v21, vcc
	v_lshlrev_b64 v[22:23], 1, v[22:23]
	v_mov_b32_e32 v27, s17
	v_add_co_u32_e64 v26, s[6:7], s16, v22
	v_addc_co_u32_e64 v27, s[8:9], v27, v23, s[6:7]
	global_load_ushort v22, v[24:25], off
	global_load_ushort v28, v[26:27], off
	s_mov_b64 s[10:11], -1
	s_waitcnt vmcnt(0)
	v_cmp_eq_u16_e64 s[8:9], v22, v28
	s_and_saveexec_b64 s[14:15], s[8:9]
	s_cbranch_execz .LBB1459_40
; %bb.32:
	v_mov_b32_e32 v22, s17
	v_addc_co_u32_e64 v23, s[6:7], v23, v22, s[6:7]
	v_add_co_u32_e64 v22, s[6:7], 2, v26
	v_mov_b32_e32 v25, s17
	v_addc_co_u32_e64 v23, s[6:7], 0, v23, s[6:7]
	v_addc_co_u32_e32 v25, vcc, v21, v25, vcc
	v_add_co_u32_e32 v24, vcc, 2, v24
	s_add_u32 s6, s26, -1
	v_addc_co_u32_e32 v25, vcc, 0, v25, vcc
	s_addc_u32 s7, s27, -1
	s_mov_b64 s[8:9], 0
	s_mov_b64 s[38:39], 0
                                        ; implicit-def: $sgpr10_sgpr11
	s_branch .LBB1459_35
.LBB1459_33:                            ;   in Loop: Header=BB1459_35 Depth=1
	global_load_ushort v26, v[24:25], off
	global_load_ushort v27, v[22:23], off
	v_add_co_u32_e32 v22, vcc, 2, v22
	v_addc_co_u32_e32 v23, vcc, 0, v23, vcc
	v_add_co_u32_e32 v24, vcc, 2, v24
	v_addc_co_u32_e32 v25, vcc, 0, v25, vcc
	s_add_u32 s38, s38, 1
	s_addc_u32 s39, s39, 0
	s_andn2_b64 s[10:11], s[10:11], exec
	s_waitcnt vmcnt(0)
	v_cmp_ne_u16_e32 vcc, v26, v27
	s_and_b64 s[40:41], vcc, exec
	s_or_b64 s[10:11], s[10:11], s[40:41]
.LBB1459_34:                            ;   in Loop: Header=BB1459_35 Depth=1
	s_and_b64 s[40:41], exec, s[10:11]
	s_or_b64 s[8:9], s[40:41], s[8:9]
	v_pk_mov_b32 v[26:27], s[38:39], s[38:39] op_sel:[0,1]
	s_andn2_b64 exec, exec, s[8:9]
	s_cbranch_execz .LBB1459_39
.LBB1459_35:                            ; =>This Inner Loop Header: Depth=1
	s_or_b64 s[10:11], s[10:11], exec
	s_cmp_eq_u64 s[6:7], s[38:39]
	s_cbranch_scc0 .LBB1459_33
; %bb.36:                               ;   in Loop: Header=BB1459_35 Depth=1
                                        ; implicit-def: $vgpr22_vgpr23
                                        ; implicit-def: $vgpr24_vgpr25
	s_mov_b64 s[38:39], s[26:27]
	s_branch .LBB1459_34
.LBB1459_37:
                                        ; implicit-def: $sgpr38_sgpr39
                                        ; implicit-def: $vgpr28
	s_branch .LBB1459_119
.LBB1459_38:
                                        ; implicit-def: $sgpr38_sgpr39
                                        ; implicit-def: $vgpr28
	s_cbranch_execnz .LBB1459_71
	s_branch .LBB1459_118
.LBB1459_39:
	s_or_b64 exec, exec, s[8:9]
	v_cmp_gt_i64_e32 vcc, s[26:27], v[26:27]
	s_orn2_b64 s[10:11], vcc, exec
.LBB1459_40:
	s_or_b64 exec, exec, s[14:15]
.LBB1459_41:
	v_mul_lo_u32 v24, v17, s26
	v_mul_lo_u32 v25, v16, s27
	v_mad_u64_u32 v[22:23], s[6:7], v16, s26, 0
	v_add3_u32 v23, v23, v25, v24
	s_mov_b64 s[14:15], 0
	s_and_b64 vcc, exec, s[4:5]
	v_lshlrev_b64 v[22:23], 1, v[22:23]
	s_mov_b64 s[38:39], 0
	s_cbranch_vccnz .LBB1459_50
; %bb.42:
	v_mov_b32_e32 v25, s17
	v_add_co_u32_e32 v24, vcc, s16, v22
	v_addc_co_u32_e64 v25, s[6:7], v25, v23, vcc
	v_mov_b32_e32 v27, s17
	v_add_co_u32_e64 v26, s[6:7], s16, v20
	v_addc_co_u32_e64 v27, s[8:9], v27, v21, s[6:7]
	global_load_ushort v20, v[24:25], off
	global_load_ushort v28, v[26:27], off
	s_mov_b64 s[38:39], -1
	s_waitcnt vmcnt(0)
	v_cmp_eq_u16_e64 s[8:9], v20, v28
	s_and_saveexec_b64 s[40:41], s[8:9]
	s_cbranch_execz .LBB1459_49
; %bb.43:
	v_mov_b32_e32 v20, s17
	v_addc_co_u32_e64 v21, s[6:7], v21, v20, s[6:7]
	v_add_co_u32_e64 v20, s[6:7], 2, v26
	v_mov_b32_e32 v25, s17
	v_addc_co_u32_e64 v21, s[6:7], 0, v21, s[6:7]
	v_addc_co_u32_e32 v25, vcc, v23, v25, vcc
	v_add_co_u32_e32 v24, vcc, 2, v24
	s_add_u32 s6, s26, -1
	v_addc_co_u32_e32 v25, vcc, 0, v25, vcc
	s_addc_u32 s7, s27, -1
	s_mov_b64 s[8:9], 0
	s_mov_b64 s[42:43], 0
                                        ; implicit-def: $sgpr38_sgpr39
	s_branch .LBB1459_46
.LBB1459_44:                            ;   in Loop: Header=BB1459_46 Depth=1
	global_load_ushort v26, v[24:25], off
	global_load_ushort v27, v[20:21], off
	v_add_co_u32_e32 v20, vcc, 2, v20
	v_addc_co_u32_e32 v21, vcc, 0, v21, vcc
	v_add_co_u32_e32 v24, vcc, 2, v24
	v_addc_co_u32_e32 v25, vcc, 0, v25, vcc
	s_add_u32 s42, s42, 1
	s_addc_u32 s43, s43, 0
	s_andn2_b64 s[38:39], s[38:39], exec
	s_waitcnt vmcnt(0)
	v_cmp_ne_u16_e32 vcc, v26, v27
	s_and_b64 s[44:45], vcc, exec
	s_or_b64 s[38:39], s[38:39], s[44:45]
.LBB1459_45:                            ;   in Loop: Header=BB1459_46 Depth=1
	s_and_b64 s[44:45], exec, s[38:39]
	s_or_b64 s[8:9], s[44:45], s[8:9]
	v_pk_mov_b32 v[26:27], s[42:43], s[42:43] op_sel:[0,1]
	s_andn2_b64 exec, exec, s[8:9]
	s_cbranch_execz .LBB1459_48
.LBB1459_46:                            ; =>This Inner Loop Header: Depth=1
	s_or_b64 s[38:39], s[38:39], exec
	s_cmp_eq_u64 s[6:7], s[42:43]
	s_cbranch_scc0 .LBB1459_44
; %bb.47:                               ;   in Loop: Header=BB1459_46 Depth=1
                                        ; implicit-def: $vgpr20_vgpr21
                                        ; implicit-def: $vgpr24_vgpr25
	s_mov_b64 s[42:43], s[26:27]
	s_branch .LBB1459_45
.LBB1459_48:
	s_or_b64 exec, exec, s[8:9]
	v_cmp_gt_i64_e32 vcc, s[26:27], v[26:27]
	s_orn2_b64 s[38:39], vcc, exec
.LBB1459_49:
	s_or_b64 exec, exec, s[40:41]
.LBB1459_50:
	v_mul_lo_u32 v24, v15, s26
	v_mul_lo_u32 v25, v14, s27
	v_mad_u64_u32 v[20:21], s[6:7], v14, s26, 0
	v_add3_u32 v21, v21, v25, v24
	s_and_b64 vcc, exec, s[4:5]
	v_lshlrev_b64 v[20:21], 1, v[20:21]
	s_cbranch_vccnz .LBB1459_59
; %bb.51:
	v_mov_b32_e32 v25, s17
	v_add_co_u32_e32 v24, vcc, s16, v20
	v_addc_co_u32_e64 v25, s[6:7], v25, v21, vcc
	v_mov_b32_e32 v27, s17
	v_add_co_u32_e64 v26, s[6:7], s16, v22
	v_addc_co_u32_e64 v27, s[8:9], v27, v23, s[6:7]
	global_load_ushort v22, v[24:25], off
	global_load_ushort v28, v[26:27], off
	s_mov_b64 s[14:15], -1
	s_waitcnt vmcnt(0)
	v_cmp_eq_u16_e64 s[8:9], v22, v28
	s_and_saveexec_b64 s[40:41], s[8:9]
	s_cbranch_execz .LBB1459_58
; %bb.52:
	v_mov_b32_e32 v22, s17
	v_addc_co_u32_e64 v23, s[6:7], v23, v22, s[6:7]
	v_add_co_u32_e64 v22, s[6:7], 2, v26
	v_mov_b32_e32 v25, s17
	v_addc_co_u32_e64 v23, s[6:7], 0, v23, s[6:7]
	v_addc_co_u32_e32 v25, vcc, v21, v25, vcc
	v_add_co_u32_e32 v24, vcc, 2, v24
	s_add_u32 s6, s26, -1
	v_addc_co_u32_e32 v25, vcc, 0, v25, vcc
	s_addc_u32 s7, s27, -1
	s_mov_b64 s[8:9], 0
	s_mov_b64 s[42:43], 0
                                        ; implicit-def: $sgpr14_sgpr15
	s_branch .LBB1459_55
.LBB1459_53:                            ;   in Loop: Header=BB1459_55 Depth=1
	global_load_ushort v26, v[24:25], off
	global_load_ushort v27, v[22:23], off
	v_add_co_u32_e32 v22, vcc, 2, v22
	v_addc_co_u32_e32 v23, vcc, 0, v23, vcc
	v_add_co_u32_e32 v24, vcc, 2, v24
	v_addc_co_u32_e32 v25, vcc, 0, v25, vcc
	s_add_u32 s42, s42, 1
	s_addc_u32 s43, s43, 0
	s_andn2_b64 s[14:15], s[14:15], exec
	s_waitcnt vmcnt(0)
	v_cmp_ne_u16_e32 vcc, v26, v27
	s_and_b64 s[44:45], vcc, exec
	s_or_b64 s[14:15], s[14:15], s[44:45]
.LBB1459_54:                            ;   in Loop: Header=BB1459_55 Depth=1
	s_and_b64 s[44:45], exec, s[14:15]
	s_or_b64 s[8:9], s[44:45], s[8:9]
	v_pk_mov_b32 v[26:27], s[42:43], s[42:43] op_sel:[0,1]
	s_andn2_b64 exec, exec, s[8:9]
	s_cbranch_execz .LBB1459_57
.LBB1459_55:                            ; =>This Inner Loop Header: Depth=1
	s_or_b64 s[14:15], s[14:15], exec
	s_cmp_eq_u64 s[6:7], s[42:43]
	s_cbranch_scc0 .LBB1459_53
; %bb.56:                               ;   in Loop: Header=BB1459_55 Depth=1
                                        ; implicit-def: $vgpr22_vgpr23
                                        ; implicit-def: $vgpr24_vgpr25
	s_mov_b64 s[42:43], s[26:27]
	s_branch .LBB1459_54
.LBB1459_57:
	s_or_b64 exec, exec, s[8:9]
	v_cmp_gt_i64_e32 vcc, s[26:27], v[26:27]
	s_orn2_b64 s[14:15], vcc, exec
.LBB1459_58:
	s_or_b64 exec, exec, s[40:41]
.LBB1459_59:
	s_waitcnt vmcnt(0)
	v_pk_mov_b32 v[22:23], v[18:19], v[18:19] op_sel:[0,1]
	s_waitcnt lgkmcnt(0)
	s_barrier
	s_and_saveexec_b64 s[6:7], s[2:3]
	s_cbranch_execz .LBB1459_61
; %bb.60:
	v_add_u32_e32 v22, -8, v29
	ds_read_b64 v[22:23], v22
.LBB1459_61:
	s_or_b64 exec, exec, s[6:7]
	v_cndmask_b32_e64 v25, 0, 1, s[10:11]
	v_cndmask_b32_e64 v24, 0, 1, s[38:39]
	;; [unrolled: 1-line block ×3, first 2 shown]
	v_lshlrev_b16_e32 v25, 8, v25
	v_lshlrev_b16_e32 v28, 8, v26
	v_or_b32_sdwa v30, v24, v25 dst_sel:WORD_1 dst_unused:UNUSED_PAD src0_sel:DWORD src1_sel:DWORD
	s_mov_b64 s[10:11], 0
	s_and_b64 vcc, exec, s[4:5]
	s_mov_b64 s[38:39], 0
	s_cbranch_vccnz .LBB1459_70
; %bb.62:
	s_waitcnt lgkmcnt(0)
	v_mul_lo_u32 v24, v23, s26
	v_mul_lo_u32 v25, v22, s27
	v_mad_u64_u32 v[22:23], s[6:7], v22, s26, 0
	v_add3_u32 v23, v23, v25, v24
	v_lshlrev_b64 v[22:23], 1, v[22:23]
	v_mov_b32_e32 v25, s17
	v_add_co_u32_e32 v24, vcc, s16, v22
	v_addc_co_u32_e64 v25, s[6:7], v25, v23, vcc
	v_mov_b32_e32 v22, s17
	v_add_co_u32_e64 v26, s[6:7], s16, v20
	v_addc_co_u32_e64 v27, s[8:9], v22, v21, s[6:7]
	global_load_ushort v20, v[24:25], off
	global_load_ushort v22, v[26:27], off
	s_mov_b64 s[38:39], -1
	s_waitcnt vmcnt(0)
	v_cmp_eq_u16_e64 s[8:9], v20, v22
	s_and_saveexec_b64 s[14:15], s[8:9]
	s_cbranch_execz .LBB1459_69
; %bb.63:
	v_mov_b32_e32 v20, s17
	v_addc_co_u32_e64 v21, s[6:7], v21, v20, s[6:7]
	v_add_co_u32_e64 v20, s[6:7], 2, v26
	v_mov_b32_e32 v22, s17
	v_addc_co_u32_e64 v21, s[6:7], 0, v21, s[6:7]
	v_addc_co_u32_e32 v23, vcc, v23, v22, vcc
	v_add_co_u32_e32 v22, vcc, 2, v24
	s_add_u32 s6, s26, -1
	v_addc_co_u32_e32 v23, vcc, 0, v23, vcc
	s_addc_u32 s7, s27, -1
	s_mov_b64 s[8:9], 0
	s_mov_b64 s[40:41], 0
                                        ; implicit-def: $sgpr38_sgpr39
	s_branch .LBB1459_66
.LBB1459_64:                            ;   in Loop: Header=BB1459_66 Depth=1
	global_load_ushort v24, v[22:23], off
	global_load_ushort v25, v[20:21], off
	v_add_co_u32_e32 v20, vcc, 2, v20
	v_addc_co_u32_e32 v21, vcc, 0, v21, vcc
	v_add_co_u32_e32 v22, vcc, 2, v22
	v_addc_co_u32_e32 v23, vcc, 0, v23, vcc
	s_add_u32 s40, s40, 1
	s_addc_u32 s41, s41, 0
	s_andn2_b64 s[38:39], s[38:39], exec
	s_waitcnt vmcnt(0)
	v_cmp_ne_u16_e32 vcc, v24, v25
	s_and_b64 s[42:43], vcc, exec
	s_or_b64 s[38:39], s[38:39], s[42:43]
.LBB1459_65:                            ;   in Loop: Header=BB1459_66 Depth=1
	s_and_b64 s[42:43], exec, s[38:39]
	s_or_b64 s[8:9], s[42:43], s[8:9]
	v_pk_mov_b32 v[24:25], s[40:41], s[40:41] op_sel:[0,1]
	s_andn2_b64 exec, exec, s[8:9]
	s_cbranch_execz .LBB1459_68
.LBB1459_66:                            ; =>This Inner Loop Header: Depth=1
	s_or_b64 s[38:39], s[38:39], exec
	s_cmp_eq_u64 s[6:7], s[40:41]
	s_cbranch_scc0 .LBB1459_64
; %bb.67:                               ;   in Loop: Header=BB1459_66 Depth=1
                                        ; implicit-def: $vgpr20_vgpr21
                                        ; implicit-def: $vgpr22_vgpr23
	s_mov_b64 s[40:41], s[26:27]
	s_branch .LBB1459_65
.LBB1459_68:
	s_or_b64 exec, exec, s[8:9]
	v_cmp_gt_i64_e32 vcc, s[26:27], v[24:25]
	s_orn2_b64 s[38:39], vcc, exec
.LBB1459_69:
	s_or_b64 exec, exec, s[14:15]
.LBB1459_70:
	v_or_b32_e32 v28, v28, v30
	s_and_b64 vcc, exec, s[10:11]
	s_cbranch_vccz .LBB1459_118
.LBB1459_71:
	v_or_b32_e32 v20, 3, v1
	v_cmp_gt_u32_e32 vcc, s48, v20
	s_mov_b64 s[14:15], 0
	s_mov_b64 s[10:11], 0
	s_and_saveexec_b64 s[38:39], vcc
	s_cbranch_execz .LBB1459_82
; %bb.72:
	s_and_b64 vcc, exec, s[4:5]
	s_mov_b64 s[40:41], 0
	s_cbranch_vccnz .LBB1459_81
; %bb.73:
	s_waitcnt lgkmcnt(0)
	v_mul_lo_u32 v22, v11, s26
	v_mul_lo_u32 v23, v10, s27
	v_mad_u64_u32 v[20:21], s[6:7], v10, s26, 0
	v_add3_u32 v21, v21, v23, v22
	v_mul_lo_u32 v22, v13, s26
	v_mul_lo_u32 v23, v12, s27
	v_mad_u64_u32 v[26:27], s[6:7], v12, s26, 0
	v_add3_u32 v27, v27, v23, v22
	v_lshlrev_b64 v[22:23], 1, v[20:21]
	v_mov_b32_e32 v20, s17
	v_add_co_u32_e32 v24, vcc, s16, v22
	v_addc_co_u32_e64 v25, s[6:7], v20, v23, vcc
	v_lshlrev_b64 v[20:21], 1, v[26:27]
	v_mov_b32_e32 v22, s17
	v_add_co_u32_e64 v26, s[6:7], s16, v20
	v_addc_co_u32_e64 v27, s[8:9], v22, v21, s[6:7]
	global_load_ushort v20, v[24:25], off
	global_load_ushort v22, v[26:27], off
	s_mov_b64 s[40:41], -1
	s_waitcnt vmcnt(0)
	v_cmp_eq_u16_e64 s[8:9], v20, v22
	s_and_saveexec_b64 s[10:11], s[8:9]
	s_cbranch_execz .LBB1459_80
; %bb.74:
	v_mov_b32_e32 v20, s17
	v_addc_co_u32_e64 v21, s[6:7], v21, v20, s[6:7]
	v_add_co_u32_e64 v20, s[6:7], 2, v26
	v_mov_b32_e32 v22, s17
	v_addc_co_u32_e64 v21, s[6:7], 0, v21, s[6:7]
	v_addc_co_u32_e32 v23, vcc, v23, v22, vcc
	v_add_co_u32_e32 v22, vcc, 2, v24
	s_add_u32 s6, s26, -1
	v_addc_co_u32_e32 v23, vcc, 0, v23, vcc
	s_addc_u32 s7, s27, -1
	s_mov_b64 s[8:9], 0
	s_mov_b64 s[42:43], 0
                                        ; implicit-def: $sgpr40_sgpr41
	s_branch .LBB1459_77
.LBB1459_75:                            ;   in Loop: Header=BB1459_77 Depth=1
	global_load_ushort v24, v[22:23], off
	global_load_ushort v25, v[20:21], off
	v_add_co_u32_e32 v20, vcc, 2, v20
	v_addc_co_u32_e32 v21, vcc, 0, v21, vcc
	v_add_co_u32_e32 v22, vcc, 2, v22
	v_addc_co_u32_e32 v23, vcc, 0, v23, vcc
	s_add_u32 s42, s42, 1
	s_addc_u32 s43, s43, 0
	s_andn2_b64 s[40:41], s[40:41], exec
	s_waitcnt vmcnt(0)
	v_cmp_ne_u16_e32 vcc, v24, v25
	s_and_b64 s[44:45], vcc, exec
	s_or_b64 s[40:41], s[40:41], s[44:45]
.LBB1459_76:                            ;   in Loop: Header=BB1459_77 Depth=1
	s_and_b64 s[44:45], exec, s[40:41]
	s_or_b64 s[8:9], s[44:45], s[8:9]
	v_pk_mov_b32 v[24:25], s[42:43], s[42:43] op_sel:[0,1]
	s_andn2_b64 exec, exec, s[8:9]
	s_cbranch_execz .LBB1459_79
.LBB1459_77:                            ; =>This Inner Loop Header: Depth=1
	s_or_b64 s[40:41], s[40:41], exec
	s_cmp_eq_u64 s[6:7], s[42:43]
	s_cbranch_scc0 .LBB1459_75
; %bb.78:                               ;   in Loop: Header=BB1459_77 Depth=1
                                        ; implicit-def: $vgpr20_vgpr21
                                        ; implicit-def: $vgpr22_vgpr23
	s_mov_b64 s[42:43], s[26:27]
	s_branch .LBB1459_76
.LBB1459_79:
	s_or_b64 exec, exec, s[8:9]
	v_cmp_gt_i64_e32 vcc, s[26:27], v[24:25]
	s_orn2_b64 s[40:41], vcc, exec
.LBB1459_80:
	s_or_b64 exec, exec, s[10:11]
.LBB1459_81:
	s_and_b64 s[10:11], s[40:41], exec
.LBB1459_82:
	s_or_b64 exec, exec, s[38:39]
	v_or_b32_e32 v20, 2, v1
	v_cmp_gt_u32_e32 vcc, s48, v20
	s_and_saveexec_b64 s[38:39], vcc
	s_cbranch_execz .LBB1459_93
; %bb.83:
	s_and_b64 vcc, exec, s[4:5]
	s_mov_b64 s[40:41], 0
	s_cbranch_vccnz .LBB1459_92
; %bb.84:
	s_waitcnt lgkmcnt(0)
	v_mul_lo_u32 v22, v17, s26
	v_mul_lo_u32 v23, v16, s27
	v_mad_u64_u32 v[20:21], s[6:7], v16, s26, 0
	v_add3_u32 v21, v21, v23, v22
	v_mul_lo_u32 v22, v11, s26
	v_mul_lo_u32 v23, v10, s27
	v_mad_u64_u32 v[26:27], s[6:7], v10, s26, 0
	v_add3_u32 v27, v27, v23, v22
	v_lshlrev_b64 v[22:23], 1, v[20:21]
	v_mov_b32_e32 v20, s17
	v_add_co_u32_e32 v24, vcc, s16, v22
	v_addc_co_u32_e64 v25, s[6:7], v20, v23, vcc
	v_lshlrev_b64 v[20:21], 1, v[26:27]
	v_mov_b32_e32 v22, s17
	v_add_co_u32_e64 v26, s[6:7], s16, v20
	v_addc_co_u32_e64 v27, s[8:9], v22, v21, s[6:7]
	global_load_ushort v20, v[24:25], off
	global_load_ushort v22, v[26:27], off
	s_mov_b64 s[40:41], -1
	s_waitcnt vmcnt(0)
	v_cmp_eq_u16_e64 s[8:9], v20, v22
	s_and_saveexec_b64 s[14:15], s[8:9]
	s_cbranch_execz .LBB1459_91
; %bb.85:
	v_mov_b32_e32 v20, s17
	v_addc_co_u32_e64 v21, s[6:7], v21, v20, s[6:7]
	v_add_co_u32_e64 v20, s[6:7], 2, v26
	v_mov_b32_e32 v22, s17
	v_addc_co_u32_e64 v21, s[6:7], 0, v21, s[6:7]
	v_addc_co_u32_e32 v23, vcc, v23, v22, vcc
	v_add_co_u32_e32 v22, vcc, 2, v24
	s_add_u32 s6, s26, -1
	v_addc_co_u32_e32 v23, vcc, 0, v23, vcc
	s_addc_u32 s7, s27, -1
	s_mov_b64 s[8:9], 0
	s_mov_b64 s[42:43], 0
                                        ; implicit-def: $sgpr40_sgpr41
	s_branch .LBB1459_88
.LBB1459_86:                            ;   in Loop: Header=BB1459_88 Depth=1
	global_load_ushort v24, v[22:23], off
	global_load_ushort v25, v[20:21], off
	v_add_co_u32_e32 v20, vcc, 2, v20
	v_addc_co_u32_e32 v21, vcc, 0, v21, vcc
	v_add_co_u32_e32 v22, vcc, 2, v22
	v_addc_co_u32_e32 v23, vcc, 0, v23, vcc
	s_add_u32 s42, s42, 1
	s_addc_u32 s43, s43, 0
	s_andn2_b64 s[40:41], s[40:41], exec
	s_waitcnt vmcnt(0)
	v_cmp_ne_u16_e32 vcc, v24, v25
	s_and_b64 s[44:45], vcc, exec
	s_or_b64 s[40:41], s[40:41], s[44:45]
.LBB1459_87:                            ;   in Loop: Header=BB1459_88 Depth=1
	s_and_b64 s[44:45], exec, s[40:41]
	s_or_b64 s[8:9], s[44:45], s[8:9]
	v_pk_mov_b32 v[24:25], s[42:43], s[42:43] op_sel:[0,1]
	s_andn2_b64 exec, exec, s[8:9]
	s_cbranch_execz .LBB1459_90
.LBB1459_88:                            ; =>This Inner Loop Header: Depth=1
	s_or_b64 s[40:41], s[40:41], exec
	s_cmp_eq_u64 s[6:7], s[42:43]
	s_cbranch_scc0 .LBB1459_86
; %bb.89:                               ;   in Loop: Header=BB1459_88 Depth=1
                                        ; implicit-def: $vgpr20_vgpr21
                                        ; implicit-def: $vgpr22_vgpr23
	s_mov_b64 s[42:43], s[26:27]
	s_branch .LBB1459_87
.LBB1459_90:
	s_or_b64 exec, exec, s[8:9]
	v_cmp_gt_i64_e32 vcc, s[26:27], v[24:25]
	s_orn2_b64 s[40:41], vcc, exec
.LBB1459_91:
	s_or_b64 exec, exec, s[14:15]
.LBB1459_92:
	s_and_b64 s[14:15], s[40:41], exec
.LBB1459_93:
	s_or_b64 exec, exec, s[38:39]
	v_or_b32_e32 v20, 1, v1
	v_cmp_gt_u32_e32 vcc, s48, v20
	s_mov_b64 s[6:7], 0
	s_and_saveexec_b64 s[38:39], vcc
	s_cbranch_execz .LBB1459_104
; %bb.94:
	s_and_b64 vcc, exec, s[4:5]
	s_mov_b64 s[42:43], 0
	s_cbranch_vccnz .LBB1459_103
; %bb.95:
	s_waitcnt lgkmcnt(0)
	v_mul_lo_u32 v22, v15, s26
	v_mul_lo_u32 v23, v14, s27
	v_mad_u64_u32 v[20:21], s[6:7], v14, s26, 0
	v_add3_u32 v21, v21, v23, v22
	v_mul_lo_u32 v22, v17, s26
	v_mul_lo_u32 v23, v16, s27
	v_mad_u64_u32 v[26:27], s[6:7], v16, s26, 0
	v_add3_u32 v27, v27, v23, v22
	v_lshlrev_b64 v[22:23], 1, v[20:21]
	v_mov_b32_e32 v20, s17
	v_add_co_u32_e32 v24, vcc, s16, v22
	v_addc_co_u32_e64 v25, s[6:7], v20, v23, vcc
	v_lshlrev_b64 v[20:21], 1, v[26:27]
	v_mov_b32_e32 v22, s17
	v_add_co_u32_e64 v26, s[6:7], s16, v20
	v_addc_co_u32_e64 v27, s[8:9], v22, v21, s[6:7]
	global_load_ushort v20, v[24:25], off
	global_load_ushort v22, v[26:27], off
	s_mov_b64 s[42:43], -1
	s_waitcnt vmcnt(0)
	v_cmp_eq_u16_e64 s[8:9], v20, v22
	s_and_saveexec_b64 s[40:41], s[8:9]
	s_cbranch_execz .LBB1459_102
; %bb.96:
	v_mov_b32_e32 v20, s17
	v_addc_co_u32_e64 v21, s[6:7], v21, v20, s[6:7]
	v_add_co_u32_e64 v20, s[6:7], 2, v26
	v_mov_b32_e32 v22, s17
	v_addc_co_u32_e64 v21, s[6:7], 0, v21, s[6:7]
	v_addc_co_u32_e32 v23, vcc, v23, v22, vcc
	v_add_co_u32_e32 v22, vcc, 2, v24
	s_add_u32 s6, s26, -1
	v_addc_co_u32_e32 v23, vcc, 0, v23, vcc
	s_addc_u32 s7, s27, -1
	s_mov_b64 s[8:9], 0
	s_mov_b64 s[44:45], 0
                                        ; implicit-def: $sgpr42_sgpr43
	s_branch .LBB1459_99
.LBB1459_97:                            ;   in Loop: Header=BB1459_99 Depth=1
	global_load_ushort v24, v[22:23], off
	global_load_ushort v25, v[20:21], off
	v_add_co_u32_e32 v20, vcc, 2, v20
	v_addc_co_u32_e32 v21, vcc, 0, v21, vcc
	v_add_co_u32_e32 v22, vcc, 2, v22
	v_addc_co_u32_e32 v23, vcc, 0, v23, vcc
	s_add_u32 s44, s44, 1
	s_addc_u32 s45, s45, 0
	s_andn2_b64 s[42:43], s[42:43], exec
	s_waitcnt vmcnt(0)
	v_cmp_ne_u16_e32 vcc, v24, v25
	s_and_b64 s[46:47], vcc, exec
	s_or_b64 s[42:43], s[42:43], s[46:47]
.LBB1459_98:                            ;   in Loop: Header=BB1459_99 Depth=1
	s_and_b64 s[46:47], exec, s[42:43]
	s_or_b64 s[8:9], s[46:47], s[8:9]
	v_pk_mov_b32 v[24:25], s[44:45], s[44:45] op_sel:[0,1]
	s_andn2_b64 exec, exec, s[8:9]
	s_cbranch_execz .LBB1459_101
.LBB1459_99:                            ; =>This Inner Loop Header: Depth=1
	s_or_b64 s[42:43], s[42:43], exec
	s_cmp_eq_u64 s[6:7], s[44:45]
	s_cbranch_scc0 .LBB1459_97
; %bb.100:                              ;   in Loop: Header=BB1459_99 Depth=1
                                        ; implicit-def: $vgpr20_vgpr21
                                        ; implicit-def: $vgpr22_vgpr23
	s_mov_b64 s[44:45], s[26:27]
	s_branch .LBB1459_98
.LBB1459_101:
	s_or_b64 exec, exec, s[8:9]
	v_cmp_gt_i64_e32 vcc, s[26:27], v[24:25]
	s_orn2_b64 s[42:43], vcc, exec
.LBB1459_102:
	s_or_b64 exec, exec, s[40:41]
.LBB1459_103:
	s_and_b64 s[6:7], s[42:43], exec
.LBB1459_104:
	s_or_b64 exec, exec, s[38:39]
	s_waitcnt lgkmcnt(0)
	s_barrier
	s_and_saveexec_b64 s[8:9], s[2:3]
	s_cbranch_execz .LBB1459_106
; %bb.105:
	s_waitcnt vmcnt(0)
	v_add_u32_e32 v18, -8, v29
	ds_read_b64 v[18:19], v18
.LBB1459_106:
	s_or_b64 exec, exec, s[8:9]
	v_cndmask_b32_e64 v21, 0, 1, s[10:11]
	v_cndmask_b32_e64 v20, 0, 1, s[14:15]
	;; [unrolled: 1-line block ×3, first 2 shown]
	v_lshlrev_b16_e32 v21, 8, v21
	v_lshlrev_b16_e32 v26, 8, v22
	v_or_b32_sdwa v27, v20, v21 dst_sel:WORD_1 dst_unused:UNUSED_PAD src0_sel:DWORD src1_sel:DWORD
	v_cmp_gt_u32_e32 vcc, s48, v1
	s_mov_b64 s[38:39], 0
	s_and_saveexec_b64 s[8:9], vcc
	s_cbranch_execz .LBB1459_117
; %bb.107:
	s_and_b64 vcc, exec, s[4:5]
	s_mov_b64 s[14:15], 0
	s_cbranch_vccnz .LBB1459_116
; %bb.108:
	s_waitcnt vmcnt(0) lgkmcnt(0)
	v_mul_lo_u32 v20, v19, s26
	v_mul_lo_u32 v21, v18, s27
	v_mad_u64_u32 v[18:19], s[4:5], v18, s26, 0
	v_add3_u32 v19, v19, v21, v20
	v_mul_lo_u32 v20, v15, s26
	v_mul_lo_u32 v21, v14, s27
	v_mad_u64_u32 v[24:25], s[4:5], v14, s26, 0
	v_add3_u32 v25, v25, v21, v20
	v_lshlrev_b64 v[20:21], 1, v[18:19]
	v_mov_b32_e32 v18, s17
	v_add_co_u32_e32 v22, vcc, s16, v20
	v_addc_co_u32_e64 v23, s[4:5], v18, v21, vcc
	v_lshlrev_b64 v[18:19], 1, v[24:25]
	v_mov_b32_e32 v20, s17
	v_add_co_u32_e64 v24, s[4:5], s16, v18
	v_addc_co_u32_e64 v25, s[6:7], v20, v19, s[4:5]
	global_load_ushort v18, v[22:23], off
	global_load_ushort v20, v[24:25], off
	s_mov_b64 s[14:15], -1
	s_waitcnt vmcnt(0)
	v_cmp_eq_u16_e64 s[6:7], v18, v20
	s_and_saveexec_b64 s[10:11], s[6:7]
	s_cbranch_execz .LBB1459_115
; %bb.109:
	v_mov_b32_e32 v18, s17
	v_addc_co_u32_e64 v19, s[4:5], v19, v18, s[4:5]
	v_add_co_u32_e64 v18, s[4:5], 2, v24
	v_mov_b32_e32 v20, s17
	v_addc_co_u32_e64 v19, s[4:5], 0, v19, s[4:5]
	v_addc_co_u32_e32 v21, vcc, v21, v20, vcc
	v_add_co_u32_e32 v20, vcc, 2, v22
	s_add_u32 s4, s26, -1
	v_addc_co_u32_e32 v21, vcc, 0, v21, vcc
	s_addc_u32 s5, s27, -1
	s_mov_b64 s[6:7], 0
                                        ; implicit-def: $sgpr14_sgpr15
	s_branch .LBB1459_112
.LBB1459_110:                           ;   in Loop: Header=BB1459_112 Depth=1
	global_load_ushort v22, v[20:21], off
	global_load_ushort v23, v[18:19], off
	v_add_co_u32_e32 v18, vcc, 2, v18
	v_addc_co_u32_e32 v19, vcc, 0, v19, vcc
	v_add_co_u32_e32 v20, vcc, 2, v20
	v_addc_co_u32_e32 v21, vcc, 0, v21, vcc
	s_add_u32 s38, s38, 1
	s_addc_u32 s39, s39, 0
	s_andn2_b64 s[14:15], s[14:15], exec
	s_waitcnt vmcnt(0)
	v_cmp_ne_u16_e32 vcc, v22, v23
	s_and_b64 s[40:41], vcc, exec
	s_or_b64 s[14:15], s[14:15], s[40:41]
.LBB1459_111:                           ;   in Loop: Header=BB1459_112 Depth=1
	s_and_b64 s[40:41], exec, s[14:15]
	s_or_b64 s[6:7], s[40:41], s[6:7]
	v_pk_mov_b32 v[22:23], s[38:39], s[38:39] op_sel:[0,1]
	s_andn2_b64 exec, exec, s[6:7]
	s_cbranch_execz .LBB1459_114
.LBB1459_112:                           ; =>This Inner Loop Header: Depth=1
	s_or_b64 s[14:15], s[14:15], exec
	s_cmp_eq_u64 s[4:5], s[38:39]
	s_cbranch_scc0 .LBB1459_110
; %bb.113:                              ;   in Loop: Header=BB1459_112 Depth=1
                                        ; implicit-def: $vgpr18_vgpr19
                                        ; implicit-def: $vgpr20_vgpr21
	s_mov_b64 s[38:39], s[26:27]
	s_branch .LBB1459_111
.LBB1459_114:
	s_or_b64 exec, exec, s[6:7]
	v_cmp_gt_i64_e32 vcc, s[26:27], v[22:23]
	s_orn2_b64 s[14:15], vcc, exec
.LBB1459_115:
	s_or_b64 exec, exec, s[10:11]
.LBB1459_116:
	s_and_b64 s[38:39], s[14:15], exec
.LBB1459_117:
	s_or_b64 exec, exec, s[8:9]
	v_or_b32_e32 v28, v26, v27
.LBB1459_118:
	s_mov_b64 s[14:15], -1
	s_cbranch_execnz .LBB1459_207
.LBB1459_119:
	v_lshlrev_b32_e32 v29, 3, v0
	s_mov_b64 s[38:39], 0
	v_cmp_gt_i64_e64 s[10:11], s[26:27], 0
	s_and_b64 vcc, exec, s[34:35]
	ds_write_b64 v29, v[12:13]
	s_cbranch_vccz .LBB1459_127
; %bb.120:
	v_mul_lo_u32 v20, v11, s26
	v_mul_lo_u32 v21, v10, s27
	s_waitcnt vmcnt(0) lgkmcnt(1)
	v_mad_u64_u32 v[18:19], s[4:5], v10, s26, 0
	v_add3_u32 v19, v19, v21, v20
	v_cndmask_b32_e64 v20, 0, 1, s[10:11]
	v_cmp_ne_u32_e64 s[4:5], 1, v20
	s_andn2_b64 vcc, exec, s[10:11]
	v_lshlrev_b64 v[18:19], 1, v[18:19]
	s_cbranch_vccnz .LBB1459_130
; %bb.121:
	v_mul_lo_u32 v22, v13, s26
	v_mul_lo_u32 v23, v12, s27
	v_mad_u64_u32 v[20:21], s[6:7], v12, s26, 0
	v_add3_u32 v21, v21, v23, v22
	v_mov_b32_e32 v23, s17
	v_add_co_u32_e32 v22, vcc, s16, v18
	v_addc_co_u32_e64 v23, s[6:7], v23, v19, vcc
	v_lshlrev_b64 v[20:21], 1, v[20:21]
	v_mov_b32_e32 v25, s17
	v_add_co_u32_e64 v24, s[6:7], s16, v20
	v_addc_co_u32_e64 v25, s[8:9], v25, v21, s[6:7]
	global_load_ushort v20, v[22:23], off
	global_load_ushort v26, v[24:25], off
	s_mov_b64 s[38:39], -1
	s_waitcnt vmcnt(0)
	v_cmp_eq_u16_e64 s[8:9], v20, v26
	s_and_saveexec_b64 s[40:41], s[8:9]
	s_cbranch_execz .LBB1459_129
; %bb.122:
	v_mov_b32_e32 v20, s17
	v_addc_co_u32_e64 v21, s[6:7], v21, v20, s[6:7]
	v_add_co_u32_e64 v20, s[6:7], 2, v24
	v_mov_b32_e32 v23, s17
	v_addc_co_u32_e64 v21, s[6:7], 0, v21, s[6:7]
	v_addc_co_u32_e32 v23, vcc, v19, v23, vcc
	v_add_co_u32_e32 v22, vcc, 2, v22
	s_add_u32 s6, s26, -1
	v_addc_co_u32_e32 v23, vcc, 0, v23, vcc
	s_addc_u32 s7, s27, -1
	s_mov_b64 s[8:9], 0
	s_mov_b64 s[42:43], 0
                                        ; implicit-def: $sgpr38_sgpr39
	s_branch .LBB1459_125
.LBB1459_123:                           ;   in Loop: Header=BB1459_125 Depth=1
	global_load_ushort v24, v[22:23], off
	global_load_ushort v25, v[20:21], off
	v_add_co_u32_e32 v20, vcc, 2, v20
	v_addc_co_u32_e32 v21, vcc, 0, v21, vcc
	v_add_co_u32_e32 v22, vcc, 2, v22
	v_addc_co_u32_e32 v23, vcc, 0, v23, vcc
	s_add_u32 s42, s42, 1
	s_addc_u32 s43, s43, 0
	s_andn2_b64 s[38:39], s[38:39], exec
	s_waitcnt vmcnt(0)
	v_cmp_ne_u16_e32 vcc, v24, v25
	s_and_b64 s[44:45], vcc, exec
	s_or_b64 s[38:39], s[38:39], s[44:45]
.LBB1459_124:                           ;   in Loop: Header=BB1459_125 Depth=1
	s_and_b64 s[44:45], exec, s[38:39]
	s_or_b64 s[8:9], s[44:45], s[8:9]
	v_pk_mov_b32 v[24:25], s[42:43], s[42:43] op_sel:[0,1]
	s_andn2_b64 exec, exec, s[8:9]
	s_cbranch_execz .LBB1459_128
.LBB1459_125:                           ; =>This Inner Loop Header: Depth=1
	s_or_b64 s[38:39], s[38:39], exec
	s_cmp_eq_u64 s[6:7], s[42:43]
	s_cbranch_scc0 .LBB1459_123
; %bb.126:                              ;   in Loop: Header=BB1459_125 Depth=1
                                        ; implicit-def: $vgpr20_vgpr21
                                        ; implicit-def: $vgpr22_vgpr23
	s_mov_b64 s[42:43], s[26:27]
	s_branch .LBB1459_124
.LBB1459_127:
                                        ; implicit-def: $sgpr38_sgpr39
                                        ; implicit-def: $vgpr28
	s_cbranch_execnz .LBB1459_160
	s_branch .LBB1459_207
.LBB1459_128:
	s_or_b64 exec, exec, s[8:9]
	v_cmp_gt_i64_e32 vcc, s[26:27], v[24:25]
	s_orn2_b64 s[38:39], vcc, exec
.LBB1459_129:
	s_or_b64 exec, exec, s[40:41]
.LBB1459_130:
	v_mul_lo_u32 v22, v17, s26
	v_mul_lo_u32 v23, v16, s27
	v_mad_u64_u32 v[20:21], s[6:7], v16, s26, 0
	v_add3_u32 v21, v21, v23, v22
	s_mov_b64 s[40:41], 0
	s_and_b64 vcc, exec, s[4:5]
	v_lshlrev_b64 v[20:21], 1, v[20:21]
	s_mov_b64 s[42:43], 0
	s_cbranch_vccnz .LBB1459_139
; %bb.131:
	v_mov_b32_e32 v23, s17
	v_add_co_u32_e32 v22, vcc, s16, v20
	v_addc_co_u32_e64 v23, s[6:7], v23, v21, vcc
	v_mov_b32_e32 v25, s17
	v_add_co_u32_e64 v24, s[6:7], s16, v18
	v_addc_co_u32_e64 v25, s[8:9], v25, v19, s[6:7]
	global_load_ushort v18, v[22:23], off
	global_load_ushort v26, v[24:25], off
	s_mov_b64 s[42:43], -1
	s_waitcnt vmcnt(0)
	v_cmp_eq_u16_e64 s[8:9], v18, v26
	s_and_saveexec_b64 s[44:45], s[8:9]
	s_cbranch_execz .LBB1459_138
; %bb.132:
	v_mov_b32_e32 v18, s17
	v_addc_co_u32_e64 v19, s[6:7], v19, v18, s[6:7]
	v_add_co_u32_e64 v18, s[6:7], 2, v24
	v_mov_b32_e32 v23, s17
	v_addc_co_u32_e64 v19, s[6:7], 0, v19, s[6:7]
	v_addc_co_u32_e32 v23, vcc, v21, v23, vcc
	v_add_co_u32_e32 v22, vcc, 2, v22
	s_add_u32 s6, s26, -1
	v_addc_co_u32_e32 v23, vcc, 0, v23, vcc
	s_addc_u32 s7, s27, -1
	s_mov_b64 s[8:9], 0
	s_mov_b64 s[46:47], 0
                                        ; implicit-def: $sgpr42_sgpr43
	s_branch .LBB1459_135
.LBB1459_133:                           ;   in Loop: Header=BB1459_135 Depth=1
	global_load_ushort v24, v[22:23], off
	global_load_ushort v25, v[18:19], off
	v_add_co_u32_e32 v18, vcc, 2, v18
	v_addc_co_u32_e32 v19, vcc, 0, v19, vcc
	v_add_co_u32_e32 v22, vcc, 2, v22
	v_addc_co_u32_e32 v23, vcc, 0, v23, vcc
	s_add_u32 s46, s46, 1
	s_addc_u32 s47, s47, 0
	s_andn2_b64 s[42:43], s[42:43], exec
	s_waitcnt vmcnt(0)
	v_cmp_ne_u16_e32 vcc, v24, v25
	s_and_b64 s[50:51], vcc, exec
	s_or_b64 s[42:43], s[42:43], s[50:51]
.LBB1459_134:                           ;   in Loop: Header=BB1459_135 Depth=1
	s_and_b64 s[50:51], exec, s[42:43]
	s_or_b64 s[8:9], s[50:51], s[8:9]
	v_pk_mov_b32 v[24:25], s[46:47], s[46:47] op_sel:[0,1]
	s_andn2_b64 exec, exec, s[8:9]
	s_cbranch_execz .LBB1459_137
.LBB1459_135:                           ; =>This Inner Loop Header: Depth=1
	s_or_b64 s[42:43], s[42:43], exec
	s_cmp_eq_u64 s[6:7], s[46:47]
	s_cbranch_scc0 .LBB1459_133
; %bb.136:                              ;   in Loop: Header=BB1459_135 Depth=1
                                        ; implicit-def: $vgpr18_vgpr19
                                        ; implicit-def: $vgpr22_vgpr23
	s_mov_b64 s[46:47], s[26:27]
	s_branch .LBB1459_134
.LBB1459_137:
	s_or_b64 exec, exec, s[8:9]
	v_cmp_gt_i64_e32 vcc, s[26:27], v[24:25]
	s_orn2_b64 s[42:43], vcc, exec
.LBB1459_138:
	s_or_b64 exec, exec, s[44:45]
.LBB1459_139:
	v_mul_lo_u32 v22, v15, s26
	v_mul_lo_u32 v23, v14, s27
	v_mad_u64_u32 v[18:19], s[6:7], v14, s26, 0
	s_and_b64 vcc, exec, s[4:5]
	v_add3_u32 v19, v19, v23, v22
	s_cbranch_vccnz .LBB1459_148
; %bb.140:
	v_lshlrev_b64 v[22:23], 1, v[18:19]
	v_mov_b32_e32 v25, s17
	v_add_co_u32_e32 v24, vcc, s16, v22
	v_addc_co_u32_e64 v25, s[6:7], v25, v23, vcc
	v_mov_b32_e32 v22, s17
	v_add_co_u32_e64 v26, s[6:7], s16, v20
	v_addc_co_u32_e64 v27, s[8:9], v22, v21, s[6:7]
	global_load_ushort v20, v[24:25], off
	global_load_ushort v22, v[26:27], off
	s_mov_b64 s[40:41], -1
	s_waitcnt vmcnt(0)
	v_cmp_eq_u16_e64 s[8:9], v20, v22
	s_and_saveexec_b64 s[44:45], s[8:9]
	s_cbranch_execz .LBB1459_147
; %bb.141:
	v_mov_b32_e32 v20, s17
	v_addc_co_u32_e64 v21, s[6:7], v21, v20, s[6:7]
	v_add_co_u32_e64 v20, s[6:7], 2, v26
	v_mov_b32_e32 v22, s17
	v_addc_co_u32_e64 v21, s[6:7], 0, v21, s[6:7]
	v_addc_co_u32_e32 v23, vcc, v23, v22, vcc
	v_add_co_u32_e32 v22, vcc, 2, v24
	s_add_u32 s6, s26, -1
	v_addc_co_u32_e32 v23, vcc, 0, v23, vcc
	s_addc_u32 s7, s27, -1
	s_mov_b64 s[8:9], 0
	s_mov_b64 s[46:47], 0
                                        ; implicit-def: $sgpr40_sgpr41
	s_branch .LBB1459_144
.LBB1459_142:                           ;   in Loop: Header=BB1459_144 Depth=1
	global_load_ushort v24, v[22:23], off
	global_load_ushort v25, v[20:21], off
	v_add_co_u32_e32 v20, vcc, 2, v20
	v_addc_co_u32_e32 v21, vcc, 0, v21, vcc
	v_add_co_u32_e32 v22, vcc, 2, v22
	v_addc_co_u32_e32 v23, vcc, 0, v23, vcc
	s_add_u32 s46, s46, 1
	s_addc_u32 s47, s47, 0
	s_andn2_b64 s[40:41], s[40:41], exec
	s_waitcnt vmcnt(0)
	v_cmp_ne_u16_e32 vcc, v24, v25
	s_and_b64 s[50:51], vcc, exec
	s_or_b64 s[40:41], s[40:41], s[50:51]
.LBB1459_143:                           ;   in Loop: Header=BB1459_144 Depth=1
	s_and_b64 s[50:51], exec, s[40:41]
	s_or_b64 s[8:9], s[50:51], s[8:9]
	v_pk_mov_b32 v[24:25], s[46:47], s[46:47] op_sel:[0,1]
	s_andn2_b64 exec, exec, s[8:9]
	s_cbranch_execz .LBB1459_146
.LBB1459_144:                           ; =>This Inner Loop Header: Depth=1
	s_or_b64 s[40:41], s[40:41], exec
	s_cmp_eq_u64 s[6:7], s[46:47]
	s_cbranch_scc0 .LBB1459_142
; %bb.145:                              ;   in Loop: Header=BB1459_144 Depth=1
                                        ; implicit-def: $vgpr20_vgpr21
                                        ; implicit-def: $vgpr22_vgpr23
	s_mov_b64 s[46:47], s[26:27]
	s_branch .LBB1459_143
.LBB1459_146:
	s_or_b64 exec, exec, s[8:9]
	v_cmp_gt_i64_e32 vcc, s[26:27], v[24:25]
	s_orn2_b64 s[40:41], vcc, exec
.LBB1459_147:
	s_or_b64 exec, exec, s[44:45]
.LBB1459_148:
	v_cndmask_b32_e64 v21, 0, 1, s[38:39]
	v_cndmask_b32_e64 v22, 0, 1, s[40:41]
	;; [unrolled: 1-line block ×3, first 2 shown]
	v_lshlrev_b16_e32 v22, 8, v22
	v_lshlrev_b16_e32 v21, 8, v21
	v_or_b32_e32 v22, 1, v22
	v_or_b32_sdwa v20, v20, v21 dst_sel:WORD_1 dst_unused:UNUSED_PAD src0_sel:DWORD src1_sel:DWORD
	v_or_b32_sdwa v28, v22, v20 dst_sel:DWORD dst_unused:UNUSED_PAD src0_sel:WORD_0 src1_sel:DWORD
	s_waitcnt lgkmcnt(0)
	s_barrier
	s_waitcnt lgkmcnt(0)
                                        ; implicit-def: $sgpr38_sgpr39
	s_and_saveexec_b64 s[6:7], s[2:3]
	s_xor_b64 s[8:9], exec, s[6:7]
	s_cbranch_execz .LBB1459_159
; %bb.149:
	s_and_b64 vcc, exec, s[4:5]
	s_mov_b64 s[40:41], 0
	s_cbranch_vccnz .LBB1459_158
; %bb.150:
	v_add_u32_e32 v20, -8, v29
	ds_read_b64 v[20:21], v20
	v_mov_b32_e32 v23, s17
	v_lshlrev_b64 v[18:19], 1, v[18:19]
	s_mov_b64 s[40:41], -1
	s_waitcnt lgkmcnt(0)
	v_mul_lo_u32 v22, v21, s26
	v_mul_lo_u32 v24, v20, s27
	v_mad_u64_u32 v[20:21], s[4:5], v20, s26, 0
	v_add3_u32 v21, v21, v24, v22
	v_lshlrev_b64 v[20:21], 1, v[20:21]
	v_add_co_u32_e32 v22, vcc, s16, v20
	v_addc_co_u32_e64 v23, s[4:5], v23, v21, vcc
	v_mov_b32_e32 v20, s17
	v_add_co_u32_e64 v24, s[4:5], s16, v18
	v_addc_co_u32_e64 v25, s[6:7], v20, v19, s[4:5]
	global_load_ushort v18, v[22:23], off
	global_load_ushort v20, v[24:25], off
	s_waitcnt vmcnt(0)
	v_cmp_eq_u16_e64 s[6:7], v18, v20
	s_and_saveexec_b64 s[38:39], s[6:7]
	s_cbranch_execz .LBB1459_157
; %bb.151:
	v_mov_b32_e32 v18, s17
	v_addc_co_u32_e64 v19, s[4:5], v19, v18, s[4:5]
	v_add_co_u32_e64 v18, s[4:5], 2, v24
	v_mov_b32_e32 v20, s17
	v_addc_co_u32_e64 v19, s[4:5], 0, v19, s[4:5]
	v_addc_co_u32_e32 v21, vcc, v21, v20, vcc
	v_add_co_u32_e32 v20, vcc, 2, v22
	s_add_u32 s4, s26, -1
	v_addc_co_u32_e32 v21, vcc, 0, v21, vcc
	s_addc_u32 s5, s27, -1
	s_mov_b64 s[6:7], 0
	s_mov_b64 s[42:43], 0
                                        ; implicit-def: $sgpr40_sgpr41
	s_branch .LBB1459_154
.LBB1459_152:                           ;   in Loop: Header=BB1459_154 Depth=1
	global_load_ushort v22, v[20:21], off
	global_load_ushort v23, v[18:19], off
	v_add_co_u32_e32 v18, vcc, 2, v18
	v_addc_co_u32_e32 v19, vcc, 0, v19, vcc
	v_add_co_u32_e32 v20, vcc, 2, v20
	v_addc_co_u32_e32 v21, vcc, 0, v21, vcc
	s_add_u32 s42, s42, 1
	s_addc_u32 s43, s43, 0
	s_andn2_b64 s[40:41], s[40:41], exec
	s_waitcnt vmcnt(0)
	v_cmp_ne_u16_e32 vcc, v22, v23
	s_and_b64 s[44:45], vcc, exec
	s_or_b64 s[40:41], s[40:41], s[44:45]
.LBB1459_153:                           ;   in Loop: Header=BB1459_154 Depth=1
	s_and_b64 s[44:45], exec, s[40:41]
	s_or_b64 s[6:7], s[44:45], s[6:7]
	v_pk_mov_b32 v[22:23], s[42:43], s[42:43] op_sel:[0,1]
	s_andn2_b64 exec, exec, s[6:7]
	s_cbranch_execz .LBB1459_156
.LBB1459_154:                           ; =>This Inner Loop Header: Depth=1
	s_or_b64 s[40:41], s[40:41], exec
	s_cmp_eq_u64 s[4:5], s[42:43]
	s_cbranch_scc0 .LBB1459_152
; %bb.155:                              ;   in Loop: Header=BB1459_154 Depth=1
                                        ; implicit-def: $vgpr18_vgpr19
                                        ; implicit-def: $vgpr20_vgpr21
	s_mov_b64 s[42:43], s[26:27]
	s_branch .LBB1459_153
.LBB1459_156:
	s_or_b64 exec, exec, s[6:7]
	v_cmp_gt_i64_e32 vcc, s[26:27], v[22:23]
	s_orn2_b64 s[40:41], vcc, exec
.LBB1459_157:
	s_or_b64 exec, exec, s[38:39]
.LBB1459_158:
	s_and_b64 s[38:39], s[40:41], exec
	s_or_b64 s[14:15], s[14:15], exec
.LBB1459_159:
	s_or_b64 exec, exec, s[8:9]
	s_branch .LBB1459_207
.LBB1459_160:
	s_waitcnt vmcnt(0) lgkmcnt(1)
	v_or_b32_e32 v18, 3, v1
	v_cmp_gt_u32_e32 vcc, s48, v18
	s_mov_b64 s[38:39], 0
	s_mov_b64 s[8:9], 0
	s_and_saveexec_b64 s[40:41], vcc
	s_cbranch_execz .LBB1459_171
; %bb.161:
	s_andn2_b64 vcc, exec, s[10:11]
	s_mov_b64 s[42:43], 0
	s_cbranch_vccnz .LBB1459_170
; %bb.162:
	v_mul_lo_u32 v20, v11, s26
	v_mul_lo_u32 v21, v10, s27
	v_mad_u64_u32 v[18:19], s[4:5], v10, s26, 0
	v_add3_u32 v19, v19, v21, v20
	v_mul_lo_u32 v20, v13, s26
	v_mul_lo_u32 v21, v12, s27
	v_mad_u64_u32 v[24:25], s[4:5], v12, s26, 0
	v_add3_u32 v25, v25, v21, v20
	v_lshlrev_b64 v[20:21], 1, v[18:19]
	v_mov_b32_e32 v18, s17
	v_add_co_u32_e32 v22, vcc, s16, v20
	v_addc_co_u32_e64 v23, s[4:5], v18, v21, vcc
	v_lshlrev_b64 v[18:19], 1, v[24:25]
	v_mov_b32_e32 v20, s17
	v_add_co_u32_e64 v24, s[4:5], s16, v18
	v_addc_co_u32_e64 v25, s[6:7], v20, v19, s[4:5]
	global_load_ushort v18, v[22:23], off
	global_load_ushort v20, v[24:25], off
	s_mov_b64 s[42:43], -1
	s_waitcnt vmcnt(0)
	v_cmp_eq_u16_e64 s[6:7], v18, v20
	s_and_saveexec_b64 s[8:9], s[6:7]
	s_cbranch_execz .LBB1459_169
; %bb.163:
	v_mov_b32_e32 v18, s17
	v_addc_co_u32_e64 v19, s[4:5], v19, v18, s[4:5]
	v_add_co_u32_e64 v18, s[4:5], 2, v24
	v_mov_b32_e32 v20, s17
	v_addc_co_u32_e64 v19, s[4:5], 0, v19, s[4:5]
	v_addc_co_u32_e32 v21, vcc, v21, v20, vcc
	v_add_co_u32_e32 v20, vcc, 2, v22
	s_add_u32 s4, s26, -1
	v_addc_co_u32_e32 v21, vcc, 0, v21, vcc
	s_addc_u32 s5, s27, -1
	s_mov_b64 s[6:7], 0
	s_mov_b64 s[44:45], 0
                                        ; implicit-def: $sgpr42_sgpr43
	s_branch .LBB1459_166
.LBB1459_164:                           ;   in Loop: Header=BB1459_166 Depth=1
	global_load_ushort v22, v[20:21], off
	global_load_ushort v23, v[18:19], off
	v_add_co_u32_e32 v18, vcc, 2, v18
	v_addc_co_u32_e32 v19, vcc, 0, v19, vcc
	v_add_co_u32_e32 v20, vcc, 2, v20
	v_addc_co_u32_e32 v21, vcc, 0, v21, vcc
	s_add_u32 s44, s44, 1
	s_addc_u32 s45, s45, 0
	s_andn2_b64 s[42:43], s[42:43], exec
	s_waitcnt vmcnt(0)
	v_cmp_ne_u16_e32 vcc, v22, v23
	s_and_b64 s[46:47], vcc, exec
	s_or_b64 s[42:43], s[42:43], s[46:47]
.LBB1459_165:                           ;   in Loop: Header=BB1459_166 Depth=1
	s_and_b64 s[46:47], exec, s[42:43]
	s_or_b64 s[6:7], s[46:47], s[6:7]
	v_pk_mov_b32 v[22:23], s[44:45], s[44:45] op_sel:[0,1]
	s_andn2_b64 exec, exec, s[6:7]
	s_cbranch_execz .LBB1459_168
.LBB1459_166:                           ; =>This Inner Loop Header: Depth=1
	s_or_b64 s[42:43], s[42:43], exec
	s_cmp_eq_u64 s[4:5], s[44:45]
	s_cbranch_scc0 .LBB1459_164
; %bb.167:                              ;   in Loop: Header=BB1459_166 Depth=1
                                        ; implicit-def: $vgpr18_vgpr19
                                        ; implicit-def: $vgpr20_vgpr21
	s_mov_b64 s[44:45], s[26:27]
	s_branch .LBB1459_165
.LBB1459_168:
	s_or_b64 exec, exec, s[6:7]
	v_cmp_gt_i64_e32 vcc, s[26:27], v[22:23]
	s_orn2_b64 s[42:43], vcc, exec
.LBB1459_169:
	s_or_b64 exec, exec, s[8:9]
.LBB1459_170:
	s_and_b64 s[8:9], s[42:43], exec
.LBB1459_171:
	s_or_b64 exec, exec, s[40:41]
	v_or_b32_e32 v18, 2, v1
	v_cmp_gt_u32_e32 vcc, s48, v18
	s_and_saveexec_b64 s[40:41], vcc
	s_cbranch_execz .LBB1459_182
; %bb.172:
	s_andn2_b64 vcc, exec, s[10:11]
	s_mov_b64 s[42:43], 0
	s_cbranch_vccnz .LBB1459_181
; %bb.173:
	v_mul_lo_u32 v20, v17, s26
	v_mul_lo_u32 v21, v16, s27
	v_mad_u64_u32 v[18:19], s[4:5], v16, s26, 0
	v_add3_u32 v19, v19, v21, v20
	v_mul_lo_u32 v20, v11, s26
	v_mul_lo_u32 v21, v10, s27
	v_mad_u64_u32 v[24:25], s[4:5], v10, s26, 0
	v_add3_u32 v25, v25, v21, v20
	v_lshlrev_b64 v[20:21], 1, v[18:19]
	v_mov_b32_e32 v18, s17
	v_add_co_u32_e32 v22, vcc, s16, v20
	v_addc_co_u32_e64 v23, s[4:5], v18, v21, vcc
	v_lshlrev_b64 v[18:19], 1, v[24:25]
	v_mov_b32_e32 v20, s17
	v_add_co_u32_e64 v24, s[4:5], s16, v18
	v_addc_co_u32_e64 v25, s[6:7], v20, v19, s[4:5]
	global_load_ushort v18, v[22:23], off
	global_load_ushort v20, v[24:25], off
	s_mov_b64 s[42:43], -1
	s_waitcnt vmcnt(0)
	v_cmp_eq_u16_e64 s[6:7], v18, v20
	s_and_saveexec_b64 s[38:39], s[6:7]
	s_cbranch_execz .LBB1459_180
; %bb.174:
	v_mov_b32_e32 v18, s17
	v_addc_co_u32_e64 v19, s[4:5], v19, v18, s[4:5]
	v_add_co_u32_e64 v18, s[4:5], 2, v24
	v_mov_b32_e32 v20, s17
	v_addc_co_u32_e64 v19, s[4:5], 0, v19, s[4:5]
	v_addc_co_u32_e32 v21, vcc, v21, v20, vcc
	v_add_co_u32_e32 v20, vcc, 2, v22
	s_add_u32 s4, s26, -1
	v_addc_co_u32_e32 v21, vcc, 0, v21, vcc
	s_addc_u32 s5, s27, -1
	s_mov_b64 s[6:7], 0
	s_mov_b64 s[44:45], 0
                                        ; implicit-def: $sgpr42_sgpr43
	s_branch .LBB1459_177
.LBB1459_175:                           ;   in Loop: Header=BB1459_177 Depth=1
	global_load_ushort v22, v[20:21], off
	global_load_ushort v23, v[18:19], off
	v_add_co_u32_e32 v18, vcc, 2, v18
	v_addc_co_u32_e32 v19, vcc, 0, v19, vcc
	v_add_co_u32_e32 v20, vcc, 2, v20
	v_addc_co_u32_e32 v21, vcc, 0, v21, vcc
	s_add_u32 s44, s44, 1
	s_addc_u32 s45, s45, 0
	s_andn2_b64 s[42:43], s[42:43], exec
	s_waitcnt vmcnt(0)
	v_cmp_ne_u16_e32 vcc, v22, v23
	s_and_b64 s[46:47], vcc, exec
	s_or_b64 s[42:43], s[42:43], s[46:47]
.LBB1459_176:                           ;   in Loop: Header=BB1459_177 Depth=1
	s_and_b64 s[46:47], exec, s[42:43]
	s_or_b64 s[6:7], s[46:47], s[6:7]
	v_pk_mov_b32 v[22:23], s[44:45], s[44:45] op_sel:[0,1]
	s_andn2_b64 exec, exec, s[6:7]
	s_cbranch_execz .LBB1459_179
.LBB1459_177:                           ; =>This Inner Loop Header: Depth=1
	s_or_b64 s[42:43], s[42:43], exec
	s_cmp_eq_u64 s[4:5], s[44:45]
	s_cbranch_scc0 .LBB1459_175
; %bb.178:                              ;   in Loop: Header=BB1459_177 Depth=1
                                        ; implicit-def: $vgpr18_vgpr19
                                        ; implicit-def: $vgpr20_vgpr21
	s_mov_b64 s[44:45], s[26:27]
	s_branch .LBB1459_176
.LBB1459_179:
	s_or_b64 exec, exec, s[6:7]
	v_cmp_gt_i64_e32 vcc, s[26:27], v[22:23]
	s_orn2_b64 s[42:43], vcc, exec
.LBB1459_180:
	s_or_b64 exec, exec, s[38:39]
.LBB1459_181:
	s_and_b64 s[38:39], s[42:43], exec
.LBB1459_182:
	s_or_b64 exec, exec, s[40:41]
	v_or_b32_e32 v18, 1, v1
	v_cmp_gt_u32_e32 vcc, s48, v18
	s_mov_b64 s[4:5], 0
	s_and_saveexec_b64 s[40:41], vcc
	s_cbranch_execz .LBB1459_193
; %bb.183:
	s_andn2_b64 vcc, exec, s[10:11]
	s_mov_b64 s[44:45], 0
	s_cbranch_vccnz .LBB1459_192
; %bb.184:
	v_mul_lo_u32 v20, v15, s26
	v_mul_lo_u32 v21, v14, s27
	v_mad_u64_u32 v[18:19], s[4:5], v14, s26, 0
	v_add3_u32 v19, v19, v21, v20
	v_mul_lo_u32 v20, v17, s26
	v_mul_lo_u32 v21, v16, s27
	v_mad_u64_u32 v[24:25], s[4:5], v16, s26, 0
	v_add3_u32 v25, v25, v21, v20
	v_lshlrev_b64 v[20:21], 1, v[18:19]
	v_mov_b32_e32 v18, s17
	v_add_co_u32_e32 v22, vcc, s16, v20
	v_addc_co_u32_e64 v23, s[4:5], v18, v21, vcc
	v_lshlrev_b64 v[18:19], 1, v[24:25]
	v_mov_b32_e32 v20, s17
	v_add_co_u32_e64 v24, s[4:5], s16, v18
	v_addc_co_u32_e64 v25, s[6:7], v20, v19, s[4:5]
	global_load_ushort v18, v[22:23], off
	global_load_ushort v20, v[24:25], off
	s_mov_b64 s[44:45], -1
	s_waitcnt vmcnt(0)
	v_cmp_eq_u16_e64 s[6:7], v18, v20
	s_and_saveexec_b64 s[42:43], s[6:7]
	s_cbranch_execz .LBB1459_191
; %bb.185:
	v_mov_b32_e32 v18, s17
	v_addc_co_u32_e64 v19, s[4:5], v19, v18, s[4:5]
	v_add_co_u32_e64 v18, s[4:5], 2, v24
	v_mov_b32_e32 v20, s17
	v_addc_co_u32_e64 v19, s[4:5], 0, v19, s[4:5]
	v_addc_co_u32_e32 v21, vcc, v21, v20, vcc
	v_add_co_u32_e32 v20, vcc, 2, v22
	s_add_u32 s4, s26, -1
	v_addc_co_u32_e32 v21, vcc, 0, v21, vcc
	s_addc_u32 s5, s27, -1
	s_mov_b64 s[6:7], 0
	s_mov_b64 s[46:47], 0
                                        ; implicit-def: $sgpr44_sgpr45
	s_branch .LBB1459_188
.LBB1459_186:                           ;   in Loop: Header=BB1459_188 Depth=1
	global_load_ushort v22, v[20:21], off
	global_load_ushort v23, v[18:19], off
	v_add_co_u32_e32 v18, vcc, 2, v18
	v_addc_co_u32_e32 v19, vcc, 0, v19, vcc
	v_add_co_u32_e32 v20, vcc, 2, v20
	v_addc_co_u32_e32 v21, vcc, 0, v21, vcc
	s_add_u32 s46, s46, 1
	s_addc_u32 s47, s47, 0
	s_andn2_b64 s[44:45], s[44:45], exec
	s_waitcnt vmcnt(0)
	v_cmp_ne_u16_e32 vcc, v22, v23
	s_and_b64 s[50:51], vcc, exec
	s_or_b64 s[44:45], s[44:45], s[50:51]
.LBB1459_187:                           ;   in Loop: Header=BB1459_188 Depth=1
	s_and_b64 s[50:51], exec, s[44:45]
	s_or_b64 s[6:7], s[50:51], s[6:7]
	v_pk_mov_b32 v[22:23], s[46:47], s[46:47] op_sel:[0,1]
	s_andn2_b64 exec, exec, s[6:7]
	s_cbranch_execz .LBB1459_190
.LBB1459_188:                           ; =>This Inner Loop Header: Depth=1
	s_or_b64 s[44:45], s[44:45], exec
	s_cmp_eq_u64 s[4:5], s[46:47]
	s_cbranch_scc0 .LBB1459_186
; %bb.189:                              ;   in Loop: Header=BB1459_188 Depth=1
                                        ; implicit-def: $vgpr18_vgpr19
                                        ; implicit-def: $vgpr20_vgpr21
	s_mov_b64 s[46:47], s[26:27]
	s_branch .LBB1459_187
.LBB1459_190:
	s_or_b64 exec, exec, s[6:7]
	v_cmp_gt_i64_e32 vcc, s[26:27], v[22:23]
	s_orn2_b64 s[44:45], vcc, exec
.LBB1459_191:
	s_or_b64 exec, exec, s[42:43]
.LBB1459_192:
	s_and_b64 s[4:5], s[44:45], exec
.LBB1459_193:
	s_or_b64 exec, exec, s[40:41]
	v_cndmask_b32_e64 v19, 0, 1, s[8:9]
	v_cndmask_b32_e64 v20, 0, 1, s[4:5]
	v_cndmask_b32_e64 v18, 0, 1, s[38:39]
	v_lshlrev_b16_e32 v20, 8, v20
	v_lshlrev_b16_e32 v19, 8, v19
	v_or_b32_e32 v20, 1, v20
	v_or_b32_sdwa v18, v18, v19 dst_sel:WORD_1 dst_unused:UNUSED_PAD src0_sel:DWORD src1_sel:DWORD
	v_or_b32_sdwa v28, v20, v18 dst_sel:DWORD dst_unused:UNUSED_PAD src0_sel:WORD_0 src1_sel:DWORD
	s_waitcnt lgkmcnt(0)
	s_barrier
	s_waitcnt lgkmcnt(0)
                                        ; implicit-def: $sgpr38_sgpr39
	s_and_saveexec_b64 s[6:7], s[2:3]
	s_cbranch_execz .LBB1459_206
; %bb.194:
	v_cmp_gt_u32_e32 vcc, s48, v1
	s_mov_b64 s[2:3], 0
	s_and_saveexec_b64 s[8:9], vcc
	s_cbranch_execz .LBB1459_205
; %bb.195:
	s_andn2_b64 vcc, exec, s[10:11]
	s_mov_b64 s[38:39], 0
	s_cbranch_vccnz .LBB1459_204
; %bb.196:
	v_add_u32_e32 v18, -8, v29
	ds_read_b64 v[18:19], v18
	v_mul_lo_u32 v20, v15, s26
	v_mad_u64_u32 v[24:25], s[2:3], v14, s26, 0
	s_mov_b64 s[38:39], -1
	s_waitcnt lgkmcnt(0)
	v_mul_lo_u32 v21, v19, s26
	v_mul_lo_u32 v22, v18, s27
	v_mad_u64_u32 v[18:19], s[2:3], v18, s26, 0
	v_add3_u32 v19, v19, v22, v21
	v_mul_lo_u32 v21, v14, s27
	v_add3_u32 v25, v25, v21, v20
	v_lshlrev_b64 v[20:21], 1, v[18:19]
	v_mov_b32_e32 v18, s17
	v_add_co_u32_e32 v22, vcc, s16, v20
	v_addc_co_u32_e64 v23, s[2:3], v18, v21, vcc
	v_lshlrev_b64 v[18:19], 1, v[24:25]
	v_mov_b32_e32 v20, s17
	v_add_co_u32_e64 v24, s[2:3], s16, v18
	v_addc_co_u32_e64 v25, s[4:5], v20, v19, s[2:3]
	global_load_ushort v18, v[22:23], off
	global_load_ushort v20, v[24:25], off
	s_waitcnt vmcnt(0)
	v_cmp_eq_u16_e64 s[4:5], v18, v20
	s_and_saveexec_b64 s[10:11], s[4:5]
	s_cbranch_execz .LBB1459_203
; %bb.197:
	v_mov_b32_e32 v18, s17
	v_addc_co_u32_e64 v19, s[2:3], v19, v18, s[2:3]
	v_add_co_u32_e64 v18, s[2:3], 2, v24
	v_mov_b32_e32 v20, s17
	v_addc_co_u32_e64 v19, s[2:3], 0, v19, s[2:3]
	v_addc_co_u32_e32 v21, vcc, v21, v20, vcc
	v_add_co_u32_e32 v20, vcc, 2, v22
	s_add_u32 s2, s26, -1
	v_addc_co_u32_e32 v21, vcc, 0, v21, vcc
	s_addc_u32 s3, s27, -1
	s_mov_b64 s[4:5], 0
	s_mov_b64 s[38:39], 0
                                        ; implicit-def: $sgpr16_sgpr17
	s_branch .LBB1459_200
.LBB1459_198:                           ;   in Loop: Header=BB1459_200 Depth=1
	global_load_ushort v22, v[20:21], off
	global_load_ushort v23, v[18:19], off
	v_add_co_u32_e32 v18, vcc, 2, v18
	v_addc_co_u32_e32 v19, vcc, 0, v19, vcc
	v_add_co_u32_e32 v20, vcc, 2, v20
	v_addc_co_u32_e32 v21, vcc, 0, v21, vcc
	s_add_u32 s38, s38, 1
	s_addc_u32 s39, s39, 0
	s_andn2_b64 s[16:17], s[16:17], exec
	s_waitcnt vmcnt(0)
	v_cmp_ne_u16_e32 vcc, v22, v23
	s_and_b64 s[40:41], vcc, exec
	s_or_b64 s[16:17], s[16:17], s[40:41]
.LBB1459_199:                           ;   in Loop: Header=BB1459_200 Depth=1
	s_and_b64 s[40:41], exec, s[16:17]
	s_or_b64 s[4:5], s[40:41], s[4:5]
	v_pk_mov_b32 v[22:23], s[38:39], s[38:39] op_sel:[0,1]
	s_andn2_b64 exec, exec, s[4:5]
	s_cbranch_execz .LBB1459_202
.LBB1459_200:                           ; =>This Inner Loop Header: Depth=1
	s_or_b64 s[16:17], s[16:17], exec
	s_cmp_eq_u64 s[2:3], s[38:39]
	s_cbranch_scc0 .LBB1459_198
; %bb.201:                              ;   in Loop: Header=BB1459_200 Depth=1
                                        ; implicit-def: $vgpr18_vgpr19
                                        ; implicit-def: $vgpr20_vgpr21
	s_mov_b64 s[38:39], s[26:27]
	s_branch .LBB1459_199
.LBB1459_202:
	s_or_b64 exec, exec, s[4:5]
	v_cmp_gt_i64_e32 vcc, s[26:27], v[22:23]
	s_orn2_b64 s[38:39], vcc, exec
.LBB1459_203:
	s_or_b64 exec, exec, s[10:11]
.LBB1459_204:
	s_and_b64 s[2:3], s[38:39], exec
.LBB1459_205:
	s_or_b64 exec, exec, s[8:9]
	s_and_b64 s[38:39], s[2:3], exec
	s_or_b64 s[14:15], s[14:15], exec
.LBB1459_206:
	s_or_b64 exec, exec, s[6:7]
.LBB1459_207:
	s_and_saveexec_b64 s[2:3], s[14:15]
	s_cbranch_execz .LBB1459_209
; %bb.208:
	s_waitcnt vmcnt(0) lgkmcnt(0)
	v_and_b32_e32 v18, 0xffffff00, v28
	v_cndmask_b32_e64 v19, 0, 1, s[38:39]
	v_or_b32_e32 v18, v19, v18
	v_and_b32_e32 v18, 0xffff, v18
	s_mov_b32 s4, 0xffff0000
	v_and_or_b32 v28, v28, s4, v18
.LBB1459_209:
	s_or_b64 exec, exec, s[2:3]
	s_andn2_b64 vcc, exec, s[12:13]
	s_cbranch_vccnz .LBB1459_211
; %bb.210:
	v_cmp_gt_u32_e32 vcc, s48, v1
	s_waitcnt vmcnt(0) lgkmcnt(0)
	v_cndmask_b32_e32 v18, 0, v28, vcc
	v_or_b32_e32 v19, 1, v1
	v_and_b32_e32 v18, 0xff, v18
	v_cmp_gt_u32_e32 vcc, s48, v19
	v_cndmask_b32_e32 v18, v18, v28, vcc
	v_or_b32_e32 v19, 2, v1
	v_and_b32_e32 v18, 0xffff, v18
	v_cmp_gt_u32_e32 vcc, s48, v19
	;; [unrolled: 4-line block ×3, first 2 shown]
	v_cndmask_b32_e32 v28, v18, v28, vcc
.LBB1459_211:
	v_bfe_u32 v30, v28, 16, 8
	v_lshrrev_b32_e32 v29, 24, v28
	s_waitcnt vmcnt(0) lgkmcnt(0)
	v_add_u32_sdwa v18, v28, v28 dst_sel:DWORD dst_unused:UNUSED_PAD src0_sel:BYTE_1 src1_sel:BYTE_0
	v_add3_u32 v33, v18, v30, v29
	v_mbcnt_lo_u32_b32 v18, -1, 0
	v_mbcnt_hi_u32_b32 v31, -1, v18
	v_and_b32_e32 v18, 15, v31
	v_cmp_eq_u32_e64 s[14:15], 0, v18
	v_cmp_lt_u32_e64 s[12:13], 1, v18
	v_cmp_lt_u32_e64 s[10:11], 3, v18
	;; [unrolled: 1-line block ×3, first 2 shown]
	v_and_b32_e32 v18, 16, v31
	v_cmp_eq_u32_e64 s[6:7], 0, v18
	v_or_b32_e32 v18, 63, v0
	v_cmp_lt_u32_e64 s[2:3], 31, v31
	v_lshrrev_b32_e32 v32, 6, v0
	v_cmp_eq_u32_e64 s[4:5], v18, v0
	s_and_b64 vcc, exec, s[36:37]
	s_barrier
	s_cbranch_vccz .LBB1459_242
; %bb.212:
	v_mov_b32_dpp v18, v33 row_shr:1 row_mask:0xf bank_mask:0xf
	v_cndmask_b32_e64 v18, v18, 0, s[14:15]
	v_add_u32_e32 v18, v18, v33
	s_nop 1
	v_mov_b32_dpp v19, v18 row_shr:2 row_mask:0xf bank_mask:0xf
	v_cndmask_b32_e64 v19, 0, v19, s[12:13]
	v_add_u32_e32 v18, v18, v19
	s_nop 1
	;; [unrolled: 4-line block ×4, first 2 shown]
	v_mov_b32_dpp v19, v18 row_bcast:15 row_mask:0xf bank_mask:0xf
	v_cndmask_b32_e64 v19, v19, 0, s[6:7]
	v_add_u32_e32 v18, v18, v19
	s_nop 1
	v_mov_b32_dpp v19, v18 row_bcast:31 row_mask:0xf bank_mask:0xf
	v_cndmask_b32_e64 v19, 0, v19, s[2:3]
	v_add_u32_e32 v18, v18, v19
	s_and_saveexec_b64 s[16:17], s[4:5]
	s_cbranch_execz .LBB1459_214
; %bb.213:
	v_lshlrev_b32_e32 v19, 2, v32
	ds_write_b32 v19, v18
.LBB1459_214:
	s_or_b64 exec, exec, s[16:17]
	v_cmp_gt_u32_e32 vcc, 2, v0
	s_waitcnt lgkmcnt(0)
	s_barrier
	s_and_saveexec_b64 s[16:17], vcc
	s_cbranch_execz .LBB1459_216
; %bb.215:
	ds_read_b32 v19, v1
	v_bfe_i32 v20, v31, 0, 1
	s_waitcnt lgkmcnt(0)
	v_mov_b32_dpp v21, v19 row_shr:1 row_mask:0xf bank_mask:0xf
	v_and_b32_e32 v20, v20, v21
	v_add_u32_e32 v19, v20, v19
	ds_write_b32 v1, v19
.LBB1459_216:
	s_or_b64 exec, exec, s[16:17]
	v_cmp_gt_u32_e32 vcc, 64, v0
	v_cmp_lt_u32_e64 s[16:17], 63, v0
	s_waitcnt lgkmcnt(0)
	s_barrier
	s_waitcnt lgkmcnt(0)
                                        ; implicit-def: $vgpr34
	s_and_saveexec_b64 s[26:27], s[16:17]
	s_cbranch_execz .LBB1459_218
; %bb.217:
	v_lshl_add_u32 v19, v32, 2, -4
	ds_read_b32 v34, v19
	s_waitcnt lgkmcnt(0)
	v_add_u32_e32 v18, v34, v18
.LBB1459_218:
	s_or_b64 exec, exec, s[26:27]
	v_add_u32_e32 v19, -1, v31
	v_and_b32_e32 v20, 64, v31
	v_cmp_lt_i32_e64 s[16:17], v19, v20
	v_cndmask_b32_e64 v19, v19, v31, s[16:17]
	v_lshlrev_b32_e32 v19, 2, v19
	ds_bpermute_b32 v35, v19, v18
	v_cmp_eq_u32_e64 s[16:17], 0, v31
	s_and_saveexec_b64 s[26:27], vcc
	s_cbranch_execz .LBB1459_241
; %bb.219:
	v_mov_b32_e32 v27, 0
	ds_read_b32 v18, v27 offset:4
	s_and_saveexec_b64 s[36:37], s[16:17]
	s_cbranch_execz .LBB1459_221
; %bb.220:
	s_add_i32 s38, s33, 64
	s_mov_b32 s39, 0
	s_lshl_b64 s[38:39], s[38:39], 3
	s_add_u32 s38, s18, s38
	v_mov_b32_e32 v19, 1
	s_addc_u32 s39, s19, s39
	s_waitcnt lgkmcnt(0)
	global_store_dwordx2 v27, v[18:19], s[38:39]
.LBB1459_221:
	s_or_b64 exec, exec, s[36:37]
	v_xad_u32 v20, v31, -1, s33
	v_add_u32_e32 v26, 64, v20
	v_lshlrev_b64 v[22:23], 3, v[26:27]
	v_mov_b32_e32 v19, s19
	v_add_co_u32_e32 v22, vcc, s18, v22
	v_addc_co_u32_e32 v23, vcc, v19, v23, vcc
	global_load_dwordx2 v[24:25], v[22:23], off glc
	s_waitcnt vmcnt(0)
	v_cmp_eq_u16_sdwa s[38:39], v25, v27 src0_sel:BYTE_0 src1_sel:DWORD
	s_and_saveexec_b64 s[36:37], s[38:39]
	s_cbranch_execz .LBB1459_227
; %bb.222:
	s_mov_b32 s40, 1
	s_mov_b64 s[38:39], 0
	v_mov_b32_e32 v19, 0
.LBB1459_223:                           ; =>This Loop Header: Depth=1
                                        ;     Child Loop BB1459_224 Depth 2
	s_max_u32 s41, s40, 1
.LBB1459_224:                           ;   Parent Loop BB1459_223 Depth=1
                                        ; =>  This Inner Loop Header: Depth=2
	s_add_i32 s41, s41, -1
	s_cmp_eq_u32 s41, 0
	s_sleep 1
	s_cbranch_scc0 .LBB1459_224
; %bb.225:                              ;   in Loop: Header=BB1459_223 Depth=1
	global_load_dwordx2 v[24:25], v[22:23], off glc
	s_cmp_lt_u32 s40, 32
	s_cselect_b64 s[42:43], -1, 0
	s_cmp_lg_u64 s[42:43], 0
	s_addc_u32 s40, s40, 0
	s_waitcnt vmcnt(0)
	v_cmp_ne_u16_sdwa s[42:43], v25, v19 src0_sel:BYTE_0 src1_sel:DWORD
	s_or_b64 s[38:39], s[42:43], s[38:39]
	s_andn2_b64 exec, exec, s[38:39]
	s_cbranch_execnz .LBB1459_223
; %bb.226:
	s_or_b64 exec, exec, s[38:39]
.LBB1459_227:
	s_or_b64 exec, exec, s[36:37]
	v_and_b32_e32 v36, 63, v31
	v_mov_b32_e32 v19, 2
	v_cmp_ne_u32_e32 vcc, 63, v36
	v_cmp_eq_u16_sdwa s[36:37], v25, v19 src0_sel:BYTE_0 src1_sel:DWORD
	v_lshlrev_b64 v[22:23], v31, -1
	v_addc_co_u32_e32 v27, vcc, 0, v31, vcc
	v_and_b32_e32 v21, s37, v23
	v_lshlrev_b32_e32 v37, 2, v27
	v_or_b32_e32 v21, 0x80000000, v21
	ds_bpermute_b32 v27, v37, v24
	v_and_b32_e32 v26, s36, v22
	v_ffbl_b32_e32 v21, v21
	v_add_u32_e32 v21, 32, v21
	v_ffbl_b32_e32 v26, v26
	v_min_u32_e32 v21, v26, v21
	v_cmp_lt_u32_e32 vcc, v36, v21
	s_waitcnt lgkmcnt(0)
	v_cndmask_b32_e32 v26, 0, v27, vcc
	v_cmp_gt_u32_e32 vcc, 62, v36
	v_add_u32_e32 v24, v26, v24
	v_cndmask_b32_e64 v26, 0, 1, vcc
	v_lshlrev_b32_e32 v26, 1, v26
	v_add_lshl_u32 v38, v26, v31, 2
	ds_bpermute_b32 v26, v38, v24
	v_add_u32_e32 v39, 2, v36
	v_cmp_le_u32_e32 vcc, v39, v21
	v_add_u32_e32 v41, 4, v36
	v_add_u32_e32 v43, 8, v36
	s_waitcnt lgkmcnt(0)
	v_cndmask_b32_e32 v26, 0, v26, vcc
	v_cmp_gt_u32_e32 vcc, 60, v36
	v_add_u32_e32 v24, v24, v26
	v_cndmask_b32_e64 v26, 0, 1, vcc
	v_lshlrev_b32_e32 v26, 2, v26
	v_add_lshl_u32 v40, v26, v31, 2
	ds_bpermute_b32 v26, v40, v24
	v_cmp_le_u32_e32 vcc, v41, v21
	v_add_u32_e32 v46, 16, v36
	v_add_u32_e32 v48, 32, v36
	s_waitcnt lgkmcnt(0)
	v_cndmask_b32_e32 v26, 0, v26, vcc
	v_cmp_gt_u32_e32 vcc, 56, v36
	v_add_u32_e32 v24, v24, v26
	v_cndmask_b32_e64 v26, 0, 1, vcc
	v_lshlrev_b32_e32 v26, 3, v26
	v_add_lshl_u32 v42, v26, v31, 2
	ds_bpermute_b32 v26, v42, v24
	v_cmp_le_u32_e32 vcc, v43, v21
	s_waitcnt lgkmcnt(0)
	v_cndmask_b32_e32 v26, 0, v26, vcc
	v_cmp_gt_u32_e32 vcc, 48, v36
	v_add_u32_e32 v24, v24, v26
	v_cndmask_b32_e64 v26, 0, 1, vcc
	v_lshlrev_b32_e32 v26, 4, v26
	v_add_lshl_u32 v45, v26, v31, 2
	ds_bpermute_b32 v26, v45, v24
	v_cmp_le_u32_e32 vcc, v46, v21
	;; [unrolled: 9-line block ×3, first 2 shown]
	s_waitcnt lgkmcnt(0)
	v_cndmask_b32_e32 v21, 0, v26, vcc
	v_add_u32_e32 v24, v24, v21
	v_mov_b32_e32 v21, 0
	s_branch .LBB1459_229
.LBB1459_228:                           ;   in Loop: Header=BB1459_229 Depth=1
	s_or_b64 exec, exec, s[36:37]
	v_cmp_eq_u16_sdwa s[36:37], v25, v19 src0_sel:BYTE_0 src1_sel:DWORD
	v_and_b32_e32 v26, s37, v23
	v_or_b32_e32 v26, 0x80000000, v26
	ds_bpermute_b32 v49, v37, v24
	v_and_b32_e32 v27, s36, v22
	v_ffbl_b32_e32 v26, v26
	v_add_u32_e32 v26, 32, v26
	v_ffbl_b32_e32 v27, v27
	v_min_u32_e32 v26, v27, v26
	v_cmp_lt_u32_e32 vcc, v36, v26
	s_waitcnt lgkmcnt(0)
	v_cndmask_b32_e32 v27, 0, v49, vcc
	v_add_u32_e32 v24, v27, v24
	ds_bpermute_b32 v27, v38, v24
	v_cmp_le_u32_e32 vcc, v39, v26
	v_subrev_u32_e32 v20, 64, v20
	s_waitcnt lgkmcnt(0)
	v_cndmask_b32_e32 v27, 0, v27, vcc
	v_add_u32_e32 v24, v24, v27
	ds_bpermute_b32 v27, v40, v24
	v_cmp_le_u32_e32 vcc, v41, v26
	s_waitcnt lgkmcnt(0)
	v_cndmask_b32_e32 v27, 0, v27, vcc
	v_add_u32_e32 v24, v24, v27
	ds_bpermute_b32 v27, v42, v24
	v_cmp_le_u32_e32 vcc, v43, v26
	;; [unrolled: 5-line block ×4, first 2 shown]
	s_waitcnt lgkmcnt(0)
	v_cndmask_b32_e32 v26, 0, v27, vcc
	v_add3_u32 v24, v26, v44, v24
.LBB1459_229:                           ; =>This Loop Header: Depth=1
                                        ;     Child Loop BB1459_232 Depth 2
                                        ;       Child Loop BB1459_233 Depth 3
	v_cmp_ne_u16_sdwa s[36:37], v25, v19 src0_sel:BYTE_0 src1_sel:DWORD
	v_cndmask_b32_e64 v25, 0, 1, s[36:37]
	;;#ASMSTART
	;;#ASMEND
	v_cmp_ne_u32_e32 vcc, 0, v25
	s_cmp_lg_u64 vcc, exec
	v_mov_b32_e32 v44, v24
	s_cbranch_scc1 .LBB1459_236
; %bb.230:                              ;   in Loop: Header=BB1459_229 Depth=1
	v_lshlrev_b64 v[24:25], 3, v[20:21]
	v_mov_b32_e32 v27, s19
	v_add_co_u32_e32 v26, vcc, s18, v24
	v_addc_co_u32_e32 v27, vcc, v27, v25, vcc
	global_load_dwordx2 v[24:25], v[26:27], off glc
	s_waitcnt vmcnt(0)
	v_cmp_eq_u16_sdwa s[38:39], v25, v21 src0_sel:BYTE_0 src1_sel:DWORD
	s_and_saveexec_b64 s[36:37], s[38:39]
	s_cbranch_execz .LBB1459_228
; %bb.231:                              ;   in Loop: Header=BB1459_229 Depth=1
	s_mov_b32 s40, 1
	s_mov_b64 s[38:39], 0
.LBB1459_232:                           ;   Parent Loop BB1459_229 Depth=1
                                        ; =>  This Loop Header: Depth=2
                                        ;       Child Loop BB1459_233 Depth 3
	s_max_u32 s41, s40, 1
.LBB1459_233:                           ;   Parent Loop BB1459_229 Depth=1
                                        ;     Parent Loop BB1459_232 Depth=2
                                        ; =>    This Inner Loop Header: Depth=3
	s_add_i32 s41, s41, -1
	s_cmp_eq_u32 s41, 0
	s_sleep 1
	s_cbranch_scc0 .LBB1459_233
; %bb.234:                              ;   in Loop: Header=BB1459_232 Depth=2
	global_load_dwordx2 v[24:25], v[26:27], off glc
	s_cmp_lt_u32 s40, 32
	s_cselect_b64 s[42:43], -1, 0
	s_cmp_lg_u64 s[42:43], 0
	s_addc_u32 s40, s40, 0
	s_waitcnt vmcnt(0)
	v_cmp_ne_u16_sdwa s[42:43], v25, v21 src0_sel:BYTE_0 src1_sel:DWORD
	s_or_b64 s[38:39], s[42:43], s[38:39]
	s_andn2_b64 exec, exec, s[38:39]
	s_cbranch_execnz .LBB1459_232
; %bb.235:                              ;   in Loop: Header=BB1459_229 Depth=1
	s_or_b64 exec, exec, s[38:39]
	s_branch .LBB1459_228
.LBB1459_236:                           ;   in Loop: Header=BB1459_229 Depth=1
                                        ; implicit-def: $vgpr24
                                        ; implicit-def: $vgpr25
	s_cbranch_execz .LBB1459_229
; %bb.237:
	s_and_saveexec_b64 s[36:37], s[16:17]
	s_cbranch_execz .LBB1459_239
; %bb.238:
	s_add_i32 s38, s33, 64
	s_mov_b32 s39, 0
	s_lshl_b64 s[38:39], s[38:39], 3
	s_add_u32 s38, s18, s38
	v_add_u32_e32 v20, v44, v18
	v_mov_b32_e32 v21, 2
	s_addc_u32 s39, s19, s39
	v_mov_b32_e32 v19, 0
	s_movk_i32 s33, 0x1000
	global_store_dwordx2 v19, v[20:21], s[38:39]
	v_add_u32_e64 v19, s33, 0
	ds_write2_b32 v19, v18, v44 offset0:32 offset1:34
.LBB1459_239:
	s_or_b64 exec, exec, s[36:37]
	s_and_b64 exec, exec, s[0:1]
	s_cbranch_execz .LBB1459_241
; %bb.240:
	v_mov_b32_e32 v18, 0
	ds_write_b32 v18, v44 offset:4
.LBB1459_241:
	s_or_b64 exec, exec, s[26:27]
	v_mov_b32_e32 v19, 0
	s_waitcnt lgkmcnt(0)
	s_barrier
	ds_read_b32 v19, v19 offset:4
	v_cndmask_b32_e64 v18, v35, v34, s[16:17]
	s_movk_i32 s16, 0x1000
	v_add_u32_e64 v20, s16, 0
	s_waitcnt lgkmcnt(0)
	s_barrier
	ds_read2_b32 v[26:27], v20 offset0:32 offset1:34
	v_cndmask_b32_e64 v18, v18, 0, s[0:1]
	v_add_u32_e32 v24, v19, v18
	v_add_u32_sdwa v22, v24, v28 dst_sel:DWORD dst_unused:UNUSED_PAD src0_sel:DWORD src1_sel:BYTE_0
	v_add_u32_sdwa v20, v22, v28 dst_sel:DWORD dst_unused:UNUSED_PAD src0_sel:DWORD src1_sel:BYTE_1
	v_add_u32_e32 v18, v20, v30
	s_waitcnt lgkmcnt(0)
	v_readfirstlane_b32 s33, v26
	v_readfirstlane_b32 s16, v27
	s_branch .LBB1459_252
.LBB1459_242:
                                        ; implicit-def: $vgpr18
                                        ; implicit-def: $vgpr20
                                        ; implicit-def: $vgpr22
                                        ; implicit-def: $vgpr24
                                        ; implicit-def: $sgpr16
                                        ; implicit-def: $sgpr33
	s_cbranch_execz .LBB1459_252
; %bb.243:
	s_nop 0
	v_mov_b32_dpp v18, v33 row_shr:1 row_mask:0xf bank_mask:0xf
	v_cndmask_b32_e64 v18, v18, 0, s[14:15]
	v_add_u32_e32 v18, v18, v33
	s_nop 1
	v_mov_b32_dpp v19, v18 row_shr:2 row_mask:0xf bank_mask:0xf
	v_cndmask_b32_e64 v19, 0, v19, s[12:13]
	v_add_u32_e32 v18, v18, v19
	;; [unrolled: 4-line block ×4, first 2 shown]
	s_nop 1
	v_mov_b32_dpp v19, v18 row_bcast:15 row_mask:0xf bank_mask:0xf
	v_cndmask_b32_e64 v19, v19, 0, s[6:7]
	v_add_u32_e32 v18, v18, v19
	s_nop 1
	v_mov_b32_dpp v19, v18 row_bcast:31 row_mask:0xf bank_mask:0xf
	v_cndmask_b32_e64 v19, 0, v19, s[2:3]
	v_add_u32_e32 v18, v18, v19
	s_and_saveexec_b64 s[2:3], s[4:5]
	s_cbranch_execz .LBB1459_245
; %bb.244:
	v_lshlrev_b32_e32 v19, 2, v32
	ds_write_b32 v19, v18
.LBB1459_245:
	s_or_b64 exec, exec, s[2:3]
	v_cmp_gt_u32_e32 vcc, 2, v0
	s_waitcnt lgkmcnt(0)
	s_barrier
	s_and_saveexec_b64 s[2:3], vcc
	s_cbranch_execz .LBB1459_247
; %bb.246:
	ds_read_b32 v19, v1
	v_bfe_i32 v20, v31, 0, 1
	s_waitcnt lgkmcnt(0)
	v_mov_b32_dpp v21, v19 row_shr:1 row_mask:0xf bank_mask:0xf
	v_and_b32_e32 v20, v20, v21
	v_add_u32_e32 v19, v20, v19
	ds_write_b32 v1, v19
.LBB1459_247:
	s_or_b64 exec, exec, s[2:3]
	v_cmp_lt_u32_e32 vcc, 63, v0
	v_mov_b32_e32 v19, 0
	v_mov_b32_e32 v1, 0
	s_waitcnt lgkmcnt(0)
	s_barrier
	s_and_saveexec_b64 s[2:3], vcc
	s_cbranch_execz .LBB1459_249
; %bb.248:
	v_lshl_add_u32 v1, v32, 2, -4
	ds_read_b32 v1, v1
.LBB1459_249:
	s_or_b64 exec, exec, s[2:3]
	v_add_u32_e32 v20, -1, v31
	v_and_b32_e32 v21, 64, v31
	v_cmp_lt_i32_e32 vcc, v20, v21
	v_cndmask_b32_e32 v20, v20, v31, vcc
	s_waitcnt lgkmcnt(0)
	v_add_u32_e32 v18, v1, v18
	v_lshlrev_b32_e32 v20, 2, v20
	ds_read_b32 v19, v19 offset:4
	ds_bpermute_b32 v18, v20, v18
	s_waitcnt lgkmcnt(1)
	v_readfirstlane_b32 s33, v19
	s_and_saveexec_b64 s[2:3], s[0:1]
	s_cbranch_execz .LBB1459_251
; %bb.250:
	v_mov_b32_e32 v19, 0
	v_mov_b32_e32 v20, s33
	;; [unrolled: 1-line block ×3, first 2 shown]
	global_store_dwordx2 v19, v[20:21], s[18:19] offset:512
.LBB1459_251:
	s_or_b64 exec, exec, s[2:3]
	v_cmp_eq_u32_e32 vcc, 0, v31
	s_waitcnt lgkmcnt(0)
	v_cndmask_b32_e32 v1, v18, v1, vcc
	v_cndmask_b32_e64 v24, v1, 0, s[0:1]
	v_add_u32_sdwa v22, v24, v28 dst_sel:DWORD dst_unused:UNUSED_PAD src0_sel:DWORD src1_sel:BYTE_0
	v_add_u32_sdwa v20, v22, v28 dst_sel:DWORD dst_unused:UNUSED_PAD src0_sel:DWORD src1_sel:BYTE_1
	s_mov_b32 s16, 0
	v_add_u32_e32 v18, v20, v30
	s_barrier
.LBB1459_252:
	s_cmpk_lt_u32 s33, 0x81
	s_cselect_b64 s[4:5], -1, 0
	v_lshrrev_b32_e32 v1, 8, v28
	s_mov_b64 s[2:3], -1
	s_and_b64 vcc, exec, s[4:5]
	s_cbranch_vccz .LBB1459_266
; %bb.253:
	s_add_i32 s6, s16, s33
	v_cmp_gt_u32_e32 vcc, s6, v24
	s_or_b64 s[8:9], s[34:35], vcc
	s_and_saveexec_b64 s[2:3], s[8:9]
	s_cbranch_execz .LBB1459_256
; %bb.254:
	v_and_b32_e32 v19, 1, v28
	v_cmp_eq_u32_e32 vcc, 1, v19
	s_and_b64 exec, exec, vcc
	s_cbranch_execz .LBB1459_256
; %bb.255:
	s_lshl_b64 s[8:9], s[22:23], 3
	s_add_u32 s7, s28, s8
	v_mov_b32_e32 v25, 0
	s_addc_u32 s8, s29, s9
	v_lshlrev_b64 v[26:27], 3, v[24:25]
	v_mov_b32_e32 v19, s8
	v_add_co_u32_e32 v26, vcc, s7, v26
	v_addc_co_u32_e32 v27, vcc, v19, v27, vcc
	global_store_dwordx2 v[26:27], v[14:15], off
.LBB1459_256:
	s_or_b64 exec, exec, s[2:3]
	v_cmp_gt_u32_e32 vcc, s6, v22
	s_or_b64 s[8:9], s[34:35], vcc
	s_and_saveexec_b64 s[2:3], s[8:9]
	s_cbranch_execz .LBB1459_259
; %bb.257:
	v_and_b32_e32 v19, 1, v1
	v_cmp_eq_u32_e32 vcc, 1, v19
	s_and_b64 exec, exec, vcc
	s_cbranch_execz .LBB1459_259
; %bb.258:
	s_lshl_b64 s[8:9], s[22:23], 3
	s_add_u32 s7, s28, s8
	v_mov_b32_e32 v23, 0
	s_addc_u32 s8, s29, s9
	v_lshlrev_b64 v[26:27], 3, v[22:23]
	v_mov_b32_e32 v19, s8
	v_add_co_u32_e32 v26, vcc, s7, v26
	v_addc_co_u32_e32 v27, vcc, v19, v27, vcc
	global_store_dwordx2 v[26:27], v[16:17], off
.LBB1459_259:
	s_or_b64 exec, exec, s[2:3]
	v_cmp_gt_u32_e32 vcc, s6, v20
	s_or_b64 s[8:9], s[34:35], vcc
	s_and_saveexec_b64 s[2:3], s[8:9]
	s_cbranch_execz .LBB1459_262
; %bb.260:
	v_mov_b32_e32 v19, 1
	v_and_b32_sdwa v19, v19, v28 dst_sel:DWORD dst_unused:UNUSED_PAD src0_sel:DWORD src1_sel:WORD_1
	v_cmp_eq_u32_e32 vcc, 1, v19
	s_and_b64 exec, exec, vcc
	s_cbranch_execz .LBB1459_262
; %bb.261:
	s_lshl_b64 s[8:9], s[22:23], 3
	s_add_u32 s7, s28, s8
	v_mov_b32_e32 v21, 0
	s_addc_u32 s8, s29, s9
	v_lshlrev_b64 v[26:27], 3, v[20:21]
	v_mov_b32_e32 v19, s8
	v_add_co_u32_e32 v26, vcc, s7, v26
	v_addc_co_u32_e32 v27, vcc, v19, v27, vcc
	global_store_dwordx2 v[26:27], v[10:11], off
.LBB1459_262:
	s_or_b64 exec, exec, s[2:3]
	v_cmp_gt_u32_e32 vcc, s6, v18
	s_or_b64 s[6:7], s[34:35], vcc
	s_and_saveexec_b64 s[2:3], s[6:7]
	s_cbranch_execz .LBB1459_265
; %bb.263:
	v_and_b32_e32 v19, 1, v29
	v_cmp_eq_u32_e32 vcc, 1, v19
	s_and_b64 exec, exec, vcc
	s_cbranch_execz .LBB1459_265
; %bb.264:
	s_lshl_b64 s[6:7], s[22:23], 3
	s_add_u32 s6, s28, s6
	v_mov_b32_e32 v19, 0
	s_addc_u32 s7, s29, s7
	v_lshlrev_b64 v[26:27], 3, v[18:19]
	v_mov_b32_e32 v19, s7
	v_add_co_u32_e32 v26, vcc, s6, v26
	v_addc_co_u32_e32 v27, vcc, v19, v27, vcc
	global_store_dwordx2 v[26:27], v[12:13], off
.LBB1459_265:
	s_or_b64 exec, exec, s[2:3]
	s_mov_b64 s[2:3], 0
.LBB1459_266:
	v_and_b32_e32 v26, 1, v28
	s_and_b64 vcc, exec, s[2:3]
	v_cmp_eq_u32_e64 s[2:3], 1, v26
	s_cbranch_vccz .LBB1459_279
; %bb.267:
	s_and_saveexec_b64 s[6:7], s[2:3]
	s_cbranch_execz .LBB1459_269
; %bb.268:
	v_subrev_u32_e32 v19, s16, v24
	v_lshlrev_b32_e32 v19, 3, v19
	ds_write_b64 v19, v[14:15]
.LBB1459_269:
	s_or_b64 exec, exec, s[6:7]
	v_and_b32_e32 v14, 1, v1
	v_cmp_eq_u32_e32 vcc, 1, v14
	s_and_saveexec_b64 s[2:3], vcc
	s_cbranch_execz .LBB1459_271
; %bb.270:
	v_subrev_u32_e32 v14, s16, v22
	v_lshlrev_b32_e32 v14, 3, v14
	ds_write_b64 v14, v[16:17]
.LBB1459_271:
	s_or_b64 exec, exec, s[2:3]
	v_mov_b32_e32 v14, 1
	v_and_b32_sdwa v14, v14, v28 dst_sel:DWORD dst_unused:UNUSED_PAD src0_sel:DWORD src1_sel:WORD_1
	v_cmp_eq_u32_e32 vcc, 1, v14
	s_and_saveexec_b64 s[2:3], vcc
	s_cbranch_execz .LBB1459_273
; %bb.272:
	v_subrev_u32_e32 v14, s16, v20
	v_lshlrev_b32_e32 v14, 3, v14
	ds_write_b64 v14, v[10:11]
.LBB1459_273:
	s_or_b64 exec, exec, s[2:3]
	v_and_b32_e32 v10, 1, v29
	v_cmp_eq_u32_e32 vcc, 1, v10
	s_and_saveexec_b64 s[2:3], vcc
	s_cbranch_execz .LBB1459_275
; %bb.274:
	v_subrev_u32_e32 v10, s16, v18
	v_lshlrev_b32_e32 v10, 3, v10
	ds_write_b64 v10, v[12:13]
.LBB1459_275:
	s_or_b64 exec, exec, s[2:3]
	v_cmp_gt_u32_e32 vcc, s33, v0
	s_waitcnt lgkmcnt(0)
	s_barrier
	s_and_saveexec_b64 s[2:3], vcc
	s_cbranch_execz .LBB1459_278
; %bb.276:
	s_mov_b32 s17, 0
	s_lshl_b64 s[6:7], s[16:17], 3
	s_add_u32 s8, s28, s6
	s_addc_u32 s9, s29, s7
	s_lshl_b64 s[6:7], s[22:23], 3
	s_add_u32 s8, s8, s6
	s_addc_u32 s9, s9, s7
	v_lshlrev_b32_e32 v12, 3, v0
	s_mov_b64 s[6:7], 0
	v_mov_b32_e32 v11, 0
	v_mov_b32_e32 v13, s9
	;; [unrolled: 1-line block ×3, first 2 shown]
.LBB1459_277:                           ; =>This Inner Loop Header: Depth=1
	ds_read_b64 v[14:15], v12
	v_lshlrev_b64 v[16:17], 3, v[10:11]
	v_add_co_u32_e32 v16, vcc, s8, v16
	v_add_u32_e32 v10, 0x80, v10
	v_addc_co_u32_e32 v17, vcc, v13, v17, vcc
	v_cmp_le_u32_e32 vcc, s33, v10
	v_add_u32_e32 v12, 0x400, v12
	s_or_b64 s[6:7], vcc, s[6:7]
	s_waitcnt lgkmcnt(0)
	global_store_dwordx2 v[16:17], v[14:15], off
	s_andn2_b64 exec, exec, s[6:7]
	s_cbranch_execnz .LBB1459_277
.LBB1459_278:
	s_or_b64 exec, exec, s[2:3]
.LBB1459_279:
	s_mov_b64 s[2:3], -1
	s_and_b64 vcc, exec, s[4:5]
	s_barrier
	s_cbranch_vccnz .LBB1459_283
; %bb.280:
	s_and_b64 vcc, exec, s[2:3]
	s_cbranch_vccnz .LBB1459_296
.LBB1459_281:
	s_and_b64 s[0:1], s[0:1], s[24:25]
	s_and_saveexec_b64 s[2:3], s[0:1]
	s_cbranch_execnz .LBB1459_308
.LBB1459_282:
	s_endpgm
.LBB1459_283:
	s_add_i32 s4, s16, s33
	v_cmp_gt_u32_e32 vcc, s4, v24
	s_or_b64 s[6:7], s[34:35], vcc
	s_and_saveexec_b64 s[2:3], s[6:7]
	s_cbranch_execz .LBB1459_286
; %bb.284:
	v_cmp_eq_u32_e32 vcc, 1, v26
	s_and_b64 exec, exec, vcc
	s_cbranch_execz .LBB1459_286
; %bb.285:
	s_lshl_b64 s[6:7], s[22:23], 3
	s_add_u32 s5, s30, s6
	v_mov_b32_e32 v25, 0
	s_addc_u32 s6, s31, s7
	v_lshlrev_b64 v[10:11], 3, v[24:25]
	v_mov_b32_e32 v12, s6
	v_add_co_u32_e32 v10, vcc, s5, v10
	v_addc_co_u32_e32 v11, vcc, v12, v11, vcc
	global_store_dwordx2 v[10:11], v[6:7], off
.LBB1459_286:
	s_or_b64 exec, exec, s[2:3]
	v_cmp_gt_u32_e32 vcc, s4, v22
	s_or_b64 s[6:7], s[34:35], vcc
	s_and_saveexec_b64 s[2:3], s[6:7]
	s_cbranch_execz .LBB1459_289
; %bb.287:
	v_and_b32_e32 v10, 1, v1
	v_cmp_eq_u32_e32 vcc, 1, v10
	s_and_b64 exec, exec, vcc
	s_cbranch_execz .LBB1459_289
; %bb.288:
	s_lshl_b64 s[6:7], s[22:23], 3
	s_add_u32 s5, s30, s6
	v_mov_b32_e32 v23, 0
	s_addc_u32 s6, s31, s7
	v_lshlrev_b64 v[10:11], 3, v[22:23]
	v_mov_b32_e32 v12, s6
	v_add_co_u32_e32 v10, vcc, s5, v10
	v_addc_co_u32_e32 v11, vcc, v12, v11, vcc
	global_store_dwordx2 v[10:11], v[8:9], off
.LBB1459_289:
	s_or_b64 exec, exec, s[2:3]
	v_cmp_gt_u32_e32 vcc, s4, v20
	s_or_b64 s[6:7], s[34:35], vcc
	s_and_saveexec_b64 s[2:3], s[6:7]
	s_cbranch_execz .LBB1459_292
; %bb.290:
	v_mov_b32_e32 v10, 1
	v_and_b32_sdwa v10, v10, v28 dst_sel:DWORD dst_unused:UNUSED_PAD src0_sel:DWORD src1_sel:WORD_1
	v_cmp_eq_u32_e32 vcc, 1, v10
	s_and_b64 exec, exec, vcc
	s_cbranch_execz .LBB1459_292
; %bb.291:
	s_lshl_b64 s[6:7], s[22:23], 3
	s_add_u32 s5, s30, s6
	v_mov_b32_e32 v21, 0
	s_addc_u32 s6, s31, s7
	v_lshlrev_b64 v[10:11], 3, v[20:21]
	v_mov_b32_e32 v12, s6
	v_add_co_u32_e32 v10, vcc, s5, v10
	v_addc_co_u32_e32 v11, vcc, v12, v11, vcc
	global_store_dwordx2 v[10:11], v[2:3], off
.LBB1459_292:
	s_or_b64 exec, exec, s[2:3]
	v_cmp_gt_u32_e32 vcc, s4, v18
	s_or_b64 s[4:5], s[34:35], vcc
	s_and_saveexec_b64 s[2:3], s[4:5]
	s_cbranch_execz .LBB1459_295
; %bb.293:
	v_and_b32_e32 v10, 1, v29
	v_cmp_eq_u32_e32 vcc, 1, v10
	s_and_b64 exec, exec, vcc
	s_cbranch_execz .LBB1459_295
; %bb.294:
	s_lshl_b64 s[4:5], s[22:23], 3
	s_add_u32 s4, s30, s4
	v_mov_b32_e32 v19, 0
	s_addc_u32 s5, s31, s5
	v_lshlrev_b64 v[10:11], 3, v[18:19]
	v_mov_b32_e32 v12, s5
	v_add_co_u32_e32 v10, vcc, s4, v10
	v_addc_co_u32_e32 v11, vcc, v12, v11, vcc
	global_store_dwordx2 v[10:11], v[4:5], off
.LBB1459_295:
	s_or_b64 exec, exec, s[2:3]
	s_branch .LBB1459_281
.LBB1459_296:
	v_cmp_eq_u32_e32 vcc, 1, v26
	s_and_saveexec_b64 s[2:3], vcc
	s_cbranch_execz .LBB1459_298
; %bb.297:
	v_subrev_u32_e32 v10, s16, v24
	v_lshlrev_b32_e32 v10, 3, v10
	ds_write_b64 v10, v[6:7]
.LBB1459_298:
	s_or_b64 exec, exec, s[2:3]
	v_and_b32_e32 v1, 1, v1
	v_cmp_eq_u32_e32 vcc, 1, v1
	s_and_saveexec_b64 s[2:3], vcc
	s_cbranch_execz .LBB1459_300
; %bb.299:
	v_subrev_u32_e32 v1, s16, v22
	v_lshlrev_b32_e32 v1, 3, v1
	ds_write_b64 v1, v[8:9]
.LBB1459_300:
	s_or_b64 exec, exec, s[2:3]
	v_mov_b32_e32 v1, 1
	v_and_b32_sdwa v1, v1, v28 dst_sel:DWORD dst_unused:UNUSED_PAD src0_sel:DWORD src1_sel:WORD_1
	v_cmp_eq_u32_e32 vcc, 1, v1
	s_and_saveexec_b64 s[2:3], vcc
	s_cbranch_execz .LBB1459_302
; %bb.301:
	v_subrev_u32_e32 v1, s16, v20
	v_lshlrev_b32_e32 v1, 3, v1
	ds_write_b64 v1, v[2:3]
.LBB1459_302:
	s_or_b64 exec, exec, s[2:3]
	v_and_b32_e32 v1, 1, v29
	v_cmp_eq_u32_e32 vcc, 1, v1
	s_and_saveexec_b64 s[2:3], vcc
	s_cbranch_execz .LBB1459_304
; %bb.303:
	v_subrev_u32_e32 v1, s16, v18
	v_lshlrev_b32_e32 v1, 3, v1
	ds_write_b64 v1, v[4:5]
.LBB1459_304:
	s_or_b64 exec, exec, s[2:3]
	v_cmp_gt_u32_e32 vcc, s33, v0
	s_waitcnt lgkmcnt(0)
	s_barrier
	s_and_saveexec_b64 s[2:3], vcc
	s_cbranch_execz .LBB1459_307
; %bb.305:
	s_mov_b32 s17, 0
	s_lshl_b64 s[4:5], s[16:17], 3
	s_add_u32 s6, s30, s4
	s_addc_u32 s7, s31, s5
	s_lshl_b64 s[4:5], s[22:23], 3
	s_add_u32 s6, s6, s4
	s_addc_u32 s7, s7, s5
	v_lshlrev_b32_e32 v2, 3, v0
	s_mov_b64 s[4:5], 0
	v_mov_b32_e32 v1, 0
	v_mov_b32_e32 v3, s7
.LBB1459_306:                           ; =>This Inner Loop Header: Depth=1
	ds_read_b64 v[4:5], v2
	v_lshlrev_b64 v[6:7], 3, v[0:1]
	v_add_co_u32_e32 v6, vcc, s6, v6
	v_add_u32_e32 v0, 0x80, v0
	v_addc_co_u32_e32 v7, vcc, v3, v7, vcc
	v_cmp_le_u32_e32 vcc, s33, v0
	v_add_u32_e32 v2, 0x400, v2
	s_or_b64 s[4:5], vcc, s[4:5]
	s_waitcnt lgkmcnt(0)
	global_store_dwordx2 v[6:7], v[4:5], off
	s_andn2_b64 exec, exec, s[4:5]
	s_cbranch_execnz .LBB1459_306
.LBB1459_307:
	s_or_b64 exec, exec, s[2:3]
	s_and_b64 s[0:1], s[0:1], s[24:25]
	s_and_saveexec_b64 s[2:3], s[0:1]
	s_cbranch_execz .LBB1459_282
.LBB1459_308:
	s_add_u32 s0, s22, s33
	s_addc_u32 s1, s23, 0
	s_add_u32 s0, s0, s16
	s_addc_u32 s1, s1, 0
	v_mov_b32_e32 v2, 0
	v_pk_mov_b32 v[0:1], s[0:1], s[0:1] op_sel:[0,1]
	global_store_dwordx2 v2, v[0:1], s[20:21]
	s_endpgm
	.section	.rodata,"a",@progbits
	.p2align	6, 0x0
	.amdhsa_kernel _ZN7rocprim17ROCPRIM_400000_NS6detail17trampoline_kernelINS0_14default_configENS1_25partition_config_selectorILNS1_17partition_subalgoE9EllbEEZZNS1_14partition_implILS5_9ELb0ES3_jPlS8_PNS0_10empty_typeENS0_5tupleIJS8_S9_EEENSB_IJS8_SA_EEENS0_18inequality_wrapperIZN2at6native12_GLOBAL__N_124unique_dim_cuda_templateItEESt5tupleIJNSF_6TensorESK_SK_EERKSK_lbbbEUlllE0_EEPmJS9_EEE10hipError_tPvRmT3_T4_T5_T6_T7_T9_mT8_P12ihipStream_tbDpT10_ENKUlT_T0_E_clISt17integral_constantIbLb1EES1A_EEDaS15_S16_EUlS15_E_NS1_11comp_targetILNS1_3genE4ELNS1_11target_archE910ELNS1_3gpuE8ELNS1_3repE0EEENS1_30default_config_static_selectorELNS0_4arch9wavefront6targetE1EEEvT1_
		.amdhsa_group_segment_fixed_size 4236
		.amdhsa_private_segment_fixed_size 0
		.amdhsa_kernarg_size 136
		.amdhsa_user_sgpr_count 6
		.amdhsa_user_sgpr_private_segment_buffer 1
		.amdhsa_user_sgpr_dispatch_ptr 0
		.amdhsa_user_sgpr_queue_ptr 0
		.amdhsa_user_sgpr_kernarg_segment_ptr 1
		.amdhsa_user_sgpr_dispatch_id 0
		.amdhsa_user_sgpr_flat_scratch_init 0
		.amdhsa_user_sgpr_kernarg_preload_length 0
		.amdhsa_user_sgpr_kernarg_preload_offset 0
		.amdhsa_user_sgpr_private_segment_size 0
		.amdhsa_uses_dynamic_stack 0
		.amdhsa_system_sgpr_private_segment_wavefront_offset 0
		.amdhsa_system_sgpr_workgroup_id_x 1
		.amdhsa_system_sgpr_workgroup_id_y 0
		.amdhsa_system_sgpr_workgroup_id_z 0
		.amdhsa_system_sgpr_workgroup_info 0
		.amdhsa_system_vgpr_workitem_id 0
		.amdhsa_next_free_vgpr 50
		.amdhsa_next_free_sgpr 52
		.amdhsa_accum_offset 52
		.amdhsa_reserve_vcc 1
		.amdhsa_reserve_flat_scratch 0
		.amdhsa_float_round_mode_32 0
		.amdhsa_float_round_mode_16_64 0
		.amdhsa_float_denorm_mode_32 3
		.amdhsa_float_denorm_mode_16_64 3
		.amdhsa_dx10_clamp 1
		.amdhsa_ieee_mode 1
		.amdhsa_fp16_overflow 0
		.amdhsa_tg_split 0
		.amdhsa_exception_fp_ieee_invalid_op 0
		.amdhsa_exception_fp_denorm_src 0
		.amdhsa_exception_fp_ieee_div_zero 0
		.amdhsa_exception_fp_ieee_overflow 0
		.amdhsa_exception_fp_ieee_underflow 0
		.amdhsa_exception_fp_ieee_inexact 0
		.amdhsa_exception_int_div_zero 0
	.end_amdhsa_kernel
	.section	.text._ZN7rocprim17ROCPRIM_400000_NS6detail17trampoline_kernelINS0_14default_configENS1_25partition_config_selectorILNS1_17partition_subalgoE9EllbEEZZNS1_14partition_implILS5_9ELb0ES3_jPlS8_PNS0_10empty_typeENS0_5tupleIJS8_S9_EEENSB_IJS8_SA_EEENS0_18inequality_wrapperIZN2at6native12_GLOBAL__N_124unique_dim_cuda_templateItEESt5tupleIJNSF_6TensorESK_SK_EERKSK_lbbbEUlllE0_EEPmJS9_EEE10hipError_tPvRmT3_T4_T5_T6_T7_T9_mT8_P12ihipStream_tbDpT10_ENKUlT_T0_E_clISt17integral_constantIbLb1EES1A_EEDaS15_S16_EUlS15_E_NS1_11comp_targetILNS1_3genE4ELNS1_11target_archE910ELNS1_3gpuE8ELNS1_3repE0EEENS1_30default_config_static_selectorELNS0_4arch9wavefront6targetE1EEEvT1_,"axG",@progbits,_ZN7rocprim17ROCPRIM_400000_NS6detail17trampoline_kernelINS0_14default_configENS1_25partition_config_selectorILNS1_17partition_subalgoE9EllbEEZZNS1_14partition_implILS5_9ELb0ES3_jPlS8_PNS0_10empty_typeENS0_5tupleIJS8_S9_EEENSB_IJS8_SA_EEENS0_18inequality_wrapperIZN2at6native12_GLOBAL__N_124unique_dim_cuda_templateItEESt5tupleIJNSF_6TensorESK_SK_EERKSK_lbbbEUlllE0_EEPmJS9_EEE10hipError_tPvRmT3_T4_T5_T6_T7_T9_mT8_P12ihipStream_tbDpT10_ENKUlT_T0_E_clISt17integral_constantIbLb1EES1A_EEDaS15_S16_EUlS15_E_NS1_11comp_targetILNS1_3genE4ELNS1_11target_archE910ELNS1_3gpuE8ELNS1_3repE0EEENS1_30default_config_static_selectorELNS0_4arch9wavefront6targetE1EEEvT1_,comdat
.Lfunc_end1459:
	.size	_ZN7rocprim17ROCPRIM_400000_NS6detail17trampoline_kernelINS0_14default_configENS1_25partition_config_selectorILNS1_17partition_subalgoE9EllbEEZZNS1_14partition_implILS5_9ELb0ES3_jPlS8_PNS0_10empty_typeENS0_5tupleIJS8_S9_EEENSB_IJS8_SA_EEENS0_18inequality_wrapperIZN2at6native12_GLOBAL__N_124unique_dim_cuda_templateItEESt5tupleIJNSF_6TensorESK_SK_EERKSK_lbbbEUlllE0_EEPmJS9_EEE10hipError_tPvRmT3_T4_T5_T6_T7_T9_mT8_P12ihipStream_tbDpT10_ENKUlT_T0_E_clISt17integral_constantIbLb1EES1A_EEDaS15_S16_EUlS15_E_NS1_11comp_targetILNS1_3genE4ELNS1_11target_archE910ELNS1_3gpuE8ELNS1_3repE0EEENS1_30default_config_static_selectorELNS0_4arch9wavefront6targetE1EEEvT1_, .Lfunc_end1459-_ZN7rocprim17ROCPRIM_400000_NS6detail17trampoline_kernelINS0_14default_configENS1_25partition_config_selectorILNS1_17partition_subalgoE9EllbEEZZNS1_14partition_implILS5_9ELb0ES3_jPlS8_PNS0_10empty_typeENS0_5tupleIJS8_S9_EEENSB_IJS8_SA_EEENS0_18inequality_wrapperIZN2at6native12_GLOBAL__N_124unique_dim_cuda_templateItEESt5tupleIJNSF_6TensorESK_SK_EERKSK_lbbbEUlllE0_EEPmJS9_EEE10hipError_tPvRmT3_T4_T5_T6_T7_T9_mT8_P12ihipStream_tbDpT10_ENKUlT_T0_E_clISt17integral_constantIbLb1EES1A_EEDaS15_S16_EUlS15_E_NS1_11comp_targetILNS1_3genE4ELNS1_11target_archE910ELNS1_3gpuE8ELNS1_3repE0EEENS1_30default_config_static_selectorELNS0_4arch9wavefront6targetE1EEEvT1_
                                        ; -- End function
	.section	.AMDGPU.csdata,"",@progbits
; Kernel info:
; codeLenInByte = 10980
; NumSgprs: 56
; NumVgprs: 50
; NumAgprs: 0
; TotalNumVgprs: 50
; ScratchSize: 0
; MemoryBound: 0
; FloatMode: 240
; IeeeMode: 1
; LDSByteSize: 4236 bytes/workgroup (compile time only)
; SGPRBlocks: 6
; VGPRBlocks: 6
; NumSGPRsForWavesPerEU: 56
; NumVGPRsForWavesPerEU: 50
; AccumOffset: 52
; Occupancy: 8
; WaveLimiterHint : 1
; COMPUTE_PGM_RSRC2:SCRATCH_EN: 0
; COMPUTE_PGM_RSRC2:USER_SGPR: 6
; COMPUTE_PGM_RSRC2:TRAP_HANDLER: 0
; COMPUTE_PGM_RSRC2:TGID_X_EN: 1
; COMPUTE_PGM_RSRC2:TGID_Y_EN: 0
; COMPUTE_PGM_RSRC2:TGID_Z_EN: 0
; COMPUTE_PGM_RSRC2:TIDIG_COMP_CNT: 0
; COMPUTE_PGM_RSRC3_GFX90A:ACCUM_OFFSET: 12
; COMPUTE_PGM_RSRC3_GFX90A:TG_SPLIT: 0
	.section	.text._ZN7rocprim17ROCPRIM_400000_NS6detail17trampoline_kernelINS0_14default_configENS1_25partition_config_selectorILNS1_17partition_subalgoE9EllbEEZZNS1_14partition_implILS5_9ELb0ES3_jPlS8_PNS0_10empty_typeENS0_5tupleIJS8_S9_EEENSB_IJS8_SA_EEENS0_18inequality_wrapperIZN2at6native12_GLOBAL__N_124unique_dim_cuda_templateItEESt5tupleIJNSF_6TensorESK_SK_EERKSK_lbbbEUlllE0_EEPmJS9_EEE10hipError_tPvRmT3_T4_T5_T6_T7_T9_mT8_P12ihipStream_tbDpT10_ENKUlT_T0_E_clISt17integral_constantIbLb1EES1A_EEDaS15_S16_EUlS15_E_NS1_11comp_targetILNS1_3genE3ELNS1_11target_archE908ELNS1_3gpuE7ELNS1_3repE0EEENS1_30default_config_static_selectorELNS0_4arch9wavefront6targetE1EEEvT1_,"axG",@progbits,_ZN7rocprim17ROCPRIM_400000_NS6detail17trampoline_kernelINS0_14default_configENS1_25partition_config_selectorILNS1_17partition_subalgoE9EllbEEZZNS1_14partition_implILS5_9ELb0ES3_jPlS8_PNS0_10empty_typeENS0_5tupleIJS8_S9_EEENSB_IJS8_SA_EEENS0_18inequality_wrapperIZN2at6native12_GLOBAL__N_124unique_dim_cuda_templateItEESt5tupleIJNSF_6TensorESK_SK_EERKSK_lbbbEUlllE0_EEPmJS9_EEE10hipError_tPvRmT3_T4_T5_T6_T7_T9_mT8_P12ihipStream_tbDpT10_ENKUlT_T0_E_clISt17integral_constantIbLb1EES1A_EEDaS15_S16_EUlS15_E_NS1_11comp_targetILNS1_3genE3ELNS1_11target_archE908ELNS1_3gpuE7ELNS1_3repE0EEENS1_30default_config_static_selectorELNS0_4arch9wavefront6targetE1EEEvT1_,comdat
	.globl	_ZN7rocprim17ROCPRIM_400000_NS6detail17trampoline_kernelINS0_14default_configENS1_25partition_config_selectorILNS1_17partition_subalgoE9EllbEEZZNS1_14partition_implILS5_9ELb0ES3_jPlS8_PNS0_10empty_typeENS0_5tupleIJS8_S9_EEENSB_IJS8_SA_EEENS0_18inequality_wrapperIZN2at6native12_GLOBAL__N_124unique_dim_cuda_templateItEESt5tupleIJNSF_6TensorESK_SK_EERKSK_lbbbEUlllE0_EEPmJS9_EEE10hipError_tPvRmT3_T4_T5_T6_T7_T9_mT8_P12ihipStream_tbDpT10_ENKUlT_T0_E_clISt17integral_constantIbLb1EES1A_EEDaS15_S16_EUlS15_E_NS1_11comp_targetILNS1_3genE3ELNS1_11target_archE908ELNS1_3gpuE7ELNS1_3repE0EEENS1_30default_config_static_selectorELNS0_4arch9wavefront6targetE1EEEvT1_ ; -- Begin function _ZN7rocprim17ROCPRIM_400000_NS6detail17trampoline_kernelINS0_14default_configENS1_25partition_config_selectorILNS1_17partition_subalgoE9EllbEEZZNS1_14partition_implILS5_9ELb0ES3_jPlS8_PNS0_10empty_typeENS0_5tupleIJS8_S9_EEENSB_IJS8_SA_EEENS0_18inequality_wrapperIZN2at6native12_GLOBAL__N_124unique_dim_cuda_templateItEESt5tupleIJNSF_6TensorESK_SK_EERKSK_lbbbEUlllE0_EEPmJS9_EEE10hipError_tPvRmT3_T4_T5_T6_T7_T9_mT8_P12ihipStream_tbDpT10_ENKUlT_T0_E_clISt17integral_constantIbLb1EES1A_EEDaS15_S16_EUlS15_E_NS1_11comp_targetILNS1_3genE3ELNS1_11target_archE908ELNS1_3gpuE7ELNS1_3repE0EEENS1_30default_config_static_selectorELNS0_4arch9wavefront6targetE1EEEvT1_
	.p2align	8
	.type	_ZN7rocprim17ROCPRIM_400000_NS6detail17trampoline_kernelINS0_14default_configENS1_25partition_config_selectorILNS1_17partition_subalgoE9EllbEEZZNS1_14partition_implILS5_9ELb0ES3_jPlS8_PNS0_10empty_typeENS0_5tupleIJS8_S9_EEENSB_IJS8_SA_EEENS0_18inequality_wrapperIZN2at6native12_GLOBAL__N_124unique_dim_cuda_templateItEESt5tupleIJNSF_6TensorESK_SK_EERKSK_lbbbEUlllE0_EEPmJS9_EEE10hipError_tPvRmT3_T4_T5_T6_T7_T9_mT8_P12ihipStream_tbDpT10_ENKUlT_T0_E_clISt17integral_constantIbLb1EES1A_EEDaS15_S16_EUlS15_E_NS1_11comp_targetILNS1_3genE3ELNS1_11target_archE908ELNS1_3gpuE7ELNS1_3repE0EEENS1_30default_config_static_selectorELNS0_4arch9wavefront6targetE1EEEvT1_,@function
_ZN7rocprim17ROCPRIM_400000_NS6detail17trampoline_kernelINS0_14default_configENS1_25partition_config_selectorILNS1_17partition_subalgoE9EllbEEZZNS1_14partition_implILS5_9ELb0ES3_jPlS8_PNS0_10empty_typeENS0_5tupleIJS8_S9_EEENSB_IJS8_SA_EEENS0_18inequality_wrapperIZN2at6native12_GLOBAL__N_124unique_dim_cuda_templateItEESt5tupleIJNSF_6TensorESK_SK_EERKSK_lbbbEUlllE0_EEPmJS9_EEE10hipError_tPvRmT3_T4_T5_T6_T7_T9_mT8_P12ihipStream_tbDpT10_ENKUlT_T0_E_clISt17integral_constantIbLb1EES1A_EEDaS15_S16_EUlS15_E_NS1_11comp_targetILNS1_3genE3ELNS1_11target_archE908ELNS1_3gpuE7ELNS1_3repE0EEENS1_30default_config_static_selectorELNS0_4arch9wavefront6targetE1EEEvT1_: ; @_ZN7rocprim17ROCPRIM_400000_NS6detail17trampoline_kernelINS0_14default_configENS1_25partition_config_selectorILNS1_17partition_subalgoE9EllbEEZZNS1_14partition_implILS5_9ELb0ES3_jPlS8_PNS0_10empty_typeENS0_5tupleIJS8_S9_EEENSB_IJS8_SA_EEENS0_18inequality_wrapperIZN2at6native12_GLOBAL__N_124unique_dim_cuda_templateItEESt5tupleIJNSF_6TensorESK_SK_EERKSK_lbbbEUlllE0_EEPmJS9_EEE10hipError_tPvRmT3_T4_T5_T6_T7_T9_mT8_P12ihipStream_tbDpT10_ENKUlT_T0_E_clISt17integral_constantIbLb1EES1A_EEDaS15_S16_EUlS15_E_NS1_11comp_targetILNS1_3genE3ELNS1_11target_archE908ELNS1_3gpuE7ELNS1_3repE0EEENS1_30default_config_static_selectorELNS0_4arch9wavefront6targetE1EEEvT1_
; %bb.0:
	.section	.rodata,"a",@progbits
	.p2align	6, 0x0
	.amdhsa_kernel _ZN7rocprim17ROCPRIM_400000_NS6detail17trampoline_kernelINS0_14default_configENS1_25partition_config_selectorILNS1_17partition_subalgoE9EllbEEZZNS1_14partition_implILS5_9ELb0ES3_jPlS8_PNS0_10empty_typeENS0_5tupleIJS8_S9_EEENSB_IJS8_SA_EEENS0_18inequality_wrapperIZN2at6native12_GLOBAL__N_124unique_dim_cuda_templateItEESt5tupleIJNSF_6TensorESK_SK_EERKSK_lbbbEUlllE0_EEPmJS9_EEE10hipError_tPvRmT3_T4_T5_T6_T7_T9_mT8_P12ihipStream_tbDpT10_ENKUlT_T0_E_clISt17integral_constantIbLb1EES1A_EEDaS15_S16_EUlS15_E_NS1_11comp_targetILNS1_3genE3ELNS1_11target_archE908ELNS1_3gpuE7ELNS1_3repE0EEENS1_30default_config_static_selectorELNS0_4arch9wavefront6targetE1EEEvT1_
		.amdhsa_group_segment_fixed_size 0
		.amdhsa_private_segment_fixed_size 0
		.amdhsa_kernarg_size 136
		.amdhsa_user_sgpr_count 6
		.amdhsa_user_sgpr_private_segment_buffer 1
		.amdhsa_user_sgpr_dispatch_ptr 0
		.amdhsa_user_sgpr_queue_ptr 0
		.amdhsa_user_sgpr_kernarg_segment_ptr 1
		.amdhsa_user_sgpr_dispatch_id 0
		.amdhsa_user_sgpr_flat_scratch_init 0
		.amdhsa_user_sgpr_kernarg_preload_length 0
		.amdhsa_user_sgpr_kernarg_preload_offset 0
		.amdhsa_user_sgpr_private_segment_size 0
		.amdhsa_uses_dynamic_stack 0
		.amdhsa_system_sgpr_private_segment_wavefront_offset 0
		.amdhsa_system_sgpr_workgroup_id_x 1
		.amdhsa_system_sgpr_workgroup_id_y 0
		.amdhsa_system_sgpr_workgroup_id_z 0
		.amdhsa_system_sgpr_workgroup_info 0
		.amdhsa_system_vgpr_workitem_id 0
		.amdhsa_next_free_vgpr 1
		.amdhsa_next_free_sgpr 0
		.amdhsa_accum_offset 4
		.amdhsa_reserve_vcc 0
		.amdhsa_reserve_flat_scratch 0
		.amdhsa_float_round_mode_32 0
		.amdhsa_float_round_mode_16_64 0
		.amdhsa_float_denorm_mode_32 3
		.amdhsa_float_denorm_mode_16_64 3
		.amdhsa_dx10_clamp 1
		.amdhsa_ieee_mode 1
		.amdhsa_fp16_overflow 0
		.amdhsa_tg_split 0
		.amdhsa_exception_fp_ieee_invalid_op 0
		.amdhsa_exception_fp_denorm_src 0
		.amdhsa_exception_fp_ieee_div_zero 0
		.amdhsa_exception_fp_ieee_overflow 0
		.amdhsa_exception_fp_ieee_underflow 0
		.amdhsa_exception_fp_ieee_inexact 0
		.amdhsa_exception_int_div_zero 0
	.end_amdhsa_kernel
	.section	.text._ZN7rocprim17ROCPRIM_400000_NS6detail17trampoline_kernelINS0_14default_configENS1_25partition_config_selectorILNS1_17partition_subalgoE9EllbEEZZNS1_14partition_implILS5_9ELb0ES3_jPlS8_PNS0_10empty_typeENS0_5tupleIJS8_S9_EEENSB_IJS8_SA_EEENS0_18inequality_wrapperIZN2at6native12_GLOBAL__N_124unique_dim_cuda_templateItEESt5tupleIJNSF_6TensorESK_SK_EERKSK_lbbbEUlllE0_EEPmJS9_EEE10hipError_tPvRmT3_T4_T5_T6_T7_T9_mT8_P12ihipStream_tbDpT10_ENKUlT_T0_E_clISt17integral_constantIbLb1EES1A_EEDaS15_S16_EUlS15_E_NS1_11comp_targetILNS1_3genE3ELNS1_11target_archE908ELNS1_3gpuE7ELNS1_3repE0EEENS1_30default_config_static_selectorELNS0_4arch9wavefront6targetE1EEEvT1_,"axG",@progbits,_ZN7rocprim17ROCPRIM_400000_NS6detail17trampoline_kernelINS0_14default_configENS1_25partition_config_selectorILNS1_17partition_subalgoE9EllbEEZZNS1_14partition_implILS5_9ELb0ES3_jPlS8_PNS0_10empty_typeENS0_5tupleIJS8_S9_EEENSB_IJS8_SA_EEENS0_18inequality_wrapperIZN2at6native12_GLOBAL__N_124unique_dim_cuda_templateItEESt5tupleIJNSF_6TensorESK_SK_EERKSK_lbbbEUlllE0_EEPmJS9_EEE10hipError_tPvRmT3_T4_T5_T6_T7_T9_mT8_P12ihipStream_tbDpT10_ENKUlT_T0_E_clISt17integral_constantIbLb1EES1A_EEDaS15_S16_EUlS15_E_NS1_11comp_targetILNS1_3genE3ELNS1_11target_archE908ELNS1_3gpuE7ELNS1_3repE0EEENS1_30default_config_static_selectorELNS0_4arch9wavefront6targetE1EEEvT1_,comdat
.Lfunc_end1460:
	.size	_ZN7rocprim17ROCPRIM_400000_NS6detail17trampoline_kernelINS0_14default_configENS1_25partition_config_selectorILNS1_17partition_subalgoE9EllbEEZZNS1_14partition_implILS5_9ELb0ES3_jPlS8_PNS0_10empty_typeENS0_5tupleIJS8_S9_EEENSB_IJS8_SA_EEENS0_18inequality_wrapperIZN2at6native12_GLOBAL__N_124unique_dim_cuda_templateItEESt5tupleIJNSF_6TensorESK_SK_EERKSK_lbbbEUlllE0_EEPmJS9_EEE10hipError_tPvRmT3_T4_T5_T6_T7_T9_mT8_P12ihipStream_tbDpT10_ENKUlT_T0_E_clISt17integral_constantIbLb1EES1A_EEDaS15_S16_EUlS15_E_NS1_11comp_targetILNS1_3genE3ELNS1_11target_archE908ELNS1_3gpuE7ELNS1_3repE0EEENS1_30default_config_static_selectorELNS0_4arch9wavefront6targetE1EEEvT1_, .Lfunc_end1460-_ZN7rocprim17ROCPRIM_400000_NS6detail17trampoline_kernelINS0_14default_configENS1_25partition_config_selectorILNS1_17partition_subalgoE9EllbEEZZNS1_14partition_implILS5_9ELb0ES3_jPlS8_PNS0_10empty_typeENS0_5tupleIJS8_S9_EEENSB_IJS8_SA_EEENS0_18inequality_wrapperIZN2at6native12_GLOBAL__N_124unique_dim_cuda_templateItEESt5tupleIJNSF_6TensorESK_SK_EERKSK_lbbbEUlllE0_EEPmJS9_EEE10hipError_tPvRmT3_T4_T5_T6_T7_T9_mT8_P12ihipStream_tbDpT10_ENKUlT_T0_E_clISt17integral_constantIbLb1EES1A_EEDaS15_S16_EUlS15_E_NS1_11comp_targetILNS1_3genE3ELNS1_11target_archE908ELNS1_3gpuE7ELNS1_3repE0EEENS1_30default_config_static_selectorELNS0_4arch9wavefront6targetE1EEEvT1_
                                        ; -- End function
	.section	.AMDGPU.csdata,"",@progbits
; Kernel info:
; codeLenInByte = 0
; NumSgprs: 4
; NumVgprs: 0
; NumAgprs: 0
; TotalNumVgprs: 0
; ScratchSize: 0
; MemoryBound: 0
; FloatMode: 240
; IeeeMode: 1
; LDSByteSize: 0 bytes/workgroup (compile time only)
; SGPRBlocks: 0
; VGPRBlocks: 0
; NumSGPRsForWavesPerEU: 4
; NumVGPRsForWavesPerEU: 1
; AccumOffset: 4
; Occupancy: 8
; WaveLimiterHint : 0
; COMPUTE_PGM_RSRC2:SCRATCH_EN: 0
; COMPUTE_PGM_RSRC2:USER_SGPR: 6
; COMPUTE_PGM_RSRC2:TRAP_HANDLER: 0
; COMPUTE_PGM_RSRC2:TGID_X_EN: 1
; COMPUTE_PGM_RSRC2:TGID_Y_EN: 0
; COMPUTE_PGM_RSRC2:TGID_Z_EN: 0
; COMPUTE_PGM_RSRC2:TIDIG_COMP_CNT: 0
; COMPUTE_PGM_RSRC3_GFX90A:ACCUM_OFFSET: 0
; COMPUTE_PGM_RSRC3_GFX90A:TG_SPLIT: 0
	.section	.text._ZN7rocprim17ROCPRIM_400000_NS6detail17trampoline_kernelINS0_14default_configENS1_25partition_config_selectorILNS1_17partition_subalgoE9EllbEEZZNS1_14partition_implILS5_9ELb0ES3_jPlS8_PNS0_10empty_typeENS0_5tupleIJS8_S9_EEENSB_IJS8_SA_EEENS0_18inequality_wrapperIZN2at6native12_GLOBAL__N_124unique_dim_cuda_templateItEESt5tupleIJNSF_6TensorESK_SK_EERKSK_lbbbEUlllE0_EEPmJS9_EEE10hipError_tPvRmT3_T4_T5_T6_T7_T9_mT8_P12ihipStream_tbDpT10_ENKUlT_T0_E_clISt17integral_constantIbLb1EES1A_EEDaS15_S16_EUlS15_E_NS1_11comp_targetILNS1_3genE2ELNS1_11target_archE906ELNS1_3gpuE6ELNS1_3repE0EEENS1_30default_config_static_selectorELNS0_4arch9wavefront6targetE1EEEvT1_,"axG",@progbits,_ZN7rocprim17ROCPRIM_400000_NS6detail17trampoline_kernelINS0_14default_configENS1_25partition_config_selectorILNS1_17partition_subalgoE9EllbEEZZNS1_14partition_implILS5_9ELb0ES3_jPlS8_PNS0_10empty_typeENS0_5tupleIJS8_S9_EEENSB_IJS8_SA_EEENS0_18inequality_wrapperIZN2at6native12_GLOBAL__N_124unique_dim_cuda_templateItEESt5tupleIJNSF_6TensorESK_SK_EERKSK_lbbbEUlllE0_EEPmJS9_EEE10hipError_tPvRmT3_T4_T5_T6_T7_T9_mT8_P12ihipStream_tbDpT10_ENKUlT_T0_E_clISt17integral_constantIbLb1EES1A_EEDaS15_S16_EUlS15_E_NS1_11comp_targetILNS1_3genE2ELNS1_11target_archE906ELNS1_3gpuE6ELNS1_3repE0EEENS1_30default_config_static_selectorELNS0_4arch9wavefront6targetE1EEEvT1_,comdat
	.globl	_ZN7rocprim17ROCPRIM_400000_NS6detail17trampoline_kernelINS0_14default_configENS1_25partition_config_selectorILNS1_17partition_subalgoE9EllbEEZZNS1_14partition_implILS5_9ELb0ES3_jPlS8_PNS0_10empty_typeENS0_5tupleIJS8_S9_EEENSB_IJS8_SA_EEENS0_18inequality_wrapperIZN2at6native12_GLOBAL__N_124unique_dim_cuda_templateItEESt5tupleIJNSF_6TensorESK_SK_EERKSK_lbbbEUlllE0_EEPmJS9_EEE10hipError_tPvRmT3_T4_T5_T6_T7_T9_mT8_P12ihipStream_tbDpT10_ENKUlT_T0_E_clISt17integral_constantIbLb1EES1A_EEDaS15_S16_EUlS15_E_NS1_11comp_targetILNS1_3genE2ELNS1_11target_archE906ELNS1_3gpuE6ELNS1_3repE0EEENS1_30default_config_static_selectorELNS0_4arch9wavefront6targetE1EEEvT1_ ; -- Begin function _ZN7rocprim17ROCPRIM_400000_NS6detail17trampoline_kernelINS0_14default_configENS1_25partition_config_selectorILNS1_17partition_subalgoE9EllbEEZZNS1_14partition_implILS5_9ELb0ES3_jPlS8_PNS0_10empty_typeENS0_5tupleIJS8_S9_EEENSB_IJS8_SA_EEENS0_18inequality_wrapperIZN2at6native12_GLOBAL__N_124unique_dim_cuda_templateItEESt5tupleIJNSF_6TensorESK_SK_EERKSK_lbbbEUlllE0_EEPmJS9_EEE10hipError_tPvRmT3_T4_T5_T6_T7_T9_mT8_P12ihipStream_tbDpT10_ENKUlT_T0_E_clISt17integral_constantIbLb1EES1A_EEDaS15_S16_EUlS15_E_NS1_11comp_targetILNS1_3genE2ELNS1_11target_archE906ELNS1_3gpuE6ELNS1_3repE0EEENS1_30default_config_static_selectorELNS0_4arch9wavefront6targetE1EEEvT1_
	.p2align	8
	.type	_ZN7rocprim17ROCPRIM_400000_NS6detail17trampoline_kernelINS0_14default_configENS1_25partition_config_selectorILNS1_17partition_subalgoE9EllbEEZZNS1_14partition_implILS5_9ELb0ES3_jPlS8_PNS0_10empty_typeENS0_5tupleIJS8_S9_EEENSB_IJS8_SA_EEENS0_18inequality_wrapperIZN2at6native12_GLOBAL__N_124unique_dim_cuda_templateItEESt5tupleIJNSF_6TensorESK_SK_EERKSK_lbbbEUlllE0_EEPmJS9_EEE10hipError_tPvRmT3_T4_T5_T6_T7_T9_mT8_P12ihipStream_tbDpT10_ENKUlT_T0_E_clISt17integral_constantIbLb1EES1A_EEDaS15_S16_EUlS15_E_NS1_11comp_targetILNS1_3genE2ELNS1_11target_archE906ELNS1_3gpuE6ELNS1_3repE0EEENS1_30default_config_static_selectorELNS0_4arch9wavefront6targetE1EEEvT1_,@function
_ZN7rocprim17ROCPRIM_400000_NS6detail17trampoline_kernelINS0_14default_configENS1_25partition_config_selectorILNS1_17partition_subalgoE9EllbEEZZNS1_14partition_implILS5_9ELb0ES3_jPlS8_PNS0_10empty_typeENS0_5tupleIJS8_S9_EEENSB_IJS8_SA_EEENS0_18inequality_wrapperIZN2at6native12_GLOBAL__N_124unique_dim_cuda_templateItEESt5tupleIJNSF_6TensorESK_SK_EERKSK_lbbbEUlllE0_EEPmJS9_EEE10hipError_tPvRmT3_T4_T5_T6_T7_T9_mT8_P12ihipStream_tbDpT10_ENKUlT_T0_E_clISt17integral_constantIbLb1EES1A_EEDaS15_S16_EUlS15_E_NS1_11comp_targetILNS1_3genE2ELNS1_11target_archE906ELNS1_3gpuE6ELNS1_3repE0EEENS1_30default_config_static_selectorELNS0_4arch9wavefront6targetE1EEEvT1_: ; @_ZN7rocprim17ROCPRIM_400000_NS6detail17trampoline_kernelINS0_14default_configENS1_25partition_config_selectorILNS1_17partition_subalgoE9EllbEEZZNS1_14partition_implILS5_9ELb0ES3_jPlS8_PNS0_10empty_typeENS0_5tupleIJS8_S9_EEENSB_IJS8_SA_EEENS0_18inequality_wrapperIZN2at6native12_GLOBAL__N_124unique_dim_cuda_templateItEESt5tupleIJNSF_6TensorESK_SK_EERKSK_lbbbEUlllE0_EEPmJS9_EEE10hipError_tPvRmT3_T4_T5_T6_T7_T9_mT8_P12ihipStream_tbDpT10_ENKUlT_T0_E_clISt17integral_constantIbLb1EES1A_EEDaS15_S16_EUlS15_E_NS1_11comp_targetILNS1_3genE2ELNS1_11target_archE906ELNS1_3gpuE6ELNS1_3repE0EEENS1_30default_config_static_selectorELNS0_4arch9wavefront6targetE1EEEvT1_
; %bb.0:
	.section	.rodata,"a",@progbits
	.p2align	6, 0x0
	.amdhsa_kernel _ZN7rocprim17ROCPRIM_400000_NS6detail17trampoline_kernelINS0_14default_configENS1_25partition_config_selectorILNS1_17partition_subalgoE9EllbEEZZNS1_14partition_implILS5_9ELb0ES3_jPlS8_PNS0_10empty_typeENS0_5tupleIJS8_S9_EEENSB_IJS8_SA_EEENS0_18inequality_wrapperIZN2at6native12_GLOBAL__N_124unique_dim_cuda_templateItEESt5tupleIJNSF_6TensorESK_SK_EERKSK_lbbbEUlllE0_EEPmJS9_EEE10hipError_tPvRmT3_T4_T5_T6_T7_T9_mT8_P12ihipStream_tbDpT10_ENKUlT_T0_E_clISt17integral_constantIbLb1EES1A_EEDaS15_S16_EUlS15_E_NS1_11comp_targetILNS1_3genE2ELNS1_11target_archE906ELNS1_3gpuE6ELNS1_3repE0EEENS1_30default_config_static_selectorELNS0_4arch9wavefront6targetE1EEEvT1_
		.amdhsa_group_segment_fixed_size 0
		.amdhsa_private_segment_fixed_size 0
		.amdhsa_kernarg_size 136
		.amdhsa_user_sgpr_count 6
		.amdhsa_user_sgpr_private_segment_buffer 1
		.amdhsa_user_sgpr_dispatch_ptr 0
		.amdhsa_user_sgpr_queue_ptr 0
		.amdhsa_user_sgpr_kernarg_segment_ptr 1
		.amdhsa_user_sgpr_dispatch_id 0
		.amdhsa_user_sgpr_flat_scratch_init 0
		.amdhsa_user_sgpr_kernarg_preload_length 0
		.amdhsa_user_sgpr_kernarg_preload_offset 0
		.amdhsa_user_sgpr_private_segment_size 0
		.amdhsa_uses_dynamic_stack 0
		.amdhsa_system_sgpr_private_segment_wavefront_offset 0
		.amdhsa_system_sgpr_workgroup_id_x 1
		.amdhsa_system_sgpr_workgroup_id_y 0
		.amdhsa_system_sgpr_workgroup_id_z 0
		.amdhsa_system_sgpr_workgroup_info 0
		.amdhsa_system_vgpr_workitem_id 0
		.amdhsa_next_free_vgpr 1
		.amdhsa_next_free_sgpr 0
		.amdhsa_accum_offset 4
		.amdhsa_reserve_vcc 0
		.amdhsa_reserve_flat_scratch 0
		.amdhsa_float_round_mode_32 0
		.amdhsa_float_round_mode_16_64 0
		.amdhsa_float_denorm_mode_32 3
		.amdhsa_float_denorm_mode_16_64 3
		.amdhsa_dx10_clamp 1
		.amdhsa_ieee_mode 1
		.amdhsa_fp16_overflow 0
		.amdhsa_tg_split 0
		.amdhsa_exception_fp_ieee_invalid_op 0
		.amdhsa_exception_fp_denorm_src 0
		.amdhsa_exception_fp_ieee_div_zero 0
		.amdhsa_exception_fp_ieee_overflow 0
		.amdhsa_exception_fp_ieee_underflow 0
		.amdhsa_exception_fp_ieee_inexact 0
		.amdhsa_exception_int_div_zero 0
	.end_amdhsa_kernel
	.section	.text._ZN7rocprim17ROCPRIM_400000_NS6detail17trampoline_kernelINS0_14default_configENS1_25partition_config_selectorILNS1_17partition_subalgoE9EllbEEZZNS1_14partition_implILS5_9ELb0ES3_jPlS8_PNS0_10empty_typeENS0_5tupleIJS8_S9_EEENSB_IJS8_SA_EEENS0_18inequality_wrapperIZN2at6native12_GLOBAL__N_124unique_dim_cuda_templateItEESt5tupleIJNSF_6TensorESK_SK_EERKSK_lbbbEUlllE0_EEPmJS9_EEE10hipError_tPvRmT3_T4_T5_T6_T7_T9_mT8_P12ihipStream_tbDpT10_ENKUlT_T0_E_clISt17integral_constantIbLb1EES1A_EEDaS15_S16_EUlS15_E_NS1_11comp_targetILNS1_3genE2ELNS1_11target_archE906ELNS1_3gpuE6ELNS1_3repE0EEENS1_30default_config_static_selectorELNS0_4arch9wavefront6targetE1EEEvT1_,"axG",@progbits,_ZN7rocprim17ROCPRIM_400000_NS6detail17trampoline_kernelINS0_14default_configENS1_25partition_config_selectorILNS1_17partition_subalgoE9EllbEEZZNS1_14partition_implILS5_9ELb0ES3_jPlS8_PNS0_10empty_typeENS0_5tupleIJS8_S9_EEENSB_IJS8_SA_EEENS0_18inequality_wrapperIZN2at6native12_GLOBAL__N_124unique_dim_cuda_templateItEESt5tupleIJNSF_6TensorESK_SK_EERKSK_lbbbEUlllE0_EEPmJS9_EEE10hipError_tPvRmT3_T4_T5_T6_T7_T9_mT8_P12ihipStream_tbDpT10_ENKUlT_T0_E_clISt17integral_constantIbLb1EES1A_EEDaS15_S16_EUlS15_E_NS1_11comp_targetILNS1_3genE2ELNS1_11target_archE906ELNS1_3gpuE6ELNS1_3repE0EEENS1_30default_config_static_selectorELNS0_4arch9wavefront6targetE1EEEvT1_,comdat
.Lfunc_end1461:
	.size	_ZN7rocprim17ROCPRIM_400000_NS6detail17trampoline_kernelINS0_14default_configENS1_25partition_config_selectorILNS1_17partition_subalgoE9EllbEEZZNS1_14partition_implILS5_9ELb0ES3_jPlS8_PNS0_10empty_typeENS0_5tupleIJS8_S9_EEENSB_IJS8_SA_EEENS0_18inequality_wrapperIZN2at6native12_GLOBAL__N_124unique_dim_cuda_templateItEESt5tupleIJNSF_6TensorESK_SK_EERKSK_lbbbEUlllE0_EEPmJS9_EEE10hipError_tPvRmT3_T4_T5_T6_T7_T9_mT8_P12ihipStream_tbDpT10_ENKUlT_T0_E_clISt17integral_constantIbLb1EES1A_EEDaS15_S16_EUlS15_E_NS1_11comp_targetILNS1_3genE2ELNS1_11target_archE906ELNS1_3gpuE6ELNS1_3repE0EEENS1_30default_config_static_selectorELNS0_4arch9wavefront6targetE1EEEvT1_, .Lfunc_end1461-_ZN7rocprim17ROCPRIM_400000_NS6detail17trampoline_kernelINS0_14default_configENS1_25partition_config_selectorILNS1_17partition_subalgoE9EllbEEZZNS1_14partition_implILS5_9ELb0ES3_jPlS8_PNS0_10empty_typeENS0_5tupleIJS8_S9_EEENSB_IJS8_SA_EEENS0_18inequality_wrapperIZN2at6native12_GLOBAL__N_124unique_dim_cuda_templateItEESt5tupleIJNSF_6TensorESK_SK_EERKSK_lbbbEUlllE0_EEPmJS9_EEE10hipError_tPvRmT3_T4_T5_T6_T7_T9_mT8_P12ihipStream_tbDpT10_ENKUlT_T0_E_clISt17integral_constantIbLb1EES1A_EEDaS15_S16_EUlS15_E_NS1_11comp_targetILNS1_3genE2ELNS1_11target_archE906ELNS1_3gpuE6ELNS1_3repE0EEENS1_30default_config_static_selectorELNS0_4arch9wavefront6targetE1EEEvT1_
                                        ; -- End function
	.section	.AMDGPU.csdata,"",@progbits
; Kernel info:
; codeLenInByte = 0
; NumSgprs: 4
; NumVgprs: 0
; NumAgprs: 0
; TotalNumVgprs: 0
; ScratchSize: 0
; MemoryBound: 0
; FloatMode: 240
; IeeeMode: 1
; LDSByteSize: 0 bytes/workgroup (compile time only)
; SGPRBlocks: 0
; VGPRBlocks: 0
; NumSGPRsForWavesPerEU: 4
; NumVGPRsForWavesPerEU: 1
; AccumOffset: 4
; Occupancy: 8
; WaveLimiterHint : 0
; COMPUTE_PGM_RSRC2:SCRATCH_EN: 0
; COMPUTE_PGM_RSRC2:USER_SGPR: 6
; COMPUTE_PGM_RSRC2:TRAP_HANDLER: 0
; COMPUTE_PGM_RSRC2:TGID_X_EN: 1
; COMPUTE_PGM_RSRC2:TGID_Y_EN: 0
; COMPUTE_PGM_RSRC2:TGID_Z_EN: 0
; COMPUTE_PGM_RSRC2:TIDIG_COMP_CNT: 0
; COMPUTE_PGM_RSRC3_GFX90A:ACCUM_OFFSET: 0
; COMPUTE_PGM_RSRC3_GFX90A:TG_SPLIT: 0
	.section	.text._ZN7rocprim17ROCPRIM_400000_NS6detail17trampoline_kernelINS0_14default_configENS1_25partition_config_selectorILNS1_17partition_subalgoE9EllbEEZZNS1_14partition_implILS5_9ELb0ES3_jPlS8_PNS0_10empty_typeENS0_5tupleIJS8_S9_EEENSB_IJS8_SA_EEENS0_18inequality_wrapperIZN2at6native12_GLOBAL__N_124unique_dim_cuda_templateItEESt5tupleIJNSF_6TensorESK_SK_EERKSK_lbbbEUlllE0_EEPmJS9_EEE10hipError_tPvRmT3_T4_T5_T6_T7_T9_mT8_P12ihipStream_tbDpT10_ENKUlT_T0_E_clISt17integral_constantIbLb1EES1A_EEDaS15_S16_EUlS15_E_NS1_11comp_targetILNS1_3genE10ELNS1_11target_archE1200ELNS1_3gpuE4ELNS1_3repE0EEENS1_30default_config_static_selectorELNS0_4arch9wavefront6targetE1EEEvT1_,"axG",@progbits,_ZN7rocprim17ROCPRIM_400000_NS6detail17trampoline_kernelINS0_14default_configENS1_25partition_config_selectorILNS1_17partition_subalgoE9EllbEEZZNS1_14partition_implILS5_9ELb0ES3_jPlS8_PNS0_10empty_typeENS0_5tupleIJS8_S9_EEENSB_IJS8_SA_EEENS0_18inequality_wrapperIZN2at6native12_GLOBAL__N_124unique_dim_cuda_templateItEESt5tupleIJNSF_6TensorESK_SK_EERKSK_lbbbEUlllE0_EEPmJS9_EEE10hipError_tPvRmT3_T4_T5_T6_T7_T9_mT8_P12ihipStream_tbDpT10_ENKUlT_T0_E_clISt17integral_constantIbLb1EES1A_EEDaS15_S16_EUlS15_E_NS1_11comp_targetILNS1_3genE10ELNS1_11target_archE1200ELNS1_3gpuE4ELNS1_3repE0EEENS1_30default_config_static_selectorELNS0_4arch9wavefront6targetE1EEEvT1_,comdat
	.globl	_ZN7rocprim17ROCPRIM_400000_NS6detail17trampoline_kernelINS0_14default_configENS1_25partition_config_selectorILNS1_17partition_subalgoE9EllbEEZZNS1_14partition_implILS5_9ELb0ES3_jPlS8_PNS0_10empty_typeENS0_5tupleIJS8_S9_EEENSB_IJS8_SA_EEENS0_18inequality_wrapperIZN2at6native12_GLOBAL__N_124unique_dim_cuda_templateItEESt5tupleIJNSF_6TensorESK_SK_EERKSK_lbbbEUlllE0_EEPmJS9_EEE10hipError_tPvRmT3_T4_T5_T6_T7_T9_mT8_P12ihipStream_tbDpT10_ENKUlT_T0_E_clISt17integral_constantIbLb1EES1A_EEDaS15_S16_EUlS15_E_NS1_11comp_targetILNS1_3genE10ELNS1_11target_archE1200ELNS1_3gpuE4ELNS1_3repE0EEENS1_30default_config_static_selectorELNS0_4arch9wavefront6targetE1EEEvT1_ ; -- Begin function _ZN7rocprim17ROCPRIM_400000_NS6detail17trampoline_kernelINS0_14default_configENS1_25partition_config_selectorILNS1_17partition_subalgoE9EllbEEZZNS1_14partition_implILS5_9ELb0ES3_jPlS8_PNS0_10empty_typeENS0_5tupleIJS8_S9_EEENSB_IJS8_SA_EEENS0_18inequality_wrapperIZN2at6native12_GLOBAL__N_124unique_dim_cuda_templateItEESt5tupleIJNSF_6TensorESK_SK_EERKSK_lbbbEUlllE0_EEPmJS9_EEE10hipError_tPvRmT3_T4_T5_T6_T7_T9_mT8_P12ihipStream_tbDpT10_ENKUlT_T0_E_clISt17integral_constantIbLb1EES1A_EEDaS15_S16_EUlS15_E_NS1_11comp_targetILNS1_3genE10ELNS1_11target_archE1200ELNS1_3gpuE4ELNS1_3repE0EEENS1_30default_config_static_selectorELNS0_4arch9wavefront6targetE1EEEvT1_
	.p2align	8
	.type	_ZN7rocprim17ROCPRIM_400000_NS6detail17trampoline_kernelINS0_14default_configENS1_25partition_config_selectorILNS1_17partition_subalgoE9EllbEEZZNS1_14partition_implILS5_9ELb0ES3_jPlS8_PNS0_10empty_typeENS0_5tupleIJS8_S9_EEENSB_IJS8_SA_EEENS0_18inequality_wrapperIZN2at6native12_GLOBAL__N_124unique_dim_cuda_templateItEESt5tupleIJNSF_6TensorESK_SK_EERKSK_lbbbEUlllE0_EEPmJS9_EEE10hipError_tPvRmT3_T4_T5_T6_T7_T9_mT8_P12ihipStream_tbDpT10_ENKUlT_T0_E_clISt17integral_constantIbLb1EES1A_EEDaS15_S16_EUlS15_E_NS1_11comp_targetILNS1_3genE10ELNS1_11target_archE1200ELNS1_3gpuE4ELNS1_3repE0EEENS1_30default_config_static_selectorELNS0_4arch9wavefront6targetE1EEEvT1_,@function
_ZN7rocprim17ROCPRIM_400000_NS6detail17trampoline_kernelINS0_14default_configENS1_25partition_config_selectorILNS1_17partition_subalgoE9EllbEEZZNS1_14partition_implILS5_9ELb0ES3_jPlS8_PNS0_10empty_typeENS0_5tupleIJS8_S9_EEENSB_IJS8_SA_EEENS0_18inequality_wrapperIZN2at6native12_GLOBAL__N_124unique_dim_cuda_templateItEESt5tupleIJNSF_6TensorESK_SK_EERKSK_lbbbEUlllE0_EEPmJS9_EEE10hipError_tPvRmT3_T4_T5_T6_T7_T9_mT8_P12ihipStream_tbDpT10_ENKUlT_T0_E_clISt17integral_constantIbLb1EES1A_EEDaS15_S16_EUlS15_E_NS1_11comp_targetILNS1_3genE10ELNS1_11target_archE1200ELNS1_3gpuE4ELNS1_3repE0EEENS1_30default_config_static_selectorELNS0_4arch9wavefront6targetE1EEEvT1_: ; @_ZN7rocprim17ROCPRIM_400000_NS6detail17trampoline_kernelINS0_14default_configENS1_25partition_config_selectorILNS1_17partition_subalgoE9EllbEEZZNS1_14partition_implILS5_9ELb0ES3_jPlS8_PNS0_10empty_typeENS0_5tupleIJS8_S9_EEENSB_IJS8_SA_EEENS0_18inequality_wrapperIZN2at6native12_GLOBAL__N_124unique_dim_cuda_templateItEESt5tupleIJNSF_6TensorESK_SK_EERKSK_lbbbEUlllE0_EEPmJS9_EEE10hipError_tPvRmT3_T4_T5_T6_T7_T9_mT8_P12ihipStream_tbDpT10_ENKUlT_T0_E_clISt17integral_constantIbLb1EES1A_EEDaS15_S16_EUlS15_E_NS1_11comp_targetILNS1_3genE10ELNS1_11target_archE1200ELNS1_3gpuE4ELNS1_3repE0EEENS1_30default_config_static_selectorELNS0_4arch9wavefront6targetE1EEEvT1_
; %bb.0:
	.section	.rodata,"a",@progbits
	.p2align	6, 0x0
	.amdhsa_kernel _ZN7rocprim17ROCPRIM_400000_NS6detail17trampoline_kernelINS0_14default_configENS1_25partition_config_selectorILNS1_17partition_subalgoE9EllbEEZZNS1_14partition_implILS5_9ELb0ES3_jPlS8_PNS0_10empty_typeENS0_5tupleIJS8_S9_EEENSB_IJS8_SA_EEENS0_18inequality_wrapperIZN2at6native12_GLOBAL__N_124unique_dim_cuda_templateItEESt5tupleIJNSF_6TensorESK_SK_EERKSK_lbbbEUlllE0_EEPmJS9_EEE10hipError_tPvRmT3_T4_T5_T6_T7_T9_mT8_P12ihipStream_tbDpT10_ENKUlT_T0_E_clISt17integral_constantIbLb1EES1A_EEDaS15_S16_EUlS15_E_NS1_11comp_targetILNS1_3genE10ELNS1_11target_archE1200ELNS1_3gpuE4ELNS1_3repE0EEENS1_30default_config_static_selectorELNS0_4arch9wavefront6targetE1EEEvT1_
		.amdhsa_group_segment_fixed_size 0
		.amdhsa_private_segment_fixed_size 0
		.amdhsa_kernarg_size 136
		.amdhsa_user_sgpr_count 6
		.amdhsa_user_sgpr_private_segment_buffer 1
		.amdhsa_user_sgpr_dispatch_ptr 0
		.amdhsa_user_sgpr_queue_ptr 0
		.amdhsa_user_sgpr_kernarg_segment_ptr 1
		.amdhsa_user_sgpr_dispatch_id 0
		.amdhsa_user_sgpr_flat_scratch_init 0
		.amdhsa_user_sgpr_kernarg_preload_length 0
		.amdhsa_user_sgpr_kernarg_preload_offset 0
		.amdhsa_user_sgpr_private_segment_size 0
		.amdhsa_uses_dynamic_stack 0
		.amdhsa_system_sgpr_private_segment_wavefront_offset 0
		.amdhsa_system_sgpr_workgroup_id_x 1
		.amdhsa_system_sgpr_workgroup_id_y 0
		.amdhsa_system_sgpr_workgroup_id_z 0
		.amdhsa_system_sgpr_workgroup_info 0
		.amdhsa_system_vgpr_workitem_id 0
		.amdhsa_next_free_vgpr 1
		.amdhsa_next_free_sgpr 0
		.amdhsa_accum_offset 4
		.amdhsa_reserve_vcc 0
		.amdhsa_reserve_flat_scratch 0
		.amdhsa_float_round_mode_32 0
		.amdhsa_float_round_mode_16_64 0
		.amdhsa_float_denorm_mode_32 3
		.amdhsa_float_denorm_mode_16_64 3
		.amdhsa_dx10_clamp 1
		.amdhsa_ieee_mode 1
		.amdhsa_fp16_overflow 0
		.amdhsa_tg_split 0
		.amdhsa_exception_fp_ieee_invalid_op 0
		.amdhsa_exception_fp_denorm_src 0
		.amdhsa_exception_fp_ieee_div_zero 0
		.amdhsa_exception_fp_ieee_overflow 0
		.amdhsa_exception_fp_ieee_underflow 0
		.amdhsa_exception_fp_ieee_inexact 0
		.amdhsa_exception_int_div_zero 0
	.end_amdhsa_kernel
	.section	.text._ZN7rocprim17ROCPRIM_400000_NS6detail17trampoline_kernelINS0_14default_configENS1_25partition_config_selectorILNS1_17partition_subalgoE9EllbEEZZNS1_14partition_implILS5_9ELb0ES3_jPlS8_PNS0_10empty_typeENS0_5tupleIJS8_S9_EEENSB_IJS8_SA_EEENS0_18inequality_wrapperIZN2at6native12_GLOBAL__N_124unique_dim_cuda_templateItEESt5tupleIJNSF_6TensorESK_SK_EERKSK_lbbbEUlllE0_EEPmJS9_EEE10hipError_tPvRmT3_T4_T5_T6_T7_T9_mT8_P12ihipStream_tbDpT10_ENKUlT_T0_E_clISt17integral_constantIbLb1EES1A_EEDaS15_S16_EUlS15_E_NS1_11comp_targetILNS1_3genE10ELNS1_11target_archE1200ELNS1_3gpuE4ELNS1_3repE0EEENS1_30default_config_static_selectorELNS0_4arch9wavefront6targetE1EEEvT1_,"axG",@progbits,_ZN7rocprim17ROCPRIM_400000_NS6detail17trampoline_kernelINS0_14default_configENS1_25partition_config_selectorILNS1_17partition_subalgoE9EllbEEZZNS1_14partition_implILS5_9ELb0ES3_jPlS8_PNS0_10empty_typeENS0_5tupleIJS8_S9_EEENSB_IJS8_SA_EEENS0_18inequality_wrapperIZN2at6native12_GLOBAL__N_124unique_dim_cuda_templateItEESt5tupleIJNSF_6TensorESK_SK_EERKSK_lbbbEUlllE0_EEPmJS9_EEE10hipError_tPvRmT3_T4_T5_T6_T7_T9_mT8_P12ihipStream_tbDpT10_ENKUlT_T0_E_clISt17integral_constantIbLb1EES1A_EEDaS15_S16_EUlS15_E_NS1_11comp_targetILNS1_3genE10ELNS1_11target_archE1200ELNS1_3gpuE4ELNS1_3repE0EEENS1_30default_config_static_selectorELNS0_4arch9wavefront6targetE1EEEvT1_,comdat
.Lfunc_end1462:
	.size	_ZN7rocprim17ROCPRIM_400000_NS6detail17trampoline_kernelINS0_14default_configENS1_25partition_config_selectorILNS1_17partition_subalgoE9EllbEEZZNS1_14partition_implILS5_9ELb0ES3_jPlS8_PNS0_10empty_typeENS0_5tupleIJS8_S9_EEENSB_IJS8_SA_EEENS0_18inequality_wrapperIZN2at6native12_GLOBAL__N_124unique_dim_cuda_templateItEESt5tupleIJNSF_6TensorESK_SK_EERKSK_lbbbEUlllE0_EEPmJS9_EEE10hipError_tPvRmT3_T4_T5_T6_T7_T9_mT8_P12ihipStream_tbDpT10_ENKUlT_T0_E_clISt17integral_constantIbLb1EES1A_EEDaS15_S16_EUlS15_E_NS1_11comp_targetILNS1_3genE10ELNS1_11target_archE1200ELNS1_3gpuE4ELNS1_3repE0EEENS1_30default_config_static_selectorELNS0_4arch9wavefront6targetE1EEEvT1_, .Lfunc_end1462-_ZN7rocprim17ROCPRIM_400000_NS6detail17trampoline_kernelINS0_14default_configENS1_25partition_config_selectorILNS1_17partition_subalgoE9EllbEEZZNS1_14partition_implILS5_9ELb0ES3_jPlS8_PNS0_10empty_typeENS0_5tupleIJS8_S9_EEENSB_IJS8_SA_EEENS0_18inequality_wrapperIZN2at6native12_GLOBAL__N_124unique_dim_cuda_templateItEESt5tupleIJNSF_6TensorESK_SK_EERKSK_lbbbEUlllE0_EEPmJS9_EEE10hipError_tPvRmT3_T4_T5_T6_T7_T9_mT8_P12ihipStream_tbDpT10_ENKUlT_T0_E_clISt17integral_constantIbLb1EES1A_EEDaS15_S16_EUlS15_E_NS1_11comp_targetILNS1_3genE10ELNS1_11target_archE1200ELNS1_3gpuE4ELNS1_3repE0EEENS1_30default_config_static_selectorELNS0_4arch9wavefront6targetE1EEEvT1_
                                        ; -- End function
	.section	.AMDGPU.csdata,"",@progbits
; Kernel info:
; codeLenInByte = 0
; NumSgprs: 4
; NumVgprs: 0
; NumAgprs: 0
; TotalNumVgprs: 0
; ScratchSize: 0
; MemoryBound: 0
; FloatMode: 240
; IeeeMode: 1
; LDSByteSize: 0 bytes/workgroup (compile time only)
; SGPRBlocks: 0
; VGPRBlocks: 0
; NumSGPRsForWavesPerEU: 4
; NumVGPRsForWavesPerEU: 1
; AccumOffset: 4
; Occupancy: 8
; WaveLimiterHint : 0
; COMPUTE_PGM_RSRC2:SCRATCH_EN: 0
; COMPUTE_PGM_RSRC2:USER_SGPR: 6
; COMPUTE_PGM_RSRC2:TRAP_HANDLER: 0
; COMPUTE_PGM_RSRC2:TGID_X_EN: 1
; COMPUTE_PGM_RSRC2:TGID_Y_EN: 0
; COMPUTE_PGM_RSRC2:TGID_Z_EN: 0
; COMPUTE_PGM_RSRC2:TIDIG_COMP_CNT: 0
; COMPUTE_PGM_RSRC3_GFX90A:ACCUM_OFFSET: 0
; COMPUTE_PGM_RSRC3_GFX90A:TG_SPLIT: 0
	.section	.text._ZN7rocprim17ROCPRIM_400000_NS6detail17trampoline_kernelINS0_14default_configENS1_25partition_config_selectorILNS1_17partition_subalgoE9EllbEEZZNS1_14partition_implILS5_9ELb0ES3_jPlS8_PNS0_10empty_typeENS0_5tupleIJS8_S9_EEENSB_IJS8_SA_EEENS0_18inequality_wrapperIZN2at6native12_GLOBAL__N_124unique_dim_cuda_templateItEESt5tupleIJNSF_6TensorESK_SK_EERKSK_lbbbEUlllE0_EEPmJS9_EEE10hipError_tPvRmT3_T4_T5_T6_T7_T9_mT8_P12ihipStream_tbDpT10_ENKUlT_T0_E_clISt17integral_constantIbLb1EES1A_EEDaS15_S16_EUlS15_E_NS1_11comp_targetILNS1_3genE9ELNS1_11target_archE1100ELNS1_3gpuE3ELNS1_3repE0EEENS1_30default_config_static_selectorELNS0_4arch9wavefront6targetE1EEEvT1_,"axG",@progbits,_ZN7rocprim17ROCPRIM_400000_NS6detail17trampoline_kernelINS0_14default_configENS1_25partition_config_selectorILNS1_17partition_subalgoE9EllbEEZZNS1_14partition_implILS5_9ELb0ES3_jPlS8_PNS0_10empty_typeENS0_5tupleIJS8_S9_EEENSB_IJS8_SA_EEENS0_18inequality_wrapperIZN2at6native12_GLOBAL__N_124unique_dim_cuda_templateItEESt5tupleIJNSF_6TensorESK_SK_EERKSK_lbbbEUlllE0_EEPmJS9_EEE10hipError_tPvRmT3_T4_T5_T6_T7_T9_mT8_P12ihipStream_tbDpT10_ENKUlT_T0_E_clISt17integral_constantIbLb1EES1A_EEDaS15_S16_EUlS15_E_NS1_11comp_targetILNS1_3genE9ELNS1_11target_archE1100ELNS1_3gpuE3ELNS1_3repE0EEENS1_30default_config_static_selectorELNS0_4arch9wavefront6targetE1EEEvT1_,comdat
	.globl	_ZN7rocprim17ROCPRIM_400000_NS6detail17trampoline_kernelINS0_14default_configENS1_25partition_config_selectorILNS1_17partition_subalgoE9EllbEEZZNS1_14partition_implILS5_9ELb0ES3_jPlS8_PNS0_10empty_typeENS0_5tupleIJS8_S9_EEENSB_IJS8_SA_EEENS0_18inequality_wrapperIZN2at6native12_GLOBAL__N_124unique_dim_cuda_templateItEESt5tupleIJNSF_6TensorESK_SK_EERKSK_lbbbEUlllE0_EEPmJS9_EEE10hipError_tPvRmT3_T4_T5_T6_T7_T9_mT8_P12ihipStream_tbDpT10_ENKUlT_T0_E_clISt17integral_constantIbLb1EES1A_EEDaS15_S16_EUlS15_E_NS1_11comp_targetILNS1_3genE9ELNS1_11target_archE1100ELNS1_3gpuE3ELNS1_3repE0EEENS1_30default_config_static_selectorELNS0_4arch9wavefront6targetE1EEEvT1_ ; -- Begin function _ZN7rocprim17ROCPRIM_400000_NS6detail17trampoline_kernelINS0_14default_configENS1_25partition_config_selectorILNS1_17partition_subalgoE9EllbEEZZNS1_14partition_implILS5_9ELb0ES3_jPlS8_PNS0_10empty_typeENS0_5tupleIJS8_S9_EEENSB_IJS8_SA_EEENS0_18inequality_wrapperIZN2at6native12_GLOBAL__N_124unique_dim_cuda_templateItEESt5tupleIJNSF_6TensorESK_SK_EERKSK_lbbbEUlllE0_EEPmJS9_EEE10hipError_tPvRmT3_T4_T5_T6_T7_T9_mT8_P12ihipStream_tbDpT10_ENKUlT_T0_E_clISt17integral_constantIbLb1EES1A_EEDaS15_S16_EUlS15_E_NS1_11comp_targetILNS1_3genE9ELNS1_11target_archE1100ELNS1_3gpuE3ELNS1_3repE0EEENS1_30default_config_static_selectorELNS0_4arch9wavefront6targetE1EEEvT1_
	.p2align	8
	.type	_ZN7rocprim17ROCPRIM_400000_NS6detail17trampoline_kernelINS0_14default_configENS1_25partition_config_selectorILNS1_17partition_subalgoE9EllbEEZZNS1_14partition_implILS5_9ELb0ES3_jPlS8_PNS0_10empty_typeENS0_5tupleIJS8_S9_EEENSB_IJS8_SA_EEENS0_18inequality_wrapperIZN2at6native12_GLOBAL__N_124unique_dim_cuda_templateItEESt5tupleIJNSF_6TensorESK_SK_EERKSK_lbbbEUlllE0_EEPmJS9_EEE10hipError_tPvRmT3_T4_T5_T6_T7_T9_mT8_P12ihipStream_tbDpT10_ENKUlT_T0_E_clISt17integral_constantIbLb1EES1A_EEDaS15_S16_EUlS15_E_NS1_11comp_targetILNS1_3genE9ELNS1_11target_archE1100ELNS1_3gpuE3ELNS1_3repE0EEENS1_30default_config_static_selectorELNS0_4arch9wavefront6targetE1EEEvT1_,@function
_ZN7rocprim17ROCPRIM_400000_NS6detail17trampoline_kernelINS0_14default_configENS1_25partition_config_selectorILNS1_17partition_subalgoE9EllbEEZZNS1_14partition_implILS5_9ELb0ES3_jPlS8_PNS0_10empty_typeENS0_5tupleIJS8_S9_EEENSB_IJS8_SA_EEENS0_18inequality_wrapperIZN2at6native12_GLOBAL__N_124unique_dim_cuda_templateItEESt5tupleIJNSF_6TensorESK_SK_EERKSK_lbbbEUlllE0_EEPmJS9_EEE10hipError_tPvRmT3_T4_T5_T6_T7_T9_mT8_P12ihipStream_tbDpT10_ENKUlT_T0_E_clISt17integral_constantIbLb1EES1A_EEDaS15_S16_EUlS15_E_NS1_11comp_targetILNS1_3genE9ELNS1_11target_archE1100ELNS1_3gpuE3ELNS1_3repE0EEENS1_30default_config_static_selectorELNS0_4arch9wavefront6targetE1EEEvT1_: ; @_ZN7rocprim17ROCPRIM_400000_NS6detail17trampoline_kernelINS0_14default_configENS1_25partition_config_selectorILNS1_17partition_subalgoE9EllbEEZZNS1_14partition_implILS5_9ELb0ES3_jPlS8_PNS0_10empty_typeENS0_5tupleIJS8_S9_EEENSB_IJS8_SA_EEENS0_18inequality_wrapperIZN2at6native12_GLOBAL__N_124unique_dim_cuda_templateItEESt5tupleIJNSF_6TensorESK_SK_EERKSK_lbbbEUlllE0_EEPmJS9_EEE10hipError_tPvRmT3_T4_T5_T6_T7_T9_mT8_P12ihipStream_tbDpT10_ENKUlT_T0_E_clISt17integral_constantIbLb1EES1A_EEDaS15_S16_EUlS15_E_NS1_11comp_targetILNS1_3genE9ELNS1_11target_archE1100ELNS1_3gpuE3ELNS1_3repE0EEENS1_30default_config_static_selectorELNS0_4arch9wavefront6targetE1EEEvT1_
; %bb.0:
	.section	.rodata,"a",@progbits
	.p2align	6, 0x0
	.amdhsa_kernel _ZN7rocprim17ROCPRIM_400000_NS6detail17trampoline_kernelINS0_14default_configENS1_25partition_config_selectorILNS1_17partition_subalgoE9EllbEEZZNS1_14partition_implILS5_9ELb0ES3_jPlS8_PNS0_10empty_typeENS0_5tupleIJS8_S9_EEENSB_IJS8_SA_EEENS0_18inequality_wrapperIZN2at6native12_GLOBAL__N_124unique_dim_cuda_templateItEESt5tupleIJNSF_6TensorESK_SK_EERKSK_lbbbEUlllE0_EEPmJS9_EEE10hipError_tPvRmT3_T4_T5_T6_T7_T9_mT8_P12ihipStream_tbDpT10_ENKUlT_T0_E_clISt17integral_constantIbLb1EES1A_EEDaS15_S16_EUlS15_E_NS1_11comp_targetILNS1_3genE9ELNS1_11target_archE1100ELNS1_3gpuE3ELNS1_3repE0EEENS1_30default_config_static_selectorELNS0_4arch9wavefront6targetE1EEEvT1_
		.amdhsa_group_segment_fixed_size 0
		.amdhsa_private_segment_fixed_size 0
		.amdhsa_kernarg_size 136
		.amdhsa_user_sgpr_count 6
		.amdhsa_user_sgpr_private_segment_buffer 1
		.amdhsa_user_sgpr_dispatch_ptr 0
		.amdhsa_user_sgpr_queue_ptr 0
		.amdhsa_user_sgpr_kernarg_segment_ptr 1
		.amdhsa_user_sgpr_dispatch_id 0
		.amdhsa_user_sgpr_flat_scratch_init 0
		.amdhsa_user_sgpr_kernarg_preload_length 0
		.amdhsa_user_sgpr_kernarg_preload_offset 0
		.amdhsa_user_sgpr_private_segment_size 0
		.amdhsa_uses_dynamic_stack 0
		.amdhsa_system_sgpr_private_segment_wavefront_offset 0
		.amdhsa_system_sgpr_workgroup_id_x 1
		.amdhsa_system_sgpr_workgroup_id_y 0
		.amdhsa_system_sgpr_workgroup_id_z 0
		.amdhsa_system_sgpr_workgroup_info 0
		.amdhsa_system_vgpr_workitem_id 0
		.amdhsa_next_free_vgpr 1
		.amdhsa_next_free_sgpr 0
		.amdhsa_accum_offset 4
		.amdhsa_reserve_vcc 0
		.amdhsa_reserve_flat_scratch 0
		.amdhsa_float_round_mode_32 0
		.amdhsa_float_round_mode_16_64 0
		.amdhsa_float_denorm_mode_32 3
		.amdhsa_float_denorm_mode_16_64 3
		.amdhsa_dx10_clamp 1
		.amdhsa_ieee_mode 1
		.amdhsa_fp16_overflow 0
		.amdhsa_tg_split 0
		.amdhsa_exception_fp_ieee_invalid_op 0
		.amdhsa_exception_fp_denorm_src 0
		.amdhsa_exception_fp_ieee_div_zero 0
		.amdhsa_exception_fp_ieee_overflow 0
		.amdhsa_exception_fp_ieee_underflow 0
		.amdhsa_exception_fp_ieee_inexact 0
		.amdhsa_exception_int_div_zero 0
	.end_amdhsa_kernel
	.section	.text._ZN7rocprim17ROCPRIM_400000_NS6detail17trampoline_kernelINS0_14default_configENS1_25partition_config_selectorILNS1_17partition_subalgoE9EllbEEZZNS1_14partition_implILS5_9ELb0ES3_jPlS8_PNS0_10empty_typeENS0_5tupleIJS8_S9_EEENSB_IJS8_SA_EEENS0_18inequality_wrapperIZN2at6native12_GLOBAL__N_124unique_dim_cuda_templateItEESt5tupleIJNSF_6TensorESK_SK_EERKSK_lbbbEUlllE0_EEPmJS9_EEE10hipError_tPvRmT3_T4_T5_T6_T7_T9_mT8_P12ihipStream_tbDpT10_ENKUlT_T0_E_clISt17integral_constantIbLb1EES1A_EEDaS15_S16_EUlS15_E_NS1_11comp_targetILNS1_3genE9ELNS1_11target_archE1100ELNS1_3gpuE3ELNS1_3repE0EEENS1_30default_config_static_selectorELNS0_4arch9wavefront6targetE1EEEvT1_,"axG",@progbits,_ZN7rocprim17ROCPRIM_400000_NS6detail17trampoline_kernelINS0_14default_configENS1_25partition_config_selectorILNS1_17partition_subalgoE9EllbEEZZNS1_14partition_implILS5_9ELb0ES3_jPlS8_PNS0_10empty_typeENS0_5tupleIJS8_S9_EEENSB_IJS8_SA_EEENS0_18inequality_wrapperIZN2at6native12_GLOBAL__N_124unique_dim_cuda_templateItEESt5tupleIJNSF_6TensorESK_SK_EERKSK_lbbbEUlllE0_EEPmJS9_EEE10hipError_tPvRmT3_T4_T5_T6_T7_T9_mT8_P12ihipStream_tbDpT10_ENKUlT_T0_E_clISt17integral_constantIbLb1EES1A_EEDaS15_S16_EUlS15_E_NS1_11comp_targetILNS1_3genE9ELNS1_11target_archE1100ELNS1_3gpuE3ELNS1_3repE0EEENS1_30default_config_static_selectorELNS0_4arch9wavefront6targetE1EEEvT1_,comdat
.Lfunc_end1463:
	.size	_ZN7rocprim17ROCPRIM_400000_NS6detail17trampoline_kernelINS0_14default_configENS1_25partition_config_selectorILNS1_17partition_subalgoE9EllbEEZZNS1_14partition_implILS5_9ELb0ES3_jPlS8_PNS0_10empty_typeENS0_5tupleIJS8_S9_EEENSB_IJS8_SA_EEENS0_18inequality_wrapperIZN2at6native12_GLOBAL__N_124unique_dim_cuda_templateItEESt5tupleIJNSF_6TensorESK_SK_EERKSK_lbbbEUlllE0_EEPmJS9_EEE10hipError_tPvRmT3_T4_T5_T6_T7_T9_mT8_P12ihipStream_tbDpT10_ENKUlT_T0_E_clISt17integral_constantIbLb1EES1A_EEDaS15_S16_EUlS15_E_NS1_11comp_targetILNS1_3genE9ELNS1_11target_archE1100ELNS1_3gpuE3ELNS1_3repE0EEENS1_30default_config_static_selectorELNS0_4arch9wavefront6targetE1EEEvT1_, .Lfunc_end1463-_ZN7rocprim17ROCPRIM_400000_NS6detail17trampoline_kernelINS0_14default_configENS1_25partition_config_selectorILNS1_17partition_subalgoE9EllbEEZZNS1_14partition_implILS5_9ELb0ES3_jPlS8_PNS0_10empty_typeENS0_5tupleIJS8_S9_EEENSB_IJS8_SA_EEENS0_18inequality_wrapperIZN2at6native12_GLOBAL__N_124unique_dim_cuda_templateItEESt5tupleIJNSF_6TensorESK_SK_EERKSK_lbbbEUlllE0_EEPmJS9_EEE10hipError_tPvRmT3_T4_T5_T6_T7_T9_mT8_P12ihipStream_tbDpT10_ENKUlT_T0_E_clISt17integral_constantIbLb1EES1A_EEDaS15_S16_EUlS15_E_NS1_11comp_targetILNS1_3genE9ELNS1_11target_archE1100ELNS1_3gpuE3ELNS1_3repE0EEENS1_30default_config_static_selectorELNS0_4arch9wavefront6targetE1EEEvT1_
                                        ; -- End function
	.section	.AMDGPU.csdata,"",@progbits
; Kernel info:
; codeLenInByte = 0
; NumSgprs: 4
; NumVgprs: 0
; NumAgprs: 0
; TotalNumVgprs: 0
; ScratchSize: 0
; MemoryBound: 0
; FloatMode: 240
; IeeeMode: 1
; LDSByteSize: 0 bytes/workgroup (compile time only)
; SGPRBlocks: 0
; VGPRBlocks: 0
; NumSGPRsForWavesPerEU: 4
; NumVGPRsForWavesPerEU: 1
; AccumOffset: 4
; Occupancy: 8
; WaveLimiterHint : 0
; COMPUTE_PGM_RSRC2:SCRATCH_EN: 0
; COMPUTE_PGM_RSRC2:USER_SGPR: 6
; COMPUTE_PGM_RSRC2:TRAP_HANDLER: 0
; COMPUTE_PGM_RSRC2:TGID_X_EN: 1
; COMPUTE_PGM_RSRC2:TGID_Y_EN: 0
; COMPUTE_PGM_RSRC2:TGID_Z_EN: 0
; COMPUTE_PGM_RSRC2:TIDIG_COMP_CNT: 0
; COMPUTE_PGM_RSRC3_GFX90A:ACCUM_OFFSET: 0
; COMPUTE_PGM_RSRC3_GFX90A:TG_SPLIT: 0
	.section	.text._ZN7rocprim17ROCPRIM_400000_NS6detail17trampoline_kernelINS0_14default_configENS1_25partition_config_selectorILNS1_17partition_subalgoE9EllbEEZZNS1_14partition_implILS5_9ELb0ES3_jPlS8_PNS0_10empty_typeENS0_5tupleIJS8_S9_EEENSB_IJS8_SA_EEENS0_18inequality_wrapperIZN2at6native12_GLOBAL__N_124unique_dim_cuda_templateItEESt5tupleIJNSF_6TensorESK_SK_EERKSK_lbbbEUlllE0_EEPmJS9_EEE10hipError_tPvRmT3_T4_T5_T6_T7_T9_mT8_P12ihipStream_tbDpT10_ENKUlT_T0_E_clISt17integral_constantIbLb1EES1A_EEDaS15_S16_EUlS15_E_NS1_11comp_targetILNS1_3genE8ELNS1_11target_archE1030ELNS1_3gpuE2ELNS1_3repE0EEENS1_30default_config_static_selectorELNS0_4arch9wavefront6targetE1EEEvT1_,"axG",@progbits,_ZN7rocprim17ROCPRIM_400000_NS6detail17trampoline_kernelINS0_14default_configENS1_25partition_config_selectorILNS1_17partition_subalgoE9EllbEEZZNS1_14partition_implILS5_9ELb0ES3_jPlS8_PNS0_10empty_typeENS0_5tupleIJS8_S9_EEENSB_IJS8_SA_EEENS0_18inequality_wrapperIZN2at6native12_GLOBAL__N_124unique_dim_cuda_templateItEESt5tupleIJNSF_6TensorESK_SK_EERKSK_lbbbEUlllE0_EEPmJS9_EEE10hipError_tPvRmT3_T4_T5_T6_T7_T9_mT8_P12ihipStream_tbDpT10_ENKUlT_T0_E_clISt17integral_constantIbLb1EES1A_EEDaS15_S16_EUlS15_E_NS1_11comp_targetILNS1_3genE8ELNS1_11target_archE1030ELNS1_3gpuE2ELNS1_3repE0EEENS1_30default_config_static_selectorELNS0_4arch9wavefront6targetE1EEEvT1_,comdat
	.globl	_ZN7rocprim17ROCPRIM_400000_NS6detail17trampoline_kernelINS0_14default_configENS1_25partition_config_selectorILNS1_17partition_subalgoE9EllbEEZZNS1_14partition_implILS5_9ELb0ES3_jPlS8_PNS0_10empty_typeENS0_5tupleIJS8_S9_EEENSB_IJS8_SA_EEENS0_18inequality_wrapperIZN2at6native12_GLOBAL__N_124unique_dim_cuda_templateItEESt5tupleIJNSF_6TensorESK_SK_EERKSK_lbbbEUlllE0_EEPmJS9_EEE10hipError_tPvRmT3_T4_T5_T6_T7_T9_mT8_P12ihipStream_tbDpT10_ENKUlT_T0_E_clISt17integral_constantIbLb1EES1A_EEDaS15_S16_EUlS15_E_NS1_11comp_targetILNS1_3genE8ELNS1_11target_archE1030ELNS1_3gpuE2ELNS1_3repE0EEENS1_30default_config_static_selectorELNS0_4arch9wavefront6targetE1EEEvT1_ ; -- Begin function _ZN7rocprim17ROCPRIM_400000_NS6detail17trampoline_kernelINS0_14default_configENS1_25partition_config_selectorILNS1_17partition_subalgoE9EllbEEZZNS1_14partition_implILS5_9ELb0ES3_jPlS8_PNS0_10empty_typeENS0_5tupleIJS8_S9_EEENSB_IJS8_SA_EEENS0_18inequality_wrapperIZN2at6native12_GLOBAL__N_124unique_dim_cuda_templateItEESt5tupleIJNSF_6TensorESK_SK_EERKSK_lbbbEUlllE0_EEPmJS9_EEE10hipError_tPvRmT3_T4_T5_T6_T7_T9_mT8_P12ihipStream_tbDpT10_ENKUlT_T0_E_clISt17integral_constantIbLb1EES1A_EEDaS15_S16_EUlS15_E_NS1_11comp_targetILNS1_3genE8ELNS1_11target_archE1030ELNS1_3gpuE2ELNS1_3repE0EEENS1_30default_config_static_selectorELNS0_4arch9wavefront6targetE1EEEvT1_
	.p2align	8
	.type	_ZN7rocprim17ROCPRIM_400000_NS6detail17trampoline_kernelINS0_14default_configENS1_25partition_config_selectorILNS1_17partition_subalgoE9EllbEEZZNS1_14partition_implILS5_9ELb0ES3_jPlS8_PNS0_10empty_typeENS0_5tupleIJS8_S9_EEENSB_IJS8_SA_EEENS0_18inequality_wrapperIZN2at6native12_GLOBAL__N_124unique_dim_cuda_templateItEESt5tupleIJNSF_6TensorESK_SK_EERKSK_lbbbEUlllE0_EEPmJS9_EEE10hipError_tPvRmT3_T4_T5_T6_T7_T9_mT8_P12ihipStream_tbDpT10_ENKUlT_T0_E_clISt17integral_constantIbLb1EES1A_EEDaS15_S16_EUlS15_E_NS1_11comp_targetILNS1_3genE8ELNS1_11target_archE1030ELNS1_3gpuE2ELNS1_3repE0EEENS1_30default_config_static_selectorELNS0_4arch9wavefront6targetE1EEEvT1_,@function
_ZN7rocprim17ROCPRIM_400000_NS6detail17trampoline_kernelINS0_14default_configENS1_25partition_config_selectorILNS1_17partition_subalgoE9EllbEEZZNS1_14partition_implILS5_9ELb0ES3_jPlS8_PNS0_10empty_typeENS0_5tupleIJS8_S9_EEENSB_IJS8_SA_EEENS0_18inequality_wrapperIZN2at6native12_GLOBAL__N_124unique_dim_cuda_templateItEESt5tupleIJNSF_6TensorESK_SK_EERKSK_lbbbEUlllE0_EEPmJS9_EEE10hipError_tPvRmT3_T4_T5_T6_T7_T9_mT8_P12ihipStream_tbDpT10_ENKUlT_T0_E_clISt17integral_constantIbLb1EES1A_EEDaS15_S16_EUlS15_E_NS1_11comp_targetILNS1_3genE8ELNS1_11target_archE1030ELNS1_3gpuE2ELNS1_3repE0EEENS1_30default_config_static_selectorELNS0_4arch9wavefront6targetE1EEEvT1_: ; @_ZN7rocprim17ROCPRIM_400000_NS6detail17trampoline_kernelINS0_14default_configENS1_25partition_config_selectorILNS1_17partition_subalgoE9EllbEEZZNS1_14partition_implILS5_9ELb0ES3_jPlS8_PNS0_10empty_typeENS0_5tupleIJS8_S9_EEENSB_IJS8_SA_EEENS0_18inequality_wrapperIZN2at6native12_GLOBAL__N_124unique_dim_cuda_templateItEESt5tupleIJNSF_6TensorESK_SK_EERKSK_lbbbEUlllE0_EEPmJS9_EEE10hipError_tPvRmT3_T4_T5_T6_T7_T9_mT8_P12ihipStream_tbDpT10_ENKUlT_T0_E_clISt17integral_constantIbLb1EES1A_EEDaS15_S16_EUlS15_E_NS1_11comp_targetILNS1_3genE8ELNS1_11target_archE1030ELNS1_3gpuE2ELNS1_3repE0EEENS1_30default_config_static_selectorELNS0_4arch9wavefront6targetE1EEEvT1_
; %bb.0:
	.section	.rodata,"a",@progbits
	.p2align	6, 0x0
	.amdhsa_kernel _ZN7rocprim17ROCPRIM_400000_NS6detail17trampoline_kernelINS0_14default_configENS1_25partition_config_selectorILNS1_17partition_subalgoE9EllbEEZZNS1_14partition_implILS5_9ELb0ES3_jPlS8_PNS0_10empty_typeENS0_5tupleIJS8_S9_EEENSB_IJS8_SA_EEENS0_18inequality_wrapperIZN2at6native12_GLOBAL__N_124unique_dim_cuda_templateItEESt5tupleIJNSF_6TensorESK_SK_EERKSK_lbbbEUlllE0_EEPmJS9_EEE10hipError_tPvRmT3_T4_T5_T6_T7_T9_mT8_P12ihipStream_tbDpT10_ENKUlT_T0_E_clISt17integral_constantIbLb1EES1A_EEDaS15_S16_EUlS15_E_NS1_11comp_targetILNS1_3genE8ELNS1_11target_archE1030ELNS1_3gpuE2ELNS1_3repE0EEENS1_30default_config_static_selectorELNS0_4arch9wavefront6targetE1EEEvT1_
		.amdhsa_group_segment_fixed_size 0
		.amdhsa_private_segment_fixed_size 0
		.amdhsa_kernarg_size 136
		.amdhsa_user_sgpr_count 6
		.amdhsa_user_sgpr_private_segment_buffer 1
		.amdhsa_user_sgpr_dispatch_ptr 0
		.amdhsa_user_sgpr_queue_ptr 0
		.amdhsa_user_sgpr_kernarg_segment_ptr 1
		.amdhsa_user_sgpr_dispatch_id 0
		.amdhsa_user_sgpr_flat_scratch_init 0
		.amdhsa_user_sgpr_kernarg_preload_length 0
		.amdhsa_user_sgpr_kernarg_preload_offset 0
		.amdhsa_user_sgpr_private_segment_size 0
		.amdhsa_uses_dynamic_stack 0
		.amdhsa_system_sgpr_private_segment_wavefront_offset 0
		.amdhsa_system_sgpr_workgroup_id_x 1
		.amdhsa_system_sgpr_workgroup_id_y 0
		.amdhsa_system_sgpr_workgroup_id_z 0
		.amdhsa_system_sgpr_workgroup_info 0
		.amdhsa_system_vgpr_workitem_id 0
		.amdhsa_next_free_vgpr 1
		.amdhsa_next_free_sgpr 0
		.amdhsa_accum_offset 4
		.amdhsa_reserve_vcc 0
		.amdhsa_reserve_flat_scratch 0
		.amdhsa_float_round_mode_32 0
		.amdhsa_float_round_mode_16_64 0
		.amdhsa_float_denorm_mode_32 3
		.amdhsa_float_denorm_mode_16_64 3
		.amdhsa_dx10_clamp 1
		.amdhsa_ieee_mode 1
		.amdhsa_fp16_overflow 0
		.amdhsa_tg_split 0
		.amdhsa_exception_fp_ieee_invalid_op 0
		.amdhsa_exception_fp_denorm_src 0
		.amdhsa_exception_fp_ieee_div_zero 0
		.amdhsa_exception_fp_ieee_overflow 0
		.amdhsa_exception_fp_ieee_underflow 0
		.amdhsa_exception_fp_ieee_inexact 0
		.amdhsa_exception_int_div_zero 0
	.end_amdhsa_kernel
	.section	.text._ZN7rocprim17ROCPRIM_400000_NS6detail17trampoline_kernelINS0_14default_configENS1_25partition_config_selectorILNS1_17partition_subalgoE9EllbEEZZNS1_14partition_implILS5_9ELb0ES3_jPlS8_PNS0_10empty_typeENS0_5tupleIJS8_S9_EEENSB_IJS8_SA_EEENS0_18inequality_wrapperIZN2at6native12_GLOBAL__N_124unique_dim_cuda_templateItEESt5tupleIJNSF_6TensorESK_SK_EERKSK_lbbbEUlllE0_EEPmJS9_EEE10hipError_tPvRmT3_T4_T5_T6_T7_T9_mT8_P12ihipStream_tbDpT10_ENKUlT_T0_E_clISt17integral_constantIbLb1EES1A_EEDaS15_S16_EUlS15_E_NS1_11comp_targetILNS1_3genE8ELNS1_11target_archE1030ELNS1_3gpuE2ELNS1_3repE0EEENS1_30default_config_static_selectorELNS0_4arch9wavefront6targetE1EEEvT1_,"axG",@progbits,_ZN7rocprim17ROCPRIM_400000_NS6detail17trampoline_kernelINS0_14default_configENS1_25partition_config_selectorILNS1_17partition_subalgoE9EllbEEZZNS1_14partition_implILS5_9ELb0ES3_jPlS8_PNS0_10empty_typeENS0_5tupleIJS8_S9_EEENSB_IJS8_SA_EEENS0_18inequality_wrapperIZN2at6native12_GLOBAL__N_124unique_dim_cuda_templateItEESt5tupleIJNSF_6TensorESK_SK_EERKSK_lbbbEUlllE0_EEPmJS9_EEE10hipError_tPvRmT3_T4_T5_T6_T7_T9_mT8_P12ihipStream_tbDpT10_ENKUlT_T0_E_clISt17integral_constantIbLb1EES1A_EEDaS15_S16_EUlS15_E_NS1_11comp_targetILNS1_3genE8ELNS1_11target_archE1030ELNS1_3gpuE2ELNS1_3repE0EEENS1_30default_config_static_selectorELNS0_4arch9wavefront6targetE1EEEvT1_,comdat
.Lfunc_end1464:
	.size	_ZN7rocprim17ROCPRIM_400000_NS6detail17trampoline_kernelINS0_14default_configENS1_25partition_config_selectorILNS1_17partition_subalgoE9EllbEEZZNS1_14partition_implILS5_9ELb0ES3_jPlS8_PNS0_10empty_typeENS0_5tupleIJS8_S9_EEENSB_IJS8_SA_EEENS0_18inequality_wrapperIZN2at6native12_GLOBAL__N_124unique_dim_cuda_templateItEESt5tupleIJNSF_6TensorESK_SK_EERKSK_lbbbEUlllE0_EEPmJS9_EEE10hipError_tPvRmT3_T4_T5_T6_T7_T9_mT8_P12ihipStream_tbDpT10_ENKUlT_T0_E_clISt17integral_constantIbLb1EES1A_EEDaS15_S16_EUlS15_E_NS1_11comp_targetILNS1_3genE8ELNS1_11target_archE1030ELNS1_3gpuE2ELNS1_3repE0EEENS1_30default_config_static_selectorELNS0_4arch9wavefront6targetE1EEEvT1_, .Lfunc_end1464-_ZN7rocprim17ROCPRIM_400000_NS6detail17trampoline_kernelINS0_14default_configENS1_25partition_config_selectorILNS1_17partition_subalgoE9EllbEEZZNS1_14partition_implILS5_9ELb0ES3_jPlS8_PNS0_10empty_typeENS0_5tupleIJS8_S9_EEENSB_IJS8_SA_EEENS0_18inequality_wrapperIZN2at6native12_GLOBAL__N_124unique_dim_cuda_templateItEESt5tupleIJNSF_6TensorESK_SK_EERKSK_lbbbEUlllE0_EEPmJS9_EEE10hipError_tPvRmT3_T4_T5_T6_T7_T9_mT8_P12ihipStream_tbDpT10_ENKUlT_T0_E_clISt17integral_constantIbLb1EES1A_EEDaS15_S16_EUlS15_E_NS1_11comp_targetILNS1_3genE8ELNS1_11target_archE1030ELNS1_3gpuE2ELNS1_3repE0EEENS1_30default_config_static_selectorELNS0_4arch9wavefront6targetE1EEEvT1_
                                        ; -- End function
	.section	.AMDGPU.csdata,"",@progbits
; Kernel info:
; codeLenInByte = 0
; NumSgprs: 4
; NumVgprs: 0
; NumAgprs: 0
; TotalNumVgprs: 0
; ScratchSize: 0
; MemoryBound: 0
; FloatMode: 240
; IeeeMode: 1
; LDSByteSize: 0 bytes/workgroup (compile time only)
; SGPRBlocks: 0
; VGPRBlocks: 0
; NumSGPRsForWavesPerEU: 4
; NumVGPRsForWavesPerEU: 1
; AccumOffset: 4
; Occupancy: 8
; WaveLimiterHint : 0
; COMPUTE_PGM_RSRC2:SCRATCH_EN: 0
; COMPUTE_PGM_RSRC2:USER_SGPR: 6
; COMPUTE_PGM_RSRC2:TRAP_HANDLER: 0
; COMPUTE_PGM_RSRC2:TGID_X_EN: 1
; COMPUTE_PGM_RSRC2:TGID_Y_EN: 0
; COMPUTE_PGM_RSRC2:TGID_Z_EN: 0
; COMPUTE_PGM_RSRC2:TIDIG_COMP_CNT: 0
; COMPUTE_PGM_RSRC3_GFX90A:ACCUM_OFFSET: 0
; COMPUTE_PGM_RSRC3_GFX90A:TG_SPLIT: 0
	.section	.text._ZN7rocprim17ROCPRIM_400000_NS6detail17trampoline_kernelINS0_14default_configENS1_25partition_config_selectorILNS1_17partition_subalgoE9EllbEEZZNS1_14partition_implILS5_9ELb0ES3_jPlS8_PNS0_10empty_typeENS0_5tupleIJS8_S9_EEENSB_IJS8_SA_EEENS0_18inequality_wrapperIZN2at6native12_GLOBAL__N_124unique_dim_cuda_templateItEESt5tupleIJNSF_6TensorESK_SK_EERKSK_lbbbEUlllE0_EEPmJS9_EEE10hipError_tPvRmT3_T4_T5_T6_T7_T9_mT8_P12ihipStream_tbDpT10_ENKUlT_T0_E_clISt17integral_constantIbLb1EES19_IbLb0EEEEDaS15_S16_EUlS15_E_NS1_11comp_targetILNS1_3genE0ELNS1_11target_archE4294967295ELNS1_3gpuE0ELNS1_3repE0EEENS1_30default_config_static_selectorELNS0_4arch9wavefront6targetE1EEEvT1_,"axG",@progbits,_ZN7rocprim17ROCPRIM_400000_NS6detail17trampoline_kernelINS0_14default_configENS1_25partition_config_selectorILNS1_17partition_subalgoE9EllbEEZZNS1_14partition_implILS5_9ELb0ES3_jPlS8_PNS0_10empty_typeENS0_5tupleIJS8_S9_EEENSB_IJS8_SA_EEENS0_18inequality_wrapperIZN2at6native12_GLOBAL__N_124unique_dim_cuda_templateItEESt5tupleIJNSF_6TensorESK_SK_EERKSK_lbbbEUlllE0_EEPmJS9_EEE10hipError_tPvRmT3_T4_T5_T6_T7_T9_mT8_P12ihipStream_tbDpT10_ENKUlT_T0_E_clISt17integral_constantIbLb1EES19_IbLb0EEEEDaS15_S16_EUlS15_E_NS1_11comp_targetILNS1_3genE0ELNS1_11target_archE4294967295ELNS1_3gpuE0ELNS1_3repE0EEENS1_30default_config_static_selectorELNS0_4arch9wavefront6targetE1EEEvT1_,comdat
	.globl	_ZN7rocprim17ROCPRIM_400000_NS6detail17trampoline_kernelINS0_14default_configENS1_25partition_config_selectorILNS1_17partition_subalgoE9EllbEEZZNS1_14partition_implILS5_9ELb0ES3_jPlS8_PNS0_10empty_typeENS0_5tupleIJS8_S9_EEENSB_IJS8_SA_EEENS0_18inequality_wrapperIZN2at6native12_GLOBAL__N_124unique_dim_cuda_templateItEESt5tupleIJNSF_6TensorESK_SK_EERKSK_lbbbEUlllE0_EEPmJS9_EEE10hipError_tPvRmT3_T4_T5_T6_T7_T9_mT8_P12ihipStream_tbDpT10_ENKUlT_T0_E_clISt17integral_constantIbLb1EES19_IbLb0EEEEDaS15_S16_EUlS15_E_NS1_11comp_targetILNS1_3genE0ELNS1_11target_archE4294967295ELNS1_3gpuE0ELNS1_3repE0EEENS1_30default_config_static_selectorELNS0_4arch9wavefront6targetE1EEEvT1_ ; -- Begin function _ZN7rocprim17ROCPRIM_400000_NS6detail17trampoline_kernelINS0_14default_configENS1_25partition_config_selectorILNS1_17partition_subalgoE9EllbEEZZNS1_14partition_implILS5_9ELb0ES3_jPlS8_PNS0_10empty_typeENS0_5tupleIJS8_S9_EEENSB_IJS8_SA_EEENS0_18inequality_wrapperIZN2at6native12_GLOBAL__N_124unique_dim_cuda_templateItEESt5tupleIJNSF_6TensorESK_SK_EERKSK_lbbbEUlllE0_EEPmJS9_EEE10hipError_tPvRmT3_T4_T5_T6_T7_T9_mT8_P12ihipStream_tbDpT10_ENKUlT_T0_E_clISt17integral_constantIbLb1EES19_IbLb0EEEEDaS15_S16_EUlS15_E_NS1_11comp_targetILNS1_3genE0ELNS1_11target_archE4294967295ELNS1_3gpuE0ELNS1_3repE0EEENS1_30default_config_static_selectorELNS0_4arch9wavefront6targetE1EEEvT1_
	.p2align	8
	.type	_ZN7rocprim17ROCPRIM_400000_NS6detail17trampoline_kernelINS0_14default_configENS1_25partition_config_selectorILNS1_17partition_subalgoE9EllbEEZZNS1_14partition_implILS5_9ELb0ES3_jPlS8_PNS0_10empty_typeENS0_5tupleIJS8_S9_EEENSB_IJS8_SA_EEENS0_18inequality_wrapperIZN2at6native12_GLOBAL__N_124unique_dim_cuda_templateItEESt5tupleIJNSF_6TensorESK_SK_EERKSK_lbbbEUlllE0_EEPmJS9_EEE10hipError_tPvRmT3_T4_T5_T6_T7_T9_mT8_P12ihipStream_tbDpT10_ENKUlT_T0_E_clISt17integral_constantIbLb1EES19_IbLb0EEEEDaS15_S16_EUlS15_E_NS1_11comp_targetILNS1_3genE0ELNS1_11target_archE4294967295ELNS1_3gpuE0ELNS1_3repE0EEENS1_30default_config_static_selectorELNS0_4arch9wavefront6targetE1EEEvT1_,@function
_ZN7rocprim17ROCPRIM_400000_NS6detail17trampoline_kernelINS0_14default_configENS1_25partition_config_selectorILNS1_17partition_subalgoE9EllbEEZZNS1_14partition_implILS5_9ELb0ES3_jPlS8_PNS0_10empty_typeENS0_5tupleIJS8_S9_EEENSB_IJS8_SA_EEENS0_18inequality_wrapperIZN2at6native12_GLOBAL__N_124unique_dim_cuda_templateItEESt5tupleIJNSF_6TensorESK_SK_EERKSK_lbbbEUlllE0_EEPmJS9_EEE10hipError_tPvRmT3_T4_T5_T6_T7_T9_mT8_P12ihipStream_tbDpT10_ENKUlT_T0_E_clISt17integral_constantIbLb1EES19_IbLb0EEEEDaS15_S16_EUlS15_E_NS1_11comp_targetILNS1_3genE0ELNS1_11target_archE4294967295ELNS1_3gpuE0ELNS1_3repE0EEENS1_30default_config_static_selectorELNS0_4arch9wavefront6targetE1EEEvT1_: ; @_ZN7rocprim17ROCPRIM_400000_NS6detail17trampoline_kernelINS0_14default_configENS1_25partition_config_selectorILNS1_17partition_subalgoE9EllbEEZZNS1_14partition_implILS5_9ELb0ES3_jPlS8_PNS0_10empty_typeENS0_5tupleIJS8_S9_EEENSB_IJS8_SA_EEENS0_18inequality_wrapperIZN2at6native12_GLOBAL__N_124unique_dim_cuda_templateItEESt5tupleIJNSF_6TensorESK_SK_EERKSK_lbbbEUlllE0_EEPmJS9_EEE10hipError_tPvRmT3_T4_T5_T6_T7_T9_mT8_P12ihipStream_tbDpT10_ENKUlT_T0_E_clISt17integral_constantIbLb1EES19_IbLb0EEEEDaS15_S16_EUlS15_E_NS1_11comp_targetILNS1_3genE0ELNS1_11target_archE4294967295ELNS1_3gpuE0ELNS1_3repE0EEENS1_30default_config_static_selectorELNS0_4arch9wavefront6targetE1EEEvT1_
; %bb.0:
	.section	.rodata,"a",@progbits
	.p2align	6, 0x0
	.amdhsa_kernel _ZN7rocprim17ROCPRIM_400000_NS6detail17trampoline_kernelINS0_14default_configENS1_25partition_config_selectorILNS1_17partition_subalgoE9EllbEEZZNS1_14partition_implILS5_9ELb0ES3_jPlS8_PNS0_10empty_typeENS0_5tupleIJS8_S9_EEENSB_IJS8_SA_EEENS0_18inequality_wrapperIZN2at6native12_GLOBAL__N_124unique_dim_cuda_templateItEESt5tupleIJNSF_6TensorESK_SK_EERKSK_lbbbEUlllE0_EEPmJS9_EEE10hipError_tPvRmT3_T4_T5_T6_T7_T9_mT8_P12ihipStream_tbDpT10_ENKUlT_T0_E_clISt17integral_constantIbLb1EES19_IbLb0EEEEDaS15_S16_EUlS15_E_NS1_11comp_targetILNS1_3genE0ELNS1_11target_archE4294967295ELNS1_3gpuE0ELNS1_3repE0EEENS1_30default_config_static_selectorELNS0_4arch9wavefront6targetE1EEEvT1_
		.amdhsa_group_segment_fixed_size 0
		.amdhsa_private_segment_fixed_size 0
		.amdhsa_kernarg_size 120
		.amdhsa_user_sgpr_count 6
		.amdhsa_user_sgpr_private_segment_buffer 1
		.amdhsa_user_sgpr_dispatch_ptr 0
		.amdhsa_user_sgpr_queue_ptr 0
		.amdhsa_user_sgpr_kernarg_segment_ptr 1
		.amdhsa_user_sgpr_dispatch_id 0
		.amdhsa_user_sgpr_flat_scratch_init 0
		.amdhsa_user_sgpr_kernarg_preload_length 0
		.amdhsa_user_sgpr_kernarg_preload_offset 0
		.amdhsa_user_sgpr_private_segment_size 0
		.amdhsa_uses_dynamic_stack 0
		.amdhsa_system_sgpr_private_segment_wavefront_offset 0
		.amdhsa_system_sgpr_workgroup_id_x 1
		.amdhsa_system_sgpr_workgroup_id_y 0
		.amdhsa_system_sgpr_workgroup_id_z 0
		.amdhsa_system_sgpr_workgroup_info 0
		.amdhsa_system_vgpr_workitem_id 0
		.amdhsa_next_free_vgpr 1
		.amdhsa_next_free_sgpr 0
		.amdhsa_accum_offset 4
		.amdhsa_reserve_vcc 0
		.amdhsa_reserve_flat_scratch 0
		.amdhsa_float_round_mode_32 0
		.amdhsa_float_round_mode_16_64 0
		.amdhsa_float_denorm_mode_32 3
		.amdhsa_float_denorm_mode_16_64 3
		.amdhsa_dx10_clamp 1
		.amdhsa_ieee_mode 1
		.amdhsa_fp16_overflow 0
		.amdhsa_tg_split 0
		.amdhsa_exception_fp_ieee_invalid_op 0
		.amdhsa_exception_fp_denorm_src 0
		.amdhsa_exception_fp_ieee_div_zero 0
		.amdhsa_exception_fp_ieee_overflow 0
		.amdhsa_exception_fp_ieee_underflow 0
		.amdhsa_exception_fp_ieee_inexact 0
		.amdhsa_exception_int_div_zero 0
	.end_amdhsa_kernel
	.section	.text._ZN7rocprim17ROCPRIM_400000_NS6detail17trampoline_kernelINS0_14default_configENS1_25partition_config_selectorILNS1_17partition_subalgoE9EllbEEZZNS1_14partition_implILS5_9ELb0ES3_jPlS8_PNS0_10empty_typeENS0_5tupleIJS8_S9_EEENSB_IJS8_SA_EEENS0_18inequality_wrapperIZN2at6native12_GLOBAL__N_124unique_dim_cuda_templateItEESt5tupleIJNSF_6TensorESK_SK_EERKSK_lbbbEUlllE0_EEPmJS9_EEE10hipError_tPvRmT3_T4_T5_T6_T7_T9_mT8_P12ihipStream_tbDpT10_ENKUlT_T0_E_clISt17integral_constantIbLb1EES19_IbLb0EEEEDaS15_S16_EUlS15_E_NS1_11comp_targetILNS1_3genE0ELNS1_11target_archE4294967295ELNS1_3gpuE0ELNS1_3repE0EEENS1_30default_config_static_selectorELNS0_4arch9wavefront6targetE1EEEvT1_,"axG",@progbits,_ZN7rocprim17ROCPRIM_400000_NS6detail17trampoline_kernelINS0_14default_configENS1_25partition_config_selectorILNS1_17partition_subalgoE9EllbEEZZNS1_14partition_implILS5_9ELb0ES3_jPlS8_PNS0_10empty_typeENS0_5tupleIJS8_S9_EEENSB_IJS8_SA_EEENS0_18inequality_wrapperIZN2at6native12_GLOBAL__N_124unique_dim_cuda_templateItEESt5tupleIJNSF_6TensorESK_SK_EERKSK_lbbbEUlllE0_EEPmJS9_EEE10hipError_tPvRmT3_T4_T5_T6_T7_T9_mT8_P12ihipStream_tbDpT10_ENKUlT_T0_E_clISt17integral_constantIbLb1EES19_IbLb0EEEEDaS15_S16_EUlS15_E_NS1_11comp_targetILNS1_3genE0ELNS1_11target_archE4294967295ELNS1_3gpuE0ELNS1_3repE0EEENS1_30default_config_static_selectorELNS0_4arch9wavefront6targetE1EEEvT1_,comdat
.Lfunc_end1465:
	.size	_ZN7rocprim17ROCPRIM_400000_NS6detail17trampoline_kernelINS0_14default_configENS1_25partition_config_selectorILNS1_17partition_subalgoE9EllbEEZZNS1_14partition_implILS5_9ELb0ES3_jPlS8_PNS0_10empty_typeENS0_5tupleIJS8_S9_EEENSB_IJS8_SA_EEENS0_18inequality_wrapperIZN2at6native12_GLOBAL__N_124unique_dim_cuda_templateItEESt5tupleIJNSF_6TensorESK_SK_EERKSK_lbbbEUlllE0_EEPmJS9_EEE10hipError_tPvRmT3_T4_T5_T6_T7_T9_mT8_P12ihipStream_tbDpT10_ENKUlT_T0_E_clISt17integral_constantIbLb1EES19_IbLb0EEEEDaS15_S16_EUlS15_E_NS1_11comp_targetILNS1_3genE0ELNS1_11target_archE4294967295ELNS1_3gpuE0ELNS1_3repE0EEENS1_30default_config_static_selectorELNS0_4arch9wavefront6targetE1EEEvT1_, .Lfunc_end1465-_ZN7rocprim17ROCPRIM_400000_NS6detail17trampoline_kernelINS0_14default_configENS1_25partition_config_selectorILNS1_17partition_subalgoE9EllbEEZZNS1_14partition_implILS5_9ELb0ES3_jPlS8_PNS0_10empty_typeENS0_5tupleIJS8_S9_EEENSB_IJS8_SA_EEENS0_18inequality_wrapperIZN2at6native12_GLOBAL__N_124unique_dim_cuda_templateItEESt5tupleIJNSF_6TensorESK_SK_EERKSK_lbbbEUlllE0_EEPmJS9_EEE10hipError_tPvRmT3_T4_T5_T6_T7_T9_mT8_P12ihipStream_tbDpT10_ENKUlT_T0_E_clISt17integral_constantIbLb1EES19_IbLb0EEEEDaS15_S16_EUlS15_E_NS1_11comp_targetILNS1_3genE0ELNS1_11target_archE4294967295ELNS1_3gpuE0ELNS1_3repE0EEENS1_30default_config_static_selectorELNS0_4arch9wavefront6targetE1EEEvT1_
                                        ; -- End function
	.section	.AMDGPU.csdata,"",@progbits
; Kernel info:
; codeLenInByte = 0
; NumSgprs: 4
; NumVgprs: 0
; NumAgprs: 0
; TotalNumVgprs: 0
; ScratchSize: 0
; MemoryBound: 0
; FloatMode: 240
; IeeeMode: 1
; LDSByteSize: 0 bytes/workgroup (compile time only)
; SGPRBlocks: 0
; VGPRBlocks: 0
; NumSGPRsForWavesPerEU: 4
; NumVGPRsForWavesPerEU: 1
; AccumOffset: 4
; Occupancy: 8
; WaveLimiterHint : 0
; COMPUTE_PGM_RSRC2:SCRATCH_EN: 0
; COMPUTE_PGM_RSRC2:USER_SGPR: 6
; COMPUTE_PGM_RSRC2:TRAP_HANDLER: 0
; COMPUTE_PGM_RSRC2:TGID_X_EN: 1
; COMPUTE_PGM_RSRC2:TGID_Y_EN: 0
; COMPUTE_PGM_RSRC2:TGID_Z_EN: 0
; COMPUTE_PGM_RSRC2:TIDIG_COMP_CNT: 0
; COMPUTE_PGM_RSRC3_GFX90A:ACCUM_OFFSET: 0
; COMPUTE_PGM_RSRC3_GFX90A:TG_SPLIT: 0
	.section	.text._ZN7rocprim17ROCPRIM_400000_NS6detail17trampoline_kernelINS0_14default_configENS1_25partition_config_selectorILNS1_17partition_subalgoE9EllbEEZZNS1_14partition_implILS5_9ELb0ES3_jPlS8_PNS0_10empty_typeENS0_5tupleIJS8_S9_EEENSB_IJS8_SA_EEENS0_18inequality_wrapperIZN2at6native12_GLOBAL__N_124unique_dim_cuda_templateItEESt5tupleIJNSF_6TensorESK_SK_EERKSK_lbbbEUlllE0_EEPmJS9_EEE10hipError_tPvRmT3_T4_T5_T6_T7_T9_mT8_P12ihipStream_tbDpT10_ENKUlT_T0_E_clISt17integral_constantIbLb1EES19_IbLb0EEEEDaS15_S16_EUlS15_E_NS1_11comp_targetILNS1_3genE5ELNS1_11target_archE942ELNS1_3gpuE9ELNS1_3repE0EEENS1_30default_config_static_selectorELNS0_4arch9wavefront6targetE1EEEvT1_,"axG",@progbits,_ZN7rocprim17ROCPRIM_400000_NS6detail17trampoline_kernelINS0_14default_configENS1_25partition_config_selectorILNS1_17partition_subalgoE9EllbEEZZNS1_14partition_implILS5_9ELb0ES3_jPlS8_PNS0_10empty_typeENS0_5tupleIJS8_S9_EEENSB_IJS8_SA_EEENS0_18inequality_wrapperIZN2at6native12_GLOBAL__N_124unique_dim_cuda_templateItEESt5tupleIJNSF_6TensorESK_SK_EERKSK_lbbbEUlllE0_EEPmJS9_EEE10hipError_tPvRmT3_T4_T5_T6_T7_T9_mT8_P12ihipStream_tbDpT10_ENKUlT_T0_E_clISt17integral_constantIbLb1EES19_IbLb0EEEEDaS15_S16_EUlS15_E_NS1_11comp_targetILNS1_3genE5ELNS1_11target_archE942ELNS1_3gpuE9ELNS1_3repE0EEENS1_30default_config_static_selectorELNS0_4arch9wavefront6targetE1EEEvT1_,comdat
	.globl	_ZN7rocprim17ROCPRIM_400000_NS6detail17trampoline_kernelINS0_14default_configENS1_25partition_config_selectorILNS1_17partition_subalgoE9EllbEEZZNS1_14partition_implILS5_9ELb0ES3_jPlS8_PNS0_10empty_typeENS0_5tupleIJS8_S9_EEENSB_IJS8_SA_EEENS0_18inequality_wrapperIZN2at6native12_GLOBAL__N_124unique_dim_cuda_templateItEESt5tupleIJNSF_6TensorESK_SK_EERKSK_lbbbEUlllE0_EEPmJS9_EEE10hipError_tPvRmT3_T4_T5_T6_T7_T9_mT8_P12ihipStream_tbDpT10_ENKUlT_T0_E_clISt17integral_constantIbLb1EES19_IbLb0EEEEDaS15_S16_EUlS15_E_NS1_11comp_targetILNS1_3genE5ELNS1_11target_archE942ELNS1_3gpuE9ELNS1_3repE0EEENS1_30default_config_static_selectorELNS0_4arch9wavefront6targetE1EEEvT1_ ; -- Begin function _ZN7rocprim17ROCPRIM_400000_NS6detail17trampoline_kernelINS0_14default_configENS1_25partition_config_selectorILNS1_17partition_subalgoE9EllbEEZZNS1_14partition_implILS5_9ELb0ES3_jPlS8_PNS0_10empty_typeENS0_5tupleIJS8_S9_EEENSB_IJS8_SA_EEENS0_18inequality_wrapperIZN2at6native12_GLOBAL__N_124unique_dim_cuda_templateItEESt5tupleIJNSF_6TensorESK_SK_EERKSK_lbbbEUlllE0_EEPmJS9_EEE10hipError_tPvRmT3_T4_T5_T6_T7_T9_mT8_P12ihipStream_tbDpT10_ENKUlT_T0_E_clISt17integral_constantIbLb1EES19_IbLb0EEEEDaS15_S16_EUlS15_E_NS1_11comp_targetILNS1_3genE5ELNS1_11target_archE942ELNS1_3gpuE9ELNS1_3repE0EEENS1_30default_config_static_selectorELNS0_4arch9wavefront6targetE1EEEvT1_
	.p2align	8
	.type	_ZN7rocprim17ROCPRIM_400000_NS6detail17trampoline_kernelINS0_14default_configENS1_25partition_config_selectorILNS1_17partition_subalgoE9EllbEEZZNS1_14partition_implILS5_9ELb0ES3_jPlS8_PNS0_10empty_typeENS0_5tupleIJS8_S9_EEENSB_IJS8_SA_EEENS0_18inequality_wrapperIZN2at6native12_GLOBAL__N_124unique_dim_cuda_templateItEESt5tupleIJNSF_6TensorESK_SK_EERKSK_lbbbEUlllE0_EEPmJS9_EEE10hipError_tPvRmT3_T4_T5_T6_T7_T9_mT8_P12ihipStream_tbDpT10_ENKUlT_T0_E_clISt17integral_constantIbLb1EES19_IbLb0EEEEDaS15_S16_EUlS15_E_NS1_11comp_targetILNS1_3genE5ELNS1_11target_archE942ELNS1_3gpuE9ELNS1_3repE0EEENS1_30default_config_static_selectorELNS0_4arch9wavefront6targetE1EEEvT1_,@function
_ZN7rocprim17ROCPRIM_400000_NS6detail17trampoline_kernelINS0_14default_configENS1_25partition_config_selectorILNS1_17partition_subalgoE9EllbEEZZNS1_14partition_implILS5_9ELb0ES3_jPlS8_PNS0_10empty_typeENS0_5tupleIJS8_S9_EEENSB_IJS8_SA_EEENS0_18inequality_wrapperIZN2at6native12_GLOBAL__N_124unique_dim_cuda_templateItEESt5tupleIJNSF_6TensorESK_SK_EERKSK_lbbbEUlllE0_EEPmJS9_EEE10hipError_tPvRmT3_T4_T5_T6_T7_T9_mT8_P12ihipStream_tbDpT10_ENKUlT_T0_E_clISt17integral_constantIbLb1EES19_IbLb0EEEEDaS15_S16_EUlS15_E_NS1_11comp_targetILNS1_3genE5ELNS1_11target_archE942ELNS1_3gpuE9ELNS1_3repE0EEENS1_30default_config_static_selectorELNS0_4arch9wavefront6targetE1EEEvT1_: ; @_ZN7rocprim17ROCPRIM_400000_NS6detail17trampoline_kernelINS0_14default_configENS1_25partition_config_selectorILNS1_17partition_subalgoE9EllbEEZZNS1_14partition_implILS5_9ELb0ES3_jPlS8_PNS0_10empty_typeENS0_5tupleIJS8_S9_EEENSB_IJS8_SA_EEENS0_18inequality_wrapperIZN2at6native12_GLOBAL__N_124unique_dim_cuda_templateItEESt5tupleIJNSF_6TensorESK_SK_EERKSK_lbbbEUlllE0_EEPmJS9_EEE10hipError_tPvRmT3_T4_T5_T6_T7_T9_mT8_P12ihipStream_tbDpT10_ENKUlT_T0_E_clISt17integral_constantIbLb1EES19_IbLb0EEEEDaS15_S16_EUlS15_E_NS1_11comp_targetILNS1_3genE5ELNS1_11target_archE942ELNS1_3gpuE9ELNS1_3repE0EEENS1_30default_config_static_selectorELNS0_4arch9wavefront6targetE1EEEvT1_
; %bb.0:
	.section	.rodata,"a",@progbits
	.p2align	6, 0x0
	.amdhsa_kernel _ZN7rocprim17ROCPRIM_400000_NS6detail17trampoline_kernelINS0_14default_configENS1_25partition_config_selectorILNS1_17partition_subalgoE9EllbEEZZNS1_14partition_implILS5_9ELb0ES3_jPlS8_PNS0_10empty_typeENS0_5tupleIJS8_S9_EEENSB_IJS8_SA_EEENS0_18inequality_wrapperIZN2at6native12_GLOBAL__N_124unique_dim_cuda_templateItEESt5tupleIJNSF_6TensorESK_SK_EERKSK_lbbbEUlllE0_EEPmJS9_EEE10hipError_tPvRmT3_T4_T5_T6_T7_T9_mT8_P12ihipStream_tbDpT10_ENKUlT_T0_E_clISt17integral_constantIbLb1EES19_IbLb0EEEEDaS15_S16_EUlS15_E_NS1_11comp_targetILNS1_3genE5ELNS1_11target_archE942ELNS1_3gpuE9ELNS1_3repE0EEENS1_30default_config_static_selectorELNS0_4arch9wavefront6targetE1EEEvT1_
		.amdhsa_group_segment_fixed_size 0
		.amdhsa_private_segment_fixed_size 0
		.amdhsa_kernarg_size 120
		.amdhsa_user_sgpr_count 6
		.amdhsa_user_sgpr_private_segment_buffer 1
		.amdhsa_user_sgpr_dispatch_ptr 0
		.amdhsa_user_sgpr_queue_ptr 0
		.amdhsa_user_sgpr_kernarg_segment_ptr 1
		.amdhsa_user_sgpr_dispatch_id 0
		.amdhsa_user_sgpr_flat_scratch_init 0
		.amdhsa_user_sgpr_kernarg_preload_length 0
		.amdhsa_user_sgpr_kernarg_preload_offset 0
		.amdhsa_user_sgpr_private_segment_size 0
		.amdhsa_uses_dynamic_stack 0
		.amdhsa_system_sgpr_private_segment_wavefront_offset 0
		.amdhsa_system_sgpr_workgroup_id_x 1
		.amdhsa_system_sgpr_workgroup_id_y 0
		.amdhsa_system_sgpr_workgroup_id_z 0
		.amdhsa_system_sgpr_workgroup_info 0
		.amdhsa_system_vgpr_workitem_id 0
		.amdhsa_next_free_vgpr 1
		.amdhsa_next_free_sgpr 0
		.amdhsa_accum_offset 4
		.amdhsa_reserve_vcc 0
		.amdhsa_reserve_flat_scratch 0
		.amdhsa_float_round_mode_32 0
		.amdhsa_float_round_mode_16_64 0
		.amdhsa_float_denorm_mode_32 3
		.amdhsa_float_denorm_mode_16_64 3
		.amdhsa_dx10_clamp 1
		.amdhsa_ieee_mode 1
		.amdhsa_fp16_overflow 0
		.amdhsa_tg_split 0
		.amdhsa_exception_fp_ieee_invalid_op 0
		.amdhsa_exception_fp_denorm_src 0
		.amdhsa_exception_fp_ieee_div_zero 0
		.amdhsa_exception_fp_ieee_overflow 0
		.amdhsa_exception_fp_ieee_underflow 0
		.amdhsa_exception_fp_ieee_inexact 0
		.amdhsa_exception_int_div_zero 0
	.end_amdhsa_kernel
	.section	.text._ZN7rocprim17ROCPRIM_400000_NS6detail17trampoline_kernelINS0_14default_configENS1_25partition_config_selectorILNS1_17partition_subalgoE9EllbEEZZNS1_14partition_implILS5_9ELb0ES3_jPlS8_PNS0_10empty_typeENS0_5tupleIJS8_S9_EEENSB_IJS8_SA_EEENS0_18inequality_wrapperIZN2at6native12_GLOBAL__N_124unique_dim_cuda_templateItEESt5tupleIJNSF_6TensorESK_SK_EERKSK_lbbbEUlllE0_EEPmJS9_EEE10hipError_tPvRmT3_T4_T5_T6_T7_T9_mT8_P12ihipStream_tbDpT10_ENKUlT_T0_E_clISt17integral_constantIbLb1EES19_IbLb0EEEEDaS15_S16_EUlS15_E_NS1_11comp_targetILNS1_3genE5ELNS1_11target_archE942ELNS1_3gpuE9ELNS1_3repE0EEENS1_30default_config_static_selectorELNS0_4arch9wavefront6targetE1EEEvT1_,"axG",@progbits,_ZN7rocprim17ROCPRIM_400000_NS6detail17trampoline_kernelINS0_14default_configENS1_25partition_config_selectorILNS1_17partition_subalgoE9EllbEEZZNS1_14partition_implILS5_9ELb0ES3_jPlS8_PNS0_10empty_typeENS0_5tupleIJS8_S9_EEENSB_IJS8_SA_EEENS0_18inequality_wrapperIZN2at6native12_GLOBAL__N_124unique_dim_cuda_templateItEESt5tupleIJNSF_6TensorESK_SK_EERKSK_lbbbEUlllE0_EEPmJS9_EEE10hipError_tPvRmT3_T4_T5_T6_T7_T9_mT8_P12ihipStream_tbDpT10_ENKUlT_T0_E_clISt17integral_constantIbLb1EES19_IbLb0EEEEDaS15_S16_EUlS15_E_NS1_11comp_targetILNS1_3genE5ELNS1_11target_archE942ELNS1_3gpuE9ELNS1_3repE0EEENS1_30default_config_static_selectorELNS0_4arch9wavefront6targetE1EEEvT1_,comdat
.Lfunc_end1466:
	.size	_ZN7rocprim17ROCPRIM_400000_NS6detail17trampoline_kernelINS0_14default_configENS1_25partition_config_selectorILNS1_17partition_subalgoE9EllbEEZZNS1_14partition_implILS5_9ELb0ES3_jPlS8_PNS0_10empty_typeENS0_5tupleIJS8_S9_EEENSB_IJS8_SA_EEENS0_18inequality_wrapperIZN2at6native12_GLOBAL__N_124unique_dim_cuda_templateItEESt5tupleIJNSF_6TensorESK_SK_EERKSK_lbbbEUlllE0_EEPmJS9_EEE10hipError_tPvRmT3_T4_T5_T6_T7_T9_mT8_P12ihipStream_tbDpT10_ENKUlT_T0_E_clISt17integral_constantIbLb1EES19_IbLb0EEEEDaS15_S16_EUlS15_E_NS1_11comp_targetILNS1_3genE5ELNS1_11target_archE942ELNS1_3gpuE9ELNS1_3repE0EEENS1_30default_config_static_selectorELNS0_4arch9wavefront6targetE1EEEvT1_, .Lfunc_end1466-_ZN7rocprim17ROCPRIM_400000_NS6detail17trampoline_kernelINS0_14default_configENS1_25partition_config_selectorILNS1_17partition_subalgoE9EllbEEZZNS1_14partition_implILS5_9ELb0ES3_jPlS8_PNS0_10empty_typeENS0_5tupleIJS8_S9_EEENSB_IJS8_SA_EEENS0_18inequality_wrapperIZN2at6native12_GLOBAL__N_124unique_dim_cuda_templateItEESt5tupleIJNSF_6TensorESK_SK_EERKSK_lbbbEUlllE0_EEPmJS9_EEE10hipError_tPvRmT3_T4_T5_T6_T7_T9_mT8_P12ihipStream_tbDpT10_ENKUlT_T0_E_clISt17integral_constantIbLb1EES19_IbLb0EEEEDaS15_S16_EUlS15_E_NS1_11comp_targetILNS1_3genE5ELNS1_11target_archE942ELNS1_3gpuE9ELNS1_3repE0EEENS1_30default_config_static_selectorELNS0_4arch9wavefront6targetE1EEEvT1_
                                        ; -- End function
	.section	.AMDGPU.csdata,"",@progbits
; Kernel info:
; codeLenInByte = 0
; NumSgprs: 4
; NumVgprs: 0
; NumAgprs: 0
; TotalNumVgprs: 0
; ScratchSize: 0
; MemoryBound: 0
; FloatMode: 240
; IeeeMode: 1
; LDSByteSize: 0 bytes/workgroup (compile time only)
; SGPRBlocks: 0
; VGPRBlocks: 0
; NumSGPRsForWavesPerEU: 4
; NumVGPRsForWavesPerEU: 1
; AccumOffset: 4
; Occupancy: 8
; WaveLimiterHint : 0
; COMPUTE_PGM_RSRC2:SCRATCH_EN: 0
; COMPUTE_PGM_RSRC2:USER_SGPR: 6
; COMPUTE_PGM_RSRC2:TRAP_HANDLER: 0
; COMPUTE_PGM_RSRC2:TGID_X_EN: 1
; COMPUTE_PGM_RSRC2:TGID_Y_EN: 0
; COMPUTE_PGM_RSRC2:TGID_Z_EN: 0
; COMPUTE_PGM_RSRC2:TIDIG_COMP_CNT: 0
; COMPUTE_PGM_RSRC3_GFX90A:ACCUM_OFFSET: 0
; COMPUTE_PGM_RSRC3_GFX90A:TG_SPLIT: 0
	.section	.text._ZN7rocprim17ROCPRIM_400000_NS6detail17trampoline_kernelINS0_14default_configENS1_25partition_config_selectorILNS1_17partition_subalgoE9EllbEEZZNS1_14partition_implILS5_9ELb0ES3_jPlS8_PNS0_10empty_typeENS0_5tupleIJS8_S9_EEENSB_IJS8_SA_EEENS0_18inequality_wrapperIZN2at6native12_GLOBAL__N_124unique_dim_cuda_templateItEESt5tupleIJNSF_6TensorESK_SK_EERKSK_lbbbEUlllE0_EEPmJS9_EEE10hipError_tPvRmT3_T4_T5_T6_T7_T9_mT8_P12ihipStream_tbDpT10_ENKUlT_T0_E_clISt17integral_constantIbLb1EES19_IbLb0EEEEDaS15_S16_EUlS15_E_NS1_11comp_targetILNS1_3genE4ELNS1_11target_archE910ELNS1_3gpuE8ELNS1_3repE0EEENS1_30default_config_static_selectorELNS0_4arch9wavefront6targetE1EEEvT1_,"axG",@progbits,_ZN7rocprim17ROCPRIM_400000_NS6detail17trampoline_kernelINS0_14default_configENS1_25partition_config_selectorILNS1_17partition_subalgoE9EllbEEZZNS1_14partition_implILS5_9ELb0ES3_jPlS8_PNS0_10empty_typeENS0_5tupleIJS8_S9_EEENSB_IJS8_SA_EEENS0_18inequality_wrapperIZN2at6native12_GLOBAL__N_124unique_dim_cuda_templateItEESt5tupleIJNSF_6TensorESK_SK_EERKSK_lbbbEUlllE0_EEPmJS9_EEE10hipError_tPvRmT3_T4_T5_T6_T7_T9_mT8_P12ihipStream_tbDpT10_ENKUlT_T0_E_clISt17integral_constantIbLb1EES19_IbLb0EEEEDaS15_S16_EUlS15_E_NS1_11comp_targetILNS1_3genE4ELNS1_11target_archE910ELNS1_3gpuE8ELNS1_3repE0EEENS1_30default_config_static_selectorELNS0_4arch9wavefront6targetE1EEEvT1_,comdat
	.globl	_ZN7rocprim17ROCPRIM_400000_NS6detail17trampoline_kernelINS0_14default_configENS1_25partition_config_selectorILNS1_17partition_subalgoE9EllbEEZZNS1_14partition_implILS5_9ELb0ES3_jPlS8_PNS0_10empty_typeENS0_5tupleIJS8_S9_EEENSB_IJS8_SA_EEENS0_18inequality_wrapperIZN2at6native12_GLOBAL__N_124unique_dim_cuda_templateItEESt5tupleIJNSF_6TensorESK_SK_EERKSK_lbbbEUlllE0_EEPmJS9_EEE10hipError_tPvRmT3_T4_T5_T6_T7_T9_mT8_P12ihipStream_tbDpT10_ENKUlT_T0_E_clISt17integral_constantIbLb1EES19_IbLb0EEEEDaS15_S16_EUlS15_E_NS1_11comp_targetILNS1_3genE4ELNS1_11target_archE910ELNS1_3gpuE8ELNS1_3repE0EEENS1_30default_config_static_selectorELNS0_4arch9wavefront6targetE1EEEvT1_ ; -- Begin function _ZN7rocprim17ROCPRIM_400000_NS6detail17trampoline_kernelINS0_14default_configENS1_25partition_config_selectorILNS1_17partition_subalgoE9EllbEEZZNS1_14partition_implILS5_9ELb0ES3_jPlS8_PNS0_10empty_typeENS0_5tupleIJS8_S9_EEENSB_IJS8_SA_EEENS0_18inequality_wrapperIZN2at6native12_GLOBAL__N_124unique_dim_cuda_templateItEESt5tupleIJNSF_6TensorESK_SK_EERKSK_lbbbEUlllE0_EEPmJS9_EEE10hipError_tPvRmT3_T4_T5_T6_T7_T9_mT8_P12ihipStream_tbDpT10_ENKUlT_T0_E_clISt17integral_constantIbLb1EES19_IbLb0EEEEDaS15_S16_EUlS15_E_NS1_11comp_targetILNS1_3genE4ELNS1_11target_archE910ELNS1_3gpuE8ELNS1_3repE0EEENS1_30default_config_static_selectorELNS0_4arch9wavefront6targetE1EEEvT1_
	.p2align	8
	.type	_ZN7rocprim17ROCPRIM_400000_NS6detail17trampoline_kernelINS0_14default_configENS1_25partition_config_selectorILNS1_17partition_subalgoE9EllbEEZZNS1_14partition_implILS5_9ELb0ES3_jPlS8_PNS0_10empty_typeENS0_5tupleIJS8_S9_EEENSB_IJS8_SA_EEENS0_18inequality_wrapperIZN2at6native12_GLOBAL__N_124unique_dim_cuda_templateItEESt5tupleIJNSF_6TensorESK_SK_EERKSK_lbbbEUlllE0_EEPmJS9_EEE10hipError_tPvRmT3_T4_T5_T6_T7_T9_mT8_P12ihipStream_tbDpT10_ENKUlT_T0_E_clISt17integral_constantIbLb1EES19_IbLb0EEEEDaS15_S16_EUlS15_E_NS1_11comp_targetILNS1_3genE4ELNS1_11target_archE910ELNS1_3gpuE8ELNS1_3repE0EEENS1_30default_config_static_selectorELNS0_4arch9wavefront6targetE1EEEvT1_,@function
_ZN7rocprim17ROCPRIM_400000_NS6detail17trampoline_kernelINS0_14default_configENS1_25partition_config_selectorILNS1_17partition_subalgoE9EllbEEZZNS1_14partition_implILS5_9ELb0ES3_jPlS8_PNS0_10empty_typeENS0_5tupleIJS8_S9_EEENSB_IJS8_SA_EEENS0_18inequality_wrapperIZN2at6native12_GLOBAL__N_124unique_dim_cuda_templateItEESt5tupleIJNSF_6TensorESK_SK_EERKSK_lbbbEUlllE0_EEPmJS9_EEE10hipError_tPvRmT3_T4_T5_T6_T7_T9_mT8_P12ihipStream_tbDpT10_ENKUlT_T0_E_clISt17integral_constantIbLb1EES19_IbLb0EEEEDaS15_S16_EUlS15_E_NS1_11comp_targetILNS1_3genE4ELNS1_11target_archE910ELNS1_3gpuE8ELNS1_3repE0EEENS1_30default_config_static_selectorELNS0_4arch9wavefront6targetE1EEEvT1_: ; @_ZN7rocprim17ROCPRIM_400000_NS6detail17trampoline_kernelINS0_14default_configENS1_25partition_config_selectorILNS1_17partition_subalgoE9EllbEEZZNS1_14partition_implILS5_9ELb0ES3_jPlS8_PNS0_10empty_typeENS0_5tupleIJS8_S9_EEENSB_IJS8_SA_EEENS0_18inequality_wrapperIZN2at6native12_GLOBAL__N_124unique_dim_cuda_templateItEESt5tupleIJNSF_6TensorESK_SK_EERKSK_lbbbEUlllE0_EEPmJS9_EEE10hipError_tPvRmT3_T4_T5_T6_T7_T9_mT8_P12ihipStream_tbDpT10_ENKUlT_T0_E_clISt17integral_constantIbLb1EES19_IbLb0EEEEDaS15_S16_EUlS15_E_NS1_11comp_targetILNS1_3genE4ELNS1_11target_archE910ELNS1_3gpuE8ELNS1_3repE0EEENS1_30default_config_static_selectorELNS0_4arch9wavefront6targetE1EEEvT1_
; %bb.0:
	s_load_dwordx8 s[20:27], s[4:5], 0x40
	s_load_dwordx4 s[0:3], s[4:5], 0x8
	s_load_dwordx2 s[12:13], s[4:5], 0x18
	s_load_dword s9, s[4:5], 0x70
	v_lshrrev_b32_e32 v18, 2, v0
	s_waitcnt lgkmcnt(0)
	v_mov_b32_e32 v2, s24
	s_lshl_b64 s[14:15], s[2:3], 3
	s_add_u32 s18, s0, s14
	s_addc_u32 s19, s1, s15
	s_add_i32 s10, s9, -1
	s_lshl_b32 s0, s10, 9
	s_add_i32 s0, s2, s0
	s_lshl_b32 s8, s6, 9
	s_sub_i32 s7, s24, s0
	s_lshl_b32 s0, s9, 9
	s_add_u32 s0, s2, s0
	s_addc_u32 s1, s3, 0
	v_mov_b32_e32 v3, s25
	s_cmp_eq_u32 s6, s10
	s_load_dwordx2 s[22:23], s[22:23], 0x0
	v_cmp_ge_u64_e32 vcc, s[0:1], v[2:3]
	s_cselect_b64 s[24:25], -1, 0
	s_mov_b32 s9, 0
	s_and_b64 s[10:11], s[24:25], vcc
	s_xor_b64 s[34:35], s[10:11], -1
	s_lshl_b64 s[16:17], s[8:9], 3
	s_add_u32 s8, s18, s16
	s_mov_b64 s[0:1], -1
	s_addc_u32 s9, s19, s17
	s_and_b64 vcc, exec, s[34:35]
	s_cbranch_vccz .LBB1467_2
; %bb.1:
	v_lshlrev_b32_e32 v1, 3, v0
	global_load_dwordx2 v[2:3], v1, s[8:9]
	global_load_dwordx2 v[4:5], v1, s[8:9] offset:1024
	global_load_dwordx2 v[6:7], v1, s[8:9] offset:2048
	;; [unrolled: 1-line block ×3, first 2 shown]
	v_or_b32_e32 v11, 0x80, v0
	v_or_b32_e32 v12, 0x100, v0
	;; [unrolled: 1-line block ×3, first 2 shown]
	v_and_b32_e32 v10, 24, v18
	v_lshrrev_b32_e32 v11, 2, v11
	v_lshrrev_b32_e32 v12, 2, v12
	;; [unrolled: 1-line block ×3, first 2 shown]
	v_add_u32_e32 v10, v10, v1
	v_and_b32_e32 v11, 56, v11
	v_and_b32_e32 v12, 0x58, v12
	;; [unrolled: 1-line block ×3, first 2 shown]
	v_add_u32_e32 v11, v11, v1
	v_add_u32_e32 v12, v12, v1
	;; [unrolled: 1-line block ×3, first 2 shown]
	s_mov_b64 s[0:1], 0
	s_waitcnt vmcnt(3)
	ds_write_b64 v10, v[2:3]
	s_waitcnt vmcnt(2)
	ds_write_b64 v11, v[4:5] offset:1024
	s_waitcnt vmcnt(1)
	ds_write_b64 v12, v[6:7] offset:2048
	;; [unrolled: 2-line block ×3, first 2 shown]
	s_waitcnt lgkmcnt(0)
	s_barrier
.LBB1467_2:
	s_load_dwordx4 s[28:31], s[4:5], 0x60
	s_andn2_b64 vcc, exec, s[0:1]
	v_cmp_gt_u32_e64 s[0:1], s7, v0
	s_cbranch_vccnz .LBB1467_12
; %bb.3:
                                        ; implicit-def: $vgpr2_vgpr3_vgpr4_vgpr5_vgpr6_vgpr7_vgpr8_vgpr9
	s_and_saveexec_b64 s[18:19], s[0:1]
	s_cbranch_execz .LBB1467_5
; %bb.4:
	v_lshlrev_b32_e32 v1, 3, v0
	global_load_dwordx2 v[2:3], v1, s[8:9]
.LBB1467_5:
	s_or_b64 exec, exec, s[18:19]
	v_or_b32_e32 v1, 0x80, v0
	v_cmp_gt_u32_e32 vcc, s7, v1
	s_and_saveexec_b64 s[0:1], vcc
	s_cbranch_execz .LBB1467_7
; %bb.6:
	v_lshlrev_b32_e32 v4, 3, v0
	global_load_dwordx2 v[4:5], v4, s[8:9] offset:1024
.LBB1467_7:
	s_or_b64 exec, exec, s[0:1]
	v_or_b32_e32 v10, 0x100, v0
	v_cmp_gt_u32_e32 vcc, s7, v10
	s_and_saveexec_b64 s[0:1], vcc
	s_cbranch_execz .LBB1467_9
; %bb.8:
	v_lshlrev_b32_e32 v6, 3, v0
	global_load_dwordx2 v[6:7], v6, s[8:9] offset:2048
.LBB1467_9:
	;; [unrolled: 9-line block ×3, first 2 shown]
	s_or_b64 exec, exec, s[0:1]
	v_lshrrev_b32_e32 v1, 2, v1
	v_lshlrev_b32_e32 v13, 3, v0
	v_and_b32_e32 v1, 56, v1
	v_add_u32_e32 v1, v1, v13
	s_waitcnt vmcnt(0)
	ds_write_b64 v1, v[4:5] offset:1024
	v_lshrrev_b32_e32 v1, 2, v10
	v_and_b32_e32 v1, 0x78, v1
	v_add_u32_e32 v1, v1, v13
	ds_write_b64 v1, v[6:7] offset:2048
	v_lshrrev_b32_e32 v1, 2, v11
	v_and_b32_e32 v12, 24, v18
	v_and_b32_e32 v1, 0x78, v1
	v_add_u32_e32 v12, v12, v13
	v_add_u32_e32 v1, v1, v13
	ds_write_b64 v12, v[2:3]
	ds_write_b64 v1, v[8:9] offset:3072
	s_waitcnt lgkmcnt(0)
	s_barrier
.LBB1467_12:
	v_lshlrev_b32_e32 v1, 2, v0
	v_lshrrev_b32_e32 v2, 3, v0
	v_add_lshl_u32 v19, v2, v1, 3
	s_waitcnt lgkmcnt(0)
	ds_read2_b64 v[14:17], v19 offset1:1
	ds_read2_b64 v[10:13], v19 offset0:2 offset1:3
	s_add_u32 s0, s12, s14
	s_addc_u32 s1, s13, s15
	s_add_u32 s0, s0, s16
	s_addc_u32 s1, s1, s17
	s_mov_b64 s[12:13], -1
	s_and_b64 vcc, exec, s[34:35]
	s_waitcnt lgkmcnt(0)
	s_barrier
	s_cbranch_vccz .LBB1467_14
; %bb.13:
	v_lshlrev_b32_e32 v20, 3, v0
	global_load_dwordx2 v[2:3], v20, s[0:1]
	global_load_dwordx2 v[4:5], v20, s[0:1] offset:1024
	global_load_dwordx2 v[6:7], v20, s[0:1] offset:2048
	;; [unrolled: 1-line block ×3, first 2 shown]
	v_or_b32_e32 v22, 0x80, v0
	v_or_b32_e32 v23, 0x100, v0
	;; [unrolled: 1-line block ×3, first 2 shown]
	v_and_b32_e32 v21, 24, v18
	v_lshrrev_b32_e32 v22, 2, v22
	v_lshrrev_b32_e32 v23, 2, v23
	;; [unrolled: 1-line block ×3, first 2 shown]
	v_add_u32_e32 v21, v21, v20
	v_and_b32_e32 v22, 56, v22
	v_and_b32_e32 v23, 0x58, v23
	;; [unrolled: 1-line block ×3, first 2 shown]
	v_add_u32_e32 v22, v22, v20
	v_add_u32_e32 v23, v23, v20
	;; [unrolled: 1-line block ×3, first 2 shown]
	s_mov_b64 s[12:13], 0
	s_waitcnt vmcnt(3)
	ds_write_b64 v21, v[2:3]
	s_waitcnt vmcnt(2)
	ds_write_b64 v22, v[4:5] offset:1024
	s_waitcnt vmcnt(1)
	ds_write_b64 v23, v[6:7] offset:2048
	;; [unrolled: 2-line block ×3, first 2 shown]
	s_waitcnt lgkmcnt(0)
	s_barrier
.LBB1467_14:
	s_andn2_b64 vcc, exec, s[12:13]
	s_cbranch_vccnz .LBB1467_24
; %bb.15:
	v_cmp_gt_u32_e32 vcc, s7, v0
                                        ; implicit-def: $vgpr2_vgpr3
	s_and_saveexec_b64 s[12:13], vcc
	s_cbranch_execz .LBB1467_17
; %bb.16:
	v_lshlrev_b32_e32 v2, 3, v0
	global_load_dwordx2 v[2:3], v2, s[0:1]
.LBB1467_17:
	s_or_b64 exec, exec, s[12:13]
	v_or_b32_e32 v20, 0x80, v0
	v_cmp_gt_u32_e32 vcc, s7, v20
                                        ; implicit-def: $vgpr4_vgpr5
	s_and_saveexec_b64 s[12:13], vcc
	s_cbranch_execz .LBB1467_19
; %bb.18:
	v_lshlrev_b32_e32 v4, 3, v0
	global_load_dwordx2 v[4:5], v4, s[0:1] offset:1024
.LBB1467_19:
	s_or_b64 exec, exec, s[12:13]
	v_or_b32_e32 v21, 0x100, v0
	v_cmp_gt_u32_e32 vcc, s7, v21
                                        ; implicit-def: $vgpr6_vgpr7
	s_and_saveexec_b64 s[12:13], vcc
	s_cbranch_execz .LBB1467_21
; %bb.20:
	v_lshlrev_b32_e32 v6, 3, v0
	global_load_dwordx2 v[6:7], v6, s[0:1] offset:2048
.LBB1467_21:
	s_or_b64 exec, exec, s[12:13]
	v_or_b32_e32 v22, 0x180, v0
	v_cmp_gt_u32_e32 vcc, s7, v22
                                        ; implicit-def: $vgpr8_vgpr9
	s_and_saveexec_b64 s[12:13], vcc
	s_cbranch_execz .LBB1467_23
; %bb.22:
	v_lshlrev_b32_e32 v8, 3, v0
	global_load_dwordx2 v[8:9], v8, s[0:1] offset:3072
.LBB1467_23:
	s_or_b64 exec, exec, s[12:13]
	v_and_b32_e32 v18, 24, v18
	v_lshlrev_b32_e32 v23, 3, v0
	v_add_u32_e32 v18, v18, v23
	s_waitcnt vmcnt(0)
	ds_write_b64 v18, v[2:3]
	v_lshrrev_b32_e32 v2, 2, v20
	v_and_b32_e32 v2, 56, v2
	v_add_u32_e32 v2, v2, v23
	ds_write_b64 v2, v[4:5] offset:1024
	v_lshrrev_b32_e32 v2, 2, v21
	v_and_b32_e32 v2, 0x78, v2
	v_add_u32_e32 v2, v2, v23
	ds_write_b64 v2, v[6:7] offset:2048
	;; [unrolled: 4-line block ×3, first 2 shown]
	s_waitcnt lgkmcnt(0)
	s_barrier
.LBB1467_24:
	ds_read2_b64 v[6:9], v19 offset1:1
	ds_read2_b64 v[2:5], v19 offset0:2 offset1:3
	s_cmp_lg_u32 s6, 0
	s_cselect_b64 s[16:17], -1, 0
	s_cmp_lg_u64 s[2:3], 0
	s_cselect_b64 s[0:1], -1, 0
	s_or_b64 s[0:1], s[16:17], s[0:1]
	s_mov_b64 s[12:13], 0
	s_and_b64 vcc, exec, s[0:1]
	v_cmp_gt_i64_e64 s[0:1], s[26:27], 0
	s_waitcnt lgkmcnt(0)
	s_barrier
	s_cbranch_vccz .LBB1467_33
; %bb.25:
	s_add_u32 s2, s8, -8
	s_addc_u32 s3, s9, -1
	s_load_dwordx2 s[12:13], s[2:3], 0x0
	v_cndmask_b32_e64 v18, 0, 1, s[0:1]
	v_lshlrev_b32_e32 v26, 3, v0
	s_mov_b64 s[14:15], 0
	s_and_b64 vcc, exec, s[34:35]
	v_cmp_ne_u32_e64 s[0:1], 1, v18
	ds_write_b64 v26, v[12:13]
	s_cbranch_vccz .LBB1467_34
; %bb.26:
	v_mul_lo_u32 v20, v11, s26
	v_mul_lo_u32 v21, v10, s27
	v_mad_u64_u32 v[18:19], s[2:3], v10, s26, 0
	v_add3_u32 v19, v19, v21, v20
	s_and_b64 vcc, exec, s[0:1]
	v_lshlrev_b64 v[18:19], 1, v[18:19]
	s_cbranch_vccnz .LBB1467_37
; %bb.27:
	v_mul_lo_u32 v22, v13, s26
	v_mul_lo_u32 v23, v12, s27
	v_mad_u64_u32 v[20:21], s[2:3], v12, s26, 0
	v_add3_u32 v21, v21, v23, v22
	v_mov_b32_e32 v23, s29
	v_add_co_u32_e32 v22, vcc, s28, v18
	v_addc_co_u32_e64 v23, s[2:3], v23, v19, vcc
	v_lshlrev_b64 v[20:21], 1, v[20:21]
	v_mov_b32_e32 v25, s29
	v_add_co_u32_e64 v24, s[2:3], s28, v20
	v_addc_co_u32_e64 v25, s[8:9], v25, v21, s[2:3]
	global_load_ushort v20, v[22:23], off
	global_load_ushort v27, v[24:25], off
	s_mov_b64 s[14:15], -1
	s_waitcnt vmcnt(0)
	v_cmp_eq_u16_e64 s[8:9], v20, v27
	s_and_saveexec_b64 s[18:19], s[8:9]
	s_cbranch_execz .LBB1467_36
; %bb.28:
	v_mov_b32_e32 v20, s29
	v_addc_co_u32_e64 v21, s[2:3], v21, v20, s[2:3]
	v_add_co_u32_e64 v20, s[2:3], 2, v24
	v_mov_b32_e32 v23, s29
	v_addc_co_u32_e64 v21, s[2:3], 0, v21, s[2:3]
	v_addc_co_u32_e32 v23, vcc, v19, v23, vcc
	v_add_co_u32_e32 v22, vcc, 2, v22
	s_add_u32 s2, s26, -1
	v_addc_co_u32_e32 v23, vcc, 0, v23, vcc
	s_addc_u32 s3, s27, -1
	s_mov_b64 s[8:9], 0
	s_mov_b64 s[36:37], 0
                                        ; implicit-def: $sgpr14_sgpr15
	s_branch .LBB1467_31
.LBB1467_29:                            ;   in Loop: Header=BB1467_31 Depth=1
	global_load_ushort v24, v[22:23], off
	global_load_ushort v25, v[20:21], off
	v_add_co_u32_e32 v20, vcc, 2, v20
	v_addc_co_u32_e32 v21, vcc, 0, v21, vcc
	v_add_co_u32_e32 v22, vcc, 2, v22
	v_addc_co_u32_e32 v23, vcc, 0, v23, vcc
	s_add_u32 s36, s36, 1
	s_addc_u32 s37, s37, 0
	s_andn2_b64 s[14:15], s[14:15], exec
	s_waitcnt vmcnt(0)
	v_cmp_ne_u16_e32 vcc, v24, v25
	s_and_b64 s[38:39], vcc, exec
	s_or_b64 s[14:15], s[14:15], s[38:39]
.LBB1467_30:                            ;   in Loop: Header=BB1467_31 Depth=1
	s_and_b64 s[38:39], exec, s[14:15]
	s_or_b64 s[8:9], s[38:39], s[8:9]
	v_pk_mov_b32 v[24:25], s[36:37], s[36:37] op_sel:[0,1]
	s_andn2_b64 exec, exec, s[8:9]
	s_cbranch_execz .LBB1467_35
.LBB1467_31:                            ; =>This Inner Loop Header: Depth=1
	s_or_b64 s[14:15], s[14:15], exec
	s_cmp_eq_u64 s[2:3], s[36:37]
	s_cbranch_scc0 .LBB1467_29
; %bb.32:                               ;   in Loop: Header=BB1467_31 Depth=1
                                        ; implicit-def: $vgpr20_vgpr21
                                        ; implicit-def: $vgpr22_vgpr23
	s_mov_b64 s[36:37], s[26:27]
	s_branch .LBB1467_30
.LBB1467_33:
                                        ; implicit-def: $sgpr18_sgpr19
                                        ; implicit-def: $vgpr28
	s_branch .LBB1467_115
.LBB1467_34:
                                        ; implicit-def: $sgpr18_sgpr19
                                        ; implicit-def: $vgpr28
	s_cbranch_execnz .LBB1467_67
	s_branch .LBB1467_114
.LBB1467_35:
	s_or_b64 exec, exec, s[8:9]
	v_cmp_gt_i64_e32 vcc, s[26:27], v[24:25]
	s_orn2_b64 s[14:15], vcc, exec
.LBB1467_36:
	s_or_b64 exec, exec, s[18:19]
.LBB1467_37:
	v_mul_lo_u32 v22, v17, s26
	v_mul_lo_u32 v23, v16, s27
	v_mad_u64_u32 v[20:21], s[2:3], v16, s26, 0
	v_add3_u32 v21, v21, v23, v22
	s_mov_b64 s[18:19], 0
	s_and_b64 vcc, exec, s[0:1]
	v_lshlrev_b64 v[20:21], 1, v[20:21]
	s_mov_b64 s[36:37], 0
	s_cbranch_vccnz .LBB1467_46
; %bb.38:
	v_mov_b32_e32 v23, s29
	v_add_co_u32_e32 v22, vcc, s28, v20
	v_addc_co_u32_e64 v23, s[2:3], v23, v21, vcc
	v_mov_b32_e32 v25, s29
	v_add_co_u32_e64 v24, s[2:3], s28, v18
	v_addc_co_u32_e64 v25, s[8:9], v25, v19, s[2:3]
	global_load_ushort v18, v[22:23], off
	global_load_ushort v27, v[24:25], off
	s_mov_b64 s[36:37], -1
	s_waitcnt vmcnt(0)
	v_cmp_eq_u16_e64 s[8:9], v18, v27
	s_and_saveexec_b64 s[38:39], s[8:9]
	s_cbranch_execz .LBB1467_45
; %bb.39:
	v_mov_b32_e32 v18, s29
	v_addc_co_u32_e64 v19, s[2:3], v19, v18, s[2:3]
	v_add_co_u32_e64 v18, s[2:3], 2, v24
	v_mov_b32_e32 v23, s29
	v_addc_co_u32_e64 v19, s[2:3], 0, v19, s[2:3]
	v_addc_co_u32_e32 v23, vcc, v21, v23, vcc
	v_add_co_u32_e32 v22, vcc, 2, v22
	s_add_u32 s2, s26, -1
	v_addc_co_u32_e32 v23, vcc, 0, v23, vcc
	s_addc_u32 s3, s27, -1
	s_mov_b64 s[8:9], 0
	s_mov_b64 s[40:41], 0
                                        ; implicit-def: $sgpr36_sgpr37
	s_branch .LBB1467_42
.LBB1467_40:                            ;   in Loop: Header=BB1467_42 Depth=1
	global_load_ushort v24, v[22:23], off
	global_load_ushort v25, v[18:19], off
	v_add_co_u32_e32 v18, vcc, 2, v18
	v_addc_co_u32_e32 v19, vcc, 0, v19, vcc
	v_add_co_u32_e32 v22, vcc, 2, v22
	v_addc_co_u32_e32 v23, vcc, 0, v23, vcc
	s_add_u32 s40, s40, 1
	s_addc_u32 s41, s41, 0
	s_andn2_b64 s[36:37], s[36:37], exec
	s_waitcnt vmcnt(0)
	v_cmp_ne_u16_e32 vcc, v24, v25
	s_and_b64 s[42:43], vcc, exec
	s_or_b64 s[36:37], s[36:37], s[42:43]
.LBB1467_41:                            ;   in Loop: Header=BB1467_42 Depth=1
	s_and_b64 s[42:43], exec, s[36:37]
	s_or_b64 s[8:9], s[42:43], s[8:9]
	v_pk_mov_b32 v[24:25], s[40:41], s[40:41] op_sel:[0,1]
	s_andn2_b64 exec, exec, s[8:9]
	s_cbranch_execz .LBB1467_44
.LBB1467_42:                            ; =>This Inner Loop Header: Depth=1
	s_or_b64 s[36:37], s[36:37], exec
	s_cmp_eq_u64 s[2:3], s[40:41]
	s_cbranch_scc0 .LBB1467_40
; %bb.43:                               ;   in Loop: Header=BB1467_42 Depth=1
                                        ; implicit-def: $vgpr18_vgpr19
                                        ; implicit-def: $vgpr22_vgpr23
	s_mov_b64 s[40:41], s[26:27]
	s_branch .LBB1467_41
.LBB1467_44:
	s_or_b64 exec, exec, s[8:9]
	v_cmp_gt_i64_e32 vcc, s[26:27], v[24:25]
	s_orn2_b64 s[36:37], vcc, exec
.LBB1467_45:
	s_or_b64 exec, exec, s[38:39]
.LBB1467_46:
	v_mul_lo_u32 v22, v15, s26
	v_mul_lo_u32 v23, v14, s27
	v_mad_u64_u32 v[18:19], s[2:3], v14, s26, 0
	v_add3_u32 v19, v19, v23, v22
	s_and_b64 vcc, exec, s[0:1]
	v_lshlrev_b64 v[18:19], 1, v[18:19]
	s_cbranch_vccnz .LBB1467_55
; %bb.47:
	v_mov_b32_e32 v23, s29
	v_add_co_u32_e32 v22, vcc, s28, v18
	v_addc_co_u32_e64 v23, s[2:3], v23, v19, vcc
	v_mov_b32_e32 v25, s29
	v_add_co_u32_e64 v24, s[2:3], s28, v20
	v_addc_co_u32_e64 v25, s[8:9], v25, v21, s[2:3]
	global_load_ushort v20, v[22:23], off
	global_load_ushort v27, v[24:25], off
	s_mov_b64 s[18:19], -1
	s_waitcnt vmcnt(0)
	v_cmp_eq_u16_e64 s[8:9], v20, v27
	s_and_saveexec_b64 s[38:39], s[8:9]
	s_cbranch_execz .LBB1467_54
; %bb.48:
	v_mov_b32_e32 v20, s29
	v_addc_co_u32_e64 v21, s[2:3], v21, v20, s[2:3]
	v_add_co_u32_e64 v20, s[2:3], 2, v24
	v_mov_b32_e32 v23, s29
	v_addc_co_u32_e64 v21, s[2:3], 0, v21, s[2:3]
	v_addc_co_u32_e32 v23, vcc, v19, v23, vcc
	v_add_co_u32_e32 v22, vcc, 2, v22
	s_add_u32 s2, s26, -1
	v_addc_co_u32_e32 v23, vcc, 0, v23, vcc
	s_addc_u32 s3, s27, -1
	s_mov_b64 s[8:9], 0
	s_mov_b64 s[40:41], 0
                                        ; implicit-def: $sgpr18_sgpr19
	s_branch .LBB1467_51
.LBB1467_49:                            ;   in Loop: Header=BB1467_51 Depth=1
	global_load_ushort v24, v[22:23], off
	global_load_ushort v25, v[20:21], off
	v_add_co_u32_e32 v20, vcc, 2, v20
	v_addc_co_u32_e32 v21, vcc, 0, v21, vcc
	v_add_co_u32_e32 v22, vcc, 2, v22
	v_addc_co_u32_e32 v23, vcc, 0, v23, vcc
	s_add_u32 s40, s40, 1
	s_addc_u32 s41, s41, 0
	s_andn2_b64 s[18:19], s[18:19], exec
	s_waitcnt vmcnt(0)
	v_cmp_ne_u16_e32 vcc, v24, v25
	s_and_b64 s[42:43], vcc, exec
	s_or_b64 s[18:19], s[18:19], s[42:43]
.LBB1467_50:                            ;   in Loop: Header=BB1467_51 Depth=1
	s_and_b64 s[42:43], exec, s[18:19]
	s_or_b64 s[8:9], s[42:43], s[8:9]
	v_pk_mov_b32 v[24:25], s[40:41], s[40:41] op_sel:[0,1]
	s_andn2_b64 exec, exec, s[8:9]
	s_cbranch_execz .LBB1467_53
.LBB1467_51:                            ; =>This Inner Loop Header: Depth=1
	s_or_b64 s[18:19], s[18:19], exec
	s_cmp_eq_u64 s[2:3], s[40:41]
	s_cbranch_scc0 .LBB1467_49
; %bb.52:                               ;   in Loop: Header=BB1467_51 Depth=1
                                        ; implicit-def: $vgpr20_vgpr21
                                        ; implicit-def: $vgpr22_vgpr23
	s_mov_b64 s[40:41], s[26:27]
	s_branch .LBB1467_50
.LBB1467_53:
	s_or_b64 exec, exec, s[8:9]
	v_cmp_gt_i64_e32 vcc, s[26:27], v[24:25]
	s_orn2_b64 s[18:19], vcc, exec
.LBB1467_54:
	s_or_b64 exec, exec, s[38:39]
.LBB1467_55:
	v_cmp_ne_u32_e32 vcc, 0, v0
	s_waitcnt lgkmcnt(0)
	v_pk_mov_b32 v[20:21], s[12:13], s[12:13] op_sel:[0,1]
	s_barrier
	s_and_saveexec_b64 s[2:3], vcc
	s_cbranch_execz .LBB1467_57
; %bb.56:
	v_add_u32_e32 v20, -8, v26
	ds_read_b64 v[20:21], v20
.LBB1467_57:
	s_or_b64 exec, exec, s[2:3]
	v_cndmask_b32_e64 v23, 0, 1, s[14:15]
	v_cndmask_b32_e64 v22, 0, 1, s[36:37]
	;; [unrolled: 1-line block ×3, first 2 shown]
	v_lshlrev_b16_e32 v23, 8, v23
	v_lshlrev_b16_e32 v27, 8, v24
	v_or_b32_sdwa v28, v22, v23 dst_sel:WORD_1 dst_unused:UNUSED_PAD src0_sel:DWORD src1_sel:DWORD
	s_mov_b64 s[14:15], 0
	s_and_b64 vcc, exec, s[0:1]
	s_mov_b64 s[18:19], 0
	s_cbranch_vccnz .LBB1467_66
; %bb.58:
	s_waitcnt lgkmcnt(0)
	v_mul_lo_u32 v22, v21, s26
	v_mul_lo_u32 v23, v20, s27
	v_mad_u64_u32 v[20:21], s[2:3], v20, s26, 0
	v_add3_u32 v21, v21, v23, v22
	v_lshlrev_b64 v[20:21], 1, v[20:21]
	v_mov_b32_e32 v23, s29
	v_add_co_u32_e32 v22, vcc, s28, v20
	v_addc_co_u32_e64 v23, s[2:3], v23, v21, vcc
	v_mov_b32_e32 v20, s29
	v_add_co_u32_e64 v24, s[2:3], s28, v18
	v_addc_co_u32_e64 v25, s[8:9], v20, v19, s[2:3]
	global_load_ushort v18, v[22:23], off
	global_load_ushort v20, v[24:25], off
	s_mov_b64 s[18:19], -1
	s_waitcnt vmcnt(0)
	v_cmp_eq_u16_e64 s[8:9], v18, v20
	s_and_saveexec_b64 s[36:37], s[8:9]
	s_cbranch_execz .LBB1467_65
; %bb.59:
	v_mov_b32_e32 v18, s29
	v_addc_co_u32_e64 v19, s[2:3], v19, v18, s[2:3]
	v_add_co_u32_e64 v18, s[2:3], 2, v24
	v_mov_b32_e32 v20, s29
	v_addc_co_u32_e64 v19, s[2:3], 0, v19, s[2:3]
	v_addc_co_u32_e32 v21, vcc, v21, v20, vcc
	v_add_co_u32_e32 v20, vcc, 2, v22
	s_add_u32 s2, s26, -1
	v_addc_co_u32_e32 v21, vcc, 0, v21, vcc
	s_addc_u32 s3, s27, -1
	s_mov_b64 s[8:9], 0
	s_mov_b64 s[38:39], 0
                                        ; implicit-def: $sgpr18_sgpr19
	s_branch .LBB1467_62
.LBB1467_60:                            ;   in Loop: Header=BB1467_62 Depth=1
	global_load_ushort v22, v[20:21], off
	global_load_ushort v23, v[18:19], off
	v_add_co_u32_e32 v18, vcc, 2, v18
	v_addc_co_u32_e32 v19, vcc, 0, v19, vcc
	v_add_co_u32_e32 v20, vcc, 2, v20
	v_addc_co_u32_e32 v21, vcc, 0, v21, vcc
	s_add_u32 s38, s38, 1
	s_addc_u32 s39, s39, 0
	s_andn2_b64 s[18:19], s[18:19], exec
	s_waitcnt vmcnt(0)
	v_cmp_ne_u16_e32 vcc, v22, v23
	s_and_b64 s[40:41], vcc, exec
	s_or_b64 s[18:19], s[18:19], s[40:41]
.LBB1467_61:                            ;   in Loop: Header=BB1467_62 Depth=1
	s_and_b64 s[40:41], exec, s[18:19]
	s_or_b64 s[8:9], s[40:41], s[8:9]
	v_pk_mov_b32 v[22:23], s[38:39], s[38:39] op_sel:[0,1]
	s_andn2_b64 exec, exec, s[8:9]
	s_cbranch_execz .LBB1467_64
.LBB1467_62:                            ; =>This Inner Loop Header: Depth=1
	s_or_b64 s[18:19], s[18:19], exec
	s_cmp_eq_u64 s[2:3], s[38:39]
	s_cbranch_scc0 .LBB1467_60
; %bb.63:                               ;   in Loop: Header=BB1467_62 Depth=1
                                        ; implicit-def: $vgpr18_vgpr19
                                        ; implicit-def: $vgpr20_vgpr21
	s_mov_b64 s[38:39], s[26:27]
	s_branch .LBB1467_61
.LBB1467_64:
	s_or_b64 exec, exec, s[8:9]
	v_cmp_gt_i64_e32 vcc, s[26:27], v[22:23]
	s_orn2_b64 s[18:19], vcc, exec
.LBB1467_65:
	s_or_b64 exec, exec, s[36:37]
.LBB1467_66:
	v_or_b32_e32 v28, v27, v28
	s_and_b64 vcc, exec, s[14:15]
	s_cbranch_vccz .LBB1467_114
.LBB1467_67:
	v_or_b32_e32 v18, 3, v1
	v_cmp_gt_u32_e32 vcc, s7, v18
	s_mov_b64 s[18:19], 0
	s_mov_b64 s[14:15], 0
	s_and_saveexec_b64 s[36:37], vcc
	s_cbranch_execz .LBB1467_78
; %bb.68:
	s_and_b64 vcc, exec, s[0:1]
	s_mov_b64 s[38:39], 0
	s_cbranch_vccnz .LBB1467_77
; %bb.69:
	s_waitcnt lgkmcnt(0)
	v_mul_lo_u32 v20, v11, s26
	v_mul_lo_u32 v21, v10, s27
	v_mad_u64_u32 v[18:19], s[2:3], v10, s26, 0
	v_add3_u32 v19, v19, v21, v20
	v_mul_lo_u32 v20, v13, s26
	v_mul_lo_u32 v21, v12, s27
	v_mad_u64_u32 v[24:25], s[2:3], v12, s26, 0
	v_add3_u32 v25, v25, v21, v20
	v_lshlrev_b64 v[20:21], 1, v[18:19]
	v_mov_b32_e32 v18, s29
	v_add_co_u32_e32 v22, vcc, s28, v20
	v_addc_co_u32_e64 v23, s[2:3], v18, v21, vcc
	v_lshlrev_b64 v[18:19], 1, v[24:25]
	v_mov_b32_e32 v20, s29
	v_add_co_u32_e64 v24, s[2:3], s28, v18
	v_addc_co_u32_e64 v25, s[8:9], v20, v19, s[2:3]
	global_load_ushort v18, v[22:23], off
	global_load_ushort v20, v[24:25], off
	s_mov_b64 s[38:39], -1
	s_waitcnt vmcnt(0)
	v_cmp_eq_u16_e64 s[8:9], v18, v20
	s_and_saveexec_b64 s[14:15], s[8:9]
	s_cbranch_execz .LBB1467_76
; %bb.70:
	v_mov_b32_e32 v18, s29
	v_addc_co_u32_e64 v19, s[2:3], v19, v18, s[2:3]
	v_add_co_u32_e64 v18, s[2:3], 2, v24
	v_mov_b32_e32 v20, s29
	v_addc_co_u32_e64 v19, s[2:3], 0, v19, s[2:3]
	v_addc_co_u32_e32 v21, vcc, v21, v20, vcc
	v_add_co_u32_e32 v20, vcc, 2, v22
	s_add_u32 s2, s26, -1
	v_addc_co_u32_e32 v21, vcc, 0, v21, vcc
	s_addc_u32 s3, s27, -1
	s_mov_b64 s[8:9], 0
	s_mov_b64 s[40:41], 0
                                        ; implicit-def: $sgpr38_sgpr39
	s_branch .LBB1467_73
.LBB1467_71:                            ;   in Loop: Header=BB1467_73 Depth=1
	global_load_ushort v22, v[20:21], off
	global_load_ushort v23, v[18:19], off
	v_add_co_u32_e32 v18, vcc, 2, v18
	v_addc_co_u32_e32 v19, vcc, 0, v19, vcc
	v_add_co_u32_e32 v20, vcc, 2, v20
	v_addc_co_u32_e32 v21, vcc, 0, v21, vcc
	s_add_u32 s40, s40, 1
	s_addc_u32 s41, s41, 0
	s_andn2_b64 s[38:39], s[38:39], exec
	s_waitcnt vmcnt(0)
	v_cmp_ne_u16_e32 vcc, v22, v23
	s_and_b64 s[42:43], vcc, exec
	s_or_b64 s[38:39], s[38:39], s[42:43]
.LBB1467_72:                            ;   in Loop: Header=BB1467_73 Depth=1
	s_and_b64 s[42:43], exec, s[38:39]
	s_or_b64 s[8:9], s[42:43], s[8:9]
	v_pk_mov_b32 v[22:23], s[40:41], s[40:41] op_sel:[0,1]
	s_andn2_b64 exec, exec, s[8:9]
	s_cbranch_execz .LBB1467_75
.LBB1467_73:                            ; =>This Inner Loop Header: Depth=1
	s_or_b64 s[38:39], s[38:39], exec
	s_cmp_eq_u64 s[2:3], s[40:41]
	s_cbranch_scc0 .LBB1467_71
; %bb.74:                               ;   in Loop: Header=BB1467_73 Depth=1
                                        ; implicit-def: $vgpr18_vgpr19
                                        ; implicit-def: $vgpr20_vgpr21
	s_mov_b64 s[40:41], s[26:27]
	s_branch .LBB1467_72
.LBB1467_75:
	s_or_b64 exec, exec, s[8:9]
	v_cmp_gt_i64_e32 vcc, s[26:27], v[22:23]
	s_orn2_b64 s[38:39], vcc, exec
.LBB1467_76:
	s_or_b64 exec, exec, s[14:15]
.LBB1467_77:
	s_and_b64 s[14:15], s[38:39], exec
.LBB1467_78:
	s_or_b64 exec, exec, s[36:37]
	v_or_b32_e32 v18, 2, v1
	v_cmp_gt_u32_e32 vcc, s7, v18
	s_and_saveexec_b64 s[36:37], vcc
	s_cbranch_execz .LBB1467_89
; %bb.79:
	s_and_b64 vcc, exec, s[0:1]
	s_mov_b64 s[38:39], 0
	s_cbranch_vccnz .LBB1467_88
; %bb.80:
	s_waitcnt lgkmcnt(0)
	v_mul_lo_u32 v20, v17, s26
	v_mul_lo_u32 v21, v16, s27
	v_mad_u64_u32 v[18:19], s[2:3], v16, s26, 0
	v_add3_u32 v19, v19, v21, v20
	v_mul_lo_u32 v20, v11, s26
	v_mul_lo_u32 v21, v10, s27
	v_mad_u64_u32 v[24:25], s[2:3], v10, s26, 0
	v_add3_u32 v25, v25, v21, v20
	v_lshlrev_b64 v[20:21], 1, v[18:19]
	v_mov_b32_e32 v18, s29
	v_add_co_u32_e32 v22, vcc, s28, v20
	v_addc_co_u32_e64 v23, s[2:3], v18, v21, vcc
	v_lshlrev_b64 v[18:19], 1, v[24:25]
	v_mov_b32_e32 v20, s29
	v_add_co_u32_e64 v24, s[2:3], s28, v18
	v_addc_co_u32_e64 v25, s[8:9], v20, v19, s[2:3]
	global_load_ushort v18, v[22:23], off
	global_load_ushort v20, v[24:25], off
	s_mov_b64 s[38:39], -1
	s_waitcnt vmcnt(0)
	v_cmp_eq_u16_e64 s[8:9], v18, v20
	s_and_saveexec_b64 s[18:19], s[8:9]
	s_cbranch_execz .LBB1467_87
; %bb.81:
	v_mov_b32_e32 v18, s29
	v_addc_co_u32_e64 v19, s[2:3], v19, v18, s[2:3]
	v_add_co_u32_e64 v18, s[2:3], 2, v24
	v_mov_b32_e32 v20, s29
	v_addc_co_u32_e64 v19, s[2:3], 0, v19, s[2:3]
	v_addc_co_u32_e32 v21, vcc, v21, v20, vcc
	v_add_co_u32_e32 v20, vcc, 2, v22
	s_add_u32 s2, s26, -1
	v_addc_co_u32_e32 v21, vcc, 0, v21, vcc
	s_addc_u32 s3, s27, -1
	s_mov_b64 s[8:9], 0
	s_mov_b64 s[40:41], 0
                                        ; implicit-def: $sgpr38_sgpr39
	s_branch .LBB1467_84
.LBB1467_82:                            ;   in Loop: Header=BB1467_84 Depth=1
	global_load_ushort v22, v[20:21], off
	global_load_ushort v23, v[18:19], off
	v_add_co_u32_e32 v18, vcc, 2, v18
	v_addc_co_u32_e32 v19, vcc, 0, v19, vcc
	v_add_co_u32_e32 v20, vcc, 2, v20
	v_addc_co_u32_e32 v21, vcc, 0, v21, vcc
	s_add_u32 s40, s40, 1
	s_addc_u32 s41, s41, 0
	s_andn2_b64 s[38:39], s[38:39], exec
	s_waitcnt vmcnt(0)
	v_cmp_ne_u16_e32 vcc, v22, v23
	s_and_b64 s[42:43], vcc, exec
	s_or_b64 s[38:39], s[38:39], s[42:43]
.LBB1467_83:                            ;   in Loop: Header=BB1467_84 Depth=1
	s_and_b64 s[42:43], exec, s[38:39]
	s_or_b64 s[8:9], s[42:43], s[8:9]
	v_pk_mov_b32 v[22:23], s[40:41], s[40:41] op_sel:[0,1]
	s_andn2_b64 exec, exec, s[8:9]
	s_cbranch_execz .LBB1467_86
.LBB1467_84:                            ; =>This Inner Loop Header: Depth=1
	s_or_b64 s[38:39], s[38:39], exec
	s_cmp_eq_u64 s[2:3], s[40:41]
	s_cbranch_scc0 .LBB1467_82
; %bb.85:                               ;   in Loop: Header=BB1467_84 Depth=1
                                        ; implicit-def: $vgpr18_vgpr19
                                        ; implicit-def: $vgpr20_vgpr21
	s_mov_b64 s[40:41], s[26:27]
	s_branch .LBB1467_83
.LBB1467_86:
	s_or_b64 exec, exec, s[8:9]
	v_cmp_gt_i64_e32 vcc, s[26:27], v[22:23]
	s_orn2_b64 s[38:39], vcc, exec
.LBB1467_87:
	s_or_b64 exec, exec, s[18:19]
.LBB1467_88:
	s_and_b64 s[18:19], s[38:39], exec
.LBB1467_89:
	s_or_b64 exec, exec, s[36:37]
	v_or_b32_e32 v18, 1, v1
	v_cmp_gt_u32_e32 vcc, s7, v18
	s_mov_b64 s[2:3], 0
	s_and_saveexec_b64 s[36:37], vcc
	s_cbranch_execz .LBB1467_100
; %bb.90:
	s_and_b64 vcc, exec, s[0:1]
	s_mov_b64 s[40:41], 0
	s_cbranch_vccnz .LBB1467_99
; %bb.91:
	s_waitcnt lgkmcnt(0)
	v_mul_lo_u32 v20, v15, s26
	v_mul_lo_u32 v21, v14, s27
	v_mad_u64_u32 v[18:19], s[2:3], v14, s26, 0
	v_add3_u32 v19, v19, v21, v20
	v_mul_lo_u32 v20, v17, s26
	v_mul_lo_u32 v21, v16, s27
	v_mad_u64_u32 v[24:25], s[2:3], v16, s26, 0
	v_add3_u32 v25, v25, v21, v20
	v_lshlrev_b64 v[20:21], 1, v[18:19]
	v_mov_b32_e32 v18, s29
	v_add_co_u32_e32 v22, vcc, s28, v20
	v_addc_co_u32_e64 v23, s[2:3], v18, v21, vcc
	v_lshlrev_b64 v[18:19], 1, v[24:25]
	v_mov_b32_e32 v20, s29
	v_add_co_u32_e64 v24, s[2:3], s28, v18
	v_addc_co_u32_e64 v25, s[8:9], v20, v19, s[2:3]
	global_load_ushort v18, v[22:23], off
	global_load_ushort v20, v[24:25], off
	s_mov_b64 s[40:41], -1
	s_waitcnt vmcnt(0)
	v_cmp_eq_u16_e64 s[8:9], v18, v20
	s_and_saveexec_b64 s[38:39], s[8:9]
	s_cbranch_execz .LBB1467_98
; %bb.92:
	v_mov_b32_e32 v18, s29
	v_addc_co_u32_e64 v19, s[2:3], v19, v18, s[2:3]
	v_add_co_u32_e64 v18, s[2:3], 2, v24
	v_mov_b32_e32 v20, s29
	v_addc_co_u32_e64 v19, s[2:3], 0, v19, s[2:3]
	v_addc_co_u32_e32 v21, vcc, v21, v20, vcc
	v_add_co_u32_e32 v20, vcc, 2, v22
	s_add_u32 s2, s26, -1
	v_addc_co_u32_e32 v21, vcc, 0, v21, vcc
	s_addc_u32 s3, s27, -1
	s_mov_b64 s[8:9], 0
	s_mov_b64 s[42:43], 0
                                        ; implicit-def: $sgpr40_sgpr41
	s_branch .LBB1467_95
.LBB1467_93:                            ;   in Loop: Header=BB1467_95 Depth=1
	global_load_ushort v22, v[20:21], off
	global_load_ushort v23, v[18:19], off
	v_add_co_u32_e32 v18, vcc, 2, v18
	v_addc_co_u32_e32 v19, vcc, 0, v19, vcc
	v_add_co_u32_e32 v20, vcc, 2, v20
	v_addc_co_u32_e32 v21, vcc, 0, v21, vcc
	s_add_u32 s42, s42, 1
	s_addc_u32 s43, s43, 0
	s_andn2_b64 s[40:41], s[40:41], exec
	s_waitcnt vmcnt(0)
	v_cmp_ne_u16_e32 vcc, v22, v23
	s_and_b64 s[44:45], vcc, exec
	s_or_b64 s[40:41], s[40:41], s[44:45]
.LBB1467_94:                            ;   in Loop: Header=BB1467_95 Depth=1
	s_and_b64 s[44:45], exec, s[40:41]
	s_or_b64 s[8:9], s[44:45], s[8:9]
	v_pk_mov_b32 v[22:23], s[42:43], s[42:43] op_sel:[0,1]
	s_andn2_b64 exec, exec, s[8:9]
	s_cbranch_execz .LBB1467_97
.LBB1467_95:                            ; =>This Inner Loop Header: Depth=1
	s_or_b64 s[40:41], s[40:41], exec
	s_cmp_eq_u64 s[2:3], s[42:43]
	s_cbranch_scc0 .LBB1467_93
; %bb.96:                               ;   in Loop: Header=BB1467_95 Depth=1
                                        ; implicit-def: $vgpr18_vgpr19
                                        ; implicit-def: $vgpr20_vgpr21
	s_mov_b64 s[42:43], s[26:27]
	s_branch .LBB1467_94
.LBB1467_97:
	s_or_b64 exec, exec, s[8:9]
	v_cmp_gt_i64_e32 vcc, s[26:27], v[22:23]
	s_orn2_b64 s[40:41], vcc, exec
.LBB1467_98:
	s_or_b64 exec, exec, s[38:39]
.LBB1467_99:
	s_and_b64 s[2:3], s[40:41], exec
.LBB1467_100:
	s_or_b64 exec, exec, s[36:37]
	v_cmp_ne_u32_e32 vcc, 0, v0
	s_waitcnt lgkmcnt(0)
	v_pk_mov_b32 v[18:19], s[12:13], s[12:13] op_sel:[0,1]
	s_barrier
	s_and_saveexec_b64 s[8:9], vcc
	s_cbranch_execz .LBB1467_102
; %bb.101:
	v_add_u32_e32 v18, -8, v26
	ds_read_b64 v[18:19], v18
.LBB1467_102:
	s_or_b64 exec, exec, s[8:9]
	v_cndmask_b32_e64 v21, 0, 1, s[14:15]
	v_cndmask_b32_e64 v20, 0, 1, s[18:19]
	;; [unrolled: 1-line block ×3, first 2 shown]
	v_lshlrev_b16_e32 v21, 8, v21
	v_lshlrev_b16_e32 v26, 8, v22
	v_or_b32_sdwa v27, v20, v21 dst_sel:WORD_1 dst_unused:UNUSED_PAD src0_sel:DWORD src1_sel:DWORD
	v_cmp_gt_u32_e32 vcc, s7, v1
	s_mov_b64 s[18:19], 0
	s_and_saveexec_b64 s[8:9], vcc
	s_cbranch_execz .LBB1467_113
; %bb.103:
	s_and_b64 vcc, exec, s[0:1]
	s_mov_b64 s[14:15], 0
	s_cbranch_vccnz .LBB1467_112
; %bb.104:
	s_waitcnt lgkmcnt(0)
	v_mul_lo_u32 v20, v19, s26
	v_mul_lo_u32 v21, v18, s27
	v_mad_u64_u32 v[18:19], s[0:1], v18, s26, 0
	v_add3_u32 v19, v19, v21, v20
	v_mul_lo_u32 v20, v15, s26
	v_mul_lo_u32 v21, v14, s27
	v_mad_u64_u32 v[24:25], s[0:1], v14, s26, 0
	v_add3_u32 v25, v25, v21, v20
	v_lshlrev_b64 v[20:21], 1, v[18:19]
	v_mov_b32_e32 v18, s29
	v_add_co_u32_e32 v22, vcc, s28, v20
	v_addc_co_u32_e64 v23, s[0:1], v18, v21, vcc
	v_lshlrev_b64 v[18:19], 1, v[24:25]
	v_mov_b32_e32 v20, s29
	v_add_co_u32_e64 v24, s[0:1], s28, v18
	v_addc_co_u32_e64 v25, s[2:3], v20, v19, s[0:1]
	global_load_ushort v18, v[22:23], off
	global_load_ushort v20, v[24:25], off
	s_mov_b64 s[14:15], -1
	s_waitcnt vmcnt(0)
	v_cmp_eq_u16_e64 s[2:3], v18, v20
	s_and_saveexec_b64 s[12:13], s[2:3]
	s_cbranch_execz .LBB1467_111
; %bb.105:
	v_mov_b32_e32 v18, s29
	v_addc_co_u32_e64 v19, s[0:1], v19, v18, s[0:1]
	v_add_co_u32_e64 v18, s[0:1], 2, v24
	v_mov_b32_e32 v20, s29
	v_addc_co_u32_e64 v19, s[0:1], 0, v19, s[0:1]
	v_addc_co_u32_e32 v21, vcc, v21, v20, vcc
	v_add_co_u32_e32 v20, vcc, 2, v22
	s_add_u32 s0, s26, -1
	v_addc_co_u32_e32 v21, vcc, 0, v21, vcc
	s_addc_u32 s1, s27, -1
	s_mov_b64 s[2:3], 0
                                        ; implicit-def: $sgpr14_sgpr15
	s_branch .LBB1467_108
.LBB1467_106:                           ;   in Loop: Header=BB1467_108 Depth=1
	global_load_ushort v22, v[20:21], off
	global_load_ushort v23, v[18:19], off
	v_add_co_u32_e32 v18, vcc, 2, v18
	v_addc_co_u32_e32 v19, vcc, 0, v19, vcc
	v_add_co_u32_e32 v20, vcc, 2, v20
	v_addc_co_u32_e32 v21, vcc, 0, v21, vcc
	s_add_u32 s18, s18, 1
	s_addc_u32 s19, s19, 0
	s_andn2_b64 s[14:15], s[14:15], exec
	s_waitcnt vmcnt(0)
	v_cmp_ne_u16_e32 vcc, v22, v23
	s_and_b64 s[36:37], vcc, exec
	s_or_b64 s[14:15], s[14:15], s[36:37]
.LBB1467_107:                           ;   in Loop: Header=BB1467_108 Depth=1
	s_and_b64 s[36:37], exec, s[14:15]
	s_or_b64 s[2:3], s[36:37], s[2:3]
	v_pk_mov_b32 v[22:23], s[18:19], s[18:19] op_sel:[0,1]
	s_andn2_b64 exec, exec, s[2:3]
	s_cbranch_execz .LBB1467_110
.LBB1467_108:                           ; =>This Inner Loop Header: Depth=1
	s_or_b64 s[14:15], s[14:15], exec
	s_cmp_eq_u64 s[0:1], s[18:19]
	s_cbranch_scc0 .LBB1467_106
; %bb.109:                              ;   in Loop: Header=BB1467_108 Depth=1
                                        ; implicit-def: $vgpr18_vgpr19
                                        ; implicit-def: $vgpr20_vgpr21
	s_mov_b64 s[18:19], s[26:27]
	s_branch .LBB1467_107
.LBB1467_110:
	s_or_b64 exec, exec, s[2:3]
	v_cmp_gt_i64_e32 vcc, s[26:27], v[22:23]
	s_orn2_b64 s[14:15], vcc, exec
.LBB1467_111:
	s_or_b64 exec, exec, s[12:13]
.LBB1467_112:
	s_and_b64 s[18:19], s[14:15], exec
.LBB1467_113:
	s_or_b64 exec, exec, s[8:9]
	v_or_b32_e32 v28, v26, v27
.LBB1467_114:
	s_waitcnt lgkmcnt(0)
	s_mov_b64 s[12:13], -1
	s_cbranch_execnz .LBB1467_203
.LBB1467_115:
	v_lshlrev_b32_e32 v29, 3, v0
	s_mov_b64 s[18:19], 0
	v_cmp_gt_i64_e64 s[14:15], s[26:27], 0
	s_and_b64 vcc, exec, s[34:35]
	ds_write_b64 v29, v[12:13]
	s_cbranch_vccz .LBB1467_123
; %bb.116:
	v_mul_lo_u32 v20, v11, s26
	v_mul_lo_u32 v21, v10, s27
	v_mad_u64_u32 v[18:19], s[0:1], v10, s26, 0
	v_add3_u32 v19, v19, v21, v20
	v_cndmask_b32_e64 v20, 0, 1, s[14:15]
	v_cmp_ne_u32_e64 s[0:1], 1, v20
	s_andn2_b64 vcc, exec, s[14:15]
	v_lshlrev_b64 v[18:19], 1, v[18:19]
	s_cbranch_vccnz .LBB1467_126
; %bb.117:
	v_mul_lo_u32 v22, v13, s26
	v_mul_lo_u32 v23, v12, s27
	v_mad_u64_u32 v[20:21], s[2:3], v12, s26, 0
	v_add3_u32 v21, v21, v23, v22
	v_mov_b32_e32 v23, s29
	v_add_co_u32_e32 v22, vcc, s28, v18
	v_addc_co_u32_e64 v23, s[2:3], v23, v19, vcc
	v_lshlrev_b64 v[20:21], 1, v[20:21]
	v_mov_b32_e32 v25, s29
	v_add_co_u32_e64 v24, s[2:3], s28, v20
	v_addc_co_u32_e64 v25, s[8:9], v25, v21, s[2:3]
	global_load_ushort v20, v[22:23], off
	global_load_ushort v26, v[24:25], off
	s_mov_b64 s[18:19], -1
	s_waitcnt vmcnt(0)
	v_cmp_eq_u16_e64 s[8:9], v20, v26
	s_and_saveexec_b64 s[36:37], s[8:9]
	s_cbranch_execz .LBB1467_125
; %bb.118:
	v_mov_b32_e32 v20, s29
	v_addc_co_u32_e64 v21, s[2:3], v21, v20, s[2:3]
	v_add_co_u32_e64 v20, s[2:3], 2, v24
	v_mov_b32_e32 v23, s29
	v_addc_co_u32_e64 v21, s[2:3], 0, v21, s[2:3]
	v_addc_co_u32_e32 v23, vcc, v19, v23, vcc
	v_add_co_u32_e32 v22, vcc, 2, v22
	s_add_u32 s2, s26, -1
	v_addc_co_u32_e32 v23, vcc, 0, v23, vcc
	s_addc_u32 s3, s27, -1
	s_mov_b64 s[8:9], 0
	s_mov_b64 s[38:39], 0
                                        ; implicit-def: $sgpr18_sgpr19
	s_branch .LBB1467_121
.LBB1467_119:                           ;   in Loop: Header=BB1467_121 Depth=1
	global_load_ushort v24, v[22:23], off
	global_load_ushort v25, v[20:21], off
	v_add_co_u32_e32 v20, vcc, 2, v20
	v_addc_co_u32_e32 v21, vcc, 0, v21, vcc
	v_add_co_u32_e32 v22, vcc, 2, v22
	v_addc_co_u32_e32 v23, vcc, 0, v23, vcc
	s_add_u32 s38, s38, 1
	s_addc_u32 s39, s39, 0
	s_andn2_b64 s[18:19], s[18:19], exec
	s_waitcnt vmcnt(0)
	v_cmp_ne_u16_e32 vcc, v24, v25
	s_and_b64 s[40:41], vcc, exec
	s_or_b64 s[18:19], s[18:19], s[40:41]
.LBB1467_120:                           ;   in Loop: Header=BB1467_121 Depth=1
	s_and_b64 s[40:41], exec, s[18:19]
	s_or_b64 s[8:9], s[40:41], s[8:9]
	v_pk_mov_b32 v[24:25], s[38:39], s[38:39] op_sel:[0,1]
	s_andn2_b64 exec, exec, s[8:9]
	s_cbranch_execz .LBB1467_124
.LBB1467_121:                           ; =>This Inner Loop Header: Depth=1
	s_or_b64 s[18:19], s[18:19], exec
	s_cmp_eq_u64 s[2:3], s[38:39]
	s_cbranch_scc0 .LBB1467_119
; %bb.122:                              ;   in Loop: Header=BB1467_121 Depth=1
                                        ; implicit-def: $vgpr20_vgpr21
                                        ; implicit-def: $vgpr22_vgpr23
	s_mov_b64 s[38:39], s[26:27]
	s_branch .LBB1467_120
.LBB1467_123:
                                        ; implicit-def: $sgpr18_sgpr19
                                        ; implicit-def: $vgpr28
	s_cbranch_execnz .LBB1467_156
	s_branch .LBB1467_203
.LBB1467_124:
	s_or_b64 exec, exec, s[8:9]
	v_cmp_gt_i64_e32 vcc, s[26:27], v[24:25]
	s_orn2_b64 s[18:19], vcc, exec
.LBB1467_125:
	s_or_b64 exec, exec, s[36:37]
.LBB1467_126:
	v_mul_lo_u32 v22, v17, s26
	v_mul_lo_u32 v23, v16, s27
	v_mad_u64_u32 v[20:21], s[2:3], v16, s26, 0
	v_add3_u32 v21, v21, v23, v22
	s_mov_b64 s[36:37], 0
	s_and_b64 vcc, exec, s[0:1]
	v_lshlrev_b64 v[20:21], 1, v[20:21]
	s_mov_b64 s[38:39], 0
	s_cbranch_vccnz .LBB1467_135
; %bb.127:
	v_mov_b32_e32 v23, s29
	v_add_co_u32_e32 v22, vcc, s28, v20
	v_addc_co_u32_e64 v23, s[2:3], v23, v21, vcc
	v_mov_b32_e32 v25, s29
	v_add_co_u32_e64 v24, s[2:3], s28, v18
	v_addc_co_u32_e64 v25, s[8:9], v25, v19, s[2:3]
	global_load_ushort v18, v[22:23], off
	global_load_ushort v26, v[24:25], off
	s_mov_b64 s[38:39], -1
	s_waitcnt vmcnt(0)
	v_cmp_eq_u16_e64 s[8:9], v18, v26
	s_and_saveexec_b64 s[40:41], s[8:9]
	s_cbranch_execz .LBB1467_134
; %bb.128:
	v_mov_b32_e32 v18, s29
	v_addc_co_u32_e64 v19, s[2:3], v19, v18, s[2:3]
	v_add_co_u32_e64 v18, s[2:3], 2, v24
	v_mov_b32_e32 v23, s29
	v_addc_co_u32_e64 v19, s[2:3], 0, v19, s[2:3]
	v_addc_co_u32_e32 v23, vcc, v21, v23, vcc
	v_add_co_u32_e32 v22, vcc, 2, v22
	s_add_u32 s2, s26, -1
	v_addc_co_u32_e32 v23, vcc, 0, v23, vcc
	s_addc_u32 s3, s27, -1
	s_mov_b64 s[8:9], 0
	s_mov_b64 s[42:43], 0
                                        ; implicit-def: $sgpr38_sgpr39
	s_branch .LBB1467_131
.LBB1467_129:                           ;   in Loop: Header=BB1467_131 Depth=1
	global_load_ushort v24, v[22:23], off
	global_load_ushort v25, v[18:19], off
	v_add_co_u32_e32 v18, vcc, 2, v18
	v_addc_co_u32_e32 v19, vcc, 0, v19, vcc
	v_add_co_u32_e32 v22, vcc, 2, v22
	v_addc_co_u32_e32 v23, vcc, 0, v23, vcc
	s_add_u32 s42, s42, 1
	s_addc_u32 s43, s43, 0
	s_andn2_b64 s[38:39], s[38:39], exec
	s_waitcnt vmcnt(0)
	v_cmp_ne_u16_e32 vcc, v24, v25
	s_and_b64 s[44:45], vcc, exec
	s_or_b64 s[38:39], s[38:39], s[44:45]
.LBB1467_130:                           ;   in Loop: Header=BB1467_131 Depth=1
	s_and_b64 s[44:45], exec, s[38:39]
	s_or_b64 s[8:9], s[44:45], s[8:9]
	v_pk_mov_b32 v[24:25], s[42:43], s[42:43] op_sel:[0,1]
	s_andn2_b64 exec, exec, s[8:9]
	s_cbranch_execz .LBB1467_133
.LBB1467_131:                           ; =>This Inner Loop Header: Depth=1
	s_or_b64 s[38:39], s[38:39], exec
	s_cmp_eq_u64 s[2:3], s[42:43]
	s_cbranch_scc0 .LBB1467_129
; %bb.132:                              ;   in Loop: Header=BB1467_131 Depth=1
                                        ; implicit-def: $vgpr18_vgpr19
                                        ; implicit-def: $vgpr22_vgpr23
	s_mov_b64 s[42:43], s[26:27]
	s_branch .LBB1467_130
.LBB1467_133:
	s_or_b64 exec, exec, s[8:9]
	v_cmp_gt_i64_e32 vcc, s[26:27], v[24:25]
	s_orn2_b64 s[38:39], vcc, exec
.LBB1467_134:
	s_or_b64 exec, exec, s[40:41]
.LBB1467_135:
	v_mul_lo_u32 v22, v15, s26
	v_mul_lo_u32 v23, v14, s27
	v_mad_u64_u32 v[18:19], s[2:3], v14, s26, 0
	s_and_b64 vcc, exec, s[0:1]
	v_add3_u32 v19, v19, v23, v22
	s_cbranch_vccnz .LBB1467_144
; %bb.136:
	v_lshlrev_b64 v[22:23], 1, v[18:19]
	v_mov_b32_e32 v25, s29
	v_add_co_u32_e32 v24, vcc, s28, v22
	v_addc_co_u32_e64 v25, s[2:3], v25, v23, vcc
	v_mov_b32_e32 v22, s29
	v_add_co_u32_e64 v26, s[2:3], s28, v20
	v_addc_co_u32_e64 v27, s[8:9], v22, v21, s[2:3]
	global_load_ushort v20, v[24:25], off
	global_load_ushort v22, v[26:27], off
	s_mov_b64 s[36:37], -1
	s_waitcnt vmcnt(0)
	v_cmp_eq_u16_e64 s[8:9], v20, v22
	s_and_saveexec_b64 s[40:41], s[8:9]
	s_cbranch_execz .LBB1467_143
; %bb.137:
	v_mov_b32_e32 v20, s29
	v_addc_co_u32_e64 v21, s[2:3], v21, v20, s[2:3]
	v_add_co_u32_e64 v20, s[2:3], 2, v26
	v_mov_b32_e32 v22, s29
	v_addc_co_u32_e64 v21, s[2:3], 0, v21, s[2:3]
	v_addc_co_u32_e32 v23, vcc, v23, v22, vcc
	v_add_co_u32_e32 v22, vcc, 2, v24
	s_add_u32 s2, s26, -1
	v_addc_co_u32_e32 v23, vcc, 0, v23, vcc
	s_addc_u32 s3, s27, -1
	s_mov_b64 s[8:9], 0
	s_mov_b64 s[42:43], 0
                                        ; implicit-def: $sgpr36_sgpr37
	s_branch .LBB1467_140
.LBB1467_138:                           ;   in Loop: Header=BB1467_140 Depth=1
	global_load_ushort v24, v[22:23], off
	global_load_ushort v25, v[20:21], off
	v_add_co_u32_e32 v20, vcc, 2, v20
	v_addc_co_u32_e32 v21, vcc, 0, v21, vcc
	v_add_co_u32_e32 v22, vcc, 2, v22
	v_addc_co_u32_e32 v23, vcc, 0, v23, vcc
	s_add_u32 s42, s42, 1
	s_addc_u32 s43, s43, 0
	s_andn2_b64 s[36:37], s[36:37], exec
	s_waitcnt vmcnt(0)
	v_cmp_ne_u16_e32 vcc, v24, v25
	s_and_b64 s[44:45], vcc, exec
	s_or_b64 s[36:37], s[36:37], s[44:45]
.LBB1467_139:                           ;   in Loop: Header=BB1467_140 Depth=1
	s_and_b64 s[44:45], exec, s[36:37]
	s_or_b64 s[8:9], s[44:45], s[8:9]
	v_pk_mov_b32 v[24:25], s[42:43], s[42:43] op_sel:[0,1]
	s_andn2_b64 exec, exec, s[8:9]
	s_cbranch_execz .LBB1467_142
.LBB1467_140:                           ; =>This Inner Loop Header: Depth=1
	s_or_b64 s[36:37], s[36:37], exec
	s_cmp_eq_u64 s[2:3], s[42:43]
	s_cbranch_scc0 .LBB1467_138
; %bb.141:                              ;   in Loop: Header=BB1467_140 Depth=1
                                        ; implicit-def: $vgpr20_vgpr21
                                        ; implicit-def: $vgpr22_vgpr23
	s_mov_b64 s[42:43], s[26:27]
	s_branch .LBB1467_139
.LBB1467_142:
	s_or_b64 exec, exec, s[8:9]
	v_cmp_gt_i64_e32 vcc, s[26:27], v[24:25]
	s_orn2_b64 s[36:37], vcc, exec
.LBB1467_143:
	s_or_b64 exec, exec, s[40:41]
.LBB1467_144:
	v_cndmask_b32_e64 v21, 0, 1, s[18:19]
	v_cndmask_b32_e64 v22, 0, 1, s[36:37]
	;; [unrolled: 1-line block ×3, first 2 shown]
	v_lshlrev_b16_e32 v22, 8, v22
	v_lshlrev_b16_e32 v21, 8, v21
	v_or_b32_e32 v22, 1, v22
	v_or_b32_sdwa v20, v20, v21 dst_sel:WORD_1 dst_unused:UNUSED_PAD src0_sel:DWORD src1_sel:DWORD
	v_or_b32_sdwa v28, v22, v20 dst_sel:DWORD dst_unused:UNUSED_PAD src0_sel:WORD_0 src1_sel:DWORD
	v_cmp_ne_u32_e32 vcc, 0, v0
	s_waitcnt lgkmcnt(0)
	s_barrier
	s_waitcnt lgkmcnt(0)
                                        ; implicit-def: $sgpr18_sgpr19
	s_and_saveexec_b64 s[2:3], vcc
	s_xor_b64 s[8:9], exec, s[2:3]
	s_cbranch_execz .LBB1467_155
; %bb.145:
	s_and_b64 vcc, exec, s[0:1]
	s_mov_b64 s[36:37], 0
	s_cbranch_vccnz .LBB1467_154
; %bb.146:
	v_add_u32_e32 v20, -8, v29
	ds_read_b64 v[20:21], v20
	v_mov_b32_e32 v23, s29
	v_lshlrev_b64 v[18:19], 1, v[18:19]
	s_mov_b64 s[36:37], -1
	s_waitcnt lgkmcnt(0)
	v_mul_lo_u32 v22, v21, s26
	v_mul_lo_u32 v24, v20, s27
	v_mad_u64_u32 v[20:21], s[0:1], v20, s26, 0
	v_add3_u32 v21, v21, v24, v22
	v_lshlrev_b64 v[20:21], 1, v[20:21]
	v_add_co_u32_e32 v22, vcc, s28, v20
	v_addc_co_u32_e64 v23, s[0:1], v23, v21, vcc
	v_mov_b32_e32 v20, s29
	v_add_co_u32_e64 v24, s[0:1], s28, v18
	v_addc_co_u32_e64 v25, s[2:3], v20, v19, s[0:1]
	global_load_ushort v18, v[22:23], off
	global_load_ushort v20, v[24:25], off
	s_waitcnt vmcnt(0)
	v_cmp_eq_u16_e64 s[2:3], v18, v20
	s_and_saveexec_b64 s[18:19], s[2:3]
	s_cbranch_execz .LBB1467_153
; %bb.147:
	v_mov_b32_e32 v18, s29
	v_addc_co_u32_e64 v19, s[0:1], v19, v18, s[0:1]
	v_add_co_u32_e64 v18, s[0:1], 2, v24
	v_mov_b32_e32 v20, s29
	v_addc_co_u32_e64 v19, s[0:1], 0, v19, s[0:1]
	v_addc_co_u32_e32 v21, vcc, v21, v20, vcc
	v_add_co_u32_e32 v20, vcc, 2, v22
	s_add_u32 s0, s26, -1
	v_addc_co_u32_e32 v21, vcc, 0, v21, vcc
	s_addc_u32 s1, s27, -1
	s_mov_b64 s[2:3], 0
	s_mov_b64 s[38:39], 0
                                        ; implicit-def: $sgpr36_sgpr37
	s_branch .LBB1467_150
.LBB1467_148:                           ;   in Loop: Header=BB1467_150 Depth=1
	global_load_ushort v22, v[20:21], off
	global_load_ushort v23, v[18:19], off
	v_add_co_u32_e32 v18, vcc, 2, v18
	v_addc_co_u32_e32 v19, vcc, 0, v19, vcc
	v_add_co_u32_e32 v20, vcc, 2, v20
	v_addc_co_u32_e32 v21, vcc, 0, v21, vcc
	s_add_u32 s38, s38, 1
	s_addc_u32 s39, s39, 0
	s_andn2_b64 s[36:37], s[36:37], exec
	s_waitcnt vmcnt(0)
	v_cmp_ne_u16_e32 vcc, v22, v23
	s_and_b64 s[40:41], vcc, exec
	s_or_b64 s[36:37], s[36:37], s[40:41]
.LBB1467_149:                           ;   in Loop: Header=BB1467_150 Depth=1
	s_and_b64 s[40:41], exec, s[36:37]
	s_or_b64 s[2:3], s[40:41], s[2:3]
	v_pk_mov_b32 v[22:23], s[38:39], s[38:39] op_sel:[0,1]
	s_andn2_b64 exec, exec, s[2:3]
	s_cbranch_execz .LBB1467_152
.LBB1467_150:                           ; =>This Inner Loop Header: Depth=1
	s_or_b64 s[36:37], s[36:37], exec
	s_cmp_eq_u64 s[0:1], s[38:39]
	s_cbranch_scc0 .LBB1467_148
; %bb.151:                              ;   in Loop: Header=BB1467_150 Depth=1
                                        ; implicit-def: $vgpr18_vgpr19
                                        ; implicit-def: $vgpr20_vgpr21
	s_mov_b64 s[38:39], s[26:27]
	s_branch .LBB1467_149
.LBB1467_152:
	s_or_b64 exec, exec, s[2:3]
	v_cmp_gt_i64_e32 vcc, s[26:27], v[22:23]
	s_orn2_b64 s[36:37], vcc, exec
.LBB1467_153:
	s_or_b64 exec, exec, s[18:19]
.LBB1467_154:
	s_and_b64 s[18:19], s[36:37], exec
	s_or_b64 s[12:13], s[12:13], exec
.LBB1467_155:
	s_or_b64 exec, exec, s[8:9]
	s_branch .LBB1467_203
.LBB1467_156:
	v_or_b32_e32 v18, 3, v1
	v_cmp_gt_u32_e32 vcc, s7, v18
	s_mov_b64 s[18:19], 0
	s_mov_b64 s[8:9], 0
	s_and_saveexec_b64 s[36:37], vcc
	s_cbranch_execz .LBB1467_167
; %bb.157:
	s_andn2_b64 vcc, exec, s[14:15]
	s_mov_b64 s[38:39], 0
	s_cbranch_vccnz .LBB1467_166
; %bb.158:
	v_mul_lo_u32 v20, v11, s26
	v_mul_lo_u32 v21, v10, s27
	v_mad_u64_u32 v[18:19], s[0:1], v10, s26, 0
	v_add3_u32 v19, v19, v21, v20
	v_mul_lo_u32 v20, v13, s26
	v_mul_lo_u32 v21, v12, s27
	v_mad_u64_u32 v[24:25], s[0:1], v12, s26, 0
	v_add3_u32 v25, v25, v21, v20
	v_lshlrev_b64 v[20:21], 1, v[18:19]
	v_mov_b32_e32 v18, s29
	v_add_co_u32_e32 v22, vcc, s28, v20
	v_addc_co_u32_e64 v23, s[0:1], v18, v21, vcc
	v_lshlrev_b64 v[18:19], 1, v[24:25]
	v_mov_b32_e32 v20, s29
	v_add_co_u32_e64 v24, s[0:1], s28, v18
	v_addc_co_u32_e64 v25, s[2:3], v20, v19, s[0:1]
	global_load_ushort v18, v[22:23], off
	global_load_ushort v20, v[24:25], off
	s_mov_b64 s[38:39], -1
	s_waitcnt vmcnt(0)
	v_cmp_eq_u16_e64 s[2:3], v18, v20
	s_and_saveexec_b64 s[8:9], s[2:3]
	s_cbranch_execz .LBB1467_165
; %bb.159:
	v_mov_b32_e32 v18, s29
	v_addc_co_u32_e64 v19, s[0:1], v19, v18, s[0:1]
	v_add_co_u32_e64 v18, s[0:1], 2, v24
	v_mov_b32_e32 v20, s29
	v_addc_co_u32_e64 v19, s[0:1], 0, v19, s[0:1]
	v_addc_co_u32_e32 v21, vcc, v21, v20, vcc
	v_add_co_u32_e32 v20, vcc, 2, v22
	s_add_u32 s0, s26, -1
	v_addc_co_u32_e32 v21, vcc, 0, v21, vcc
	s_addc_u32 s1, s27, -1
	s_mov_b64 s[2:3], 0
	s_mov_b64 s[40:41], 0
                                        ; implicit-def: $sgpr38_sgpr39
	s_branch .LBB1467_162
.LBB1467_160:                           ;   in Loop: Header=BB1467_162 Depth=1
	global_load_ushort v22, v[20:21], off
	global_load_ushort v23, v[18:19], off
	v_add_co_u32_e32 v18, vcc, 2, v18
	v_addc_co_u32_e32 v19, vcc, 0, v19, vcc
	v_add_co_u32_e32 v20, vcc, 2, v20
	v_addc_co_u32_e32 v21, vcc, 0, v21, vcc
	s_add_u32 s40, s40, 1
	s_addc_u32 s41, s41, 0
	s_andn2_b64 s[38:39], s[38:39], exec
	s_waitcnt vmcnt(0)
	v_cmp_ne_u16_e32 vcc, v22, v23
	s_and_b64 s[42:43], vcc, exec
	s_or_b64 s[38:39], s[38:39], s[42:43]
.LBB1467_161:                           ;   in Loop: Header=BB1467_162 Depth=1
	s_and_b64 s[42:43], exec, s[38:39]
	s_or_b64 s[2:3], s[42:43], s[2:3]
	v_pk_mov_b32 v[22:23], s[40:41], s[40:41] op_sel:[0,1]
	s_andn2_b64 exec, exec, s[2:3]
	s_cbranch_execz .LBB1467_164
.LBB1467_162:                           ; =>This Inner Loop Header: Depth=1
	s_or_b64 s[38:39], s[38:39], exec
	s_cmp_eq_u64 s[0:1], s[40:41]
	s_cbranch_scc0 .LBB1467_160
; %bb.163:                              ;   in Loop: Header=BB1467_162 Depth=1
                                        ; implicit-def: $vgpr18_vgpr19
                                        ; implicit-def: $vgpr20_vgpr21
	s_mov_b64 s[40:41], s[26:27]
	s_branch .LBB1467_161
.LBB1467_164:
	s_or_b64 exec, exec, s[2:3]
	v_cmp_gt_i64_e32 vcc, s[26:27], v[22:23]
	s_orn2_b64 s[38:39], vcc, exec
.LBB1467_165:
	s_or_b64 exec, exec, s[8:9]
.LBB1467_166:
	s_and_b64 s[8:9], s[38:39], exec
.LBB1467_167:
	s_or_b64 exec, exec, s[36:37]
	v_or_b32_e32 v18, 2, v1
	v_cmp_gt_u32_e32 vcc, s7, v18
	s_and_saveexec_b64 s[36:37], vcc
	s_cbranch_execz .LBB1467_178
; %bb.168:
	s_andn2_b64 vcc, exec, s[14:15]
	s_mov_b64 s[38:39], 0
	s_cbranch_vccnz .LBB1467_177
; %bb.169:
	v_mul_lo_u32 v20, v17, s26
	v_mul_lo_u32 v21, v16, s27
	v_mad_u64_u32 v[18:19], s[0:1], v16, s26, 0
	v_add3_u32 v19, v19, v21, v20
	v_mul_lo_u32 v20, v11, s26
	v_mul_lo_u32 v21, v10, s27
	v_mad_u64_u32 v[24:25], s[0:1], v10, s26, 0
	v_add3_u32 v25, v25, v21, v20
	v_lshlrev_b64 v[20:21], 1, v[18:19]
	v_mov_b32_e32 v18, s29
	v_add_co_u32_e32 v22, vcc, s28, v20
	v_addc_co_u32_e64 v23, s[0:1], v18, v21, vcc
	v_lshlrev_b64 v[18:19], 1, v[24:25]
	v_mov_b32_e32 v20, s29
	v_add_co_u32_e64 v24, s[0:1], s28, v18
	v_addc_co_u32_e64 v25, s[2:3], v20, v19, s[0:1]
	global_load_ushort v18, v[22:23], off
	global_load_ushort v20, v[24:25], off
	s_mov_b64 s[38:39], -1
	s_waitcnt vmcnt(0)
	v_cmp_eq_u16_e64 s[2:3], v18, v20
	s_and_saveexec_b64 s[18:19], s[2:3]
	s_cbranch_execz .LBB1467_176
; %bb.170:
	v_mov_b32_e32 v18, s29
	v_addc_co_u32_e64 v19, s[0:1], v19, v18, s[0:1]
	v_add_co_u32_e64 v18, s[0:1], 2, v24
	v_mov_b32_e32 v20, s29
	v_addc_co_u32_e64 v19, s[0:1], 0, v19, s[0:1]
	v_addc_co_u32_e32 v21, vcc, v21, v20, vcc
	v_add_co_u32_e32 v20, vcc, 2, v22
	s_add_u32 s0, s26, -1
	v_addc_co_u32_e32 v21, vcc, 0, v21, vcc
	s_addc_u32 s1, s27, -1
	s_mov_b64 s[2:3], 0
	s_mov_b64 s[40:41], 0
                                        ; implicit-def: $sgpr38_sgpr39
	s_branch .LBB1467_173
.LBB1467_171:                           ;   in Loop: Header=BB1467_173 Depth=1
	global_load_ushort v22, v[20:21], off
	global_load_ushort v23, v[18:19], off
	v_add_co_u32_e32 v18, vcc, 2, v18
	v_addc_co_u32_e32 v19, vcc, 0, v19, vcc
	v_add_co_u32_e32 v20, vcc, 2, v20
	v_addc_co_u32_e32 v21, vcc, 0, v21, vcc
	s_add_u32 s40, s40, 1
	s_addc_u32 s41, s41, 0
	s_andn2_b64 s[38:39], s[38:39], exec
	s_waitcnt vmcnt(0)
	v_cmp_ne_u16_e32 vcc, v22, v23
	s_and_b64 s[42:43], vcc, exec
	s_or_b64 s[38:39], s[38:39], s[42:43]
.LBB1467_172:                           ;   in Loop: Header=BB1467_173 Depth=1
	s_and_b64 s[42:43], exec, s[38:39]
	s_or_b64 s[2:3], s[42:43], s[2:3]
	v_pk_mov_b32 v[22:23], s[40:41], s[40:41] op_sel:[0,1]
	s_andn2_b64 exec, exec, s[2:3]
	s_cbranch_execz .LBB1467_175
.LBB1467_173:                           ; =>This Inner Loop Header: Depth=1
	s_or_b64 s[38:39], s[38:39], exec
	s_cmp_eq_u64 s[0:1], s[40:41]
	s_cbranch_scc0 .LBB1467_171
; %bb.174:                              ;   in Loop: Header=BB1467_173 Depth=1
                                        ; implicit-def: $vgpr18_vgpr19
                                        ; implicit-def: $vgpr20_vgpr21
	s_mov_b64 s[40:41], s[26:27]
	s_branch .LBB1467_172
.LBB1467_175:
	s_or_b64 exec, exec, s[2:3]
	v_cmp_gt_i64_e32 vcc, s[26:27], v[22:23]
	s_orn2_b64 s[38:39], vcc, exec
.LBB1467_176:
	s_or_b64 exec, exec, s[18:19]
.LBB1467_177:
	s_and_b64 s[18:19], s[38:39], exec
.LBB1467_178:
	s_or_b64 exec, exec, s[36:37]
	v_or_b32_e32 v18, 1, v1
	v_cmp_gt_u32_e32 vcc, s7, v18
	s_mov_b64 s[0:1], 0
	s_and_saveexec_b64 s[36:37], vcc
	s_cbranch_execz .LBB1467_189
; %bb.179:
	s_andn2_b64 vcc, exec, s[14:15]
	s_mov_b64 s[40:41], 0
	s_cbranch_vccnz .LBB1467_188
; %bb.180:
	v_mul_lo_u32 v20, v15, s26
	v_mul_lo_u32 v21, v14, s27
	v_mad_u64_u32 v[18:19], s[0:1], v14, s26, 0
	v_add3_u32 v19, v19, v21, v20
	v_mul_lo_u32 v20, v17, s26
	v_mul_lo_u32 v21, v16, s27
	v_mad_u64_u32 v[24:25], s[0:1], v16, s26, 0
	v_add3_u32 v25, v25, v21, v20
	v_lshlrev_b64 v[20:21], 1, v[18:19]
	v_mov_b32_e32 v18, s29
	v_add_co_u32_e32 v22, vcc, s28, v20
	v_addc_co_u32_e64 v23, s[0:1], v18, v21, vcc
	v_lshlrev_b64 v[18:19], 1, v[24:25]
	v_mov_b32_e32 v20, s29
	v_add_co_u32_e64 v24, s[0:1], s28, v18
	v_addc_co_u32_e64 v25, s[2:3], v20, v19, s[0:1]
	global_load_ushort v18, v[22:23], off
	global_load_ushort v20, v[24:25], off
	s_mov_b64 s[40:41], -1
	s_waitcnt vmcnt(0)
	v_cmp_eq_u16_e64 s[2:3], v18, v20
	s_and_saveexec_b64 s[38:39], s[2:3]
	s_cbranch_execz .LBB1467_187
; %bb.181:
	v_mov_b32_e32 v18, s29
	v_addc_co_u32_e64 v19, s[0:1], v19, v18, s[0:1]
	v_add_co_u32_e64 v18, s[0:1], 2, v24
	v_mov_b32_e32 v20, s29
	v_addc_co_u32_e64 v19, s[0:1], 0, v19, s[0:1]
	v_addc_co_u32_e32 v21, vcc, v21, v20, vcc
	v_add_co_u32_e32 v20, vcc, 2, v22
	s_add_u32 s0, s26, -1
	v_addc_co_u32_e32 v21, vcc, 0, v21, vcc
	s_addc_u32 s1, s27, -1
	s_mov_b64 s[2:3], 0
	s_mov_b64 s[42:43], 0
                                        ; implicit-def: $sgpr40_sgpr41
	s_branch .LBB1467_184
.LBB1467_182:                           ;   in Loop: Header=BB1467_184 Depth=1
	global_load_ushort v22, v[20:21], off
	global_load_ushort v23, v[18:19], off
	v_add_co_u32_e32 v18, vcc, 2, v18
	v_addc_co_u32_e32 v19, vcc, 0, v19, vcc
	v_add_co_u32_e32 v20, vcc, 2, v20
	v_addc_co_u32_e32 v21, vcc, 0, v21, vcc
	s_add_u32 s42, s42, 1
	s_addc_u32 s43, s43, 0
	s_andn2_b64 s[40:41], s[40:41], exec
	s_waitcnt vmcnt(0)
	v_cmp_ne_u16_e32 vcc, v22, v23
	s_and_b64 s[44:45], vcc, exec
	s_or_b64 s[40:41], s[40:41], s[44:45]
.LBB1467_183:                           ;   in Loop: Header=BB1467_184 Depth=1
	s_and_b64 s[44:45], exec, s[40:41]
	s_or_b64 s[2:3], s[44:45], s[2:3]
	v_pk_mov_b32 v[22:23], s[42:43], s[42:43] op_sel:[0,1]
	s_andn2_b64 exec, exec, s[2:3]
	s_cbranch_execz .LBB1467_186
.LBB1467_184:                           ; =>This Inner Loop Header: Depth=1
	s_or_b64 s[40:41], s[40:41], exec
	s_cmp_eq_u64 s[0:1], s[42:43]
	s_cbranch_scc0 .LBB1467_182
; %bb.185:                              ;   in Loop: Header=BB1467_184 Depth=1
                                        ; implicit-def: $vgpr18_vgpr19
                                        ; implicit-def: $vgpr20_vgpr21
	s_mov_b64 s[42:43], s[26:27]
	s_branch .LBB1467_183
.LBB1467_186:
	s_or_b64 exec, exec, s[2:3]
	v_cmp_gt_i64_e32 vcc, s[26:27], v[22:23]
	s_orn2_b64 s[40:41], vcc, exec
.LBB1467_187:
	s_or_b64 exec, exec, s[38:39]
.LBB1467_188:
	s_and_b64 s[0:1], s[40:41], exec
.LBB1467_189:
	s_or_b64 exec, exec, s[36:37]
	v_cndmask_b32_e64 v19, 0, 1, s[8:9]
	v_cndmask_b32_e64 v20, 0, 1, s[0:1]
	;; [unrolled: 1-line block ×3, first 2 shown]
	v_lshlrev_b16_e32 v20, 8, v20
	v_lshlrev_b16_e32 v19, 8, v19
	v_or_b32_e32 v20, 1, v20
	v_or_b32_sdwa v18, v18, v19 dst_sel:WORD_1 dst_unused:UNUSED_PAD src0_sel:DWORD src1_sel:DWORD
	v_or_b32_sdwa v28, v20, v18 dst_sel:DWORD dst_unused:UNUSED_PAD src0_sel:WORD_0 src1_sel:DWORD
	v_cmp_ne_u32_e32 vcc, 0, v0
	s_waitcnt lgkmcnt(0)
	s_barrier
	s_waitcnt lgkmcnt(0)
                                        ; implicit-def: $sgpr18_sgpr19
	s_and_saveexec_b64 s[8:9], vcc
	s_cbranch_execz .LBB1467_202
; %bb.190:
	v_cmp_gt_u32_e32 vcc, s7, v1
	s_mov_b64 s[0:1], 0
	s_and_saveexec_b64 s[18:19], vcc
	s_cbranch_execz .LBB1467_201
; %bb.191:
	s_andn2_b64 vcc, exec, s[14:15]
	s_mov_b64 s[36:37], 0
	s_cbranch_vccnz .LBB1467_200
; %bb.192:
	v_add_u32_e32 v18, -8, v29
	ds_read_b64 v[18:19], v18
	v_mul_lo_u32 v20, v15, s26
	v_mad_u64_u32 v[24:25], s[0:1], v14, s26, 0
	s_mov_b64 s[36:37], -1
	s_waitcnt lgkmcnt(0)
	v_mul_lo_u32 v21, v19, s26
	v_mul_lo_u32 v22, v18, s27
	v_mad_u64_u32 v[18:19], s[0:1], v18, s26, 0
	v_add3_u32 v19, v19, v22, v21
	v_mul_lo_u32 v21, v14, s27
	v_add3_u32 v25, v25, v21, v20
	v_lshlrev_b64 v[20:21], 1, v[18:19]
	v_mov_b32_e32 v18, s29
	v_add_co_u32_e32 v22, vcc, s28, v20
	v_addc_co_u32_e64 v23, s[0:1], v18, v21, vcc
	v_lshlrev_b64 v[18:19], 1, v[24:25]
	v_mov_b32_e32 v20, s29
	v_add_co_u32_e64 v24, s[0:1], s28, v18
	v_addc_co_u32_e64 v25, s[2:3], v20, v19, s[0:1]
	global_load_ushort v18, v[22:23], off
	global_load_ushort v20, v[24:25], off
	s_waitcnt vmcnt(0)
	v_cmp_eq_u16_e64 s[2:3], v18, v20
	s_and_saveexec_b64 s[14:15], s[2:3]
	s_cbranch_execz .LBB1467_199
; %bb.193:
	v_mov_b32_e32 v18, s29
	v_addc_co_u32_e64 v19, s[0:1], v19, v18, s[0:1]
	v_add_co_u32_e64 v18, s[0:1], 2, v24
	v_mov_b32_e32 v20, s29
	v_addc_co_u32_e64 v19, s[0:1], 0, v19, s[0:1]
	v_addc_co_u32_e32 v21, vcc, v21, v20, vcc
	v_add_co_u32_e32 v20, vcc, 2, v22
	s_add_u32 s0, s26, -1
	v_addc_co_u32_e32 v21, vcc, 0, v21, vcc
	s_addc_u32 s1, s27, -1
	s_mov_b64 s[2:3], 0
	s_mov_b64 s[36:37], 0
                                        ; implicit-def: $sgpr28_sgpr29
	s_branch .LBB1467_196
.LBB1467_194:                           ;   in Loop: Header=BB1467_196 Depth=1
	global_load_ushort v22, v[20:21], off
	global_load_ushort v23, v[18:19], off
	v_add_co_u32_e32 v18, vcc, 2, v18
	v_addc_co_u32_e32 v19, vcc, 0, v19, vcc
	v_add_co_u32_e32 v20, vcc, 2, v20
	v_addc_co_u32_e32 v21, vcc, 0, v21, vcc
	s_add_u32 s36, s36, 1
	s_addc_u32 s37, s37, 0
	s_andn2_b64 s[28:29], s[28:29], exec
	s_waitcnt vmcnt(0)
	v_cmp_ne_u16_e32 vcc, v22, v23
	s_and_b64 s[38:39], vcc, exec
	s_or_b64 s[28:29], s[28:29], s[38:39]
.LBB1467_195:                           ;   in Loop: Header=BB1467_196 Depth=1
	s_and_b64 s[38:39], exec, s[28:29]
	s_or_b64 s[2:3], s[38:39], s[2:3]
	v_pk_mov_b32 v[22:23], s[36:37], s[36:37] op_sel:[0,1]
	s_andn2_b64 exec, exec, s[2:3]
	s_cbranch_execz .LBB1467_198
.LBB1467_196:                           ; =>This Inner Loop Header: Depth=1
	s_or_b64 s[28:29], s[28:29], exec
	s_cmp_eq_u64 s[0:1], s[36:37]
	s_cbranch_scc0 .LBB1467_194
; %bb.197:                              ;   in Loop: Header=BB1467_196 Depth=1
                                        ; implicit-def: $vgpr18_vgpr19
                                        ; implicit-def: $vgpr20_vgpr21
	s_mov_b64 s[36:37], s[26:27]
	s_branch .LBB1467_195
.LBB1467_198:
	s_or_b64 exec, exec, s[2:3]
	v_cmp_gt_i64_e32 vcc, s[26:27], v[22:23]
	s_orn2_b64 s[36:37], vcc, exec
.LBB1467_199:
	s_or_b64 exec, exec, s[14:15]
.LBB1467_200:
	s_and_b64 s[0:1], s[36:37], exec
.LBB1467_201:
	s_or_b64 exec, exec, s[18:19]
	s_and_b64 s[18:19], s[0:1], exec
	s_or_b64 s[12:13], s[12:13], exec
.LBB1467_202:
	s_or_b64 exec, exec, s[8:9]
.LBB1467_203:
	s_and_saveexec_b64 s[0:1], s[12:13]
; %bb.204:
	v_and_b32_e32 v18, 0xffffff00, v28
	v_cndmask_b32_e64 v19, 0, 1, s[18:19]
	v_or_b32_e32 v18, v19, v18
	v_and_b32_e32 v18, 0xffff, v18
	s_mov_b32 s2, 0xffff0000
	v_and_or_b32 v28, v28, s2, v18
; %bb.205:
	s_or_b64 exec, exec, s[0:1]
	s_andn2_b64 vcc, exec, s[10:11]
	s_cbranch_vccnz .LBB1467_207
; %bb.206:
	v_cmp_gt_u32_e32 vcc, s7, v1
	v_cndmask_b32_e32 v18, 0, v28, vcc
	v_or_b32_e32 v19, 1, v1
	v_and_b32_e32 v18, 0xff, v18
	v_cmp_gt_u32_e32 vcc, s7, v19
	v_cndmask_b32_e32 v18, v18, v28, vcc
	v_or_b32_e32 v19, 2, v1
	v_and_b32_e32 v18, 0xffff, v18
	v_cmp_gt_u32_e32 vcc, s7, v19
	v_cndmask_b32_e32 v18, v18, v28, vcc
	v_or_b32_e32 v19, 3, v1
	v_and_b32_e32 v18, 0xffffff, v18
	v_cmp_gt_u32_e32 vcc, s7, v19
	v_cndmask_b32_e32 v28, v18, v28, vcc
.LBB1467_207:
	v_bfe_u32 v30, v28, 16, 8
	v_lshrrev_b32_e32 v29, 24, v28
	v_add_u32_sdwa v18, v28, v28 dst_sel:DWORD dst_unused:UNUSED_PAD src0_sel:BYTE_1 src1_sel:BYTE_0
	v_add3_u32 v33, v18, v30, v29
	v_mbcnt_lo_u32_b32 v18, -1, 0
	v_mbcnt_hi_u32_b32 v31, -1, v18
	v_and_b32_e32 v18, 15, v31
	v_cmp_eq_u32_e64 s[14:15], 0, v18
	v_cmp_lt_u32_e64 s[12:13], 1, v18
	v_cmp_lt_u32_e64 s[10:11], 3, v18
	;; [unrolled: 1-line block ×3, first 2 shown]
	v_and_b32_e32 v18, 16, v31
	v_cmp_eq_u32_e64 s[18:19], 0, v18
	v_or_b32_e32 v18, 63, v0
	v_cmp_lt_u32_e64 s[0:1], 31, v31
	v_lshrrev_b32_e32 v32, 6, v0
	v_cmp_eq_u32_e64 s[2:3], v18, v0
	s_and_b64 vcc, exec, s[16:17]
	s_waitcnt lgkmcnt(0)
	s_barrier
	s_cbranch_vccz .LBB1467_238
; %bb.208:
	v_mov_b32_dpp v18, v33 row_shr:1 row_mask:0xf bank_mask:0xf
	v_cndmask_b32_e64 v18, v18, 0, s[14:15]
	v_add_u32_e32 v18, v18, v33
	s_nop 1
	v_mov_b32_dpp v19, v18 row_shr:2 row_mask:0xf bank_mask:0xf
	v_cndmask_b32_e64 v19, 0, v19, s[12:13]
	v_add_u32_e32 v18, v18, v19
	s_nop 1
	;; [unrolled: 4-line block ×4, first 2 shown]
	v_mov_b32_dpp v19, v18 row_bcast:15 row_mask:0xf bank_mask:0xf
	v_cndmask_b32_e64 v19, v19, 0, s[18:19]
	v_add_u32_e32 v18, v18, v19
	s_nop 1
	v_mov_b32_dpp v19, v18 row_bcast:31 row_mask:0xf bank_mask:0xf
	v_cndmask_b32_e64 v19, 0, v19, s[0:1]
	v_add_u32_e32 v18, v18, v19
	s_and_saveexec_b64 s[16:17], s[2:3]
	s_cbranch_execz .LBB1467_210
; %bb.209:
	v_lshlrev_b32_e32 v19, 2, v32
	ds_write_b32 v19, v18
.LBB1467_210:
	s_or_b64 exec, exec, s[16:17]
	v_cmp_gt_u32_e32 vcc, 2, v0
	s_waitcnt lgkmcnt(0)
	s_barrier
	s_and_saveexec_b64 s[16:17], vcc
	s_cbranch_execz .LBB1467_212
; %bb.211:
	ds_read_b32 v19, v1
	v_bfe_i32 v20, v31, 0, 1
	s_waitcnt lgkmcnt(0)
	v_mov_b32_dpp v21, v19 row_shr:1 row_mask:0xf bank_mask:0xf
	v_and_b32_e32 v20, v20, v21
	v_add_u32_e32 v19, v20, v19
	ds_write_b32 v1, v19
.LBB1467_212:
	s_or_b64 exec, exec, s[16:17]
	v_cmp_gt_u32_e32 vcc, 64, v0
	v_cmp_lt_u32_e64 s[16:17], 63, v0
	s_waitcnt lgkmcnt(0)
	s_barrier
	s_waitcnt lgkmcnt(0)
                                        ; implicit-def: $vgpr34
	s_and_saveexec_b64 s[26:27], s[16:17]
	s_cbranch_execz .LBB1467_214
; %bb.213:
	v_lshl_add_u32 v19, v32, 2, -4
	ds_read_b32 v34, v19
	s_waitcnt lgkmcnt(0)
	v_add_u32_e32 v18, v34, v18
.LBB1467_214:
	s_or_b64 exec, exec, s[26:27]
	v_add_u32_e32 v19, -1, v31
	v_and_b32_e32 v20, 64, v31
	v_cmp_lt_i32_e64 s[16:17], v19, v20
	v_cndmask_b32_e64 v19, v19, v31, s[16:17]
	v_lshlrev_b32_e32 v19, 2, v19
	ds_bpermute_b32 v35, v19, v18
	v_cmp_eq_u32_e64 s[16:17], 0, v31
	s_and_saveexec_b64 s[26:27], vcc
	s_cbranch_execz .LBB1467_237
; %bb.215:
	v_mov_b32_e32 v27, 0
	ds_read_b32 v18, v27 offset:4
	s_and_saveexec_b64 s[28:29], s[16:17]
	s_cbranch_execz .LBB1467_217
; %bb.216:
	s_add_i32 s36, s6, 64
	s_mov_b32 s37, 0
	s_lshl_b64 s[36:37], s[36:37], 3
	s_add_u32 s36, s30, s36
	v_mov_b32_e32 v19, 1
	s_addc_u32 s37, s31, s37
	s_waitcnt lgkmcnt(0)
	global_store_dwordx2 v27, v[18:19], s[36:37]
.LBB1467_217:
	s_or_b64 exec, exec, s[28:29]
	v_xad_u32 v20, v31, -1, s6
	v_add_u32_e32 v26, 64, v20
	v_lshlrev_b64 v[22:23], 3, v[26:27]
	v_mov_b32_e32 v19, s31
	v_add_co_u32_e32 v22, vcc, s30, v22
	v_addc_co_u32_e32 v23, vcc, v19, v23, vcc
	global_load_dwordx2 v[24:25], v[22:23], off glc
	s_waitcnt vmcnt(0)
	v_cmp_eq_u16_sdwa s[36:37], v25, v27 src0_sel:BYTE_0 src1_sel:DWORD
	s_and_saveexec_b64 s[28:29], s[36:37]
	s_cbranch_execz .LBB1467_223
; %bb.218:
	s_mov_b32 s7, 1
	s_mov_b64 s[36:37], 0
	v_mov_b32_e32 v19, 0
.LBB1467_219:                           ; =>This Loop Header: Depth=1
                                        ;     Child Loop BB1467_220 Depth 2
	s_max_u32 s33, s7, 1
.LBB1467_220:                           ;   Parent Loop BB1467_219 Depth=1
                                        ; =>  This Inner Loop Header: Depth=2
	s_add_i32 s33, s33, -1
	s_cmp_eq_u32 s33, 0
	s_sleep 1
	s_cbranch_scc0 .LBB1467_220
; %bb.221:                              ;   in Loop: Header=BB1467_219 Depth=1
	global_load_dwordx2 v[24:25], v[22:23], off glc
	s_cmp_lt_u32 s7, 32
	s_cselect_b64 s[38:39], -1, 0
	s_cmp_lg_u64 s[38:39], 0
	s_addc_u32 s7, s7, 0
	s_waitcnt vmcnt(0)
	v_cmp_ne_u16_sdwa s[38:39], v25, v19 src0_sel:BYTE_0 src1_sel:DWORD
	s_or_b64 s[36:37], s[38:39], s[36:37]
	s_andn2_b64 exec, exec, s[36:37]
	s_cbranch_execnz .LBB1467_219
; %bb.222:
	s_or_b64 exec, exec, s[36:37]
.LBB1467_223:
	s_or_b64 exec, exec, s[28:29]
	v_and_b32_e32 v36, 63, v31
	v_mov_b32_e32 v19, 2
	v_cmp_ne_u32_e32 vcc, 63, v36
	v_cmp_eq_u16_sdwa s[28:29], v25, v19 src0_sel:BYTE_0 src1_sel:DWORD
	v_lshlrev_b64 v[22:23], v31, -1
	v_addc_co_u32_e32 v27, vcc, 0, v31, vcc
	v_and_b32_e32 v21, s29, v23
	v_lshlrev_b32_e32 v37, 2, v27
	v_or_b32_e32 v21, 0x80000000, v21
	ds_bpermute_b32 v27, v37, v24
	v_and_b32_e32 v26, s28, v22
	v_ffbl_b32_e32 v21, v21
	v_add_u32_e32 v21, 32, v21
	v_ffbl_b32_e32 v26, v26
	v_min_u32_e32 v21, v26, v21
	v_cmp_lt_u32_e32 vcc, v36, v21
	s_waitcnt lgkmcnt(0)
	v_cndmask_b32_e32 v26, 0, v27, vcc
	v_cmp_gt_u32_e32 vcc, 62, v36
	v_add_u32_e32 v24, v26, v24
	v_cndmask_b32_e64 v26, 0, 1, vcc
	v_lshlrev_b32_e32 v26, 1, v26
	v_add_lshl_u32 v38, v26, v31, 2
	ds_bpermute_b32 v26, v38, v24
	v_add_u32_e32 v39, 2, v36
	v_cmp_le_u32_e32 vcc, v39, v21
	v_add_u32_e32 v41, 4, v36
	v_add_u32_e32 v43, 8, v36
	s_waitcnt lgkmcnt(0)
	v_cndmask_b32_e32 v26, 0, v26, vcc
	v_cmp_gt_u32_e32 vcc, 60, v36
	v_add_u32_e32 v24, v24, v26
	v_cndmask_b32_e64 v26, 0, 1, vcc
	v_lshlrev_b32_e32 v26, 2, v26
	v_add_lshl_u32 v40, v26, v31, 2
	ds_bpermute_b32 v26, v40, v24
	v_cmp_le_u32_e32 vcc, v41, v21
	v_add_u32_e32 v46, 16, v36
	v_add_u32_e32 v48, 32, v36
	s_waitcnt lgkmcnt(0)
	v_cndmask_b32_e32 v26, 0, v26, vcc
	v_cmp_gt_u32_e32 vcc, 56, v36
	v_add_u32_e32 v24, v24, v26
	v_cndmask_b32_e64 v26, 0, 1, vcc
	v_lshlrev_b32_e32 v26, 3, v26
	v_add_lshl_u32 v42, v26, v31, 2
	ds_bpermute_b32 v26, v42, v24
	v_cmp_le_u32_e32 vcc, v43, v21
	s_waitcnt lgkmcnt(0)
	v_cndmask_b32_e32 v26, 0, v26, vcc
	v_cmp_gt_u32_e32 vcc, 48, v36
	v_add_u32_e32 v24, v24, v26
	v_cndmask_b32_e64 v26, 0, 1, vcc
	v_lshlrev_b32_e32 v26, 4, v26
	v_add_lshl_u32 v45, v26, v31, 2
	ds_bpermute_b32 v26, v45, v24
	v_cmp_le_u32_e32 vcc, v46, v21
	s_waitcnt lgkmcnt(0)
	v_cndmask_b32_e32 v26, 0, v26, vcc
	v_cmp_gt_u32_e32 vcc, 32, v36
	v_add_u32_e32 v24, v24, v26
	v_cndmask_b32_e64 v26, 0, 1, vcc
	v_lshlrev_b32_e32 v26, 5, v26
	v_add_lshl_u32 v47, v26, v31, 2
	ds_bpermute_b32 v26, v47, v24
	v_cmp_le_u32_e32 vcc, v48, v21
	s_waitcnt lgkmcnt(0)
	v_cndmask_b32_e32 v21, 0, v26, vcc
	v_add_u32_e32 v24, v24, v21
	v_mov_b32_e32 v21, 0
	s_branch .LBB1467_225
.LBB1467_224:                           ;   in Loop: Header=BB1467_225 Depth=1
	s_or_b64 exec, exec, s[28:29]
	v_cmp_eq_u16_sdwa s[28:29], v25, v19 src0_sel:BYTE_0 src1_sel:DWORD
	v_and_b32_e32 v26, s29, v23
	v_or_b32_e32 v26, 0x80000000, v26
	ds_bpermute_b32 v49, v37, v24
	v_and_b32_e32 v27, s28, v22
	v_ffbl_b32_e32 v26, v26
	v_add_u32_e32 v26, 32, v26
	v_ffbl_b32_e32 v27, v27
	v_min_u32_e32 v26, v27, v26
	v_cmp_lt_u32_e32 vcc, v36, v26
	s_waitcnt lgkmcnt(0)
	v_cndmask_b32_e32 v27, 0, v49, vcc
	v_add_u32_e32 v24, v27, v24
	ds_bpermute_b32 v27, v38, v24
	v_cmp_le_u32_e32 vcc, v39, v26
	v_subrev_u32_e32 v20, 64, v20
	s_waitcnt lgkmcnt(0)
	v_cndmask_b32_e32 v27, 0, v27, vcc
	v_add_u32_e32 v24, v24, v27
	ds_bpermute_b32 v27, v40, v24
	v_cmp_le_u32_e32 vcc, v41, v26
	s_waitcnt lgkmcnt(0)
	v_cndmask_b32_e32 v27, 0, v27, vcc
	v_add_u32_e32 v24, v24, v27
	ds_bpermute_b32 v27, v42, v24
	v_cmp_le_u32_e32 vcc, v43, v26
	;; [unrolled: 5-line block ×4, first 2 shown]
	s_waitcnt lgkmcnt(0)
	v_cndmask_b32_e32 v26, 0, v27, vcc
	v_add3_u32 v24, v26, v44, v24
.LBB1467_225:                           ; =>This Loop Header: Depth=1
                                        ;     Child Loop BB1467_228 Depth 2
                                        ;       Child Loop BB1467_229 Depth 3
	v_cmp_ne_u16_sdwa s[28:29], v25, v19 src0_sel:BYTE_0 src1_sel:DWORD
	v_cndmask_b32_e64 v25, 0, 1, s[28:29]
	;;#ASMSTART
	;;#ASMEND
	v_cmp_ne_u32_e32 vcc, 0, v25
	s_cmp_lg_u64 vcc, exec
	v_mov_b32_e32 v44, v24
	s_cbranch_scc1 .LBB1467_232
; %bb.226:                              ;   in Loop: Header=BB1467_225 Depth=1
	v_lshlrev_b64 v[24:25], 3, v[20:21]
	v_mov_b32_e32 v27, s31
	v_add_co_u32_e32 v26, vcc, s30, v24
	v_addc_co_u32_e32 v27, vcc, v27, v25, vcc
	global_load_dwordx2 v[24:25], v[26:27], off glc
	s_waitcnt vmcnt(0)
	v_cmp_eq_u16_sdwa s[36:37], v25, v21 src0_sel:BYTE_0 src1_sel:DWORD
	s_and_saveexec_b64 s[28:29], s[36:37]
	s_cbranch_execz .LBB1467_224
; %bb.227:                              ;   in Loop: Header=BB1467_225 Depth=1
	s_mov_b32 s7, 1
	s_mov_b64 s[36:37], 0
.LBB1467_228:                           ;   Parent Loop BB1467_225 Depth=1
                                        ; =>  This Loop Header: Depth=2
                                        ;       Child Loop BB1467_229 Depth 3
	s_max_u32 s33, s7, 1
.LBB1467_229:                           ;   Parent Loop BB1467_225 Depth=1
                                        ;     Parent Loop BB1467_228 Depth=2
                                        ; =>    This Inner Loop Header: Depth=3
	s_add_i32 s33, s33, -1
	s_cmp_eq_u32 s33, 0
	s_sleep 1
	s_cbranch_scc0 .LBB1467_229
; %bb.230:                              ;   in Loop: Header=BB1467_228 Depth=2
	global_load_dwordx2 v[24:25], v[26:27], off glc
	s_cmp_lt_u32 s7, 32
	s_cselect_b64 s[38:39], -1, 0
	s_cmp_lg_u64 s[38:39], 0
	s_addc_u32 s7, s7, 0
	s_waitcnt vmcnt(0)
	v_cmp_ne_u16_sdwa s[38:39], v25, v21 src0_sel:BYTE_0 src1_sel:DWORD
	s_or_b64 s[36:37], s[38:39], s[36:37]
	s_andn2_b64 exec, exec, s[36:37]
	s_cbranch_execnz .LBB1467_228
; %bb.231:                              ;   in Loop: Header=BB1467_225 Depth=1
	s_or_b64 exec, exec, s[36:37]
	s_branch .LBB1467_224
.LBB1467_232:                           ;   in Loop: Header=BB1467_225 Depth=1
                                        ; implicit-def: $vgpr24
                                        ; implicit-def: $vgpr25
	s_cbranch_execz .LBB1467_225
; %bb.233:
	s_and_saveexec_b64 s[28:29], s[16:17]
	s_cbranch_execz .LBB1467_235
; %bb.234:
	s_add_i32 s6, s6, 64
	s_mov_b32 s7, 0
	s_lshl_b64 s[6:7], s[6:7], 3
	s_add_u32 s6, s30, s6
	v_add_u32_e32 v20, v44, v18
	v_mov_b32_e32 v21, 2
	s_addc_u32 s7, s31, s7
	v_mov_b32_e32 v19, 0
	global_store_dwordx2 v19, v[20:21], s[6:7]
	s_movk_i32 s6, 0x1000
	v_add_u32_e64 v19, s6, 0
	ds_write2_b32 v19, v18, v44 offset0:32 offset1:34
.LBB1467_235:
	s_or_b64 exec, exec, s[28:29]
	v_cmp_eq_u32_e32 vcc, 0, v0
	s_and_b64 exec, exec, vcc
	s_cbranch_execz .LBB1467_237
; %bb.236:
	v_mov_b32_e32 v18, 0
	ds_write_b32 v18, v44 offset:4
.LBB1467_237:
	s_or_b64 exec, exec, s[26:27]
	v_mov_b32_e32 v19, 0
	s_waitcnt lgkmcnt(0)
	s_barrier
	ds_read_b32 v19, v19 offset:4
	s_movk_i32 s6, 0x1000
	v_add_u32_e64 v20, s6, 0
	v_cndmask_b32_e64 v18, v35, v34, s[16:17]
	v_cmp_ne_u32_e32 vcc, 0, v0
	s_waitcnt lgkmcnt(0)
	s_barrier
	ds_read2_b32 v[26:27], v20 offset0:32 offset1:34
	v_cndmask_b32_e32 v18, 0, v18, vcc
	v_add_u32_e32 v24, v19, v18
	v_add_u32_sdwa v22, v24, v28 dst_sel:DWORD dst_unused:UNUSED_PAD src0_sel:DWORD src1_sel:BYTE_0
	v_add_u32_sdwa v20, v22, v28 dst_sel:DWORD dst_unused:UNUSED_PAD src0_sel:DWORD src1_sel:BYTE_1
	v_add_u32_e32 v18, v20, v30
	s_waitcnt lgkmcnt(0)
	v_readfirstlane_b32 s26, v26
	v_readfirstlane_b32 s16, v27
	s_branch .LBB1467_248
.LBB1467_238:
                                        ; implicit-def: $vgpr18
                                        ; implicit-def: $vgpr20
                                        ; implicit-def: $vgpr22
                                        ; implicit-def: $vgpr24
                                        ; implicit-def: $sgpr16
                                        ; implicit-def: $sgpr26
	s_cbranch_execz .LBB1467_248
; %bb.239:
	s_nop 0
	v_mov_b32_dpp v18, v33 row_shr:1 row_mask:0xf bank_mask:0xf
	v_cndmask_b32_e64 v18, v18, 0, s[14:15]
	v_add_u32_e32 v18, v18, v33
	s_nop 1
	v_mov_b32_dpp v19, v18 row_shr:2 row_mask:0xf bank_mask:0xf
	v_cndmask_b32_e64 v19, 0, v19, s[12:13]
	v_add_u32_e32 v18, v18, v19
	s_nop 1
	v_mov_b32_dpp v19, v18 row_shr:4 row_mask:0xf bank_mask:0xf
	v_cndmask_b32_e64 v19, 0, v19, s[10:11]
	v_add_u32_e32 v18, v18, v19
	s_nop 1
	v_mov_b32_dpp v19, v18 row_shr:8 row_mask:0xf bank_mask:0xf
	v_cndmask_b32_e64 v19, 0, v19, s[8:9]
	v_add_u32_e32 v18, v18, v19
	s_nop 1
	v_mov_b32_dpp v19, v18 row_bcast:15 row_mask:0xf bank_mask:0xf
	v_cndmask_b32_e64 v19, v19, 0, s[18:19]
	v_add_u32_e32 v18, v18, v19
	s_nop 1
	v_mov_b32_dpp v19, v18 row_bcast:31 row_mask:0xf bank_mask:0xf
	v_cndmask_b32_e64 v19, 0, v19, s[0:1]
	v_add_u32_e32 v18, v18, v19
	s_and_saveexec_b64 s[0:1], s[2:3]
	s_cbranch_execz .LBB1467_241
; %bb.240:
	v_lshlrev_b32_e32 v19, 2, v32
	ds_write_b32 v19, v18
.LBB1467_241:
	s_or_b64 exec, exec, s[0:1]
	v_cmp_gt_u32_e32 vcc, 2, v0
	s_waitcnt lgkmcnt(0)
	s_barrier
	s_and_saveexec_b64 s[0:1], vcc
	s_cbranch_execz .LBB1467_243
; %bb.242:
	ds_read_b32 v19, v1
	v_bfe_i32 v20, v31, 0, 1
	s_waitcnt lgkmcnt(0)
	v_mov_b32_dpp v21, v19 row_shr:1 row_mask:0xf bank_mask:0xf
	v_and_b32_e32 v20, v20, v21
	v_add_u32_e32 v19, v20, v19
	ds_write_b32 v1, v19
.LBB1467_243:
	s_or_b64 exec, exec, s[0:1]
	v_cmp_lt_u32_e32 vcc, 63, v0
	v_mov_b32_e32 v19, 0
	v_mov_b32_e32 v1, 0
	s_waitcnt lgkmcnt(0)
	s_barrier
	s_and_saveexec_b64 s[0:1], vcc
	s_cbranch_execz .LBB1467_245
; %bb.244:
	v_lshl_add_u32 v1, v32, 2, -4
	ds_read_b32 v1, v1
.LBB1467_245:
	s_or_b64 exec, exec, s[0:1]
	v_add_u32_e32 v20, -1, v31
	v_and_b32_e32 v21, 64, v31
	v_cmp_lt_i32_e32 vcc, v20, v21
	v_cndmask_b32_e32 v20, v20, v31, vcc
	s_waitcnt lgkmcnt(0)
	v_add_u32_e32 v18, v1, v18
	v_lshlrev_b32_e32 v20, 2, v20
	ds_read_b32 v19, v19 offset:4
	ds_bpermute_b32 v18, v20, v18
	s_mov_b32 s16, 0
	v_cmp_eq_u32_e32 vcc, 0, v0
	s_waitcnt lgkmcnt(1)
	v_readfirstlane_b32 s26, v19
	s_and_saveexec_b64 s[0:1], vcc
	s_cbranch_execz .LBB1467_247
; %bb.246:
	v_mov_b32_e32 v19, 0
	v_mov_b32_e32 v20, s26
	v_mov_b32_e32 v21, 2
	global_store_dwordx2 v19, v[20:21], s[30:31] offset:512
.LBB1467_247:
	s_or_b64 exec, exec, s[0:1]
	v_cmp_eq_u32_e64 s[0:1], 0, v31
	s_waitcnt lgkmcnt(0)
	v_cndmask_b32_e64 v1, v18, v1, s[0:1]
	v_cndmask_b32_e64 v24, v1, 0, vcc
	v_add_u32_sdwa v22, v24, v28 dst_sel:DWORD dst_unused:UNUSED_PAD src0_sel:DWORD src1_sel:BYTE_0
	v_add_u32_sdwa v20, v22, v28 dst_sel:DWORD dst_unused:UNUSED_PAD src0_sel:DWORD src1_sel:BYTE_1
	v_add_u32_e32 v18, v20, v30
	s_barrier
.LBB1467_248:
	s_load_dwordx4 s[4:7], s[4:5], 0x28
	s_cmpk_lt_u32 s26, 0x81
	s_cselect_b64 s[2:3], -1, 0
	v_lshrrev_b32_e32 v1, 8, v28
	s_mov_b64 s[0:1], -1
	s_and_b64 vcc, exec, s[2:3]
	s_cbranch_vccz .LBB1467_262
; %bb.249:
	s_add_i32 s8, s16, s26
	v_cmp_gt_u32_e32 vcc, s8, v24
	s_or_b64 s[10:11], s[34:35], vcc
	s_and_saveexec_b64 s[0:1], s[10:11]
	s_cbranch_execz .LBB1467_252
; %bb.250:
	v_and_b32_e32 v19, 1, v28
	v_cmp_eq_u32_e32 vcc, 1, v19
	s_and_b64 exec, exec, vcc
	s_cbranch_execz .LBB1467_252
; %bb.251:
	s_lshl_b64 s[10:11], s[22:23], 3
	s_waitcnt lgkmcnt(0)
	s_add_u32 s9, s4, s10
	v_mov_b32_e32 v25, 0
	s_addc_u32 s10, s5, s11
	v_lshlrev_b64 v[26:27], 3, v[24:25]
	v_mov_b32_e32 v19, s10
	v_add_co_u32_e32 v26, vcc, s9, v26
	v_addc_co_u32_e32 v27, vcc, v19, v27, vcc
	global_store_dwordx2 v[26:27], v[14:15], off
.LBB1467_252:
	s_or_b64 exec, exec, s[0:1]
	v_cmp_gt_u32_e32 vcc, s8, v22
	s_or_b64 s[10:11], s[34:35], vcc
	s_and_saveexec_b64 s[0:1], s[10:11]
	s_cbranch_execz .LBB1467_255
; %bb.253:
	v_and_b32_e32 v19, 1, v1
	v_cmp_eq_u32_e32 vcc, 1, v19
	s_and_b64 exec, exec, vcc
	s_cbranch_execz .LBB1467_255
; %bb.254:
	s_lshl_b64 s[10:11], s[22:23], 3
	s_waitcnt lgkmcnt(0)
	s_add_u32 s9, s4, s10
	v_mov_b32_e32 v23, 0
	s_addc_u32 s10, s5, s11
	v_lshlrev_b64 v[26:27], 3, v[22:23]
	v_mov_b32_e32 v19, s10
	v_add_co_u32_e32 v26, vcc, s9, v26
	v_addc_co_u32_e32 v27, vcc, v19, v27, vcc
	global_store_dwordx2 v[26:27], v[16:17], off
.LBB1467_255:
	s_or_b64 exec, exec, s[0:1]
	v_cmp_gt_u32_e32 vcc, s8, v20
	s_or_b64 s[10:11], s[34:35], vcc
	s_and_saveexec_b64 s[0:1], s[10:11]
	s_cbranch_execz .LBB1467_258
; %bb.256:
	v_mov_b32_e32 v19, 1
	v_and_b32_sdwa v19, v19, v28 dst_sel:DWORD dst_unused:UNUSED_PAD src0_sel:DWORD src1_sel:WORD_1
	v_cmp_eq_u32_e32 vcc, 1, v19
	s_and_b64 exec, exec, vcc
	s_cbranch_execz .LBB1467_258
; %bb.257:
	s_lshl_b64 s[10:11], s[22:23], 3
	s_waitcnt lgkmcnt(0)
	s_add_u32 s9, s4, s10
	v_mov_b32_e32 v21, 0
	s_addc_u32 s10, s5, s11
	v_lshlrev_b64 v[26:27], 3, v[20:21]
	v_mov_b32_e32 v19, s10
	v_add_co_u32_e32 v26, vcc, s9, v26
	v_addc_co_u32_e32 v27, vcc, v19, v27, vcc
	global_store_dwordx2 v[26:27], v[10:11], off
.LBB1467_258:
	s_or_b64 exec, exec, s[0:1]
	v_cmp_gt_u32_e32 vcc, s8, v18
	s_or_b64 s[8:9], s[34:35], vcc
	s_and_saveexec_b64 s[0:1], s[8:9]
	s_cbranch_execz .LBB1467_261
; %bb.259:
	v_and_b32_e32 v19, 1, v29
	v_cmp_eq_u32_e32 vcc, 1, v19
	s_and_b64 exec, exec, vcc
	s_cbranch_execz .LBB1467_261
; %bb.260:
	s_lshl_b64 s[8:9], s[22:23], 3
	s_waitcnt lgkmcnt(0)
	s_add_u32 s8, s4, s8
	v_mov_b32_e32 v19, 0
	s_addc_u32 s9, s5, s9
	v_lshlrev_b64 v[26:27], 3, v[18:19]
	v_mov_b32_e32 v19, s9
	v_add_co_u32_e32 v26, vcc, s8, v26
	v_addc_co_u32_e32 v27, vcc, v19, v27, vcc
	global_store_dwordx2 v[26:27], v[12:13], off
.LBB1467_261:
	s_or_b64 exec, exec, s[0:1]
	s_mov_b64 s[0:1], 0
.LBB1467_262:
	v_and_b32_e32 v26, 1, v28
	s_and_b64 vcc, exec, s[0:1]
	v_cmp_eq_u32_e64 s[0:1], 1, v26
	s_cbranch_vccz .LBB1467_275
; %bb.263:
	s_and_saveexec_b64 s[8:9], s[0:1]
	s_cbranch_execz .LBB1467_265
; %bb.264:
	v_subrev_u32_e32 v19, s16, v24
	v_lshlrev_b32_e32 v19, 3, v19
	ds_write_b64 v19, v[14:15]
.LBB1467_265:
	s_or_b64 exec, exec, s[8:9]
	v_and_b32_e32 v14, 1, v1
	v_cmp_eq_u32_e32 vcc, 1, v14
	s_and_saveexec_b64 s[0:1], vcc
	s_cbranch_execz .LBB1467_267
; %bb.266:
	v_subrev_u32_e32 v14, s16, v22
	v_lshlrev_b32_e32 v14, 3, v14
	ds_write_b64 v14, v[16:17]
.LBB1467_267:
	s_or_b64 exec, exec, s[0:1]
	v_mov_b32_e32 v14, 1
	v_and_b32_sdwa v14, v14, v28 dst_sel:DWORD dst_unused:UNUSED_PAD src0_sel:DWORD src1_sel:WORD_1
	v_cmp_eq_u32_e32 vcc, 1, v14
	s_and_saveexec_b64 s[0:1], vcc
	s_cbranch_execz .LBB1467_269
; %bb.268:
	v_subrev_u32_e32 v14, s16, v20
	v_lshlrev_b32_e32 v14, 3, v14
	ds_write_b64 v14, v[10:11]
.LBB1467_269:
	s_or_b64 exec, exec, s[0:1]
	v_and_b32_e32 v10, 1, v29
	v_cmp_eq_u32_e32 vcc, 1, v10
	s_and_saveexec_b64 s[0:1], vcc
	s_cbranch_execz .LBB1467_271
; %bb.270:
	v_subrev_u32_e32 v10, s16, v18
	v_lshlrev_b32_e32 v10, 3, v10
	ds_write_b64 v10, v[12:13]
.LBB1467_271:
	s_or_b64 exec, exec, s[0:1]
	v_cmp_gt_u32_e32 vcc, s26, v0
	s_waitcnt lgkmcnt(0)
	s_barrier
	s_and_saveexec_b64 s[0:1], vcc
	s_cbranch_execz .LBB1467_274
; %bb.272:
	s_mov_b32 s17, 0
	s_lshl_b64 s[8:9], s[16:17], 3
	s_add_u32 s8, s4, s8
	s_addc_u32 s9, s5, s9
	s_lshl_b64 s[4:5], s[22:23], 3
	s_add_u32 s8, s8, s4
	s_addc_u32 s9, s9, s5
	v_lshlrev_b32_e32 v12, 3, v0
	s_mov_b64 s[4:5], 0
	v_mov_b32_e32 v11, 0
	v_mov_b32_e32 v13, s9
	;; [unrolled: 1-line block ×3, first 2 shown]
.LBB1467_273:                           ; =>This Inner Loop Header: Depth=1
	ds_read_b64 v[14:15], v12
	v_lshlrev_b64 v[16:17], 3, v[10:11]
	v_add_co_u32_e32 v16, vcc, s8, v16
	v_add_u32_e32 v10, 0x80, v10
	v_addc_co_u32_e32 v17, vcc, v13, v17, vcc
	v_cmp_le_u32_e32 vcc, s26, v10
	v_add_u32_e32 v12, 0x400, v12
	s_or_b64 s[4:5], vcc, s[4:5]
	s_waitcnt lgkmcnt(0)
	global_store_dwordx2 v[16:17], v[14:15], off
	s_andn2_b64 exec, exec, s[4:5]
	s_cbranch_execnz .LBB1467_273
.LBB1467_274:
	s_or_b64 exec, exec, s[0:1]
.LBB1467_275:
	s_mov_b64 s[0:1], -1
	s_and_b64 vcc, exec, s[2:3]
	s_waitcnt lgkmcnt(0)
	s_barrier
	s_cbranch_vccnz .LBB1467_279
; %bb.276:
	s_and_b64 vcc, exec, s[0:1]
	s_cbranch_vccnz .LBB1467_292
.LBB1467_277:
	v_cmp_eq_u32_e32 vcc, 0, v0
	s_and_b64 s[0:1], vcc, s[24:25]
	s_and_saveexec_b64 s[2:3], s[0:1]
	s_cbranch_execnz .LBB1467_304
.LBB1467_278:
	s_endpgm
.LBB1467_279:
	s_add_i32 s2, s16, s26
	v_cmp_gt_u32_e32 vcc, s2, v24
	s_or_b64 s[4:5], s[34:35], vcc
	s_and_saveexec_b64 s[0:1], s[4:5]
	s_cbranch_execz .LBB1467_282
; %bb.280:
	v_cmp_eq_u32_e32 vcc, 1, v26
	s_and_b64 exec, exec, vcc
	s_cbranch_execz .LBB1467_282
; %bb.281:
	s_lshl_b64 s[4:5], s[22:23], 3
	s_add_u32 s3, s6, s4
	v_mov_b32_e32 v25, 0
	s_addc_u32 s4, s7, s5
	v_lshlrev_b64 v[10:11], 3, v[24:25]
	v_mov_b32_e32 v12, s4
	v_add_co_u32_e32 v10, vcc, s3, v10
	v_addc_co_u32_e32 v11, vcc, v12, v11, vcc
	global_store_dwordx2 v[10:11], v[6:7], off
.LBB1467_282:
	s_or_b64 exec, exec, s[0:1]
	v_cmp_gt_u32_e32 vcc, s2, v22
	s_or_b64 s[4:5], s[34:35], vcc
	s_and_saveexec_b64 s[0:1], s[4:5]
	s_cbranch_execz .LBB1467_285
; %bb.283:
	v_and_b32_e32 v10, 1, v1
	v_cmp_eq_u32_e32 vcc, 1, v10
	s_and_b64 exec, exec, vcc
	s_cbranch_execz .LBB1467_285
; %bb.284:
	s_lshl_b64 s[4:5], s[22:23], 3
	s_add_u32 s3, s6, s4
	v_mov_b32_e32 v23, 0
	s_addc_u32 s4, s7, s5
	v_lshlrev_b64 v[10:11], 3, v[22:23]
	v_mov_b32_e32 v12, s4
	v_add_co_u32_e32 v10, vcc, s3, v10
	v_addc_co_u32_e32 v11, vcc, v12, v11, vcc
	global_store_dwordx2 v[10:11], v[8:9], off
.LBB1467_285:
	s_or_b64 exec, exec, s[0:1]
	v_cmp_gt_u32_e32 vcc, s2, v20
	s_or_b64 s[4:5], s[34:35], vcc
	s_and_saveexec_b64 s[0:1], s[4:5]
	s_cbranch_execz .LBB1467_288
; %bb.286:
	v_mov_b32_e32 v10, 1
	v_and_b32_sdwa v10, v10, v28 dst_sel:DWORD dst_unused:UNUSED_PAD src0_sel:DWORD src1_sel:WORD_1
	v_cmp_eq_u32_e32 vcc, 1, v10
	s_and_b64 exec, exec, vcc
	s_cbranch_execz .LBB1467_288
; %bb.287:
	s_lshl_b64 s[4:5], s[22:23], 3
	s_add_u32 s3, s6, s4
	v_mov_b32_e32 v21, 0
	s_addc_u32 s4, s7, s5
	v_lshlrev_b64 v[10:11], 3, v[20:21]
	v_mov_b32_e32 v12, s4
	v_add_co_u32_e32 v10, vcc, s3, v10
	v_addc_co_u32_e32 v11, vcc, v12, v11, vcc
	global_store_dwordx2 v[10:11], v[2:3], off
.LBB1467_288:
	s_or_b64 exec, exec, s[0:1]
	v_cmp_gt_u32_e32 vcc, s2, v18
	s_or_b64 s[2:3], s[34:35], vcc
	s_and_saveexec_b64 s[0:1], s[2:3]
	s_cbranch_execz .LBB1467_291
; %bb.289:
	v_and_b32_e32 v10, 1, v29
	v_cmp_eq_u32_e32 vcc, 1, v10
	s_and_b64 exec, exec, vcc
	s_cbranch_execz .LBB1467_291
; %bb.290:
	s_lshl_b64 s[2:3], s[22:23], 3
	s_add_u32 s2, s6, s2
	v_mov_b32_e32 v19, 0
	s_addc_u32 s3, s7, s3
	v_lshlrev_b64 v[10:11], 3, v[18:19]
	v_mov_b32_e32 v12, s3
	v_add_co_u32_e32 v10, vcc, s2, v10
	v_addc_co_u32_e32 v11, vcc, v12, v11, vcc
	global_store_dwordx2 v[10:11], v[4:5], off
.LBB1467_291:
	s_or_b64 exec, exec, s[0:1]
	s_branch .LBB1467_277
.LBB1467_292:
	v_cmp_eq_u32_e32 vcc, 1, v26
	s_and_saveexec_b64 s[0:1], vcc
	s_cbranch_execz .LBB1467_294
; %bb.293:
	v_subrev_u32_e32 v10, s16, v24
	v_lshlrev_b32_e32 v10, 3, v10
	ds_write_b64 v10, v[6:7]
.LBB1467_294:
	s_or_b64 exec, exec, s[0:1]
	v_and_b32_e32 v1, 1, v1
	v_cmp_eq_u32_e32 vcc, 1, v1
	s_and_saveexec_b64 s[0:1], vcc
	s_cbranch_execz .LBB1467_296
; %bb.295:
	v_subrev_u32_e32 v1, s16, v22
	v_lshlrev_b32_e32 v1, 3, v1
	ds_write_b64 v1, v[8:9]
.LBB1467_296:
	s_or_b64 exec, exec, s[0:1]
	v_mov_b32_e32 v1, 1
	v_and_b32_sdwa v1, v1, v28 dst_sel:DWORD dst_unused:UNUSED_PAD src0_sel:DWORD src1_sel:WORD_1
	v_cmp_eq_u32_e32 vcc, 1, v1
	s_and_saveexec_b64 s[0:1], vcc
	s_cbranch_execz .LBB1467_298
; %bb.297:
	v_subrev_u32_e32 v1, s16, v20
	v_lshlrev_b32_e32 v1, 3, v1
	ds_write_b64 v1, v[2:3]
.LBB1467_298:
	s_or_b64 exec, exec, s[0:1]
	v_and_b32_e32 v1, 1, v29
	v_cmp_eq_u32_e32 vcc, 1, v1
	s_and_saveexec_b64 s[0:1], vcc
	s_cbranch_execz .LBB1467_300
; %bb.299:
	v_subrev_u32_e32 v1, s16, v18
	v_lshlrev_b32_e32 v1, 3, v1
	ds_write_b64 v1, v[4:5]
.LBB1467_300:
	s_or_b64 exec, exec, s[0:1]
	v_cmp_gt_u32_e32 vcc, s26, v0
	s_waitcnt lgkmcnt(0)
	s_barrier
	s_and_saveexec_b64 s[0:1], vcc
	s_cbranch_execz .LBB1467_303
; %bb.301:
	s_mov_b32 s17, 0
	s_lshl_b64 s[2:3], s[16:17], 3
	s_add_u32 s4, s6, s2
	s_addc_u32 s5, s7, s3
	s_lshl_b64 s[2:3], s[22:23], 3
	s_add_u32 s4, s4, s2
	s_addc_u32 s5, s5, s3
	v_lshlrev_b32_e32 v1, 3, v0
	s_mov_b64 s[2:3], 0
	v_mov_b32_e32 v3, 0
	v_mov_b32_e32 v4, s5
	;; [unrolled: 1-line block ×3, first 2 shown]
.LBB1467_302:                           ; =>This Inner Loop Header: Depth=1
	ds_read_b64 v[6:7], v1
	v_lshlrev_b64 v[8:9], 3, v[2:3]
	v_add_co_u32_e32 v8, vcc, s4, v8
	v_add_u32_e32 v2, 0x80, v2
	v_addc_co_u32_e32 v9, vcc, v4, v9, vcc
	v_cmp_le_u32_e32 vcc, s26, v2
	v_add_u32_e32 v1, 0x400, v1
	s_or_b64 s[2:3], vcc, s[2:3]
	s_waitcnt lgkmcnt(0)
	global_store_dwordx2 v[8:9], v[6:7], off
	s_andn2_b64 exec, exec, s[2:3]
	s_cbranch_execnz .LBB1467_302
.LBB1467_303:
	s_or_b64 exec, exec, s[0:1]
	v_cmp_eq_u32_e32 vcc, 0, v0
	s_and_b64 s[0:1], vcc, s[24:25]
	s_and_saveexec_b64 s[2:3], s[0:1]
	s_cbranch_execz .LBB1467_278
.LBB1467_304:
	s_add_u32 s0, s22, s26
	s_addc_u32 s1, s23, 0
	s_add_u32 s0, s0, s16
	s_addc_u32 s1, s1, 0
	v_mov_b32_e32 v2, 0
	v_pk_mov_b32 v[0:1], s[0:1], s[0:1] op_sel:[0,1]
	global_store_dwordx2 v2, v[0:1], s[20:21]
	s_endpgm
	.section	.rodata,"a",@progbits
	.p2align	6, 0x0
	.amdhsa_kernel _ZN7rocprim17ROCPRIM_400000_NS6detail17trampoline_kernelINS0_14default_configENS1_25partition_config_selectorILNS1_17partition_subalgoE9EllbEEZZNS1_14partition_implILS5_9ELb0ES3_jPlS8_PNS0_10empty_typeENS0_5tupleIJS8_S9_EEENSB_IJS8_SA_EEENS0_18inequality_wrapperIZN2at6native12_GLOBAL__N_124unique_dim_cuda_templateItEESt5tupleIJNSF_6TensorESK_SK_EERKSK_lbbbEUlllE0_EEPmJS9_EEE10hipError_tPvRmT3_T4_T5_T6_T7_T9_mT8_P12ihipStream_tbDpT10_ENKUlT_T0_E_clISt17integral_constantIbLb1EES19_IbLb0EEEEDaS15_S16_EUlS15_E_NS1_11comp_targetILNS1_3genE4ELNS1_11target_archE910ELNS1_3gpuE8ELNS1_3repE0EEENS1_30default_config_static_selectorELNS0_4arch9wavefront6targetE1EEEvT1_
		.amdhsa_group_segment_fixed_size 4236
		.amdhsa_private_segment_fixed_size 0
		.amdhsa_kernarg_size 120
		.amdhsa_user_sgpr_count 6
		.amdhsa_user_sgpr_private_segment_buffer 1
		.amdhsa_user_sgpr_dispatch_ptr 0
		.amdhsa_user_sgpr_queue_ptr 0
		.amdhsa_user_sgpr_kernarg_segment_ptr 1
		.amdhsa_user_sgpr_dispatch_id 0
		.amdhsa_user_sgpr_flat_scratch_init 0
		.amdhsa_user_sgpr_kernarg_preload_length 0
		.amdhsa_user_sgpr_kernarg_preload_offset 0
		.amdhsa_user_sgpr_private_segment_size 0
		.amdhsa_uses_dynamic_stack 0
		.amdhsa_system_sgpr_private_segment_wavefront_offset 0
		.amdhsa_system_sgpr_workgroup_id_x 1
		.amdhsa_system_sgpr_workgroup_id_y 0
		.amdhsa_system_sgpr_workgroup_id_z 0
		.amdhsa_system_sgpr_workgroup_info 0
		.amdhsa_system_vgpr_workitem_id 0
		.amdhsa_next_free_vgpr 50
		.amdhsa_next_free_sgpr 46
		.amdhsa_accum_offset 52
		.amdhsa_reserve_vcc 1
		.amdhsa_reserve_flat_scratch 0
		.amdhsa_float_round_mode_32 0
		.amdhsa_float_round_mode_16_64 0
		.amdhsa_float_denorm_mode_32 3
		.amdhsa_float_denorm_mode_16_64 3
		.amdhsa_dx10_clamp 1
		.amdhsa_ieee_mode 1
		.amdhsa_fp16_overflow 0
		.amdhsa_tg_split 0
		.amdhsa_exception_fp_ieee_invalid_op 0
		.amdhsa_exception_fp_denorm_src 0
		.amdhsa_exception_fp_ieee_div_zero 0
		.amdhsa_exception_fp_ieee_overflow 0
		.amdhsa_exception_fp_ieee_underflow 0
		.amdhsa_exception_fp_ieee_inexact 0
		.amdhsa_exception_int_div_zero 0
	.end_amdhsa_kernel
	.section	.text._ZN7rocprim17ROCPRIM_400000_NS6detail17trampoline_kernelINS0_14default_configENS1_25partition_config_selectorILNS1_17partition_subalgoE9EllbEEZZNS1_14partition_implILS5_9ELb0ES3_jPlS8_PNS0_10empty_typeENS0_5tupleIJS8_S9_EEENSB_IJS8_SA_EEENS0_18inequality_wrapperIZN2at6native12_GLOBAL__N_124unique_dim_cuda_templateItEESt5tupleIJNSF_6TensorESK_SK_EERKSK_lbbbEUlllE0_EEPmJS9_EEE10hipError_tPvRmT3_T4_T5_T6_T7_T9_mT8_P12ihipStream_tbDpT10_ENKUlT_T0_E_clISt17integral_constantIbLb1EES19_IbLb0EEEEDaS15_S16_EUlS15_E_NS1_11comp_targetILNS1_3genE4ELNS1_11target_archE910ELNS1_3gpuE8ELNS1_3repE0EEENS1_30default_config_static_selectorELNS0_4arch9wavefront6targetE1EEEvT1_,"axG",@progbits,_ZN7rocprim17ROCPRIM_400000_NS6detail17trampoline_kernelINS0_14default_configENS1_25partition_config_selectorILNS1_17partition_subalgoE9EllbEEZZNS1_14partition_implILS5_9ELb0ES3_jPlS8_PNS0_10empty_typeENS0_5tupleIJS8_S9_EEENSB_IJS8_SA_EEENS0_18inequality_wrapperIZN2at6native12_GLOBAL__N_124unique_dim_cuda_templateItEESt5tupleIJNSF_6TensorESK_SK_EERKSK_lbbbEUlllE0_EEPmJS9_EEE10hipError_tPvRmT3_T4_T5_T6_T7_T9_mT8_P12ihipStream_tbDpT10_ENKUlT_T0_E_clISt17integral_constantIbLb1EES19_IbLb0EEEEDaS15_S16_EUlS15_E_NS1_11comp_targetILNS1_3genE4ELNS1_11target_archE910ELNS1_3gpuE8ELNS1_3repE0EEENS1_30default_config_static_selectorELNS0_4arch9wavefront6targetE1EEEvT1_,comdat
.Lfunc_end1467:
	.size	_ZN7rocprim17ROCPRIM_400000_NS6detail17trampoline_kernelINS0_14default_configENS1_25partition_config_selectorILNS1_17partition_subalgoE9EllbEEZZNS1_14partition_implILS5_9ELb0ES3_jPlS8_PNS0_10empty_typeENS0_5tupleIJS8_S9_EEENSB_IJS8_SA_EEENS0_18inequality_wrapperIZN2at6native12_GLOBAL__N_124unique_dim_cuda_templateItEESt5tupleIJNSF_6TensorESK_SK_EERKSK_lbbbEUlllE0_EEPmJS9_EEE10hipError_tPvRmT3_T4_T5_T6_T7_T9_mT8_P12ihipStream_tbDpT10_ENKUlT_T0_E_clISt17integral_constantIbLb1EES19_IbLb0EEEEDaS15_S16_EUlS15_E_NS1_11comp_targetILNS1_3genE4ELNS1_11target_archE910ELNS1_3gpuE8ELNS1_3repE0EEENS1_30default_config_static_selectorELNS0_4arch9wavefront6targetE1EEEvT1_, .Lfunc_end1467-_ZN7rocprim17ROCPRIM_400000_NS6detail17trampoline_kernelINS0_14default_configENS1_25partition_config_selectorILNS1_17partition_subalgoE9EllbEEZZNS1_14partition_implILS5_9ELb0ES3_jPlS8_PNS0_10empty_typeENS0_5tupleIJS8_S9_EEENSB_IJS8_SA_EEENS0_18inequality_wrapperIZN2at6native12_GLOBAL__N_124unique_dim_cuda_templateItEESt5tupleIJNSF_6TensorESK_SK_EERKSK_lbbbEUlllE0_EEPmJS9_EEE10hipError_tPvRmT3_T4_T5_T6_T7_T9_mT8_P12ihipStream_tbDpT10_ENKUlT_T0_E_clISt17integral_constantIbLb1EES19_IbLb0EEEEDaS15_S16_EUlS15_E_NS1_11comp_targetILNS1_3genE4ELNS1_11target_archE910ELNS1_3gpuE8ELNS1_3repE0EEENS1_30default_config_static_selectorELNS0_4arch9wavefront6targetE1EEEvT1_
                                        ; -- End function
	.section	.AMDGPU.csdata,"",@progbits
; Kernel info:
; codeLenInByte = 10876
; NumSgprs: 50
; NumVgprs: 50
; NumAgprs: 0
; TotalNumVgprs: 50
; ScratchSize: 0
; MemoryBound: 0
; FloatMode: 240
; IeeeMode: 1
; LDSByteSize: 4236 bytes/workgroup (compile time only)
; SGPRBlocks: 6
; VGPRBlocks: 6
; NumSGPRsForWavesPerEU: 50
; NumVGPRsForWavesPerEU: 50
; AccumOffset: 52
; Occupancy: 8
; WaveLimiterHint : 1
; COMPUTE_PGM_RSRC2:SCRATCH_EN: 0
; COMPUTE_PGM_RSRC2:USER_SGPR: 6
; COMPUTE_PGM_RSRC2:TRAP_HANDLER: 0
; COMPUTE_PGM_RSRC2:TGID_X_EN: 1
; COMPUTE_PGM_RSRC2:TGID_Y_EN: 0
; COMPUTE_PGM_RSRC2:TGID_Z_EN: 0
; COMPUTE_PGM_RSRC2:TIDIG_COMP_CNT: 0
; COMPUTE_PGM_RSRC3_GFX90A:ACCUM_OFFSET: 12
; COMPUTE_PGM_RSRC3_GFX90A:TG_SPLIT: 0
	.section	.text._ZN7rocprim17ROCPRIM_400000_NS6detail17trampoline_kernelINS0_14default_configENS1_25partition_config_selectorILNS1_17partition_subalgoE9EllbEEZZNS1_14partition_implILS5_9ELb0ES3_jPlS8_PNS0_10empty_typeENS0_5tupleIJS8_S9_EEENSB_IJS8_SA_EEENS0_18inequality_wrapperIZN2at6native12_GLOBAL__N_124unique_dim_cuda_templateItEESt5tupleIJNSF_6TensorESK_SK_EERKSK_lbbbEUlllE0_EEPmJS9_EEE10hipError_tPvRmT3_T4_T5_T6_T7_T9_mT8_P12ihipStream_tbDpT10_ENKUlT_T0_E_clISt17integral_constantIbLb1EES19_IbLb0EEEEDaS15_S16_EUlS15_E_NS1_11comp_targetILNS1_3genE3ELNS1_11target_archE908ELNS1_3gpuE7ELNS1_3repE0EEENS1_30default_config_static_selectorELNS0_4arch9wavefront6targetE1EEEvT1_,"axG",@progbits,_ZN7rocprim17ROCPRIM_400000_NS6detail17trampoline_kernelINS0_14default_configENS1_25partition_config_selectorILNS1_17partition_subalgoE9EllbEEZZNS1_14partition_implILS5_9ELb0ES3_jPlS8_PNS0_10empty_typeENS0_5tupleIJS8_S9_EEENSB_IJS8_SA_EEENS0_18inequality_wrapperIZN2at6native12_GLOBAL__N_124unique_dim_cuda_templateItEESt5tupleIJNSF_6TensorESK_SK_EERKSK_lbbbEUlllE0_EEPmJS9_EEE10hipError_tPvRmT3_T4_T5_T6_T7_T9_mT8_P12ihipStream_tbDpT10_ENKUlT_T0_E_clISt17integral_constantIbLb1EES19_IbLb0EEEEDaS15_S16_EUlS15_E_NS1_11comp_targetILNS1_3genE3ELNS1_11target_archE908ELNS1_3gpuE7ELNS1_3repE0EEENS1_30default_config_static_selectorELNS0_4arch9wavefront6targetE1EEEvT1_,comdat
	.globl	_ZN7rocprim17ROCPRIM_400000_NS6detail17trampoline_kernelINS0_14default_configENS1_25partition_config_selectorILNS1_17partition_subalgoE9EllbEEZZNS1_14partition_implILS5_9ELb0ES3_jPlS8_PNS0_10empty_typeENS0_5tupleIJS8_S9_EEENSB_IJS8_SA_EEENS0_18inequality_wrapperIZN2at6native12_GLOBAL__N_124unique_dim_cuda_templateItEESt5tupleIJNSF_6TensorESK_SK_EERKSK_lbbbEUlllE0_EEPmJS9_EEE10hipError_tPvRmT3_T4_T5_T6_T7_T9_mT8_P12ihipStream_tbDpT10_ENKUlT_T0_E_clISt17integral_constantIbLb1EES19_IbLb0EEEEDaS15_S16_EUlS15_E_NS1_11comp_targetILNS1_3genE3ELNS1_11target_archE908ELNS1_3gpuE7ELNS1_3repE0EEENS1_30default_config_static_selectorELNS0_4arch9wavefront6targetE1EEEvT1_ ; -- Begin function _ZN7rocprim17ROCPRIM_400000_NS6detail17trampoline_kernelINS0_14default_configENS1_25partition_config_selectorILNS1_17partition_subalgoE9EllbEEZZNS1_14partition_implILS5_9ELb0ES3_jPlS8_PNS0_10empty_typeENS0_5tupleIJS8_S9_EEENSB_IJS8_SA_EEENS0_18inequality_wrapperIZN2at6native12_GLOBAL__N_124unique_dim_cuda_templateItEESt5tupleIJNSF_6TensorESK_SK_EERKSK_lbbbEUlllE0_EEPmJS9_EEE10hipError_tPvRmT3_T4_T5_T6_T7_T9_mT8_P12ihipStream_tbDpT10_ENKUlT_T0_E_clISt17integral_constantIbLb1EES19_IbLb0EEEEDaS15_S16_EUlS15_E_NS1_11comp_targetILNS1_3genE3ELNS1_11target_archE908ELNS1_3gpuE7ELNS1_3repE0EEENS1_30default_config_static_selectorELNS0_4arch9wavefront6targetE1EEEvT1_
	.p2align	8
	.type	_ZN7rocprim17ROCPRIM_400000_NS6detail17trampoline_kernelINS0_14default_configENS1_25partition_config_selectorILNS1_17partition_subalgoE9EllbEEZZNS1_14partition_implILS5_9ELb0ES3_jPlS8_PNS0_10empty_typeENS0_5tupleIJS8_S9_EEENSB_IJS8_SA_EEENS0_18inequality_wrapperIZN2at6native12_GLOBAL__N_124unique_dim_cuda_templateItEESt5tupleIJNSF_6TensorESK_SK_EERKSK_lbbbEUlllE0_EEPmJS9_EEE10hipError_tPvRmT3_T4_T5_T6_T7_T9_mT8_P12ihipStream_tbDpT10_ENKUlT_T0_E_clISt17integral_constantIbLb1EES19_IbLb0EEEEDaS15_S16_EUlS15_E_NS1_11comp_targetILNS1_3genE3ELNS1_11target_archE908ELNS1_3gpuE7ELNS1_3repE0EEENS1_30default_config_static_selectorELNS0_4arch9wavefront6targetE1EEEvT1_,@function
_ZN7rocprim17ROCPRIM_400000_NS6detail17trampoline_kernelINS0_14default_configENS1_25partition_config_selectorILNS1_17partition_subalgoE9EllbEEZZNS1_14partition_implILS5_9ELb0ES3_jPlS8_PNS0_10empty_typeENS0_5tupleIJS8_S9_EEENSB_IJS8_SA_EEENS0_18inequality_wrapperIZN2at6native12_GLOBAL__N_124unique_dim_cuda_templateItEESt5tupleIJNSF_6TensorESK_SK_EERKSK_lbbbEUlllE0_EEPmJS9_EEE10hipError_tPvRmT3_T4_T5_T6_T7_T9_mT8_P12ihipStream_tbDpT10_ENKUlT_T0_E_clISt17integral_constantIbLb1EES19_IbLb0EEEEDaS15_S16_EUlS15_E_NS1_11comp_targetILNS1_3genE3ELNS1_11target_archE908ELNS1_3gpuE7ELNS1_3repE0EEENS1_30default_config_static_selectorELNS0_4arch9wavefront6targetE1EEEvT1_: ; @_ZN7rocprim17ROCPRIM_400000_NS6detail17trampoline_kernelINS0_14default_configENS1_25partition_config_selectorILNS1_17partition_subalgoE9EllbEEZZNS1_14partition_implILS5_9ELb0ES3_jPlS8_PNS0_10empty_typeENS0_5tupleIJS8_S9_EEENSB_IJS8_SA_EEENS0_18inequality_wrapperIZN2at6native12_GLOBAL__N_124unique_dim_cuda_templateItEESt5tupleIJNSF_6TensorESK_SK_EERKSK_lbbbEUlllE0_EEPmJS9_EEE10hipError_tPvRmT3_T4_T5_T6_T7_T9_mT8_P12ihipStream_tbDpT10_ENKUlT_T0_E_clISt17integral_constantIbLb1EES19_IbLb0EEEEDaS15_S16_EUlS15_E_NS1_11comp_targetILNS1_3genE3ELNS1_11target_archE908ELNS1_3gpuE7ELNS1_3repE0EEENS1_30default_config_static_selectorELNS0_4arch9wavefront6targetE1EEEvT1_
; %bb.0:
	.section	.rodata,"a",@progbits
	.p2align	6, 0x0
	.amdhsa_kernel _ZN7rocprim17ROCPRIM_400000_NS6detail17trampoline_kernelINS0_14default_configENS1_25partition_config_selectorILNS1_17partition_subalgoE9EllbEEZZNS1_14partition_implILS5_9ELb0ES3_jPlS8_PNS0_10empty_typeENS0_5tupleIJS8_S9_EEENSB_IJS8_SA_EEENS0_18inequality_wrapperIZN2at6native12_GLOBAL__N_124unique_dim_cuda_templateItEESt5tupleIJNSF_6TensorESK_SK_EERKSK_lbbbEUlllE0_EEPmJS9_EEE10hipError_tPvRmT3_T4_T5_T6_T7_T9_mT8_P12ihipStream_tbDpT10_ENKUlT_T0_E_clISt17integral_constantIbLb1EES19_IbLb0EEEEDaS15_S16_EUlS15_E_NS1_11comp_targetILNS1_3genE3ELNS1_11target_archE908ELNS1_3gpuE7ELNS1_3repE0EEENS1_30default_config_static_selectorELNS0_4arch9wavefront6targetE1EEEvT1_
		.amdhsa_group_segment_fixed_size 0
		.amdhsa_private_segment_fixed_size 0
		.amdhsa_kernarg_size 120
		.amdhsa_user_sgpr_count 6
		.amdhsa_user_sgpr_private_segment_buffer 1
		.amdhsa_user_sgpr_dispatch_ptr 0
		.amdhsa_user_sgpr_queue_ptr 0
		.amdhsa_user_sgpr_kernarg_segment_ptr 1
		.amdhsa_user_sgpr_dispatch_id 0
		.amdhsa_user_sgpr_flat_scratch_init 0
		.amdhsa_user_sgpr_kernarg_preload_length 0
		.amdhsa_user_sgpr_kernarg_preload_offset 0
		.amdhsa_user_sgpr_private_segment_size 0
		.amdhsa_uses_dynamic_stack 0
		.amdhsa_system_sgpr_private_segment_wavefront_offset 0
		.amdhsa_system_sgpr_workgroup_id_x 1
		.amdhsa_system_sgpr_workgroup_id_y 0
		.amdhsa_system_sgpr_workgroup_id_z 0
		.amdhsa_system_sgpr_workgroup_info 0
		.amdhsa_system_vgpr_workitem_id 0
		.amdhsa_next_free_vgpr 1
		.amdhsa_next_free_sgpr 0
		.amdhsa_accum_offset 4
		.amdhsa_reserve_vcc 0
		.amdhsa_reserve_flat_scratch 0
		.amdhsa_float_round_mode_32 0
		.amdhsa_float_round_mode_16_64 0
		.amdhsa_float_denorm_mode_32 3
		.amdhsa_float_denorm_mode_16_64 3
		.amdhsa_dx10_clamp 1
		.amdhsa_ieee_mode 1
		.amdhsa_fp16_overflow 0
		.amdhsa_tg_split 0
		.amdhsa_exception_fp_ieee_invalid_op 0
		.amdhsa_exception_fp_denorm_src 0
		.amdhsa_exception_fp_ieee_div_zero 0
		.amdhsa_exception_fp_ieee_overflow 0
		.amdhsa_exception_fp_ieee_underflow 0
		.amdhsa_exception_fp_ieee_inexact 0
		.amdhsa_exception_int_div_zero 0
	.end_amdhsa_kernel
	.section	.text._ZN7rocprim17ROCPRIM_400000_NS6detail17trampoline_kernelINS0_14default_configENS1_25partition_config_selectorILNS1_17partition_subalgoE9EllbEEZZNS1_14partition_implILS5_9ELb0ES3_jPlS8_PNS0_10empty_typeENS0_5tupleIJS8_S9_EEENSB_IJS8_SA_EEENS0_18inequality_wrapperIZN2at6native12_GLOBAL__N_124unique_dim_cuda_templateItEESt5tupleIJNSF_6TensorESK_SK_EERKSK_lbbbEUlllE0_EEPmJS9_EEE10hipError_tPvRmT3_T4_T5_T6_T7_T9_mT8_P12ihipStream_tbDpT10_ENKUlT_T0_E_clISt17integral_constantIbLb1EES19_IbLb0EEEEDaS15_S16_EUlS15_E_NS1_11comp_targetILNS1_3genE3ELNS1_11target_archE908ELNS1_3gpuE7ELNS1_3repE0EEENS1_30default_config_static_selectorELNS0_4arch9wavefront6targetE1EEEvT1_,"axG",@progbits,_ZN7rocprim17ROCPRIM_400000_NS6detail17trampoline_kernelINS0_14default_configENS1_25partition_config_selectorILNS1_17partition_subalgoE9EllbEEZZNS1_14partition_implILS5_9ELb0ES3_jPlS8_PNS0_10empty_typeENS0_5tupleIJS8_S9_EEENSB_IJS8_SA_EEENS0_18inequality_wrapperIZN2at6native12_GLOBAL__N_124unique_dim_cuda_templateItEESt5tupleIJNSF_6TensorESK_SK_EERKSK_lbbbEUlllE0_EEPmJS9_EEE10hipError_tPvRmT3_T4_T5_T6_T7_T9_mT8_P12ihipStream_tbDpT10_ENKUlT_T0_E_clISt17integral_constantIbLb1EES19_IbLb0EEEEDaS15_S16_EUlS15_E_NS1_11comp_targetILNS1_3genE3ELNS1_11target_archE908ELNS1_3gpuE7ELNS1_3repE0EEENS1_30default_config_static_selectorELNS0_4arch9wavefront6targetE1EEEvT1_,comdat
.Lfunc_end1468:
	.size	_ZN7rocprim17ROCPRIM_400000_NS6detail17trampoline_kernelINS0_14default_configENS1_25partition_config_selectorILNS1_17partition_subalgoE9EllbEEZZNS1_14partition_implILS5_9ELb0ES3_jPlS8_PNS0_10empty_typeENS0_5tupleIJS8_S9_EEENSB_IJS8_SA_EEENS0_18inequality_wrapperIZN2at6native12_GLOBAL__N_124unique_dim_cuda_templateItEESt5tupleIJNSF_6TensorESK_SK_EERKSK_lbbbEUlllE0_EEPmJS9_EEE10hipError_tPvRmT3_T4_T5_T6_T7_T9_mT8_P12ihipStream_tbDpT10_ENKUlT_T0_E_clISt17integral_constantIbLb1EES19_IbLb0EEEEDaS15_S16_EUlS15_E_NS1_11comp_targetILNS1_3genE3ELNS1_11target_archE908ELNS1_3gpuE7ELNS1_3repE0EEENS1_30default_config_static_selectorELNS0_4arch9wavefront6targetE1EEEvT1_, .Lfunc_end1468-_ZN7rocprim17ROCPRIM_400000_NS6detail17trampoline_kernelINS0_14default_configENS1_25partition_config_selectorILNS1_17partition_subalgoE9EllbEEZZNS1_14partition_implILS5_9ELb0ES3_jPlS8_PNS0_10empty_typeENS0_5tupleIJS8_S9_EEENSB_IJS8_SA_EEENS0_18inequality_wrapperIZN2at6native12_GLOBAL__N_124unique_dim_cuda_templateItEESt5tupleIJNSF_6TensorESK_SK_EERKSK_lbbbEUlllE0_EEPmJS9_EEE10hipError_tPvRmT3_T4_T5_T6_T7_T9_mT8_P12ihipStream_tbDpT10_ENKUlT_T0_E_clISt17integral_constantIbLb1EES19_IbLb0EEEEDaS15_S16_EUlS15_E_NS1_11comp_targetILNS1_3genE3ELNS1_11target_archE908ELNS1_3gpuE7ELNS1_3repE0EEENS1_30default_config_static_selectorELNS0_4arch9wavefront6targetE1EEEvT1_
                                        ; -- End function
	.section	.AMDGPU.csdata,"",@progbits
; Kernel info:
; codeLenInByte = 0
; NumSgprs: 4
; NumVgprs: 0
; NumAgprs: 0
; TotalNumVgprs: 0
; ScratchSize: 0
; MemoryBound: 0
; FloatMode: 240
; IeeeMode: 1
; LDSByteSize: 0 bytes/workgroup (compile time only)
; SGPRBlocks: 0
; VGPRBlocks: 0
; NumSGPRsForWavesPerEU: 4
; NumVGPRsForWavesPerEU: 1
; AccumOffset: 4
; Occupancy: 8
; WaveLimiterHint : 0
; COMPUTE_PGM_RSRC2:SCRATCH_EN: 0
; COMPUTE_PGM_RSRC2:USER_SGPR: 6
; COMPUTE_PGM_RSRC2:TRAP_HANDLER: 0
; COMPUTE_PGM_RSRC2:TGID_X_EN: 1
; COMPUTE_PGM_RSRC2:TGID_Y_EN: 0
; COMPUTE_PGM_RSRC2:TGID_Z_EN: 0
; COMPUTE_PGM_RSRC2:TIDIG_COMP_CNT: 0
; COMPUTE_PGM_RSRC3_GFX90A:ACCUM_OFFSET: 0
; COMPUTE_PGM_RSRC3_GFX90A:TG_SPLIT: 0
	.section	.text._ZN7rocprim17ROCPRIM_400000_NS6detail17trampoline_kernelINS0_14default_configENS1_25partition_config_selectorILNS1_17partition_subalgoE9EllbEEZZNS1_14partition_implILS5_9ELb0ES3_jPlS8_PNS0_10empty_typeENS0_5tupleIJS8_S9_EEENSB_IJS8_SA_EEENS0_18inequality_wrapperIZN2at6native12_GLOBAL__N_124unique_dim_cuda_templateItEESt5tupleIJNSF_6TensorESK_SK_EERKSK_lbbbEUlllE0_EEPmJS9_EEE10hipError_tPvRmT3_T4_T5_T6_T7_T9_mT8_P12ihipStream_tbDpT10_ENKUlT_T0_E_clISt17integral_constantIbLb1EES19_IbLb0EEEEDaS15_S16_EUlS15_E_NS1_11comp_targetILNS1_3genE2ELNS1_11target_archE906ELNS1_3gpuE6ELNS1_3repE0EEENS1_30default_config_static_selectorELNS0_4arch9wavefront6targetE1EEEvT1_,"axG",@progbits,_ZN7rocprim17ROCPRIM_400000_NS6detail17trampoline_kernelINS0_14default_configENS1_25partition_config_selectorILNS1_17partition_subalgoE9EllbEEZZNS1_14partition_implILS5_9ELb0ES3_jPlS8_PNS0_10empty_typeENS0_5tupleIJS8_S9_EEENSB_IJS8_SA_EEENS0_18inequality_wrapperIZN2at6native12_GLOBAL__N_124unique_dim_cuda_templateItEESt5tupleIJNSF_6TensorESK_SK_EERKSK_lbbbEUlllE0_EEPmJS9_EEE10hipError_tPvRmT3_T4_T5_T6_T7_T9_mT8_P12ihipStream_tbDpT10_ENKUlT_T0_E_clISt17integral_constantIbLb1EES19_IbLb0EEEEDaS15_S16_EUlS15_E_NS1_11comp_targetILNS1_3genE2ELNS1_11target_archE906ELNS1_3gpuE6ELNS1_3repE0EEENS1_30default_config_static_selectorELNS0_4arch9wavefront6targetE1EEEvT1_,comdat
	.globl	_ZN7rocprim17ROCPRIM_400000_NS6detail17trampoline_kernelINS0_14default_configENS1_25partition_config_selectorILNS1_17partition_subalgoE9EllbEEZZNS1_14partition_implILS5_9ELb0ES3_jPlS8_PNS0_10empty_typeENS0_5tupleIJS8_S9_EEENSB_IJS8_SA_EEENS0_18inequality_wrapperIZN2at6native12_GLOBAL__N_124unique_dim_cuda_templateItEESt5tupleIJNSF_6TensorESK_SK_EERKSK_lbbbEUlllE0_EEPmJS9_EEE10hipError_tPvRmT3_T4_T5_T6_T7_T9_mT8_P12ihipStream_tbDpT10_ENKUlT_T0_E_clISt17integral_constantIbLb1EES19_IbLb0EEEEDaS15_S16_EUlS15_E_NS1_11comp_targetILNS1_3genE2ELNS1_11target_archE906ELNS1_3gpuE6ELNS1_3repE0EEENS1_30default_config_static_selectorELNS0_4arch9wavefront6targetE1EEEvT1_ ; -- Begin function _ZN7rocprim17ROCPRIM_400000_NS6detail17trampoline_kernelINS0_14default_configENS1_25partition_config_selectorILNS1_17partition_subalgoE9EllbEEZZNS1_14partition_implILS5_9ELb0ES3_jPlS8_PNS0_10empty_typeENS0_5tupleIJS8_S9_EEENSB_IJS8_SA_EEENS0_18inequality_wrapperIZN2at6native12_GLOBAL__N_124unique_dim_cuda_templateItEESt5tupleIJNSF_6TensorESK_SK_EERKSK_lbbbEUlllE0_EEPmJS9_EEE10hipError_tPvRmT3_T4_T5_T6_T7_T9_mT8_P12ihipStream_tbDpT10_ENKUlT_T0_E_clISt17integral_constantIbLb1EES19_IbLb0EEEEDaS15_S16_EUlS15_E_NS1_11comp_targetILNS1_3genE2ELNS1_11target_archE906ELNS1_3gpuE6ELNS1_3repE0EEENS1_30default_config_static_selectorELNS0_4arch9wavefront6targetE1EEEvT1_
	.p2align	8
	.type	_ZN7rocprim17ROCPRIM_400000_NS6detail17trampoline_kernelINS0_14default_configENS1_25partition_config_selectorILNS1_17partition_subalgoE9EllbEEZZNS1_14partition_implILS5_9ELb0ES3_jPlS8_PNS0_10empty_typeENS0_5tupleIJS8_S9_EEENSB_IJS8_SA_EEENS0_18inequality_wrapperIZN2at6native12_GLOBAL__N_124unique_dim_cuda_templateItEESt5tupleIJNSF_6TensorESK_SK_EERKSK_lbbbEUlllE0_EEPmJS9_EEE10hipError_tPvRmT3_T4_T5_T6_T7_T9_mT8_P12ihipStream_tbDpT10_ENKUlT_T0_E_clISt17integral_constantIbLb1EES19_IbLb0EEEEDaS15_S16_EUlS15_E_NS1_11comp_targetILNS1_3genE2ELNS1_11target_archE906ELNS1_3gpuE6ELNS1_3repE0EEENS1_30default_config_static_selectorELNS0_4arch9wavefront6targetE1EEEvT1_,@function
_ZN7rocprim17ROCPRIM_400000_NS6detail17trampoline_kernelINS0_14default_configENS1_25partition_config_selectorILNS1_17partition_subalgoE9EllbEEZZNS1_14partition_implILS5_9ELb0ES3_jPlS8_PNS0_10empty_typeENS0_5tupleIJS8_S9_EEENSB_IJS8_SA_EEENS0_18inequality_wrapperIZN2at6native12_GLOBAL__N_124unique_dim_cuda_templateItEESt5tupleIJNSF_6TensorESK_SK_EERKSK_lbbbEUlllE0_EEPmJS9_EEE10hipError_tPvRmT3_T4_T5_T6_T7_T9_mT8_P12ihipStream_tbDpT10_ENKUlT_T0_E_clISt17integral_constantIbLb1EES19_IbLb0EEEEDaS15_S16_EUlS15_E_NS1_11comp_targetILNS1_3genE2ELNS1_11target_archE906ELNS1_3gpuE6ELNS1_3repE0EEENS1_30default_config_static_selectorELNS0_4arch9wavefront6targetE1EEEvT1_: ; @_ZN7rocprim17ROCPRIM_400000_NS6detail17trampoline_kernelINS0_14default_configENS1_25partition_config_selectorILNS1_17partition_subalgoE9EllbEEZZNS1_14partition_implILS5_9ELb0ES3_jPlS8_PNS0_10empty_typeENS0_5tupleIJS8_S9_EEENSB_IJS8_SA_EEENS0_18inequality_wrapperIZN2at6native12_GLOBAL__N_124unique_dim_cuda_templateItEESt5tupleIJNSF_6TensorESK_SK_EERKSK_lbbbEUlllE0_EEPmJS9_EEE10hipError_tPvRmT3_T4_T5_T6_T7_T9_mT8_P12ihipStream_tbDpT10_ENKUlT_T0_E_clISt17integral_constantIbLb1EES19_IbLb0EEEEDaS15_S16_EUlS15_E_NS1_11comp_targetILNS1_3genE2ELNS1_11target_archE906ELNS1_3gpuE6ELNS1_3repE0EEENS1_30default_config_static_selectorELNS0_4arch9wavefront6targetE1EEEvT1_
; %bb.0:
	.section	.rodata,"a",@progbits
	.p2align	6, 0x0
	.amdhsa_kernel _ZN7rocprim17ROCPRIM_400000_NS6detail17trampoline_kernelINS0_14default_configENS1_25partition_config_selectorILNS1_17partition_subalgoE9EllbEEZZNS1_14partition_implILS5_9ELb0ES3_jPlS8_PNS0_10empty_typeENS0_5tupleIJS8_S9_EEENSB_IJS8_SA_EEENS0_18inequality_wrapperIZN2at6native12_GLOBAL__N_124unique_dim_cuda_templateItEESt5tupleIJNSF_6TensorESK_SK_EERKSK_lbbbEUlllE0_EEPmJS9_EEE10hipError_tPvRmT3_T4_T5_T6_T7_T9_mT8_P12ihipStream_tbDpT10_ENKUlT_T0_E_clISt17integral_constantIbLb1EES19_IbLb0EEEEDaS15_S16_EUlS15_E_NS1_11comp_targetILNS1_3genE2ELNS1_11target_archE906ELNS1_3gpuE6ELNS1_3repE0EEENS1_30default_config_static_selectorELNS0_4arch9wavefront6targetE1EEEvT1_
		.amdhsa_group_segment_fixed_size 0
		.amdhsa_private_segment_fixed_size 0
		.amdhsa_kernarg_size 120
		.amdhsa_user_sgpr_count 6
		.amdhsa_user_sgpr_private_segment_buffer 1
		.amdhsa_user_sgpr_dispatch_ptr 0
		.amdhsa_user_sgpr_queue_ptr 0
		.amdhsa_user_sgpr_kernarg_segment_ptr 1
		.amdhsa_user_sgpr_dispatch_id 0
		.amdhsa_user_sgpr_flat_scratch_init 0
		.amdhsa_user_sgpr_kernarg_preload_length 0
		.amdhsa_user_sgpr_kernarg_preload_offset 0
		.amdhsa_user_sgpr_private_segment_size 0
		.amdhsa_uses_dynamic_stack 0
		.amdhsa_system_sgpr_private_segment_wavefront_offset 0
		.amdhsa_system_sgpr_workgroup_id_x 1
		.amdhsa_system_sgpr_workgroup_id_y 0
		.amdhsa_system_sgpr_workgroup_id_z 0
		.amdhsa_system_sgpr_workgroup_info 0
		.amdhsa_system_vgpr_workitem_id 0
		.amdhsa_next_free_vgpr 1
		.amdhsa_next_free_sgpr 0
		.amdhsa_accum_offset 4
		.amdhsa_reserve_vcc 0
		.amdhsa_reserve_flat_scratch 0
		.amdhsa_float_round_mode_32 0
		.amdhsa_float_round_mode_16_64 0
		.amdhsa_float_denorm_mode_32 3
		.amdhsa_float_denorm_mode_16_64 3
		.amdhsa_dx10_clamp 1
		.amdhsa_ieee_mode 1
		.amdhsa_fp16_overflow 0
		.amdhsa_tg_split 0
		.amdhsa_exception_fp_ieee_invalid_op 0
		.amdhsa_exception_fp_denorm_src 0
		.amdhsa_exception_fp_ieee_div_zero 0
		.amdhsa_exception_fp_ieee_overflow 0
		.amdhsa_exception_fp_ieee_underflow 0
		.amdhsa_exception_fp_ieee_inexact 0
		.amdhsa_exception_int_div_zero 0
	.end_amdhsa_kernel
	.section	.text._ZN7rocprim17ROCPRIM_400000_NS6detail17trampoline_kernelINS0_14default_configENS1_25partition_config_selectorILNS1_17partition_subalgoE9EllbEEZZNS1_14partition_implILS5_9ELb0ES3_jPlS8_PNS0_10empty_typeENS0_5tupleIJS8_S9_EEENSB_IJS8_SA_EEENS0_18inequality_wrapperIZN2at6native12_GLOBAL__N_124unique_dim_cuda_templateItEESt5tupleIJNSF_6TensorESK_SK_EERKSK_lbbbEUlllE0_EEPmJS9_EEE10hipError_tPvRmT3_T4_T5_T6_T7_T9_mT8_P12ihipStream_tbDpT10_ENKUlT_T0_E_clISt17integral_constantIbLb1EES19_IbLb0EEEEDaS15_S16_EUlS15_E_NS1_11comp_targetILNS1_3genE2ELNS1_11target_archE906ELNS1_3gpuE6ELNS1_3repE0EEENS1_30default_config_static_selectorELNS0_4arch9wavefront6targetE1EEEvT1_,"axG",@progbits,_ZN7rocprim17ROCPRIM_400000_NS6detail17trampoline_kernelINS0_14default_configENS1_25partition_config_selectorILNS1_17partition_subalgoE9EllbEEZZNS1_14partition_implILS5_9ELb0ES3_jPlS8_PNS0_10empty_typeENS0_5tupleIJS8_S9_EEENSB_IJS8_SA_EEENS0_18inequality_wrapperIZN2at6native12_GLOBAL__N_124unique_dim_cuda_templateItEESt5tupleIJNSF_6TensorESK_SK_EERKSK_lbbbEUlllE0_EEPmJS9_EEE10hipError_tPvRmT3_T4_T5_T6_T7_T9_mT8_P12ihipStream_tbDpT10_ENKUlT_T0_E_clISt17integral_constantIbLb1EES19_IbLb0EEEEDaS15_S16_EUlS15_E_NS1_11comp_targetILNS1_3genE2ELNS1_11target_archE906ELNS1_3gpuE6ELNS1_3repE0EEENS1_30default_config_static_selectorELNS0_4arch9wavefront6targetE1EEEvT1_,comdat
.Lfunc_end1469:
	.size	_ZN7rocprim17ROCPRIM_400000_NS6detail17trampoline_kernelINS0_14default_configENS1_25partition_config_selectorILNS1_17partition_subalgoE9EllbEEZZNS1_14partition_implILS5_9ELb0ES3_jPlS8_PNS0_10empty_typeENS0_5tupleIJS8_S9_EEENSB_IJS8_SA_EEENS0_18inequality_wrapperIZN2at6native12_GLOBAL__N_124unique_dim_cuda_templateItEESt5tupleIJNSF_6TensorESK_SK_EERKSK_lbbbEUlllE0_EEPmJS9_EEE10hipError_tPvRmT3_T4_T5_T6_T7_T9_mT8_P12ihipStream_tbDpT10_ENKUlT_T0_E_clISt17integral_constantIbLb1EES19_IbLb0EEEEDaS15_S16_EUlS15_E_NS1_11comp_targetILNS1_3genE2ELNS1_11target_archE906ELNS1_3gpuE6ELNS1_3repE0EEENS1_30default_config_static_selectorELNS0_4arch9wavefront6targetE1EEEvT1_, .Lfunc_end1469-_ZN7rocprim17ROCPRIM_400000_NS6detail17trampoline_kernelINS0_14default_configENS1_25partition_config_selectorILNS1_17partition_subalgoE9EllbEEZZNS1_14partition_implILS5_9ELb0ES3_jPlS8_PNS0_10empty_typeENS0_5tupleIJS8_S9_EEENSB_IJS8_SA_EEENS0_18inequality_wrapperIZN2at6native12_GLOBAL__N_124unique_dim_cuda_templateItEESt5tupleIJNSF_6TensorESK_SK_EERKSK_lbbbEUlllE0_EEPmJS9_EEE10hipError_tPvRmT3_T4_T5_T6_T7_T9_mT8_P12ihipStream_tbDpT10_ENKUlT_T0_E_clISt17integral_constantIbLb1EES19_IbLb0EEEEDaS15_S16_EUlS15_E_NS1_11comp_targetILNS1_3genE2ELNS1_11target_archE906ELNS1_3gpuE6ELNS1_3repE0EEENS1_30default_config_static_selectorELNS0_4arch9wavefront6targetE1EEEvT1_
                                        ; -- End function
	.section	.AMDGPU.csdata,"",@progbits
; Kernel info:
; codeLenInByte = 0
; NumSgprs: 4
; NumVgprs: 0
; NumAgprs: 0
; TotalNumVgprs: 0
; ScratchSize: 0
; MemoryBound: 0
; FloatMode: 240
; IeeeMode: 1
; LDSByteSize: 0 bytes/workgroup (compile time only)
; SGPRBlocks: 0
; VGPRBlocks: 0
; NumSGPRsForWavesPerEU: 4
; NumVGPRsForWavesPerEU: 1
; AccumOffset: 4
; Occupancy: 8
; WaveLimiterHint : 0
; COMPUTE_PGM_RSRC2:SCRATCH_EN: 0
; COMPUTE_PGM_RSRC2:USER_SGPR: 6
; COMPUTE_PGM_RSRC2:TRAP_HANDLER: 0
; COMPUTE_PGM_RSRC2:TGID_X_EN: 1
; COMPUTE_PGM_RSRC2:TGID_Y_EN: 0
; COMPUTE_PGM_RSRC2:TGID_Z_EN: 0
; COMPUTE_PGM_RSRC2:TIDIG_COMP_CNT: 0
; COMPUTE_PGM_RSRC3_GFX90A:ACCUM_OFFSET: 0
; COMPUTE_PGM_RSRC3_GFX90A:TG_SPLIT: 0
	.section	.text._ZN7rocprim17ROCPRIM_400000_NS6detail17trampoline_kernelINS0_14default_configENS1_25partition_config_selectorILNS1_17partition_subalgoE9EllbEEZZNS1_14partition_implILS5_9ELb0ES3_jPlS8_PNS0_10empty_typeENS0_5tupleIJS8_S9_EEENSB_IJS8_SA_EEENS0_18inequality_wrapperIZN2at6native12_GLOBAL__N_124unique_dim_cuda_templateItEESt5tupleIJNSF_6TensorESK_SK_EERKSK_lbbbEUlllE0_EEPmJS9_EEE10hipError_tPvRmT3_T4_T5_T6_T7_T9_mT8_P12ihipStream_tbDpT10_ENKUlT_T0_E_clISt17integral_constantIbLb1EES19_IbLb0EEEEDaS15_S16_EUlS15_E_NS1_11comp_targetILNS1_3genE10ELNS1_11target_archE1200ELNS1_3gpuE4ELNS1_3repE0EEENS1_30default_config_static_selectorELNS0_4arch9wavefront6targetE1EEEvT1_,"axG",@progbits,_ZN7rocprim17ROCPRIM_400000_NS6detail17trampoline_kernelINS0_14default_configENS1_25partition_config_selectorILNS1_17partition_subalgoE9EllbEEZZNS1_14partition_implILS5_9ELb0ES3_jPlS8_PNS0_10empty_typeENS0_5tupleIJS8_S9_EEENSB_IJS8_SA_EEENS0_18inequality_wrapperIZN2at6native12_GLOBAL__N_124unique_dim_cuda_templateItEESt5tupleIJNSF_6TensorESK_SK_EERKSK_lbbbEUlllE0_EEPmJS9_EEE10hipError_tPvRmT3_T4_T5_T6_T7_T9_mT8_P12ihipStream_tbDpT10_ENKUlT_T0_E_clISt17integral_constantIbLb1EES19_IbLb0EEEEDaS15_S16_EUlS15_E_NS1_11comp_targetILNS1_3genE10ELNS1_11target_archE1200ELNS1_3gpuE4ELNS1_3repE0EEENS1_30default_config_static_selectorELNS0_4arch9wavefront6targetE1EEEvT1_,comdat
	.globl	_ZN7rocprim17ROCPRIM_400000_NS6detail17trampoline_kernelINS0_14default_configENS1_25partition_config_selectorILNS1_17partition_subalgoE9EllbEEZZNS1_14partition_implILS5_9ELb0ES3_jPlS8_PNS0_10empty_typeENS0_5tupleIJS8_S9_EEENSB_IJS8_SA_EEENS0_18inequality_wrapperIZN2at6native12_GLOBAL__N_124unique_dim_cuda_templateItEESt5tupleIJNSF_6TensorESK_SK_EERKSK_lbbbEUlllE0_EEPmJS9_EEE10hipError_tPvRmT3_T4_T5_T6_T7_T9_mT8_P12ihipStream_tbDpT10_ENKUlT_T0_E_clISt17integral_constantIbLb1EES19_IbLb0EEEEDaS15_S16_EUlS15_E_NS1_11comp_targetILNS1_3genE10ELNS1_11target_archE1200ELNS1_3gpuE4ELNS1_3repE0EEENS1_30default_config_static_selectorELNS0_4arch9wavefront6targetE1EEEvT1_ ; -- Begin function _ZN7rocprim17ROCPRIM_400000_NS6detail17trampoline_kernelINS0_14default_configENS1_25partition_config_selectorILNS1_17partition_subalgoE9EllbEEZZNS1_14partition_implILS5_9ELb0ES3_jPlS8_PNS0_10empty_typeENS0_5tupleIJS8_S9_EEENSB_IJS8_SA_EEENS0_18inequality_wrapperIZN2at6native12_GLOBAL__N_124unique_dim_cuda_templateItEESt5tupleIJNSF_6TensorESK_SK_EERKSK_lbbbEUlllE0_EEPmJS9_EEE10hipError_tPvRmT3_T4_T5_T6_T7_T9_mT8_P12ihipStream_tbDpT10_ENKUlT_T0_E_clISt17integral_constantIbLb1EES19_IbLb0EEEEDaS15_S16_EUlS15_E_NS1_11comp_targetILNS1_3genE10ELNS1_11target_archE1200ELNS1_3gpuE4ELNS1_3repE0EEENS1_30default_config_static_selectorELNS0_4arch9wavefront6targetE1EEEvT1_
	.p2align	8
	.type	_ZN7rocprim17ROCPRIM_400000_NS6detail17trampoline_kernelINS0_14default_configENS1_25partition_config_selectorILNS1_17partition_subalgoE9EllbEEZZNS1_14partition_implILS5_9ELb0ES3_jPlS8_PNS0_10empty_typeENS0_5tupleIJS8_S9_EEENSB_IJS8_SA_EEENS0_18inequality_wrapperIZN2at6native12_GLOBAL__N_124unique_dim_cuda_templateItEESt5tupleIJNSF_6TensorESK_SK_EERKSK_lbbbEUlllE0_EEPmJS9_EEE10hipError_tPvRmT3_T4_T5_T6_T7_T9_mT8_P12ihipStream_tbDpT10_ENKUlT_T0_E_clISt17integral_constantIbLb1EES19_IbLb0EEEEDaS15_S16_EUlS15_E_NS1_11comp_targetILNS1_3genE10ELNS1_11target_archE1200ELNS1_3gpuE4ELNS1_3repE0EEENS1_30default_config_static_selectorELNS0_4arch9wavefront6targetE1EEEvT1_,@function
_ZN7rocprim17ROCPRIM_400000_NS6detail17trampoline_kernelINS0_14default_configENS1_25partition_config_selectorILNS1_17partition_subalgoE9EllbEEZZNS1_14partition_implILS5_9ELb0ES3_jPlS8_PNS0_10empty_typeENS0_5tupleIJS8_S9_EEENSB_IJS8_SA_EEENS0_18inequality_wrapperIZN2at6native12_GLOBAL__N_124unique_dim_cuda_templateItEESt5tupleIJNSF_6TensorESK_SK_EERKSK_lbbbEUlllE0_EEPmJS9_EEE10hipError_tPvRmT3_T4_T5_T6_T7_T9_mT8_P12ihipStream_tbDpT10_ENKUlT_T0_E_clISt17integral_constantIbLb1EES19_IbLb0EEEEDaS15_S16_EUlS15_E_NS1_11comp_targetILNS1_3genE10ELNS1_11target_archE1200ELNS1_3gpuE4ELNS1_3repE0EEENS1_30default_config_static_selectorELNS0_4arch9wavefront6targetE1EEEvT1_: ; @_ZN7rocprim17ROCPRIM_400000_NS6detail17trampoline_kernelINS0_14default_configENS1_25partition_config_selectorILNS1_17partition_subalgoE9EllbEEZZNS1_14partition_implILS5_9ELb0ES3_jPlS8_PNS0_10empty_typeENS0_5tupleIJS8_S9_EEENSB_IJS8_SA_EEENS0_18inequality_wrapperIZN2at6native12_GLOBAL__N_124unique_dim_cuda_templateItEESt5tupleIJNSF_6TensorESK_SK_EERKSK_lbbbEUlllE0_EEPmJS9_EEE10hipError_tPvRmT3_T4_T5_T6_T7_T9_mT8_P12ihipStream_tbDpT10_ENKUlT_T0_E_clISt17integral_constantIbLb1EES19_IbLb0EEEEDaS15_S16_EUlS15_E_NS1_11comp_targetILNS1_3genE10ELNS1_11target_archE1200ELNS1_3gpuE4ELNS1_3repE0EEENS1_30default_config_static_selectorELNS0_4arch9wavefront6targetE1EEEvT1_
; %bb.0:
	.section	.rodata,"a",@progbits
	.p2align	6, 0x0
	.amdhsa_kernel _ZN7rocprim17ROCPRIM_400000_NS6detail17trampoline_kernelINS0_14default_configENS1_25partition_config_selectorILNS1_17partition_subalgoE9EllbEEZZNS1_14partition_implILS5_9ELb0ES3_jPlS8_PNS0_10empty_typeENS0_5tupleIJS8_S9_EEENSB_IJS8_SA_EEENS0_18inequality_wrapperIZN2at6native12_GLOBAL__N_124unique_dim_cuda_templateItEESt5tupleIJNSF_6TensorESK_SK_EERKSK_lbbbEUlllE0_EEPmJS9_EEE10hipError_tPvRmT3_T4_T5_T6_T7_T9_mT8_P12ihipStream_tbDpT10_ENKUlT_T0_E_clISt17integral_constantIbLb1EES19_IbLb0EEEEDaS15_S16_EUlS15_E_NS1_11comp_targetILNS1_3genE10ELNS1_11target_archE1200ELNS1_3gpuE4ELNS1_3repE0EEENS1_30default_config_static_selectorELNS0_4arch9wavefront6targetE1EEEvT1_
		.amdhsa_group_segment_fixed_size 0
		.amdhsa_private_segment_fixed_size 0
		.amdhsa_kernarg_size 120
		.amdhsa_user_sgpr_count 6
		.amdhsa_user_sgpr_private_segment_buffer 1
		.amdhsa_user_sgpr_dispatch_ptr 0
		.amdhsa_user_sgpr_queue_ptr 0
		.amdhsa_user_sgpr_kernarg_segment_ptr 1
		.amdhsa_user_sgpr_dispatch_id 0
		.amdhsa_user_sgpr_flat_scratch_init 0
		.amdhsa_user_sgpr_kernarg_preload_length 0
		.amdhsa_user_sgpr_kernarg_preload_offset 0
		.amdhsa_user_sgpr_private_segment_size 0
		.amdhsa_uses_dynamic_stack 0
		.amdhsa_system_sgpr_private_segment_wavefront_offset 0
		.amdhsa_system_sgpr_workgroup_id_x 1
		.amdhsa_system_sgpr_workgroup_id_y 0
		.amdhsa_system_sgpr_workgroup_id_z 0
		.amdhsa_system_sgpr_workgroup_info 0
		.amdhsa_system_vgpr_workitem_id 0
		.amdhsa_next_free_vgpr 1
		.amdhsa_next_free_sgpr 0
		.amdhsa_accum_offset 4
		.amdhsa_reserve_vcc 0
		.amdhsa_reserve_flat_scratch 0
		.amdhsa_float_round_mode_32 0
		.amdhsa_float_round_mode_16_64 0
		.amdhsa_float_denorm_mode_32 3
		.amdhsa_float_denorm_mode_16_64 3
		.amdhsa_dx10_clamp 1
		.amdhsa_ieee_mode 1
		.amdhsa_fp16_overflow 0
		.amdhsa_tg_split 0
		.amdhsa_exception_fp_ieee_invalid_op 0
		.amdhsa_exception_fp_denorm_src 0
		.amdhsa_exception_fp_ieee_div_zero 0
		.amdhsa_exception_fp_ieee_overflow 0
		.amdhsa_exception_fp_ieee_underflow 0
		.amdhsa_exception_fp_ieee_inexact 0
		.amdhsa_exception_int_div_zero 0
	.end_amdhsa_kernel
	.section	.text._ZN7rocprim17ROCPRIM_400000_NS6detail17trampoline_kernelINS0_14default_configENS1_25partition_config_selectorILNS1_17partition_subalgoE9EllbEEZZNS1_14partition_implILS5_9ELb0ES3_jPlS8_PNS0_10empty_typeENS0_5tupleIJS8_S9_EEENSB_IJS8_SA_EEENS0_18inequality_wrapperIZN2at6native12_GLOBAL__N_124unique_dim_cuda_templateItEESt5tupleIJNSF_6TensorESK_SK_EERKSK_lbbbEUlllE0_EEPmJS9_EEE10hipError_tPvRmT3_T4_T5_T6_T7_T9_mT8_P12ihipStream_tbDpT10_ENKUlT_T0_E_clISt17integral_constantIbLb1EES19_IbLb0EEEEDaS15_S16_EUlS15_E_NS1_11comp_targetILNS1_3genE10ELNS1_11target_archE1200ELNS1_3gpuE4ELNS1_3repE0EEENS1_30default_config_static_selectorELNS0_4arch9wavefront6targetE1EEEvT1_,"axG",@progbits,_ZN7rocprim17ROCPRIM_400000_NS6detail17trampoline_kernelINS0_14default_configENS1_25partition_config_selectorILNS1_17partition_subalgoE9EllbEEZZNS1_14partition_implILS5_9ELb0ES3_jPlS8_PNS0_10empty_typeENS0_5tupleIJS8_S9_EEENSB_IJS8_SA_EEENS0_18inequality_wrapperIZN2at6native12_GLOBAL__N_124unique_dim_cuda_templateItEESt5tupleIJNSF_6TensorESK_SK_EERKSK_lbbbEUlllE0_EEPmJS9_EEE10hipError_tPvRmT3_T4_T5_T6_T7_T9_mT8_P12ihipStream_tbDpT10_ENKUlT_T0_E_clISt17integral_constantIbLb1EES19_IbLb0EEEEDaS15_S16_EUlS15_E_NS1_11comp_targetILNS1_3genE10ELNS1_11target_archE1200ELNS1_3gpuE4ELNS1_3repE0EEENS1_30default_config_static_selectorELNS0_4arch9wavefront6targetE1EEEvT1_,comdat
.Lfunc_end1470:
	.size	_ZN7rocprim17ROCPRIM_400000_NS6detail17trampoline_kernelINS0_14default_configENS1_25partition_config_selectorILNS1_17partition_subalgoE9EllbEEZZNS1_14partition_implILS5_9ELb0ES3_jPlS8_PNS0_10empty_typeENS0_5tupleIJS8_S9_EEENSB_IJS8_SA_EEENS0_18inequality_wrapperIZN2at6native12_GLOBAL__N_124unique_dim_cuda_templateItEESt5tupleIJNSF_6TensorESK_SK_EERKSK_lbbbEUlllE0_EEPmJS9_EEE10hipError_tPvRmT3_T4_T5_T6_T7_T9_mT8_P12ihipStream_tbDpT10_ENKUlT_T0_E_clISt17integral_constantIbLb1EES19_IbLb0EEEEDaS15_S16_EUlS15_E_NS1_11comp_targetILNS1_3genE10ELNS1_11target_archE1200ELNS1_3gpuE4ELNS1_3repE0EEENS1_30default_config_static_selectorELNS0_4arch9wavefront6targetE1EEEvT1_, .Lfunc_end1470-_ZN7rocprim17ROCPRIM_400000_NS6detail17trampoline_kernelINS0_14default_configENS1_25partition_config_selectorILNS1_17partition_subalgoE9EllbEEZZNS1_14partition_implILS5_9ELb0ES3_jPlS8_PNS0_10empty_typeENS0_5tupleIJS8_S9_EEENSB_IJS8_SA_EEENS0_18inequality_wrapperIZN2at6native12_GLOBAL__N_124unique_dim_cuda_templateItEESt5tupleIJNSF_6TensorESK_SK_EERKSK_lbbbEUlllE0_EEPmJS9_EEE10hipError_tPvRmT3_T4_T5_T6_T7_T9_mT8_P12ihipStream_tbDpT10_ENKUlT_T0_E_clISt17integral_constantIbLb1EES19_IbLb0EEEEDaS15_S16_EUlS15_E_NS1_11comp_targetILNS1_3genE10ELNS1_11target_archE1200ELNS1_3gpuE4ELNS1_3repE0EEENS1_30default_config_static_selectorELNS0_4arch9wavefront6targetE1EEEvT1_
                                        ; -- End function
	.section	.AMDGPU.csdata,"",@progbits
; Kernel info:
; codeLenInByte = 0
; NumSgprs: 4
; NumVgprs: 0
; NumAgprs: 0
; TotalNumVgprs: 0
; ScratchSize: 0
; MemoryBound: 0
; FloatMode: 240
; IeeeMode: 1
; LDSByteSize: 0 bytes/workgroup (compile time only)
; SGPRBlocks: 0
; VGPRBlocks: 0
; NumSGPRsForWavesPerEU: 4
; NumVGPRsForWavesPerEU: 1
; AccumOffset: 4
; Occupancy: 8
; WaveLimiterHint : 0
; COMPUTE_PGM_RSRC2:SCRATCH_EN: 0
; COMPUTE_PGM_RSRC2:USER_SGPR: 6
; COMPUTE_PGM_RSRC2:TRAP_HANDLER: 0
; COMPUTE_PGM_RSRC2:TGID_X_EN: 1
; COMPUTE_PGM_RSRC2:TGID_Y_EN: 0
; COMPUTE_PGM_RSRC2:TGID_Z_EN: 0
; COMPUTE_PGM_RSRC2:TIDIG_COMP_CNT: 0
; COMPUTE_PGM_RSRC3_GFX90A:ACCUM_OFFSET: 0
; COMPUTE_PGM_RSRC3_GFX90A:TG_SPLIT: 0
	.section	.text._ZN7rocprim17ROCPRIM_400000_NS6detail17trampoline_kernelINS0_14default_configENS1_25partition_config_selectorILNS1_17partition_subalgoE9EllbEEZZNS1_14partition_implILS5_9ELb0ES3_jPlS8_PNS0_10empty_typeENS0_5tupleIJS8_S9_EEENSB_IJS8_SA_EEENS0_18inequality_wrapperIZN2at6native12_GLOBAL__N_124unique_dim_cuda_templateItEESt5tupleIJNSF_6TensorESK_SK_EERKSK_lbbbEUlllE0_EEPmJS9_EEE10hipError_tPvRmT3_T4_T5_T6_T7_T9_mT8_P12ihipStream_tbDpT10_ENKUlT_T0_E_clISt17integral_constantIbLb1EES19_IbLb0EEEEDaS15_S16_EUlS15_E_NS1_11comp_targetILNS1_3genE9ELNS1_11target_archE1100ELNS1_3gpuE3ELNS1_3repE0EEENS1_30default_config_static_selectorELNS0_4arch9wavefront6targetE1EEEvT1_,"axG",@progbits,_ZN7rocprim17ROCPRIM_400000_NS6detail17trampoline_kernelINS0_14default_configENS1_25partition_config_selectorILNS1_17partition_subalgoE9EllbEEZZNS1_14partition_implILS5_9ELb0ES3_jPlS8_PNS0_10empty_typeENS0_5tupleIJS8_S9_EEENSB_IJS8_SA_EEENS0_18inequality_wrapperIZN2at6native12_GLOBAL__N_124unique_dim_cuda_templateItEESt5tupleIJNSF_6TensorESK_SK_EERKSK_lbbbEUlllE0_EEPmJS9_EEE10hipError_tPvRmT3_T4_T5_T6_T7_T9_mT8_P12ihipStream_tbDpT10_ENKUlT_T0_E_clISt17integral_constantIbLb1EES19_IbLb0EEEEDaS15_S16_EUlS15_E_NS1_11comp_targetILNS1_3genE9ELNS1_11target_archE1100ELNS1_3gpuE3ELNS1_3repE0EEENS1_30default_config_static_selectorELNS0_4arch9wavefront6targetE1EEEvT1_,comdat
	.globl	_ZN7rocprim17ROCPRIM_400000_NS6detail17trampoline_kernelINS0_14default_configENS1_25partition_config_selectorILNS1_17partition_subalgoE9EllbEEZZNS1_14partition_implILS5_9ELb0ES3_jPlS8_PNS0_10empty_typeENS0_5tupleIJS8_S9_EEENSB_IJS8_SA_EEENS0_18inequality_wrapperIZN2at6native12_GLOBAL__N_124unique_dim_cuda_templateItEESt5tupleIJNSF_6TensorESK_SK_EERKSK_lbbbEUlllE0_EEPmJS9_EEE10hipError_tPvRmT3_T4_T5_T6_T7_T9_mT8_P12ihipStream_tbDpT10_ENKUlT_T0_E_clISt17integral_constantIbLb1EES19_IbLb0EEEEDaS15_S16_EUlS15_E_NS1_11comp_targetILNS1_3genE9ELNS1_11target_archE1100ELNS1_3gpuE3ELNS1_3repE0EEENS1_30default_config_static_selectorELNS0_4arch9wavefront6targetE1EEEvT1_ ; -- Begin function _ZN7rocprim17ROCPRIM_400000_NS6detail17trampoline_kernelINS0_14default_configENS1_25partition_config_selectorILNS1_17partition_subalgoE9EllbEEZZNS1_14partition_implILS5_9ELb0ES3_jPlS8_PNS0_10empty_typeENS0_5tupleIJS8_S9_EEENSB_IJS8_SA_EEENS0_18inequality_wrapperIZN2at6native12_GLOBAL__N_124unique_dim_cuda_templateItEESt5tupleIJNSF_6TensorESK_SK_EERKSK_lbbbEUlllE0_EEPmJS9_EEE10hipError_tPvRmT3_T4_T5_T6_T7_T9_mT8_P12ihipStream_tbDpT10_ENKUlT_T0_E_clISt17integral_constantIbLb1EES19_IbLb0EEEEDaS15_S16_EUlS15_E_NS1_11comp_targetILNS1_3genE9ELNS1_11target_archE1100ELNS1_3gpuE3ELNS1_3repE0EEENS1_30default_config_static_selectorELNS0_4arch9wavefront6targetE1EEEvT1_
	.p2align	8
	.type	_ZN7rocprim17ROCPRIM_400000_NS6detail17trampoline_kernelINS0_14default_configENS1_25partition_config_selectorILNS1_17partition_subalgoE9EllbEEZZNS1_14partition_implILS5_9ELb0ES3_jPlS8_PNS0_10empty_typeENS0_5tupleIJS8_S9_EEENSB_IJS8_SA_EEENS0_18inequality_wrapperIZN2at6native12_GLOBAL__N_124unique_dim_cuda_templateItEESt5tupleIJNSF_6TensorESK_SK_EERKSK_lbbbEUlllE0_EEPmJS9_EEE10hipError_tPvRmT3_T4_T5_T6_T7_T9_mT8_P12ihipStream_tbDpT10_ENKUlT_T0_E_clISt17integral_constantIbLb1EES19_IbLb0EEEEDaS15_S16_EUlS15_E_NS1_11comp_targetILNS1_3genE9ELNS1_11target_archE1100ELNS1_3gpuE3ELNS1_3repE0EEENS1_30default_config_static_selectorELNS0_4arch9wavefront6targetE1EEEvT1_,@function
_ZN7rocprim17ROCPRIM_400000_NS6detail17trampoline_kernelINS0_14default_configENS1_25partition_config_selectorILNS1_17partition_subalgoE9EllbEEZZNS1_14partition_implILS5_9ELb0ES3_jPlS8_PNS0_10empty_typeENS0_5tupleIJS8_S9_EEENSB_IJS8_SA_EEENS0_18inequality_wrapperIZN2at6native12_GLOBAL__N_124unique_dim_cuda_templateItEESt5tupleIJNSF_6TensorESK_SK_EERKSK_lbbbEUlllE0_EEPmJS9_EEE10hipError_tPvRmT3_T4_T5_T6_T7_T9_mT8_P12ihipStream_tbDpT10_ENKUlT_T0_E_clISt17integral_constantIbLb1EES19_IbLb0EEEEDaS15_S16_EUlS15_E_NS1_11comp_targetILNS1_3genE9ELNS1_11target_archE1100ELNS1_3gpuE3ELNS1_3repE0EEENS1_30default_config_static_selectorELNS0_4arch9wavefront6targetE1EEEvT1_: ; @_ZN7rocprim17ROCPRIM_400000_NS6detail17trampoline_kernelINS0_14default_configENS1_25partition_config_selectorILNS1_17partition_subalgoE9EllbEEZZNS1_14partition_implILS5_9ELb0ES3_jPlS8_PNS0_10empty_typeENS0_5tupleIJS8_S9_EEENSB_IJS8_SA_EEENS0_18inequality_wrapperIZN2at6native12_GLOBAL__N_124unique_dim_cuda_templateItEESt5tupleIJNSF_6TensorESK_SK_EERKSK_lbbbEUlllE0_EEPmJS9_EEE10hipError_tPvRmT3_T4_T5_T6_T7_T9_mT8_P12ihipStream_tbDpT10_ENKUlT_T0_E_clISt17integral_constantIbLb1EES19_IbLb0EEEEDaS15_S16_EUlS15_E_NS1_11comp_targetILNS1_3genE9ELNS1_11target_archE1100ELNS1_3gpuE3ELNS1_3repE0EEENS1_30default_config_static_selectorELNS0_4arch9wavefront6targetE1EEEvT1_
; %bb.0:
	.section	.rodata,"a",@progbits
	.p2align	6, 0x0
	.amdhsa_kernel _ZN7rocprim17ROCPRIM_400000_NS6detail17trampoline_kernelINS0_14default_configENS1_25partition_config_selectorILNS1_17partition_subalgoE9EllbEEZZNS1_14partition_implILS5_9ELb0ES3_jPlS8_PNS0_10empty_typeENS0_5tupleIJS8_S9_EEENSB_IJS8_SA_EEENS0_18inequality_wrapperIZN2at6native12_GLOBAL__N_124unique_dim_cuda_templateItEESt5tupleIJNSF_6TensorESK_SK_EERKSK_lbbbEUlllE0_EEPmJS9_EEE10hipError_tPvRmT3_T4_T5_T6_T7_T9_mT8_P12ihipStream_tbDpT10_ENKUlT_T0_E_clISt17integral_constantIbLb1EES19_IbLb0EEEEDaS15_S16_EUlS15_E_NS1_11comp_targetILNS1_3genE9ELNS1_11target_archE1100ELNS1_3gpuE3ELNS1_3repE0EEENS1_30default_config_static_selectorELNS0_4arch9wavefront6targetE1EEEvT1_
		.amdhsa_group_segment_fixed_size 0
		.amdhsa_private_segment_fixed_size 0
		.amdhsa_kernarg_size 120
		.amdhsa_user_sgpr_count 6
		.amdhsa_user_sgpr_private_segment_buffer 1
		.amdhsa_user_sgpr_dispatch_ptr 0
		.amdhsa_user_sgpr_queue_ptr 0
		.amdhsa_user_sgpr_kernarg_segment_ptr 1
		.amdhsa_user_sgpr_dispatch_id 0
		.amdhsa_user_sgpr_flat_scratch_init 0
		.amdhsa_user_sgpr_kernarg_preload_length 0
		.amdhsa_user_sgpr_kernarg_preload_offset 0
		.amdhsa_user_sgpr_private_segment_size 0
		.amdhsa_uses_dynamic_stack 0
		.amdhsa_system_sgpr_private_segment_wavefront_offset 0
		.amdhsa_system_sgpr_workgroup_id_x 1
		.amdhsa_system_sgpr_workgroup_id_y 0
		.amdhsa_system_sgpr_workgroup_id_z 0
		.amdhsa_system_sgpr_workgroup_info 0
		.amdhsa_system_vgpr_workitem_id 0
		.amdhsa_next_free_vgpr 1
		.amdhsa_next_free_sgpr 0
		.amdhsa_accum_offset 4
		.amdhsa_reserve_vcc 0
		.amdhsa_reserve_flat_scratch 0
		.amdhsa_float_round_mode_32 0
		.amdhsa_float_round_mode_16_64 0
		.amdhsa_float_denorm_mode_32 3
		.amdhsa_float_denorm_mode_16_64 3
		.amdhsa_dx10_clamp 1
		.amdhsa_ieee_mode 1
		.amdhsa_fp16_overflow 0
		.amdhsa_tg_split 0
		.amdhsa_exception_fp_ieee_invalid_op 0
		.amdhsa_exception_fp_denorm_src 0
		.amdhsa_exception_fp_ieee_div_zero 0
		.amdhsa_exception_fp_ieee_overflow 0
		.amdhsa_exception_fp_ieee_underflow 0
		.amdhsa_exception_fp_ieee_inexact 0
		.amdhsa_exception_int_div_zero 0
	.end_amdhsa_kernel
	.section	.text._ZN7rocprim17ROCPRIM_400000_NS6detail17trampoline_kernelINS0_14default_configENS1_25partition_config_selectorILNS1_17partition_subalgoE9EllbEEZZNS1_14partition_implILS5_9ELb0ES3_jPlS8_PNS0_10empty_typeENS0_5tupleIJS8_S9_EEENSB_IJS8_SA_EEENS0_18inequality_wrapperIZN2at6native12_GLOBAL__N_124unique_dim_cuda_templateItEESt5tupleIJNSF_6TensorESK_SK_EERKSK_lbbbEUlllE0_EEPmJS9_EEE10hipError_tPvRmT3_T4_T5_T6_T7_T9_mT8_P12ihipStream_tbDpT10_ENKUlT_T0_E_clISt17integral_constantIbLb1EES19_IbLb0EEEEDaS15_S16_EUlS15_E_NS1_11comp_targetILNS1_3genE9ELNS1_11target_archE1100ELNS1_3gpuE3ELNS1_3repE0EEENS1_30default_config_static_selectorELNS0_4arch9wavefront6targetE1EEEvT1_,"axG",@progbits,_ZN7rocprim17ROCPRIM_400000_NS6detail17trampoline_kernelINS0_14default_configENS1_25partition_config_selectorILNS1_17partition_subalgoE9EllbEEZZNS1_14partition_implILS5_9ELb0ES3_jPlS8_PNS0_10empty_typeENS0_5tupleIJS8_S9_EEENSB_IJS8_SA_EEENS0_18inequality_wrapperIZN2at6native12_GLOBAL__N_124unique_dim_cuda_templateItEESt5tupleIJNSF_6TensorESK_SK_EERKSK_lbbbEUlllE0_EEPmJS9_EEE10hipError_tPvRmT3_T4_T5_T6_T7_T9_mT8_P12ihipStream_tbDpT10_ENKUlT_T0_E_clISt17integral_constantIbLb1EES19_IbLb0EEEEDaS15_S16_EUlS15_E_NS1_11comp_targetILNS1_3genE9ELNS1_11target_archE1100ELNS1_3gpuE3ELNS1_3repE0EEENS1_30default_config_static_selectorELNS0_4arch9wavefront6targetE1EEEvT1_,comdat
.Lfunc_end1471:
	.size	_ZN7rocprim17ROCPRIM_400000_NS6detail17trampoline_kernelINS0_14default_configENS1_25partition_config_selectorILNS1_17partition_subalgoE9EllbEEZZNS1_14partition_implILS5_9ELb0ES3_jPlS8_PNS0_10empty_typeENS0_5tupleIJS8_S9_EEENSB_IJS8_SA_EEENS0_18inequality_wrapperIZN2at6native12_GLOBAL__N_124unique_dim_cuda_templateItEESt5tupleIJNSF_6TensorESK_SK_EERKSK_lbbbEUlllE0_EEPmJS9_EEE10hipError_tPvRmT3_T4_T5_T6_T7_T9_mT8_P12ihipStream_tbDpT10_ENKUlT_T0_E_clISt17integral_constantIbLb1EES19_IbLb0EEEEDaS15_S16_EUlS15_E_NS1_11comp_targetILNS1_3genE9ELNS1_11target_archE1100ELNS1_3gpuE3ELNS1_3repE0EEENS1_30default_config_static_selectorELNS0_4arch9wavefront6targetE1EEEvT1_, .Lfunc_end1471-_ZN7rocprim17ROCPRIM_400000_NS6detail17trampoline_kernelINS0_14default_configENS1_25partition_config_selectorILNS1_17partition_subalgoE9EllbEEZZNS1_14partition_implILS5_9ELb0ES3_jPlS8_PNS0_10empty_typeENS0_5tupleIJS8_S9_EEENSB_IJS8_SA_EEENS0_18inequality_wrapperIZN2at6native12_GLOBAL__N_124unique_dim_cuda_templateItEESt5tupleIJNSF_6TensorESK_SK_EERKSK_lbbbEUlllE0_EEPmJS9_EEE10hipError_tPvRmT3_T4_T5_T6_T7_T9_mT8_P12ihipStream_tbDpT10_ENKUlT_T0_E_clISt17integral_constantIbLb1EES19_IbLb0EEEEDaS15_S16_EUlS15_E_NS1_11comp_targetILNS1_3genE9ELNS1_11target_archE1100ELNS1_3gpuE3ELNS1_3repE0EEENS1_30default_config_static_selectorELNS0_4arch9wavefront6targetE1EEEvT1_
                                        ; -- End function
	.section	.AMDGPU.csdata,"",@progbits
; Kernel info:
; codeLenInByte = 0
; NumSgprs: 4
; NumVgprs: 0
; NumAgprs: 0
; TotalNumVgprs: 0
; ScratchSize: 0
; MemoryBound: 0
; FloatMode: 240
; IeeeMode: 1
; LDSByteSize: 0 bytes/workgroup (compile time only)
; SGPRBlocks: 0
; VGPRBlocks: 0
; NumSGPRsForWavesPerEU: 4
; NumVGPRsForWavesPerEU: 1
; AccumOffset: 4
; Occupancy: 8
; WaveLimiterHint : 0
; COMPUTE_PGM_RSRC2:SCRATCH_EN: 0
; COMPUTE_PGM_RSRC2:USER_SGPR: 6
; COMPUTE_PGM_RSRC2:TRAP_HANDLER: 0
; COMPUTE_PGM_RSRC2:TGID_X_EN: 1
; COMPUTE_PGM_RSRC2:TGID_Y_EN: 0
; COMPUTE_PGM_RSRC2:TGID_Z_EN: 0
; COMPUTE_PGM_RSRC2:TIDIG_COMP_CNT: 0
; COMPUTE_PGM_RSRC3_GFX90A:ACCUM_OFFSET: 0
; COMPUTE_PGM_RSRC3_GFX90A:TG_SPLIT: 0
	.section	.text._ZN7rocprim17ROCPRIM_400000_NS6detail17trampoline_kernelINS0_14default_configENS1_25partition_config_selectorILNS1_17partition_subalgoE9EllbEEZZNS1_14partition_implILS5_9ELb0ES3_jPlS8_PNS0_10empty_typeENS0_5tupleIJS8_S9_EEENSB_IJS8_SA_EEENS0_18inequality_wrapperIZN2at6native12_GLOBAL__N_124unique_dim_cuda_templateItEESt5tupleIJNSF_6TensorESK_SK_EERKSK_lbbbEUlllE0_EEPmJS9_EEE10hipError_tPvRmT3_T4_T5_T6_T7_T9_mT8_P12ihipStream_tbDpT10_ENKUlT_T0_E_clISt17integral_constantIbLb1EES19_IbLb0EEEEDaS15_S16_EUlS15_E_NS1_11comp_targetILNS1_3genE8ELNS1_11target_archE1030ELNS1_3gpuE2ELNS1_3repE0EEENS1_30default_config_static_selectorELNS0_4arch9wavefront6targetE1EEEvT1_,"axG",@progbits,_ZN7rocprim17ROCPRIM_400000_NS6detail17trampoline_kernelINS0_14default_configENS1_25partition_config_selectorILNS1_17partition_subalgoE9EllbEEZZNS1_14partition_implILS5_9ELb0ES3_jPlS8_PNS0_10empty_typeENS0_5tupleIJS8_S9_EEENSB_IJS8_SA_EEENS0_18inequality_wrapperIZN2at6native12_GLOBAL__N_124unique_dim_cuda_templateItEESt5tupleIJNSF_6TensorESK_SK_EERKSK_lbbbEUlllE0_EEPmJS9_EEE10hipError_tPvRmT3_T4_T5_T6_T7_T9_mT8_P12ihipStream_tbDpT10_ENKUlT_T0_E_clISt17integral_constantIbLb1EES19_IbLb0EEEEDaS15_S16_EUlS15_E_NS1_11comp_targetILNS1_3genE8ELNS1_11target_archE1030ELNS1_3gpuE2ELNS1_3repE0EEENS1_30default_config_static_selectorELNS0_4arch9wavefront6targetE1EEEvT1_,comdat
	.globl	_ZN7rocprim17ROCPRIM_400000_NS6detail17trampoline_kernelINS0_14default_configENS1_25partition_config_selectorILNS1_17partition_subalgoE9EllbEEZZNS1_14partition_implILS5_9ELb0ES3_jPlS8_PNS0_10empty_typeENS0_5tupleIJS8_S9_EEENSB_IJS8_SA_EEENS0_18inequality_wrapperIZN2at6native12_GLOBAL__N_124unique_dim_cuda_templateItEESt5tupleIJNSF_6TensorESK_SK_EERKSK_lbbbEUlllE0_EEPmJS9_EEE10hipError_tPvRmT3_T4_T5_T6_T7_T9_mT8_P12ihipStream_tbDpT10_ENKUlT_T0_E_clISt17integral_constantIbLb1EES19_IbLb0EEEEDaS15_S16_EUlS15_E_NS1_11comp_targetILNS1_3genE8ELNS1_11target_archE1030ELNS1_3gpuE2ELNS1_3repE0EEENS1_30default_config_static_selectorELNS0_4arch9wavefront6targetE1EEEvT1_ ; -- Begin function _ZN7rocprim17ROCPRIM_400000_NS6detail17trampoline_kernelINS0_14default_configENS1_25partition_config_selectorILNS1_17partition_subalgoE9EllbEEZZNS1_14partition_implILS5_9ELb0ES3_jPlS8_PNS0_10empty_typeENS0_5tupleIJS8_S9_EEENSB_IJS8_SA_EEENS0_18inequality_wrapperIZN2at6native12_GLOBAL__N_124unique_dim_cuda_templateItEESt5tupleIJNSF_6TensorESK_SK_EERKSK_lbbbEUlllE0_EEPmJS9_EEE10hipError_tPvRmT3_T4_T5_T6_T7_T9_mT8_P12ihipStream_tbDpT10_ENKUlT_T0_E_clISt17integral_constantIbLb1EES19_IbLb0EEEEDaS15_S16_EUlS15_E_NS1_11comp_targetILNS1_3genE8ELNS1_11target_archE1030ELNS1_3gpuE2ELNS1_3repE0EEENS1_30default_config_static_selectorELNS0_4arch9wavefront6targetE1EEEvT1_
	.p2align	8
	.type	_ZN7rocprim17ROCPRIM_400000_NS6detail17trampoline_kernelINS0_14default_configENS1_25partition_config_selectorILNS1_17partition_subalgoE9EllbEEZZNS1_14partition_implILS5_9ELb0ES3_jPlS8_PNS0_10empty_typeENS0_5tupleIJS8_S9_EEENSB_IJS8_SA_EEENS0_18inequality_wrapperIZN2at6native12_GLOBAL__N_124unique_dim_cuda_templateItEESt5tupleIJNSF_6TensorESK_SK_EERKSK_lbbbEUlllE0_EEPmJS9_EEE10hipError_tPvRmT3_T4_T5_T6_T7_T9_mT8_P12ihipStream_tbDpT10_ENKUlT_T0_E_clISt17integral_constantIbLb1EES19_IbLb0EEEEDaS15_S16_EUlS15_E_NS1_11comp_targetILNS1_3genE8ELNS1_11target_archE1030ELNS1_3gpuE2ELNS1_3repE0EEENS1_30default_config_static_selectorELNS0_4arch9wavefront6targetE1EEEvT1_,@function
_ZN7rocprim17ROCPRIM_400000_NS6detail17trampoline_kernelINS0_14default_configENS1_25partition_config_selectorILNS1_17partition_subalgoE9EllbEEZZNS1_14partition_implILS5_9ELb0ES3_jPlS8_PNS0_10empty_typeENS0_5tupleIJS8_S9_EEENSB_IJS8_SA_EEENS0_18inequality_wrapperIZN2at6native12_GLOBAL__N_124unique_dim_cuda_templateItEESt5tupleIJNSF_6TensorESK_SK_EERKSK_lbbbEUlllE0_EEPmJS9_EEE10hipError_tPvRmT3_T4_T5_T6_T7_T9_mT8_P12ihipStream_tbDpT10_ENKUlT_T0_E_clISt17integral_constantIbLb1EES19_IbLb0EEEEDaS15_S16_EUlS15_E_NS1_11comp_targetILNS1_3genE8ELNS1_11target_archE1030ELNS1_3gpuE2ELNS1_3repE0EEENS1_30default_config_static_selectorELNS0_4arch9wavefront6targetE1EEEvT1_: ; @_ZN7rocprim17ROCPRIM_400000_NS6detail17trampoline_kernelINS0_14default_configENS1_25partition_config_selectorILNS1_17partition_subalgoE9EllbEEZZNS1_14partition_implILS5_9ELb0ES3_jPlS8_PNS0_10empty_typeENS0_5tupleIJS8_S9_EEENSB_IJS8_SA_EEENS0_18inequality_wrapperIZN2at6native12_GLOBAL__N_124unique_dim_cuda_templateItEESt5tupleIJNSF_6TensorESK_SK_EERKSK_lbbbEUlllE0_EEPmJS9_EEE10hipError_tPvRmT3_T4_T5_T6_T7_T9_mT8_P12ihipStream_tbDpT10_ENKUlT_T0_E_clISt17integral_constantIbLb1EES19_IbLb0EEEEDaS15_S16_EUlS15_E_NS1_11comp_targetILNS1_3genE8ELNS1_11target_archE1030ELNS1_3gpuE2ELNS1_3repE0EEENS1_30default_config_static_selectorELNS0_4arch9wavefront6targetE1EEEvT1_
; %bb.0:
	.section	.rodata,"a",@progbits
	.p2align	6, 0x0
	.amdhsa_kernel _ZN7rocprim17ROCPRIM_400000_NS6detail17trampoline_kernelINS0_14default_configENS1_25partition_config_selectorILNS1_17partition_subalgoE9EllbEEZZNS1_14partition_implILS5_9ELb0ES3_jPlS8_PNS0_10empty_typeENS0_5tupleIJS8_S9_EEENSB_IJS8_SA_EEENS0_18inequality_wrapperIZN2at6native12_GLOBAL__N_124unique_dim_cuda_templateItEESt5tupleIJNSF_6TensorESK_SK_EERKSK_lbbbEUlllE0_EEPmJS9_EEE10hipError_tPvRmT3_T4_T5_T6_T7_T9_mT8_P12ihipStream_tbDpT10_ENKUlT_T0_E_clISt17integral_constantIbLb1EES19_IbLb0EEEEDaS15_S16_EUlS15_E_NS1_11comp_targetILNS1_3genE8ELNS1_11target_archE1030ELNS1_3gpuE2ELNS1_3repE0EEENS1_30default_config_static_selectorELNS0_4arch9wavefront6targetE1EEEvT1_
		.amdhsa_group_segment_fixed_size 0
		.amdhsa_private_segment_fixed_size 0
		.amdhsa_kernarg_size 120
		.amdhsa_user_sgpr_count 6
		.amdhsa_user_sgpr_private_segment_buffer 1
		.amdhsa_user_sgpr_dispatch_ptr 0
		.amdhsa_user_sgpr_queue_ptr 0
		.amdhsa_user_sgpr_kernarg_segment_ptr 1
		.amdhsa_user_sgpr_dispatch_id 0
		.amdhsa_user_sgpr_flat_scratch_init 0
		.amdhsa_user_sgpr_kernarg_preload_length 0
		.amdhsa_user_sgpr_kernarg_preload_offset 0
		.amdhsa_user_sgpr_private_segment_size 0
		.amdhsa_uses_dynamic_stack 0
		.amdhsa_system_sgpr_private_segment_wavefront_offset 0
		.amdhsa_system_sgpr_workgroup_id_x 1
		.amdhsa_system_sgpr_workgroup_id_y 0
		.amdhsa_system_sgpr_workgroup_id_z 0
		.amdhsa_system_sgpr_workgroup_info 0
		.amdhsa_system_vgpr_workitem_id 0
		.amdhsa_next_free_vgpr 1
		.amdhsa_next_free_sgpr 0
		.amdhsa_accum_offset 4
		.amdhsa_reserve_vcc 0
		.amdhsa_reserve_flat_scratch 0
		.amdhsa_float_round_mode_32 0
		.amdhsa_float_round_mode_16_64 0
		.amdhsa_float_denorm_mode_32 3
		.amdhsa_float_denorm_mode_16_64 3
		.amdhsa_dx10_clamp 1
		.amdhsa_ieee_mode 1
		.amdhsa_fp16_overflow 0
		.amdhsa_tg_split 0
		.amdhsa_exception_fp_ieee_invalid_op 0
		.amdhsa_exception_fp_denorm_src 0
		.amdhsa_exception_fp_ieee_div_zero 0
		.amdhsa_exception_fp_ieee_overflow 0
		.amdhsa_exception_fp_ieee_underflow 0
		.amdhsa_exception_fp_ieee_inexact 0
		.amdhsa_exception_int_div_zero 0
	.end_amdhsa_kernel
	.section	.text._ZN7rocprim17ROCPRIM_400000_NS6detail17trampoline_kernelINS0_14default_configENS1_25partition_config_selectorILNS1_17partition_subalgoE9EllbEEZZNS1_14partition_implILS5_9ELb0ES3_jPlS8_PNS0_10empty_typeENS0_5tupleIJS8_S9_EEENSB_IJS8_SA_EEENS0_18inequality_wrapperIZN2at6native12_GLOBAL__N_124unique_dim_cuda_templateItEESt5tupleIJNSF_6TensorESK_SK_EERKSK_lbbbEUlllE0_EEPmJS9_EEE10hipError_tPvRmT3_T4_T5_T6_T7_T9_mT8_P12ihipStream_tbDpT10_ENKUlT_T0_E_clISt17integral_constantIbLb1EES19_IbLb0EEEEDaS15_S16_EUlS15_E_NS1_11comp_targetILNS1_3genE8ELNS1_11target_archE1030ELNS1_3gpuE2ELNS1_3repE0EEENS1_30default_config_static_selectorELNS0_4arch9wavefront6targetE1EEEvT1_,"axG",@progbits,_ZN7rocprim17ROCPRIM_400000_NS6detail17trampoline_kernelINS0_14default_configENS1_25partition_config_selectorILNS1_17partition_subalgoE9EllbEEZZNS1_14partition_implILS5_9ELb0ES3_jPlS8_PNS0_10empty_typeENS0_5tupleIJS8_S9_EEENSB_IJS8_SA_EEENS0_18inequality_wrapperIZN2at6native12_GLOBAL__N_124unique_dim_cuda_templateItEESt5tupleIJNSF_6TensorESK_SK_EERKSK_lbbbEUlllE0_EEPmJS9_EEE10hipError_tPvRmT3_T4_T5_T6_T7_T9_mT8_P12ihipStream_tbDpT10_ENKUlT_T0_E_clISt17integral_constantIbLb1EES19_IbLb0EEEEDaS15_S16_EUlS15_E_NS1_11comp_targetILNS1_3genE8ELNS1_11target_archE1030ELNS1_3gpuE2ELNS1_3repE0EEENS1_30default_config_static_selectorELNS0_4arch9wavefront6targetE1EEEvT1_,comdat
.Lfunc_end1472:
	.size	_ZN7rocprim17ROCPRIM_400000_NS6detail17trampoline_kernelINS0_14default_configENS1_25partition_config_selectorILNS1_17partition_subalgoE9EllbEEZZNS1_14partition_implILS5_9ELb0ES3_jPlS8_PNS0_10empty_typeENS0_5tupleIJS8_S9_EEENSB_IJS8_SA_EEENS0_18inequality_wrapperIZN2at6native12_GLOBAL__N_124unique_dim_cuda_templateItEESt5tupleIJNSF_6TensorESK_SK_EERKSK_lbbbEUlllE0_EEPmJS9_EEE10hipError_tPvRmT3_T4_T5_T6_T7_T9_mT8_P12ihipStream_tbDpT10_ENKUlT_T0_E_clISt17integral_constantIbLb1EES19_IbLb0EEEEDaS15_S16_EUlS15_E_NS1_11comp_targetILNS1_3genE8ELNS1_11target_archE1030ELNS1_3gpuE2ELNS1_3repE0EEENS1_30default_config_static_selectorELNS0_4arch9wavefront6targetE1EEEvT1_, .Lfunc_end1472-_ZN7rocprim17ROCPRIM_400000_NS6detail17trampoline_kernelINS0_14default_configENS1_25partition_config_selectorILNS1_17partition_subalgoE9EllbEEZZNS1_14partition_implILS5_9ELb0ES3_jPlS8_PNS0_10empty_typeENS0_5tupleIJS8_S9_EEENSB_IJS8_SA_EEENS0_18inequality_wrapperIZN2at6native12_GLOBAL__N_124unique_dim_cuda_templateItEESt5tupleIJNSF_6TensorESK_SK_EERKSK_lbbbEUlllE0_EEPmJS9_EEE10hipError_tPvRmT3_T4_T5_T6_T7_T9_mT8_P12ihipStream_tbDpT10_ENKUlT_T0_E_clISt17integral_constantIbLb1EES19_IbLb0EEEEDaS15_S16_EUlS15_E_NS1_11comp_targetILNS1_3genE8ELNS1_11target_archE1030ELNS1_3gpuE2ELNS1_3repE0EEENS1_30default_config_static_selectorELNS0_4arch9wavefront6targetE1EEEvT1_
                                        ; -- End function
	.section	.AMDGPU.csdata,"",@progbits
; Kernel info:
; codeLenInByte = 0
; NumSgprs: 4
; NumVgprs: 0
; NumAgprs: 0
; TotalNumVgprs: 0
; ScratchSize: 0
; MemoryBound: 0
; FloatMode: 240
; IeeeMode: 1
; LDSByteSize: 0 bytes/workgroup (compile time only)
; SGPRBlocks: 0
; VGPRBlocks: 0
; NumSGPRsForWavesPerEU: 4
; NumVGPRsForWavesPerEU: 1
; AccumOffset: 4
; Occupancy: 8
; WaveLimiterHint : 0
; COMPUTE_PGM_RSRC2:SCRATCH_EN: 0
; COMPUTE_PGM_RSRC2:USER_SGPR: 6
; COMPUTE_PGM_RSRC2:TRAP_HANDLER: 0
; COMPUTE_PGM_RSRC2:TGID_X_EN: 1
; COMPUTE_PGM_RSRC2:TGID_Y_EN: 0
; COMPUTE_PGM_RSRC2:TGID_Z_EN: 0
; COMPUTE_PGM_RSRC2:TIDIG_COMP_CNT: 0
; COMPUTE_PGM_RSRC3_GFX90A:ACCUM_OFFSET: 0
; COMPUTE_PGM_RSRC3_GFX90A:TG_SPLIT: 0
	.section	.text._ZN7rocprim17ROCPRIM_400000_NS6detail17trampoline_kernelINS0_14default_configENS1_25partition_config_selectorILNS1_17partition_subalgoE9EllbEEZZNS1_14partition_implILS5_9ELb0ES3_jPlS8_PNS0_10empty_typeENS0_5tupleIJS8_S9_EEENSB_IJS8_SA_EEENS0_18inequality_wrapperIZN2at6native12_GLOBAL__N_124unique_dim_cuda_templateItEESt5tupleIJNSF_6TensorESK_SK_EERKSK_lbbbEUlllE0_EEPmJS9_EEE10hipError_tPvRmT3_T4_T5_T6_T7_T9_mT8_P12ihipStream_tbDpT10_ENKUlT_T0_E_clISt17integral_constantIbLb0EES19_IbLb1EEEEDaS15_S16_EUlS15_E_NS1_11comp_targetILNS1_3genE0ELNS1_11target_archE4294967295ELNS1_3gpuE0ELNS1_3repE0EEENS1_30default_config_static_selectorELNS0_4arch9wavefront6targetE1EEEvT1_,"axG",@progbits,_ZN7rocprim17ROCPRIM_400000_NS6detail17trampoline_kernelINS0_14default_configENS1_25partition_config_selectorILNS1_17partition_subalgoE9EllbEEZZNS1_14partition_implILS5_9ELb0ES3_jPlS8_PNS0_10empty_typeENS0_5tupleIJS8_S9_EEENSB_IJS8_SA_EEENS0_18inequality_wrapperIZN2at6native12_GLOBAL__N_124unique_dim_cuda_templateItEESt5tupleIJNSF_6TensorESK_SK_EERKSK_lbbbEUlllE0_EEPmJS9_EEE10hipError_tPvRmT3_T4_T5_T6_T7_T9_mT8_P12ihipStream_tbDpT10_ENKUlT_T0_E_clISt17integral_constantIbLb0EES19_IbLb1EEEEDaS15_S16_EUlS15_E_NS1_11comp_targetILNS1_3genE0ELNS1_11target_archE4294967295ELNS1_3gpuE0ELNS1_3repE0EEENS1_30default_config_static_selectorELNS0_4arch9wavefront6targetE1EEEvT1_,comdat
	.globl	_ZN7rocprim17ROCPRIM_400000_NS6detail17trampoline_kernelINS0_14default_configENS1_25partition_config_selectorILNS1_17partition_subalgoE9EllbEEZZNS1_14partition_implILS5_9ELb0ES3_jPlS8_PNS0_10empty_typeENS0_5tupleIJS8_S9_EEENSB_IJS8_SA_EEENS0_18inequality_wrapperIZN2at6native12_GLOBAL__N_124unique_dim_cuda_templateItEESt5tupleIJNSF_6TensorESK_SK_EERKSK_lbbbEUlllE0_EEPmJS9_EEE10hipError_tPvRmT3_T4_T5_T6_T7_T9_mT8_P12ihipStream_tbDpT10_ENKUlT_T0_E_clISt17integral_constantIbLb0EES19_IbLb1EEEEDaS15_S16_EUlS15_E_NS1_11comp_targetILNS1_3genE0ELNS1_11target_archE4294967295ELNS1_3gpuE0ELNS1_3repE0EEENS1_30default_config_static_selectorELNS0_4arch9wavefront6targetE1EEEvT1_ ; -- Begin function _ZN7rocprim17ROCPRIM_400000_NS6detail17trampoline_kernelINS0_14default_configENS1_25partition_config_selectorILNS1_17partition_subalgoE9EllbEEZZNS1_14partition_implILS5_9ELb0ES3_jPlS8_PNS0_10empty_typeENS0_5tupleIJS8_S9_EEENSB_IJS8_SA_EEENS0_18inequality_wrapperIZN2at6native12_GLOBAL__N_124unique_dim_cuda_templateItEESt5tupleIJNSF_6TensorESK_SK_EERKSK_lbbbEUlllE0_EEPmJS9_EEE10hipError_tPvRmT3_T4_T5_T6_T7_T9_mT8_P12ihipStream_tbDpT10_ENKUlT_T0_E_clISt17integral_constantIbLb0EES19_IbLb1EEEEDaS15_S16_EUlS15_E_NS1_11comp_targetILNS1_3genE0ELNS1_11target_archE4294967295ELNS1_3gpuE0ELNS1_3repE0EEENS1_30default_config_static_selectorELNS0_4arch9wavefront6targetE1EEEvT1_
	.p2align	8
	.type	_ZN7rocprim17ROCPRIM_400000_NS6detail17trampoline_kernelINS0_14default_configENS1_25partition_config_selectorILNS1_17partition_subalgoE9EllbEEZZNS1_14partition_implILS5_9ELb0ES3_jPlS8_PNS0_10empty_typeENS0_5tupleIJS8_S9_EEENSB_IJS8_SA_EEENS0_18inequality_wrapperIZN2at6native12_GLOBAL__N_124unique_dim_cuda_templateItEESt5tupleIJNSF_6TensorESK_SK_EERKSK_lbbbEUlllE0_EEPmJS9_EEE10hipError_tPvRmT3_T4_T5_T6_T7_T9_mT8_P12ihipStream_tbDpT10_ENKUlT_T0_E_clISt17integral_constantIbLb0EES19_IbLb1EEEEDaS15_S16_EUlS15_E_NS1_11comp_targetILNS1_3genE0ELNS1_11target_archE4294967295ELNS1_3gpuE0ELNS1_3repE0EEENS1_30default_config_static_selectorELNS0_4arch9wavefront6targetE1EEEvT1_,@function
_ZN7rocprim17ROCPRIM_400000_NS6detail17trampoline_kernelINS0_14default_configENS1_25partition_config_selectorILNS1_17partition_subalgoE9EllbEEZZNS1_14partition_implILS5_9ELb0ES3_jPlS8_PNS0_10empty_typeENS0_5tupleIJS8_S9_EEENSB_IJS8_SA_EEENS0_18inequality_wrapperIZN2at6native12_GLOBAL__N_124unique_dim_cuda_templateItEESt5tupleIJNSF_6TensorESK_SK_EERKSK_lbbbEUlllE0_EEPmJS9_EEE10hipError_tPvRmT3_T4_T5_T6_T7_T9_mT8_P12ihipStream_tbDpT10_ENKUlT_T0_E_clISt17integral_constantIbLb0EES19_IbLb1EEEEDaS15_S16_EUlS15_E_NS1_11comp_targetILNS1_3genE0ELNS1_11target_archE4294967295ELNS1_3gpuE0ELNS1_3repE0EEENS1_30default_config_static_selectorELNS0_4arch9wavefront6targetE1EEEvT1_: ; @_ZN7rocprim17ROCPRIM_400000_NS6detail17trampoline_kernelINS0_14default_configENS1_25partition_config_selectorILNS1_17partition_subalgoE9EllbEEZZNS1_14partition_implILS5_9ELb0ES3_jPlS8_PNS0_10empty_typeENS0_5tupleIJS8_S9_EEENSB_IJS8_SA_EEENS0_18inequality_wrapperIZN2at6native12_GLOBAL__N_124unique_dim_cuda_templateItEESt5tupleIJNSF_6TensorESK_SK_EERKSK_lbbbEUlllE0_EEPmJS9_EEE10hipError_tPvRmT3_T4_T5_T6_T7_T9_mT8_P12ihipStream_tbDpT10_ENKUlT_T0_E_clISt17integral_constantIbLb0EES19_IbLb1EEEEDaS15_S16_EUlS15_E_NS1_11comp_targetILNS1_3genE0ELNS1_11target_archE4294967295ELNS1_3gpuE0ELNS1_3repE0EEENS1_30default_config_static_selectorELNS0_4arch9wavefront6targetE1EEEvT1_
; %bb.0:
	.section	.rodata,"a",@progbits
	.p2align	6, 0x0
	.amdhsa_kernel _ZN7rocprim17ROCPRIM_400000_NS6detail17trampoline_kernelINS0_14default_configENS1_25partition_config_selectorILNS1_17partition_subalgoE9EllbEEZZNS1_14partition_implILS5_9ELb0ES3_jPlS8_PNS0_10empty_typeENS0_5tupleIJS8_S9_EEENSB_IJS8_SA_EEENS0_18inequality_wrapperIZN2at6native12_GLOBAL__N_124unique_dim_cuda_templateItEESt5tupleIJNSF_6TensorESK_SK_EERKSK_lbbbEUlllE0_EEPmJS9_EEE10hipError_tPvRmT3_T4_T5_T6_T7_T9_mT8_P12ihipStream_tbDpT10_ENKUlT_T0_E_clISt17integral_constantIbLb0EES19_IbLb1EEEEDaS15_S16_EUlS15_E_NS1_11comp_targetILNS1_3genE0ELNS1_11target_archE4294967295ELNS1_3gpuE0ELNS1_3repE0EEENS1_30default_config_static_selectorELNS0_4arch9wavefront6targetE1EEEvT1_
		.amdhsa_group_segment_fixed_size 0
		.amdhsa_private_segment_fixed_size 0
		.amdhsa_kernarg_size 136
		.amdhsa_user_sgpr_count 6
		.amdhsa_user_sgpr_private_segment_buffer 1
		.amdhsa_user_sgpr_dispatch_ptr 0
		.amdhsa_user_sgpr_queue_ptr 0
		.amdhsa_user_sgpr_kernarg_segment_ptr 1
		.amdhsa_user_sgpr_dispatch_id 0
		.amdhsa_user_sgpr_flat_scratch_init 0
		.amdhsa_user_sgpr_kernarg_preload_length 0
		.amdhsa_user_sgpr_kernarg_preload_offset 0
		.amdhsa_user_sgpr_private_segment_size 0
		.amdhsa_uses_dynamic_stack 0
		.amdhsa_system_sgpr_private_segment_wavefront_offset 0
		.amdhsa_system_sgpr_workgroup_id_x 1
		.amdhsa_system_sgpr_workgroup_id_y 0
		.amdhsa_system_sgpr_workgroup_id_z 0
		.amdhsa_system_sgpr_workgroup_info 0
		.amdhsa_system_vgpr_workitem_id 0
		.amdhsa_next_free_vgpr 1
		.amdhsa_next_free_sgpr 0
		.amdhsa_accum_offset 4
		.amdhsa_reserve_vcc 0
		.amdhsa_reserve_flat_scratch 0
		.amdhsa_float_round_mode_32 0
		.amdhsa_float_round_mode_16_64 0
		.amdhsa_float_denorm_mode_32 3
		.amdhsa_float_denorm_mode_16_64 3
		.amdhsa_dx10_clamp 1
		.amdhsa_ieee_mode 1
		.amdhsa_fp16_overflow 0
		.amdhsa_tg_split 0
		.amdhsa_exception_fp_ieee_invalid_op 0
		.amdhsa_exception_fp_denorm_src 0
		.amdhsa_exception_fp_ieee_div_zero 0
		.amdhsa_exception_fp_ieee_overflow 0
		.amdhsa_exception_fp_ieee_underflow 0
		.amdhsa_exception_fp_ieee_inexact 0
		.amdhsa_exception_int_div_zero 0
	.end_amdhsa_kernel
	.section	.text._ZN7rocprim17ROCPRIM_400000_NS6detail17trampoline_kernelINS0_14default_configENS1_25partition_config_selectorILNS1_17partition_subalgoE9EllbEEZZNS1_14partition_implILS5_9ELb0ES3_jPlS8_PNS0_10empty_typeENS0_5tupleIJS8_S9_EEENSB_IJS8_SA_EEENS0_18inequality_wrapperIZN2at6native12_GLOBAL__N_124unique_dim_cuda_templateItEESt5tupleIJNSF_6TensorESK_SK_EERKSK_lbbbEUlllE0_EEPmJS9_EEE10hipError_tPvRmT3_T4_T5_T6_T7_T9_mT8_P12ihipStream_tbDpT10_ENKUlT_T0_E_clISt17integral_constantIbLb0EES19_IbLb1EEEEDaS15_S16_EUlS15_E_NS1_11comp_targetILNS1_3genE0ELNS1_11target_archE4294967295ELNS1_3gpuE0ELNS1_3repE0EEENS1_30default_config_static_selectorELNS0_4arch9wavefront6targetE1EEEvT1_,"axG",@progbits,_ZN7rocprim17ROCPRIM_400000_NS6detail17trampoline_kernelINS0_14default_configENS1_25partition_config_selectorILNS1_17partition_subalgoE9EllbEEZZNS1_14partition_implILS5_9ELb0ES3_jPlS8_PNS0_10empty_typeENS0_5tupleIJS8_S9_EEENSB_IJS8_SA_EEENS0_18inequality_wrapperIZN2at6native12_GLOBAL__N_124unique_dim_cuda_templateItEESt5tupleIJNSF_6TensorESK_SK_EERKSK_lbbbEUlllE0_EEPmJS9_EEE10hipError_tPvRmT3_T4_T5_T6_T7_T9_mT8_P12ihipStream_tbDpT10_ENKUlT_T0_E_clISt17integral_constantIbLb0EES19_IbLb1EEEEDaS15_S16_EUlS15_E_NS1_11comp_targetILNS1_3genE0ELNS1_11target_archE4294967295ELNS1_3gpuE0ELNS1_3repE0EEENS1_30default_config_static_selectorELNS0_4arch9wavefront6targetE1EEEvT1_,comdat
.Lfunc_end1473:
	.size	_ZN7rocprim17ROCPRIM_400000_NS6detail17trampoline_kernelINS0_14default_configENS1_25partition_config_selectorILNS1_17partition_subalgoE9EllbEEZZNS1_14partition_implILS5_9ELb0ES3_jPlS8_PNS0_10empty_typeENS0_5tupleIJS8_S9_EEENSB_IJS8_SA_EEENS0_18inequality_wrapperIZN2at6native12_GLOBAL__N_124unique_dim_cuda_templateItEESt5tupleIJNSF_6TensorESK_SK_EERKSK_lbbbEUlllE0_EEPmJS9_EEE10hipError_tPvRmT3_T4_T5_T6_T7_T9_mT8_P12ihipStream_tbDpT10_ENKUlT_T0_E_clISt17integral_constantIbLb0EES19_IbLb1EEEEDaS15_S16_EUlS15_E_NS1_11comp_targetILNS1_3genE0ELNS1_11target_archE4294967295ELNS1_3gpuE0ELNS1_3repE0EEENS1_30default_config_static_selectorELNS0_4arch9wavefront6targetE1EEEvT1_, .Lfunc_end1473-_ZN7rocprim17ROCPRIM_400000_NS6detail17trampoline_kernelINS0_14default_configENS1_25partition_config_selectorILNS1_17partition_subalgoE9EllbEEZZNS1_14partition_implILS5_9ELb0ES3_jPlS8_PNS0_10empty_typeENS0_5tupleIJS8_S9_EEENSB_IJS8_SA_EEENS0_18inequality_wrapperIZN2at6native12_GLOBAL__N_124unique_dim_cuda_templateItEESt5tupleIJNSF_6TensorESK_SK_EERKSK_lbbbEUlllE0_EEPmJS9_EEE10hipError_tPvRmT3_T4_T5_T6_T7_T9_mT8_P12ihipStream_tbDpT10_ENKUlT_T0_E_clISt17integral_constantIbLb0EES19_IbLb1EEEEDaS15_S16_EUlS15_E_NS1_11comp_targetILNS1_3genE0ELNS1_11target_archE4294967295ELNS1_3gpuE0ELNS1_3repE0EEENS1_30default_config_static_selectorELNS0_4arch9wavefront6targetE1EEEvT1_
                                        ; -- End function
	.section	.AMDGPU.csdata,"",@progbits
; Kernel info:
; codeLenInByte = 0
; NumSgprs: 4
; NumVgprs: 0
; NumAgprs: 0
; TotalNumVgprs: 0
; ScratchSize: 0
; MemoryBound: 0
; FloatMode: 240
; IeeeMode: 1
; LDSByteSize: 0 bytes/workgroup (compile time only)
; SGPRBlocks: 0
; VGPRBlocks: 0
; NumSGPRsForWavesPerEU: 4
; NumVGPRsForWavesPerEU: 1
; AccumOffset: 4
; Occupancy: 8
; WaveLimiterHint : 0
; COMPUTE_PGM_RSRC2:SCRATCH_EN: 0
; COMPUTE_PGM_RSRC2:USER_SGPR: 6
; COMPUTE_PGM_RSRC2:TRAP_HANDLER: 0
; COMPUTE_PGM_RSRC2:TGID_X_EN: 1
; COMPUTE_PGM_RSRC2:TGID_Y_EN: 0
; COMPUTE_PGM_RSRC2:TGID_Z_EN: 0
; COMPUTE_PGM_RSRC2:TIDIG_COMP_CNT: 0
; COMPUTE_PGM_RSRC3_GFX90A:ACCUM_OFFSET: 0
; COMPUTE_PGM_RSRC3_GFX90A:TG_SPLIT: 0
	.section	.text._ZN7rocprim17ROCPRIM_400000_NS6detail17trampoline_kernelINS0_14default_configENS1_25partition_config_selectorILNS1_17partition_subalgoE9EllbEEZZNS1_14partition_implILS5_9ELb0ES3_jPlS8_PNS0_10empty_typeENS0_5tupleIJS8_S9_EEENSB_IJS8_SA_EEENS0_18inequality_wrapperIZN2at6native12_GLOBAL__N_124unique_dim_cuda_templateItEESt5tupleIJNSF_6TensorESK_SK_EERKSK_lbbbEUlllE0_EEPmJS9_EEE10hipError_tPvRmT3_T4_T5_T6_T7_T9_mT8_P12ihipStream_tbDpT10_ENKUlT_T0_E_clISt17integral_constantIbLb0EES19_IbLb1EEEEDaS15_S16_EUlS15_E_NS1_11comp_targetILNS1_3genE5ELNS1_11target_archE942ELNS1_3gpuE9ELNS1_3repE0EEENS1_30default_config_static_selectorELNS0_4arch9wavefront6targetE1EEEvT1_,"axG",@progbits,_ZN7rocprim17ROCPRIM_400000_NS6detail17trampoline_kernelINS0_14default_configENS1_25partition_config_selectorILNS1_17partition_subalgoE9EllbEEZZNS1_14partition_implILS5_9ELb0ES3_jPlS8_PNS0_10empty_typeENS0_5tupleIJS8_S9_EEENSB_IJS8_SA_EEENS0_18inequality_wrapperIZN2at6native12_GLOBAL__N_124unique_dim_cuda_templateItEESt5tupleIJNSF_6TensorESK_SK_EERKSK_lbbbEUlllE0_EEPmJS9_EEE10hipError_tPvRmT3_T4_T5_T6_T7_T9_mT8_P12ihipStream_tbDpT10_ENKUlT_T0_E_clISt17integral_constantIbLb0EES19_IbLb1EEEEDaS15_S16_EUlS15_E_NS1_11comp_targetILNS1_3genE5ELNS1_11target_archE942ELNS1_3gpuE9ELNS1_3repE0EEENS1_30default_config_static_selectorELNS0_4arch9wavefront6targetE1EEEvT1_,comdat
	.globl	_ZN7rocprim17ROCPRIM_400000_NS6detail17trampoline_kernelINS0_14default_configENS1_25partition_config_selectorILNS1_17partition_subalgoE9EllbEEZZNS1_14partition_implILS5_9ELb0ES3_jPlS8_PNS0_10empty_typeENS0_5tupleIJS8_S9_EEENSB_IJS8_SA_EEENS0_18inequality_wrapperIZN2at6native12_GLOBAL__N_124unique_dim_cuda_templateItEESt5tupleIJNSF_6TensorESK_SK_EERKSK_lbbbEUlllE0_EEPmJS9_EEE10hipError_tPvRmT3_T4_T5_T6_T7_T9_mT8_P12ihipStream_tbDpT10_ENKUlT_T0_E_clISt17integral_constantIbLb0EES19_IbLb1EEEEDaS15_S16_EUlS15_E_NS1_11comp_targetILNS1_3genE5ELNS1_11target_archE942ELNS1_3gpuE9ELNS1_3repE0EEENS1_30default_config_static_selectorELNS0_4arch9wavefront6targetE1EEEvT1_ ; -- Begin function _ZN7rocprim17ROCPRIM_400000_NS6detail17trampoline_kernelINS0_14default_configENS1_25partition_config_selectorILNS1_17partition_subalgoE9EllbEEZZNS1_14partition_implILS5_9ELb0ES3_jPlS8_PNS0_10empty_typeENS0_5tupleIJS8_S9_EEENSB_IJS8_SA_EEENS0_18inequality_wrapperIZN2at6native12_GLOBAL__N_124unique_dim_cuda_templateItEESt5tupleIJNSF_6TensorESK_SK_EERKSK_lbbbEUlllE0_EEPmJS9_EEE10hipError_tPvRmT3_T4_T5_T6_T7_T9_mT8_P12ihipStream_tbDpT10_ENKUlT_T0_E_clISt17integral_constantIbLb0EES19_IbLb1EEEEDaS15_S16_EUlS15_E_NS1_11comp_targetILNS1_3genE5ELNS1_11target_archE942ELNS1_3gpuE9ELNS1_3repE0EEENS1_30default_config_static_selectorELNS0_4arch9wavefront6targetE1EEEvT1_
	.p2align	8
	.type	_ZN7rocprim17ROCPRIM_400000_NS6detail17trampoline_kernelINS0_14default_configENS1_25partition_config_selectorILNS1_17partition_subalgoE9EllbEEZZNS1_14partition_implILS5_9ELb0ES3_jPlS8_PNS0_10empty_typeENS0_5tupleIJS8_S9_EEENSB_IJS8_SA_EEENS0_18inequality_wrapperIZN2at6native12_GLOBAL__N_124unique_dim_cuda_templateItEESt5tupleIJNSF_6TensorESK_SK_EERKSK_lbbbEUlllE0_EEPmJS9_EEE10hipError_tPvRmT3_T4_T5_T6_T7_T9_mT8_P12ihipStream_tbDpT10_ENKUlT_T0_E_clISt17integral_constantIbLb0EES19_IbLb1EEEEDaS15_S16_EUlS15_E_NS1_11comp_targetILNS1_3genE5ELNS1_11target_archE942ELNS1_3gpuE9ELNS1_3repE0EEENS1_30default_config_static_selectorELNS0_4arch9wavefront6targetE1EEEvT1_,@function
_ZN7rocprim17ROCPRIM_400000_NS6detail17trampoline_kernelINS0_14default_configENS1_25partition_config_selectorILNS1_17partition_subalgoE9EllbEEZZNS1_14partition_implILS5_9ELb0ES3_jPlS8_PNS0_10empty_typeENS0_5tupleIJS8_S9_EEENSB_IJS8_SA_EEENS0_18inequality_wrapperIZN2at6native12_GLOBAL__N_124unique_dim_cuda_templateItEESt5tupleIJNSF_6TensorESK_SK_EERKSK_lbbbEUlllE0_EEPmJS9_EEE10hipError_tPvRmT3_T4_T5_T6_T7_T9_mT8_P12ihipStream_tbDpT10_ENKUlT_T0_E_clISt17integral_constantIbLb0EES19_IbLb1EEEEDaS15_S16_EUlS15_E_NS1_11comp_targetILNS1_3genE5ELNS1_11target_archE942ELNS1_3gpuE9ELNS1_3repE0EEENS1_30default_config_static_selectorELNS0_4arch9wavefront6targetE1EEEvT1_: ; @_ZN7rocprim17ROCPRIM_400000_NS6detail17trampoline_kernelINS0_14default_configENS1_25partition_config_selectorILNS1_17partition_subalgoE9EllbEEZZNS1_14partition_implILS5_9ELb0ES3_jPlS8_PNS0_10empty_typeENS0_5tupleIJS8_S9_EEENSB_IJS8_SA_EEENS0_18inequality_wrapperIZN2at6native12_GLOBAL__N_124unique_dim_cuda_templateItEESt5tupleIJNSF_6TensorESK_SK_EERKSK_lbbbEUlllE0_EEPmJS9_EEE10hipError_tPvRmT3_T4_T5_T6_T7_T9_mT8_P12ihipStream_tbDpT10_ENKUlT_T0_E_clISt17integral_constantIbLb0EES19_IbLb1EEEEDaS15_S16_EUlS15_E_NS1_11comp_targetILNS1_3genE5ELNS1_11target_archE942ELNS1_3gpuE9ELNS1_3repE0EEENS1_30default_config_static_selectorELNS0_4arch9wavefront6targetE1EEEvT1_
; %bb.0:
	.section	.rodata,"a",@progbits
	.p2align	6, 0x0
	.amdhsa_kernel _ZN7rocprim17ROCPRIM_400000_NS6detail17trampoline_kernelINS0_14default_configENS1_25partition_config_selectorILNS1_17partition_subalgoE9EllbEEZZNS1_14partition_implILS5_9ELb0ES3_jPlS8_PNS0_10empty_typeENS0_5tupleIJS8_S9_EEENSB_IJS8_SA_EEENS0_18inequality_wrapperIZN2at6native12_GLOBAL__N_124unique_dim_cuda_templateItEESt5tupleIJNSF_6TensorESK_SK_EERKSK_lbbbEUlllE0_EEPmJS9_EEE10hipError_tPvRmT3_T4_T5_T6_T7_T9_mT8_P12ihipStream_tbDpT10_ENKUlT_T0_E_clISt17integral_constantIbLb0EES19_IbLb1EEEEDaS15_S16_EUlS15_E_NS1_11comp_targetILNS1_3genE5ELNS1_11target_archE942ELNS1_3gpuE9ELNS1_3repE0EEENS1_30default_config_static_selectorELNS0_4arch9wavefront6targetE1EEEvT1_
		.amdhsa_group_segment_fixed_size 0
		.amdhsa_private_segment_fixed_size 0
		.amdhsa_kernarg_size 136
		.amdhsa_user_sgpr_count 6
		.amdhsa_user_sgpr_private_segment_buffer 1
		.amdhsa_user_sgpr_dispatch_ptr 0
		.amdhsa_user_sgpr_queue_ptr 0
		.amdhsa_user_sgpr_kernarg_segment_ptr 1
		.amdhsa_user_sgpr_dispatch_id 0
		.amdhsa_user_sgpr_flat_scratch_init 0
		.amdhsa_user_sgpr_kernarg_preload_length 0
		.amdhsa_user_sgpr_kernarg_preload_offset 0
		.amdhsa_user_sgpr_private_segment_size 0
		.amdhsa_uses_dynamic_stack 0
		.amdhsa_system_sgpr_private_segment_wavefront_offset 0
		.amdhsa_system_sgpr_workgroup_id_x 1
		.amdhsa_system_sgpr_workgroup_id_y 0
		.amdhsa_system_sgpr_workgroup_id_z 0
		.amdhsa_system_sgpr_workgroup_info 0
		.amdhsa_system_vgpr_workitem_id 0
		.amdhsa_next_free_vgpr 1
		.amdhsa_next_free_sgpr 0
		.amdhsa_accum_offset 4
		.amdhsa_reserve_vcc 0
		.amdhsa_reserve_flat_scratch 0
		.amdhsa_float_round_mode_32 0
		.amdhsa_float_round_mode_16_64 0
		.amdhsa_float_denorm_mode_32 3
		.amdhsa_float_denorm_mode_16_64 3
		.amdhsa_dx10_clamp 1
		.amdhsa_ieee_mode 1
		.amdhsa_fp16_overflow 0
		.amdhsa_tg_split 0
		.amdhsa_exception_fp_ieee_invalid_op 0
		.amdhsa_exception_fp_denorm_src 0
		.amdhsa_exception_fp_ieee_div_zero 0
		.amdhsa_exception_fp_ieee_overflow 0
		.amdhsa_exception_fp_ieee_underflow 0
		.amdhsa_exception_fp_ieee_inexact 0
		.amdhsa_exception_int_div_zero 0
	.end_amdhsa_kernel
	.section	.text._ZN7rocprim17ROCPRIM_400000_NS6detail17trampoline_kernelINS0_14default_configENS1_25partition_config_selectorILNS1_17partition_subalgoE9EllbEEZZNS1_14partition_implILS5_9ELb0ES3_jPlS8_PNS0_10empty_typeENS0_5tupleIJS8_S9_EEENSB_IJS8_SA_EEENS0_18inequality_wrapperIZN2at6native12_GLOBAL__N_124unique_dim_cuda_templateItEESt5tupleIJNSF_6TensorESK_SK_EERKSK_lbbbEUlllE0_EEPmJS9_EEE10hipError_tPvRmT3_T4_T5_T6_T7_T9_mT8_P12ihipStream_tbDpT10_ENKUlT_T0_E_clISt17integral_constantIbLb0EES19_IbLb1EEEEDaS15_S16_EUlS15_E_NS1_11comp_targetILNS1_3genE5ELNS1_11target_archE942ELNS1_3gpuE9ELNS1_3repE0EEENS1_30default_config_static_selectorELNS0_4arch9wavefront6targetE1EEEvT1_,"axG",@progbits,_ZN7rocprim17ROCPRIM_400000_NS6detail17trampoline_kernelINS0_14default_configENS1_25partition_config_selectorILNS1_17partition_subalgoE9EllbEEZZNS1_14partition_implILS5_9ELb0ES3_jPlS8_PNS0_10empty_typeENS0_5tupleIJS8_S9_EEENSB_IJS8_SA_EEENS0_18inequality_wrapperIZN2at6native12_GLOBAL__N_124unique_dim_cuda_templateItEESt5tupleIJNSF_6TensorESK_SK_EERKSK_lbbbEUlllE0_EEPmJS9_EEE10hipError_tPvRmT3_T4_T5_T6_T7_T9_mT8_P12ihipStream_tbDpT10_ENKUlT_T0_E_clISt17integral_constantIbLb0EES19_IbLb1EEEEDaS15_S16_EUlS15_E_NS1_11comp_targetILNS1_3genE5ELNS1_11target_archE942ELNS1_3gpuE9ELNS1_3repE0EEENS1_30default_config_static_selectorELNS0_4arch9wavefront6targetE1EEEvT1_,comdat
.Lfunc_end1474:
	.size	_ZN7rocprim17ROCPRIM_400000_NS6detail17trampoline_kernelINS0_14default_configENS1_25partition_config_selectorILNS1_17partition_subalgoE9EllbEEZZNS1_14partition_implILS5_9ELb0ES3_jPlS8_PNS0_10empty_typeENS0_5tupleIJS8_S9_EEENSB_IJS8_SA_EEENS0_18inequality_wrapperIZN2at6native12_GLOBAL__N_124unique_dim_cuda_templateItEESt5tupleIJNSF_6TensorESK_SK_EERKSK_lbbbEUlllE0_EEPmJS9_EEE10hipError_tPvRmT3_T4_T5_T6_T7_T9_mT8_P12ihipStream_tbDpT10_ENKUlT_T0_E_clISt17integral_constantIbLb0EES19_IbLb1EEEEDaS15_S16_EUlS15_E_NS1_11comp_targetILNS1_3genE5ELNS1_11target_archE942ELNS1_3gpuE9ELNS1_3repE0EEENS1_30default_config_static_selectorELNS0_4arch9wavefront6targetE1EEEvT1_, .Lfunc_end1474-_ZN7rocprim17ROCPRIM_400000_NS6detail17trampoline_kernelINS0_14default_configENS1_25partition_config_selectorILNS1_17partition_subalgoE9EllbEEZZNS1_14partition_implILS5_9ELb0ES3_jPlS8_PNS0_10empty_typeENS0_5tupleIJS8_S9_EEENSB_IJS8_SA_EEENS0_18inequality_wrapperIZN2at6native12_GLOBAL__N_124unique_dim_cuda_templateItEESt5tupleIJNSF_6TensorESK_SK_EERKSK_lbbbEUlllE0_EEPmJS9_EEE10hipError_tPvRmT3_T4_T5_T6_T7_T9_mT8_P12ihipStream_tbDpT10_ENKUlT_T0_E_clISt17integral_constantIbLb0EES19_IbLb1EEEEDaS15_S16_EUlS15_E_NS1_11comp_targetILNS1_3genE5ELNS1_11target_archE942ELNS1_3gpuE9ELNS1_3repE0EEENS1_30default_config_static_selectorELNS0_4arch9wavefront6targetE1EEEvT1_
                                        ; -- End function
	.section	.AMDGPU.csdata,"",@progbits
; Kernel info:
; codeLenInByte = 0
; NumSgprs: 4
; NumVgprs: 0
; NumAgprs: 0
; TotalNumVgprs: 0
; ScratchSize: 0
; MemoryBound: 0
; FloatMode: 240
; IeeeMode: 1
; LDSByteSize: 0 bytes/workgroup (compile time only)
; SGPRBlocks: 0
; VGPRBlocks: 0
; NumSGPRsForWavesPerEU: 4
; NumVGPRsForWavesPerEU: 1
; AccumOffset: 4
; Occupancy: 8
; WaveLimiterHint : 0
; COMPUTE_PGM_RSRC2:SCRATCH_EN: 0
; COMPUTE_PGM_RSRC2:USER_SGPR: 6
; COMPUTE_PGM_RSRC2:TRAP_HANDLER: 0
; COMPUTE_PGM_RSRC2:TGID_X_EN: 1
; COMPUTE_PGM_RSRC2:TGID_Y_EN: 0
; COMPUTE_PGM_RSRC2:TGID_Z_EN: 0
; COMPUTE_PGM_RSRC2:TIDIG_COMP_CNT: 0
; COMPUTE_PGM_RSRC3_GFX90A:ACCUM_OFFSET: 0
; COMPUTE_PGM_RSRC3_GFX90A:TG_SPLIT: 0
	.section	.text._ZN7rocprim17ROCPRIM_400000_NS6detail17trampoline_kernelINS0_14default_configENS1_25partition_config_selectorILNS1_17partition_subalgoE9EllbEEZZNS1_14partition_implILS5_9ELb0ES3_jPlS8_PNS0_10empty_typeENS0_5tupleIJS8_S9_EEENSB_IJS8_SA_EEENS0_18inequality_wrapperIZN2at6native12_GLOBAL__N_124unique_dim_cuda_templateItEESt5tupleIJNSF_6TensorESK_SK_EERKSK_lbbbEUlllE0_EEPmJS9_EEE10hipError_tPvRmT3_T4_T5_T6_T7_T9_mT8_P12ihipStream_tbDpT10_ENKUlT_T0_E_clISt17integral_constantIbLb0EES19_IbLb1EEEEDaS15_S16_EUlS15_E_NS1_11comp_targetILNS1_3genE4ELNS1_11target_archE910ELNS1_3gpuE8ELNS1_3repE0EEENS1_30default_config_static_selectorELNS0_4arch9wavefront6targetE1EEEvT1_,"axG",@progbits,_ZN7rocprim17ROCPRIM_400000_NS6detail17trampoline_kernelINS0_14default_configENS1_25partition_config_selectorILNS1_17partition_subalgoE9EllbEEZZNS1_14partition_implILS5_9ELb0ES3_jPlS8_PNS0_10empty_typeENS0_5tupleIJS8_S9_EEENSB_IJS8_SA_EEENS0_18inequality_wrapperIZN2at6native12_GLOBAL__N_124unique_dim_cuda_templateItEESt5tupleIJNSF_6TensorESK_SK_EERKSK_lbbbEUlllE0_EEPmJS9_EEE10hipError_tPvRmT3_T4_T5_T6_T7_T9_mT8_P12ihipStream_tbDpT10_ENKUlT_T0_E_clISt17integral_constantIbLb0EES19_IbLb1EEEEDaS15_S16_EUlS15_E_NS1_11comp_targetILNS1_3genE4ELNS1_11target_archE910ELNS1_3gpuE8ELNS1_3repE0EEENS1_30default_config_static_selectorELNS0_4arch9wavefront6targetE1EEEvT1_,comdat
	.globl	_ZN7rocprim17ROCPRIM_400000_NS6detail17trampoline_kernelINS0_14default_configENS1_25partition_config_selectorILNS1_17partition_subalgoE9EllbEEZZNS1_14partition_implILS5_9ELb0ES3_jPlS8_PNS0_10empty_typeENS0_5tupleIJS8_S9_EEENSB_IJS8_SA_EEENS0_18inequality_wrapperIZN2at6native12_GLOBAL__N_124unique_dim_cuda_templateItEESt5tupleIJNSF_6TensorESK_SK_EERKSK_lbbbEUlllE0_EEPmJS9_EEE10hipError_tPvRmT3_T4_T5_T6_T7_T9_mT8_P12ihipStream_tbDpT10_ENKUlT_T0_E_clISt17integral_constantIbLb0EES19_IbLb1EEEEDaS15_S16_EUlS15_E_NS1_11comp_targetILNS1_3genE4ELNS1_11target_archE910ELNS1_3gpuE8ELNS1_3repE0EEENS1_30default_config_static_selectorELNS0_4arch9wavefront6targetE1EEEvT1_ ; -- Begin function _ZN7rocprim17ROCPRIM_400000_NS6detail17trampoline_kernelINS0_14default_configENS1_25partition_config_selectorILNS1_17partition_subalgoE9EllbEEZZNS1_14partition_implILS5_9ELb0ES3_jPlS8_PNS0_10empty_typeENS0_5tupleIJS8_S9_EEENSB_IJS8_SA_EEENS0_18inequality_wrapperIZN2at6native12_GLOBAL__N_124unique_dim_cuda_templateItEESt5tupleIJNSF_6TensorESK_SK_EERKSK_lbbbEUlllE0_EEPmJS9_EEE10hipError_tPvRmT3_T4_T5_T6_T7_T9_mT8_P12ihipStream_tbDpT10_ENKUlT_T0_E_clISt17integral_constantIbLb0EES19_IbLb1EEEEDaS15_S16_EUlS15_E_NS1_11comp_targetILNS1_3genE4ELNS1_11target_archE910ELNS1_3gpuE8ELNS1_3repE0EEENS1_30default_config_static_selectorELNS0_4arch9wavefront6targetE1EEEvT1_
	.p2align	8
	.type	_ZN7rocprim17ROCPRIM_400000_NS6detail17trampoline_kernelINS0_14default_configENS1_25partition_config_selectorILNS1_17partition_subalgoE9EllbEEZZNS1_14partition_implILS5_9ELb0ES3_jPlS8_PNS0_10empty_typeENS0_5tupleIJS8_S9_EEENSB_IJS8_SA_EEENS0_18inequality_wrapperIZN2at6native12_GLOBAL__N_124unique_dim_cuda_templateItEESt5tupleIJNSF_6TensorESK_SK_EERKSK_lbbbEUlllE0_EEPmJS9_EEE10hipError_tPvRmT3_T4_T5_T6_T7_T9_mT8_P12ihipStream_tbDpT10_ENKUlT_T0_E_clISt17integral_constantIbLb0EES19_IbLb1EEEEDaS15_S16_EUlS15_E_NS1_11comp_targetILNS1_3genE4ELNS1_11target_archE910ELNS1_3gpuE8ELNS1_3repE0EEENS1_30default_config_static_selectorELNS0_4arch9wavefront6targetE1EEEvT1_,@function
_ZN7rocprim17ROCPRIM_400000_NS6detail17trampoline_kernelINS0_14default_configENS1_25partition_config_selectorILNS1_17partition_subalgoE9EllbEEZZNS1_14partition_implILS5_9ELb0ES3_jPlS8_PNS0_10empty_typeENS0_5tupleIJS8_S9_EEENSB_IJS8_SA_EEENS0_18inequality_wrapperIZN2at6native12_GLOBAL__N_124unique_dim_cuda_templateItEESt5tupleIJNSF_6TensorESK_SK_EERKSK_lbbbEUlllE0_EEPmJS9_EEE10hipError_tPvRmT3_T4_T5_T6_T7_T9_mT8_P12ihipStream_tbDpT10_ENKUlT_T0_E_clISt17integral_constantIbLb0EES19_IbLb1EEEEDaS15_S16_EUlS15_E_NS1_11comp_targetILNS1_3genE4ELNS1_11target_archE910ELNS1_3gpuE8ELNS1_3repE0EEENS1_30default_config_static_selectorELNS0_4arch9wavefront6targetE1EEEvT1_: ; @_ZN7rocprim17ROCPRIM_400000_NS6detail17trampoline_kernelINS0_14default_configENS1_25partition_config_selectorILNS1_17partition_subalgoE9EllbEEZZNS1_14partition_implILS5_9ELb0ES3_jPlS8_PNS0_10empty_typeENS0_5tupleIJS8_S9_EEENSB_IJS8_SA_EEENS0_18inequality_wrapperIZN2at6native12_GLOBAL__N_124unique_dim_cuda_templateItEESt5tupleIJNSF_6TensorESK_SK_EERKSK_lbbbEUlllE0_EEPmJS9_EEE10hipError_tPvRmT3_T4_T5_T6_T7_T9_mT8_P12ihipStream_tbDpT10_ENKUlT_T0_E_clISt17integral_constantIbLb0EES19_IbLb1EEEEDaS15_S16_EUlS15_E_NS1_11comp_targetILNS1_3genE4ELNS1_11target_archE910ELNS1_3gpuE8ELNS1_3repE0EEENS1_30default_config_static_selectorELNS0_4arch9wavefront6targetE1EEEvT1_
; %bb.0:
	s_load_dwordx4 s[8:11], s[4:5], 0x8
	s_load_dwordx2 s[14:15], s[4:5], 0x18
	s_load_dwordx8 s[20:27], s[4:5], 0x40
	s_load_dwordx4 s[16:19], s[4:5], 0x60
	v_cmp_ne_u32_e64 s[2:3], 0, v0
	v_cmp_eq_u32_e64 s[0:1], 0, v0
	s_and_saveexec_b64 s[6:7], s[0:1]
	s_cbranch_execz .LBB1475_4
; %bb.1:
	s_mov_b64 s[28:29], exec
	v_mbcnt_lo_u32_b32 v1, s28, 0
	v_mbcnt_hi_u32_b32 v1, s29, v1
	v_cmp_eq_u32_e32 vcc, 0, v1
                                        ; implicit-def: $vgpr2
	s_and_saveexec_b64 s[12:13], vcc
	s_cbranch_execz .LBB1475_3
; %bb.2:
	s_load_dwordx2 s[30:31], s[4:5], 0x78
	s_bcnt1_i32_b64 s28, s[28:29]
	v_mov_b32_e32 v2, 0
	v_mov_b32_e32 v3, s28
	s_waitcnt lgkmcnt(0)
	global_atomic_add v2, v2, v3, s[30:31] glc
.LBB1475_3:
	s_or_b64 exec, exec, s[12:13]
	s_waitcnt vmcnt(0)
	v_readfirstlane_b32 s12, v2
	v_add_u32_e32 v1, s12, v1
	v_mov_b32_e32 v2, 0
	ds_write_b32 v2, v1
.LBB1475_4:
	s_or_b64 exec, exec, s[6:7]
	v_mov_b32_e32 v1, 0
	s_load_dwordx4 s[28:31], s[4:5], 0x28
	s_load_dword s6, s[4:5], 0x70
	s_waitcnt lgkmcnt(0)
	s_barrier
	ds_read_b32 v6, v1
	s_waitcnt lgkmcnt(0)
	s_barrier
	global_load_dwordx2 v[2:3], v1, s[22:23]
	s_lshl_b64 s[36:37], s[10:11], 3
	s_add_u32 s22, s8, s36
	s_addc_u32 s23, s9, s37
	s_add_i32 s12, s6, -1
	s_lshl_b32 s8, s6, 9
	s_lshl_b32 s6, s12, 9
	s_add_i32 s6, s10, s6
	v_readfirstlane_b32 s33, v6
	s_sub_i32 s48, s24, s6
	s_lshl_b32 s6, s33, 9
	s_add_u32 s8, s10, s8
	s_addc_u32 s9, s11, 0
	v_mov_b32_e32 v4, s24
	v_mov_b32_e32 v5, s25
	s_cmp_eq_u32 s33, s12
	v_cmp_ge_u64_e32 vcc, s[8:9], v[4:5]
	s_cselect_b64 s[24:25], -1, 0
	s_mov_b32 s7, 0
	s_and_b64 s[12:13], vcc, s[24:25]
	s_lshl_b64 s[8:9], s[6:7], 3
	s_xor_b64 s[34:35], s[12:13], -1
	s_add_u32 s6, s22, s8
	s_mov_b64 s[4:5], -1
	v_lshrrev_b32_e32 v18, 2, v0
	s_addc_u32 s7, s23, s9
	s_and_b64 vcc, exec, s[34:35]
	s_waitcnt vmcnt(0)
	v_readfirstlane_b32 s22, v2
	v_readfirstlane_b32 s23, v3
	s_cbranch_vccz .LBB1475_6
; %bb.5:
	v_lshlrev_b32_e32 v1, 3, v0
	global_load_dwordx2 v[2:3], v1, s[6:7]
	global_load_dwordx2 v[4:5], v1, s[6:7] offset:1024
	global_load_dwordx2 v[6:7], v1, s[6:7] offset:2048
	;; [unrolled: 1-line block ×3, first 2 shown]
	v_or_b32_e32 v11, 0x80, v0
	v_or_b32_e32 v12, 0x100, v0
	;; [unrolled: 1-line block ×3, first 2 shown]
	v_and_b32_e32 v10, 24, v18
	v_lshrrev_b32_e32 v11, 2, v11
	v_lshrrev_b32_e32 v12, 2, v12
	;; [unrolled: 1-line block ×3, first 2 shown]
	v_add_u32_e32 v10, v10, v1
	v_and_b32_e32 v11, 56, v11
	v_and_b32_e32 v12, 0x58, v12
	;; [unrolled: 1-line block ×3, first 2 shown]
	v_add_u32_e32 v11, v11, v1
	v_add_u32_e32 v12, v12, v1
	;; [unrolled: 1-line block ×3, first 2 shown]
	s_mov_b64 s[4:5], 0
	s_waitcnt vmcnt(3)
	ds_write_b64 v10, v[2:3]
	s_waitcnt vmcnt(2)
	ds_write_b64 v11, v[4:5] offset:1024
	s_waitcnt vmcnt(1)
	ds_write_b64 v12, v[6:7] offset:2048
	;; [unrolled: 2-line block ×3, first 2 shown]
	s_waitcnt lgkmcnt(0)
	s_barrier
.LBB1475_6:
	s_andn2_b64 vcc, exec, s[4:5]
	v_cmp_gt_u32_e64 s[4:5], s48, v0
	s_cbranch_vccnz .LBB1475_16
; %bb.7:
                                        ; implicit-def: $vgpr2_vgpr3_vgpr4_vgpr5_vgpr6_vgpr7_vgpr8_vgpr9
	s_and_saveexec_b64 s[38:39], s[4:5]
	s_cbranch_execz .LBB1475_9
; %bb.8:
	v_lshlrev_b32_e32 v1, 3, v0
	global_load_dwordx2 v[2:3], v1, s[6:7]
.LBB1475_9:
	s_or_b64 exec, exec, s[38:39]
	v_or_b32_e32 v1, 0x80, v0
	v_cmp_gt_u32_e32 vcc, s48, v1
	s_and_saveexec_b64 s[4:5], vcc
	s_cbranch_execz .LBB1475_11
; %bb.10:
	v_lshlrev_b32_e32 v4, 3, v0
	global_load_dwordx2 v[4:5], v4, s[6:7] offset:1024
.LBB1475_11:
	s_or_b64 exec, exec, s[4:5]
	v_or_b32_e32 v10, 0x100, v0
	v_cmp_gt_u32_e32 vcc, s48, v10
	s_and_saveexec_b64 s[4:5], vcc
	s_cbranch_execz .LBB1475_13
; %bb.12:
	v_lshlrev_b32_e32 v6, 3, v0
	global_load_dwordx2 v[6:7], v6, s[6:7] offset:2048
.LBB1475_13:
	;; [unrolled: 9-line block ×3, first 2 shown]
	s_or_b64 exec, exec, s[4:5]
	v_lshrrev_b32_e32 v1, 2, v1
	v_lshlrev_b32_e32 v13, 3, v0
	v_and_b32_e32 v1, 56, v1
	v_add_u32_e32 v1, v1, v13
	s_waitcnt vmcnt(0)
	ds_write_b64 v1, v[4:5] offset:1024
	v_lshrrev_b32_e32 v1, 2, v10
	v_and_b32_e32 v1, 0x78, v1
	v_add_u32_e32 v1, v1, v13
	ds_write_b64 v1, v[6:7] offset:2048
	v_lshrrev_b32_e32 v1, 2, v11
	v_and_b32_e32 v12, 24, v18
	v_and_b32_e32 v1, 0x78, v1
	v_add_u32_e32 v12, v12, v13
	v_add_u32_e32 v1, v1, v13
	ds_write_b64 v12, v[2:3]
	ds_write_b64 v1, v[8:9] offset:3072
	s_waitcnt lgkmcnt(0)
	s_barrier
.LBB1475_16:
	v_lshlrev_b32_e32 v1, 2, v0
	v_lshrrev_b32_e32 v2, 3, v0
	v_add_lshl_u32 v19, v2, v1, 3
	ds_read2_b64 v[14:17], v19 offset1:1
	ds_read2_b64 v[10:13], v19 offset0:2 offset1:3
	s_add_u32 s4, s14, s36
	s_addc_u32 s5, s15, s37
	s_add_u32 s4, s4, s8
	s_addc_u32 s5, s5, s9
	s_mov_b64 s[8:9], -1
	s_and_b64 vcc, exec, s[34:35]
	s_waitcnt lgkmcnt(0)
	s_barrier
	s_cbranch_vccz .LBB1475_18
; %bb.17:
	v_lshlrev_b32_e32 v20, 3, v0
	global_load_dwordx2 v[2:3], v20, s[4:5]
	global_load_dwordx2 v[4:5], v20, s[4:5] offset:1024
	global_load_dwordx2 v[6:7], v20, s[4:5] offset:2048
	;; [unrolled: 1-line block ×3, first 2 shown]
	v_or_b32_e32 v22, 0x80, v0
	v_or_b32_e32 v23, 0x100, v0
	;; [unrolled: 1-line block ×3, first 2 shown]
	v_and_b32_e32 v21, 24, v18
	v_lshrrev_b32_e32 v22, 2, v22
	v_lshrrev_b32_e32 v23, 2, v23
	;; [unrolled: 1-line block ×3, first 2 shown]
	v_add_u32_e32 v21, v21, v20
	v_and_b32_e32 v22, 56, v22
	v_and_b32_e32 v23, 0x58, v23
	;; [unrolled: 1-line block ×3, first 2 shown]
	v_add_u32_e32 v22, v22, v20
	v_add_u32_e32 v23, v23, v20
	v_add_u32_e32 v20, v24, v20
	s_mov_b64 s[8:9], 0
	s_waitcnt vmcnt(3)
	ds_write_b64 v21, v[2:3]
	s_waitcnt vmcnt(2)
	ds_write_b64 v22, v[4:5] offset:1024
	s_waitcnt vmcnt(1)
	ds_write_b64 v23, v[6:7] offset:2048
	;; [unrolled: 2-line block ×3, first 2 shown]
	s_waitcnt lgkmcnt(0)
	s_barrier
.LBB1475_18:
	s_andn2_b64 vcc, exec, s[8:9]
	s_cbranch_vccnz .LBB1475_28
; %bb.19:
	v_cmp_gt_u32_e32 vcc, s48, v0
                                        ; implicit-def: $vgpr2_vgpr3
	s_and_saveexec_b64 s[8:9], vcc
	s_cbranch_execz .LBB1475_21
; %bb.20:
	v_lshlrev_b32_e32 v2, 3, v0
	global_load_dwordx2 v[2:3], v2, s[4:5]
.LBB1475_21:
	s_or_b64 exec, exec, s[8:9]
	v_or_b32_e32 v20, 0x80, v0
	v_cmp_gt_u32_e32 vcc, s48, v20
                                        ; implicit-def: $vgpr4_vgpr5
	s_and_saveexec_b64 s[8:9], vcc
	s_cbranch_execz .LBB1475_23
; %bb.22:
	v_lshlrev_b32_e32 v4, 3, v0
	global_load_dwordx2 v[4:5], v4, s[4:5] offset:1024
.LBB1475_23:
	s_or_b64 exec, exec, s[8:9]
	v_or_b32_e32 v21, 0x100, v0
	v_cmp_gt_u32_e32 vcc, s48, v21
                                        ; implicit-def: $vgpr6_vgpr7
	s_and_saveexec_b64 s[8:9], vcc
	s_cbranch_execz .LBB1475_25
; %bb.24:
	v_lshlrev_b32_e32 v6, 3, v0
	global_load_dwordx2 v[6:7], v6, s[4:5] offset:2048
.LBB1475_25:
	s_or_b64 exec, exec, s[8:9]
	v_or_b32_e32 v22, 0x180, v0
	v_cmp_gt_u32_e32 vcc, s48, v22
                                        ; implicit-def: $vgpr8_vgpr9
	s_and_saveexec_b64 s[8:9], vcc
	s_cbranch_execz .LBB1475_27
; %bb.26:
	v_lshlrev_b32_e32 v8, 3, v0
	global_load_dwordx2 v[8:9], v8, s[4:5] offset:3072
.LBB1475_27:
	s_or_b64 exec, exec, s[8:9]
	v_and_b32_e32 v18, 24, v18
	v_lshlrev_b32_e32 v23, 3, v0
	v_add_u32_e32 v18, v18, v23
	s_waitcnt vmcnt(0)
	ds_write_b64 v18, v[2:3]
	v_lshrrev_b32_e32 v2, 2, v20
	v_and_b32_e32 v2, 56, v2
	v_add_u32_e32 v2, v2, v23
	ds_write_b64 v2, v[4:5] offset:1024
	v_lshrrev_b32_e32 v2, 2, v21
	v_and_b32_e32 v2, 0x78, v2
	v_add_u32_e32 v2, v2, v23
	ds_write_b64 v2, v[6:7] offset:2048
	;; [unrolled: 4-line block ×3, first 2 shown]
	s_waitcnt lgkmcnt(0)
	s_barrier
.LBB1475_28:
	ds_read2_b64 v[6:9], v19 offset1:1
	ds_read2_b64 v[2:5], v19 offset0:2 offset1:3
	s_cmp_lg_u32 s33, 0
	s_cselect_b64 s[36:37], -1, 0
	s_cmp_lg_u64 s[10:11], 0
	s_cselect_b64 s[4:5], -1, 0
	s_or_b64 s[4:5], s[4:5], s[36:37]
	s_mov_b64 s[14:15], 0
	s_and_b64 vcc, exec, s[4:5]
	v_cmp_gt_i64_e64 s[4:5], s[26:27], 0
	s_waitcnt lgkmcnt(0)
	s_barrier
	s_cbranch_vccz .LBB1475_37
; %bb.29:
	v_mov_b32_e32 v18, 0
	global_load_dwordx2 v[18:19], v18, s[6:7] offset:-8
	v_cndmask_b32_e64 v20, 0, 1, s[4:5]
	v_lshlrev_b32_e32 v29, 3, v0
	s_mov_b64 s[10:11], 0
	s_and_b64 vcc, exec, s[34:35]
	v_cmp_ne_u32_e64 s[4:5], 1, v20
	ds_write_b64 v29, v[12:13]
	s_cbranch_vccz .LBB1475_38
; %bb.30:
	v_mul_lo_u32 v22, v11, s26
	v_mul_lo_u32 v23, v10, s27
	v_mad_u64_u32 v[20:21], s[6:7], v10, s26, 0
	v_add3_u32 v21, v21, v23, v22
	s_and_b64 vcc, exec, s[4:5]
	v_lshlrev_b64 v[20:21], 1, v[20:21]
	s_cbranch_vccnz .LBB1475_41
; %bb.31:
	v_mul_lo_u32 v24, v13, s26
	v_mul_lo_u32 v25, v12, s27
	v_mad_u64_u32 v[22:23], s[6:7], v12, s26, 0
	v_add3_u32 v23, v23, v25, v24
	v_mov_b32_e32 v25, s17
	v_add_co_u32_e32 v24, vcc, s16, v20
	v_addc_co_u32_e64 v25, s[6:7], v25, v21, vcc
	v_lshlrev_b64 v[22:23], 1, v[22:23]
	v_mov_b32_e32 v27, s17
	v_add_co_u32_e64 v26, s[6:7], s16, v22
	v_addc_co_u32_e64 v27, s[8:9], v27, v23, s[6:7]
	global_load_ushort v22, v[24:25], off
	global_load_ushort v28, v[26:27], off
	s_mov_b64 s[10:11], -1
	s_waitcnt vmcnt(0)
	v_cmp_eq_u16_e64 s[8:9], v22, v28
	s_and_saveexec_b64 s[14:15], s[8:9]
	s_cbranch_execz .LBB1475_40
; %bb.32:
	v_mov_b32_e32 v22, s17
	v_addc_co_u32_e64 v23, s[6:7], v23, v22, s[6:7]
	v_add_co_u32_e64 v22, s[6:7], 2, v26
	v_mov_b32_e32 v25, s17
	v_addc_co_u32_e64 v23, s[6:7], 0, v23, s[6:7]
	v_addc_co_u32_e32 v25, vcc, v21, v25, vcc
	v_add_co_u32_e32 v24, vcc, 2, v24
	s_add_u32 s6, s26, -1
	v_addc_co_u32_e32 v25, vcc, 0, v25, vcc
	s_addc_u32 s7, s27, -1
	s_mov_b64 s[8:9], 0
	s_mov_b64 s[38:39], 0
                                        ; implicit-def: $sgpr10_sgpr11
	s_branch .LBB1475_35
.LBB1475_33:                            ;   in Loop: Header=BB1475_35 Depth=1
	global_load_ushort v26, v[24:25], off
	global_load_ushort v27, v[22:23], off
	v_add_co_u32_e32 v22, vcc, 2, v22
	v_addc_co_u32_e32 v23, vcc, 0, v23, vcc
	v_add_co_u32_e32 v24, vcc, 2, v24
	v_addc_co_u32_e32 v25, vcc, 0, v25, vcc
	s_add_u32 s38, s38, 1
	s_addc_u32 s39, s39, 0
	s_andn2_b64 s[10:11], s[10:11], exec
	s_waitcnt vmcnt(0)
	v_cmp_ne_u16_e32 vcc, v26, v27
	s_and_b64 s[40:41], vcc, exec
	s_or_b64 s[10:11], s[10:11], s[40:41]
.LBB1475_34:                            ;   in Loop: Header=BB1475_35 Depth=1
	s_and_b64 s[40:41], exec, s[10:11]
	s_or_b64 s[8:9], s[40:41], s[8:9]
	v_pk_mov_b32 v[26:27], s[38:39], s[38:39] op_sel:[0,1]
	s_andn2_b64 exec, exec, s[8:9]
	s_cbranch_execz .LBB1475_39
.LBB1475_35:                            ; =>This Inner Loop Header: Depth=1
	s_or_b64 s[10:11], s[10:11], exec
	s_cmp_eq_u64 s[6:7], s[38:39]
	s_cbranch_scc0 .LBB1475_33
; %bb.36:                               ;   in Loop: Header=BB1475_35 Depth=1
                                        ; implicit-def: $vgpr22_vgpr23
                                        ; implicit-def: $vgpr24_vgpr25
	s_mov_b64 s[38:39], s[26:27]
	s_branch .LBB1475_34
.LBB1475_37:
                                        ; implicit-def: $sgpr38_sgpr39
                                        ; implicit-def: $vgpr28
	s_branch .LBB1475_119
.LBB1475_38:
                                        ; implicit-def: $sgpr38_sgpr39
                                        ; implicit-def: $vgpr28
	s_cbranch_execnz .LBB1475_71
	s_branch .LBB1475_118
.LBB1475_39:
	s_or_b64 exec, exec, s[8:9]
	v_cmp_gt_i64_e32 vcc, s[26:27], v[26:27]
	s_orn2_b64 s[10:11], vcc, exec
.LBB1475_40:
	s_or_b64 exec, exec, s[14:15]
.LBB1475_41:
	v_mul_lo_u32 v24, v17, s26
	v_mul_lo_u32 v25, v16, s27
	v_mad_u64_u32 v[22:23], s[6:7], v16, s26, 0
	v_add3_u32 v23, v23, v25, v24
	s_mov_b64 s[14:15], 0
	s_and_b64 vcc, exec, s[4:5]
	v_lshlrev_b64 v[22:23], 1, v[22:23]
	s_mov_b64 s[38:39], 0
	s_cbranch_vccnz .LBB1475_50
; %bb.42:
	v_mov_b32_e32 v25, s17
	v_add_co_u32_e32 v24, vcc, s16, v22
	v_addc_co_u32_e64 v25, s[6:7], v25, v23, vcc
	v_mov_b32_e32 v27, s17
	v_add_co_u32_e64 v26, s[6:7], s16, v20
	v_addc_co_u32_e64 v27, s[8:9], v27, v21, s[6:7]
	global_load_ushort v20, v[24:25], off
	global_load_ushort v28, v[26:27], off
	s_mov_b64 s[38:39], -1
	s_waitcnt vmcnt(0)
	v_cmp_eq_u16_e64 s[8:9], v20, v28
	s_and_saveexec_b64 s[40:41], s[8:9]
	s_cbranch_execz .LBB1475_49
; %bb.43:
	v_mov_b32_e32 v20, s17
	v_addc_co_u32_e64 v21, s[6:7], v21, v20, s[6:7]
	v_add_co_u32_e64 v20, s[6:7], 2, v26
	v_mov_b32_e32 v25, s17
	v_addc_co_u32_e64 v21, s[6:7], 0, v21, s[6:7]
	v_addc_co_u32_e32 v25, vcc, v23, v25, vcc
	v_add_co_u32_e32 v24, vcc, 2, v24
	s_add_u32 s6, s26, -1
	v_addc_co_u32_e32 v25, vcc, 0, v25, vcc
	s_addc_u32 s7, s27, -1
	s_mov_b64 s[8:9], 0
	s_mov_b64 s[42:43], 0
                                        ; implicit-def: $sgpr38_sgpr39
	s_branch .LBB1475_46
.LBB1475_44:                            ;   in Loop: Header=BB1475_46 Depth=1
	global_load_ushort v26, v[24:25], off
	global_load_ushort v27, v[20:21], off
	v_add_co_u32_e32 v20, vcc, 2, v20
	v_addc_co_u32_e32 v21, vcc, 0, v21, vcc
	v_add_co_u32_e32 v24, vcc, 2, v24
	v_addc_co_u32_e32 v25, vcc, 0, v25, vcc
	s_add_u32 s42, s42, 1
	s_addc_u32 s43, s43, 0
	s_andn2_b64 s[38:39], s[38:39], exec
	s_waitcnt vmcnt(0)
	v_cmp_ne_u16_e32 vcc, v26, v27
	s_and_b64 s[44:45], vcc, exec
	s_or_b64 s[38:39], s[38:39], s[44:45]
.LBB1475_45:                            ;   in Loop: Header=BB1475_46 Depth=1
	s_and_b64 s[44:45], exec, s[38:39]
	s_or_b64 s[8:9], s[44:45], s[8:9]
	v_pk_mov_b32 v[26:27], s[42:43], s[42:43] op_sel:[0,1]
	s_andn2_b64 exec, exec, s[8:9]
	s_cbranch_execz .LBB1475_48
.LBB1475_46:                            ; =>This Inner Loop Header: Depth=1
	s_or_b64 s[38:39], s[38:39], exec
	s_cmp_eq_u64 s[6:7], s[42:43]
	s_cbranch_scc0 .LBB1475_44
; %bb.47:                               ;   in Loop: Header=BB1475_46 Depth=1
                                        ; implicit-def: $vgpr20_vgpr21
                                        ; implicit-def: $vgpr24_vgpr25
	s_mov_b64 s[42:43], s[26:27]
	s_branch .LBB1475_45
.LBB1475_48:
	s_or_b64 exec, exec, s[8:9]
	v_cmp_gt_i64_e32 vcc, s[26:27], v[26:27]
	s_orn2_b64 s[38:39], vcc, exec
.LBB1475_49:
	s_or_b64 exec, exec, s[40:41]
.LBB1475_50:
	v_mul_lo_u32 v24, v15, s26
	v_mul_lo_u32 v25, v14, s27
	v_mad_u64_u32 v[20:21], s[6:7], v14, s26, 0
	v_add3_u32 v21, v21, v25, v24
	s_and_b64 vcc, exec, s[4:5]
	v_lshlrev_b64 v[20:21], 1, v[20:21]
	s_cbranch_vccnz .LBB1475_59
; %bb.51:
	v_mov_b32_e32 v25, s17
	v_add_co_u32_e32 v24, vcc, s16, v20
	v_addc_co_u32_e64 v25, s[6:7], v25, v21, vcc
	v_mov_b32_e32 v27, s17
	v_add_co_u32_e64 v26, s[6:7], s16, v22
	v_addc_co_u32_e64 v27, s[8:9], v27, v23, s[6:7]
	global_load_ushort v22, v[24:25], off
	global_load_ushort v28, v[26:27], off
	s_mov_b64 s[14:15], -1
	s_waitcnt vmcnt(0)
	v_cmp_eq_u16_e64 s[8:9], v22, v28
	s_and_saveexec_b64 s[40:41], s[8:9]
	s_cbranch_execz .LBB1475_58
; %bb.52:
	v_mov_b32_e32 v22, s17
	v_addc_co_u32_e64 v23, s[6:7], v23, v22, s[6:7]
	v_add_co_u32_e64 v22, s[6:7], 2, v26
	v_mov_b32_e32 v25, s17
	v_addc_co_u32_e64 v23, s[6:7], 0, v23, s[6:7]
	v_addc_co_u32_e32 v25, vcc, v21, v25, vcc
	v_add_co_u32_e32 v24, vcc, 2, v24
	s_add_u32 s6, s26, -1
	v_addc_co_u32_e32 v25, vcc, 0, v25, vcc
	s_addc_u32 s7, s27, -1
	s_mov_b64 s[8:9], 0
	s_mov_b64 s[42:43], 0
                                        ; implicit-def: $sgpr14_sgpr15
	s_branch .LBB1475_55
.LBB1475_53:                            ;   in Loop: Header=BB1475_55 Depth=1
	global_load_ushort v26, v[24:25], off
	global_load_ushort v27, v[22:23], off
	v_add_co_u32_e32 v22, vcc, 2, v22
	v_addc_co_u32_e32 v23, vcc, 0, v23, vcc
	v_add_co_u32_e32 v24, vcc, 2, v24
	v_addc_co_u32_e32 v25, vcc, 0, v25, vcc
	s_add_u32 s42, s42, 1
	s_addc_u32 s43, s43, 0
	s_andn2_b64 s[14:15], s[14:15], exec
	s_waitcnt vmcnt(0)
	v_cmp_ne_u16_e32 vcc, v26, v27
	s_and_b64 s[44:45], vcc, exec
	s_or_b64 s[14:15], s[14:15], s[44:45]
.LBB1475_54:                            ;   in Loop: Header=BB1475_55 Depth=1
	s_and_b64 s[44:45], exec, s[14:15]
	s_or_b64 s[8:9], s[44:45], s[8:9]
	v_pk_mov_b32 v[26:27], s[42:43], s[42:43] op_sel:[0,1]
	s_andn2_b64 exec, exec, s[8:9]
	s_cbranch_execz .LBB1475_57
.LBB1475_55:                            ; =>This Inner Loop Header: Depth=1
	s_or_b64 s[14:15], s[14:15], exec
	s_cmp_eq_u64 s[6:7], s[42:43]
	s_cbranch_scc0 .LBB1475_53
; %bb.56:                               ;   in Loop: Header=BB1475_55 Depth=1
                                        ; implicit-def: $vgpr22_vgpr23
                                        ; implicit-def: $vgpr24_vgpr25
	s_mov_b64 s[42:43], s[26:27]
	s_branch .LBB1475_54
.LBB1475_57:
	s_or_b64 exec, exec, s[8:9]
	v_cmp_gt_i64_e32 vcc, s[26:27], v[26:27]
	s_orn2_b64 s[14:15], vcc, exec
.LBB1475_58:
	s_or_b64 exec, exec, s[40:41]
.LBB1475_59:
	s_waitcnt vmcnt(0)
	v_pk_mov_b32 v[22:23], v[18:19], v[18:19] op_sel:[0,1]
	s_waitcnt lgkmcnt(0)
	s_barrier
	s_and_saveexec_b64 s[6:7], s[2:3]
	s_cbranch_execz .LBB1475_61
; %bb.60:
	v_add_u32_e32 v22, -8, v29
	ds_read_b64 v[22:23], v22
.LBB1475_61:
	s_or_b64 exec, exec, s[6:7]
	v_cndmask_b32_e64 v25, 0, 1, s[10:11]
	v_cndmask_b32_e64 v24, 0, 1, s[38:39]
	;; [unrolled: 1-line block ×3, first 2 shown]
	v_lshlrev_b16_e32 v25, 8, v25
	v_lshlrev_b16_e32 v28, 8, v26
	v_or_b32_sdwa v30, v24, v25 dst_sel:WORD_1 dst_unused:UNUSED_PAD src0_sel:DWORD src1_sel:DWORD
	s_mov_b64 s[10:11], 0
	s_and_b64 vcc, exec, s[4:5]
	s_mov_b64 s[38:39], 0
	s_cbranch_vccnz .LBB1475_70
; %bb.62:
	s_waitcnt lgkmcnt(0)
	v_mul_lo_u32 v24, v23, s26
	v_mul_lo_u32 v25, v22, s27
	v_mad_u64_u32 v[22:23], s[6:7], v22, s26, 0
	v_add3_u32 v23, v23, v25, v24
	v_lshlrev_b64 v[22:23], 1, v[22:23]
	v_mov_b32_e32 v25, s17
	v_add_co_u32_e32 v24, vcc, s16, v22
	v_addc_co_u32_e64 v25, s[6:7], v25, v23, vcc
	v_mov_b32_e32 v22, s17
	v_add_co_u32_e64 v26, s[6:7], s16, v20
	v_addc_co_u32_e64 v27, s[8:9], v22, v21, s[6:7]
	global_load_ushort v20, v[24:25], off
	global_load_ushort v22, v[26:27], off
	s_mov_b64 s[38:39], -1
	s_waitcnt vmcnt(0)
	v_cmp_eq_u16_e64 s[8:9], v20, v22
	s_and_saveexec_b64 s[14:15], s[8:9]
	s_cbranch_execz .LBB1475_69
; %bb.63:
	v_mov_b32_e32 v20, s17
	v_addc_co_u32_e64 v21, s[6:7], v21, v20, s[6:7]
	v_add_co_u32_e64 v20, s[6:7], 2, v26
	v_mov_b32_e32 v22, s17
	v_addc_co_u32_e64 v21, s[6:7], 0, v21, s[6:7]
	v_addc_co_u32_e32 v23, vcc, v23, v22, vcc
	v_add_co_u32_e32 v22, vcc, 2, v24
	s_add_u32 s6, s26, -1
	v_addc_co_u32_e32 v23, vcc, 0, v23, vcc
	s_addc_u32 s7, s27, -1
	s_mov_b64 s[8:9], 0
	s_mov_b64 s[40:41], 0
                                        ; implicit-def: $sgpr38_sgpr39
	s_branch .LBB1475_66
.LBB1475_64:                            ;   in Loop: Header=BB1475_66 Depth=1
	global_load_ushort v24, v[22:23], off
	global_load_ushort v25, v[20:21], off
	v_add_co_u32_e32 v20, vcc, 2, v20
	v_addc_co_u32_e32 v21, vcc, 0, v21, vcc
	v_add_co_u32_e32 v22, vcc, 2, v22
	v_addc_co_u32_e32 v23, vcc, 0, v23, vcc
	s_add_u32 s40, s40, 1
	s_addc_u32 s41, s41, 0
	s_andn2_b64 s[38:39], s[38:39], exec
	s_waitcnt vmcnt(0)
	v_cmp_ne_u16_e32 vcc, v24, v25
	s_and_b64 s[42:43], vcc, exec
	s_or_b64 s[38:39], s[38:39], s[42:43]
.LBB1475_65:                            ;   in Loop: Header=BB1475_66 Depth=1
	s_and_b64 s[42:43], exec, s[38:39]
	s_or_b64 s[8:9], s[42:43], s[8:9]
	v_pk_mov_b32 v[24:25], s[40:41], s[40:41] op_sel:[0,1]
	s_andn2_b64 exec, exec, s[8:9]
	s_cbranch_execz .LBB1475_68
.LBB1475_66:                            ; =>This Inner Loop Header: Depth=1
	s_or_b64 s[38:39], s[38:39], exec
	s_cmp_eq_u64 s[6:7], s[40:41]
	s_cbranch_scc0 .LBB1475_64
; %bb.67:                               ;   in Loop: Header=BB1475_66 Depth=1
                                        ; implicit-def: $vgpr20_vgpr21
                                        ; implicit-def: $vgpr22_vgpr23
	s_mov_b64 s[40:41], s[26:27]
	s_branch .LBB1475_65
.LBB1475_68:
	s_or_b64 exec, exec, s[8:9]
	v_cmp_gt_i64_e32 vcc, s[26:27], v[24:25]
	s_orn2_b64 s[38:39], vcc, exec
.LBB1475_69:
	s_or_b64 exec, exec, s[14:15]
.LBB1475_70:
	v_or_b32_e32 v28, v28, v30
	s_and_b64 vcc, exec, s[10:11]
	s_cbranch_vccz .LBB1475_118
.LBB1475_71:
	v_or_b32_e32 v20, 3, v1
	v_cmp_gt_u32_e32 vcc, s48, v20
	s_mov_b64 s[14:15], 0
	s_mov_b64 s[10:11], 0
	s_and_saveexec_b64 s[38:39], vcc
	s_cbranch_execz .LBB1475_82
; %bb.72:
	s_and_b64 vcc, exec, s[4:5]
	s_mov_b64 s[40:41], 0
	s_cbranch_vccnz .LBB1475_81
; %bb.73:
	s_waitcnt lgkmcnt(0)
	v_mul_lo_u32 v22, v11, s26
	v_mul_lo_u32 v23, v10, s27
	v_mad_u64_u32 v[20:21], s[6:7], v10, s26, 0
	v_add3_u32 v21, v21, v23, v22
	v_mul_lo_u32 v22, v13, s26
	v_mul_lo_u32 v23, v12, s27
	v_mad_u64_u32 v[26:27], s[6:7], v12, s26, 0
	v_add3_u32 v27, v27, v23, v22
	v_lshlrev_b64 v[22:23], 1, v[20:21]
	v_mov_b32_e32 v20, s17
	v_add_co_u32_e32 v24, vcc, s16, v22
	v_addc_co_u32_e64 v25, s[6:7], v20, v23, vcc
	v_lshlrev_b64 v[20:21], 1, v[26:27]
	v_mov_b32_e32 v22, s17
	v_add_co_u32_e64 v26, s[6:7], s16, v20
	v_addc_co_u32_e64 v27, s[8:9], v22, v21, s[6:7]
	global_load_ushort v20, v[24:25], off
	global_load_ushort v22, v[26:27], off
	s_mov_b64 s[40:41], -1
	s_waitcnt vmcnt(0)
	v_cmp_eq_u16_e64 s[8:9], v20, v22
	s_and_saveexec_b64 s[10:11], s[8:9]
	s_cbranch_execz .LBB1475_80
; %bb.74:
	v_mov_b32_e32 v20, s17
	v_addc_co_u32_e64 v21, s[6:7], v21, v20, s[6:7]
	v_add_co_u32_e64 v20, s[6:7], 2, v26
	v_mov_b32_e32 v22, s17
	v_addc_co_u32_e64 v21, s[6:7], 0, v21, s[6:7]
	v_addc_co_u32_e32 v23, vcc, v23, v22, vcc
	v_add_co_u32_e32 v22, vcc, 2, v24
	s_add_u32 s6, s26, -1
	v_addc_co_u32_e32 v23, vcc, 0, v23, vcc
	s_addc_u32 s7, s27, -1
	s_mov_b64 s[8:9], 0
	s_mov_b64 s[42:43], 0
                                        ; implicit-def: $sgpr40_sgpr41
	s_branch .LBB1475_77
.LBB1475_75:                            ;   in Loop: Header=BB1475_77 Depth=1
	global_load_ushort v24, v[22:23], off
	global_load_ushort v25, v[20:21], off
	v_add_co_u32_e32 v20, vcc, 2, v20
	v_addc_co_u32_e32 v21, vcc, 0, v21, vcc
	v_add_co_u32_e32 v22, vcc, 2, v22
	v_addc_co_u32_e32 v23, vcc, 0, v23, vcc
	s_add_u32 s42, s42, 1
	s_addc_u32 s43, s43, 0
	s_andn2_b64 s[40:41], s[40:41], exec
	s_waitcnt vmcnt(0)
	v_cmp_ne_u16_e32 vcc, v24, v25
	s_and_b64 s[44:45], vcc, exec
	s_or_b64 s[40:41], s[40:41], s[44:45]
.LBB1475_76:                            ;   in Loop: Header=BB1475_77 Depth=1
	s_and_b64 s[44:45], exec, s[40:41]
	s_or_b64 s[8:9], s[44:45], s[8:9]
	v_pk_mov_b32 v[24:25], s[42:43], s[42:43] op_sel:[0,1]
	s_andn2_b64 exec, exec, s[8:9]
	s_cbranch_execz .LBB1475_79
.LBB1475_77:                            ; =>This Inner Loop Header: Depth=1
	s_or_b64 s[40:41], s[40:41], exec
	s_cmp_eq_u64 s[6:7], s[42:43]
	s_cbranch_scc0 .LBB1475_75
; %bb.78:                               ;   in Loop: Header=BB1475_77 Depth=1
                                        ; implicit-def: $vgpr20_vgpr21
                                        ; implicit-def: $vgpr22_vgpr23
	s_mov_b64 s[42:43], s[26:27]
	s_branch .LBB1475_76
.LBB1475_79:
	s_or_b64 exec, exec, s[8:9]
	v_cmp_gt_i64_e32 vcc, s[26:27], v[24:25]
	s_orn2_b64 s[40:41], vcc, exec
.LBB1475_80:
	s_or_b64 exec, exec, s[10:11]
.LBB1475_81:
	s_and_b64 s[10:11], s[40:41], exec
.LBB1475_82:
	s_or_b64 exec, exec, s[38:39]
	v_or_b32_e32 v20, 2, v1
	v_cmp_gt_u32_e32 vcc, s48, v20
	s_and_saveexec_b64 s[38:39], vcc
	s_cbranch_execz .LBB1475_93
; %bb.83:
	s_and_b64 vcc, exec, s[4:5]
	s_mov_b64 s[40:41], 0
	s_cbranch_vccnz .LBB1475_92
; %bb.84:
	s_waitcnt lgkmcnt(0)
	v_mul_lo_u32 v22, v17, s26
	v_mul_lo_u32 v23, v16, s27
	v_mad_u64_u32 v[20:21], s[6:7], v16, s26, 0
	v_add3_u32 v21, v21, v23, v22
	v_mul_lo_u32 v22, v11, s26
	v_mul_lo_u32 v23, v10, s27
	v_mad_u64_u32 v[26:27], s[6:7], v10, s26, 0
	v_add3_u32 v27, v27, v23, v22
	v_lshlrev_b64 v[22:23], 1, v[20:21]
	v_mov_b32_e32 v20, s17
	v_add_co_u32_e32 v24, vcc, s16, v22
	v_addc_co_u32_e64 v25, s[6:7], v20, v23, vcc
	v_lshlrev_b64 v[20:21], 1, v[26:27]
	v_mov_b32_e32 v22, s17
	v_add_co_u32_e64 v26, s[6:7], s16, v20
	v_addc_co_u32_e64 v27, s[8:9], v22, v21, s[6:7]
	global_load_ushort v20, v[24:25], off
	global_load_ushort v22, v[26:27], off
	s_mov_b64 s[40:41], -1
	s_waitcnt vmcnt(0)
	v_cmp_eq_u16_e64 s[8:9], v20, v22
	s_and_saveexec_b64 s[14:15], s[8:9]
	s_cbranch_execz .LBB1475_91
; %bb.85:
	v_mov_b32_e32 v20, s17
	v_addc_co_u32_e64 v21, s[6:7], v21, v20, s[6:7]
	v_add_co_u32_e64 v20, s[6:7], 2, v26
	v_mov_b32_e32 v22, s17
	v_addc_co_u32_e64 v21, s[6:7], 0, v21, s[6:7]
	v_addc_co_u32_e32 v23, vcc, v23, v22, vcc
	v_add_co_u32_e32 v22, vcc, 2, v24
	s_add_u32 s6, s26, -1
	v_addc_co_u32_e32 v23, vcc, 0, v23, vcc
	s_addc_u32 s7, s27, -1
	s_mov_b64 s[8:9], 0
	s_mov_b64 s[42:43], 0
                                        ; implicit-def: $sgpr40_sgpr41
	s_branch .LBB1475_88
.LBB1475_86:                            ;   in Loop: Header=BB1475_88 Depth=1
	global_load_ushort v24, v[22:23], off
	global_load_ushort v25, v[20:21], off
	v_add_co_u32_e32 v20, vcc, 2, v20
	v_addc_co_u32_e32 v21, vcc, 0, v21, vcc
	v_add_co_u32_e32 v22, vcc, 2, v22
	v_addc_co_u32_e32 v23, vcc, 0, v23, vcc
	s_add_u32 s42, s42, 1
	s_addc_u32 s43, s43, 0
	s_andn2_b64 s[40:41], s[40:41], exec
	s_waitcnt vmcnt(0)
	v_cmp_ne_u16_e32 vcc, v24, v25
	s_and_b64 s[44:45], vcc, exec
	s_or_b64 s[40:41], s[40:41], s[44:45]
.LBB1475_87:                            ;   in Loop: Header=BB1475_88 Depth=1
	s_and_b64 s[44:45], exec, s[40:41]
	s_or_b64 s[8:9], s[44:45], s[8:9]
	v_pk_mov_b32 v[24:25], s[42:43], s[42:43] op_sel:[0,1]
	s_andn2_b64 exec, exec, s[8:9]
	s_cbranch_execz .LBB1475_90
.LBB1475_88:                            ; =>This Inner Loop Header: Depth=1
	s_or_b64 s[40:41], s[40:41], exec
	s_cmp_eq_u64 s[6:7], s[42:43]
	s_cbranch_scc0 .LBB1475_86
; %bb.89:                               ;   in Loop: Header=BB1475_88 Depth=1
                                        ; implicit-def: $vgpr20_vgpr21
                                        ; implicit-def: $vgpr22_vgpr23
	s_mov_b64 s[42:43], s[26:27]
	s_branch .LBB1475_87
.LBB1475_90:
	s_or_b64 exec, exec, s[8:9]
	v_cmp_gt_i64_e32 vcc, s[26:27], v[24:25]
	s_orn2_b64 s[40:41], vcc, exec
.LBB1475_91:
	s_or_b64 exec, exec, s[14:15]
.LBB1475_92:
	s_and_b64 s[14:15], s[40:41], exec
.LBB1475_93:
	s_or_b64 exec, exec, s[38:39]
	v_or_b32_e32 v20, 1, v1
	v_cmp_gt_u32_e32 vcc, s48, v20
	s_mov_b64 s[6:7], 0
	s_and_saveexec_b64 s[38:39], vcc
	s_cbranch_execz .LBB1475_104
; %bb.94:
	s_and_b64 vcc, exec, s[4:5]
	s_mov_b64 s[42:43], 0
	s_cbranch_vccnz .LBB1475_103
; %bb.95:
	s_waitcnt lgkmcnt(0)
	v_mul_lo_u32 v22, v15, s26
	v_mul_lo_u32 v23, v14, s27
	v_mad_u64_u32 v[20:21], s[6:7], v14, s26, 0
	v_add3_u32 v21, v21, v23, v22
	v_mul_lo_u32 v22, v17, s26
	v_mul_lo_u32 v23, v16, s27
	v_mad_u64_u32 v[26:27], s[6:7], v16, s26, 0
	v_add3_u32 v27, v27, v23, v22
	v_lshlrev_b64 v[22:23], 1, v[20:21]
	v_mov_b32_e32 v20, s17
	v_add_co_u32_e32 v24, vcc, s16, v22
	v_addc_co_u32_e64 v25, s[6:7], v20, v23, vcc
	v_lshlrev_b64 v[20:21], 1, v[26:27]
	v_mov_b32_e32 v22, s17
	v_add_co_u32_e64 v26, s[6:7], s16, v20
	v_addc_co_u32_e64 v27, s[8:9], v22, v21, s[6:7]
	global_load_ushort v20, v[24:25], off
	global_load_ushort v22, v[26:27], off
	s_mov_b64 s[42:43], -1
	s_waitcnt vmcnt(0)
	v_cmp_eq_u16_e64 s[8:9], v20, v22
	s_and_saveexec_b64 s[40:41], s[8:9]
	s_cbranch_execz .LBB1475_102
; %bb.96:
	v_mov_b32_e32 v20, s17
	v_addc_co_u32_e64 v21, s[6:7], v21, v20, s[6:7]
	v_add_co_u32_e64 v20, s[6:7], 2, v26
	v_mov_b32_e32 v22, s17
	v_addc_co_u32_e64 v21, s[6:7], 0, v21, s[6:7]
	v_addc_co_u32_e32 v23, vcc, v23, v22, vcc
	v_add_co_u32_e32 v22, vcc, 2, v24
	s_add_u32 s6, s26, -1
	v_addc_co_u32_e32 v23, vcc, 0, v23, vcc
	s_addc_u32 s7, s27, -1
	s_mov_b64 s[8:9], 0
	s_mov_b64 s[44:45], 0
                                        ; implicit-def: $sgpr42_sgpr43
	s_branch .LBB1475_99
.LBB1475_97:                            ;   in Loop: Header=BB1475_99 Depth=1
	global_load_ushort v24, v[22:23], off
	global_load_ushort v25, v[20:21], off
	v_add_co_u32_e32 v20, vcc, 2, v20
	v_addc_co_u32_e32 v21, vcc, 0, v21, vcc
	v_add_co_u32_e32 v22, vcc, 2, v22
	v_addc_co_u32_e32 v23, vcc, 0, v23, vcc
	s_add_u32 s44, s44, 1
	s_addc_u32 s45, s45, 0
	s_andn2_b64 s[42:43], s[42:43], exec
	s_waitcnt vmcnt(0)
	v_cmp_ne_u16_e32 vcc, v24, v25
	s_and_b64 s[46:47], vcc, exec
	s_or_b64 s[42:43], s[42:43], s[46:47]
.LBB1475_98:                            ;   in Loop: Header=BB1475_99 Depth=1
	s_and_b64 s[46:47], exec, s[42:43]
	s_or_b64 s[8:9], s[46:47], s[8:9]
	v_pk_mov_b32 v[24:25], s[44:45], s[44:45] op_sel:[0,1]
	s_andn2_b64 exec, exec, s[8:9]
	s_cbranch_execz .LBB1475_101
.LBB1475_99:                            ; =>This Inner Loop Header: Depth=1
	s_or_b64 s[42:43], s[42:43], exec
	s_cmp_eq_u64 s[6:7], s[44:45]
	s_cbranch_scc0 .LBB1475_97
; %bb.100:                              ;   in Loop: Header=BB1475_99 Depth=1
                                        ; implicit-def: $vgpr20_vgpr21
                                        ; implicit-def: $vgpr22_vgpr23
	s_mov_b64 s[44:45], s[26:27]
	s_branch .LBB1475_98
.LBB1475_101:
	s_or_b64 exec, exec, s[8:9]
	v_cmp_gt_i64_e32 vcc, s[26:27], v[24:25]
	s_orn2_b64 s[42:43], vcc, exec
.LBB1475_102:
	s_or_b64 exec, exec, s[40:41]
.LBB1475_103:
	s_and_b64 s[6:7], s[42:43], exec
.LBB1475_104:
	s_or_b64 exec, exec, s[38:39]
	s_waitcnt lgkmcnt(0)
	s_barrier
	s_and_saveexec_b64 s[8:9], s[2:3]
	s_cbranch_execz .LBB1475_106
; %bb.105:
	s_waitcnt vmcnt(0)
	v_add_u32_e32 v18, -8, v29
	ds_read_b64 v[18:19], v18
.LBB1475_106:
	s_or_b64 exec, exec, s[8:9]
	v_cndmask_b32_e64 v21, 0, 1, s[10:11]
	v_cndmask_b32_e64 v20, 0, 1, s[14:15]
	;; [unrolled: 1-line block ×3, first 2 shown]
	v_lshlrev_b16_e32 v21, 8, v21
	v_lshlrev_b16_e32 v26, 8, v22
	v_or_b32_sdwa v27, v20, v21 dst_sel:WORD_1 dst_unused:UNUSED_PAD src0_sel:DWORD src1_sel:DWORD
	v_cmp_gt_u32_e32 vcc, s48, v1
	s_mov_b64 s[38:39], 0
	s_and_saveexec_b64 s[8:9], vcc
	s_cbranch_execz .LBB1475_117
; %bb.107:
	s_and_b64 vcc, exec, s[4:5]
	s_mov_b64 s[14:15], 0
	s_cbranch_vccnz .LBB1475_116
; %bb.108:
	s_waitcnt vmcnt(0) lgkmcnt(0)
	v_mul_lo_u32 v20, v19, s26
	v_mul_lo_u32 v21, v18, s27
	v_mad_u64_u32 v[18:19], s[4:5], v18, s26, 0
	v_add3_u32 v19, v19, v21, v20
	v_mul_lo_u32 v20, v15, s26
	v_mul_lo_u32 v21, v14, s27
	v_mad_u64_u32 v[24:25], s[4:5], v14, s26, 0
	v_add3_u32 v25, v25, v21, v20
	v_lshlrev_b64 v[20:21], 1, v[18:19]
	v_mov_b32_e32 v18, s17
	v_add_co_u32_e32 v22, vcc, s16, v20
	v_addc_co_u32_e64 v23, s[4:5], v18, v21, vcc
	v_lshlrev_b64 v[18:19], 1, v[24:25]
	v_mov_b32_e32 v20, s17
	v_add_co_u32_e64 v24, s[4:5], s16, v18
	v_addc_co_u32_e64 v25, s[6:7], v20, v19, s[4:5]
	global_load_ushort v18, v[22:23], off
	global_load_ushort v20, v[24:25], off
	s_mov_b64 s[14:15], -1
	s_waitcnt vmcnt(0)
	v_cmp_eq_u16_e64 s[6:7], v18, v20
	s_and_saveexec_b64 s[10:11], s[6:7]
	s_cbranch_execz .LBB1475_115
; %bb.109:
	v_mov_b32_e32 v18, s17
	v_addc_co_u32_e64 v19, s[4:5], v19, v18, s[4:5]
	v_add_co_u32_e64 v18, s[4:5], 2, v24
	v_mov_b32_e32 v20, s17
	v_addc_co_u32_e64 v19, s[4:5], 0, v19, s[4:5]
	v_addc_co_u32_e32 v21, vcc, v21, v20, vcc
	v_add_co_u32_e32 v20, vcc, 2, v22
	s_add_u32 s4, s26, -1
	v_addc_co_u32_e32 v21, vcc, 0, v21, vcc
	s_addc_u32 s5, s27, -1
	s_mov_b64 s[6:7], 0
                                        ; implicit-def: $sgpr14_sgpr15
	s_branch .LBB1475_112
.LBB1475_110:                           ;   in Loop: Header=BB1475_112 Depth=1
	global_load_ushort v22, v[20:21], off
	global_load_ushort v23, v[18:19], off
	v_add_co_u32_e32 v18, vcc, 2, v18
	v_addc_co_u32_e32 v19, vcc, 0, v19, vcc
	v_add_co_u32_e32 v20, vcc, 2, v20
	v_addc_co_u32_e32 v21, vcc, 0, v21, vcc
	s_add_u32 s38, s38, 1
	s_addc_u32 s39, s39, 0
	s_andn2_b64 s[14:15], s[14:15], exec
	s_waitcnt vmcnt(0)
	v_cmp_ne_u16_e32 vcc, v22, v23
	s_and_b64 s[40:41], vcc, exec
	s_or_b64 s[14:15], s[14:15], s[40:41]
.LBB1475_111:                           ;   in Loop: Header=BB1475_112 Depth=1
	s_and_b64 s[40:41], exec, s[14:15]
	s_or_b64 s[6:7], s[40:41], s[6:7]
	v_pk_mov_b32 v[22:23], s[38:39], s[38:39] op_sel:[0,1]
	s_andn2_b64 exec, exec, s[6:7]
	s_cbranch_execz .LBB1475_114
.LBB1475_112:                           ; =>This Inner Loop Header: Depth=1
	s_or_b64 s[14:15], s[14:15], exec
	s_cmp_eq_u64 s[4:5], s[38:39]
	s_cbranch_scc0 .LBB1475_110
; %bb.113:                              ;   in Loop: Header=BB1475_112 Depth=1
                                        ; implicit-def: $vgpr18_vgpr19
                                        ; implicit-def: $vgpr20_vgpr21
	s_mov_b64 s[38:39], s[26:27]
	s_branch .LBB1475_111
.LBB1475_114:
	s_or_b64 exec, exec, s[6:7]
	v_cmp_gt_i64_e32 vcc, s[26:27], v[22:23]
	s_orn2_b64 s[14:15], vcc, exec
.LBB1475_115:
	s_or_b64 exec, exec, s[10:11]
.LBB1475_116:
	s_and_b64 s[38:39], s[14:15], exec
.LBB1475_117:
	s_or_b64 exec, exec, s[8:9]
	v_or_b32_e32 v28, v26, v27
.LBB1475_118:
	s_mov_b64 s[14:15], -1
	s_cbranch_execnz .LBB1475_207
.LBB1475_119:
	v_lshlrev_b32_e32 v29, 3, v0
	s_mov_b64 s[38:39], 0
	v_cmp_gt_i64_e64 s[10:11], s[26:27], 0
	s_and_b64 vcc, exec, s[34:35]
	ds_write_b64 v29, v[12:13]
	s_cbranch_vccz .LBB1475_127
; %bb.120:
	v_mul_lo_u32 v20, v11, s26
	v_mul_lo_u32 v21, v10, s27
	s_waitcnt vmcnt(0) lgkmcnt(1)
	v_mad_u64_u32 v[18:19], s[4:5], v10, s26, 0
	v_add3_u32 v19, v19, v21, v20
	v_cndmask_b32_e64 v20, 0, 1, s[10:11]
	v_cmp_ne_u32_e64 s[4:5], 1, v20
	s_andn2_b64 vcc, exec, s[10:11]
	v_lshlrev_b64 v[18:19], 1, v[18:19]
	s_cbranch_vccnz .LBB1475_130
; %bb.121:
	v_mul_lo_u32 v22, v13, s26
	v_mul_lo_u32 v23, v12, s27
	v_mad_u64_u32 v[20:21], s[6:7], v12, s26, 0
	v_add3_u32 v21, v21, v23, v22
	v_mov_b32_e32 v23, s17
	v_add_co_u32_e32 v22, vcc, s16, v18
	v_addc_co_u32_e64 v23, s[6:7], v23, v19, vcc
	v_lshlrev_b64 v[20:21], 1, v[20:21]
	v_mov_b32_e32 v25, s17
	v_add_co_u32_e64 v24, s[6:7], s16, v20
	v_addc_co_u32_e64 v25, s[8:9], v25, v21, s[6:7]
	global_load_ushort v20, v[22:23], off
	global_load_ushort v26, v[24:25], off
	s_mov_b64 s[38:39], -1
	s_waitcnt vmcnt(0)
	v_cmp_eq_u16_e64 s[8:9], v20, v26
	s_and_saveexec_b64 s[40:41], s[8:9]
	s_cbranch_execz .LBB1475_129
; %bb.122:
	v_mov_b32_e32 v20, s17
	v_addc_co_u32_e64 v21, s[6:7], v21, v20, s[6:7]
	v_add_co_u32_e64 v20, s[6:7], 2, v24
	v_mov_b32_e32 v23, s17
	v_addc_co_u32_e64 v21, s[6:7], 0, v21, s[6:7]
	v_addc_co_u32_e32 v23, vcc, v19, v23, vcc
	v_add_co_u32_e32 v22, vcc, 2, v22
	s_add_u32 s6, s26, -1
	v_addc_co_u32_e32 v23, vcc, 0, v23, vcc
	s_addc_u32 s7, s27, -1
	s_mov_b64 s[8:9], 0
	s_mov_b64 s[42:43], 0
                                        ; implicit-def: $sgpr38_sgpr39
	s_branch .LBB1475_125
.LBB1475_123:                           ;   in Loop: Header=BB1475_125 Depth=1
	global_load_ushort v24, v[22:23], off
	global_load_ushort v25, v[20:21], off
	v_add_co_u32_e32 v20, vcc, 2, v20
	v_addc_co_u32_e32 v21, vcc, 0, v21, vcc
	v_add_co_u32_e32 v22, vcc, 2, v22
	v_addc_co_u32_e32 v23, vcc, 0, v23, vcc
	s_add_u32 s42, s42, 1
	s_addc_u32 s43, s43, 0
	s_andn2_b64 s[38:39], s[38:39], exec
	s_waitcnt vmcnt(0)
	v_cmp_ne_u16_e32 vcc, v24, v25
	s_and_b64 s[44:45], vcc, exec
	s_or_b64 s[38:39], s[38:39], s[44:45]
.LBB1475_124:                           ;   in Loop: Header=BB1475_125 Depth=1
	s_and_b64 s[44:45], exec, s[38:39]
	s_or_b64 s[8:9], s[44:45], s[8:9]
	v_pk_mov_b32 v[24:25], s[42:43], s[42:43] op_sel:[0,1]
	s_andn2_b64 exec, exec, s[8:9]
	s_cbranch_execz .LBB1475_128
.LBB1475_125:                           ; =>This Inner Loop Header: Depth=1
	s_or_b64 s[38:39], s[38:39], exec
	s_cmp_eq_u64 s[6:7], s[42:43]
	s_cbranch_scc0 .LBB1475_123
; %bb.126:                              ;   in Loop: Header=BB1475_125 Depth=1
                                        ; implicit-def: $vgpr20_vgpr21
                                        ; implicit-def: $vgpr22_vgpr23
	s_mov_b64 s[42:43], s[26:27]
	s_branch .LBB1475_124
.LBB1475_127:
                                        ; implicit-def: $sgpr38_sgpr39
                                        ; implicit-def: $vgpr28
	s_cbranch_execnz .LBB1475_160
	s_branch .LBB1475_207
.LBB1475_128:
	s_or_b64 exec, exec, s[8:9]
	v_cmp_gt_i64_e32 vcc, s[26:27], v[24:25]
	s_orn2_b64 s[38:39], vcc, exec
.LBB1475_129:
	s_or_b64 exec, exec, s[40:41]
.LBB1475_130:
	v_mul_lo_u32 v22, v17, s26
	v_mul_lo_u32 v23, v16, s27
	v_mad_u64_u32 v[20:21], s[6:7], v16, s26, 0
	v_add3_u32 v21, v21, v23, v22
	s_mov_b64 s[40:41], 0
	s_and_b64 vcc, exec, s[4:5]
	v_lshlrev_b64 v[20:21], 1, v[20:21]
	s_mov_b64 s[42:43], 0
	s_cbranch_vccnz .LBB1475_139
; %bb.131:
	v_mov_b32_e32 v23, s17
	v_add_co_u32_e32 v22, vcc, s16, v20
	v_addc_co_u32_e64 v23, s[6:7], v23, v21, vcc
	v_mov_b32_e32 v25, s17
	v_add_co_u32_e64 v24, s[6:7], s16, v18
	v_addc_co_u32_e64 v25, s[8:9], v25, v19, s[6:7]
	global_load_ushort v18, v[22:23], off
	global_load_ushort v26, v[24:25], off
	s_mov_b64 s[42:43], -1
	s_waitcnt vmcnt(0)
	v_cmp_eq_u16_e64 s[8:9], v18, v26
	s_and_saveexec_b64 s[44:45], s[8:9]
	s_cbranch_execz .LBB1475_138
; %bb.132:
	v_mov_b32_e32 v18, s17
	v_addc_co_u32_e64 v19, s[6:7], v19, v18, s[6:7]
	v_add_co_u32_e64 v18, s[6:7], 2, v24
	v_mov_b32_e32 v23, s17
	v_addc_co_u32_e64 v19, s[6:7], 0, v19, s[6:7]
	v_addc_co_u32_e32 v23, vcc, v21, v23, vcc
	v_add_co_u32_e32 v22, vcc, 2, v22
	s_add_u32 s6, s26, -1
	v_addc_co_u32_e32 v23, vcc, 0, v23, vcc
	s_addc_u32 s7, s27, -1
	s_mov_b64 s[8:9], 0
	s_mov_b64 s[46:47], 0
                                        ; implicit-def: $sgpr42_sgpr43
	s_branch .LBB1475_135
.LBB1475_133:                           ;   in Loop: Header=BB1475_135 Depth=1
	global_load_ushort v24, v[22:23], off
	global_load_ushort v25, v[18:19], off
	v_add_co_u32_e32 v18, vcc, 2, v18
	v_addc_co_u32_e32 v19, vcc, 0, v19, vcc
	v_add_co_u32_e32 v22, vcc, 2, v22
	v_addc_co_u32_e32 v23, vcc, 0, v23, vcc
	s_add_u32 s46, s46, 1
	s_addc_u32 s47, s47, 0
	s_andn2_b64 s[42:43], s[42:43], exec
	s_waitcnt vmcnt(0)
	v_cmp_ne_u16_e32 vcc, v24, v25
	s_and_b64 s[50:51], vcc, exec
	s_or_b64 s[42:43], s[42:43], s[50:51]
.LBB1475_134:                           ;   in Loop: Header=BB1475_135 Depth=1
	s_and_b64 s[50:51], exec, s[42:43]
	s_or_b64 s[8:9], s[50:51], s[8:9]
	v_pk_mov_b32 v[24:25], s[46:47], s[46:47] op_sel:[0,1]
	s_andn2_b64 exec, exec, s[8:9]
	s_cbranch_execz .LBB1475_137
.LBB1475_135:                           ; =>This Inner Loop Header: Depth=1
	s_or_b64 s[42:43], s[42:43], exec
	s_cmp_eq_u64 s[6:7], s[46:47]
	s_cbranch_scc0 .LBB1475_133
; %bb.136:                              ;   in Loop: Header=BB1475_135 Depth=1
                                        ; implicit-def: $vgpr18_vgpr19
                                        ; implicit-def: $vgpr22_vgpr23
	s_mov_b64 s[46:47], s[26:27]
	s_branch .LBB1475_134
.LBB1475_137:
	s_or_b64 exec, exec, s[8:9]
	v_cmp_gt_i64_e32 vcc, s[26:27], v[24:25]
	s_orn2_b64 s[42:43], vcc, exec
.LBB1475_138:
	s_or_b64 exec, exec, s[44:45]
.LBB1475_139:
	v_mul_lo_u32 v22, v15, s26
	v_mul_lo_u32 v23, v14, s27
	v_mad_u64_u32 v[18:19], s[6:7], v14, s26, 0
	s_and_b64 vcc, exec, s[4:5]
	v_add3_u32 v19, v19, v23, v22
	s_cbranch_vccnz .LBB1475_148
; %bb.140:
	v_lshlrev_b64 v[22:23], 1, v[18:19]
	v_mov_b32_e32 v25, s17
	v_add_co_u32_e32 v24, vcc, s16, v22
	v_addc_co_u32_e64 v25, s[6:7], v25, v23, vcc
	v_mov_b32_e32 v22, s17
	v_add_co_u32_e64 v26, s[6:7], s16, v20
	v_addc_co_u32_e64 v27, s[8:9], v22, v21, s[6:7]
	global_load_ushort v20, v[24:25], off
	global_load_ushort v22, v[26:27], off
	s_mov_b64 s[40:41], -1
	s_waitcnt vmcnt(0)
	v_cmp_eq_u16_e64 s[8:9], v20, v22
	s_and_saveexec_b64 s[44:45], s[8:9]
	s_cbranch_execz .LBB1475_147
; %bb.141:
	v_mov_b32_e32 v20, s17
	v_addc_co_u32_e64 v21, s[6:7], v21, v20, s[6:7]
	v_add_co_u32_e64 v20, s[6:7], 2, v26
	v_mov_b32_e32 v22, s17
	v_addc_co_u32_e64 v21, s[6:7], 0, v21, s[6:7]
	v_addc_co_u32_e32 v23, vcc, v23, v22, vcc
	v_add_co_u32_e32 v22, vcc, 2, v24
	s_add_u32 s6, s26, -1
	v_addc_co_u32_e32 v23, vcc, 0, v23, vcc
	s_addc_u32 s7, s27, -1
	s_mov_b64 s[8:9], 0
	s_mov_b64 s[46:47], 0
                                        ; implicit-def: $sgpr40_sgpr41
	s_branch .LBB1475_144
.LBB1475_142:                           ;   in Loop: Header=BB1475_144 Depth=1
	global_load_ushort v24, v[22:23], off
	global_load_ushort v25, v[20:21], off
	v_add_co_u32_e32 v20, vcc, 2, v20
	v_addc_co_u32_e32 v21, vcc, 0, v21, vcc
	v_add_co_u32_e32 v22, vcc, 2, v22
	v_addc_co_u32_e32 v23, vcc, 0, v23, vcc
	s_add_u32 s46, s46, 1
	s_addc_u32 s47, s47, 0
	s_andn2_b64 s[40:41], s[40:41], exec
	s_waitcnt vmcnt(0)
	v_cmp_ne_u16_e32 vcc, v24, v25
	s_and_b64 s[50:51], vcc, exec
	s_or_b64 s[40:41], s[40:41], s[50:51]
.LBB1475_143:                           ;   in Loop: Header=BB1475_144 Depth=1
	s_and_b64 s[50:51], exec, s[40:41]
	s_or_b64 s[8:9], s[50:51], s[8:9]
	v_pk_mov_b32 v[24:25], s[46:47], s[46:47] op_sel:[0,1]
	s_andn2_b64 exec, exec, s[8:9]
	s_cbranch_execz .LBB1475_146
.LBB1475_144:                           ; =>This Inner Loop Header: Depth=1
	s_or_b64 s[40:41], s[40:41], exec
	s_cmp_eq_u64 s[6:7], s[46:47]
	s_cbranch_scc0 .LBB1475_142
; %bb.145:                              ;   in Loop: Header=BB1475_144 Depth=1
                                        ; implicit-def: $vgpr20_vgpr21
                                        ; implicit-def: $vgpr22_vgpr23
	s_mov_b64 s[46:47], s[26:27]
	s_branch .LBB1475_143
.LBB1475_146:
	s_or_b64 exec, exec, s[8:9]
	v_cmp_gt_i64_e32 vcc, s[26:27], v[24:25]
	s_orn2_b64 s[40:41], vcc, exec
.LBB1475_147:
	s_or_b64 exec, exec, s[44:45]
.LBB1475_148:
	v_cndmask_b32_e64 v21, 0, 1, s[38:39]
	v_cndmask_b32_e64 v22, 0, 1, s[40:41]
	;; [unrolled: 1-line block ×3, first 2 shown]
	v_lshlrev_b16_e32 v22, 8, v22
	v_lshlrev_b16_e32 v21, 8, v21
	v_or_b32_e32 v22, 1, v22
	v_or_b32_sdwa v20, v20, v21 dst_sel:WORD_1 dst_unused:UNUSED_PAD src0_sel:DWORD src1_sel:DWORD
	v_or_b32_sdwa v28, v22, v20 dst_sel:DWORD dst_unused:UNUSED_PAD src0_sel:WORD_0 src1_sel:DWORD
	s_waitcnt lgkmcnt(0)
	s_barrier
	s_waitcnt lgkmcnt(0)
                                        ; implicit-def: $sgpr38_sgpr39
	s_and_saveexec_b64 s[6:7], s[2:3]
	s_xor_b64 s[8:9], exec, s[6:7]
	s_cbranch_execz .LBB1475_159
; %bb.149:
	s_and_b64 vcc, exec, s[4:5]
	s_mov_b64 s[40:41], 0
	s_cbranch_vccnz .LBB1475_158
; %bb.150:
	v_add_u32_e32 v20, -8, v29
	ds_read_b64 v[20:21], v20
	v_mov_b32_e32 v23, s17
	v_lshlrev_b64 v[18:19], 1, v[18:19]
	s_mov_b64 s[40:41], -1
	s_waitcnt lgkmcnt(0)
	v_mul_lo_u32 v22, v21, s26
	v_mul_lo_u32 v24, v20, s27
	v_mad_u64_u32 v[20:21], s[4:5], v20, s26, 0
	v_add3_u32 v21, v21, v24, v22
	v_lshlrev_b64 v[20:21], 1, v[20:21]
	v_add_co_u32_e32 v22, vcc, s16, v20
	v_addc_co_u32_e64 v23, s[4:5], v23, v21, vcc
	v_mov_b32_e32 v20, s17
	v_add_co_u32_e64 v24, s[4:5], s16, v18
	v_addc_co_u32_e64 v25, s[6:7], v20, v19, s[4:5]
	global_load_ushort v18, v[22:23], off
	global_load_ushort v20, v[24:25], off
	s_waitcnt vmcnt(0)
	v_cmp_eq_u16_e64 s[6:7], v18, v20
	s_and_saveexec_b64 s[38:39], s[6:7]
	s_cbranch_execz .LBB1475_157
; %bb.151:
	v_mov_b32_e32 v18, s17
	v_addc_co_u32_e64 v19, s[4:5], v19, v18, s[4:5]
	v_add_co_u32_e64 v18, s[4:5], 2, v24
	v_mov_b32_e32 v20, s17
	v_addc_co_u32_e64 v19, s[4:5], 0, v19, s[4:5]
	v_addc_co_u32_e32 v21, vcc, v21, v20, vcc
	v_add_co_u32_e32 v20, vcc, 2, v22
	s_add_u32 s4, s26, -1
	v_addc_co_u32_e32 v21, vcc, 0, v21, vcc
	s_addc_u32 s5, s27, -1
	s_mov_b64 s[6:7], 0
	s_mov_b64 s[42:43], 0
                                        ; implicit-def: $sgpr40_sgpr41
	s_branch .LBB1475_154
.LBB1475_152:                           ;   in Loop: Header=BB1475_154 Depth=1
	global_load_ushort v22, v[20:21], off
	global_load_ushort v23, v[18:19], off
	v_add_co_u32_e32 v18, vcc, 2, v18
	v_addc_co_u32_e32 v19, vcc, 0, v19, vcc
	v_add_co_u32_e32 v20, vcc, 2, v20
	v_addc_co_u32_e32 v21, vcc, 0, v21, vcc
	s_add_u32 s42, s42, 1
	s_addc_u32 s43, s43, 0
	s_andn2_b64 s[40:41], s[40:41], exec
	s_waitcnt vmcnt(0)
	v_cmp_ne_u16_e32 vcc, v22, v23
	s_and_b64 s[44:45], vcc, exec
	s_or_b64 s[40:41], s[40:41], s[44:45]
.LBB1475_153:                           ;   in Loop: Header=BB1475_154 Depth=1
	s_and_b64 s[44:45], exec, s[40:41]
	s_or_b64 s[6:7], s[44:45], s[6:7]
	v_pk_mov_b32 v[22:23], s[42:43], s[42:43] op_sel:[0,1]
	s_andn2_b64 exec, exec, s[6:7]
	s_cbranch_execz .LBB1475_156
.LBB1475_154:                           ; =>This Inner Loop Header: Depth=1
	s_or_b64 s[40:41], s[40:41], exec
	s_cmp_eq_u64 s[4:5], s[42:43]
	s_cbranch_scc0 .LBB1475_152
; %bb.155:                              ;   in Loop: Header=BB1475_154 Depth=1
                                        ; implicit-def: $vgpr18_vgpr19
                                        ; implicit-def: $vgpr20_vgpr21
	s_mov_b64 s[42:43], s[26:27]
	s_branch .LBB1475_153
.LBB1475_156:
	s_or_b64 exec, exec, s[6:7]
	v_cmp_gt_i64_e32 vcc, s[26:27], v[22:23]
	s_orn2_b64 s[40:41], vcc, exec
.LBB1475_157:
	s_or_b64 exec, exec, s[38:39]
.LBB1475_158:
	s_and_b64 s[38:39], s[40:41], exec
	s_or_b64 s[14:15], s[14:15], exec
.LBB1475_159:
	s_or_b64 exec, exec, s[8:9]
	s_branch .LBB1475_207
.LBB1475_160:
	s_waitcnt vmcnt(0) lgkmcnt(1)
	v_or_b32_e32 v18, 3, v1
	v_cmp_gt_u32_e32 vcc, s48, v18
	s_mov_b64 s[38:39], 0
	s_mov_b64 s[8:9], 0
	s_and_saveexec_b64 s[40:41], vcc
	s_cbranch_execz .LBB1475_171
; %bb.161:
	s_andn2_b64 vcc, exec, s[10:11]
	s_mov_b64 s[42:43], 0
	s_cbranch_vccnz .LBB1475_170
; %bb.162:
	v_mul_lo_u32 v20, v11, s26
	v_mul_lo_u32 v21, v10, s27
	v_mad_u64_u32 v[18:19], s[4:5], v10, s26, 0
	v_add3_u32 v19, v19, v21, v20
	v_mul_lo_u32 v20, v13, s26
	v_mul_lo_u32 v21, v12, s27
	v_mad_u64_u32 v[24:25], s[4:5], v12, s26, 0
	v_add3_u32 v25, v25, v21, v20
	v_lshlrev_b64 v[20:21], 1, v[18:19]
	v_mov_b32_e32 v18, s17
	v_add_co_u32_e32 v22, vcc, s16, v20
	v_addc_co_u32_e64 v23, s[4:5], v18, v21, vcc
	v_lshlrev_b64 v[18:19], 1, v[24:25]
	v_mov_b32_e32 v20, s17
	v_add_co_u32_e64 v24, s[4:5], s16, v18
	v_addc_co_u32_e64 v25, s[6:7], v20, v19, s[4:5]
	global_load_ushort v18, v[22:23], off
	global_load_ushort v20, v[24:25], off
	s_mov_b64 s[42:43], -1
	s_waitcnt vmcnt(0)
	v_cmp_eq_u16_e64 s[6:7], v18, v20
	s_and_saveexec_b64 s[8:9], s[6:7]
	s_cbranch_execz .LBB1475_169
; %bb.163:
	v_mov_b32_e32 v18, s17
	v_addc_co_u32_e64 v19, s[4:5], v19, v18, s[4:5]
	v_add_co_u32_e64 v18, s[4:5], 2, v24
	v_mov_b32_e32 v20, s17
	v_addc_co_u32_e64 v19, s[4:5], 0, v19, s[4:5]
	v_addc_co_u32_e32 v21, vcc, v21, v20, vcc
	v_add_co_u32_e32 v20, vcc, 2, v22
	s_add_u32 s4, s26, -1
	v_addc_co_u32_e32 v21, vcc, 0, v21, vcc
	s_addc_u32 s5, s27, -1
	s_mov_b64 s[6:7], 0
	s_mov_b64 s[44:45], 0
                                        ; implicit-def: $sgpr42_sgpr43
	s_branch .LBB1475_166
.LBB1475_164:                           ;   in Loop: Header=BB1475_166 Depth=1
	global_load_ushort v22, v[20:21], off
	global_load_ushort v23, v[18:19], off
	v_add_co_u32_e32 v18, vcc, 2, v18
	v_addc_co_u32_e32 v19, vcc, 0, v19, vcc
	v_add_co_u32_e32 v20, vcc, 2, v20
	v_addc_co_u32_e32 v21, vcc, 0, v21, vcc
	s_add_u32 s44, s44, 1
	s_addc_u32 s45, s45, 0
	s_andn2_b64 s[42:43], s[42:43], exec
	s_waitcnt vmcnt(0)
	v_cmp_ne_u16_e32 vcc, v22, v23
	s_and_b64 s[46:47], vcc, exec
	s_or_b64 s[42:43], s[42:43], s[46:47]
.LBB1475_165:                           ;   in Loop: Header=BB1475_166 Depth=1
	s_and_b64 s[46:47], exec, s[42:43]
	s_or_b64 s[6:7], s[46:47], s[6:7]
	v_pk_mov_b32 v[22:23], s[44:45], s[44:45] op_sel:[0,1]
	s_andn2_b64 exec, exec, s[6:7]
	s_cbranch_execz .LBB1475_168
.LBB1475_166:                           ; =>This Inner Loop Header: Depth=1
	s_or_b64 s[42:43], s[42:43], exec
	s_cmp_eq_u64 s[4:5], s[44:45]
	s_cbranch_scc0 .LBB1475_164
; %bb.167:                              ;   in Loop: Header=BB1475_166 Depth=1
                                        ; implicit-def: $vgpr18_vgpr19
                                        ; implicit-def: $vgpr20_vgpr21
	s_mov_b64 s[44:45], s[26:27]
	s_branch .LBB1475_165
.LBB1475_168:
	s_or_b64 exec, exec, s[6:7]
	v_cmp_gt_i64_e32 vcc, s[26:27], v[22:23]
	s_orn2_b64 s[42:43], vcc, exec
.LBB1475_169:
	s_or_b64 exec, exec, s[8:9]
.LBB1475_170:
	s_and_b64 s[8:9], s[42:43], exec
.LBB1475_171:
	s_or_b64 exec, exec, s[40:41]
	v_or_b32_e32 v18, 2, v1
	v_cmp_gt_u32_e32 vcc, s48, v18
	s_and_saveexec_b64 s[40:41], vcc
	s_cbranch_execz .LBB1475_182
; %bb.172:
	s_andn2_b64 vcc, exec, s[10:11]
	s_mov_b64 s[42:43], 0
	s_cbranch_vccnz .LBB1475_181
; %bb.173:
	v_mul_lo_u32 v20, v17, s26
	v_mul_lo_u32 v21, v16, s27
	v_mad_u64_u32 v[18:19], s[4:5], v16, s26, 0
	v_add3_u32 v19, v19, v21, v20
	v_mul_lo_u32 v20, v11, s26
	v_mul_lo_u32 v21, v10, s27
	v_mad_u64_u32 v[24:25], s[4:5], v10, s26, 0
	v_add3_u32 v25, v25, v21, v20
	v_lshlrev_b64 v[20:21], 1, v[18:19]
	v_mov_b32_e32 v18, s17
	v_add_co_u32_e32 v22, vcc, s16, v20
	v_addc_co_u32_e64 v23, s[4:5], v18, v21, vcc
	v_lshlrev_b64 v[18:19], 1, v[24:25]
	v_mov_b32_e32 v20, s17
	v_add_co_u32_e64 v24, s[4:5], s16, v18
	v_addc_co_u32_e64 v25, s[6:7], v20, v19, s[4:5]
	global_load_ushort v18, v[22:23], off
	global_load_ushort v20, v[24:25], off
	s_mov_b64 s[42:43], -1
	s_waitcnt vmcnt(0)
	v_cmp_eq_u16_e64 s[6:7], v18, v20
	s_and_saveexec_b64 s[38:39], s[6:7]
	s_cbranch_execz .LBB1475_180
; %bb.174:
	v_mov_b32_e32 v18, s17
	v_addc_co_u32_e64 v19, s[4:5], v19, v18, s[4:5]
	v_add_co_u32_e64 v18, s[4:5], 2, v24
	v_mov_b32_e32 v20, s17
	v_addc_co_u32_e64 v19, s[4:5], 0, v19, s[4:5]
	v_addc_co_u32_e32 v21, vcc, v21, v20, vcc
	v_add_co_u32_e32 v20, vcc, 2, v22
	s_add_u32 s4, s26, -1
	v_addc_co_u32_e32 v21, vcc, 0, v21, vcc
	s_addc_u32 s5, s27, -1
	s_mov_b64 s[6:7], 0
	s_mov_b64 s[44:45], 0
                                        ; implicit-def: $sgpr42_sgpr43
	s_branch .LBB1475_177
.LBB1475_175:                           ;   in Loop: Header=BB1475_177 Depth=1
	global_load_ushort v22, v[20:21], off
	global_load_ushort v23, v[18:19], off
	v_add_co_u32_e32 v18, vcc, 2, v18
	v_addc_co_u32_e32 v19, vcc, 0, v19, vcc
	v_add_co_u32_e32 v20, vcc, 2, v20
	v_addc_co_u32_e32 v21, vcc, 0, v21, vcc
	s_add_u32 s44, s44, 1
	s_addc_u32 s45, s45, 0
	s_andn2_b64 s[42:43], s[42:43], exec
	s_waitcnt vmcnt(0)
	v_cmp_ne_u16_e32 vcc, v22, v23
	s_and_b64 s[46:47], vcc, exec
	s_or_b64 s[42:43], s[42:43], s[46:47]
.LBB1475_176:                           ;   in Loop: Header=BB1475_177 Depth=1
	s_and_b64 s[46:47], exec, s[42:43]
	s_or_b64 s[6:7], s[46:47], s[6:7]
	v_pk_mov_b32 v[22:23], s[44:45], s[44:45] op_sel:[0,1]
	s_andn2_b64 exec, exec, s[6:7]
	s_cbranch_execz .LBB1475_179
.LBB1475_177:                           ; =>This Inner Loop Header: Depth=1
	s_or_b64 s[42:43], s[42:43], exec
	s_cmp_eq_u64 s[4:5], s[44:45]
	s_cbranch_scc0 .LBB1475_175
; %bb.178:                              ;   in Loop: Header=BB1475_177 Depth=1
                                        ; implicit-def: $vgpr18_vgpr19
                                        ; implicit-def: $vgpr20_vgpr21
	s_mov_b64 s[44:45], s[26:27]
	s_branch .LBB1475_176
.LBB1475_179:
	s_or_b64 exec, exec, s[6:7]
	v_cmp_gt_i64_e32 vcc, s[26:27], v[22:23]
	s_orn2_b64 s[42:43], vcc, exec
.LBB1475_180:
	s_or_b64 exec, exec, s[38:39]
.LBB1475_181:
	s_and_b64 s[38:39], s[42:43], exec
.LBB1475_182:
	s_or_b64 exec, exec, s[40:41]
	v_or_b32_e32 v18, 1, v1
	v_cmp_gt_u32_e32 vcc, s48, v18
	s_mov_b64 s[4:5], 0
	s_and_saveexec_b64 s[40:41], vcc
	s_cbranch_execz .LBB1475_193
; %bb.183:
	s_andn2_b64 vcc, exec, s[10:11]
	s_mov_b64 s[44:45], 0
	s_cbranch_vccnz .LBB1475_192
; %bb.184:
	v_mul_lo_u32 v20, v15, s26
	v_mul_lo_u32 v21, v14, s27
	v_mad_u64_u32 v[18:19], s[4:5], v14, s26, 0
	v_add3_u32 v19, v19, v21, v20
	v_mul_lo_u32 v20, v17, s26
	v_mul_lo_u32 v21, v16, s27
	v_mad_u64_u32 v[24:25], s[4:5], v16, s26, 0
	v_add3_u32 v25, v25, v21, v20
	v_lshlrev_b64 v[20:21], 1, v[18:19]
	v_mov_b32_e32 v18, s17
	v_add_co_u32_e32 v22, vcc, s16, v20
	v_addc_co_u32_e64 v23, s[4:5], v18, v21, vcc
	v_lshlrev_b64 v[18:19], 1, v[24:25]
	v_mov_b32_e32 v20, s17
	v_add_co_u32_e64 v24, s[4:5], s16, v18
	v_addc_co_u32_e64 v25, s[6:7], v20, v19, s[4:5]
	global_load_ushort v18, v[22:23], off
	global_load_ushort v20, v[24:25], off
	s_mov_b64 s[44:45], -1
	s_waitcnt vmcnt(0)
	v_cmp_eq_u16_e64 s[6:7], v18, v20
	s_and_saveexec_b64 s[42:43], s[6:7]
	s_cbranch_execz .LBB1475_191
; %bb.185:
	v_mov_b32_e32 v18, s17
	v_addc_co_u32_e64 v19, s[4:5], v19, v18, s[4:5]
	v_add_co_u32_e64 v18, s[4:5], 2, v24
	v_mov_b32_e32 v20, s17
	v_addc_co_u32_e64 v19, s[4:5], 0, v19, s[4:5]
	v_addc_co_u32_e32 v21, vcc, v21, v20, vcc
	v_add_co_u32_e32 v20, vcc, 2, v22
	s_add_u32 s4, s26, -1
	v_addc_co_u32_e32 v21, vcc, 0, v21, vcc
	s_addc_u32 s5, s27, -1
	s_mov_b64 s[6:7], 0
	s_mov_b64 s[46:47], 0
                                        ; implicit-def: $sgpr44_sgpr45
	s_branch .LBB1475_188
.LBB1475_186:                           ;   in Loop: Header=BB1475_188 Depth=1
	global_load_ushort v22, v[20:21], off
	global_load_ushort v23, v[18:19], off
	v_add_co_u32_e32 v18, vcc, 2, v18
	v_addc_co_u32_e32 v19, vcc, 0, v19, vcc
	v_add_co_u32_e32 v20, vcc, 2, v20
	v_addc_co_u32_e32 v21, vcc, 0, v21, vcc
	s_add_u32 s46, s46, 1
	s_addc_u32 s47, s47, 0
	s_andn2_b64 s[44:45], s[44:45], exec
	s_waitcnt vmcnt(0)
	v_cmp_ne_u16_e32 vcc, v22, v23
	s_and_b64 s[50:51], vcc, exec
	s_or_b64 s[44:45], s[44:45], s[50:51]
.LBB1475_187:                           ;   in Loop: Header=BB1475_188 Depth=1
	s_and_b64 s[50:51], exec, s[44:45]
	s_or_b64 s[6:7], s[50:51], s[6:7]
	v_pk_mov_b32 v[22:23], s[46:47], s[46:47] op_sel:[0,1]
	s_andn2_b64 exec, exec, s[6:7]
	s_cbranch_execz .LBB1475_190
.LBB1475_188:                           ; =>This Inner Loop Header: Depth=1
	s_or_b64 s[44:45], s[44:45], exec
	s_cmp_eq_u64 s[4:5], s[46:47]
	s_cbranch_scc0 .LBB1475_186
; %bb.189:                              ;   in Loop: Header=BB1475_188 Depth=1
                                        ; implicit-def: $vgpr18_vgpr19
                                        ; implicit-def: $vgpr20_vgpr21
	s_mov_b64 s[46:47], s[26:27]
	s_branch .LBB1475_187
.LBB1475_190:
	s_or_b64 exec, exec, s[6:7]
	v_cmp_gt_i64_e32 vcc, s[26:27], v[22:23]
	s_orn2_b64 s[44:45], vcc, exec
.LBB1475_191:
	s_or_b64 exec, exec, s[42:43]
.LBB1475_192:
	s_and_b64 s[4:5], s[44:45], exec
.LBB1475_193:
	s_or_b64 exec, exec, s[40:41]
	v_cndmask_b32_e64 v19, 0, 1, s[8:9]
	v_cndmask_b32_e64 v20, 0, 1, s[4:5]
	v_cndmask_b32_e64 v18, 0, 1, s[38:39]
	v_lshlrev_b16_e32 v20, 8, v20
	v_lshlrev_b16_e32 v19, 8, v19
	v_or_b32_e32 v20, 1, v20
	v_or_b32_sdwa v18, v18, v19 dst_sel:WORD_1 dst_unused:UNUSED_PAD src0_sel:DWORD src1_sel:DWORD
	v_or_b32_sdwa v28, v20, v18 dst_sel:DWORD dst_unused:UNUSED_PAD src0_sel:WORD_0 src1_sel:DWORD
	s_waitcnt lgkmcnt(0)
	s_barrier
	s_waitcnt lgkmcnt(0)
                                        ; implicit-def: $sgpr38_sgpr39
	s_and_saveexec_b64 s[6:7], s[2:3]
	s_cbranch_execz .LBB1475_206
; %bb.194:
	v_cmp_gt_u32_e32 vcc, s48, v1
	s_mov_b64 s[2:3], 0
	s_and_saveexec_b64 s[8:9], vcc
	s_cbranch_execz .LBB1475_205
; %bb.195:
	s_andn2_b64 vcc, exec, s[10:11]
	s_mov_b64 s[38:39], 0
	s_cbranch_vccnz .LBB1475_204
; %bb.196:
	v_add_u32_e32 v18, -8, v29
	ds_read_b64 v[18:19], v18
	v_mul_lo_u32 v20, v15, s26
	v_mad_u64_u32 v[24:25], s[2:3], v14, s26, 0
	s_mov_b64 s[38:39], -1
	s_waitcnt lgkmcnt(0)
	v_mul_lo_u32 v21, v19, s26
	v_mul_lo_u32 v22, v18, s27
	v_mad_u64_u32 v[18:19], s[2:3], v18, s26, 0
	v_add3_u32 v19, v19, v22, v21
	v_mul_lo_u32 v21, v14, s27
	v_add3_u32 v25, v25, v21, v20
	v_lshlrev_b64 v[20:21], 1, v[18:19]
	v_mov_b32_e32 v18, s17
	v_add_co_u32_e32 v22, vcc, s16, v20
	v_addc_co_u32_e64 v23, s[2:3], v18, v21, vcc
	v_lshlrev_b64 v[18:19], 1, v[24:25]
	v_mov_b32_e32 v20, s17
	v_add_co_u32_e64 v24, s[2:3], s16, v18
	v_addc_co_u32_e64 v25, s[4:5], v20, v19, s[2:3]
	global_load_ushort v18, v[22:23], off
	global_load_ushort v20, v[24:25], off
	s_waitcnt vmcnt(0)
	v_cmp_eq_u16_e64 s[4:5], v18, v20
	s_and_saveexec_b64 s[10:11], s[4:5]
	s_cbranch_execz .LBB1475_203
; %bb.197:
	v_mov_b32_e32 v18, s17
	v_addc_co_u32_e64 v19, s[2:3], v19, v18, s[2:3]
	v_add_co_u32_e64 v18, s[2:3], 2, v24
	v_mov_b32_e32 v20, s17
	v_addc_co_u32_e64 v19, s[2:3], 0, v19, s[2:3]
	v_addc_co_u32_e32 v21, vcc, v21, v20, vcc
	v_add_co_u32_e32 v20, vcc, 2, v22
	s_add_u32 s2, s26, -1
	v_addc_co_u32_e32 v21, vcc, 0, v21, vcc
	s_addc_u32 s3, s27, -1
	s_mov_b64 s[4:5], 0
	s_mov_b64 s[38:39], 0
                                        ; implicit-def: $sgpr16_sgpr17
	s_branch .LBB1475_200
.LBB1475_198:                           ;   in Loop: Header=BB1475_200 Depth=1
	global_load_ushort v22, v[20:21], off
	global_load_ushort v23, v[18:19], off
	v_add_co_u32_e32 v18, vcc, 2, v18
	v_addc_co_u32_e32 v19, vcc, 0, v19, vcc
	v_add_co_u32_e32 v20, vcc, 2, v20
	v_addc_co_u32_e32 v21, vcc, 0, v21, vcc
	s_add_u32 s38, s38, 1
	s_addc_u32 s39, s39, 0
	s_andn2_b64 s[16:17], s[16:17], exec
	s_waitcnt vmcnt(0)
	v_cmp_ne_u16_e32 vcc, v22, v23
	s_and_b64 s[40:41], vcc, exec
	s_or_b64 s[16:17], s[16:17], s[40:41]
.LBB1475_199:                           ;   in Loop: Header=BB1475_200 Depth=1
	s_and_b64 s[40:41], exec, s[16:17]
	s_or_b64 s[4:5], s[40:41], s[4:5]
	v_pk_mov_b32 v[22:23], s[38:39], s[38:39] op_sel:[0,1]
	s_andn2_b64 exec, exec, s[4:5]
	s_cbranch_execz .LBB1475_202
.LBB1475_200:                           ; =>This Inner Loop Header: Depth=1
	s_or_b64 s[16:17], s[16:17], exec
	s_cmp_eq_u64 s[2:3], s[38:39]
	s_cbranch_scc0 .LBB1475_198
; %bb.201:                              ;   in Loop: Header=BB1475_200 Depth=1
                                        ; implicit-def: $vgpr18_vgpr19
                                        ; implicit-def: $vgpr20_vgpr21
	s_mov_b64 s[38:39], s[26:27]
	s_branch .LBB1475_199
.LBB1475_202:
	s_or_b64 exec, exec, s[4:5]
	v_cmp_gt_i64_e32 vcc, s[26:27], v[22:23]
	s_orn2_b64 s[38:39], vcc, exec
.LBB1475_203:
	s_or_b64 exec, exec, s[10:11]
.LBB1475_204:
	s_and_b64 s[2:3], s[38:39], exec
.LBB1475_205:
	s_or_b64 exec, exec, s[8:9]
	s_and_b64 s[38:39], s[2:3], exec
	s_or_b64 s[14:15], s[14:15], exec
.LBB1475_206:
	s_or_b64 exec, exec, s[6:7]
.LBB1475_207:
	s_and_saveexec_b64 s[2:3], s[14:15]
	s_cbranch_execz .LBB1475_209
; %bb.208:
	s_waitcnt vmcnt(0) lgkmcnt(0)
	v_and_b32_e32 v18, 0xffffff00, v28
	v_cndmask_b32_e64 v19, 0, 1, s[38:39]
	v_or_b32_e32 v18, v19, v18
	v_and_b32_e32 v18, 0xffff, v18
	s_mov_b32 s4, 0xffff0000
	v_and_or_b32 v28, v28, s4, v18
.LBB1475_209:
	s_or_b64 exec, exec, s[2:3]
	s_andn2_b64 vcc, exec, s[12:13]
	s_cbranch_vccnz .LBB1475_211
; %bb.210:
	v_cmp_gt_u32_e32 vcc, s48, v1
	s_waitcnt vmcnt(0) lgkmcnt(0)
	v_cndmask_b32_e32 v18, 0, v28, vcc
	v_or_b32_e32 v19, 1, v1
	v_and_b32_e32 v18, 0xff, v18
	v_cmp_gt_u32_e32 vcc, s48, v19
	v_cndmask_b32_e32 v18, v18, v28, vcc
	v_or_b32_e32 v19, 2, v1
	v_and_b32_e32 v18, 0xffff, v18
	v_cmp_gt_u32_e32 vcc, s48, v19
	;; [unrolled: 4-line block ×3, first 2 shown]
	v_cndmask_b32_e32 v28, v18, v28, vcc
.LBB1475_211:
	v_bfe_u32 v30, v28, 16, 8
	v_lshrrev_b32_e32 v29, 24, v28
	s_waitcnt vmcnt(0) lgkmcnt(0)
	v_add_u32_sdwa v18, v28, v28 dst_sel:DWORD dst_unused:UNUSED_PAD src0_sel:BYTE_1 src1_sel:BYTE_0
	v_add3_u32 v33, v18, v30, v29
	v_mbcnt_lo_u32_b32 v18, -1, 0
	v_mbcnt_hi_u32_b32 v31, -1, v18
	v_and_b32_e32 v18, 15, v31
	v_cmp_eq_u32_e64 s[14:15], 0, v18
	v_cmp_lt_u32_e64 s[12:13], 1, v18
	v_cmp_lt_u32_e64 s[10:11], 3, v18
	;; [unrolled: 1-line block ×3, first 2 shown]
	v_and_b32_e32 v18, 16, v31
	v_cmp_eq_u32_e64 s[6:7], 0, v18
	v_or_b32_e32 v18, 63, v0
	v_cmp_lt_u32_e64 s[2:3], 31, v31
	v_lshrrev_b32_e32 v32, 6, v0
	v_cmp_eq_u32_e64 s[4:5], v18, v0
	s_and_b64 vcc, exec, s[36:37]
	s_barrier
	s_cbranch_vccz .LBB1475_238
; %bb.212:
	v_mov_b32_dpp v18, v33 row_shr:1 row_mask:0xf bank_mask:0xf
	v_cndmask_b32_e64 v18, v18, 0, s[14:15]
	v_add_u32_e32 v18, v18, v33
	s_nop 1
	v_mov_b32_dpp v19, v18 row_shr:2 row_mask:0xf bank_mask:0xf
	v_cndmask_b32_e64 v19, 0, v19, s[12:13]
	v_add_u32_e32 v18, v18, v19
	s_nop 1
	;; [unrolled: 4-line block ×4, first 2 shown]
	v_mov_b32_dpp v19, v18 row_bcast:15 row_mask:0xf bank_mask:0xf
	v_cndmask_b32_e64 v19, v19, 0, s[6:7]
	v_add_u32_e32 v18, v18, v19
	s_nop 1
	v_mov_b32_dpp v19, v18 row_bcast:31 row_mask:0xf bank_mask:0xf
	v_cndmask_b32_e64 v19, 0, v19, s[2:3]
	v_add_u32_e32 v18, v18, v19
	s_and_saveexec_b64 s[16:17], s[4:5]
	s_cbranch_execz .LBB1475_214
; %bb.213:
	v_lshlrev_b32_e32 v19, 2, v32
	ds_write_b32 v19, v18
.LBB1475_214:
	s_or_b64 exec, exec, s[16:17]
	v_cmp_gt_u32_e32 vcc, 2, v0
	s_waitcnt lgkmcnt(0)
	s_barrier
	s_and_saveexec_b64 s[16:17], vcc
	s_cbranch_execz .LBB1475_216
; %bb.215:
	ds_read_b32 v19, v1
	v_bfe_i32 v20, v31, 0, 1
	s_waitcnt lgkmcnt(0)
	v_mov_b32_dpp v21, v19 row_shr:1 row_mask:0xf bank_mask:0xf
	v_and_b32_e32 v20, v20, v21
	v_add_u32_e32 v19, v20, v19
	ds_write_b32 v1, v19
.LBB1475_216:
	s_or_b64 exec, exec, s[16:17]
	v_cmp_gt_u32_e32 vcc, 64, v0
	v_cmp_lt_u32_e64 s[16:17], 63, v0
	s_waitcnt lgkmcnt(0)
	s_barrier
	s_waitcnt lgkmcnt(0)
                                        ; implicit-def: $vgpr34
	s_and_saveexec_b64 s[26:27], s[16:17]
	s_cbranch_execz .LBB1475_218
; %bb.217:
	v_lshl_add_u32 v19, v32, 2, -4
	ds_read_b32 v34, v19
	s_waitcnt lgkmcnt(0)
	v_add_u32_e32 v18, v34, v18
.LBB1475_218:
	s_or_b64 exec, exec, s[26:27]
	v_add_u32_e32 v19, -1, v31
	v_and_b32_e32 v20, 64, v31
	v_cmp_lt_i32_e64 s[16:17], v19, v20
	v_cndmask_b32_e64 v19, v19, v31, s[16:17]
	v_lshlrev_b32_e32 v19, 2, v19
	ds_bpermute_b32 v35, v19, v18
	v_cmp_eq_u32_e64 s[16:17], 0, v31
	s_and_saveexec_b64 s[26:27], vcc
	s_cbranch_execz .LBB1475_237
; %bb.219:
	v_mov_b32_e32 v25, 0
	ds_read_b32 v18, v25 offset:4
	s_and_saveexec_b64 s[36:37], s[16:17]
	s_cbranch_execz .LBB1475_221
; %bb.220:
	s_add_i32 s38, s33, 64
	s_mov_b32 s39, 0
	s_lshl_b64 s[38:39], s[38:39], 3
	s_add_u32 s38, s18, s38
	v_mov_b32_e32 v19, 1
	s_addc_u32 s39, s19, s39
	s_waitcnt lgkmcnt(0)
	global_store_dwordx2 v25, v[18:19], s[38:39]
.LBB1475_221:
	s_or_b64 exec, exec, s[36:37]
	v_xad_u32 v20, v31, -1, s33
	v_add_u32_e32 v24, 64, v20
	v_lshlrev_b64 v[22:23], 3, v[24:25]
	v_mov_b32_e32 v19, s19
	v_add_co_u32_e32 v26, vcc, s18, v22
	v_addc_co_u32_e32 v27, vcc, v19, v23, vcc
	global_load_dwordx2 v[22:23], v[26:27], off glc
	s_waitcnt vmcnt(0)
	v_cmp_eq_u16_sdwa s[38:39], v23, v25 src0_sel:BYTE_0 src1_sel:DWORD
	s_and_saveexec_b64 s[36:37], s[38:39]
	s_cbranch_execz .LBB1475_225
; %bb.222:
	s_mov_b64 s[38:39], 0
	v_mov_b32_e32 v19, 0
.LBB1475_223:                           ; =>This Inner Loop Header: Depth=1
	global_load_dwordx2 v[22:23], v[26:27], off glc
	s_waitcnt vmcnt(0)
	v_cmp_ne_u16_sdwa s[40:41], v23, v19 src0_sel:BYTE_0 src1_sel:DWORD
	s_or_b64 s[38:39], s[40:41], s[38:39]
	s_andn2_b64 exec, exec, s[38:39]
	s_cbranch_execnz .LBB1475_223
; %bb.224:
	s_or_b64 exec, exec, s[38:39]
.LBB1475_225:
	s_or_b64 exec, exec, s[36:37]
	v_and_b32_e32 v36, 63, v31
	v_mov_b32_e32 v19, 2
	v_cmp_ne_u32_e32 vcc, 63, v36
	v_cmp_eq_u16_sdwa s[36:37], v23, v19 src0_sel:BYTE_0 src1_sel:DWORD
	v_lshlrev_b64 v[24:25], v31, -1
	v_addc_co_u32_e32 v27, vcc, 0, v31, vcc
	v_and_b32_e32 v21, s37, v25
	v_lshlrev_b32_e32 v37, 2, v27
	v_or_b32_e32 v21, 0x80000000, v21
	ds_bpermute_b32 v27, v37, v22
	v_and_b32_e32 v26, s36, v24
	v_ffbl_b32_e32 v21, v21
	v_add_u32_e32 v21, 32, v21
	v_ffbl_b32_e32 v26, v26
	v_min_u32_e32 v21, v26, v21
	v_cmp_lt_u32_e32 vcc, v36, v21
	s_waitcnt lgkmcnt(0)
	v_cndmask_b32_e32 v26, 0, v27, vcc
	v_cmp_gt_u32_e32 vcc, 62, v36
	v_add_u32_e32 v22, v26, v22
	v_cndmask_b32_e64 v26, 0, 1, vcc
	v_lshlrev_b32_e32 v26, 1, v26
	v_add_lshl_u32 v38, v26, v31, 2
	ds_bpermute_b32 v26, v38, v22
	v_add_u32_e32 v39, 2, v36
	v_cmp_le_u32_e32 vcc, v39, v21
	v_add_u32_e32 v41, 4, v36
	v_add_u32_e32 v43, 8, v36
	s_waitcnt lgkmcnt(0)
	v_cndmask_b32_e32 v26, 0, v26, vcc
	v_cmp_gt_u32_e32 vcc, 60, v36
	v_add_u32_e32 v22, v22, v26
	v_cndmask_b32_e64 v26, 0, 1, vcc
	v_lshlrev_b32_e32 v26, 2, v26
	v_add_lshl_u32 v40, v26, v31, 2
	ds_bpermute_b32 v26, v40, v22
	v_cmp_le_u32_e32 vcc, v41, v21
	v_add_u32_e32 v46, 16, v36
	v_add_u32_e32 v48, 32, v36
	s_waitcnt lgkmcnt(0)
	v_cndmask_b32_e32 v26, 0, v26, vcc
	v_cmp_gt_u32_e32 vcc, 56, v36
	v_add_u32_e32 v22, v22, v26
	v_cndmask_b32_e64 v26, 0, 1, vcc
	v_lshlrev_b32_e32 v26, 3, v26
	v_add_lshl_u32 v42, v26, v31, 2
	ds_bpermute_b32 v26, v42, v22
	v_cmp_le_u32_e32 vcc, v43, v21
	s_waitcnt lgkmcnt(0)
	v_cndmask_b32_e32 v26, 0, v26, vcc
	v_cmp_gt_u32_e32 vcc, 48, v36
	v_add_u32_e32 v22, v22, v26
	v_cndmask_b32_e64 v26, 0, 1, vcc
	v_lshlrev_b32_e32 v26, 4, v26
	v_add_lshl_u32 v45, v26, v31, 2
	ds_bpermute_b32 v26, v45, v22
	v_cmp_le_u32_e32 vcc, v46, v21
	s_waitcnt lgkmcnt(0)
	v_cndmask_b32_e32 v26, 0, v26, vcc
	v_cmp_gt_u32_e32 vcc, 32, v36
	v_add_u32_e32 v22, v22, v26
	v_cndmask_b32_e64 v26, 0, 1, vcc
	v_lshlrev_b32_e32 v26, 5, v26
	v_add_lshl_u32 v47, v26, v31, 2
	ds_bpermute_b32 v26, v47, v22
	v_cmp_le_u32_e32 vcc, v48, v21
	s_waitcnt lgkmcnt(0)
	v_cndmask_b32_e32 v21, 0, v26, vcc
	v_add_u32_e32 v22, v22, v21
	v_mov_b32_e32 v21, 0
	s_branch .LBB1475_227
.LBB1475_226:                           ;   in Loop: Header=BB1475_227 Depth=1
	s_or_b64 exec, exec, s[36:37]
	v_cmp_eq_u16_sdwa s[36:37], v23, v19 src0_sel:BYTE_0 src1_sel:DWORD
	v_and_b32_e32 v26, s37, v25
	v_or_b32_e32 v26, 0x80000000, v26
	ds_bpermute_b32 v49, v37, v22
	v_and_b32_e32 v27, s36, v24
	v_ffbl_b32_e32 v26, v26
	v_add_u32_e32 v26, 32, v26
	v_ffbl_b32_e32 v27, v27
	v_min_u32_e32 v26, v27, v26
	v_cmp_lt_u32_e32 vcc, v36, v26
	s_waitcnt lgkmcnt(0)
	v_cndmask_b32_e32 v27, 0, v49, vcc
	v_add_u32_e32 v22, v27, v22
	ds_bpermute_b32 v27, v38, v22
	v_cmp_le_u32_e32 vcc, v39, v26
	v_subrev_u32_e32 v20, 64, v20
	s_waitcnt lgkmcnt(0)
	v_cndmask_b32_e32 v27, 0, v27, vcc
	v_add_u32_e32 v22, v22, v27
	ds_bpermute_b32 v27, v40, v22
	v_cmp_le_u32_e32 vcc, v41, v26
	s_waitcnt lgkmcnt(0)
	v_cndmask_b32_e32 v27, 0, v27, vcc
	v_add_u32_e32 v22, v22, v27
	ds_bpermute_b32 v27, v42, v22
	v_cmp_le_u32_e32 vcc, v43, v26
	s_waitcnt lgkmcnt(0)
	v_cndmask_b32_e32 v27, 0, v27, vcc
	v_add_u32_e32 v22, v22, v27
	ds_bpermute_b32 v27, v45, v22
	v_cmp_le_u32_e32 vcc, v46, v26
	s_waitcnt lgkmcnt(0)
	v_cndmask_b32_e32 v27, 0, v27, vcc
	v_add_u32_e32 v22, v22, v27
	ds_bpermute_b32 v27, v47, v22
	v_cmp_le_u32_e32 vcc, v48, v26
	s_waitcnt lgkmcnt(0)
	v_cndmask_b32_e32 v26, 0, v27, vcc
	v_add3_u32 v22, v26, v44, v22
.LBB1475_227:                           ; =>This Loop Header: Depth=1
                                        ;     Child Loop BB1475_230 Depth 2
	v_cmp_ne_u16_sdwa s[36:37], v23, v19 src0_sel:BYTE_0 src1_sel:DWORD
	v_cndmask_b32_e64 v23, 0, 1, s[36:37]
	;;#ASMSTART
	;;#ASMEND
	v_cmp_ne_u32_e32 vcc, 0, v23
	s_cmp_lg_u64 vcc, exec
	v_mov_b32_e32 v44, v22
	s_cbranch_scc1 .LBB1475_232
; %bb.228:                              ;   in Loop: Header=BB1475_227 Depth=1
	v_lshlrev_b64 v[22:23], 3, v[20:21]
	v_mov_b32_e32 v27, s19
	v_add_co_u32_e32 v26, vcc, s18, v22
	v_addc_co_u32_e32 v27, vcc, v27, v23, vcc
	global_load_dwordx2 v[22:23], v[26:27], off glc
	s_waitcnt vmcnt(0)
	v_cmp_eq_u16_sdwa s[38:39], v23, v21 src0_sel:BYTE_0 src1_sel:DWORD
	s_and_saveexec_b64 s[36:37], s[38:39]
	s_cbranch_execz .LBB1475_226
; %bb.229:                              ;   in Loop: Header=BB1475_227 Depth=1
	s_mov_b64 s[38:39], 0
.LBB1475_230:                           ;   Parent Loop BB1475_227 Depth=1
                                        ; =>  This Inner Loop Header: Depth=2
	global_load_dwordx2 v[22:23], v[26:27], off glc
	s_waitcnt vmcnt(0)
	v_cmp_ne_u16_sdwa s[40:41], v23, v21 src0_sel:BYTE_0 src1_sel:DWORD
	s_or_b64 s[38:39], s[40:41], s[38:39]
	s_andn2_b64 exec, exec, s[38:39]
	s_cbranch_execnz .LBB1475_230
; %bb.231:                              ;   in Loop: Header=BB1475_227 Depth=1
	s_or_b64 exec, exec, s[38:39]
	s_branch .LBB1475_226
.LBB1475_232:                           ;   in Loop: Header=BB1475_227 Depth=1
                                        ; implicit-def: $vgpr22
                                        ; implicit-def: $vgpr23
	s_cbranch_execz .LBB1475_227
; %bb.233:
	s_and_saveexec_b64 s[36:37], s[16:17]
	s_cbranch_execz .LBB1475_235
; %bb.234:
	s_add_i32 s38, s33, 64
	s_mov_b32 s39, 0
	s_lshl_b64 s[38:39], s[38:39], 3
	s_add_u32 s38, s18, s38
	v_add_u32_e32 v20, v44, v18
	v_mov_b32_e32 v21, 2
	s_addc_u32 s39, s19, s39
	v_mov_b32_e32 v19, 0
	s_movk_i32 s33, 0x1000
	global_store_dwordx2 v19, v[20:21], s[38:39]
	v_add_u32_e64 v19, s33, 0
	ds_write2_b32 v19, v18, v44 offset0:32 offset1:34
.LBB1475_235:
	s_or_b64 exec, exec, s[36:37]
	s_and_b64 exec, exec, s[0:1]
	s_cbranch_execz .LBB1475_237
; %bb.236:
	v_mov_b32_e32 v18, 0
	ds_write_b32 v18, v44 offset:4
.LBB1475_237:
	s_or_b64 exec, exec, s[26:27]
	v_mov_b32_e32 v19, 0
	s_waitcnt lgkmcnt(0)
	s_barrier
	ds_read_b32 v19, v19 offset:4
	v_cndmask_b32_e64 v18, v35, v34, s[16:17]
	s_movk_i32 s16, 0x1000
	v_add_u32_e64 v20, s16, 0
	s_waitcnt lgkmcnt(0)
	s_barrier
	ds_read2_b32 v[26:27], v20 offset0:32 offset1:34
	v_cndmask_b32_e64 v18, v18, 0, s[0:1]
	v_add_u32_e32 v24, v19, v18
	v_add_u32_sdwa v22, v24, v28 dst_sel:DWORD dst_unused:UNUSED_PAD src0_sel:DWORD src1_sel:BYTE_0
	v_add_u32_sdwa v20, v22, v28 dst_sel:DWORD dst_unused:UNUSED_PAD src0_sel:DWORD src1_sel:BYTE_1
	v_add_u32_e32 v18, v20, v30
	s_waitcnt lgkmcnt(0)
	v_readfirstlane_b32 s33, v26
	v_readfirstlane_b32 s16, v27
	s_branch .LBB1475_248
.LBB1475_238:
                                        ; implicit-def: $vgpr18
                                        ; implicit-def: $vgpr20
                                        ; implicit-def: $vgpr22
                                        ; implicit-def: $vgpr24
                                        ; implicit-def: $sgpr16
                                        ; implicit-def: $sgpr33
	s_cbranch_execz .LBB1475_248
; %bb.239:
	s_nop 0
	v_mov_b32_dpp v18, v33 row_shr:1 row_mask:0xf bank_mask:0xf
	v_cndmask_b32_e64 v18, v18, 0, s[14:15]
	v_add_u32_e32 v18, v18, v33
	s_nop 1
	v_mov_b32_dpp v19, v18 row_shr:2 row_mask:0xf bank_mask:0xf
	v_cndmask_b32_e64 v19, 0, v19, s[12:13]
	v_add_u32_e32 v18, v18, v19
	;; [unrolled: 4-line block ×4, first 2 shown]
	s_nop 1
	v_mov_b32_dpp v19, v18 row_bcast:15 row_mask:0xf bank_mask:0xf
	v_cndmask_b32_e64 v19, v19, 0, s[6:7]
	v_add_u32_e32 v18, v18, v19
	s_nop 1
	v_mov_b32_dpp v19, v18 row_bcast:31 row_mask:0xf bank_mask:0xf
	v_cndmask_b32_e64 v19, 0, v19, s[2:3]
	v_add_u32_e32 v18, v18, v19
	s_and_saveexec_b64 s[2:3], s[4:5]
	s_cbranch_execz .LBB1475_241
; %bb.240:
	v_lshlrev_b32_e32 v19, 2, v32
	ds_write_b32 v19, v18
.LBB1475_241:
	s_or_b64 exec, exec, s[2:3]
	v_cmp_gt_u32_e32 vcc, 2, v0
	s_waitcnt lgkmcnt(0)
	s_barrier
	s_and_saveexec_b64 s[2:3], vcc
	s_cbranch_execz .LBB1475_243
; %bb.242:
	ds_read_b32 v19, v1
	v_bfe_i32 v20, v31, 0, 1
	s_waitcnt lgkmcnt(0)
	v_mov_b32_dpp v21, v19 row_shr:1 row_mask:0xf bank_mask:0xf
	v_and_b32_e32 v20, v20, v21
	v_add_u32_e32 v19, v20, v19
	ds_write_b32 v1, v19
.LBB1475_243:
	s_or_b64 exec, exec, s[2:3]
	v_cmp_lt_u32_e32 vcc, 63, v0
	v_mov_b32_e32 v19, 0
	v_mov_b32_e32 v1, 0
	s_waitcnt lgkmcnt(0)
	s_barrier
	s_and_saveexec_b64 s[2:3], vcc
	s_cbranch_execz .LBB1475_245
; %bb.244:
	v_lshl_add_u32 v1, v32, 2, -4
	ds_read_b32 v1, v1
.LBB1475_245:
	s_or_b64 exec, exec, s[2:3]
	v_add_u32_e32 v20, -1, v31
	v_and_b32_e32 v21, 64, v31
	v_cmp_lt_i32_e32 vcc, v20, v21
	v_cndmask_b32_e32 v20, v20, v31, vcc
	s_waitcnt lgkmcnt(0)
	v_add_u32_e32 v18, v1, v18
	v_lshlrev_b32_e32 v20, 2, v20
	ds_read_b32 v19, v19 offset:4
	ds_bpermute_b32 v18, v20, v18
	s_waitcnt lgkmcnt(1)
	v_readfirstlane_b32 s33, v19
	s_and_saveexec_b64 s[2:3], s[0:1]
	s_cbranch_execz .LBB1475_247
; %bb.246:
	v_mov_b32_e32 v19, 0
	v_mov_b32_e32 v20, s33
	;; [unrolled: 1-line block ×3, first 2 shown]
	global_store_dwordx2 v19, v[20:21], s[18:19] offset:512
.LBB1475_247:
	s_or_b64 exec, exec, s[2:3]
	v_cmp_eq_u32_e32 vcc, 0, v31
	s_waitcnt lgkmcnt(0)
	v_cndmask_b32_e32 v1, v18, v1, vcc
	v_cndmask_b32_e64 v24, v1, 0, s[0:1]
	v_add_u32_sdwa v22, v24, v28 dst_sel:DWORD dst_unused:UNUSED_PAD src0_sel:DWORD src1_sel:BYTE_0
	v_add_u32_sdwa v20, v22, v28 dst_sel:DWORD dst_unused:UNUSED_PAD src0_sel:DWORD src1_sel:BYTE_1
	s_mov_b32 s16, 0
	v_add_u32_e32 v18, v20, v30
	s_barrier
.LBB1475_248:
	s_cmpk_lt_u32 s33, 0x81
	s_cselect_b64 s[4:5], -1, 0
	v_lshrrev_b32_e32 v1, 8, v28
	s_mov_b64 s[2:3], -1
	s_and_b64 vcc, exec, s[4:5]
	s_cbranch_vccz .LBB1475_262
; %bb.249:
	s_add_i32 s6, s16, s33
	v_cmp_gt_u32_e32 vcc, s6, v24
	s_or_b64 s[8:9], s[34:35], vcc
	s_and_saveexec_b64 s[2:3], s[8:9]
	s_cbranch_execz .LBB1475_252
; %bb.250:
	v_and_b32_e32 v19, 1, v28
	v_cmp_eq_u32_e32 vcc, 1, v19
	s_and_b64 exec, exec, vcc
	s_cbranch_execz .LBB1475_252
; %bb.251:
	s_lshl_b64 s[8:9], s[22:23], 3
	s_add_u32 s7, s28, s8
	v_mov_b32_e32 v25, 0
	s_addc_u32 s8, s29, s9
	v_lshlrev_b64 v[26:27], 3, v[24:25]
	v_mov_b32_e32 v19, s8
	v_add_co_u32_e32 v26, vcc, s7, v26
	v_addc_co_u32_e32 v27, vcc, v19, v27, vcc
	global_store_dwordx2 v[26:27], v[14:15], off
.LBB1475_252:
	s_or_b64 exec, exec, s[2:3]
	v_cmp_gt_u32_e32 vcc, s6, v22
	s_or_b64 s[8:9], s[34:35], vcc
	s_and_saveexec_b64 s[2:3], s[8:9]
	s_cbranch_execz .LBB1475_255
; %bb.253:
	v_and_b32_e32 v19, 1, v1
	v_cmp_eq_u32_e32 vcc, 1, v19
	s_and_b64 exec, exec, vcc
	s_cbranch_execz .LBB1475_255
; %bb.254:
	s_lshl_b64 s[8:9], s[22:23], 3
	s_add_u32 s7, s28, s8
	v_mov_b32_e32 v23, 0
	s_addc_u32 s8, s29, s9
	v_lshlrev_b64 v[26:27], 3, v[22:23]
	v_mov_b32_e32 v19, s8
	v_add_co_u32_e32 v26, vcc, s7, v26
	v_addc_co_u32_e32 v27, vcc, v19, v27, vcc
	global_store_dwordx2 v[26:27], v[16:17], off
.LBB1475_255:
	s_or_b64 exec, exec, s[2:3]
	v_cmp_gt_u32_e32 vcc, s6, v20
	s_or_b64 s[8:9], s[34:35], vcc
	s_and_saveexec_b64 s[2:3], s[8:9]
	s_cbranch_execz .LBB1475_258
; %bb.256:
	v_mov_b32_e32 v19, 1
	v_and_b32_sdwa v19, v19, v28 dst_sel:DWORD dst_unused:UNUSED_PAD src0_sel:DWORD src1_sel:WORD_1
	v_cmp_eq_u32_e32 vcc, 1, v19
	s_and_b64 exec, exec, vcc
	s_cbranch_execz .LBB1475_258
; %bb.257:
	s_lshl_b64 s[8:9], s[22:23], 3
	s_add_u32 s7, s28, s8
	v_mov_b32_e32 v21, 0
	s_addc_u32 s8, s29, s9
	v_lshlrev_b64 v[26:27], 3, v[20:21]
	v_mov_b32_e32 v19, s8
	v_add_co_u32_e32 v26, vcc, s7, v26
	v_addc_co_u32_e32 v27, vcc, v19, v27, vcc
	global_store_dwordx2 v[26:27], v[10:11], off
.LBB1475_258:
	s_or_b64 exec, exec, s[2:3]
	v_cmp_gt_u32_e32 vcc, s6, v18
	s_or_b64 s[6:7], s[34:35], vcc
	s_and_saveexec_b64 s[2:3], s[6:7]
	s_cbranch_execz .LBB1475_261
; %bb.259:
	v_and_b32_e32 v19, 1, v29
	v_cmp_eq_u32_e32 vcc, 1, v19
	s_and_b64 exec, exec, vcc
	s_cbranch_execz .LBB1475_261
; %bb.260:
	s_lshl_b64 s[6:7], s[22:23], 3
	s_add_u32 s6, s28, s6
	v_mov_b32_e32 v19, 0
	s_addc_u32 s7, s29, s7
	v_lshlrev_b64 v[26:27], 3, v[18:19]
	v_mov_b32_e32 v19, s7
	v_add_co_u32_e32 v26, vcc, s6, v26
	v_addc_co_u32_e32 v27, vcc, v19, v27, vcc
	global_store_dwordx2 v[26:27], v[12:13], off
.LBB1475_261:
	s_or_b64 exec, exec, s[2:3]
	s_mov_b64 s[2:3], 0
.LBB1475_262:
	v_and_b32_e32 v26, 1, v28
	s_and_b64 vcc, exec, s[2:3]
	v_cmp_eq_u32_e64 s[2:3], 1, v26
	s_cbranch_vccz .LBB1475_275
; %bb.263:
	s_and_saveexec_b64 s[6:7], s[2:3]
	s_cbranch_execz .LBB1475_265
; %bb.264:
	v_subrev_u32_e32 v19, s16, v24
	v_lshlrev_b32_e32 v19, 3, v19
	ds_write_b64 v19, v[14:15]
.LBB1475_265:
	s_or_b64 exec, exec, s[6:7]
	v_and_b32_e32 v14, 1, v1
	v_cmp_eq_u32_e32 vcc, 1, v14
	s_and_saveexec_b64 s[2:3], vcc
	s_cbranch_execz .LBB1475_267
; %bb.266:
	v_subrev_u32_e32 v14, s16, v22
	v_lshlrev_b32_e32 v14, 3, v14
	ds_write_b64 v14, v[16:17]
.LBB1475_267:
	s_or_b64 exec, exec, s[2:3]
	v_mov_b32_e32 v14, 1
	v_and_b32_sdwa v14, v14, v28 dst_sel:DWORD dst_unused:UNUSED_PAD src0_sel:DWORD src1_sel:WORD_1
	v_cmp_eq_u32_e32 vcc, 1, v14
	s_and_saveexec_b64 s[2:3], vcc
	s_cbranch_execz .LBB1475_269
; %bb.268:
	v_subrev_u32_e32 v14, s16, v20
	v_lshlrev_b32_e32 v14, 3, v14
	ds_write_b64 v14, v[10:11]
.LBB1475_269:
	s_or_b64 exec, exec, s[2:3]
	v_and_b32_e32 v10, 1, v29
	v_cmp_eq_u32_e32 vcc, 1, v10
	s_and_saveexec_b64 s[2:3], vcc
	s_cbranch_execz .LBB1475_271
; %bb.270:
	v_subrev_u32_e32 v10, s16, v18
	v_lshlrev_b32_e32 v10, 3, v10
	ds_write_b64 v10, v[12:13]
.LBB1475_271:
	s_or_b64 exec, exec, s[2:3]
	v_cmp_gt_u32_e32 vcc, s33, v0
	s_waitcnt lgkmcnt(0)
	s_barrier
	s_and_saveexec_b64 s[2:3], vcc
	s_cbranch_execz .LBB1475_274
; %bb.272:
	s_mov_b32 s17, 0
	s_lshl_b64 s[6:7], s[16:17], 3
	s_add_u32 s8, s28, s6
	s_addc_u32 s9, s29, s7
	s_lshl_b64 s[6:7], s[22:23], 3
	s_add_u32 s8, s8, s6
	s_addc_u32 s9, s9, s7
	v_lshlrev_b32_e32 v12, 3, v0
	s_mov_b64 s[6:7], 0
	v_mov_b32_e32 v11, 0
	v_mov_b32_e32 v13, s9
	;; [unrolled: 1-line block ×3, first 2 shown]
.LBB1475_273:                           ; =>This Inner Loop Header: Depth=1
	ds_read_b64 v[14:15], v12
	v_lshlrev_b64 v[16:17], 3, v[10:11]
	v_add_co_u32_e32 v16, vcc, s8, v16
	v_add_u32_e32 v10, 0x80, v10
	v_addc_co_u32_e32 v17, vcc, v13, v17, vcc
	v_cmp_le_u32_e32 vcc, s33, v10
	v_add_u32_e32 v12, 0x400, v12
	s_or_b64 s[6:7], vcc, s[6:7]
	s_waitcnt lgkmcnt(0)
	global_store_dwordx2 v[16:17], v[14:15], off
	s_andn2_b64 exec, exec, s[6:7]
	s_cbranch_execnz .LBB1475_273
.LBB1475_274:
	s_or_b64 exec, exec, s[2:3]
.LBB1475_275:
	s_mov_b64 s[2:3], -1
	s_and_b64 vcc, exec, s[4:5]
	s_barrier
	s_cbranch_vccnz .LBB1475_279
; %bb.276:
	s_and_b64 vcc, exec, s[2:3]
	s_cbranch_vccnz .LBB1475_292
.LBB1475_277:
	s_and_b64 s[0:1], s[0:1], s[24:25]
	s_and_saveexec_b64 s[2:3], s[0:1]
	s_cbranch_execnz .LBB1475_304
.LBB1475_278:
	s_endpgm
.LBB1475_279:
	s_add_i32 s4, s16, s33
	v_cmp_gt_u32_e32 vcc, s4, v24
	s_or_b64 s[6:7], s[34:35], vcc
	s_and_saveexec_b64 s[2:3], s[6:7]
	s_cbranch_execz .LBB1475_282
; %bb.280:
	v_cmp_eq_u32_e32 vcc, 1, v26
	s_and_b64 exec, exec, vcc
	s_cbranch_execz .LBB1475_282
; %bb.281:
	s_lshl_b64 s[6:7], s[22:23], 3
	s_add_u32 s5, s30, s6
	v_mov_b32_e32 v25, 0
	s_addc_u32 s6, s31, s7
	v_lshlrev_b64 v[10:11], 3, v[24:25]
	v_mov_b32_e32 v12, s6
	v_add_co_u32_e32 v10, vcc, s5, v10
	v_addc_co_u32_e32 v11, vcc, v12, v11, vcc
	global_store_dwordx2 v[10:11], v[6:7], off
.LBB1475_282:
	s_or_b64 exec, exec, s[2:3]
	v_cmp_gt_u32_e32 vcc, s4, v22
	s_or_b64 s[6:7], s[34:35], vcc
	s_and_saveexec_b64 s[2:3], s[6:7]
	s_cbranch_execz .LBB1475_285
; %bb.283:
	v_and_b32_e32 v10, 1, v1
	v_cmp_eq_u32_e32 vcc, 1, v10
	s_and_b64 exec, exec, vcc
	s_cbranch_execz .LBB1475_285
; %bb.284:
	s_lshl_b64 s[6:7], s[22:23], 3
	s_add_u32 s5, s30, s6
	v_mov_b32_e32 v23, 0
	s_addc_u32 s6, s31, s7
	v_lshlrev_b64 v[10:11], 3, v[22:23]
	v_mov_b32_e32 v12, s6
	v_add_co_u32_e32 v10, vcc, s5, v10
	v_addc_co_u32_e32 v11, vcc, v12, v11, vcc
	global_store_dwordx2 v[10:11], v[8:9], off
.LBB1475_285:
	s_or_b64 exec, exec, s[2:3]
	v_cmp_gt_u32_e32 vcc, s4, v20
	s_or_b64 s[6:7], s[34:35], vcc
	s_and_saveexec_b64 s[2:3], s[6:7]
	s_cbranch_execz .LBB1475_288
; %bb.286:
	v_mov_b32_e32 v10, 1
	v_and_b32_sdwa v10, v10, v28 dst_sel:DWORD dst_unused:UNUSED_PAD src0_sel:DWORD src1_sel:WORD_1
	v_cmp_eq_u32_e32 vcc, 1, v10
	s_and_b64 exec, exec, vcc
	s_cbranch_execz .LBB1475_288
; %bb.287:
	s_lshl_b64 s[6:7], s[22:23], 3
	s_add_u32 s5, s30, s6
	v_mov_b32_e32 v21, 0
	s_addc_u32 s6, s31, s7
	v_lshlrev_b64 v[10:11], 3, v[20:21]
	v_mov_b32_e32 v12, s6
	v_add_co_u32_e32 v10, vcc, s5, v10
	v_addc_co_u32_e32 v11, vcc, v12, v11, vcc
	global_store_dwordx2 v[10:11], v[2:3], off
.LBB1475_288:
	s_or_b64 exec, exec, s[2:3]
	v_cmp_gt_u32_e32 vcc, s4, v18
	s_or_b64 s[4:5], s[34:35], vcc
	s_and_saveexec_b64 s[2:3], s[4:5]
	s_cbranch_execz .LBB1475_291
; %bb.289:
	v_and_b32_e32 v10, 1, v29
	v_cmp_eq_u32_e32 vcc, 1, v10
	s_and_b64 exec, exec, vcc
	s_cbranch_execz .LBB1475_291
; %bb.290:
	s_lshl_b64 s[4:5], s[22:23], 3
	s_add_u32 s4, s30, s4
	v_mov_b32_e32 v19, 0
	s_addc_u32 s5, s31, s5
	v_lshlrev_b64 v[10:11], 3, v[18:19]
	v_mov_b32_e32 v12, s5
	v_add_co_u32_e32 v10, vcc, s4, v10
	v_addc_co_u32_e32 v11, vcc, v12, v11, vcc
	global_store_dwordx2 v[10:11], v[4:5], off
.LBB1475_291:
	s_or_b64 exec, exec, s[2:3]
	s_branch .LBB1475_277
.LBB1475_292:
	v_cmp_eq_u32_e32 vcc, 1, v26
	s_and_saveexec_b64 s[2:3], vcc
	s_cbranch_execz .LBB1475_294
; %bb.293:
	v_subrev_u32_e32 v10, s16, v24
	v_lshlrev_b32_e32 v10, 3, v10
	ds_write_b64 v10, v[6:7]
.LBB1475_294:
	s_or_b64 exec, exec, s[2:3]
	v_and_b32_e32 v1, 1, v1
	v_cmp_eq_u32_e32 vcc, 1, v1
	s_and_saveexec_b64 s[2:3], vcc
	s_cbranch_execz .LBB1475_296
; %bb.295:
	v_subrev_u32_e32 v1, s16, v22
	v_lshlrev_b32_e32 v1, 3, v1
	ds_write_b64 v1, v[8:9]
.LBB1475_296:
	s_or_b64 exec, exec, s[2:3]
	v_mov_b32_e32 v1, 1
	v_and_b32_sdwa v1, v1, v28 dst_sel:DWORD dst_unused:UNUSED_PAD src0_sel:DWORD src1_sel:WORD_1
	v_cmp_eq_u32_e32 vcc, 1, v1
	s_and_saveexec_b64 s[2:3], vcc
	s_cbranch_execz .LBB1475_298
; %bb.297:
	v_subrev_u32_e32 v1, s16, v20
	v_lshlrev_b32_e32 v1, 3, v1
	ds_write_b64 v1, v[2:3]
.LBB1475_298:
	s_or_b64 exec, exec, s[2:3]
	v_and_b32_e32 v1, 1, v29
	v_cmp_eq_u32_e32 vcc, 1, v1
	s_and_saveexec_b64 s[2:3], vcc
	s_cbranch_execz .LBB1475_300
; %bb.299:
	v_subrev_u32_e32 v1, s16, v18
	v_lshlrev_b32_e32 v1, 3, v1
	ds_write_b64 v1, v[4:5]
.LBB1475_300:
	s_or_b64 exec, exec, s[2:3]
	v_cmp_gt_u32_e32 vcc, s33, v0
	s_waitcnt lgkmcnt(0)
	s_barrier
	s_and_saveexec_b64 s[2:3], vcc
	s_cbranch_execz .LBB1475_303
; %bb.301:
	s_mov_b32 s17, 0
	s_lshl_b64 s[4:5], s[16:17], 3
	s_add_u32 s6, s30, s4
	s_addc_u32 s7, s31, s5
	s_lshl_b64 s[4:5], s[22:23], 3
	s_add_u32 s6, s6, s4
	s_addc_u32 s7, s7, s5
	v_lshlrev_b32_e32 v2, 3, v0
	s_mov_b64 s[4:5], 0
	v_mov_b32_e32 v1, 0
	v_mov_b32_e32 v3, s7
.LBB1475_302:                           ; =>This Inner Loop Header: Depth=1
	ds_read_b64 v[4:5], v2
	v_lshlrev_b64 v[6:7], 3, v[0:1]
	v_add_co_u32_e32 v6, vcc, s6, v6
	v_add_u32_e32 v0, 0x80, v0
	v_addc_co_u32_e32 v7, vcc, v3, v7, vcc
	v_cmp_le_u32_e32 vcc, s33, v0
	v_add_u32_e32 v2, 0x400, v2
	s_or_b64 s[4:5], vcc, s[4:5]
	s_waitcnt lgkmcnt(0)
	global_store_dwordx2 v[6:7], v[4:5], off
	s_andn2_b64 exec, exec, s[4:5]
	s_cbranch_execnz .LBB1475_302
.LBB1475_303:
	s_or_b64 exec, exec, s[2:3]
	s_and_b64 s[0:1], s[0:1], s[24:25]
	s_and_saveexec_b64 s[2:3], s[0:1]
	s_cbranch_execz .LBB1475_278
.LBB1475_304:
	s_add_u32 s0, s22, s33
	s_addc_u32 s1, s23, 0
	s_add_u32 s0, s0, s16
	s_addc_u32 s1, s1, 0
	v_mov_b32_e32 v2, 0
	v_pk_mov_b32 v[0:1], s[0:1], s[0:1] op_sel:[0,1]
	global_store_dwordx2 v2, v[0:1], s[20:21]
	s_endpgm
	.section	.rodata,"a",@progbits
	.p2align	6, 0x0
	.amdhsa_kernel _ZN7rocprim17ROCPRIM_400000_NS6detail17trampoline_kernelINS0_14default_configENS1_25partition_config_selectorILNS1_17partition_subalgoE9EllbEEZZNS1_14partition_implILS5_9ELb0ES3_jPlS8_PNS0_10empty_typeENS0_5tupleIJS8_S9_EEENSB_IJS8_SA_EEENS0_18inequality_wrapperIZN2at6native12_GLOBAL__N_124unique_dim_cuda_templateItEESt5tupleIJNSF_6TensorESK_SK_EERKSK_lbbbEUlllE0_EEPmJS9_EEE10hipError_tPvRmT3_T4_T5_T6_T7_T9_mT8_P12ihipStream_tbDpT10_ENKUlT_T0_E_clISt17integral_constantIbLb0EES19_IbLb1EEEEDaS15_S16_EUlS15_E_NS1_11comp_targetILNS1_3genE4ELNS1_11target_archE910ELNS1_3gpuE8ELNS1_3repE0EEENS1_30default_config_static_selectorELNS0_4arch9wavefront6targetE1EEEvT1_
		.amdhsa_group_segment_fixed_size 4236
		.amdhsa_private_segment_fixed_size 0
		.amdhsa_kernarg_size 136
		.amdhsa_user_sgpr_count 6
		.amdhsa_user_sgpr_private_segment_buffer 1
		.amdhsa_user_sgpr_dispatch_ptr 0
		.amdhsa_user_sgpr_queue_ptr 0
		.amdhsa_user_sgpr_kernarg_segment_ptr 1
		.amdhsa_user_sgpr_dispatch_id 0
		.amdhsa_user_sgpr_flat_scratch_init 0
		.amdhsa_user_sgpr_kernarg_preload_length 0
		.amdhsa_user_sgpr_kernarg_preload_offset 0
		.amdhsa_user_sgpr_private_segment_size 0
		.amdhsa_uses_dynamic_stack 0
		.amdhsa_system_sgpr_private_segment_wavefront_offset 0
		.amdhsa_system_sgpr_workgroup_id_x 1
		.amdhsa_system_sgpr_workgroup_id_y 0
		.amdhsa_system_sgpr_workgroup_id_z 0
		.amdhsa_system_sgpr_workgroup_info 0
		.amdhsa_system_vgpr_workitem_id 0
		.amdhsa_next_free_vgpr 50
		.amdhsa_next_free_sgpr 52
		.amdhsa_accum_offset 52
		.amdhsa_reserve_vcc 1
		.amdhsa_reserve_flat_scratch 0
		.amdhsa_float_round_mode_32 0
		.amdhsa_float_round_mode_16_64 0
		.amdhsa_float_denorm_mode_32 3
		.amdhsa_float_denorm_mode_16_64 3
		.amdhsa_dx10_clamp 1
		.amdhsa_ieee_mode 1
		.amdhsa_fp16_overflow 0
		.amdhsa_tg_split 0
		.amdhsa_exception_fp_ieee_invalid_op 0
		.amdhsa_exception_fp_denorm_src 0
		.amdhsa_exception_fp_ieee_div_zero 0
		.amdhsa_exception_fp_ieee_overflow 0
		.amdhsa_exception_fp_ieee_underflow 0
		.amdhsa_exception_fp_ieee_inexact 0
		.amdhsa_exception_int_div_zero 0
	.end_amdhsa_kernel
	.section	.text._ZN7rocprim17ROCPRIM_400000_NS6detail17trampoline_kernelINS0_14default_configENS1_25partition_config_selectorILNS1_17partition_subalgoE9EllbEEZZNS1_14partition_implILS5_9ELb0ES3_jPlS8_PNS0_10empty_typeENS0_5tupleIJS8_S9_EEENSB_IJS8_SA_EEENS0_18inequality_wrapperIZN2at6native12_GLOBAL__N_124unique_dim_cuda_templateItEESt5tupleIJNSF_6TensorESK_SK_EERKSK_lbbbEUlllE0_EEPmJS9_EEE10hipError_tPvRmT3_T4_T5_T6_T7_T9_mT8_P12ihipStream_tbDpT10_ENKUlT_T0_E_clISt17integral_constantIbLb0EES19_IbLb1EEEEDaS15_S16_EUlS15_E_NS1_11comp_targetILNS1_3genE4ELNS1_11target_archE910ELNS1_3gpuE8ELNS1_3repE0EEENS1_30default_config_static_selectorELNS0_4arch9wavefront6targetE1EEEvT1_,"axG",@progbits,_ZN7rocprim17ROCPRIM_400000_NS6detail17trampoline_kernelINS0_14default_configENS1_25partition_config_selectorILNS1_17partition_subalgoE9EllbEEZZNS1_14partition_implILS5_9ELb0ES3_jPlS8_PNS0_10empty_typeENS0_5tupleIJS8_S9_EEENSB_IJS8_SA_EEENS0_18inequality_wrapperIZN2at6native12_GLOBAL__N_124unique_dim_cuda_templateItEESt5tupleIJNSF_6TensorESK_SK_EERKSK_lbbbEUlllE0_EEPmJS9_EEE10hipError_tPvRmT3_T4_T5_T6_T7_T9_mT8_P12ihipStream_tbDpT10_ENKUlT_T0_E_clISt17integral_constantIbLb0EES19_IbLb1EEEEDaS15_S16_EUlS15_E_NS1_11comp_targetILNS1_3genE4ELNS1_11target_archE910ELNS1_3gpuE8ELNS1_3repE0EEENS1_30default_config_static_selectorELNS0_4arch9wavefront6targetE1EEEvT1_,comdat
.Lfunc_end1475:
	.size	_ZN7rocprim17ROCPRIM_400000_NS6detail17trampoline_kernelINS0_14default_configENS1_25partition_config_selectorILNS1_17partition_subalgoE9EllbEEZZNS1_14partition_implILS5_9ELb0ES3_jPlS8_PNS0_10empty_typeENS0_5tupleIJS8_S9_EEENSB_IJS8_SA_EEENS0_18inequality_wrapperIZN2at6native12_GLOBAL__N_124unique_dim_cuda_templateItEESt5tupleIJNSF_6TensorESK_SK_EERKSK_lbbbEUlllE0_EEPmJS9_EEE10hipError_tPvRmT3_T4_T5_T6_T7_T9_mT8_P12ihipStream_tbDpT10_ENKUlT_T0_E_clISt17integral_constantIbLb0EES19_IbLb1EEEEDaS15_S16_EUlS15_E_NS1_11comp_targetILNS1_3genE4ELNS1_11target_archE910ELNS1_3gpuE8ELNS1_3repE0EEENS1_30default_config_static_selectorELNS0_4arch9wavefront6targetE1EEEvT1_, .Lfunc_end1475-_ZN7rocprim17ROCPRIM_400000_NS6detail17trampoline_kernelINS0_14default_configENS1_25partition_config_selectorILNS1_17partition_subalgoE9EllbEEZZNS1_14partition_implILS5_9ELb0ES3_jPlS8_PNS0_10empty_typeENS0_5tupleIJS8_S9_EEENSB_IJS8_SA_EEENS0_18inequality_wrapperIZN2at6native12_GLOBAL__N_124unique_dim_cuda_templateItEESt5tupleIJNSF_6TensorESK_SK_EERKSK_lbbbEUlllE0_EEPmJS9_EEE10hipError_tPvRmT3_T4_T5_T6_T7_T9_mT8_P12ihipStream_tbDpT10_ENKUlT_T0_E_clISt17integral_constantIbLb0EES19_IbLb1EEEEDaS15_S16_EUlS15_E_NS1_11comp_targetILNS1_3genE4ELNS1_11target_archE910ELNS1_3gpuE8ELNS1_3repE0EEENS1_30default_config_static_selectorELNS0_4arch9wavefront6targetE1EEEvT1_
                                        ; -- End function
	.section	.AMDGPU.csdata,"",@progbits
; Kernel info:
; codeLenInByte = 10900
; NumSgprs: 56
; NumVgprs: 50
; NumAgprs: 0
; TotalNumVgprs: 50
; ScratchSize: 0
; MemoryBound: 0
; FloatMode: 240
; IeeeMode: 1
; LDSByteSize: 4236 bytes/workgroup (compile time only)
; SGPRBlocks: 6
; VGPRBlocks: 6
; NumSGPRsForWavesPerEU: 56
; NumVGPRsForWavesPerEU: 50
; AccumOffset: 52
; Occupancy: 8
; WaveLimiterHint : 1
; COMPUTE_PGM_RSRC2:SCRATCH_EN: 0
; COMPUTE_PGM_RSRC2:USER_SGPR: 6
; COMPUTE_PGM_RSRC2:TRAP_HANDLER: 0
; COMPUTE_PGM_RSRC2:TGID_X_EN: 1
; COMPUTE_PGM_RSRC2:TGID_Y_EN: 0
; COMPUTE_PGM_RSRC2:TGID_Z_EN: 0
; COMPUTE_PGM_RSRC2:TIDIG_COMP_CNT: 0
; COMPUTE_PGM_RSRC3_GFX90A:ACCUM_OFFSET: 12
; COMPUTE_PGM_RSRC3_GFX90A:TG_SPLIT: 0
	.section	.text._ZN7rocprim17ROCPRIM_400000_NS6detail17trampoline_kernelINS0_14default_configENS1_25partition_config_selectorILNS1_17partition_subalgoE9EllbEEZZNS1_14partition_implILS5_9ELb0ES3_jPlS8_PNS0_10empty_typeENS0_5tupleIJS8_S9_EEENSB_IJS8_SA_EEENS0_18inequality_wrapperIZN2at6native12_GLOBAL__N_124unique_dim_cuda_templateItEESt5tupleIJNSF_6TensorESK_SK_EERKSK_lbbbEUlllE0_EEPmJS9_EEE10hipError_tPvRmT3_T4_T5_T6_T7_T9_mT8_P12ihipStream_tbDpT10_ENKUlT_T0_E_clISt17integral_constantIbLb0EES19_IbLb1EEEEDaS15_S16_EUlS15_E_NS1_11comp_targetILNS1_3genE3ELNS1_11target_archE908ELNS1_3gpuE7ELNS1_3repE0EEENS1_30default_config_static_selectorELNS0_4arch9wavefront6targetE1EEEvT1_,"axG",@progbits,_ZN7rocprim17ROCPRIM_400000_NS6detail17trampoline_kernelINS0_14default_configENS1_25partition_config_selectorILNS1_17partition_subalgoE9EllbEEZZNS1_14partition_implILS5_9ELb0ES3_jPlS8_PNS0_10empty_typeENS0_5tupleIJS8_S9_EEENSB_IJS8_SA_EEENS0_18inequality_wrapperIZN2at6native12_GLOBAL__N_124unique_dim_cuda_templateItEESt5tupleIJNSF_6TensorESK_SK_EERKSK_lbbbEUlllE0_EEPmJS9_EEE10hipError_tPvRmT3_T4_T5_T6_T7_T9_mT8_P12ihipStream_tbDpT10_ENKUlT_T0_E_clISt17integral_constantIbLb0EES19_IbLb1EEEEDaS15_S16_EUlS15_E_NS1_11comp_targetILNS1_3genE3ELNS1_11target_archE908ELNS1_3gpuE7ELNS1_3repE0EEENS1_30default_config_static_selectorELNS0_4arch9wavefront6targetE1EEEvT1_,comdat
	.globl	_ZN7rocprim17ROCPRIM_400000_NS6detail17trampoline_kernelINS0_14default_configENS1_25partition_config_selectorILNS1_17partition_subalgoE9EllbEEZZNS1_14partition_implILS5_9ELb0ES3_jPlS8_PNS0_10empty_typeENS0_5tupleIJS8_S9_EEENSB_IJS8_SA_EEENS0_18inequality_wrapperIZN2at6native12_GLOBAL__N_124unique_dim_cuda_templateItEESt5tupleIJNSF_6TensorESK_SK_EERKSK_lbbbEUlllE0_EEPmJS9_EEE10hipError_tPvRmT3_T4_T5_T6_T7_T9_mT8_P12ihipStream_tbDpT10_ENKUlT_T0_E_clISt17integral_constantIbLb0EES19_IbLb1EEEEDaS15_S16_EUlS15_E_NS1_11comp_targetILNS1_3genE3ELNS1_11target_archE908ELNS1_3gpuE7ELNS1_3repE0EEENS1_30default_config_static_selectorELNS0_4arch9wavefront6targetE1EEEvT1_ ; -- Begin function _ZN7rocprim17ROCPRIM_400000_NS6detail17trampoline_kernelINS0_14default_configENS1_25partition_config_selectorILNS1_17partition_subalgoE9EllbEEZZNS1_14partition_implILS5_9ELb0ES3_jPlS8_PNS0_10empty_typeENS0_5tupleIJS8_S9_EEENSB_IJS8_SA_EEENS0_18inequality_wrapperIZN2at6native12_GLOBAL__N_124unique_dim_cuda_templateItEESt5tupleIJNSF_6TensorESK_SK_EERKSK_lbbbEUlllE0_EEPmJS9_EEE10hipError_tPvRmT3_T4_T5_T6_T7_T9_mT8_P12ihipStream_tbDpT10_ENKUlT_T0_E_clISt17integral_constantIbLb0EES19_IbLb1EEEEDaS15_S16_EUlS15_E_NS1_11comp_targetILNS1_3genE3ELNS1_11target_archE908ELNS1_3gpuE7ELNS1_3repE0EEENS1_30default_config_static_selectorELNS0_4arch9wavefront6targetE1EEEvT1_
	.p2align	8
	.type	_ZN7rocprim17ROCPRIM_400000_NS6detail17trampoline_kernelINS0_14default_configENS1_25partition_config_selectorILNS1_17partition_subalgoE9EllbEEZZNS1_14partition_implILS5_9ELb0ES3_jPlS8_PNS0_10empty_typeENS0_5tupleIJS8_S9_EEENSB_IJS8_SA_EEENS0_18inequality_wrapperIZN2at6native12_GLOBAL__N_124unique_dim_cuda_templateItEESt5tupleIJNSF_6TensorESK_SK_EERKSK_lbbbEUlllE0_EEPmJS9_EEE10hipError_tPvRmT3_T4_T5_T6_T7_T9_mT8_P12ihipStream_tbDpT10_ENKUlT_T0_E_clISt17integral_constantIbLb0EES19_IbLb1EEEEDaS15_S16_EUlS15_E_NS1_11comp_targetILNS1_3genE3ELNS1_11target_archE908ELNS1_3gpuE7ELNS1_3repE0EEENS1_30default_config_static_selectorELNS0_4arch9wavefront6targetE1EEEvT1_,@function
_ZN7rocprim17ROCPRIM_400000_NS6detail17trampoline_kernelINS0_14default_configENS1_25partition_config_selectorILNS1_17partition_subalgoE9EllbEEZZNS1_14partition_implILS5_9ELb0ES3_jPlS8_PNS0_10empty_typeENS0_5tupleIJS8_S9_EEENSB_IJS8_SA_EEENS0_18inequality_wrapperIZN2at6native12_GLOBAL__N_124unique_dim_cuda_templateItEESt5tupleIJNSF_6TensorESK_SK_EERKSK_lbbbEUlllE0_EEPmJS9_EEE10hipError_tPvRmT3_T4_T5_T6_T7_T9_mT8_P12ihipStream_tbDpT10_ENKUlT_T0_E_clISt17integral_constantIbLb0EES19_IbLb1EEEEDaS15_S16_EUlS15_E_NS1_11comp_targetILNS1_3genE3ELNS1_11target_archE908ELNS1_3gpuE7ELNS1_3repE0EEENS1_30default_config_static_selectorELNS0_4arch9wavefront6targetE1EEEvT1_: ; @_ZN7rocprim17ROCPRIM_400000_NS6detail17trampoline_kernelINS0_14default_configENS1_25partition_config_selectorILNS1_17partition_subalgoE9EllbEEZZNS1_14partition_implILS5_9ELb0ES3_jPlS8_PNS0_10empty_typeENS0_5tupleIJS8_S9_EEENSB_IJS8_SA_EEENS0_18inequality_wrapperIZN2at6native12_GLOBAL__N_124unique_dim_cuda_templateItEESt5tupleIJNSF_6TensorESK_SK_EERKSK_lbbbEUlllE0_EEPmJS9_EEE10hipError_tPvRmT3_T4_T5_T6_T7_T9_mT8_P12ihipStream_tbDpT10_ENKUlT_T0_E_clISt17integral_constantIbLb0EES19_IbLb1EEEEDaS15_S16_EUlS15_E_NS1_11comp_targetILNS1_3genE3ELNS1_11target_archE908ELNS1_3gpuE7ELNS1_3repE0EEENS1_30default_config_static_selectorELNS0_4arch9wavefront6targetE1EEEvT1_
; %bb.0:
	.section	.rodata,"a",@progbits
	.p2align	6, 0x0
	.amdhsa_kernel _ZN7rocprim17ROCPRIM_400000_NS6detail17trampoline_kernelINS0_14default_configENS1_25partition_config_selectorILNS1_17partition_subalgoE9EllbEEZZNS1_14partition_implILS5_9ELb0ES3_jPlS8_PNS0_10empty_typeENS0_5tupleIJS8_S9_EEENSB_IJS8_SA_EEENS0_18inequality_wrapperIZN2at6native12_GLOBAL__N_124unique_dim_cuda_templateItEESt5tupleIJNSF_6TensorESK_SK_EERKSK_lbbbEUlllE0_EEPmJS9_EEE10hipError_tPvRmT3_T4_T5_T6_T7_T9_mT8_P12ihipStream_tbDpT10_ENKUlT_T0_E_clISt17integral_constantIbLb0EES19_IbLb1EEEEDaS15_S16_EUlS15_E_NS1_11comp_targetILNS1_3genE3ELNS1_11target_archE908ELNS1_3gpuE7ELNS1_3repE0EEENS1_30default_config_static_selectorELNS0_4arch9wavefront6targetE1EEEvT1_
		.amdhsa_group_segment_fixed_size 0
		.amdhsa_private_segment_fixed_size 0
		.amdhsa_kernarg_size 136
		.amdhsa_user_sgpr_count 6
		.amdhsa_user_sgpr_private_segment_buffer 1
		.amdhsa_user_sgpr_dispatch_ptr 0
		.amdhsa_user_sgpr_queue_ptr 0
		.amdhsa_user_sgpr_kernarg_segment_ptr 1
		.amdhsa_user_sgpr_dispatch_id 0
		.amdhsa_user_sgpr_flat_scratch_init 0
		.amdhsa_user_sgpr_kernarg_preload_length 0
		.amdhsa_user_sgpr_kernarg_preload_offset 0
		.amdhsa_user_sgpr_private_segment_size 0
		.amdhsa_uses_dynamic_stack 0
		.amdhsa_system_sgpr_private_segment_wavefront_offset 0
		.amdhsa_system_sgpr_workgroup_id_x 1
		.amdhsa_system_sgpr_workgroup_id_y 0
		.amdhsa_system_sgpr_workgroup_id_z 0
		.amdhsa_system_sgpr_workgroup_info 0
		.amdhsa_system_vgpr_workitem_id 0
		.amdhsa_next_free_vgpr 1
		.amdhsa_next_free_sgpr 0
		.amdhsa_accum_offset 4
		.amdhsa_reserve_vcc 0
		.amdhsa_reserve_flat_scratch 0
		.amdhsa_float_round_mode_32 0
		.amdhsa_float_round_mode_16_64 0
		.amdhsa_float_denorm_mode_32 3
		.amdhsa_float_denorm_mode_16_64 3
		.amdhsa_dx10_clamp 1
		.amdhsa_ieee_mode 1
		.amdhsa_fp16_overflow 0
		.amdhsa_tg_split 0
		.amdhsa_exception_fp_ieee_invalid_op 0
		.amdhsa_exception_fp_denorm_src 0
		.amdhsa_exception_fp_ieee_div_zero 0
		.amdhsa_exception_fp_ieee_overflow 0
		.amdhsa_exception_fp_ieee_underflow 0
		.amdhsa_exception_fp_ieee_inexact 0
		.amdhsa_exception_int_div_zero 0
	.end_amdhsa_kernel
	.section	.text._ZN7rocprim17ROCPRIM_400000_NS6detail17trampoline_kernelINS0_14default_configENS1_25partition_config_selectorILNS1_17partition_subalgoE9EllbEEZZNS1_14partition_implILS5_9ELb0ES3_jPlS8_PNS0_10empty_typeENS0_5tupleIJS8_S9_EEENSB_IJS8_SA_EEENS0_18inequality_wrapperIZN2at6native12_GLOBAL__N_124unique_dim_cuda_templateItEESt5tupleIJNSF_6TensorESK_SK_EERKSK_lbbbEUlllE0_EEPmJS9_EEE10hipError_tPvRmT3_T4_T5_T6_T7_T9_mT8_P12ihipStream_tbDpT10_ENKUlT_T0_E_clISt17integral_constantIbLb0EES19_IbLb1EEEEDaS15_S16_EUlS15_E_NS1_11comp_targetILNS1_3genE3ELNS1_11target_archE908ELNS1_3gpuE7ELNS1_3repE0EEENS1_30default_config_static_selectorELNS0_4arch9wavefront6targetE1EEEvT1_,"axG",@progbits,_ZN7rocprim17ROCPRIM_400000_NS6detail17trampoline_kernelINS0_14default_configENS1_25partition_config_selectorILNS1_17partition_subalgoE9EllbEEZZNS1_14partition_implILS5_9ELb0ES3_jPlS8_PNS0_10empty_typeENS0_5tupleIJS8_S9_EEENSB_IJS8_SA_EEENS0_18inequality_wrapperIZN2at6native12_GLOBAL__N_124unique_dim_cuda_templateItEESt5tupleIJNSF_6TensorESK_SK_EERKSK_lbbbEUlllE0_EEPmJS9_EEE10hipError_tPvRmT3_T4_T5_T6_T7_T9_mT8_P12ihipStream_tbDpT10_ENKUlT_T0_E_clISt17integral_constantIbLb0EES19_IbLb1EEEEDaS15_S16_EUlS15_E_NS1_11comp_targetILNS1_3genE3ELNS1_11target_archE908ELNS1_3gpuE7ELNS1_3repE0EEENS1_30default_config_static_selectorELNS0_4arch9wavefront6targetE1EEEvT1_,comdat
.Lfunc_end1476:
	.size	_ZN7rocprim17ROCPRIM_400000_NS6detail17trampoline_kernelINS0_14default_configENS1_25partition_config_selectorILNS1_17partition_subalgoE9EllbEEZZNS1_14partition_implILS5_9ELb0ES3_jPlS8_PNS0_10empty_typeENS0_5tupleIJS8_S9_EEENSB_IJS8_SA_EEENS0_18inequality_wrapperIZN2at6native12_GLOBAL__N_124unique_dim_cuda_templateItEESt5tupleIJNSF_6TensorESK_SK_EERKSK_lbbbEUlllE0_EEPmJS9_EEE10hipError_tPvRmT3_T4_T5_T6_T7_T9_mT8_P12ihipStream_tbDpT10_ENKUlT_T0_E_clISt17integral_constantIbLb0EES19_IbLb1EEEEDaS15_S16_EUlS15_E_NS1_11comp_targetILNS1_3genE3ELNS1_11target_archE908ELNS1_3gpuE7ELNS1_3repE0EEENS1_30default_config_static_selectorELNS0_4arch9wavefront6targetE1EEEvT1_, .Lfunc_end1476-_ZN7rocprim17ROCPRIM_400000_NS6detail17trampoline_kernelINS0_14default_configENS1_25partition_config_selectorILNS1_17partition_subalgoE9EllbEEZZNS1_14partition_implILS5_9ELb0ES3_jPlS8_PNS0_10empty_typeENS0_5tupleIJS8_S9_EEENSB_IJS8_SA_EEENS0_18inequality_wrapperIZN2at6native12_GLOBAL__N_124unique_dim_cuda_templateItEESt5tupleIJNSF_6TensorESK_SK_EERKSK_lbbbEUlllE0_EEPmJS9_EEE10hipError_tPvRmT3_T4_T5_T6_T7_T9_mT8_P12ihipStream_tbDpT10_ENKUlT_T0_E_clISt17integral_constantIbLb0EES19_IbLb1EEEEDaS15_S16_EUlS15_E_NS1_11comp_targetILNS1_3genE3ELNS1_11target_archE908ELNS1_3gpuE7ELNS1_3repE0EEENS1_30default_config_static_selectorELNS0_4arch9wavefront6targetE1EEEvT1_
                                        ; -- End function
	.section	.AMDGPU.csdata,"",@progbits
; Kernel info:
; codeLenInByte = 0
; NumSgprs: 4
; NumVgprs: 0
; NumAgprs: 0
; TotalNumVgprs: 0
; ScratchSize: 0
; MemoryBound: 0
; FloatMode: 240
; IeeeMode: 1
; LDSByteSize: 0 bytes/workgroup (compile time only)
; SGPRBlocks: 0
; VGPRBlocks: 0
; NumSGPRsForWavesPerEU: 4
; NumVGPRsForWavesPerEU: 1
; AccumOffset: 4
; Occupancy: 8
; WaveLimiterHint : 0
; COMPUTE_PGM_RSRC2:SCRATCH_EN: 0
; COMPUTE_PGM_RSRC2:USER_SGPR: 6
; COMPUTE_PGM_RSRC2:TRAP_HANDLER: 0
; COMPUTE_PGM_RSRC2:TGID_X_EN: 1
; COMPUTE_PGM_RSRC2:TGID_Y_EN: 0
; COMPUTE_PGM_RSRC2:TGID_Z_EN: 0
; COMPUTE_PGM_RSRC2:TIDIG_COMP_CNT: 0
; COMPUTE_PGM_RSRC3_GFX90A:ACCUM_OFFSET: 0
; COMPUTE_PGM_RSRC3_GFX90A:TG_SPLIT: 0
	.section	.text._ZN7rocprim17ROCPRIM_400000_NS6detail17trampoline_kernelINS0_14default_configENS1_25partition_config_selectorILNS1_17partition_subalgoE9EllbEEZZNS1_14partition_implILS5_9ELb0ES3_jPlS8_PNS0_10empty_typeENS0_5tupleIJS8_S9_EEENSB_IJS8_SA_EEENS0_18inequality_wrapperIZN2at6native12_GLOBAL__N_124unique_dim_cuda_templateItEESt5tupleIJNSF_6TensorESK_SK_EERKSK_lbbbEUlllE0_EEPmJS9_EEE10hipError_tPvRmT3_T4_T5_T6_T7_T9_mT8_P12ihipStream_tbDpT10_ENKUlT_T0_E_clISt17integral_constantIbLb0EES19_IbLb1EEEEDaS15_S16_EUlS15_E_NS1_11comp_targetILNS1_3genE2ELNS1_11target_archE906ELNS1_3gpuE6ELNS1_3repE0EEENS1_30default_config_static_selectorELNS0_4arch9wavefront6targetE1EEEvT1_,"axG",@progbits,_ZN7rocprim17ROCPRIM_400000_NS6detail17trampoline_kernelINS0_14default_configENS1_25partition_config_selectorILNS1_17partition_subalgoE9EllbEEZZNS1_14partition_implILS5_9ELb0ES3_jPlS8_PNS0_10empty_typeENS0_5tupleIJS8_S9_EEENSB_IJS8_SA_EEENS0_18inequality_wrapperIZN2at6native12_GLOBAL__N_124unique_dim_cuda_templateItEESt5tupleIJNSF_6TensorESK_SK_EERKSK_lbbbEUlllE0_EEPmJS9_EEE10hipError_tPvRmT3_T4_T5_T6_T7_T9_mT8_P12ihipStream_tbDpT10_ENKUlT_T0_E_clISt17integral_constantIbLb0EES19_IbLb1EEEEDaS15_S16_EUlS15_E_NS1_11comp_targetILNS1_3genE2ELNS1_11target_archE906ELNS1_3gpuE6ELNS1_3repE0EEENS1_30default_config_static_selectorELNS0_4arch9wavefront6targetE1EEEvT1_,comdat
	.globl	_ZN7rocprim17ROCPRIM_400000_NS6detail17trampoline_kernelINS0_14default_configENS1_25partition_config_selectorILNS1_17partition_subalgoE9EllbEEZZNS1_14partition_implILS5_9ELb0ES3_jPlS8_PNS0_10empty_typeENS0_5tupleIJS8_S9_EEENSB_IJS8_SA_EEENS0_18inequality_wrapperIZN2at6native12_GLOBAL__N_124unique_dim_cuda_templateItEESt5tupleIJNSF_6TensorESK_SK_EERKSK_lbbbEUlllE0_EEPmJS9_EEE10hipError_tPvRmT3_T4_T5_T6_T7_T9_mT8_P12ihipStream_tbDpT10_ENKUlT_T0_E_clISt17integral_constantIbLb0EES19_IbLb1EEEEDaS15_S16_EUlS15_E_NS1_11comp_targetILNS1_3genE2ELNS1_11target_archE906ELNS1_3gpuE6ELNS1_3repE0EEENS1_30default_config_static_selectorELNS0_4arch9wavefront6targetE1EEEvT1_ ; -- Begin function _ZN7rocprim17ROCPRIM_400000_NS6detail17trampoline_kernelINS0_14default_configENS1_25partition_config_selectorILNS1_17partition_subalgoE9EllbEEZZNS1_14partition_implILS5_9ELb0ES3_jPlS8_PNS0_10empty_typeENS0_5tupleIJS8_S9_EEENSB_IJS8_SA_EEENS0_18inequality_wrapperIZN2at6native12_GLOBAL__N_124unique_dim_cuda_templateItEESt5tupleIJNSF_6TensorESK_SK_EERKSK_lbbbEUlllE0_EEPmJS9_EEE10hipError_tPvRmT3_T4_T5_T6_T7_T9_mT8_P12ihipStream_tbDpT10_ENKUlT_T0_E_clISt17integral_constantIbLb0EES19_IbLb1EEEEDaS15_S16_EUlS15_E_NS1_11comp_targetILNS1_3genE2ELNS1_11target_archE906ELNS1_3gpuE6ELNS1_3repE0EEENS1_30default_config_static_selectorELNS0_4arch9wavefront6targetE1EEEvT1_
	.p2align	8
	.type	_ZN7rocprim17ROCPRIM_400000_NS6detail17trampoline_kernelINS0_14default_configENS1_25partition_config_selectorILNS1_17partition_subalgoE9EllbEEZZNS1_14partition_implILS5_9ELb0ES3_jPlS8_PNS0_10empty_typeENS0_5tupleIJS8_S9_EEENSB_IJS8_SA_EEENS0_18inequality_wrapperIZN2at6native12_GLOBAL__N_124unique_dim_cuda_templateItEESt5tupleIJNSF_6TensorESK_SK_EERKSK_lbbbEUlllE0_EEPmJS9_EEE10hipError_tPvRmT3_T4_T5_T6_T7_T9_mT8_P12ihipStream_tbDpT10_ENKUlT_T0_E_clISt17integral_constantIbLb0EES19_IbLb1EEEEDaS15_S16_EUlS15_E_NS1_11comp_targetILNS1_3genE2ELNS1_11target_archE906ELNS1_3gpuE6ELNS1_3repE0EEENS1_30default_config_static_selectorELNS0_4arch9wavefront6targetE1EEEvT1_,@function
_ZN7rocprim17ROCPRIM_400000_NS6detail17trampoline_kernelINS0_14default_configENS1_25partition_config_selectorILNS1_17partition_subalgoE9EllbEEZZNS1_14partition_implILS5_9ELb0ES3_jPlS8_PNS0_10empty_typeENS0_5tupleIJS8_S9_EEENSB_IJS8_SA_EEENS0_18inequality_wrapperIZN2at6native12_GLOBAL__N_124unique_dim_cuda_templateItEESt5tupleIJNSF_6TensorESK_SK_EERKSK_lbbbEUlllE0_EEPmJS9_EEE10hipError_tPvRmT3_T4_T5_T6_T7_T9_mT8_P12ihipStream_tbDpT10_ENKUlT_T0_E_clISt17integral_constantIbLb0EES19_IbLb1EEEEDaS15_S16_EUlS15_E_NS1_11comp_targetILNS1_3genE2ELNS1_11target_archE906ELNS1_3gpuE6ELNS1_3repE0EEENS1_30default_config_static_selectorELNS0_4arch9wavefront6targetE1EEEvT1_: ; @_ZN7rocprim17ROCPRIM_400000_NS6detail17trampoline_kernelINS0_14default_configENS1_25partition_config_selectorILNS1_17partition_subalgoE9EllbEEZZNS1_14partition_implILS5_9ELb0ES3_jPlS8_PNS0_10empty_typeENS0_5tupleIJS8_S9_EEENSB_IJS8_SA_EEENS0_18inequality_wrapperIZN2at6native12_GLOBAL__N_124unique_dim_cuda_templateItEESt5tupleIJNSF_6TensorESK_SK_EERKSK_lbbbEUlllE0_EEPmJS9_EEE10hipError_tPvRmT3_T4_T5_T6_T7_T9_mT8_P12ihipStream_tbDpT10_ENKUlT_T0_E_clISt17integral_constantIbLb0EES19_IbLb1EEEEDaS15_S16_EUlS15_E_NS1_11comp_targetILNS1_3genE2ELNS1_11target_archE906ELNS1_3gpuE6ELNS1_3repE0EEENS1_30default_config_static_selectorELNS0_4arch9wavefront6targetE1EEEvT1_
; %bb.0:
	.section	.rodata,"a",@progbits
	.p2align	6, 0x0
	.amdhsa_kernel _ZN7rocprim17ROCPRIM_400000_NS6detail17trampoline_kernelINS0_14default_configENS1_25partition_config_selectorILNS1_17partition_subalgoE9EllbEEZZNS1_14partition_implILS5_9ELb0ES3_jPlS8_PNS0_10empty_typeENS0_5tupleIJS8_S9_EEENSB_IJS8_SA_EEENS0_18inequality_wrapperIZN2at6native12_GLOBAL__N_124unique_dim_cuda_templateItEESt5tupleIJNSF_6TensorESK_SK_EERKSK_lbbbEUlllE0_EEPmJS9_EEE10hipError_tPvRmT3_T4_T5_T6_T7_T9_mT8_P12ihipStream_tbDpT10_ENKUlT_T0_E_clISt17integral_constantIbLb0EES19_IbLb1EEEEDaS15_S16_EUlS15_E_NS1_11comp_targetILNS1_3genE2ELNS1_11target_archE906ELNS1_3gpuE6ELNS1_3repE0EEENS1_30default_config_static_selectorELNS0_4arch9wavefront6targetE1EEEvT1_
		.amdhsa_group_segment_fixed_size 0
		.amdhsa_private_segment_fixed_size 0
		.amdhsa_kernarg_size 136
		.amdhsa_user_sgpr_count 6
		.amdhsa_user_sgpr_private_segment_buffer 1
		.amdhsa_user_sgpr_dispatch_ptr 0
		.amdhsa_user_sgpr_queue_ptr 0
		.amdhsa_user_sgpr_kernarg_segment_ptr 1
		.amdhsa_user_sgpr_dispatch_id 0
		.amdhsa_user_sgpr_flat_scratch_init 0
		.amdhsa_user_sgpr_kernarg_preload_length 0
		.amdhsa_user_sgpr_kernarg_preload_offset 0
		.amdhsa_user_sgpr_private_segment_size 0
		.amdhsa_uses_dynamic_stack 0
		.amdhsa_system_sgpr_private_segment_wavefront_offset 0
		.amdhsa_system_sgpr_workgroup_id_x 1
		.amdhsa_system_sgpr_workgroup_id_y 0
		.amdhsa_system_sgpr_workgroup_id_z 0
		.amdhsa_system_sgpr_workgroup_info 0
		.amdhsa_system_vgpr_workitem_id 0
		.amdhsa_next_free_vgpr 1
		.amdhsa_next_free_sgpr 0
		.amdhsa_accum_offset 4
		.amdhsa_reserve_vcc 0
		.amdhsa_reserve_flat_scratch 0
		.amdhsa_float_round_mode_32 0
		.amdhsa_float_round_mode_16_64 0
		.amdhsa_float_denorm_mode_32 3
		.amdhsa_float_denorm_mode_16_64 3
		.amdhsa_dx10_clamp 1
		.amdhsa_ieee_mode 1
		.amdhsa_fp16_overflow 0
		.amdhsa_tg_split 0
		.amdhsa_exception_fp_ieee_invalid_op 0
		.amdhsa_exception_fp_denorm_src 0
		.amdhsa_exception_fp_ieee_div_zero 0
		.amdhsa_exception_fp_ieee_overflow 0
		.amdhsa_exception_fp_ieee_underflow 0
		.amdhsa_exception_fp_ieee_inexact 0
		.amdhsa_exception_int_div_zero 0
	.end_amdhsa_kernel
	.section	.text._ZN7rocprim17ROCPRIM_400000_NS6detail17trampoline_kernelINS0_14default_configENS1_25partition_config_selectorILNS1_17partition_subalgoE9EllbEEZZNS1_14partition_implILS5_9ELb0ES3_jPlS8_PNS0_10empty_typeENS0_5tupleIJS8_S9_EEENSB_IJS8_SA_EEENS0_18inequality_wrapperIZN2at6native12_GLOBAL__N_124unique_dim_cuda_templateItEESt5tupleIJNSF_6TensorESK_SK_EERKSK_lbbbEUlllE0_EEPmJS9_EEE10hipError_tPvRmT3_T4_T5_T6_T7_T9_mT8_P12ihipStream_tbDpT10_ENKUlT_T0_E_clISt17integral_constantIbLb0EES19_IbLb1EEEEDaS15_S16_EUlS15_E_NS1_11comp_targetILNS1_3genE2ELNS1_11target_archE906ELNS1_3gpuE6ELNS1_3repE0EEENS1_30default_config_static_selectorELNS0_4arch9wavefront6targetE1EEEvT1_,"axG",@progbits,_ZN7rocprim17ROCPRIM_400000_NS6detail17trampoline_kernelINS0_14default_configENS1_25partition_config_selectorILNS1_17partition_subalgoE9EllbEEZZNS1_14partition_implILS5_9ELb0ES3_jPlS8_PNS0_10empty_typeENS0_5tupleIJS8_S9_EEENSB_IJS8_SA_EEENS0_18inequality_wrapperIZN2at6native12_GLOBAL__N_124unique_dim_cuda_templateItEESt5tupleIJNSF_6TensorESK_SK_EERKSK_lbbbEUlllE0_EEPmJS9_EEE10hipError_tPvRmT3_T4_T5_T6_T7_T9_mT8_P12ihipStream_tbDpT10_ENKUlT_T0_E_clISt17integral_constantIbLb0EES19_IbLb1EEEEDaS15_S16_EUlS15_E_NS1_11comp_targetILNS1_3genE2ELNS1_11target_archE906ELNS1_3gpuE6ELNS1_3repE0EEENS1_30default_config_static_selectorELNS0_4arch9wavefront6targetE1EEEvT1_,comdat
.Lfunc_end1477:
	.size	_ZN7rocprim17ROCPRIM_400000_NS6detail17trampoline_kernelINS0_14default_configENS1_25partition_config_selectorILNS1_17partition_subalgoE9EllbEEZZNS1_14partition_implILS5_9ELb0ES3_jPlS8_PNS0_10empty_typeENS0_5tupleIJS8_S9_EEENSB_IJS8_SA_EEENS0_18inequality_wrapperIZN2at6native12_GLOBAL__N_124unique_dim_cuda_templateItEESt5tupleIJNSF_6TensorESK_SK_EERKSK_lbbbEUlllE0_EEPmJS9_EEE10hipError_tPvRmT3_T4_T5_T6_T7_T9_mT8_P12ihipStream_tbDpT10_ENKUlT_T0_E_clISt17integral_constantIbLb0EES19_IbLb1EEEEDaS15_S16_EUlS15_E_NS1_11comp_targetILNS1_3genE2ELNS1_11target_archE906ELNS1_3gpuE6ELNS1_3repE0EEENS1_30default_config_static_selectorELNS0_4arch9wavefront6targetE1EEEvT1_, .Lfunc_end1477-_ZN7rocprim17ROCPRIM_400000_NS6detail17trampoline_kernelINS0_14default_configENS1_25partition_config_selectorILNS1_17partition_subalgoE9EllbEEZZNS1_14partition_implILS5_9ELb0ES3_jPlS8_PNS0_10empty_typeENS0_5tupleIJS8_S9_EEENSB_IJS8_SA_EEENS0_18inequality_wrapperIZN2at6native12_GLOBAL__N_124unique_dim_cuda_templateItEESt5tupleIJNSF_6TensorESK_SK_EERKSK_lbbbEUlllE0_EEPmJS9_EEE10hipError_tPvRmT3_T4_T5_T6_T7_T9_mT8_P12ihipStream_tbDpT10_ENKUlT_T0_E_clISt17integral_constantIbLb0EES19_IbLb1EEEEDaS15_S16_EUlS15_E_NS1_11comp_targetILNS1_3genE2ELNS1_11target_archE906ELNS1_3gpuE6ELNS1_3repE0EEENS1_30default_config_static_selectorELNS0_4arch9wavefront6targetE1EEEvT1_
                                        ; -- End function
	.section	.AMDGPU.csdata,"",@progbits
; Kernel info:
; codeLenInByte = 0
; NumSgprs: 4
; NumVgprs: 0
; NumAgprs: 0
; TotalNumVgprs: 0
; ScratchSize: 0
; MemoryBound: 0
; FloatMode: 240
; IeeeMode: 1
; LDSByteSize: 0 bytes/workgroup (compile time only)
; SGPRBlocks: 0
; VGPRBlocks: 0
; NumSGPRsForWavesPerEU: 4
; NumVGPRsForWavesPerEU: 1
; AccumOffset: 4
; Occupancy: 8
; WaveLimiterHint : 0
; COMPUTE_PGM_RSRC2:SCRATCH_EN: 0
; COMPUTE_PGM_RSRC2:USER_SGPR: 6
; COMPUTE_PGM_RSRC2:TRAP_HANDLER: 0
; COMPUTE_PGM_RSRC2:TGID_X_EN: 1
; COMPUTE_PGM_RSRC2:TGID_Y_EN: 0
; COMPUTE_PGM_RSRC2:TGID_Z_EN: 0
; COMPUTE_PGM_RSRC2:TIDIG_COMP_CNT: 0
; COMPUTE_PGM_RSRC3_GFX90A:ACCUM_OFFSET: 0
; COMPUTE_PGM_RSRC3_GFX90A:TG_SPLIT: 0
	.section	.text._ZN7rocprim17ROCPRIM_400000_NS6detail17trampoline_kernelINS0_14default_configENS1_25partition_config_selectorILNS1_17partition_subalgoE9EllbEEZZNS1_14partition_implILS5_9ELb0ES3_jPlS8_PNS0_10empty_typeENS0_5tupleIJS8_S9_EEENSB_IJS8_SA_EEENS0_18inequality_wrapperIZN2at6native12_GLOBAL__N_124unique_dim_cuda_templateItEESt5tupleIJNSF_6TensorESK_SK_EERKSK_lbbbEUlllE0_EEPmJS9_EEE10hipError_tPvRmT3_T4_T5_T6_T7_T9_mT8_P12ihipStream_tbDpT10_ENKUlT_T0_E_clISt17integral_constantIbLb0EES19_IbLb1EEEEDaS15_S16_EUlS15_E_NS1_11comp_targetILNS1_3genE10ELNS1_11target_archE1200ELNS1_3gpuE4ELNS1_3repE0EEENS1_30default_config_static_selectorELNS0_4arch9wavefront6targetE1EEEvT1_,"axG",@progbits,_ZN7rocprim17ROCPRIM_400000_NS6detail17trampoline_kernelINS0_14default_configENS1_25partition_config_selectorILNS1_17partition_subalgoE9EllbEEZZNS1_14partition_implILS5_9ELb0ES3_jPlS8_PNS0_10empty_typeENS0_5tupleIJS8_S9_EEENSB_IJS8_SA_EEENS0_18inequality_wrapperIZN2at6native12_GLOBAL__N_124unique_dim_cuda_templateItEESt5tupleIJNSF_6TensorESK_SK_EERKSK_lbbbEUlllE0_EEPmJS9_EEE10hipError_tPvRmT3_T4_T5_T6_T7_T9_mT8_P12ihipStream_tbDpT10_ENKUlT_T0_E_clISt17integral_constantIbLb0EES19_IbLb1EEEEDaS15_S16_EUlS15_E_NS1_11comp_targetILNS1_3genE10ELNS1_11target_archE1200ELNS1_3gpuE4ELNS1_3repE0EEENS1_30default_config_static_selectorELNS0_4arch9wavefront6targetE1EEEvT1_,comdat
	.globl	_ZN7rocprim17ROCPRIM_400000_NS6detail17trampoline_kernelINS0_14default_configENS1_25partition_config_selectorILNS1_17partition_subalgoE9EllbEEZZNS1_14partition_implILS5_9ELb0ES3_jPlS8_PNS0_10empty_typeENS0_5tupleIJS8_S9_EEENSB_IJS8_SA_EEENS0_18inequality_wrapperIZN2at6native12_GLOBAL__N_124unique_dim_cuda_templateItEESt5tupleIJNSF_6TensorESK_SK_EERKSK_lbbbEUlllE0_EEPmJS9_EEE10hipError_tPvRmT3_T4_T5_T6_T7_T9_mT8_P12ihipStream_tbDpT10_ENKUlT_T0_E_clISt17integral_constantIbLb0EES19_IbLb1EEEEDaS15_S16_EUlS15_E_NS1_11comp_targetILNS1_3genE10ELNS1_11target_archE1200ELNS1_3gpuE4ELNS1_3repE0EEENS1_30default_config_static_selectorELNS0_4arch9wavefront6targetE1EEEvT1_ ; -- Begin function _ZN7rocprim17ROCPRIM_400000_NS6detail17trampoline_kernelINS0_14default_configENS1_25partition_config_selectorILNS1_17partition_subalgoE9EllbEEZZNS1_14partition_implILS5_9ELb0ES3_jPlS8_PNS0_10empty_typeENS0_5tupleIJS8_S9_EEENSB_IJS8_SA_EEENS0_18inequality_wrapperIZN2at6native12_GLOBAL__N_124unique_dim_cuda_templateItEESt5tupleIJNSF_6TensorESK_SK_EERKSK_lbbbEUlllE0_EEPmJS9_EEE10hipError_tPvRmT3_T4_T5_T6_T7_T9_mT8_P12ihipStream_tbDpT10_ENKUlT_T0_E_clISt17integral_constantIbLb0EES19_IbLb1EEEEDaS15_S16_EUlS15_E_NS1_11comp_targetILNS1_3genE10ELNS1_11target_archE1200ELNS1_3gpuE4ELNS1_3repE0EEENS1_30default_config_static_selectorELNS0_4arch9wavefront6targetE1EEEvT1_
	.p2align	8
	.type	_ZN7rocprim17ROCPRIM_400000_NS6detail17trampoline_kernelINS0_14default_configENS1_25partition_config_selectorILNS1_17partition_subalgoE9EllbEEZZNS1_14partition_implILS5_9ELb0ES3_jPlS8_PNS0_10empty_typeENS0_5tupleIJS8_S9_EEENSB_IJS8_SA_EEENS0_18inequality_wrapperIZN2at6native12_GLOBAL__N_124unique_dim_cuda_templateItEESt5tupleIJNSF_6TensorESK_SK_EERKSK_lbbbEUlllE0_EEPmJS9_EEE10hipError_tPvRmT3_T4_T5_T6_T7_T9_mT8_P12ihipStream_tbDpT10_ENKUlT_T0_E_clISt17integral_constantIbLb0EES19_IbLb1EEEEDaS15_S16_EUlS15_E_NS1_11comp_targetILNS1_3genE10ELNS1_11target_archE1200ELNS1_3gpuE4ELNS1_3repE0EEENS1_30default_config_static_selectorELNS0_4arch9wavefront6targetE1EEEvT1_,@function
_ZN7rocprim17ROCPRIM_400000_NS6detail17trampoline_kernelINS0_14default_configENS1_25partition_config_selectorILNS1_17partition_subalgoE9EllbEEZZNS1_14partition_implILS5_9ELb0ES3_jPlS8_PNS0_10empty_typeENS0_5tupleIJS8_S9_EEENSB_IJS8_SA_EEENS0_18inequality_wrapperIZN2at6native12_GLOBAL__N_124unique_dim_cuda_templateItEESt5tupleIJNSF_6TensorESK_SK_EERKSK_lbbbEUlllE0_EEPmJS9_EEE10hipError_tPvRmT3_T4_T5_T6_T7_T9_mT8_P12ihipStream_tbDpT10_ENKUlT_T0_E_clISt17integral_constantIbLb0EES19_IbLb1EEEEDaS15_S16_EUlS15_E_NS1_11comp_targetILNS1_3genE10ELNS1_11target_archE1200ELNS1_3gpuE4ELNS1_3repE0EEENS1_30default_config_static_selectorELNS0_4arch9wavefront6targetE1EEEvT1_: ; @_ZN7rocprim17ROCPRIM_400000_NS6detail17trampoline_kernelINS0_14default_configENS1_25partition_config_selectorILNS1_17partition_subalgoE9EllbEEZZNS1_14partition_implILS5_9ELb0ES3_jPlS8_PNS0_10empty_typeENS0_5tupleIJS8_S9_EEENSB_IJS8_SA_EEENS0_18inequality_wrapperIZN2at6native12_GLOBAL__N_124unique_dim_cuda_templateItEESt5tupleIJNSF_6TensorESK_SK_EERKSK_lbbbEUlllE0_EEPmJS9_EEE10hipError_tPvRmT3_T4_T5_T6_T7_T9_mT8_P12ihipStream_tbDpT10_ENKUlT_T0_E_clISt17integral_constantIbLb0EES19_IbLb1EEEEDaS15_S16_EUlS15_E_NS1_11comp_targetILNS1_3genE10ELNS1_11target_archE1200ELNS1_3gpuE4ELNS1_3repE0EEENS1_30default_config_static_selectorELNS0_4arch9wavefront6targetE1EEEvT1_
; %bb.0:
	.section	.rodata,"a",@progbits
	.p2align	6, 0x0
	.amdhsa_kernel _ZN7rocprim17ROCPRIM_400000_NS6detail17trampoline_kernelINS0_14default_configENS1_25partition_config_selectorILNS1_17partition_subalgoE9EllbEEZZNS1_14partition_implILS5_9ELb0ES3_jPlS8_PNS0_10empty_typeENS0_5tupleIJS8_S9_EEENSB_IJS8_SA_EEENS0_18inequality_wrapperIZN2at6native12_GLOBAL__N_124unique_dim_cuda_templateItEESt5tupleIJNSF_6TensorESK_SK_EERKSK_lbbbEUlllE0_EEPmJS9_EEE10hipError_tPvRmT3_T4_T5_T6_T7_T9_mT8_P12ihipStream_tbDpT10_ENKUlT_T0_E_clISt17integral_constantIbLb0EES19_IbLb1EEEEDaS15_S16_EUlS15_E_NS1_11comp_targetILNS1_3genE10ELNS1_11target_archE1200ELNS1_3gpuE4ELNS1_3repE0EEENS1_30default_config_static_selectorELNS0_4arch9wavefront6targetE1EEEvT1_
		.amdhsa_group_segment_fixed_size 0
		.amdhsa_private_segment_fixed_size 0
		.amdhsa_kernarg_size 136
		.amdhsa_user_sgpr_count 6
		.amdhsa_user_sgpr_private_segment_buffer 1
		.amdhsa_user_sgpr_dispatch_ptr 0
		.amdhsa_user_sgpr_queue_ptr 0
		.amdhsa_user_sgpr_kernarg_segment_ptr 1
		.amdhsa_user_sgpr_dispatch_id 0
		.amdhsa_user_sgpr_flat_scratch_init 0
		.amdhsa_user_sgpr_kernarg_preload_length 0
		.amdhsa_user_sgpr_kernarg_preload_offset 0
		.amdhsa_user_sgpr_private_segment_size 0
		.amdhsa_uses_dynamic_stack 0
		.amdhsa_system_sgpr_private_segment_wavefront_offset 0
		.amdhsa_system_sgpr_workgroup_id_x 1
		.amdhsa_system_sgpr_workgroup_id_y 0
		.amdhsa_system_sgpr_workgroup_id_z 0
		.amdhsa_system_sgpr_workgroup_info 0
		.amdhsa_system_vgpr_workitem_id 0
		.amdhsa_next_free_vgpr 1
		.amdhsa_next_free_sgpr 0
		.amdhsa_accum_offset 4
		.amdhsa_reserve_vcc 0
		.amdhsa_reserve_flat_scratch 0
		.amdhsa_float_round_mode_32 0
		.amdhsa_float_round_mode_16_64 0
		.amdhsa_float_denorm_mode_32 3
		.amdhsa_float_denorm_mode_16_64 3
		.amdhsa_dx10_clamp 1
		.amdhsa_ieee_mode 1
		.amdhsa_fp16_overflow 0
		.amdhsa_tg_split 0
		.amdhsa_exception_fp_ieee_invalid_op 0
		.amdhsa_exception_fp_denorm_src 0
		.amdhsa_exception_fp_ieee_div_zero 0
		.amdhsa_exception_fp_ieee_overflow 0
		.amdhsa_exception_fp_ieee_underflow 0
		.amdhsa_exception_fp_ieee_inexact 0
		.amdhsa_exception_int_div_zero 0
	.end_amdhsa_kernel
	.section	.text._ZN7rocprim17ROCPRIM_400000_NS6detail17trampoline_kernelINS0_14default_configENS1_25partition_config_selectorILNS1_17partition_subalgoE9EllbEEZZNS1_14partition_implILS5_9ELb0ES3_jPlS8_PNS0_10empty_typeENS0_5tupleIJS8_S9_EEENSB_IJS8_SA_EEENS0_18inequality_wrapperIZN2at6native12_GLOBAL__N_124unique_dim_cuda_templateItEESt5tupleIJNSF_6TensorESK_SK_EERKSK_lbbbEUlllE0_EEPmJS9_EEE10hipError_tPvRmT3_T4_T5_T6_T7_T9_mT8_P12ihipStream_tbDpT10_ENKUlT_T0_E_clISt17integral_constantIbLb0EES19_IbLb1EEEEDaS15_S16_EUlS15_E_NS1_11comp_targetILNS1_3genE10ELNS1_11target_archE1200ELNS1_3gpuE4ELNS1_3repE0EEENS1_30default_config_static_selectorELNS0_4arch9wavefront6targetE1EEEvT1_,"axG",@progbits,_ZN7rocprim17ROCPRIM_400000_NS6detail17trampoline_kernelINS0_14default_configENS1_25partition_config_selectorILNS1_17partition_subalgoE9EllbEEZZNS1_14partition_implILS5_9ELb0ES3_jPlS8_PNS0_10empty_typeENS0_5tupleIJS8_S9_EEENSB_IJS8_SA_EEENS0_18inequality_wrapperIZN2at6native12_GLOBAL__N_124unique_dim_cuda_templateItEESt5tupleIJNSF_6TensorESK_SK_EERKSK_lbbbEUlllE0_EEPmJS9_EEE10hipError_tPvRmT3_T4_T5_T6_T7_T9_mT8_P12ihipStream_tbDpT10_ENKUlT_T0_E_clISt17integral_constantIbLb0EES19_IbLb1EEEEDaS15_S16_EUlS15_E_NS1_11comp_targetILNS1_3genE10ELNS1_11target_archE1200ELNS1_3gpuE4ELNS1_3repE0EEENS1_30default_config_static_selectorELNS0_4arch9wavefront6targetE1EEEvT1_,comdat
.Lfunc_end1478:
	.size	_ZN7rocprim17ROCPRIM_400000_NS6detail17trampoline_kernelINS0_14default_configENS1_25partition_config_selectorILNS1_17partition_subalgoE9EllbEEZZNS1_14partition_implILS5_9ELb0ES3_jPlS8_PNS0_10empty_typeENS0_5tupleIJS8_S9_EEENSB_IJS8_SA_EEENS0_18inequality_wrapperIZN2at6native12_GLOBAL__N_124unique_dim_cuda_templateItEESt5tupleIJNSF_6TensorESK_SK_EERKSK_lbbbEUlllE0_EEPmJS9_EEE10hipError_tPvRmT3_T4_T5_T6_T7_T9_mT8_P12ihipStream_tbDpT10_ENKUlT_T0_E_clISt17integral_constantIbLb0EES19_IbLb1EEEEDaS15_S16_EUlS15_E_NS1_11comp_targetILNS1_3genE10ELNS1_11target_archE1200ELNS1_3gpuE4ELNS1_3repE0EEENS1_30default_config_static_selectorELNS0_4arch9wavefront6targetE1EEEvT1_, .Lfunc_end1478-_ZN7rocprim17ROCPRIM_400000_NS6detail17trampoline_kernelINS0_14default_configENS1_25partition_config_selectorILNS1_17partition_subalgoE9EllbEEZZNS1_14partition_implILS5_9ELb0ES3_jPlS8_PNS0_10empty_typeENS0_5tupleIJS8_S9_EEENSB_IJS8_SA_EEENS0_18inequality_wrapperIZN2at6native12_GLOBAL__N_124unique_dim_cuda_templateItEESt5tupleIJNSF_6TensorESK_SK_EERKSK_lbbbEUlllE0_EEPmJS9_EEE10hipError_tPvRmT3_T4_T5_T6_T7_T9_mT8_P12ihipStream_tbDpT10_ENKUlT_T0_E_clISt17integral_constantIbLb0EES19_IbLb1EEEEDaS15_S16_EUlS15_E_NS1_11comp_targetILNS1_3genE10ELNS1_11target_archE1200ELNS1_3gpuE4ELNS1_3repE0EEENS1_30default_config_static_selectorELNS0_4arch9wavefront6targetE1EEEvT1_
                                        ; -- End function
	.section	.AMDGPU.csdata,"",@progbits
; Kernel info:
; codeLenInByte = 0
; NumSgprs: 4
; NumVgprs: 0
; NumAgprs: 0
; TotalNumVgprs: 0
; ScratchSize: 0
; MemoryBound: 0
; FloatMode: 240
; IeeeMode: 1
; LDSByteSize: 0 bytes/workgroup (compile time only)
; SGPRBlocks: 0
; VGPRBlocks: 0
; NumSGPRsForWavesPerEU: 4
; NumVGPRsForWavesPerEU: 1
; AccumOffset: 4
; Occupancy: 8
; WaveLimiterHint : 0
; COMPUTE_PGM_RSRC2:SCRATCH_EN: 0
; COMPUTE_PGM_RSRC2:USER_SGPR: 6
; COMPUTE_PGM_RSRC2:TRAP_HANDLER: 0
; COMPUTE_PGM_RSRC2:TGID_X_EN: 1
; COMPUTE_PGM_RSRC2:TGID_Y_EN: 0
; COMPUTE_PGM_RSRC2:TGID_Z_EN: 0
; COMPUTE_PGM_RSRC2:TIDIG_COMP_CNT: 0
; COMPUTE_PGM_RSRC3_GFX90A:ACCUM_OFFSET: 0
; COMPUTE_PGM_RSRC3_GFX90A:TG_SPLIT: 0
	.section	.text._ZN7rocprim17ROCPRIM_400000_NS6detail17trampoline_kernelINS0_14default_configENS1_25partition_config_selectorILNS1_17partition_subalgoE9EllbEEZZNS1_14partition_implILS5_9ELb0ES3_jPlS8_PNS0_10empty_typeENS0_5tupleIJS8_S9_EEENSB_IJS8_SA_EEENS0_18inequality_wrapperIZN2at6native12_GLOBAL__N_124unique_dim_cuda_templateItEESt5tupleIJNSF_6TensorESK_SK_EERKSK_lbbbEUlllE0_EEPmJS9_EEE10hipError_tPvRmT3_T4_T5_T6_T7_T9_mT8_P12ihipStream_tbDpT10_ENKUlT_T0_E_clISt17integral_constantIbLb0EES19_IbLb1EEEEDaS15_S16_EUlS15_E_NS1_11comp_targetILNS1_3genE9ELNS1_11target_archE1100ELNS1_3gpuE3ELNS1_3repE0EEENS1_30default_config_static_selectorELNS0_4arch9wavefront6targetE1EEEvT1_,"axG",@progbits,_ZN7rocprim17ROCPRIM_400000_NS6detail17trampoline_kernelINS0_14default_configENS1_25partition_config_selectorILNS1_17partition_subalgoE9EllbEEZZNS1_14partition_implILS5_9ELb0ES3_jPlS8_PNS0_10empty_typeENS0_5tupleIJS8_S9_EEENSB_IJS8_SA_EEENS0_18inequality_wrapperIZN2at6native12_GLOBAL__N_124unique_dim_cuda_templateItEESt5tupleIJNSF_6TensorESK_SK_EERKSK_lbbbEUlllE0_EEPmJS9_EEE10hipError_tPvRmT3_T4_T5_T6_T7_T9_mT8_P12ihipStream_tbDpT10_ENKUlT_T0_E_clISt17integral_constantIbLb0EES19_IbLb1EEEEDaS15_S16_EUlS15_E_NS1_11comp_targetILNS1_3genE9ELNS1_11target_archE1100ELNS1_3gpuE3ELNS1_3repE0EEENS1_30default_config_static_selectorELNS0_4arch9wavefront6targetE1EEEvT1_,comdat
	.globl	_ZN7rocprim17ROCPRIM_400000_NS6detail17trampoline_kernelINS0_14default_configENS1_25partition_config_selectorILNS1_17partition_subalgoE9EllbEEZZNS1_14partition_implILS5_9ELb0ES3_jPlS8_PNS0_10empty_typeENS0_5tupleIJS8_S9_EEENSB_IJS8_SA_EEENS0_18inequality_wrapperIZN2at6native12_GLOBAL__N_124unique_dim_cuda_templateItEESt5tupleIJNSF_6TensorESK_SK_EERKSK_lbbbEUlllE0_EEPmJS9_EEE10hipError_tPvRmT3_T4_T5_T6_T7_T9_mT8_P12ihipStream_tbDpT10_ENKUlT_T0_E_clISt17integral_constantIbLb0EES19_IbLb1EEEEDaS15_S16_EUlS15_E_NS1_11comp_targetILNS1_3genE9ELNS1_11target_archE1100ELNS1_3gpuE3ELNS1_3repE0EEENS1_30default_config_static_selectorELNS0_4arch9wavefront6targetE1EEEvT1_ ; -- Begin function _ZN7rocprim17ROCPRIM_400000_NS6detail17trampoline_kernelINS0_14default_configENS1_25partition_config_selectorILNS1_17partition_subalgoE9EllbEEZZNS1_14partition_implILS5_9ELb0ES3_jPlS8_PNS0_10empty_typeENS0_5tupleIJS8_S9_EEENSB_IJS8_SA_EEENS0_18inequality_wrapperIZN2at6native12_GLOBAL__N_124unique_dim_cuda_templateItEESt5tupleIJNSF_6TensorESK_SK_EERKSK_lbbbEUlllE0_EEPmJS9_EEE10hipError_tPvRmT3_T4_T5_T6_T7_T9_mT8_P12ihipStream_tbDpT10_ENKUlT_T0_E_clISt17integral_constantIbLb0EES19_IbLb1EEEEDaS15_S16_EUlS15_E_NS1_11comp_targetILNS1_3genE9ELNS1_11target_archE1100ELNS1_3gpuE3ELNS1_3repE0EEENS1_30default_config_static_selectorELNS0_4arch9wavefront6targetE1EEEvT1_
	.p2align	8
	.type	_ZN7rocprim17ROCPRIM_400000_NS6detail17trampoline_kernelINS0_14default_configENS1_25partition_config_selectorILNS1_17partition_subalgoE9EllbEEZZNS1_14partition_implILS5_9ELb0ES3_jPlS8_PNS0_10empty_typeENS0_5tupleIJS8_S9_EEENSB_IJS8_SA_EEENS0_18inequality_wrapperIZN2at6native12_GLOBAL__N_124unique_dim_cuda_templateItEESt5tupleIJNSF_6TensorESK_SK_EERKSK_lbbbEUlllE0_EEPmJS9_EEE10hipError_tPvRmT3_T4_T5_T6_T7_T9_mT8_P12ihipStream_tbDpT10_ENKUlT_T0_E_clISt17integral_constantIbLb0EES19_IbLb1EEEEDaS15_S16_EUlS15_E_NS1_11comp_targetILNS1_3genE9ELNS1_11target_archE1100ELNS1_3gpuE3ELNS1_3repE0EEENS1_30default_config_static_selectorELNS0_4arch9wavefront6targetE1EEEvT1_,@function
_ZN7rocprim17ROCPRIM_400000_NS6detail17trampoline_kernelINS0_14default_configENS1_25partition_config_selectorILNS1_17partition_subalgoE9EllbEEZZNS1_14partition_implILS5_9ELb0ES3_jPlS8_PNS0_10empty_typeENS0_5tupleIJS8_S9_EEENSB_IJS8_SA_EEENS0_18inequality_wrapperIZN2at6native12_GLOBAL__N_124unique_dim_cuda_templateItEESt5tupleIJNSF_6TensorESK_SK_EERKSK_lbbbEUlllE0_EEPmJS9_EEE10hipError_tPvRmT3_T4_T5_T6_T7_T9_mT8_P12ihipStream_tbDpT10_ENKUlT_T0_E_clISt17integral_constantIbLb0EES19_IbLb1EEEEDaS15_S16_EUlS15_E_NS1_11comp_targetILNS1_3genE9ELNS1_11target_archE1100ELNS1_3gpuE3ELNS1_3repE0EEENS1_30default_config_static_selectorELNS0_4arch9wavefront6targetE1EEEvT1_: ; @_ZN7rocprim17ROCPRIM_400000_NS6detail17trampoline_kernelINS0_14default_configENS1_25partition_config_selectorILNS1_17partition_subalgoE9EllbEEZZNS1_14partition_implILS5_9ELb0ES3_jPlS8_PNS0_10empty_typeENS0_5tupleIJS8_S9_EEENSB_IJS8_SA_EEENS0_18inequality_wrapperIZN2at6native12_GLOBAL__N_124unique_dim_cuda_templateItEESt5tupleIJNSF_6TensorESK_SK_EERKSK_lbbbEUlllE0_EEPmJS9_EEE10hipError_tPvRmT3_T4_T5_T6_T7_T9_mT8_P12ihipStream_tbDpT10_ENKUlT_T0_E_clISt17integral_constantIbLb0EES19_IbLb1EEEEDaS15_S16_EUlS15_E_NS1_11comp_targetILNS1_3genE9ELNS1_11target_archE1100ELNS1_3gpuE3ELNS1_3repE0EEENS1_30default_config_static_selectorELNS0_4arch9wavefront6targetE1EEEvT1_
; %bb.0:
	.section	.rodata,"a",@progbits
	.p2align	6, 0x0
	.amdhsa_kernel _ZN7rocprim17ROCPRIM_400000_NS6detail17trampoline_kernelINS0_14default_configENS1_25partition_config_selectorILNS1_17partition_subalgoE9EllbEEZZNS1_14partition_implILS5_9ELb0ES3_jPlS8_PNS0_10empty_typeENS0_5tupleIJS8_S9_EEENSB_IJS8_SA_EEENS0_18inequality_wrapperIZN2at6native12_GLOBAL__N_124unique_dim_cuda_templateItEESt5tupleIJNSF_6TensorESK_SK_EERKSK_lbbbEUlllE0_EEPmJS9_EEE10hipError_tPvRmT3_T4_T5_T6_T7_T9_mT8_P12ihipStream_tbDpT10_ENKUlT_T0_E_clISt17integral_constantIbLb0EES19_IbLb1EEEEDaS15_S16_EUlS15_E_NS1_11comp_targetILNS1_3genE9ELNS1_11target_archE1100ELNS1_3gpuE3ELNS1_3repE0EEENS1_30default_config_static_selectorELNS0_4arch9wavefront6targetE1EEEvT1_
		.amdhsa_group_segment_fixed_size 0
		.amdhsa_private_segment_fixed_size 0
		.amdhsa_kernarg_size 136
		.amdhsa_user_sgpr_count 6
		.amdhsa_user_sgpr_private_segment_buffer 1
		.amdhsa_user_sgpr_dispatch_ptr 0
		.amdhsa_user_sgpr_queue_ptr 0
		.amdhsa_user_sgpr_kernarg_segment_ptr 1
		.amdhsa_user_sgpr_dispatch_id 0
		.amdhsa_user_sgpr_flat_scratch_init 0
		.amdhsa_user_sgpr_kernarg_preload_length 0
		.amdhsa_user_sgpr_kernarg_preload_offset 0
		.amdhsa_user_sgpr_private_segment_size 0
		.amdhsa_uses_dynamic_stack 0
		.amdhsa_system_sgpr_private_segment_wavefront_offset 0
		.amdhsa_system_sgpr_workgroup_id_x 1
		.amdhsa_system_sgpr_workgroup_id_y 0
		.amdhsa_system_sgpr_workgroup_id_z 0
		.amdhsa_system_sgpr_workgroup_info 0
		.amdhsa_system_vgpr_workitem_id 0
		.amdhsa_next_free_vgpr 1
		.amdhsa_next_free_sgpr 0
		.amdhsa_accum_offset 4
		.amdhsa_reserve_vcc 0
		.amdhsa_reserve_flat_scratch 0
		.amdhsa_float_round_mode_32 0
		.amdhsa_float_round_mode_16_64 0
		.amdhsa_float_denorm_mode_32 3
		.amdhsa_float_denorm_mode_16_64 3
		.amdhsa_dx10_clamp 1
		.amdhsa_ieee_mode 1
		.amdhsa_fp16_overflow 0
		.amdhsa_tg_split 0
		.amdhsa_exception_fp_ieee_invalid_op 0
		.amdhsa_exception_fp_denorm_src 0
		.amdhsa_exception_fp_ieee_div_zero 0
		.amdhsa_exception_fp_ieee_overflow 0
		.amdhsa_exception_fp_ieee_underflow 0
		.amdhsa_exception_fp_ieee_inexact 0
		.amdhsa_exception_int_div_zero 0
	.end_amdhsa_kernel
	.section	.text._ZN7rocprim17ROCPRIM_400000_NS6detail17trampoline_kernelINS0_14default_configENS1_25partition_config_selectorILNS1_17partition_subalgoE9EllbEEZZNS1_14partition_implILS5_9ELb0ES3_jPlS8_PNS0_10empty_typeENS0_5tupleIJS8_S9_EEENSB_IJS8_SA_EEENS0_18inequality_wrapperIZN2at6native12_GLOBAL__N_124unique_dim_cuda_templateItEESt5tupleIJNSF_6TensorESK_SK_EERKSK_lbbbEUlllE0_EEPmJS9_EEE10hipError_tPvRmT3_T4_T5_T6_T7_T9_mT8_P12ihipStream_tbDpT10_ENKUlT_T0_E_clISt17integral_constantIbLb0EES19_IbLb1EEEEDaS15_S16_EUlS15_E_NS1_11comp_targetILNS1_3genE9ELNS1_11target_archE1100ELNS1_3gpuE3ELNS1_3repE0EEENS1_30default_config_static_selectorELNS0_4arch9wavefront6targetE1EEEvT1_,"axG",@progbits,_ZN7rocprim17ROCPRIM_400000_NS6detail17trampoline_kernelINS0_14default_configENS1_25partition_config_selectorILNS1_17partition_subalgoE9EllbEEZZNS1_14partition_implILS5_9ELb0ES3_jPlS8_PNS0_10empty_typeENS0_5tupleIJS8_S9_EEENSB_IJS8_SA_EEENS0_18inequality_wrapperIZN2at6native12_GLOBAL__N_124unique_dim_cuda_templateItEESt5tupleIJNSF_6TensorESK_SK_EERKSK_lbbbEUlllE0_EEPmJS9_EEE10hipError_tPvRmT3_T4_T5_T6_T7_T9_mT8_P12ihipStream_tbDpT10_ENKUlT_T0_E_clISt17integral_constantIbLb0EES19_IbLb1EEEEDaS15_S16_EUlS15_E_NS1_11comp_targetILNS1_3genE9ELNS1_11target_archE1100ELNS1_3gpuE3ELNS1_3repE0EEENS1_30default_config_static_selectorELNS0_4arch9wavefront6targetE1EEEvT1_,comdat
.Lfunc_end1479:
	.size	_ZN7rocprim17ROCPRIM_400000_NS6detail17trampoline_kernelINS0_14default_configENS1_25partition_config_selectorILNS1_17partition_subalgoE9EllbEEZZNS1_14partition_implILS5_9ELb0ES3_jPlS8_PNS0_10empty_typeENS0_5tupleIJS8_S9_EEENSB_IJS8_SA_EEENS0_18inequality_wrapperIZN2at6native12_GLOBAL__N_124unique_dim_cuda_templateItEESt5tupleIJNSF_6TensorESK_SK_EERKSK_lbbbEUlllE0_EEPmJS9_EEE10hipError_tPvRmT3_T4_T5_T6_T7_T9_mT8_P12ihipStream_tbDpT10_ENKUlT_T0_E_clISt17integral_constantIbLb0EES19_IbLb1EEEEDaS15_S16_EUlS15_E_NS1_11comp_targetILNS1_3genE9ELNS1_11target_archE1100ELNS1_3gpuE3ELNS1_3repE0EEENS1_30default_config_static_selectorELNS0_4arch9wavefront6targetE1EEEvT1_, .Lfunc_end1479-_ZN7rocprim17ROCPRIM_400000_NS6detail17trampoline_kernelINS0_14default_configENS1_25partition_config_selectorILNS1_17partition_subalgoE9EllbEEZZNS1_14partition_implILS5_9ELb0ES3_jPlS8_PNS0_10empty_typeENS0_5tupleIJS8_S9_EEENSB_IJS8_SA_EEENS0_18inequality_wrapperIZN2at6native12_GLOBAL__N_124unique_dim_cuda_templateItEESt5tupleIJNSF_6TensorESK_SK_EERKSK_lbbbEUlllE0_EEPmJS9_EEE10hipError_tPvRmT3_T4_T5_T6_T7_T9_mT8_P12ihipStream_tbDpT10_ENKUlT_T0_E_clISt17integral_constantIbLb0EES19_IbLb1EEEEDaS15_S16_EUlS15_E_NS1_11comp_targetILNS1_3genE9ELNS1_11target_archE1100ELNS1_3gpuE3ELNS1_3repE0EEENS1_30default_config_static_selectorELNS0_4arch9wavefront6targetE1EEEvT1_
                                        ; -- End function
	.section	.AMDGPU.csdata,"",@progbits
; Kernel info:
; codeLenInByte = 0
; NumSgprs: 4
; NumVgprs: 0
; NumAgprs: 0
; TotalNumVgprs: 0
; ScratchSize: 0
; MemoryBound: 0
; FloatMode: 240
; IeeeMode: 1
; LDSByteSize: 0 bytes/workgroup (compile time only)
; SGPRBlocks: 0
; VGPRBlocks: 0
; NumSGPRsForWavesPerEU: 4
; NumVGPRsForWavesPerEU: 1
; AccumOffset: 4
; Occupancy: 8
; WaveLimiterHint : 0
; COMPUTE_PGM_RSRC2:SCRATCH_EN: 0
; COMPUTE_PGM_RSRC2:USER_SGPR: 6
; COMPUTE_PGM_RSRC2:TRAP_HANDLER: 0
; COMPUTE_PGM_RSRC2:TGID_X_EN: 1
; COMPUTE_PGM_RSRC2:TGID_Y_EN: 0
; COMPUTE_PGM_RSRC2:TGID_Z_EN: 0
; COMPUTE_PGM_RSRC2:TIDIG_COMP_CNT: 0
; COMPUTE_PGM_RSRC3_GFX90A:ACCUM_OFFSET: 0
; COMPUTE_PGM_RSRC3_GFX90A:TG_SPLIT: 0
	.section	.text._ZN7rocprim17ROCPRIM_400000_NS6detail17trampoline_kernelINS0_14default_configENS1_25partition_config_selectorILNS1_17partition_subalgoE9EllbEEZZNS1_14partition_implILS5_9ELb0ES3_jPlS8_PNS0_10empty_typeENS0_5tupleIJS8_S9_EEENSB_IJS8_SA_EEENS0_18inequality_wrapperIZN2at6native12_GLOBAL__N_124unique_dim_cuda_templateItEESt5tupleIJNSF_6TensorESK_SK_EERKSK_lbbbEUlllE0_EEPmJS9_EEE10hipError_tPvRmT3_T4_T5_T6_T7_T9_mT8_P12ihipStream_tbDpT10_ENKUlT_T0_E_clISt17integral_constantIbLb0EES19_IbLb1EEEEDaS15_S16_EUlS15_E_NS1_11comp_targetILNS1_3genE8ELNS1_11target_archE1030ELNS1_3gpuE2ELNS1_3repE0EEENS1_30default_config_static_selectorELNS0_4arch9wavefront6targetE1EEEvT1_,"axG",@progbits,_ZN7rocprim17ROCPRIM_400000_NS6detail17trampoline_kernelINS0_14default_configENS1_25partition_config_selectorILNS1_17partition_subalgoE9EllbEEZZNS1_14partition_implILS5_9ELb0ES3_jPlS8_PNS0_10empty_typeENS0_5tupleIJS8_S9_EEENSB_IJS8_SA_EEENS0_18inequality_wrapperIZN2at6native12_GLOBAL__N_124unique_dim_cuda_templateItEESt5tupleIJNSF_6TensorESK_SK_EERKSK_lbbbEUlllE0_EEPmJS9_EEE10hipError_tPvRmT3_T4_T5_T6_T7_T9_mT8_P12ihipStream_tbDpT10_ENKUlT_T0_E_clISt17integral_constantIbLb0EES19_IbLb1EEEEDaS15_S16_EUlS15_E_NS1_11comp_targetILNS1_3genE8ELNS1_11target_archE1030ELNS1_3gpuE2ELNS1_3repE0EEENS1_30default_config_static_selectorELNS0_4arch9wavefront6targetE1EEEvT1_,comdat
	.globl	_ZN7rocprim17ROCPRIM_400000_NS6detail17trampoline_kernelINS0_14default_configENS1_25partition_config_selectorILNS1_17partition_subalgoE9EllbEEZZNS1_14partition_implILS5_9ELb0ES3_jPlS8_PNS0_10empty_typeENS0_5tupleIJS8_S9_EEENSB_IJS8_SA_EEENS0_18inequality_wrapperIZN2at6native12_GLOBAL__N_124unique_dim_cuda_templateItEESt5tupleIJNSF_6TensorESK_SK_EERKSK_lbbbEUlllE0_EEPmJS9_EEE10hipError_tPvRmT3_T4_T5_T6_T7_T9_mT8_P12ihipStream_tbDpT10_ENKUlT_T0_E_clISt17integral_constantIbLb0EES19_IbLb1EEEEDaS15_S16_EUlS15_E_NS1_11comp_targetILNS1_3genE8ELNS1_11target_archE1030ELNS1_3gpuE2ELNS1_3repE0EEENS1_30default_config_static_selectorELNS0_4arch9wavefront6targetE1EEEvT1_ ; -- Begin function _ZN7rocprim17ROCPRIM_400000_NS6detail17trampoline_kernelINS0_14default_configENS1_25partition_config_selectorILNS1_17partition_subalgoE9EllbEEZZNS1_14partition_implILS5_9ELb0ES3_jPlS8_PNS0_10empty_typeENS0_5tupleIJS8_S9_EEENSB_IJS8_SA_EEENS0_18inequality_wrapperIZN2at6native12_GLOBAL__N_124unique_dim_cuda_templateItEESt5tupleIJNSF_6TensorESK_SK_EERKSK_lbbbEUlllE0_EEPmJS9_EEE10hipError_tPvRmT3_T4_T5_T6_T7_T9_mT8_P12ihipStream_tbDpT10_ENKUlT_T0_E_clISt17integral_constantIbLb0EES19_IbLb1EEEEDaS15_S16_EUlS15_E_NS1_11comp_targetILNS1_3genE8ELNS1_11target_archE1030ELNS1_3gpuE2ELNS1_3repE0EEENS1_30default_config_static_selectorELNS0_4arch9wavefront6targetE1EEEvT1_
	.p2align	8
	.type	_ZN7rocprim17ROCPRIM_400000_NS6detail17trampoline_kernelINS0_14default_configENS1_25partition_config_selectorILNS1_17partition_subalgoE9EllbEEZZNS1_14partition_implILS5_9ELb0ES3_jPlS8_PNS0_10empty_typeENS0_5tupleIJS8_S9_EEENSB_IJS8_SA_EEENS0_18inequality_wrapperIZN2at6native12_GLOBAL__N_124unique_dim_cuda_templateItEESt5tupleIJNSF_6TensorESK_SK_EERKSK_lbbbEUlllE0_EEPmJS9_EEE10hipError_tPvRmT3_T4_T5_T6_T7_T9_mT8_P12ihipStream_tbDpT10_ENKUlT_T0_E_clISt17integral_constantIbLb0EES19_IbLb1EEEEDaS15_S16_EUlS15_E_NS1_11comp_targetILNS1_3genE8ELNS1_11target_archE1030ELNS1_3gpuE2ELNS1_3repE0EEENS1_30default_config_static_selectorELNS0_4arch9wavefront6targetE1EEEvT1_,@function
_ZN7rocprim17ROCPRIM_400000_NS6detail17trampoline_kernelINS0_14default_configENS1_25partition_config_selectorILNS1_17partition_subalgoE9EllbEEZZNS1_14partition_implILS5_9ELb0ES3_jPlS8_PNS0_10empty_typeENS0_5tupleIJS8_S9_EEENSB_IJS8_SA_EEENS0_18inequality_wrapperIZN2at6native12_GLOBAL__N_124unique_dim_cuda_templateItEESt5tupleIJNSF_6TensorESK_SK_EERKSK_lbbbEUlllE0_EEPmJS9_EEE10hipError_tPvRmT3_T4_T5_T6_T7_T9_mT8_P12ihipStream_tbDpT10_ENKUlT_T0_E_clISt17integral_constantIbLb0EES19_IbLb1EEEEDaS15_S16_EUlS15_E_NS1_11comp_targetILNS1_3genE8ELNS1_11target_archE1030ELNS1_3gpuE2ELNS1_3repE0EEENS1_30default_config_static_selectorELNS0_4arch9wavefront6targetE1EEEvT1_: ; @_ZN7rocprim17ROCPRIM_400000_NS6detail17trampoline_kernelINS0_14default_configENS1_25partition_config_selectorILNS1_17partition_subalgoE9EllbEEZZNS1_14partition_implILS5_9ELb0ES3_jPlS8_PNS0_10empty_typeENS0_5tupleIJS8_S9_EEENSB_IJS8_SA_EEENS0_18inequality_wrapperIZN2at6native12_GLOBAL__N_124unique_dim_cuda_templateItEESt5tupleIJNSF_6TensorESK_SK_EERKSK_lbbbEUlllE0_EEPmJS9_EEE10hipError_tPvRmT3_T4_T5_T6_T7_T9_mT8_P12ihipStream_tbDpT10_ENKUlT_T0_E_clISt17integral_constantIbLb0EES19_IbLb1EEEEDaS15_S16_EUlS15_E_NS1_11comp_targetILNS1_3genE8ELNS1_11target_archE1030ELNS1_3gpuE2ELNS1_3repE0EEENS1_30default_config_static_selectorELNS0_4arch9wavefront6targetE1EEEvT1_
; %bb.0:
	.section	.rodata,"a",@progbits
	.p2align	6, 0x0
	.amdhsa_kernel _ZN7rocprim17ROCPRIM_400000_NS6detail17trampoline_kernelINS0_14default_configENS1_25partition_config_selectorILNS1_17partition_subalgoE9EllbEEZZNS1_14partition_implILS5_9ELb0ES3_jPlS8_PNS0_10empty_typeENS0_5tupleIJS8_S9_EEENSB_IJS8_SA_EEENS0_18inequality_wrapperIZN2at6native12_GLOBAL__N_124unique_dim_cuda_templateItEESt5tupleIJNSF_6TensorESK_SK_EERKSK_lbbbEUlllE0_EEPmJS9_EEE10hipError_tPvRmT3_T4_T5_T6_T7_T9_mT8_P12ihipStream_tbDpT10_ENKUlT_T0_E_clISt17integral_constantIbLb0EES19_IbLb1EEEEDaS15_S16_EUlS15_E_NS1_11comp_targetILNS1_3genE8ELNS1_11target_archE1030ELNS1_3gpuE2ELNS1_3repE0EEENS1_30default_config_static_selectorELNS0_4arch9wavefront6targetE1EEEvT1_
		.amdhsa_group_segment_fixed_size 0
		.amdhsa_private_segment_fixed_size 0
		.amdhsa_kernarg_size 136
		.amdhsa_user_sgpr_count 6
		.amdhsa_user_sgpr_private_segment_buffer 1
		.amdhsa_user_sgpr_dispatch_ptr 0
		.amdhsa_user_sgpr_queue_ptr 0
		.amdhsa_user_sgpr_kernarg_segment_ptr 1
		.amdhsa_user_sgpr_dispatch_id 0
		.amdhsa_user_sgpr_flat_scratch_init 0
		.amdhsa_user_sgpr_kernarg_preload_length 0
		.amdhsa_user_sgpr_kernarg_preload_offset 0
		.amdhsa_user_sgpr_private_segment_size 0
		.amdhsa_uses_dynamic_stack 0
		.amdhsa_system_sgpr_private_segment_wavefront_offset 0
		.amdhsa_system_sgpr_workgroup_id_x 1
		.amdhsa_system_sgpr_workgroup_id_y 0
		.amdhsa_system_sgpr_workgroup_id_z 0
		.amdhsa_system_sgpr_workgroup_info 0
		.amdhsa_system_vgpr_workitem_id 0
		.amdhsa_next_free_vgpr 1
		.amdhsa_next_free_sgpr 0
		.amdhsa_accum_offset 4
		.amdhsa_reserve_vcc 0
		.amdhsa_reserve_flat_scratch 0
		.amdhsa_float_round_mode_32 0
		.amdhsa_float_round_mode_16_64 0
		.amdhsa_float_denorm_mode_32 3
		.amdhsa_float_denorm_mode_16_64 3
		.amdhsa_dx10_clamp 1
		.amdhsa_ieee_mode 1
		.amdhsa_fp16_overflow 0
		.amdhsa_tg_split 0
		.amdhsa_exception_fp_ieee_invalid_op 0
		.amdhsa_exception_fp_denorm_src 0
		.amdhsa_exception_fp_ieee_div_zero 0
		.amdhsa_exception_fp_ieee_overflow 0
		.amdhsa_exception_fp_ieee_underflow 0
		.amdhsa_exception_fp_ieee_inexact 0
		.amdhsa_exception_int_div_zero 0
	.end_amdhsa_kernel
	.section	.text._ZN7rocprim17ROCPRIM_400000_NS6detail17trampoline_kernelINS0_14default_configENS1_25partition_config_selectorILNS1_17partition_subalgoE9EllbEEZZNS1_14partition_implILS5_9ELb0ES3_jPlS8_PNS0_10empty_typeENS0_5tupleIJS8_S9_EEENSB_IJS8_SA_EEENS0_18inequality_wrapperIZN2at6native12_GLOBAL__N_124unique_dim_cuda_templateItEESt5tupleIJNSF_6TensorESK_SK_EERKSK_lbbbEUlllE0_EEPmJS9_EEE10hipError_tPvRmT3_T4_T5_T6_T7_T9_mT8_P12ihipStream_tbDpT10_ENKUlT_T0_E_clISt17integral_constantIbLb0EES19_IbLb1EEEEDaS15_S16_EUlS15_E_NS1_11comp_targetILNS1_3genE8ELNS1_11target_archE1030ELNS1_3gpuE2ELNS1_3repE0EEENS1_30default_config_static_selectorELNS0_4arch9wavefront6targetE1EEEvT1_,"axG",@progbits,_ZN7rocprim17ROCPRIM_400000_NS6detail17trampoline_kernelINS0_14default_configENS1_25partition_config_selectorILNS1_17partition_subalgoE9EllbEEZZNS1_14partition_implILS5_9ELb0ES3_jPlS8_PNS0_10empty_typeENS0_5tupleIJS8_S9_EEENSB_IJS8_SA_EEENS0_18inequality_wrapperIZN2at6native12_GLOBAL__N_124unique_dim_cuda_templateItEESt5tupleIJNSF_6TensorESK_SK_EERKSK_lbbbEUlllE0_EEPmJS9_EEE10hipError_tPvRmT3_T4_T5_T6_T7_T9_mT8_P12ihipStream_tbDpT10_ENKUlT_T0_E_clISt17integral_constantIbLb0EES19_IbLb1EEEEDaS15_S16_EUlS15_E_NS1_11comp_targetILNS1_3genE8ELNS1_11target_archE1030ELNS1_3gpuE2ELNS1_3repE0EEENS1_30default_config_static_selectorELNS0_4arch9wavefront6targetE1EEEvT1_,comdat
.Lfunc_end1480:
	.size	_ZN7rocprim17ROCPRIM_400000_NS6detail17trampoline_kernelINS0_14default_configENS1_25partition_config_selectorILNS1_17partition_subalgoE9EllbEEZZNS1_14partition_implILS5_9ELb0ES3_jPlS8_PNS0_10empty_typeENS0_5tupleIJS8_S9_EEENSB_IJS8_SA_EEENS0_18inequality_wrapperIZN2at6native12_GLOBAL__N_124unique_dim_cuda_templateItEESt5tupleIJNSF_6TensorESK_SK_EERKSK_lbbbEUlllE0_EEPmJS9_EEE10hipError_tPvRmT3_T4_T5_T6_T7_T9_mT8_P12ihipStream_tbDpT10_ENKUlT_T0_E_clISt17integral_constantIbLb0EES19_IbLb1EEEEDaS15_S16_EUlS15_E_NS1_11comp_targetILNS1_3genE8ELNS1_11target_archE1030ELNS1_3gpuE2ELNS1_3repE0EEENS1_30default_config_static_selectorELNS0_4arch9wavefront6targetE1EEEvT1_, .Lfunc_end1480-_ZN7rocprim17ROCPRIM_400000_NS6detail17trampoline_kernelINS0_14default_configENS1_25partition_config_selectorILNS1_17partition_subalgoE9EllbEEZZNS1_14partition_implILS5_9ELb0ES3_jPlS8_PNS0_10empty_typeENS0_5tupleIJS8_S9_EEENSB_IJS8_SA_EEENS0_18inequality_wrapperIZN2at6native12_GLOBAL__N_124unique_dim_cuda_templateItEESt5tupleIJNSF_6TensorESK_SK_EERKSK_lbbbEUlllE0_EEPmJS9_EEE10hipError_tPvRmT3_T4_T5_T6_T7_T9_mT8_P12ihipStream_tbDpT10_ENKUlT_T0_E_clISt17integral_constantIbLb0EES19_IbLb1EEEEDaS15_S16_EUlS15_E_NS1_11comp_targetILNS1_3genE8ELNS1_11target_archE1030ELNS1_3gpuE2ELNS1_3repE0EEENS1_30default_config_static_selectorELNS0_4arch9wavefront6targetE1EEEvT1_
                                        ; -- End function
	.section	.AMDGPU.csdata,"",@progbits
; Kernel info:
; codeLenInByte = 0
; NumSgprs: 4
; NumVgprs: 0
; NumAgprs: 0
; TotalNumVgprs: 0
; ScratchSize: 0
; MemoryBound: 0
; FloatMode: 240
; IeeeMode: 1
; LDSByteSize: 0 bytes/workgroup (compile time only)
; SGPRBlocks: 0
; VGPRBlocks: 0
; NumSGPRsForWavesPerEU: 4
; NumVGPRsForWavesPerEU: 1
; AccumOffset: 4
; Occupancy: 8
; WaveLimiterHint : 0
; COMPUTE_PGM_RSRC2:SCRATCH_EN: 0
; COMPUTE_PGM_RSRC2:USER_SGPR: 6
; COMPUTE_PGM_RSRC2:TRAP_HANDLER: 0
; COMPUTE_PGM_RSRC2:TGID_X_EN: 1
; COMPUTE_PGM_RSRC2:TGID_Y_EN: 0
; COMPUTE_PGM_RSRC2:TGID_Z_EN: 0
; COMPUTE_PGM_RSRC2:TIDIG_COMP_CNT: 0
; COMPUTE_PGM_RSRC3_GFX90A:ACCUM_OFFSET: 0
; COMPUTE_PGM_RSRC3_GFX90A:TG_SPLIT: 0
	.section	.text._ZN7rocprim17ROCPRIM_400000_NS6detail17trampoline_kernelINS0_14default_configENS1_37merge_sort_block_sort_config_selectorIlNS0_10empty_typeEEEZNS1_21merge_sort_block_sortIS3_PlS8_PS5_S9_ZN2at6native12_GLOBAL__N_124unique_dim_cuda_templateIjEESt5tupleIJNSA_6TensorESF_SF_EERKSF_lbbbEUlllE_EE10hipError_tT0_T1_T2_T3_mRjT4_P12ihipStream_tbNS1_7vsmem_tEEUlT_E_NS1_11comp_targetILNS1_3genE0ELNS1_11target_archE4294967295ELNS1_3gpuE0ELNS1_3repE0EEENS1_30default_config_static_selectorELNS0_4arch9wavefront6targetE1EEEvSM_,"axG",@progbits,_ZN7rocprim17ROCPRIM_400000_NS6detail17trampoline_kernelINS0_14default_configENS1_37merge_sort_block_sort_config_selectorIlNS0_10empty_typeEEEZNS1_21merge_sort_block_sortIS3_PlS8_PS5_S9_ZN2at6native12_GLOBAL__N_124unique_dim_cuda_templateIjEESt5tupleIJNSA_6TensorESF_SF_EERKSF_lbbbEUlllE_EE10hipError_tT0_T1_T2_T3_mRjT4_P12ihipStream_tbNS1_7vsmem_tEEUlT_E_NS1_11comp_targetILNS1_3genE0ELNS1_11target_archE4294967295ELNS1_3gpuE0ELNS1_3repE0EEENS1_30default_config_static_selectorELNS0_4arch9wavefront6targetE1EEEvSM_,comdat
	.globl	_ZN7rocprim17ROCPRIM_400000_NS6detail17trampoline_kernelINS0_14default_configENS1_37merge_sort_block_sort_config_selectorIlNS0_10empty_typeEEEZNS1_21merge_sort_block_sortIS3_PlS8_PS5_S9_ZN2at6native12_GLOBAL__N_124unique_dim_cuda_templateIjEESt5tupleIJNSA_6TensorESF_SF_EERKSF_lbbbEUlllE_EE10hipError_tT0_T1_T2_T3_mRjT4_P12ihipStream_tbNS1_7vsmem_tEEUlT_E_NS1_11comp_targetILNS1_3genE0ELNS1_11target_archE4294967295ELNS1_3gpuE0ELNS1_3repE0EEENS1_30default_config_static_selectorELNS0_4arch9wavefront6targetE1EEEvSM_ ; -- Begin function _ZN7rocprim17ROCPRIM_400000_NS6detail17trampoline_kernelINS0_14default_configENS1_37merge_sort_block_sort_config_selectorIlNS0_10empty_typeEEEZNS1_21merge_sort_block_sortIS3_PlS8_PS5_S9_ZN2at6native12_GLOBAL__N_124unique_dim_cuda_templateIjEESt5tupleIJNSA_6TensorESF_SF_EERKSF_lbbbEUlllE_EE10hipError_tT0_T1_T2_T3_mRjT4_P12ihipStream_tbNS1_7vsmem_tEEUlT_E_NS1_11comp_targetILNS1_3genE0ELNS1_11target_archE4294967295ELNS1_3gpuE0ELNS1_3repE0EEENS1_30default_config_static_selectorELNS0_4arch9wavefront6targetE1EEEvSM_
	.p2align	8
	.type	_ZN7rocprim17ROCPRIM_400000_NS6detail17trampoline_kernelINS0_14default_configENS1_37merge_sort_block_sort_config_selectorIlNS0_10empty_typeEEEZNS1_21merge_sort_block_sortIS3_PlS8_PS5_S9_ZN2at6native12_GLOBAL__N_124unique_dim_cuda_templateIjEESt5tupleIJNSA_6TensorESF_SF_EERKSF_lbbbEUlllE_EE10hipError_tT0_T1_T2_T3_mRjT4_P12ihipStream_tbNS1_7vsmem_tEEUlT_E_NS1_11comp_targetILNS1_3genE0ELNS1_11target_archE4294967295ELNS1_3gpuE0ELNS1_3repE0EEENS1_30default_config_static_selectorELNS0_4arch9wavefront6targetE1EEEvSM_,@function
_ZN7rocprim17ROCPRIM_400000_NS6detail17trampoline_kernelINS0_14default_configENS1_37merge_sort_block_sort_config_selectorIlNS0_10empty_typeEEEZNS1_21merge_sort_block_sortIS3_PlS8_PS5_S9_ZN2at6native12_GLOBAL__N_124unique_dim_cuda_templateIjEESt5tupleIJNSA_6TensorESF_SF_EERKSF_lbbbEUlllE_EE10hipError_tT0_T1_T2_T3_mRjT4_P12ihipStream_tbNS1_7vsmem_tEEUlT_E_NS1_11comp_targetILNS1_3genE0ELNS1_11target_archE4294967295ELNS1_3gpuE0ELNS1_3repE0EEENS1_30default_config_static_selectorELNS0_4arch9wavefront6targetE1EEEvSM_: ; @_ZN7rocprim17ROCPRIM_400000_NS6detail17trampoline_kernelINS0_14default_configENS1_37merge_sort_block_sort_config_selectorIlNS0_10empty_typeEEEZNS1_21merge_sort_block_sortIS3_PlS8_PS5_S9_ZN2at6native12_GLOBAL__N_124unique_dim_cuda_templateIjEESt5tupleIJNSA_6TensorESF_SF_EERKSF_lbbbEUlllE_EE10hipError_tT0_T1_T2_T3_mRjT4_P12ihipStream_tbNS1_7vsmem_tEEUlT_E_NS1_11comp_targetILNS1_3genE0ELNS1_11target_archE4294967295ELNS1_3gpuE0ELNS1_3repE0EEENS1_30default_config_static_selectorELNS0_4arch9wavefront6targetE1EEEvSM_
; %bb.0:
	.section	.rodata,"a",@progbits
	.p2align	6, 0x0
	.amdhsa_kernel _ZN7rocprim17ROCPRIM_400000_NS6detail17trampoline_kernelINS0_14default_configENS1_37merge_sort_block_sort_config_selectorIlNS0_10empty_typeEEEZNS1_21merge_sort_block_sortIS3_PlS8_PS5_S9_ZN2at6native12_GLOBAL__N_124unique_dim_cuda_templateIjEESt5tupleIJNSA_6TensorESF_SF_EERKSF_lbbbEUlllE_EE10hipError_tT0_T1_T2_T3_mRjT4_P12ihipStream_tbNS1_7vsmem_tEEUlT_E_NS1_11comp_targetILNS1_3genE0ELNS1_11target_archE4294967295ELNS1_3gpuE0ELNS1_3repE0EEENS1_30default_config_static_selectorELNS0_4arch9wavefront6targetE1EEEvSM_
		.amdhsa_group_segment_fixed_size 0
		.amdhsa_private_segment_fixed_size 0
		.amdhsa_kernarg_size 72
		.amdhsa_user_sgpr_count 6
		.amdhsa_user_sgpr_private_segment_buffer 1
		.amdhsa_user_sgpr_dispatch_ptr 0
		.amdhsa_user_sgpr_queue_ptr 0
		.amdhsa_user_sgpr_kernarg_segment_ptr 1
		.amdhsa_user_sgpr_dispatch_id 0
		.amdhsa_user_sgpr_flat_scratch_init 0
		.amdhsa_user_sgpr_kernarg_preload_length 0
		.amdhsa_user_sgpr_kernarg_preload_offset 0
		.amdhsa_user_sgpr_private_segment_size 0
		.amdhsa_uses_dynamic_stack 0
		.amdhsa_system_sgpr_private_segment_wavefront_offset 0
		.amdhsa_system_sgpr_workgroup_id_x 1
		.amdhsa_system_sgpr_workgroup_id_y 0
		.amdhsa_system_sgpr_workgroup_id_z 0
		.amdhsa_system_sgpr_workgroup_info 0
		.amdhsa_system_vgpr_workitem_id 0
		.amdhsa_next_free_vgpr 1
		.amdhsa_next_free_sgpr 0
		.amdhsa_accum_offset 4
		.amdhsa_reserve_vcc 0
		.amdhsa_reserve_flat_scratch 0
		.amdhsa_float_round_mode_32 0
		.amdhsa_float_round_mode_16_64 0
		.amdhsa_float_denorm_mode_32 3
		.amdhsa_float_denorm_mode_16_64 3
		.amdhsa_dx10_clamp 1
		.amdhsa_ieee_mode 1
		.amdhsa_fp16_overflow 0
		.amdhsa_tg_split 0
		.amdhsa_exception_fp_ieee_invalid_op 0
		.amdhsa_exception_fp_denorm_src 0
		.amdhsa_exception_fp_ieee_div_zero 0
		.amdhsa_exception_fp_ieee_overflow 0
		.amdhsa_exception_fp_ieee_underflow 0
		.amdhsa_exception_fp_ieee_inexact 0
		.amdhsa_exception_int_div_zero 0
	.end_amdhsa_kernel
	.section	.text._ZN7rocprim17ROCPRIM_400000_NS6detail17trampoline_kernelINS0_14default_configENS1_37merge_sort_block_sort_config_selectorIlNS0_10empty_typeEEEZNS1_21merge_sort_block_sortIS3_PlS8_PS5_S9_ZN2at6native12_GLOBAL__N_124unique_dim_cuda_templateIjEESt5tupleIJNSA_6TensorESF_SF_EERKSF_lbbbEUlllE_EE10hipError_tT0_T1_T2_T3_mRjT4_P12ihipStream_tbNS1_7vsmem_tEEUlT_E_NS1_11comp_targetILNS1_3genE0ELNS1_11target_archE4294967295ELNS1_3gpuE0ELNS1_3repE0EEENS1_30default_config_static_selectorELNS0_4arch9wavefront6targetE1EEEvSM_,"axG",@progbits,_ZN7rocprim17ROCPRIM_400000_NS6detail17trampoline_kernelINS0_14default_configENS1_37merge_sort_block_sort_config_selectorIlNS0_10empty_typeEEEZNS1_21merge_sort_block_sortIS3_PlS8_PS5_S9_ZN2at6native12_GLOBAL__N_124unique_dim_cuda_templateIjEESt5tupleIJNSA_6TensorESF_SF_EERKSF_lbbbEUlllE_EE10hipError_tT0_T1_T2_T3_mRjT4_P12ihipStream_tbNS1_7vsmem_tEEUlT_E_NS1_11comp_targetILNS1_3genE0ELNS1_11target_archE4294967295ELNS1_3gpuE0ELNS1_3repE0EEENS1_30default_config_static_selectorELNS0_4arch9wavefront6targetE1EEEvSM_,comdat
.Lfunc_end1481:
	.size	_ZN7rocprim17ROCPRIM_400000_NS6detail17trampoline_kernelINS0_14default_configENS1_37merge_sort_block_sort_config_selectorIlNS0_10empty_typeEEEZNS1_21merge_sort_block_sortIS3_PlS8_PS5_S9_ZN2at6native12_GLOBAL__N_124unique_dim_cuda_templateIjEESt5tupleIJNSA_6TensorESF_SF_EERKSF_lbbbEUlllE_EE10hipError_tT0_T1_T2_T3_mRjT4_P12ihipStream_tbNS1_7vsmem_tEEUlT_E_NS1_11comp_targetILNS1_3genE0ELNS1_11target_archE4294967295ELNS1_3gpuE0ELNS1_3repE0EEENS1_30default_config_static_selectorELNS0_4arch9wavefront6targetE1EEEvSM_, .Lfunc_end1481-_ZN7rocprim17ROCPRIM_400000_NS6detail17trampoline_kernelINS0_14default_configENS1_37merge_sort_block_sort_config_selectorIlNS0_10empty_typeEEEZNS1_21merge_sort_block_sortIS3_PlS8_PS5_S9_ZN2at6native12_GLOBAL__N_124unique_dim_cuda_templateIjEESt5tupleIJNSA_6TensorESF_SF_EERKSF_lbbbEUlllE_EE10hipError_tT0_T1_T2_T3_mRjT4_P12ihipStream_tbNS1_7vsmem_tEEUlT_E_NS1_11comp_targetILNS1_3genE0ELNS1_11target_archE4294967295ELNS1_3gpuE0ELNS1_3repE0EEENS1_30default_config_static_selectorELNS0_4arch9wavefront6targetE1EEEvSM_
                                        ; -- End function
	.section	.AMDGPU.csdata,"",@progbits
; Kernel info:
; codeLenInByte = 0
; NumSgprs: 4
; NumVgprs: 0
; NumAgprs: 0
; TotalNumVgprs: 0
; ScratchSize: 0
; MemoryBound: 0
; FloatMode: 240
; IeeeMode: 1
; LDSByteSize: 0 bytes/workgroup (compile time only)
; SGPRBlocks: 0
; VGPRBlocks: 0
; NumSGPRsForWavesPerEU: 4
; NumVGPRsForWavesPerEU: 1
; AccumOffset: 4
; Occupancy: 8
; WaveLimiterHint : 0
; COMPUTE_PGM_RSRC2:SCRATCH_EN: 0
; COMPUTE_PGM_RSRC2:USER_SGPR: 6
; COMPUTE_PGM_RSRC2:TRAP_HANDLER: 0
; COMPUTE_PGM_RSRC2:TGID_X_EN: 1
; COMPUTE_PGM_RSRC2:TGID_Y_EN: 0
; COMPUTE_PGM_RSRC2:TGID_Z_EN: 0
; COMPUTE_PGM_RSRC2:TIDIG_COMP_CNT: 0
; COMPUTE_PGM_RSRC3_GFX90A:ACCUM_OFFSET: 0
; COMPUTE_PGM_RSRC3_GFX90A:TG_SPLIT: 0
	.section	.text._ZN7rocprim17ROCPRIM_400000_NS6detail17trampoline_kernelINS0_14default_configENS1_37merge_sort_block_sort_config_selectorIlNS0_10empty_typeEEEZNS1_21merge_sort_block_sortIS3_PlS8_PS5_S9_ZN2at6native12_GLOBAL__N_124unique_dim_cuda_templateIjEESt5tupleIJNSA_6TensorESF_SF_EERKSF_lbbbEUlllE_EE10hipError_tT0_T1_T2_T3_mRjT4_P12ihipStream_tbNS1_7vsmem_tEEUlT_E_NS1_11comp_targetILNS1_3genE5ELNS1_11target_archE942ELNS1_3gpuE9ELNS1_3repE0EEENS1_30default_config_static_selectorELNS0_4arch9wavefront6targetE1EEEvSM_,"axG",@progbits,_ZN7rocprim17ROCPRIM_400000_NS6detail17trampoline_kernelINS0_14default_configENS1_37merge_sort_block_sort_config_selectorIlNS0_10empty_typeEEEZNS1_21merge_sort_block_sortIS3_PlS8_PS5_S9_ZN2at6native12_GLOBAL__N_124unique_dim_cuda_templateIjEESt5tupleIJNSA_6TensorESF_SF_EERKSF_lbbbEUlllE_EE10hipError_tT0_T1_T2_T3_mRjT4_P12ihipStream_tbNS1_7vsmem_tEEUlT_E_NS1_11comp_targetILNS1_3genE5ELNS1_11target_archE942ELNS1_3gpuE9ELNS1_3repE0EEENS1_30default_config_static_selectorELNS0_4arch9wavefront6targetE1EEEvSM_,comdat
	.globl	_ZN7rocprim17ROCPRIM_400000_NS6detail17trampoline_kernelINS0_14default_configENS1_37merge_sort_block_sort_config_selectorIlNS0_10empty_typeEEEZNS1_21merge_sort_block_sortIS3_PlS8_PS5_S9_ZN2at6native12_GLOBAL__N_124unique_dim_cuda_templateIjEESt5tupleIJNSA_6TensorESF_SF_EERKSF_lbbbEUlllE_EE10hipError_tT0_T1_T2_T3_mRjT4_P12ihipStream_tbNS1_7vsmem_tEEUlT_E_NS1_11comp_targetILNS1_3genE5ELNS1_11target_archE942ELNS1_3gpuE9ELNS1_3repE0EEENS1_30default_config_static_selectorELNS0_4arch9wavefront6targetE1EEEvSM_ ; -- Begin function _ZN7rocprim17ROCPRIM_400000_NS6detail17trampoline_kernelINS0_14default_configENS1_37merge_sort_block_sort_config_selectorIlNS0_10empty_typeEEEZNS1_21merge_sort_block_sortIS3_PlS8_PS5_S9_ZN2at6native12_GLOBAL__N_124unique_dim_cuda_templateIjEESt5tupleIJNSA_6TensorESF_SF_EERKSF_lbbbEUlllE_EE10hipError_tT0_T1_T2_T3_mRjT4_P12ihipStream_tbNS1_7vsmem_tEEUlT_E_NS1_11comp_targetILNS1_3genE5ELNS1_11target_archE942ELNS1_3gpuE9ELNS1_3repE0EEENS1_30default_config_static_selectorELNS0_4arch9wavefront6targetE1EEEvSM_
	.p2align	8
	.type	_ZN7rocprim17ROCPRIM_400000_NS6detail17trampoline_kernelINS0_14default_configENS1_37merge_sort_block_sort_config_selectorIlNS0_10empty_typeEEEZNS1_21merge_sort_block_sortIS3_PlS8_PS5_S9_ZN2at6native12_GLOBAL__N_124unique_dim_cuda_templateIjEESt5tupleIJNSA_6TensorESF_SF_EERKSF_lbbbEUlllE_EE10hipError_tT0_T1_T2_T3_mRjT4_P12ihipStream_tbNS1_7vsmem_tEEUlT_E_NS1_11comp_targetILNS1_3genE5ELNS1_11target_archE942ELNS1_3gpuE9ELNS1_3repE0EEENS1_30default_config_static_selectorELNS0_4arch9wavefront6targetE1EEEvSM_,@function
_ZN7rocprim17ROCPRIM_400000_NS6detail17trampoline_kernelINS0_14default_configENS1_37merge_sort_block_sort_config_selectorIlNS0_10empty_typeEEEZNS1_21merge_sort_block_sortIS3_PlS8_PS5_S9_ZN2at6native12_GLOBAL__N_124unique_dim_cuda_templateIjEESt5tupleIJNSA_6TensorESF_SF_EERKSF_lbbbEUlllE_EE10hipError_tT0_T1_T2_T3_mRjT4_P12ihipStream_tbNS1_7vsmem_tEEUlT_E_NS1_11comp_targetILNS1_3genE5ELNS1_11target_archE942ELNS1_3gpuE9ELNS1_3repE0EEENS1_30default_config_static_selectorELNS0_4arch9wavefront6targetE1EEEvSM_: ; @_ZN7rocprim17ROCPRIM_400000_NS6detail17trampoline_kernelINS0_14default_configENS1_37merge_sort_block_sort_config_selectorIlNS0_10empty_typeEEEZNS1_21merge_sort_block_sortIS3_PlS8_PS5_S9_ZN2at6native12_GLOBAL__N_124unique_dim_cuda_templateIjEESt5tupleIJNSA_6TensorESF_SF_EERKSF_lbbbEUlllE_EE10hipError_tT0_T1_T2_T3_mRjT4_P12ihipStream_tbNS1_7vsmem_tEEUlT_E_NS1_11comp_targetILNS1_3genE5ELNS1_11target_archE942ELNS1_3gpuE9ELNS1_3repE0EEENS1_30default_config_static_selectorELNS0_4arch9wavefront6targetE1EEEvSM_
; %bb.0:
	.section	.rodata,"a",@progbits
	.p2align	6, 0x0
	.amdhsa_kernel _ZN7rocprim17ROCPRIM_400000_NS6detail17trampoline_kernelINS0_14default_configENS1_37merge_sort_block_sort_config_selectorIlNS0_10empty_typeEEEZNS1_21merge_sort_block_sortIS3_PlS8_PS5_S9_ZN2at6native12_GLOBAL__N_124unique_dim_cuda_templateIjEESt5tupleIJNSA_6TensorESF_SF_EERKSF_lbbbEUlllE_EE10hipError_tT0_T1_T2_T3_mRjT4_P12ihipStream_tbNS1_7vsmem_tEEUlT_E_NS1_11comp_targetILNS1_3genE5ELNS1_11target_archE942ELNS1_3gpuE9ELNS1_3repE0EEENS1_30default_config_static_selectorELNS0_4arch9wavefront6targetE1EEEvSM_
		.amdhsa_group_segment_fixed_size 0
		.amdhsa_private_segment_fixed_size 0
		.amdhsa_kernarg_size 72
		.amdhsa_user_sgpr_count 6
		.amdhsa_user_sgpr_private_segment_buffer 1
		.amdhsa_user_sgpr_dispatch_ptr 0
		.amdhsa_user_sgpr_queue_ptr 0
		.amdhsa_user_sgpr_kernarg_segment_ptr 1
		.amdhsa_user_sgpr_dispatch_id 0
		.amdhsa_user_sgpr_flat_scratch_init 0
		.amdhsa_user_sgpr_kernarg_preload_length 0
		.amdhsa_user_sgpr_kernarg_preload_offset 0
		.amdhsa_user_sgpr_private_segment_size 0
		.amdhsa_uses_dynamic_stack 0
		.amdhsa_system_sgpr_private_segment_wavefront_offset 0
		.amdhsa_system_sgpr_workgroup_id_x 1
		.amdhsa_system_sgpr_workgroup_id_y 0
		.amdhsa_system_sgpr_workgroup_id_z 0
		.amdhsa_system_sgpr_workgroup_info 0
		.amdhsa_system_vgpr_workitem_id 0
		.amdhsa_next_free_vgpr 1
		.amdhsa_next_free_sgpr 0
		.amdhsa_accum_offset 4
		.amdhsa_reserve_vcc 0
		.amdhsa_reserve_flat_scratch 0
		.amdhsa_float_round_mode_32 0
		.amdhsa_float_round_mode_16_64 0
		.amdhsa_float_denorm_mode_32 3
		.amdhsa_float_denorm_mode_16_64 3
		.amdhsa_dx10_clamp 1
		.amdhsa_ieee_mode 1
		.amdhsa_fp16_overflow 0
		.amdhsa_tg_split 0
		.amdhsa_exception_fp_ieee_invalid_op 0
		.amdhsa_exception_fp_denorm_src 0
		.amdhsa_exception_fp_ieee_div_zero 0
		.amdhsa_exception_fp_ieee_overflow 0
		.amdhsa_exception_fp_ieee_underflow 0
		.amdhsa_exception_fp_ieee_inexact 0
		.amdhsa_exception_int_div_zero 0
	.end_amdhsa_kernel
	.section	.text._ZN7rocprim17ROCPRIM_400000_NS6detail17trampoline_kernelINS0_14default_configENS1_37merge_sort_block_sort_config_selectorIlNS0_10empty_typeEEEZNS1_21merge_sort_block_sortIS3_PlS8_PS5_S9_ZN2at6native12_GLOBAL__N_124unique_dim_cuda_templateIjEESt5tupleIJNSA_6TensorESF_SF_EERKSF_lbbbEUlllE_EE10hipError_tT0_T1_T2_T3_mRjT4_P12ihipStream_tbNS1_7vsmem_tEEUlT_E_NS1_11comp_targetILNS1_3genE5ELNS1_11target_archE942ELNS1_3gpuE9ELNS1_3repE0EEENS1_30default_config_static_selectorELNS0_4arch9wavefront6targetE1EEEvSM_,"axG",@progbits,_ZN7rocprim17ROCPRIM_400000_NS6detail17trampoline_kernelINS0_14default_configENS1_37merge_sort_block_sort_config_selectorIlNS0_10empty_typeEEEZNS1_21merge_sort_block_sortIS3_PlS8_PS5_S9_ZN2at6native12_GLOBAL__N_124unique_dim_cuda_templateIjEESt5tupleIJNSA_6TensorESF_SF_EERKSF_lbbbEUlllE_EE10hipError_tT0_T1_T2_T3_mRjT4_P12ihipStream_tbNS1_7vsmem_tEEUlT_E_NS1_11comp_targetILNS1_3genE5ELNS1_11target_archE942ELNS1_3gpuE9ELNS1_3repE0EEENS1_30default_config_static_selectorELNS0_4arch9wavefront6targetE1EEEvSM_,comdat
.Lfunc_end1482:
	.size	_ZN7rocprim17ROCPRIM_400000_NS6detail17trampoline_kernelINS0_14default_configENS1_37merge_sort_block_sort_config_selectorIlNS0_10empty_typeEEEZNS1_21merge_sort_block_sortIS3_PlS8_PS5_S9_ZN2at6native12_GLOBAL__N_124unique_dim_cuda_templateIjEESt5tupleIJNSA_6TensorESF_SF_EERKSF_lbbbEUlllE_EE10hipError_tT0_T1_T2_T3_mRjT4_P12ihipStream_tbNS1_7vsmem_tEEUlT_E_NS1_11comp_targetILNS1_3genE5ELNS1_11target_archE942ELNS1_3gpuE9ELNS1_3repE0EEENS1_30default_config_static_selectorELNS0_4arch9wavefront6targetE1EEEvSM_, .Lfunc_end1482-_ZN7rocprim17ROCPRIM_400000_NS6detail17trampoline_kernelINS0_14default_configENS1_37merge_sort_block_sort_config_selectorIlNS0_10empty_typeEEEZNS1_21merge_sort_block_sortIS3_PlS8_PS5_S9_ZN2at6native12_GLOBAL__N_124unique_dim_cuda_templateIjEESt5tupleIJNSA_6TensorESF_SF_EERKSF_lbbbEUlllE_EE10hipError_tT0_T1_T2_T3_mRjT4_P12ihipStream_tbNS1_7vsmem_tEEUlT_E_NS1_11comp_targetILNS1_3genE5ELNS1_11target_archE942ELNS1_3gpuE9ELNS1_3repE0EEENS1_30default_config_static_selectorELNS0_4arch9wavefront6targetE1EEEvSM_
                                        ; -- End function
	.section	.AMDGPU.csdata,"",@progbits
; Kernel info:
; codeLenInByte = 0
; NumSgprs: 4
; NumVgprs: 0
; NumAgprs: 0
; TotalNumVgprs: 0
; ScratchSize: 0
; MemoryBound: 0
; FloatMode: 240
; IeeeMode: 1
; LDSByteSize: 0 bytes/workgroup (compile time only)
; SGPRBlocks: 0
; VGPRBlocks: 0
; NumSGPRsForWavesPerEU: 4
; NumVGPRsForWavesPerEU: 1
; AccumOffset: 4
; Occupancy: 8
; WaveLimiterHint : 0
; COMPUTE_PGM_RSRC2:SCRATCH_EN: 0
; COMPUTE_PGM_RSRC2:USER_SGPR: 6
; COMPUTE_PGM_RSRC2:TRAP_HANDLER: 0
; COMPUTE_PGM_RSRC2:TGID_X_EN: 1
; COMPUTE_PGM_RSRC2:TGID_Y_EN: 0
; COMPUTE_PGM_RSRC2:TGID_Z_EN: 0
; COMPUTE_PGM_RSRC2:TIDIG_COMP_CNT: 0
; COMPUTE_PGM_RSRC3_GFX90A:ACCUM_OFFSET: 0
; COMPUTE_PGM_RSRC3_GFX90A:TG_SPLIT: 0
	.section	.text._ZN7rocprim17ROCPRIM_400000_NS6detail17trampoline_kernelINS0_14default_configENS1_37merge_sort_block_sort_config_selectorIlNS0_10empty_typeEEEZNS1_21merge_sort_block_sortIS3_PlS8_PS5_S9_ZN2at6native12_GLOBAL__N_124unique_dim_cuda_templateIjEESt5tupleIJNSA_6TensorESF_SF_EERKSF_lbbbEUlllE_EE10hipError_tT0_T1_T2_T3_mRjT4_P12ihipStream_tbNS1_7vsmem_tEEUlT_E_NS1_11comp_targetILNS1_3genE4ELNS1_11target_archE910ELNS1_3gpuE8ELNS1_3repE0EEENS1_30default_config_static_selectorELNS0_4arch9wavefront6targetE1EEEvSM_,"axG",@progbits,_ZN7rocprim17ROCPRIM_400000_NS6detail17trampoline_kernelINS0_14default_configENS1_37merge_sort_block_sort_config_selectorIlNS0_10empty_typeEEEZNS1_21merge_sort_block_sortIS3_PlS8_PS5_S9_ZN2at6native12_GLOBAL__N_124unique_dim_cuda_templateIjEESt5tupleIJNSA_6TensorESF_SF_EERKSF_lbbbEUlllE_EE10hipError_tT0_T1_T2_T3_mRjT4_P12ihipStream_tbNS1_7vsmem_tEEUlT_E_NS1_11comp_targetILNS1_3genE4ELNS1_11target_archE910ELNS1_3gpuE8ELNS1_3repE0EEENS1_30default_config_static_selectorELNS0_4arch9wavefront6targetE1EEEvSM_,comdat
	.globl	_ZN7rocprim17ROCPRIM_400000_NS6detail17trampoline_kernelINS0_14default_configENS1_37merge_sort_block_sort_config_selectorIlNS0_10empty_typeEEEZNS1_21merge_sort_block_sortIS3_PlS8_PS5_S9_ZN2at6native12_GLOBAL__N_124unique_dim_cuda_templateIjEESt5tupleIJNSA_6TensorESF_SF_EERKSF_lbbbEUlllE_EE10hipError_tT0_T1_T2_T3_mRjT4_P12ihipStream_tbNS1_7vsmem_tEEUlT_E_NS1_11comp_targetILNS1_3genE4ELNS1_11target_archE910ELNS1_3gpuE8ELNS1_3repE0EEENS1_30default_config_static_selectorELNS0_4arch9wavefront6targetE1EEEvSM_ ; -- Begin function _ZN7rocprim17ROCPRIM_400000_NS6detail17trampoline_kernelINS0_14default_configENS1_37merge_sort_block_sort_config_selectorIlNS0_10empty_typeEEEZNS1_21merge_sort_block_sortIS3_PlS8_PS5_S9_ZN2at6native12_GLOBAL__N_124unique_dim_cuda_templateIjEESt5tupleIJNSA_6TensorESF_SF_EERKSF_lbbbEUlllE_EE10hipError_tT0_T1_T2_T3_mRjT4_P12ihipStream_tbNS1_7vsmem_tEEUlT_E_NS1_11comp_targetILNS1_3genE4ELNS1_11target_archE910ELNS1_3gpuE8ELNS1_3repE0EEENS1_30default_config_static_selectorELNS0_4arch9wavefront6targetE1EEEvSM_
	.p2align	8
	.type	_ZN7rocprim17ROCPRIM_400000_NS6detail17trampoline_kernelINS0_14default_configENS1_37merge_sort_block_sort_config_selectorIlNS0_10empty_typeEEEZNS1_21merge_sort_block_sortIS3_PlS8_PS5_S9_ZN2at6native12_GLOBAL__N_124unique_dim_cuda_templateIjEESt5tupleIJNSA_6TensorESF_SF_EERKSF_lbbbEUlllE_EE10hipError_tT0_T1_T2_T3_mRjT4_P12ihipStream_tbNS1_7vsmem_tEEUlT_E_NS1_11comp_targetILNS1_3genE4ELNS1_11target_archE910ELNS1_3gpuE8ELNS1_3repE0EEENS1_30default_config_static_selectorELNS0_4arch9wavefront6targetE1EEEvSM_,@function
_ZN7rocprim17ROCPRIM_400000_NS6detail17trampoline_kernelINS0_14default_configENS1_37merge_sort_block_sort_config_selectorIlNS0_10empty_typeEEEZNS1_21merge_sort_block_sortIS3_PlS8_PS5_S9_ZN2at6native12_GLOBAL__N_124unique_dim_cuda_templateIjEESt5tupleIJNSA_6TensorESF_SF_EERKSF_lbbbEUlllE_EE10hipError_tT0_T1_T2_T3_mRjT4_P12ihipStream_tbNS1_7vsmem_tEEUlT_E_NS1_11comp_targetILNS1_3genE4ELNS1_11target_archE910ELNS1_3gpuE8ELNS1_3repE0EEENS1_30default_config_static_selectorELNS0_4arch9wavefront6targetE1EEEvSM_: ; @_ZN7rocprim17ROCPRIM_400000_NS6detail17trampoline_kernelINS0_14default_configENS1_37merge_sort_block_sort_config_selectorIlNS0_10empty_typeEEEZNS1_21merge_sort_block_sortIS3_PlS8_PS5_S9_ZN2at6native12_GLOBAL__N_124unique_dim_cuda_templateIjEESt5tupleIJNSA_6TensorESF_SF_EERKSF_lbbbEUlllE_EE10hipError_tT0_T1_T2_T3_mRjT4_P12ihipStream_tbNS1_7vsmem_tEEUlT_E_NS1_11comp_targetILNS1_3genE4ELNS1_11target_archE910ELNS1_3gpuE8ELNS1_3repE0EEENS1_30default_config_static_selectorELNS0_4arch9wavefront6targetE1EEEvSM_
; %bb.0:
	s_load_dwordx2 s[12:13], s[4:5], 0x48
	s_load_dword s0, s[4:5], 0x0
	s_add_u32 s10, s4, 0x48
	s_addc_u32 s11, s5, 0
	s_waitcnt lgkmcnt(0)
	s_mul_i32 s1, s13, s8
	s_add_i32 s1, s1, s7
	s_mul_i32 s1, s1, s12
	s_add_i32 s14, s1, s6
	s_cmp_ge_u32 s14, s0
	s_cbranch_scc1 .LBB1483_876
; %bb.1:
	s_load_dwordx2 s[22:23], s[4:5], 0x8
	s_load_dwordx4 s[0:3], s[4:5], 0x18
	s_load_dwordx4 s[16:19], s[4:5], 0x38
	s_mov_b32 s15, 0
	s_lshl_b64 s[4:5], s[14:15], 13
	s_waitcnt lgkmcnt(0)
	s_lshr_b64 s[24:25], s[22:23], 10
	s_add_u32 s8, s0, s4
	s_addc_u32 s9, s1, s5
	s_add_u32 s20, s2, s4
	s_addc_u32 s21, s3, s5
	v_and_b32_e32 v12, 0x3ff, v0
	s_cmp_lg_u64 s[24:25], s[14:15]
	v_bfe_u32 v28, v0, 10, 10
	v_bfe_u32 v29, v0, 20, 10
	v_lshlrev_b32_e32 v26, 3, v12
	v_lshrrev_b32_e32 v31, 2, v12
	v_lshlrev_b32_e32 v27, 2, v12
	v_lshrrev_b32_e32 v30, 3, v12
	v_cmp_gt_i64_e64 s[24:25], s[16:17], 0
	s_cbranch_scc0 .LBB1483_8
; %bb.2:
	v_mov_b32_e32 v0, s9
	v_add_co_u32_e32 v4, vcc, s8, v26
	v_addc_co_u32_e32 v5, vcc, 0, v0, vcc
	v_add_co_u32_e32 v4, vcc, 0x1000, v4
	v_addc_co_u32_e32 v5, vcc, 0, v5, vcc
	global_load_dwordx2 v[0:1], v26, s[8:9]
	global_load_dwordx2 v[2:3], v26, s[8:9] offset:2048
	global_load_dwordx2 v[6:7], v[4:5], off
	global_load_dwordx2 v[8:9], v[4:5], off offset:2048
	v_and_b32_e32 v4, 0xf8, v31
	v_add_u32_e32 v5, 0x100, v12
	v_add_u32_e32 v10, 0x200, v12
	;; [unrolled: 1-line block ×4, first 2 shown]
	v_lshrrev_b32_e32 v4, 2, v5
	v_lshrrev_b32_e32 v5, 2, v10
	;; [unrolled: 1-line block ×3, first 2 shown]
	v_add_lshl_u32 v33, v30, v27, 3
	v_and_b32_e32 v4, 0x1f8, v4
	v_and_b32_e32 v5, 0x1f8, v5
	;; [unrolled: 1-line block ×3, first 2 shown]
	v_add_u32_e32 v34, v4, v26
	v_add_u32_e32 v35, v5, v26
	;; [unrolled: 1-line block ×3, first 2 shown]
	v_mov_b32_e32 v13, 0
	s_waitcnt vmcnt(3)
	ds_write_b64 v32, v[0:1]
	s_waitcnt vmcnt(2)
	ds_write_b64 v34, v[2:3] offset:2048
	s_waitcnt vmcnt(1)
	ds_write_b64 v35, v[6:7] offset:4096
	;; [unrolled: 2-line block ×3, first 2 shown]
	s_waitcnt lgkmcnt(0)
	s_barrier
	ds_read2_b64 v[8:11], v33 offset1:1
	ds_read2_b64 v[4:7], v33 offset0:2 offset1:3
	s_waitcnt lgkmcnt(0)
	s_barrier
	s_load_dword s0, s[10:11], 0xc
	v_mov_b32_e32 v0, v8
	v_mov_b32_e32 v1, v9
	v_mov_b32_e32 v2, v10
	v_mov_b32_e32 v3, v11
	s_waitcnt lgkmcnt(0)
	s_lshr_b32 s2, s0, 16
	s_cmp_lt_u32 s6, s12
	s_cselect_b32 s0, 12, 18
	s_add_u32 s0, s10, s0
	s_addc_u32 s1, s11, 0
	global_load_ushort v14, v13, s[0:1]
	v_mad_u32_u24 v15, v29, s2, v28
	s_movk_i32 s0, 0x400
	s_waitcnt vmcnt(0)
	v_mul_lo_u32 v14, v15, v14
	v_add_lshl_u32 v37, v14, v12, 2
	v_cmp_gt_u32_e32 vcc, s0, v37
	s_and_saveexec_b64 s[26:27], vcc
	s_cbranch_execz .LBB1483_62
; %bb.3:
	v_cndmask_b32_e64 v14, 0, 1, s[24:25]
	v_cmp_ne_u32_e64 s[0:1], 1, v14
	s_andn2_b64 vcc, exec, s[24:25]
	s_cbranch_vccnz .LBB1483_14
; %bb.4:
	v_mul_lo_u32 v16, v11, s16
	v_mul_lo_u32 v17, v10, s17
	v_mad_u64_u32 v[14:15], s[2:3], v10, s16, 0
	v_add3_u32 v15, v15, v17, v16
	v_lshlrev_b64 v[14:15], 2, v[14:15]
	v_mov_b32_e32 v16, s19
	v_add_co_u32_e32 v14, vcc, s18, v14
	v_addc_co_u32_e32 v15, vcc, v16, v15, vcc
	v_mul_lo_u32 v18, v9, s16
	v_mul_lo_u32 v19, v8, s17
	v_mad_u64_u32 v[16:17], s[2:3], v8, s16, 0
	v_add3_u32 v17, v17, v19, v18
	v_lshlrev_b64 v[16:17], 2, v[16:17]
	v_mov_b32_e32 v18, s19
	v_add_co_u32_e32 v16, vcc, s18, v16
	v_addc_co_u32_e32 v17, vcc, v18, v17, vcc
	s_mov_b64 s[34:35], 0
	s_mov_b64 s[42:43], s[16:17]
                                        ; implicit-def: $sgpr28_sgpr29
                                        ; implicit-def: $sgpr30_sgpr31
                                        ; implicit-def: $sgpr38_sgpr39
                                        ; implicit-def: $sgpr36_sgpr37
                                        ; implicit-def: $sgpr40_sgpr41
                                        ; implicit-def: $sgpr44_sgpr45
	s_branch .LBB1483_6
.LBB1483_5:                             ;   in Loop: Header=BB1483_6 Depth=1
	s_or_b64 exec, exec, s[46:47]
	s_and_b64 s[4:5], exec, s[38:39]
	s_or_b64 s[34:35], s[4:5], s[34:35]
	s_andn2_b64 s[4:5], s[44:45], exec
	s_and_b64 s[44:45], s[40:41], exec
	s_or_b64 s[44:45], s[4:5], s[44:45]
	s_andn2_b64 s[4:5], s[30:31], exec
	s_and_b64 s[30:31], s[36:37], exec
	;; [unrolled: 3-line block ×3, first 2 shown]
	s_or_b64 s[28:29], s[4:5], s[2:3]
	s_andn2_b64 exec, exec, s[34:35]
	s_cbranch_execz .LBB1483_9
.LBB1483_6:                             ; =>This Inner Loop Header: Depth=1
	global_load_dword v18, v[14:15], off
	global_load_dword v19, v[16:17], off
	s_andn2_b64 s[40:41], s[40:41], exec
	s_or_b64 s[36:37], s[36:37], exec
	s_or_b64 s[38:39], s[38:39], exec
	s_waitcnt vmcnt(0)
	v_cmp_le_u32_e64 s[2:3], v18, v19
	v_cmp_lt_u32_e32 vcc, v18, v19
	s_and_b64 s[2:3], s[2:3], s[44:45]
	v_cmp_eq_u32_e64 s[4:5], v18, v19
	s_or_b64 s[2:3], vcc, s[2:3]
	s_and_saveexec_b64 s[46:47], s[4:5]
	s_cbranch_execz .LBB1483_5
; %bb.7:                                ;   in Loop: Header=BB1483_6 Depth=1
	s_add_u32 s42, s42, -1
	s_addc_u32 s43, s43, -1
	v_add_co_u32_e32 v14, vcc, 4, v14
	s_cmp_eq_u64 s[42:43], 0
	v_addc_co_u32_e32 v15, vcc, 0, v15, vcc
	s_cselect_b64 s[4:5], -1, 0
	v_add_co_u32_e32 v16, vcc, 4, v16
	s_andn2_b64 s[40:41], s[40:41], exec
	s_and_b64 s[44:45], s[2:3], exec
	s_andn2_b64 s[38:39], s[38:39], exec
	s_and_b64 s[4:5], s[4:5], exec
	v_addc_co_u32_e32 v17, vcc, 0, v17, vcc
	s_or_b64 s[40:41], s[40:41], s[44:45]
	s_andn2_b64 s[36:37], s[36:37], exec
	s_or_b64 s[38:39], s[38:39], s[4:5]
                                        ; implicit-def: $sgpr44_sgpr45
	s_branch .LBB1483_5
.LBB1483_8:
	s_mov_b64 s[24:25], 0
                                        ; implicit-def: $vgpr0_vgpr1
	s_cbranch_execnz .LBB1483_519
	s_branch .LBB1483_874
.LBB1483_9:
	s_or_b64 exec, exec, s[34:35]
	s_and_saveexec_b64 s[2:3], s[30:31]
	s_xor_b64 s[2:3], exec, s[2:3]
	s_cbranch_execz .LBB1483_13
; %bb.10:
	v_pk_mov_b32 v[14:15], v[10:11], v[10:11] op_sel:[0,1]
	s_and_saveexec_b64 s[4:5], s[28:29]
; %bb.11:
	v_mov_b32_e32 v0, v10
	v_mov_b32_e32 v1, v11
	;; [unrolled: 1-line block ×4, first 2 shown]
	v_pk_mov_b32 v[14:15], v[8:9], v[8:9] op_sel:[0,1]
	v_pk_mov_b32 v[8:9], v[10:11], v[10:11] op_sel:[0,1]
; %bb.12:
	s_or_b64 exec, exec, s[4:5]
	v_pk_mov_b32 v[10:11], v[14:15], v[14:15] op_sel:[0,1]
.LBB1483_13:
	s_or_b64 exec, exec, s[2:3]
.LBB1483_14:
	v_mul_lo_u32 v20, v5, s16
	v_mul_lo_u32 v21, v4, s17
	v_mad_u64_u32 v[18:19], s[2:3], v4, s16, 0
	v_mov_b32_e32 v16, v6
	v_mov_b32_e32 v17, v7
	;; [unrolled: 1-line block ×4, first 2 shown]
	s_and_b64 vcc, exec, s[0:1]
	v_add3_u32 v19, v19, v21, v20
	s_cbranch_vccnz .LBB1483_24
; %bb.15:
	v_mul_lo_u32 v22, v7, s16
	v_mul_lo_u32 v23, v6, s17
	v_mad_u64_u32 v[20:21], s[2:3], v6, s16, 0
	v_add3_u32 v21, v21, v23, v22
	v_lshlrev_b64 v[22:23], 2, v[20:21]
	v_mov_b32_e32 v24, s19
	v_add_co_u32_e32 v22, vcc, s18, v22
	v_addc_co_u32_e32 v23, vcc, v24, v23, vcc
	v_lshlrev_b64 v[24:25], 2, v[18:19]
	v_mov_b32_e32 v38, s19
	v_add_co_u32_e32 v24, vcc, s18, v24
	v_addc_co_u32_e32 v25, vcc, v38, v25, vcc
	s_mov_b64 s[34:35], 0
	s_mov_b64 s[42:43], s[16:17]
                                        ; implicit-def: $sgpr28_sgpr29
                                        ; implicit-def: $sgpr30_sgpr31
                                        ; implicit-def: $sgpr38_sgpr39
                                        ; implicit-def: $sgpr36_sgpr37
                                        ; implicit-def: $sgpr40_sgpr41
                                        ; implicit-def: $sgpr44_sgpr45
	s_branch .LBB1483_17
.LBB1483_16:                            ;   in Loop: Header=BB1483_17 Depth=1
	s_or_b64 exec, exec, s[46:47]
	s_and_b64 s[4:5], exec, s[38:39]
	s_or_b64 s[34:35], s[4:5], s[34:35]
	s_andn2_b64 s[4:5], s[44:45], exec
	s_and_b64 s[44:45], s[40:41], exec
	s_or_b64 s[44:45], s[4:5], s[44:45]
	s_andn2_b64 s[4:5], s[30:31], exec
	s_and_b64 s[30:31], s[36:37], exec
	;; [unrolled: 3-line block ×3, first 2 shown]
	s_or_b64 s[28:29], s[4:5], s[2:3]
	s_andn2_b64 exec, exec, s[34:35]
	s_cbranch_execz .LBB1483_19
.LBB1483_17:                            ; =>This Inner Loop Header: Depth=1
	global_load_dword v38, v[22:23], off
	global_load_dword v39, v[24:25], off
	s_andn2_b64 s[40:41], s[40:41], exec
	s_or_b64 s[36:37], s[36:37], exec
	s_or_b64 s[38:39], s[38:39], exec
	s_waitcnt vmcnt(0)
	v_cmp_le_u32_e64 s[2:3], v38, v39
	v_cmp_lt_u32_e32 vcc, v38, v39
	s_and_b64 s[2:3], s[2:3], s[44:45]
	v_cmp_eq_u32_e64 s[4:5], v38, v39
	s_or_b64 s[2:3], vcc, s[2:3]
	s_and_saveexec_b64 s[46:47], s[4:5]
	s_cbranch_execz .LBB1483_16
; %bb.18:                               ;   in Loop: Header=BB1483_17 Depth=1
	s_add_u32 s42, s42, -1
	s_addc_u32 s43, s43, -1
	v_add_co_u32_e32 v22, vcc, 4, v22
	s_cmp_eq_u64 s[42:43], 0
	v_addc_co_u32_e32 v23, vcc, 0, v23, vcc
	s_cselect_b64 s[4:5], -1, 0
	v_add_co_u32_e32 v24, vcc, 4, v24
	s_andn2_b64 s[40:41], s[40:41], exec
	s_and_b64 s[44:45], s[2:3], exec
	s_andn2_b64 s[38:39], s[38:39], exec
	s_and_b64 s[4:5], s[4:5], exec
	v_addc_co_u32_e32 v25, vcc, 0, v25, vcc
	s_or_b64 s[40:41], s[40:41], s[44:45]
	s_andn2_b64 s[36:37], s[36:37], exec
	s_or_b64 s[38:39], s[38:39], s[4:5]
                                        ; implicit-def: $sgpr44_sgpr45
	s_branch .LBB1483_16
.LBB1483_19:
	s_or_b64 exec, exec, s[34:35]
	s_and_saveexec_b64 s[2:3], s[30:31]
	s_xor_b64 s[2:3], exec, s[2:3]
	s_cbranch_execz .LBB1483_23
; %bb.20:
	s_and_saveexec_b64 s[4:5], s[28:29]
	s_cbranch_execz .LBB1483_22
; %bb.21:
	v_mov_b32_e32 v38, v0
	v_mov_b32_e32 v39, v1
	;; [unrolled: 1-line block ×8, first 2 shown]
	v_pk_mov_b32 v[22:23], v[16:17], v[16:17] op_sel:[0,1]
	v_pk_mov_b32 v[0:1], v[38:39], v[38:39] op_sel:[0,1]
	;; [unrolled: 1-line block ×8, first 2 shown]
.LBB1483_22:
	s_or_b64 exec, exec, s[4:5]
.LBB1483_23:
	s_or_b64 exec, exec, s[2:3]
.LBB1483_24:
	v_mul_lo_u32 v22, v11, s16
	v_mul_lo_u32 v23, v10, s17
	v_mad_u64_u32 v[20:21], s[2:3], v10, s16, 0
	s_and_b64 vcc, exec, s[0:1]
	v_add3_u32 v21, v21, v23, v22
	s_cbranch_vccnz .LBB1483_34
; %bb.25:
	v_lshlrev_b64 v[22:23], 2, v[18:19]
	v_mov_b32_e32 v24, s19
	v_add_co_u32_e32 v22, vcc, s18, v22
	v_addc_co_u32_e32 v23, vcc, v24, v23, vcc
	v_lshlrev_b64 v[24:25], 2, v[20:21]
	v_mov_b32_e32 v38, s19
	v_add_co_u32_e32 v24, vcc, s18, v24
	v_addc_co_u32_e32 v25, vcc, v38, v25, vcc
	s_mov_b64 s[34:35], 0
	s_mov_b64 s[42:43], s[16:17]
                                        ; implicit-def: $sgpr28_sgpr29
                                        ; implicit-def: $sgpr30_sgpr31
                                        ; implicit-def: $sgpr38_sgpr39
                                        ; implicit-def: $sgpr36_sgpr37
                                        ; implicit-def: $sgpr40_sgpr41
                                        ; implicit-def: $sgpr44_sgpr45
	s_branch .LBB1483_27
.LBB1483_26:                            ;   in Loop: Header=BB1483_27 Depth=1
	s_or_b64 exec, exec, s[46:47]
	s_and_b64 s[4:5], exec, s[38:39]
	s_or_b64 s[34:35], s[4:5], s[34:35]
	s_andn2_b64 s[4:5], s[44:45], exec
	s_and_b64 s[44:45], s[40:41], exec
	s_or_b64 s[44:45], s[4:5], s[44:45]
	s_andn2_b64 s[4:5], s[30:31], exec
	s_and_b64 s[30:31], s[36:37], exec
	;; [unrolled: 3-line block ×3, first 2 shown]
	s_or_b64 s[28:29], s[4:5], s[2:3]
	s_andn2_b64 exec, exec, s[34:35]
	s_cbranch_execz .LBB1483_29
.LBB1483_27:                            ; =>This Inner Loop Header: Depth=1
	global_load_dword v38, v[22:23], off
	global_load_dword v39, v[24:25], off
	s_andn2_b64 s[40:41], s[40:41], exec
	s_or_b64 s[36:37], s[36:37], exec
	s_or_b64 s[38:39], s[38:39], exec
	s_waitcnt vmcnt(0)
	v_cmp_le_u32_e64 s[2:3], v38, v39
	v_cmp_lt_u32_e32 vcc, v38, v39
	s_and_b64 s[2:3], s[2:3], s[44:45]
	v_cmp_eq_u32_e64 s[4:5], v38, v39
	s_or_b64 s[2:3], vcc, s[2:3]
	s_and_saveexec_b64 s[46:47], s[4:5]
	s_cbranch_execz .LBB1483_26
; %bb.28:                               ;   in Loop: Header=BB1483_27 Depth=1
	s_add_u32 s42, s42, -1
	s_addc_u32 s43, s43, -1
	v_add_co_u32_e32 v22, vcc, 4, v22
	s_cmp_eq_u64 s[42:43], 0
	v_addc_co_u32_e32 v23, vcc, 0, v23, vcc
	s_cselect_b64 s[4:5], -1, 0
	v_add_co_u32_e32 v24, vcc, 4, v24
	s_andn2_b64 s[40:41], s[40:41], exec
	s_and_b64 s[44:45], s[2:3], exec
	s_andn2_b64 s[38:39], s[38:39], exec
	s_and_b64 s[4:5], s[4:5], exec
	v_addc_co_u32_e32 v25, vcc, 0, v25, vcc
	s_or_b64 s[40:41], s[40:41], s[44:45]
	s_andn2_b64 s[36:37], s[36:37], exec
	s_or_b64 s[38:39], s[38:39], s[4:5]
                                        ; implicit-def: $sgpr44_sgpr45
	s_branch .LBB1483_26
.LBB1483_29:
	s_or_b64 exec, exec, s[34:35]
	s_and_saveexec_b64 s[2:3], s[30:31]
	s_xor_b64 s[2:3], exec, s[2:3]
	s_cbranch_execz .LBB1483_33
; %bb.30:
	v_pk_mov_b32 v[22:23], v[10:11], v[10:11] op_sel:[0,1]
	s_and_saveexec_b64 s[4:5], s[28:29]
; %bb.31:
	v_mov_b32_e32 v2, v14
	v_mov_b32_e32 v3, v15
	;; [unrolled: 1-line block ×4, first 2 shown]
	v_pk_mov_b32 v[22:23], v[14:15], v[14:15] op_sel:[0,1]
	v_pk_mov_b32 v[14:15], v[10:11], v[10:11] op_sel:[0,1]
	;; [unrolled: 1-line block ×3, first 2 shown]
; %bb.32:
	s_or_b64 exec, exec, s[4:5]
	v_pk_mov_b32 v[10:11], v[22:23], v[22:23] op_sel:[0,1]
.LBB1483_33:
	s_or_b64 exec, exec, s[2:3]
.LBB1483_34:
	s_and_b64 vcc, exec, s[0:1]
	s_cbranch_vccnz .LBB1483_44
; %bb.35:
	v_lshlrev_b64 v[18:19], 2, v[20:21]
	v_mov_b32_e32 v20, s19
	v_add_co_u32_e32 v18, vcc, s18, v18
	v_addc_co_u32_e32 v19, vcc, v20, v19, vcc
	v_mul_lo_u32 v22, v9, s16
	v_mul_lo_u32 v23, v8, s17
	v_mad_u64_u32 v[20:21], s[2:3], v8, s16, 0
	v_add3_u32 v21, v21, v23, v22
	v_lshlrev_b64 v[20:21], 2, v[20:21]
	v_mov_b32_e32 v22, s19
	v_add_co_u32_e32 v20, vcc, s18, v20
	v_addc_co_u32_e32 v21, vcc, v22, v21, vcc
	s_mov_b64 s[34:35], 0
	s_mov_b64 s[42:43], s[16:17]
                                        ; implicit-def: $sgpr28_sgpr29
                                        ; implicit-def: $sgpr30_sgpr31
                                        ; implicit-def: $sgpr38_sgpr39
                                        ; implicit-def: $sgpr36_sgpr37
                                        ; implicit-def: $sgpr40_sgpr41
                                        ; implicit-def: $sgpr44_sgpr45
	s_branch .LBB1483_37
.LBB1483_36:                            ;   in Loop: Header=BB1483_37 Depth=1
	s_or_b64 exec, exec, s[46:47]
	s_and_b64 s[4:5], exec, s[38:39]
	s_or_b64 s[34:35], s[4:5], s[34:35]
	s_andn2_b64 s[4:5], s[44:45], exec
	s_and_b64 s[44:45], s[40:41], exec
	s_or_b64 s[44:45], s[4:5], s[44:45]
	s_andn2_b64 s[4:5], s[30:31], exec
	s_and_b64 s[30:31], s[36:37], exec
	;; [unrolled: 3-line block ×3, first 2 shown]
	s_or_b64 s[28:29], s[4:5], s[2:3]
	s_andn2_b64 exec, exec, s[34:35]
	s_cbranch_execz .LBB1483_39
.LBB1483_37:                            ; =>This Inner Loop Header: Depth=1
	global_load_dword v22, v[18:19], off
	global_load_dword v23, v[20:21], off
	s_andn2_b64 s[40:41], s[40:41], exec
	s_or_b64 s[36:37], s[36:37], exec
	s_or_b64 s[38:39], s[38:39], exec
	s_waitcnt vmcnt(0)
	v_cmp_le_u32_e64 s[2:3], v22, v23
	v_cmp_lt_u32_e32 vcc, v22, v23
	s_and_b64 s[2:3], s[2:3], s[44:45]
	v_cmp_eq_u32_e64 s[4:5], v22, v23
	s_or_b64 s[2:3], vcc, s[2:3]
	s_and_saveexec_b64 s[46:47], s[4:5]
	s_cbranch_execz .LBB1483_36
; %bb.38:                               ;   in Loop: Header=BB1483_37 Depth=1
	s_add_u32 s42, s42, -1
	s_addc_u32 s43, s43, -1
	v_add_co_u32_e32 v18, vcc, 4, v18
	s_cmp_eq_u64 s[42:43], 0
	v_addc_co_u32_e32 v19, vcc, 0, v19, vcc
	s_cselect_b64 s[4:5], -1, 0
	v_add_co_u32_e32 v20, vcc, 4, v20
	s_andn2_b64 s[40:41], s[40:41], exec
	s_and_b64 s[44:45], s[2:3], exec
	s_andn2_b64 s[38:39], s[38:39], exec
	s_and_b64 s[4:5], s[4:5], exec
	v_addc_co_u32_e32 v21, vcc, 0, v21, vcc
	s_or_b64 s[40:41], s[40:41], s[44:45]
	s_andn2_b64 s[36:37], s[36:37], exec
	s_or_b64 s[38:39], s[38:39], s[4:5]
                                        ; implicit-def: $sgpr44_sgpr45
	s_branch .LBB1483_36
.LBB1483_39:
	s_or_b64 exec, exec, s[34:35]
	s_and_saveexec_b64 s[2:3], s[30:31]
	s_xor_b64 s[2:3], exec, s[2:3]
	s_cbranch_execz .LBB1483_43
; %bb.40:
	v_pk_mov_b32 v[18:19], v[10:11], v[10:11] op_sel:[0,1]
	s_and_saveexec_b64 s[4:5], s[28:29]
; %bb.41:
	v_mov_b32_e32 v0, v10
	v_mov_b32_e32 v1, v11
	;; [unrolled: 1-line block ×4, first 2 shown]
	v_pk_mov_b32 v[18:19], v[8:9], v[8:9] op_sel:[0,1]
	v_pk_mov_b32 v[8:9], v[10:11], v[10:11] op_sel:[0,1]
; %bb.42:
	s_or_b64 exec, exec, s[4:5]
	v_pk_mov_b32 v[10:11], v[18:19], v[18:19] op_sel:[0,1]
.LBB1483_43:
	s_or_b64 exec, exec, s[2:3]
.LBB1483_44:
	v_mul_lo_u32 v20, v15, s16
	v_mul_lo_u32 v21, v14, s17
	v_mad_u64_u32 v[18:19], s[2:3], v14, s16, 0
	s_and_b64 vcc, exec, s[0:1]
	v_add3_u32 v19, v19, v21, v20
	s_cbranch_vccnz .LBB1483_54
; %bb.45:
	v_mul_lo_u32 v22, v17, s16
	v_mul_lo_u32 v23, v16, s17
	v_mad_u64_u32 v[20:21], s[2:3], v16, s16, 0
	v_add3_u32 v21, v21, v23, v22
	v_lshlrev_b64 v[22:23], 2, v[20:21]
	v_mov_b32_e32 v24, s19
	v_add_co_u32_e32 v22, vcc, s18, v22
	v_addc_co_u32_e32 v23, vcc, v24, v23, vcc
	v_lshlrev_b64 v[24:25], 2, v[18:19]
	v_mov_b32_e32 v38, s19
	v_add_co_u32_e32 v24, vcc, s18, v24
	v_addc_co_u32_e32 v25, vcc, v38, v25, vcc
	s_mov_b64 s[34:35], 0
	s_mov_b64 s[42:43], s[16:17]
                                        ; implicit-def: $sgpr28_sgpr29
                                        ; implicit-def: $sgpr30_sgpr31
                                        ; implicit-def: $sgpr38_sgpr39
                                        ; implicit-def: $sgpr36_sgpr37
                                        ; implicit-def: $sgpr40_sgpr41
                                        ; implicit-def: $sgpr44_sgpr45
	s_branch .LBB1483_47
.LBB1483_46:                            ;   in Loop: Header=BB1483_47 Depth=1
	s_or_b64 exec, exec, s[46:47]
	s_and_b64 s[4:5], exec, s[38:39]
	s_or_b64 s[34:35], s[4:5], s[34:35]
	s_andn2_b64 s[4:5], s[44:45], exec
	s_and_b64 s[44:45], s[40:41], exec
	s_or_b64 s[44:45], s[4:5], s[44:45]
	s_andn2_b64 s[4:5], s[30:31], exec
	s_and_b64 s[30:31], s[36:37], exec
	;; [unrolled: 3-line block ×3, first 2 shown]
	s_or_b64 s[28:29], s[4:5], s[2:3]
	s_andn2_b64 exec, exec, s[34:35]
	s_cbranch_execz .LBB1483_49
.LBB1483_47:                            ; =>This Inner Loop Header: Depth=1
	global_load_dword v38, v[22:23], off
	global_load_dword v39, v[24:25], off
	s_andn2_b64 s[40:41], s[40:41], exec
	s_or_b64 s[36:37], s[36:37], exec
	s_or_b64 s[38:39], s[38:39], exec
	s_waitcnt vmcnt(0)
	v_cmp_le_u32_e64 s[2:3], v38, v39
	v_cmp_lt_u32_e32 vcc, v38, v39
	s_and_b64 s[2:3], s[2:3], s[44:45]
	v_cmp_eq_u32_e64 s[4:5], v38, v39
	s_or_b64 s[2:3], vcc, s[2:3]
	s_and_saveexec_b64 s[46:47], s[4:5]
	s_cbranch_execz .LBB1483_46
; %bb.48:                               ;   in Loop: Header=BB1483_47 Depth=1
	s_add_u32 s42, s42, -1
	s_addc_u32 s43, s43, -1
	v_add_co_u32_e32 v22, vcc, 4, v22
	s_cmp_eq_u64 s[42:43], 0
	v_addc_co_u32_e32 v23, vcc, 0, v23, vcc
	s_cselect_b64 s[4:5], -1, 0
	v_add_co_u32_e32 v24, vcc, 4, v24
	s_andn2_b64 s[40:41], s[40:41], exec
	s_and_b64 s[44:45], s[2:3], exec
	s_andn2_b64 s[38:39], s[38:39], exec
	s_and_b64 s[4:5], s[4:5], exec
	v_addc_co_u32_e32 v25, vcc, 0, v25, vcc
	s_or_b64 s[40:41], s[40:41], s[44:45]
	s_andn2_b64 s[36:37], s[36:37], exec
	s_or_b64 s[38:39], s[38:39], s[4:5]
                                        ; implicit-def: $sgpr44_sgpr45
	s_branch .LBB1483_46
.LBB1483_49:
	s_or_b64 exec, exec, s[34:35]
	s_and_saveexec_b64 s[2:3], s[30:31]
	s_xor_b64 s[2:3], exec, s[2:3]
	s_cbranch_execz .LBB1483_53
; %bb.50:
	s_and_saveexec_b64 s[4:5], s[28:29]
; %bb.51:
	v_mov_b32_e32 v4, v16
	v_mov_b32_e32 v5, v17
	;; [unrolled: 1-line block ×4, first 2 shown]
	v_pk_mov_b32 v[14:15], v[16:17], v[16:17] op_sel:[0,1]
	v_pk_mov_b32 v[18:19], v[20:21], v[20:21] op_sel:[0,1]
; %bb.52:
	s_or_b64 exec, exec, s[4:5]
.LBB1483_53:
	s_or_b64 exec, exec, s[2:3]
.LBB1483_54:
	s_and_b64 vcc, exec, s[0:1]
	s_cbranch_vccnz .LBB1483_62
; %bb.55:
	v_lshlrev_b64 v[16:17], 2, v[18:19]
	v_mov_b32_e32 v18, s19
	v_add_co_u32_e32 v16, vcc, s18, v16
	v_addc_co_u32_e32 v17, vcc, v18, v17, vcc
	v_mul_lo_u32 v20, v11, s16
	v_mul_lo_u32 v21, v10, s17
	v_mad_u64_u32 v[18:19], s[0:1], v10, s16, 0
	v_add3_u32 v19, v19, v21, v20
	v_lshlrev_b64 v[18:19], 2, v[18:19]
	v_mov_b32_e32 v20, s19
	v_add_co_u32_e32 v18, vcc, s18, v18
	v_addc_co_u32_e32 v19, vcc, v20, v19, vcc
	s_mov_b64 s[28:29], 0
	s_mov_b64 s[40:41], s[16:17]
                                        ; implicit-def: $sgpr4_sgpr5
                                        ; implicit-def: $sgpr30_sgpr31
                                        ; implicit-def: $sgpr36_sgpr37
                                        ; implicit-def: $sgpr34_sgpr35
                                        ; implicit-def: $sgpr38_sgpr39
                                        ; implicit-def: $sgpr42_sgpr43
	s_branch .LBB1483_57
.LBB1483_56:                            ;   in Loop: Header=BB1483_57 Depth=1
	s_or_b64 exec, exec, s[44:45]
	s_and_b64 s[2:3], exec, s[36:37]
	s_or_b64 s[28:29], s[2:3], s[28:29]
	s_andn2_b64 s[2:3], s[42:43], exec
	s_and_b64 s[42:43], s[38:39], exec
	s_or_b64 s[42:43], s[2:3], s[42:43]
	s_andn2_b64 s[2:3], s[30:31], exec
	s_and_b64 s[30:31], s[34:35], exec
	;; [unrolled: 3-line block ×3, first 2 shown]
	s_or_b64 s[4:5], s[2:3], s[0:1]
	s_andn2_b64 exec, exec, s[28:29]
	s_cbranch_execz .LBB1483_59
.LBB1483_57:                            ; =>This Inner Loop Header: Depth=1
	global_load_dword v20, v[16:17], off
	global_load_dword v21, v[18:19], off
	s_andn2_b64 s[38:39], s[38:39], exec
	s_or_b64 s[34:35], s[34:35], exec
	s_or_b64 s[36:37], s[36:37], exec
	s_waitcnt vmcnt(0)
	v_cmp_le_u32_e64 s[0:1], v20, v21
	v_cmp_lt_u32_e32 vcc, v20, v21
	s_and_b64 s[0:1], s[0:1], s[42:43]
	v_cmp_eq_u32_e64 s[2:3], v20, v21
	s_or_b64 s[0:1], vcc, s[0:1]
	s_and_saveexec_b64 s[44:45], s[2:3]
	s_cbranch_execz .LBB1483_56
; %bb.58:                               ;   in Loop: Header=BB1483_57 Depth=1
	s_add_u32 s40, s40, -1
	s_addc_u32 s41, s41, -1
	v_add_co_u32_e32 v16, vcc, 4, v16
	s_cmp_eq_u64 s[40:41], 0
	v_addc_co_u32_e32 v17, vcc, 0, v17, vcc
	s_cselect_b64 s[2:3], -1, 0
	v_add_co_u32_e32 v18, vcc, 4, v18
	s_andn2_b64 s[38:39], s[38:39], exec
	s_and_b64 s[42:43], s[0:1], exec
	s_andn2_b64 s[36:37], s[36:37], exec
	s_and_b64 s[2:3], s[2:3], exec
	v_addc_co_u32_e32 v19, vcc, 0, v19, vcc
	s_or_b64 s[38:39], s[38:39], s[42:43]
	s_andn2_b64 s[34:35], s[34:35], exec
	s_or_b64 s[36:37], s[36:37], s[2:3]
                                        ; implicit-def: $sgpr42_sgpr43
	s_branch .LBB1483_56
.LBB1483_59:
	s_or_b64 exec, exec, s[28:29]
	s_and_saveexec_b64 s[0:1], s[30:31]
	s_xor_b64 s[0:1], exec, s[0:1]
; %bb.60:
	v_cndmask_b32_e64 v5, v5, v11, s[4:5]
	v_cndmask_b32_e64 v4, v4, v10, s[4:5]
	;; [unrolled: 1-line block ×4, first 2 shown]
; %bb.61:
	s_or_b64 exec, exec, s[0:1]
.LBB1483_62:
	s_or_b64 exec, exec, s[26:27]
	v_mbcnt_lo_u32_b32 v10, -1, 0
	v_and_b32_e32 v11, 0xffffff00, v37
	v_mbcnt_hi_u32_b32 v10, -1, v10
	s_movk_i32 s0, 0x400
	v_lshlrev_b32_e32 v16, 3, v11
	v_sub_u32_e64 v17, s0, v11 clamp
	v_lshlrev_b32_e32 v18, 2, v10
	v_lshl_add_u32 v19, v10, 5, v16
	v_mov_b32_e32 v10, v2
	v_mov_b32_e32 v11, v3
	ds_write_b128 v19, v[8:11]
	ds_write_b128 v19, v[4:7] offset:16
	v_or_b32_e32 v8, 4, v18
	v_min_u32_e32 v14, v17, v8
	v_add_u32_e32 v8, 4, v14
	v_and_b32_e32 v22, 0x1f8, v18
	v_min_u32_e32 v15, v17, v8
	v_and_b32_e32 v8, 4, v18
	v_min_u32_e32 v23, v17, v8
	v_sub_u32_e32 v8, v14, v22
	v_sub_u32_e32 v9, v15, v14
	v_sub_u32_e64 v21, v23, v9 clamp
	v_min_u32_e32 v24, v23, v8
	v_lshl_add_u32 v20, v22, 3, v16
	v_cmp_lt_u32_e32 vcc, v21, v24
	; wave barrier
	s_and_saveexec_b64 s[26:27], vcc
	s_cbranch_execz .LBB1483_72
; %bb.63:
	v_lshlrev_b32_e32 v8, 3, v14
	v_lshlrev_b32_e32 v9, 3, v23
	v_add3_u32 v25, v16, v8, v9
	v_cndmask_b32_e64 v8, 0, 1, s[24:25]
	s_lshl_b64 s[30:31], s[16:17], 2
	s_mov_b64 s[28:29], 0
	v_cmp_ne_u32_e64 s[0:1], 1, v8
	s_branch .LBB1483_66
.LBB1483_64:                            ;   in Loop: Header=BB1483_66 Depth=1
	s_or_b64 exec, exec, s[36:37]
.LBB1483_65:                            ;   in Loop: Header=BB1483_66 Depth=1
	v_add_u32_e32 v8, 1, v37
	v_cndmask_b32_e64 v24, v24, v37, s[34:35]
	v_cndmask_b32_e64 v21, v8, v21, s[34:35]
	v_cmp_ge_u32_e32 vcc, v21, v24
	s_or_b64 s[28:29], vcc, s[28:29]
	s_andn2_b64 exec, exec, s[28:29]
	s_cbranch_execz .LBB1483_71
.LBB1483_66:                            ; =>This Loop Header: Depth=1
                                        ;     Child Loop BB1483_69 Depth 2
	v_add_u32_e32 v8, v24, v21
	v_lshrrev_b32_e32 v37, 1, v8
	s_and_b64 vcc, exec, s[0:1]
	s_mov_b64 s[34:35], 0
	s_cbranch_vccnz .LBB1483_65
; %bb.67:                               ;   in Loop: Header=BB1483_66 Depth=1
	v_not_b32_e32 v8, v37
	v_lshl_add_u32 v8, v8, 3, v25
	ds_read_b64 v[8:9], v8
	v_lshl_add_u32 v38, v37, 3, v20
	ds_read_b64 v[38:39], v38
	v_pk_mov_b32 v[10:11], s[18:19], s[18:19] op_sel:[0,1]
	s_mov_b64 s[36:37], 0
	s_waitcnt lgkmcnt(1)
	v_mul_lo_u32 v40, s30, v9
	v_mul_lo_u32 v41, s31, v8
	v_mad_u64_u32 v[8:9], s[2:3], s30, v8, v[10:11]
	v_add3_u32 v9, v41, v9, v40
	s_waitcnt lgkmcnt(0)
	v_mul_lo_u32 v39, s30, v39
	v_mul_lo_u32 v40, s31, v38
	v_mad_u64_u32 v[10:11], s[2:3], s30, v38, v[10:11]
	v_add3_u32 v11, v40, v11, v39
	s_mov_b64 s[42:43], s[16:17]
                                        ; implicit-def: $sgpr34_sgpr35
                                        ; implicit-def: $sgpr38_sgpr39
                                        ; implicit-def: $sgpr40_sgpr41
                                        ; implicit-def: $sgpr2_sgpr3
                                        ; implicit-def: $sgpr44_sgpr45
	s_branch .LBB1483_69
.LBB1483_68:                            ;   in Loop: Header=BB1483_69 Depth=2
	s_or_b64 exec, exec, s[46:47]
	s_and_b64 s[4:5], exec, s[38:39]
	s_or_b64 s[36:37], s[4:5], s[36:37]
	s_andn2_b64 s[4:5], s[44:45], exec
	s_and_b64 s[44:45], s[40:41], exec
	s_or_b64 s[44:45], s[4:5], s[44:45]
	s_andn2_b64 s[4:5], s[34:35], exec
	s_and_b64 s[34:35], s[2:3], exec
	s_or_b64 s[34:35], s[4:5], s[34:35]
	s_andn2_b64 exec, exec, s[36:37]
	s_cbranch_execz .LBB1483_64
.LBB1483_69:                            ;   Parent Loop BB1483_66 Depth=1
                                        ; =>  This Inner Loop Header: Depth=2
	global_load_dword v38, v[8:9], off
	global_load_dword v39, v[10:11], off
	s_andn2_b64 s[46:47], s[2:3], exec
	s_andn2_b64 s[40:41], s[40:41], exec
	s_or_b64 s[38:39], s[38:39], exec
	s_waitcnt vmcnt(0)
	v_cmp_le_u32_e64 s[2:3], v38, v39
	v_cmp_lt_u32_e32 vcc, v38, v39
	s_and_b64 s[2:3], s[2:3], s[44:45]
	s_or_b64 s[48:49], vcc, s[2:3]
	s_and_b64 s[2:3], s[48:49], exec
	v_cmp_eq_u32_e64 s[4:5], v38, v39
	s_or_b64 s[2:3], s[46:47], s[2:3]
	s_and_saveexec_b64 s[46:47], s[4:5]
	s_cbranch_execz .LBB1483_68
; %bb.70:                               ;   in Loop: Header=BB1483_69 Depth=2
	s_add_u32 s42, s42, -1
	s_addc_u32 s43, s43, -1
	v_add_co_u32_e32 v8, vcc, 4, v8
	s_cmp_eq_u64 s[42:43], 0
	v_addc_co_u32_e32 v9, vcc, 0, v9, vcc
	s_cselect_b64 s[4:5], -1, 0
	v_add_co_u32_e32 v10, vcc, 4, v10
	s_andn2_b64 s[40:41], s[40:41], exec
	s_and_b64 s[44:45], s[48:49], exec
	s_andn2_b64 s[38:39], s[38:39], exec
	s_and_b64 s[4:5], s[4:5], exec
	v_addc_co_u32_e32 v11, vcc, 0, v11, vcc
	s_andn2_b64 s[2:3], s[2:3], exec
	s_or_b64 s[40:41], s[40:41], s[44:45]
	s_or_b64 s[38:39], s[38:39], s[4:5]
                                        ; implicit-def: $sgpr44_sgpr45
	s_branch .LBB1483_68
.LBB1483_71:
	s_or_b64 exec, exec, s[28:29]
.LBB1483_72:
	s_or_b64 exec, exec, s[26:27]
	v_add_u32_e32 v9, v14, v23
	v_add_u32_e32 v8, v21, v22
	v_sub_u32_e32 v9, v9, v21
	v_cmp_le_u32_e32 vcc, v8, v14
	v_cmp_le_u32_e64 s[0:1], v9, v15
	s_or_b64 s[0:1], vcc, s[0:1]
	s_and_saveexec_b64 s[4:5], s[0:1]
	s_cbranch_execz .LBB1483_119
; %bb.73:
	v_cmp_ge_u32_e32 vcc, v8, v14
	v_cmp_lt_u32_e64 s[0:1], v8, v14
                                        ; implicit-def: $vgpr0_vgpr1
	s_and_saveexec_b64 s[2:3], s[0:1]
	s_cbranch_execz .LBB1483_75
; %bb.74:
	v_lshl_add_u32 v0, v21, 3, v20
	ds_read_b64 v[0:1], v0
.LBB1483_75:
	s_or_b64 exec, exec, s[2:3]
	v_cmp_ge_u32_e64 s[26:27], v9, v15
	v_cmp_lt_u32_e64 s[0:1], v9, v15
                                        ; implicit-def: $vgpr2_vgpr3
	s_and_saveexec_b64 s[2:3], s[0:1]
	s_cbranch_execz .LBB1483_77
; %bb.76:
	v_lshl_add_u32 v2, v9, 3, v16
	ds_read_b64 v[2:3], v2
.LBB1483_77:
	s_or_b64 exec, exec, s[2:3]
	s_or_b64 s[0:1], vcc, s[26:27]
	s_mov_b64 s[28:29], -1
	s_xor_b64 s[0:1], s[0:1], -1
	s_and_saveexec_b64 s[30:31], s[0:1]
	s_cbranch_execz .LBB1483_86
; %bb.78:
	s_andn2_b64 vcc, exec, s[24:25]
	s_cbranch_vccnz .LBB1483_84
; %bb.79:
	s_waitcnt lgkmcnt(0)
	v_mul_lo_u32 v6, v3, s16
	v_mul_lo_u32 v7, v2, s17
	v_mad_u64_u32 v[4:5], s[0:1], v2, s16, 0
	v_add3_u32 v5, v5, v7, v6
	v_lshlrev_b64 v[4:5], 2, v[4:5]
	v_mov_b32_e32 v6, s19
	v_add_co_u32_e32 v4, vcc, s18, v4
	v_addc_co_u32_e32 v5, vcc, v6, v5, vcc
	v_mul_lo_u32 v10, v1, s16
	v_mul_lo_u32 v11, v0, s17
	v_mad_u64_u32 v[6:7], s[0:1], v0, s16, 0
	v_add3_u32 v7, v7, v11, v10
	v_lshlrev_b64 v[6:7], 2, v[6:7]
	v_mov_b32_e32 v10, s19
	v_add_co_u32_e32 v6, vcc, s18, v6
	v_addc_co_u32_e32 v7, vcc, v10, v7, vcc
	s_mov_b64 s[34:35], 0
	s_mov_b64 s[42:43], s[16:17]
                                        ; implicit-def: $sgpr36_sgpr37
                                        ; implicit-def: $sgpr38_sgpr39
                                        ; implicit-def: $sgpr0_sgpr1
                                        ; implicit-def: $sgpr40_sgpr41
                                        ; implicit-def: $sgpr44_sgpr45
	s_branch .LBB1483_81
.LBB1483_80:                            ;   in Loop: Header=BB1483_81 Depth=1
	s_or_b64 exec, exec, s[46:47]
	s_and_b64 s[2:3], exec, s[38:39]
	s_or_b64 s[34:35], s[2:3], s[34:35]
	s_andn2_b64 s[2:3], s[44:45], exec
	s_and_b64 s[44:45], s[40:41], exec
	s_or_b64 s[44:45], s[2:3], s[44:45]
	s_andn2_b64 s[2:3], s[36:37], exec
	s_and_b64 s[36:37], s[0:1], exec
	s_or_b64 s[36:37], s[2:3], s[36:37]
	s_andn2_b64 exec, exec, s[34:35]
	s_cbranch_execz .LBB1483_83
.LBB1483_81:                            ; =>This Inner Loop Header: Depth=1
	global_load_dword v10, v[4:5], off
	global_load_dword v11, v[6:7], off
	s_andn2_b64 s[46:47], s[0:1], exec
	s_andn2_b64 s[40:41], s[40:41], exec
	s_or_b64 s[38:39], s[38:39], exec
	s_waitcnt vmcnt(0)
	v_cmp_le_u32_e64 s[0:1], v10, v11
	v_cmp_lt_u32_e32 vcc, v10, v11
	s_and_b64 s[0:1], s[0:1], s[44:45]
	s_or_b64 s[48:49], vcc, s[0:1]
	s_and_b64 s[0:1], s[48:49], exec
	v_cmp_eq_u32_e64 s[2:3], v10, v11
	s_or_b64 s[0:1], s[46:47], s[0:1]
	s_and_saveexec_b64 s[46:47], s[2:3]
	s_cbranch_execz .LBB1483_80
; %bb.82:                               ;   in Loop: Header=BB1483_81 Depth=1
	s_add_u32 s42, s42, -1
	s_addc_u32 s43, s43, -1
	v_add_co_u32_e32 v4, vcc, 4, v4
	s_cmp_eq_u64 s[42:43], 0
	v_addc_co_u32_e32 v5, vcc, 0, v5, vcc
	s_cselect_b64 s[2:3], -1, 0
	v_add_co_u32_e32 v6, vcc, 4, v6
	s_andn2_b64 s[40:41], s[40:41], exec
	s_and_b64 s[44:45], s[48:49], exec
	s_andn2_b64 s[38:39], s[38:39], exec
	s_and_b64 s[2:3], s[2:3], exec
	v_addc_co_u32_e32 v7, vcc, 0, v7, vcc
	s_or_b64 s[40:41], s[40:41], s[44:45]
	s_andn2_b64 s[0:1], s[0:1], exec
	s_or_b64 s[38:39], s[38:39], s[2:3]
                                        ; implicit-def: $sgpr44_sgpr45
	s_branch .LBB1483_80
.LBB1483_83:
	s_or_b64 exec, exec, s[34:35]
	s_xor_b64 s[0:1], s[36:37], -1
	s_branch .LBB1483_85
.LBB1483_84:
	s_mov_b64 s[0:1], -1
.LBB1483_85:
	s_andn2_b64 s[2:3], s[26:27], exec
	s_and_b64 s[0:1], s[0:1], exec
	s_or_b64 s[26:27], s[2:3], s[0:1]
.LBB1483_86:
	s_or_b64 exec, exec, s[30:31]
	v_cndmask_b32_e64 v4, v9, v8, s[26:27]
	v_cndmask_b32_e64 v5, v15, v14, s[26:27]
	v_add_u32_e32 v6, 1, v4
	v_add_u32_e32 v4, -1, v5
	v_min_u32_e32 v4, v6, v4
	v_lshl_add_u32 v4, v4, 3, v16
	ds_read_b64 v[4:5], v4
	v_cndmask_b32_e64 v9, v6, v9, s[26:27]
	v_cndmask_b32_e64 v8, v8, v6, s[26:27]
	v_cmp_lt_u32_e32 vcc, v9, v15
	s_waitcnt lgkmcnt(0)
	v_cndmask_b32_e64 v20, v5, v3, s[26:27]
	v_cndmask_b32_e64 v21, v4, v2, s[26:27]
	v_cndmask_b32_e64 v22, v1, v5, s[26:27]
	v_cndmask_b32_e64 v23, v0, v4, s[26:27]
	s_and_saveexec_b64 s[30:31], vcc
	s_cbranch_execz .LBB1483_97
; %bb.87:
	v_cmp_lt_u32_e32 vcc, v8, v14
	s_mov_b64 s[0:1], 0
	s_and_saveexec_b64 s[28:29], vcc
	s_cbranch_execz .LBB1483_96
; %bb.88:
	s_andn2_b64 vcc, exec, s[24:25]
	s_cbranch_vccnz .LBB1483_94
; %bb.89:
	v_mul_lo_u32 v6, v20, s16
	v_mul_lo_u32 v7, v21, s17
	v_mad_u64_u32 v[4:5], s[0:1], v21, s16, 0
	v_add3_u32 v5, v5, v7, v6
	v_lshlrev_b64 v[4:5], 2, v[4:5]
	v_mov_b32_e32 v6, s19
	v_add_co_u32_e32 v4, vcc, s18, v4
	v_addc_co_u32_e32 v5, vcc, v6, v5, vcc
	v_mul_lo_u32 v10, v22, s16
	v_mul_lo_u32 v11, v23, s17
	v_mad_u64_u32 v[6:7], s[0:1], v23, s16, 0
	v_add3_u32 v7, v7, v11, v10
	v_lshlrev_b64 v[6:7], 2, v[6:7]
	v_mov_b32_e32 v10, s19
	v_add_co_u32_e32 v6, vcc, s18, v6
	v_addc_co_u32_e32 v7, vcc, v10, v7, vcc
	s_mov_b64 s[34:35], 0
	s_mov_b64 s[42:43], s[16:17]
                                        ; implicit-def: $sgpr36_sgpr37
                                        ; implicit-def: $sgpr38_sgpr39
                                        ; implicit-def: $sgpr0_sgpr1
                                        ; implicit-def: $sgpr40_sgpr41
                                        ; implicit-def: $sgpr44_sgpr45
	s_branch .LBB1483_91
.LBB1483_90:                            ;   in Loop: Header=BB1483_91 Depth=1
	s_or_b64 exec, exec, s[46:47]
	s_and_b64 s[2:3], exec, s[38:39]
	s_or_b64 s[34:35], s[2:3], s[34:35]
	s_andn2_b64 s[2:3], s[44:45], exec
	s_and_b64 s[44:45], s[40:41], exec
	s_or_b64 s[44:45], s[2:3], s[44:45]
	s_andn2_b64 s[2:3], s[36:37], exec
	s_and_b64 s[36:37], s[0:1], exec
	s_or_b64 s[36:37], s[2:3], s[36:37]
	s_andn2_b64 exec, exec, s[34:35]
	s_cbranch_execz .LBB1483_93
.LBB1483_91:                            ; =>This Inner Loop Header: Depth=1
	global_load_dword v10, v[4:5], off
	global_load_dword v11, v[6:7], off
	s_andn2_b64 s[46:47], s[0:1], exec
	s_andn2_b64 s[40:41], s[40:41], exec
	s_or_b64 s[38:39], s[38:39], exec
	s_waitcnt vmcnt(0)
	v_cmp_le_u32_e64 s[0:1], v10, v11
	v_cmp_lt_u32_e32 vcc, v10, v11
	s_and_b64 s[0:1], s[0:1], s[44:45]
	s_or_b64 s[48:49], vcc, s[0:1]
	s_and_b64 s[0:1], s[48:49], exec
	v_cmp_eq_u32_e64 s[2:3], v10, v11
	s_or_b64 s[0:1], s[46:47], s[0:1]
	s_and_saveexec_b64 s[46:47], s[2:3]
	s_cbranch_execz .LBB1483_90
; %bb.92:                               ;   in Loop: Header=BB1483_91 Depth=1
	s_add_u32 s42, s42, -1
	s_addc_u32 s43, s43, -1
	v_add_co_u32_e32 v4, vcc, 4, v4
	s_cmp_eq_u64 s[42:43], 0
	v_addc_co_u32_e32 v5, vcc, 0, v5, vcc
	s_cselect_b64 s[2:3], -1, 0
	v_add_co_u32_e32 v6, vcc, 4, v6
	s_andn2_b64 s[40:41], s[40:41], exec
	s_and_b64 s[44:45], s[48:49], exec
	s_andn2_b64 s[38:39], s[38:39], exec
	s_and_b64 s[2:3], s[2:3], exec
	v_addc_co_u32_e32 v7, vcc, 0, v7, vcc
	s_or_b64 s[40:41], s[40:41], s[44:45]
	s_andn2_b64 s[0:1], s[0:1], exec
	s_or_b64 s[38:39], s[38:39], s[2:3]
                                        ; implicit-def: $sgpr44_sgpr45
	s_branch .LBB1483_90
.LBB1483_93:
	s_or_b64 exec, exec, s[34:35]
	s_xor_b64 s[0:1], s[36:37], -1
	s_branch .LBB1483_95
.LBB1483_94:
	s_mov_b64 s[0:1], -1
.LBB1483_95:
	s_and_b64 s[0:1], s[0:1], exec
.LBB1483_96:
	s_or_b64 exec, exec, s[28:29]
	s_orn2_b64 s[28:29], s[0:1], exec
.LBB1483_97:
	s_or_b64 exec, exec, s[30:31]
	v_cndmask_b32_e64 v4, v9, v8, s[28:29]
	v_cndmask_b32_e64 v5, v15, v14, s[28:29]
	v_add_u32_e32 v6, 1, v4
	v_add_u32_e32 v4, -1, v5
	v_min_u32_e32 v4, v6, v4
	v_lshl_add_u32 v4, v4, 3, v16
	ds_read_b64 v[4:5], v4
	v_cndmask_b32_e64 v9, v6, v9, s[28:29]
	v_cndmask_b32_e64 v8, v8, v6, s[28:29]
	v_cmp_lt_u32_e32 vcc, v9, v15
	s_mov_b64 s[30:31], -1
	s_waitcnt lgkmcnt(0)
	v_cndmask_b32_e64 v24, v5, v20, s[28:29]
	v_cndmask_b32_e64 v25, v4, v21, s[28:29]
	v_cndmask_b32_e64 v37, v22, v5, s[28:29]
	v_cndmask_b32_e64 v38, v23, v4, s[28:29]
	s_and_saveexec_b64 s[34:35], vcc
	s_cbranch_execz .LBB1483_108
; %bb.98:
	v_cmp_lt_u32_e32 vcc, v8, v14
	s_mov_b64 s[0:1], 0
	s_and_saveexec_b64 s[30:31], vcc
	s_cbranch_execz .LBB1483_107
; %bb.99:
	s_andn2_b64 vcc, exec, s[24:25]
	s_cbranch_vccnz .LBB1483_105
; %bb.100:
	v_mul_lo_u32 v6, v24, s16
	v_mul_lo_u32 v7, v25, s17
	v_mad_u64_u32 v[4:5], s[0:1], v25, s16, 0
	v_add3_u32 v5, v5, v7, v6
	v_lshlrev_b64 v[4:5], 2, v[4:5]
	v_mov_b32_e32 v6, s19
	v_add_co_u32_e32 v4, vcc, s18, v4
	v_addc_co_u32_e32 v5, vcc, v6, v5, vcc
	v_mul_lo_u32 v10, v37, s16
	v_mul_lo_u32 v11, v38, s17
	v_mad_u64_u32 v[6:7], s[0:1], v38, s16, 0
	v_add3_u32 v7, v7, v11, v10
	v_lshlrev_b64 v[6:7], 2, v[6:7]
	v_mov_b32_e32 v10, s19
	v_add_co_u32_e32 v6, vcc, s18, v6
	v_addc_co_u32_e32 v7, vcc, v10, v7, vcc
	s_mov_b64 s[36:37], 0
	s_mov_b64 s[44:45], s[16:17]
                                        ; implicit-def: $sgpr38_sgpr39
                                        ; implicit-def: $sgpr40_sgpr41
                                        ; implicit-def: $sgpr0_sgpr1
                                        ; implicit-def: $sgpr42_sgpr43
                                        ; implicit-def: $sgpr46_sgpr47
	s_branch .LBB1483_102
.LBB1483_101:                           ;   in Loop: Header=BB1483_102 Depth=1
	s_or_b64 exec, exec, s[48:49]
	s_and_b64 s[2:3], exec, s[40:41]
	s_or_b64 s[36:37], s[2:3], s[36:37]
	s_andn2_b64 s[2:3], s[46:47], exec
	s_and_b64 s[46:47], s[42:43], exec
	s_or_b64 s[46:47], s[2:3], s[46:47]
	s_andn2_b64 s[2:3], s[38:39], exec
	s_and_b64 s[38:39], s[0:1], exec
	s_or_b64 s[38:39], s[2:3], s[38:39]
	s_andn2_b64 exec, exec, s[36:37]
	s_cbranch_execz .LBB1483_104
.LBB1483_102:                           ; =>This Inner Loop Header: Depth=1
	global_load_dword v10, v[4:5], off
	global_load_dword v11, v[6:7], off
	s_andn2_b64 s[48:49], s[0:1], exec
	s_andn2_b64 s[42:43], s[42:43], exec
	s_or_b64 s[40:41], s[40:41], exec
	s_waitcnt vmcnt(0)
	v_cmp_le_u32_e64 s[0:1], v10, v11
	v_cmp_lt_u32_e32 vcc, v10, v11
	s_and_b64 s[0:1], s[0:1], s[46:47]
	s_or_b64 s[50:51], vcc, s[0:1]
	s_and_b64 s[0:1], s[50:51], exec
	v_cmp_eq_u32_e64 s[2:3], v10, v11
	s_or_b64 s[0:1], s[48:49], s[0:1]
	s_and_saveexec_b64 s[48:49], s[2:3]
	s_cbranch_execz .LBB1483_101
; %bb.103:                              ;   in Loop: Header=BB1483_102 Depth=1
	s_add_u32 s44, s44, -1
	s_addc_u32 s45, s45, -1
	v_add_co_u32_e32 v4, vcc, 4, v4
	s_cmp_eq_u64 s[44:45], 0
	v_addc_co_u32_e32 v5, vcc, 0, v5, vcc
	s_cselect_b64 s[2:3], -1, 0
	v_add_co_u32_e32 v6, vcc, 4, v6
	s_andn2_b64 s[42:43], s[42:43], exec
	s_and_b64 s[46:47], s[50:51], exec
	s_andn2_b64 s[40:41], s[40:41], exec
	s_and_b64 s[2:3], s[2:3], exec
	v_addc_co_u32_e32 v7, vcc, 0, v7, vcc
	s_or_b64 s[42:43], s[42:43], s[46:47]
	s_andn2_b64 s[0:1], s[0:1], exec
	s_or_b64 s[40:41], s[40:41], s[2:3]
                                        ; implicit-def: $sgpr46_sgpr47
	s_branch .LBB1483_101
.LBB1483_104:
	s_or_b64 exec, exec, s[36:37]
	s_xor_b64 s[0:1], s[38:39], -1
	s_branch .LBB1483_106
.LBB1483_105:
	s_mov_b64 s[0:1], -1
.LBB1483_106:
	s_and_b64 s[0:1], s[0:1], exec
.LBB1483_107:
	s_or_b64 exec, exec, s[30:31]
	s_orn2_b64 s[30:31], s[0:1], exec
.LBB1483_108:
	s_or_b64 exec, exec, s[34:35]
	v_cndmask_b32_e64 v4, v9, v8, s[30:31]
	v_cndmask_b32_e64 v5, v15, v14, s[30:31]
	v_add_u32_e32 v10, 1, v4
	v_add_u32_e32 v4, -1, v5
	v_min_u32_e32 v4, v10, v4
	v_lshl_add_u32 v4, v4, 3, v16
	ds_read_b64 v[4:5], v4
	v_cndmask_b32_e64 v9, v10, v9, s[30:31]
	v_cmp_lt_u32_e32 vcc, v9, v15
	s_waitcnt lgkmcnt(0)
	v_cndmask_b32_e64 v7, v37, v5, s[30:31]
	v_cndmask_b32_e64 v6, v38, v4, s[30:31]
	s_and_saveexec_b64 s[34:35], vcc
	s_cbranch_execz .LBB1483_118
; %bb.109:
	v_cndmask_b32_e64 v8, v8, v10, s[30:31]
	v_cndmask_b32_e64 v5, v5, v24, s[30:31]
	;; [unrolled: 1-line block ×3, first 2 shown]
	v_cmp_lt_u32_e32 vcc, v8, v14
	s_and_saveexec_b64 s[36:37], vcc
	s_cbranch_execz .LBB1483_117
; %bb.110:
	s_andn2_b64 vcc, exec, s[24:25]
	s_cbranch_vccnz .LBB1483_116
; %bb.111:
	v_mul_lo_u32 v10, v5, s16
	v_mul_lo_u32 v11, v4, s17
	v_mad_u64_u32 v[8:9], s[0:1], v4, s16, 0
	v_add3_u32 v9, v9, v11, v10
	v_lshlrev_b64 v[8:9], 2, v[8:9]
	v_mov_b32_e32 v10, s19
	v_add_co_u32_e32 v8, vcc, s18, v8
	v_addc_co_u32_e32 v9, vcc, v10, v9, vcc
	v_mul_lo_u32 v14, v7, s16
	v_mul_lo_u32 v15, v6, s17
	v_mad_u64_u32 v[10:11], s[0:1], v6, s16, 0
	v_add3_u32 v11, v11, v15, v14
	v_lshlrev_b64 v[10:11], 2, v[10:11]
	v_mov_b32_e32 v14, s19
	v_add_co_u32_e32 v10, vcc, s18, v10
	v_addc_co_u32_e32 v11, vcc, v14, v11, vcc
	s_mov_b64 s[38:39], 0
	s_mov_b64 s[46:47], s[16:17]
                                        ; implicit-def: $sgpr40_sgpr41
                                        ; implicit-def: $sgpr42_sgpr43
                                        ; implicit-def: $sgpr0_sgpr1
                                        ; implicit-def: $sgpr44_sgpr45
                                        ; implicit-def: $sgpr48_sgpr49
	s_branch .LBB1483_113
.LBB1483_112:                           ;   in Loop: Header=BB1483_113 Depth=1
	s_or_b64 exec, exec, s[50:51]
	s_and_b64 s[2:3], exec, s[42:43]
	s_or_b64 s[38:39], s[2:3], s[38:39]
	s_andn2_b64 s[2:3], s[48:49], exec
	s_and_b64 s[48:49], s[44:45], exec
	s_or_b64 s[48:49], s[2:3], s[48:49]
	s_andn2_b64 s[2:3], s[40:41], exec
	s_and_b64 s[40:41], s[0:1], exec
	s_or_b64 s[40:41], s[2:3], s[40:41]
	s_andn2_b64 exec, exec, s[38:39]
	s_cbranch_execz .LBB1483_115
.LBB1483_113:                           ; =>This Inner Loop Header: Depth=1
	global_load_dword v14, v[8:9], off
	global_load_dword v15, v[10:11], off
	s_andn2_b64 s[50:51], s[0:1], exec
	s_andn2_b64 s[44:45], s[44:45], exec
	s_or_b64 s[42:43], s[42:43], exec
	s_waitcnt vmcnt(0)
	v_cmp_le_u32_e64 s[0:1], v14, v15
	v_cmp_lt_u32_e32 vcc, v14, v15
	s_and_b64 s[0:1], s[0:1], s[48:49]
	s_or_b64 s[52:53], vcc, s[0:1]
	s_and_b64 s[0:1], s[52:53], exec
	v_cmp_eq_u32_e64 s[2:3], v14, v15
	s_or_b64 s[0:1], s[50:51], s[0:1]
	s_and_saveexec_b64 s[50:51], s[2:3]
	s_cbranch_execz .LBB1483_112
; %bb.114:                              ;   in Loop: Header=BB1483_113 Depth=1
	s_add_u32 s46, s46, -1
	s_addc_u32 s47, s47, -1
	v_add_co_u32_e32 v8, vcc, 4, v8
	s_cmp_eq_u64 s[46:47], 0
	v_addc_co_u32_e32 v9, vcc, 0, v9, vcc
	s_cselect_b64 s[2:3], -1, 0
	v_add_co_u32_e32 v10, vcc, 4, v10
	s_andn2_b64 s[44:45], s[44:45], exec
	s_and_b64 s[48:49], s[52:53], exec
	s_andn2_b64 s[42:43], s[42:43], exec
	s_and_b64 s[2:3], s[2:3], exec
	v_addc_co_u32_e32 v11, vcc, 0, v11, vcc
	s_or_b64 s[44:45], s[44:45], s[48:49]
	s_andn2_b64 s[0:1], s[0:1], exec
	s_or_b64 s[42:43], s[42:43], s[2:3]
                                        ; implicit-def: $sgpr48_sgpr49
	s_branch .LBB1483_112
.LBB1483_115:
	s_or_b64 exec, exec, s[38:39]
	v_cndmask_b32_e64 v7, v7, v5, s[40:41]
	v_cndmask_b32_e64 v6, v6, v4, s[40:41]
.LBB1483_116:
	v_pk_mov_b32 v[4:5], v[6:7], v[6:7] op_sel:[0,1]
.LBB1483_117:
	s_or_b64 exec, exec, s[36:37]
	v_pk_mov_b32 v[6:7], v[4:5], v[4:5] op_sel:[0,1]
.LBB1483_118:
	s_or_b64 exec, exec, s[34:35]
	v_cndmask_b32_e64 v1, v3, v1, s[26:27]
	v_cndmask_b32_e64 v0, v2, v0, s[26:27]
	;; [unrolled: 1-line block ×6, first 2 shown]
.LBB1483_119:
	s_or_b64 exec, exec, s[4:5]
	v_and_b32_e32 v20, 0x1f0, v18
	v_or_b32_e32 v8, 8, v20
	v_min_u32_e32 v14, v17, v8
	v_add_u32_e32 v8, 8, v14
	v_min_u32_e32 v15, v17, v8
	v_and_b32_e32 v8, 12, v18
	v_min_u32_e32 v21, v17, v8
	v_sub_u32_e32 v8, v14, v20
	v_sub_u32_e32 v9, v15, v14
	v_sub_u32_e64 v23, v21, v9 clamp
	v_min_u32_e32 v24, v21, v8
	v_lshl_add_u32 v22, v20, 3, v16
	v_cmp_lt_u32_e32 vcc, v23, v24
	; wave barrier
	ds_write_b128 v19, v[0:3]
	ds_write_b128 v19, v[4:7] offset:16
	; wave barrier
	s_and_saveexec_b64 s[26:27], vcc
	s_cbranch_execz .LBB1483_129
; %bb.120:
	v_lshlrev_b32_e32 v8, 3, v14
	v_lshlrev_b32_e32 v9, 3, v21
	v_add3_u32 v25, v16, v8, v9
	v_cndmask_b32_e64 v8, 0, 1, s[24:25]
	s_lshl_b64 s[30:31], s[16:17], 2
	s_mov_b64 s[28:29], 0
	v_cmp_ne_u32_e64 s[0:1], 1, v8
	s_branch .LBB1483_123
.LBB1483_121:                           ;   in Loop: Header=BB1483_123 Depth=1
	s_or_b64 exec, exec, s[36:37]
.LBB1483_122:                           ;   in Loop: Header=BB1483_123 Depth=1
	v_add_u32_e32 v8, 1, v37
	v_cndmask_b32_e64 v24, v24, v37, s[34:35]
	v_cndmask_b32_e64 v23, v8, v23, s[34:35]
	v_cmp_ge_u32_e32 vcc, v23, v24
	s_or_b64 s[28:29], vcc, s[28:29]
	s_andn2_b64 exec, exec, s[28:29]
	s_cbranch_execz .LBB1483_128
.LBB1483_123:                           ; =>This Loop Header: Depth=1
                                        ;     Child Loop BB1483_126 Depth 2
	v_add_u32_e32 v8, v24, v23
	v_lshrrev_b32_e32 v37, 1, v8
	s_and_b64 vcc, exec, s[0:1]
	s_mov_b64 s[34:35], 0
	s_cbranch_vccnz .LBB1483_122
; %bb.124:                              ;   in Loop: Header=BB1483_123 Depth=1
	v_not_b32_e32 v8, v37
	v_lshl_add_u32 v8, v8, 3, v25
	ds_read_b64 v[8:9], v8
	v_lshl_add_u32 v38, v37, 3, v22
	ds_read_b64 v[38:39], v38
	v_pk_mov_b32 v[10:11], s[18:19], s[18:19] op_sel:[0,1]
	s_mov_b64 s[36:37], 0
	s_waitcnt lgkmcnt(1)
	v_mul_lo_u32 v40, s30, v9
	v_mul_lo_u32 v41, s31, v8
	v_mad_u64_u32 v[8:9], s[2:3], s30, v8, v[10:11]
	v_add3_u32 v9, v41, v9, v40
	s_waitcnt lgkmcnt(0)
	v_mul_lo_u32 v39, s30, v39
	v_mul_lo_u32 v40, s31, v38
	v_mad_u64_u32 v[10:11], s[2:3], s30, v38, v[10:11]
	v_add3_u32 v11, v40, v11, v39
	s_mov_b64 s[42:43], s[16:17]
                                        ; implicit-def: $sgpr34_sgpr35
                                        ; implicit-def: $sgpr38_sgpr39
                                        ; implicit-def: $sgpr40_sgpr41
                                        ; implicit-def: $sgpr2_sgpr3
                                        ; implicit-def: $sgpr44_sgpr45
	s_branch .LBB1483_126
.LBB1483_125:                           ;   in Loop: Header=BB1483_126 Depth=2
	s_or_b64 exec, exec, s[46:47]
	s_and_b64 s[4:5], exec, s[38:39]
	s_or_b64 s[36:37], s[4:5], s[36:37]
	s_andn2_b64 s[4:5], s[44:45], exec
	s_and_b64 s[44:45], s[40:41], exec
	s_or_b64 s[44:45], s[4:5], s[44:45]
	s_andn2_b64 s[4:5], s[34:35], exec
	s_and_b64 s[34:35], s[2:3], exec
	s_or_b64 s[34:35], s[4:5], s[34:35]
	s_andn2_b64 exec, exec, s[36:37]
	s_cbranch_execz .LBB1483_121
.LBB1483_126:                           ;   Parent Loop BB1483_123 Depth=1
                                        ; =>  This Inner Loop Header: Depth=2
	global_load_dword v38, v[8:9], off
	global_load_dword v39, v[10:11], off
	s_andn2_b64 s[46:47], s[2:3], exec
	s_andn2_b64 s[40:41], s[40:41], exec
	s_or_b64 s[38:39], s[38:39], exec
	s_waitcnt vmcnt(0)
	v_cmp_le_u32_e64 s[2:3], v38, v39
	v_cmp_lt_u32_e32 vcc, v38, v39
	s_and_b64 s[2:3], s[2:3], s[44:45]
	s_or_b64 s[48:49], vcc, s[2:3]
	s_and_b64 s[2:3], s[48:49], exec
	v_cmp_eq_u32_e64 s[4:5], v38, v39
	s_or_b64 s[2:3], s[46:47], s[2:3]
	s_and_saveexec_b64 s[46:47], s[4:5]
	s_cbranch_execz .LBB1483_125
; %bb.127:                              ;   in Loop: Header=BB1483_126 Depth=2
	s_add_u32 s42, s42, -1
	s_addc_u32 s43, s43, -1
	v_add_co_u32_e32 v8, vcc, 4, v8
	s_cmp_eq_u64 s[42:43], 0
	v_addc_co_u32_e32 v9, vcc, 0, v9, vcc
	s_cselect_b64 s[4:5], -1, 0
	v_add_co_u32_e32 v10, vcc, 4, v10
	s_andn2_b64 s[40:41], s[40:41], exec
	s_and_b64 s[44:45], s[48:49], exec
	s_andn2_b64 s[38:39], s[38:39], exec
	s_and_b64 s[4:5], s[4:5], exec
	v_addc_co_u32_e32 v11, vcc, 0, v11, vcc
	s_andn2_b64 s[2:3], s[2:3], exec
	s_or_b64 s[40:41], s[40:41], s[44:45]
	s_or_b64 s[38:39], s[38:39], s[4:5]
                                        ; implicit-def: $sgpr44_sgpr45
	s_branch .LBB1483_125
.LBB1483_128:
	s_or_b64 exec, exec, s[28:29]
.LBB1483_129:
	s_or_b64 exec, exec, s[26:27]
	v_add_u32_e32 v8, v14, v21
	v_add_u32_e32 v20, v23, v20
	v_sub_u32_e32 v21, v8, v23
	v_cmp_le_u32_e32 vcc, v20, v14
	v_cmp_le_u32_e64 s[0:1], v21, v15
	s_or_b64 s[0:1], vcc, s[0:1]
	s_and_saveexec_b64 s[4:5], s[0:1]
	s_cbranch_execz .LBB1483_176
; %bb.130:
	v_cmp_ge_u32_e32 vcc, v20, v14
	v_cmp_lt_u32_e64 s[0:1], v20, v14
                                        ; implicit-def: $vgpr0_vgpr1
	s_and_saveexec_b64 s[2:3], s[0:1]
	s_cbranch_execz .LBB1483_132
; %bb.131:
	v_lshl_add_u32 v0, v23, 3, v22
	ds_read_b64 v[0:1], v0
.LBB1483_132:
	s_or_b64 exec, exec, s[2:3]
	v_cmp_ge_u32_e64 s[26:27], v21, v15
	v_cmp_lt_u32_e64 s[0:1], v21, v15
                                        ; implicit-def: $vgpr4_vgpr5
	s_and_saveexec_b64 s[2:3], s[0:1]
	s_cbranch_execz .LBB1483_134
; %bb.133:
	v_lshl_add_u32 v2, v21, 3, v16
	ds_read_b64 v[4:5], v2
.LBB1483_134:
	s_or_b64 exec, exec, s[2:3]
	s_or_b64 s[0:1], vcc, s[26:27]
	s_mov_b64 s[28:29], -1
	s_xor_b64 s[0:1], s[0:1], -1
	s_and_saveexec_b64 s[30:31], s[0:1]
	s_cbranch_execz .LBB1483_143
; %bb.135:
	s_andn2_b64 vcc, exec, s[24:25]
	s_cbranch_vccnz .LBB1483_141
; %bb.136:
	s_waitcnt lgkmcnt(0)
	v_mul_lo_u32 v6, v5, s16
	v_mul_lo_u32 v7, v4, s17
	v_mad_u64_u32 v[2:3], s[0:1], v4, s16, 0
	v_add3_u32 v3, v3, v7, v6
	v_lshlrev_b64 v[2:3], 2, v[2:3]
	v_mov_b32_e32 v6, s19
	v_add_co_u32_e32 v2, vcc, s18, v2
	v_addc_co_u32_e32 v3, vcc, v6, v3, vcc
	v_mul_lo_u32 v8, v1, s16
	v_mul_lo_u32 v9, v0, s17
	v_mad_u64_u32 v[6:7], s[0:1], v0, s16, 0
	v_add3_u32 v7, v7, v9, v8
	v_lshlrev_b64 v[6:7], 2, v[6:7]
	v_mov_b32_e32 v8, s19
	v_add_co_u32_e32 v6, vcc, s18, v6
	v_addc_co_u32_e32 v7, vcc, v8, v7, vcc
	s_mov_b64 s[34:35], 0
	s_mov_b64 s[42:43], s[16:17]
                                        ; implicit-def: $sgpr36_sgpr37
                                        ; implicit-def: $sgpr38_sgpr39
                                        ; implicit-def: $sgpr0_sgpr1
                                        ; implicit-def: $sgpr40_sgpr41
                                        ; implicit-def: $sgpr44_sgpr45
	s_branch .LBB1483_138
.LBB1483_137:                           ;   in Loop: Header=BB1483_138 Depth=1
	s_or_b64 exec, exec, s[46:47]
	s_and_b64 s[2:3], exec, s[38:39]
	s_or_b64 s[34:35], s[2:3], s[34:35]
	s_andn2_b64 s[2:3], s[44:45], exec
	s_and_b64 s[44:45], s[40:41], exec
	s_or_b64 s[44:45], s[2:3], s[44:45]
	s_andn2_b64 s[2:3], s[36:37], exec
	s_and_b64 s[36:37], s[0:1], exec
	s_or_b64 s[36:37], s[2:3], s[36:37]
	s_andn2_b64 exec, exec, s[34:35]
	s_cbranch_execz .LBB1483_140
.LBB1483_138:                           ; =>This Inner Loop Header: Depth=1
	global_load_dword v8, v[2:3], off
	global_load_dword v9, v[6:7], off
	s_andn2_b64 s[46:47], s[0:1], exec
	s_andn2_b64 s[40:41], s[40:41], exec
	s_or_b64 s[38:39], s[38:39], exec
	s_waitcnt vmcnt(0)
	v_cmp_le_u32_e64 s[0:1], v8, v9
	v_cmp_lt_u32_e32 vcc, v8, v9
	s_and_b64 s[0:1], s[0:1], s[44:45]
	s_or_b64 s[48:49], vcc, s[0:1]
	s_and_b64 s[0:1], s[48:49], exec
	v_cmp_eq_u32_e64 s[2:3], v8, v9
	s_or_b64 s[0:1], s[46:47], s[0:1]
	s_and_saveexec_b64 s[46:47], s[2:3]
	s_cbranch_execz .LBB1483_137
; %bb.139:                              ;   in Loop: Header=BB1483_138 Depth=1
	s_add_u32 s42, s42, -1
	s_addc_u32 s43, s43, -1
	v_add_co_u32_e32 v2, vcc, 4, v2
	s_cmp_eq_u64 s[42:43], 0
	v_addc_co_u32_e32 v3, vcc, 0, v3, vcc
	s_cselect_b64 s[2:3], -1, 0
	v_add_co_u32_e32 v6, vcc, 4, v6
	s_andn2_b64 s[40:41], s[40:41], exec
	s_and_b64 s[44:45], s[48:49], exec
	s_andn2_b64 s[38:39], s[38:39], exec
	s_and_b64 s[2:3], s[2:3], exec
	v_addc_co_u32_e32 v7, vcc, 0, v7, vcc
	s_or_b64 s[40:41], s[40:41], s[44:45]
	s_andn2_b64 s[0:1], s[0:1], exec
	s_or_b64 s[38:39], s[38:39], s[2:3]
                                        ; implicit-def: $sgpr44_sgpr45
	s_branch .LBB1483_137
.LBB1483_140:
	s_or_b64 exec, exec, s[34:35]
	s_xor_b64 s[0:1], s[36:37], -1
	s_branch .LBB1483_142
.LBB1483_141:
	s_mov_b64 s[0:1], -1
.LBB1483_142:
	s_andn2_b64 s[2:3], s[26:27], exec
	s_and_b64 s[0:1], s[0:1], exec
	s_or_b64 s[26:27], s[2:3], s[0:1]
.LBB1483_143:
	s_or_b64 exec, exec, s[30:31]
	v_cndmask_b32_e64 v2, v21, v20, s[26:27]
	v_cndmask_b32_e64 v3, v15, v14, s[26:27]
	v_add_u32_e32 v6, 1, v2
	v_add_u32_e32 v2, -1, v3
	v_min_u32_e32 v2, v6, v2
	v_lshl_add_u32 v2, v2, 3, v16
	ds_read_b64 v[2:3], v2
	v_cndmask_b32_e64 v22, v6, v21, s[26:27]
	v_cndmask_b32_e64 v37, v20, v6, s[26:27]
	v_cmp_lt_u32_e32 vcc, v22, v15
	s_waitcnt lgkmcnt(0)
	v_cndmask_b32_e64 v8, v3, v5, s[26:27]
	v_cndmask_b32_e64 v9, v2, v4, s[26:27]
	;; [unrolled: 1-line block ×4, first 2 shown]
	s_and_saveexec_b64 s[30:31], vcc
	s_cbranch_execz .LBB1483_154
; %bb.144:
	v_cmp_lt_u32_e32 vcc, v37, v14
	s_mov_b64 s[0:1], 0
	s_and_saveexec_b64 s[28:29], vcc
	s_cbranch_execz .LBB1483_153
; %bb.145:
	s_andn2_b64 vcc, exec, s[24:25]
	s_cbranch_vccnz .LBB1483_151
; %bb.146:
	v_mul_lo_u32 v6, v8, s16
	v_mul_lo_u32 v7, v9, s17
	v_mad_u64_u32 v[2:3], s[0:1], v9, s16, 0
	v_add3_u32 v3, v3, v7, v6
	v_lshlrev_b64 v[2:3], 2, v[2:3]
	v_mov_b32_e32 v6, s19
	v_add_co_u32_e32 v2, vcc, s18, v2
	v_addc_co_u32_e32 v3, vcc, v6, v3, vcc
	v_mul_lo_u32 v20, v10, s16
	v_mul_lo_u32 v21, v11, s17
	v_mad_u64_u32 v[6:7], s[0:1], v11, s16, 0
	v_add3_u32 v7, v7, v21, v20
	v_lshlrev_b64 v[6:7], 2, v[6:7]
	v_mov_b32_e32 v20, s19
	v_add_co_u32_e32 v6, vcc, s18, v6
	v_addc_co_u32_e32 v7, vcc, v20, v7, vcc
	s_mov_b64 s[34:35], 0
	s_mov_b64 s[42:43], s[16:17]
                                        ; implicit-def: $sgpr36_sgpr37
                                        ; implicit-def: $sgpr38_sgpr39
                                        ; implicit-def: $sgpr0_sgpr1
                                        ; implicit-def: $sgpr40_sgpr41
                                        ; implicit-def: $sgpr44_sgpr45
	s_branch .LBB1483_148
.LBB1483_147:                           ;   in Loop: Header=BB1483_148 Depth=1
	s_or_b64 exec, exec, s[46:47]
	s_and_b64 s[2:3], exec, s[38:39]
	s_or_b64 s[34:35], s[2:3], s[34:35]
	s_andn2_b64 s[2:3], s[44:45], exec
	s_and_b64 s[44:45], s[40:41], exec
	s_or_b64 s[44:45], s[2:3], s[44:45]
	s_andn2_b64 s[2:3], s[36:37], exec
	s_and_b64 s[36:37], s[0:1], exec
	s_or_b64 s[36:37], s[2:3], s[36:37]
	s_andn2_b64 exec, exec, s[34:35]
	s_cbranch_execz .LBB1483_150
.LBB1483_148:                           ; =>This Inner Loop Header: Depth=1
	global_load_dword v20, v[2:3], off
	global_load_dword v21, v[6:7], off
	s_andn2_b64 s[46:47], s[0:1], exec
	s_andn2_b64 s[40:41], s[40:41], exec
	s_or_b64 s[38:39], s[38:39], exec
	s_waitcnt vmcnt(0)
	v_cmp_le_u32_e64 s[0:1], v20, v21
	v_cmp_lt_u32_e32 vcc, v20, v21
	s_and_b64 s[0:1], s[0:1], s[44:45]
	s_or_b64 s[48:49], vcc, s[0:1]
	s_and_b64 s[0:1], s[48:49], exec
	v_cmp_eq_u32_e64 s[2:3], v20, v21
	s_or_b64 s[0:1], s[46:47], s[0:1]
	s_and_saveexec_b64 s[46:47], s[2:3]
	s_cbranch_execz .LBB1483_147
; %bb.149:                              ;   in Loop: Header=BB1483_148 Depth=1
	s_add_u32 s42, s42, -1
	s_addc_u32 s43, s43, -1
	v_add_co_u32_e32 v2, vcc, 4, v2
	s_cmp_eq_u64 s[42:43], 0
	v_addc_co_u32_e32 v3, vcc, 0, v3, vcc
	s_cselect_b64 s[2:3], -1, 0
	v_add_co_u32_e32 v6, vcc, 4, v6
	s_andn2_b64 s[40:41], s[40:41], exec
	s_and_b64 s[44:45], s[48:49], exec
	s_andn2_b64 s[38:39], s[38:39], exec
	s_and_b64 s[2:3], s[2:3], exec
	v_addc_co_u32_e32 v7, vcc, 0, v7, vcc
	s_or_b64 s[40:41], s[40:41], s[44:45]
	s_andn2_b64 s[0:1], s[0:1], exec
	s_or_b64 s[38:39], s[38:39], s[2:3]
                                        ; implicit-def: $sgpr44_sgpr45
	s_branch .LBB1483_147
.LBB1483_150:
	s_or_b64 exec, exec, s[34:35]
	s_xor_b64 s[0:1], s[36:37], -1
	s_branch .LBB1483_152
.LBB1483_151:
	s_mov_b64 s[0:1], -1
.LBB1483_152:
	s_and_b64 s[0:1], s[0:1], exec
.LBB1483_153:
	s_or_b64 exec, exec, s[28:29]
	s_orn2_b64 s[28:29], s[0:1], exec
.LBB1483_154:
	s_or_b64 exec, exec, s[30:31]
	v_cndmask_b32_e64 v2, v22, v37, s[28:29]
	v_cndmask_b32_e64 v3, v15, v14, s[28:29]
	v_add_u32_e32 v6, 1, v2
	v_add_u32_e32 v2, -1, v3
	v_min_u32_e32 v2, v6, v2
	v_lshl_add_u32 v2, v2, 3, v16
	ds_read_b64 v[2:3], v2
	v_cndmask_b32_e64 v23, v6, v22, s[28:29]
	v_cndmask_b32_e64 v22, v37, v6, s[28:29]
	v_cmp_lt_u32_e32 vcc, v23, v15
	s_mov_b64 s[0:1], -1
	s_waitcnt lgkmcnt(0)
	v_cndmask_b32_e64 v20, v3, v8, s[28:29]
	v_cndmask_b32_e64 v21, v2, v9, s[28:29]
	v_cndmask_b32_e64 v24, v10, v3, s[28:29]
	v_cndmask_b32_e64 v25, v11, v2, s[28:29]
	s_and_saveexec_b64 s[30:31], vcc
	s_cbranch_execz .LBB1483_165
; %bb.155:
	v_cmp_lt_u32_e32 vcc, v22, v14
	s_mov_b64 s[0:1], 0
	s_and_saveexec_b64 s[34:35], vcc
	s_cbranch_execz .LBB1483_164
; %bb.156:
	s_andn2_b64 vcc, exec, s[24:25]
	s_cbranch_vccnz .LBB1483_162
; %bb.157:
	v_mul_lo_u32 v6, v20, s16
	v_mul_lo_u32 v7, v21, s17
	v_mad_u64_u32 v[2:3], s[0:1], v21, s16, 0
	v_add3_u32 v3, v3, v7, v6
	v_lshlrev_b64 v[2:3], 2, v[2:3]
	v_mov_b32_e32 v6, s19
	v_add_co_u32_e32 v2, vcc, s18, v2
	v_addc_co_u32_e32 v3, vcc, v6, v3, vcc
	v_mul_lo_u32 v37, v24, s16
	v_mul_lo_u32 v38, v25, s17
	v_mad_u64_u32 v[6:7], s[0:1], v25, s16, 0
	v_add3_u32 v7, v7, v38, v37
	v_lshlrev_b64 v[6:7], 2, v[6:7]
	v_mov_b32_e32 v37, s19
	v_add_co_u32_e32 v6, vcc, s18, v6
	v_addc_co_u32_e32 v7, vcc, v37, v7, vcc
	s_mov_b64 s[36:37], 0
	s_mov_b64 s[44:45], s[16:17]
                                        ; implicit-def: $sgpr38_sgpr39
                                        ; implicit-def: $sgpr40_sgpr41
                                        ; implicit-def: $sgpr0_sgpr1
                                        ; implicit-def: $sgpr42_sgpr43
                                        ; implicit-def: $sgpr46_sgpr47
	s_branch .LBB1483_159
.LBB1483_158:                           ;   in Loop: Header=BB1483_159 Depth=1
	s_or_b64 exec, exec, s[48:49]
	s_and_b64 s[2:3], exec, s[40:41]
	s_or_b64 s[36:37], s[2:3], s[36:37]
	s_andn2_b64 s[2:3], s[46:47], exec
	s_and_b64 s[46:47], s[42:43], exec
	s_or_b64 s[46:47], s[2:3], s[46:47]
	s_andn2_b64 s[2:3], s[38:39], exec
	s_and_b64 s[38:39], s[0:1], exec
	s_or_b64 s[38:39], s[2:3], s[38:39]
	s_andn2_b64 exec, exec, s[36:37]
	s_cbranch_execz .LBB1483_161
.LBB1483_159:                           ; =>This Inner Loop Header: Depth=1
	global_load_dword v37, v[2:3], off
	global_load_dword v38, v[6:7], off
	s_andn2_b64 s[48:49], s[0:1], exec
	s_andn2_b64 s[42:43], s[42:43], exec
	s_or_b64 s[40:41], s[40:41], exec
	s_waitcnt vmcnt(0)
	v_cmp_le_u32_e64 s[0:1], v37, v38
	v_cmp_lt_u32_e32 vcc, v37, v38
	s_and_b64 s[0:1], s[0:1], s[46:47]
	s_or_b64 s[50:51], vcc, s[0:1]
	s_and_b64 s[0:1], s[50:51], exec
	v_cmp_eq_u32_e64 s[2:3], v37, v38
	s_or_b64 s[0:1], s[48:49], s[0:1]
	s_and_saveexec_b64 s[48:49], s[2:3]
	s_cbranch_execz .LBB1483_158
; %bb.160:                              ;   in Loop: Header=BB1483_159 Depth=1
	s_add_u32 s44, s44, -1
	s_addc_u32 s45, s45, -1
	v_add_co_u32_e32 v2, vcc, 4, v2
	s_cmp_eq_u64 s[44:45], 0
	v_addc_co_u32_e32 v3, vcc, 0, v3, vcc
	s_cselect_b64 s[2:3], -1, 0
	v_add_co_u32_e32 v6, vcc, 4, v6
	s_andn2_b64 s[42:43], s[42:43], exec
	s_and_b64 s[46:47], s[50:51], exec
	s_andn2_b64 s[40:41], s[40:41], exec
	s_and_b64 s[2:3], s[2:3], exec
	v_addc_co_u32_e32 v7, vcc, 0, v7, vcc
	s_or_b64 s[42:43], s[42:43], s[46:47]
	s_andn2_b64 s[0:1], s[0:1], exec
	s_or_b64 s[40:41], s[40:41], s[2:3]
                                        ; implicit-def: $sgpr46_sgpr47
	s_branch .LBB1483_158
.LBB1483_161:
	s_or_b64 exec, exec, s[36:37]
	s_xor_b64 s[0:1], s[38:39], -1
	s_branch .LBB1483_163
.LBB1483_162:
	s_mov_b64 s[0:1], -1
.LBB1483_163:
	s_and_b64 s[0:1], s[0:1], exec
.LBB1483_164:
	s_or_b64 exec, exec, s[34:35]
	s_orn2_b64 s[0:1], s[0:1], exec
.LBB1483_165:
	s_or_b64 exec, exec, s[30:31]
	v_cndmask_b32_e64 v6, v23, v22, s[0:1]
	v_cndmask_b32_e64 v7, v15, v14, s[0:1]
	;; [unrolled: 1-line block ×3, first 2 shown]
	v_add_u32_e32 v10, 1, v6
	v_add_u32_e32 v6, -1, v7
	v_min_u32_e32 v6, v10, v6
	v_lshl_add_u32 v6, v6, 3, v16
	v_cndmask_b32_e64 v2, v9, v11, s[28:29]
	ds_read_b64 v[8:9], v6
	v_cndmask_b32_e64 v11, v10, v23, s[0:1]
	v_cndmask_b32_e64 v1, v5, v1, s[26:27]
	;; [unrolled: 1-line block ×5, first 2 shown]
	s_waitcnt lgkmcnt(0)
	v_cndmask_b32_e64 v7, v24, v9, s[0:1]
	v_cndmask_b32_e64 v6, v25, v8, s[0:1]
	v_cmp_lt_u32_e32 vcc, v11, v15
	s_and_saveexec_b64 s[26:27], vcc
	s_cbranch_execz .LBB1483_175
; %bb.166:
	v_cndmask_b32_e64 v10, v22, v10, s[0:1]
	v_cndmask_b32_e64 v9, v9, v20, s[0:1]
	;; [unrolled: 1-line block ×3, first 2 shown]
	v_cmp_lt_u32_e32 vcc, v10, v14
	s_and_saveexec_b64 s[28:29], vcc
	s_cbranch_execz .LBB1483_174
; %bb.167:
	s_andn2_b64 vcc, exec, s[24:25]
	s_cbranch_vccnz .LBB1483_173
; %bb.168:
	v_mul_lo_u32 v14, v9, s16
	v_mul_lo_u32 v15, v8, s17
	v_mad_u64_u32 v[10:11], s[0:1], v8, s16, 0
	v_add3_u32 v11, v11, v15, v14
	v_lshlrev_b64 v[10:11], 2, v[10:11]
	v_mov_b32_e32 v14, s19
	v_add_co_u32_e32 v10, vcc, s18, v10
	v_addc_co_u32_e32 v11, vcc, v14, v11, vcc
	v_mul_lo_u32 v20, v7, s16
	v_mul_lo_u32 v21, v6, s17
	v_mad_u64_u32 v[14:15], s[0:1], v6, s16, 0
	v_add3_u32 v15, v15, v21, v20
	v_lshlrev_b64 v[14:15], 2, v[14:15]
	v_mov_b32_e32 v20, s19
	v_add_co_u32_e32 v14, vcc, s18, v14
	v_addc_co_u32_e32 v15, vcc, v20, v15, vcc
	s_mov_b64 s[30:31], 0
	s_mov_b64 s[40:41], s[16:17]
                                        ; implicit-def: $sgpr34_sgpr35
                                        ; implicit-def: $sgpr36_sgpr37
                                        ; implicit-def: $sgpr0_sgpr1
                                        ; implicit-def: $sgpr38_sgpr39
                                        ; implicit-def: $sgpr42_sgpr43
	s_branch .LBB1483_170
.LBB1483_169:                           ;   in Loop: Header=BB1483_170 Depth=1
	s_or_b64 exec, exec, s[44:45]
	s_and_b64 s[2:3], exec, s[36:37]
	s_or_b64 s[30:31], s[2:3], s[30:31]
	s_andn2_b64 s[2:3], s[42:43], exec
	s_and_b64 s[42:43], s[38:39], exec
	s_or_b64 s[42:43], s[2:3], s[42:43]
	s_andn2_b64 s[2:3], s[34:35], exec
	s_and_b64 s[34:35], s[0:1], exec
	s_or_b64 s[34:35], s[2:3], s[34:35]
	s_andn2_b64 exec, exec, s[30:31]
	s_cbranch_execz .LBB1483_172
.LBB1483_170:                           ; =>This Inner Loop Header: Depth=1
	global_load_dword v20, v[10:11], off
	global_load_dword v21, v[14:15], off
	s_andn2_b64 s[44:45], s[0:1], exec
	s_andn2_b64 s[38:39], s[38:39], exec
	s_or_b64 s[36:37], s[36:37], exec
	s_waitcnt vmcnt(0)
	v_cmp_le_u32_e64 s[0:1], v20, v21
	v_cmp_lt_u32_e32 vcc, v20, v21
	s_and_b64 s[0:1], s[0:1], s[42:43]
	s_or_b64 s[46:47], vcc, s[0:1]
	s_and_b64 s[0:1], s[46:47], exec
	v_cmp_eq_u32_e64 s[2:3], v20, v21
	s_or_b64 s[0:1], s[44:45], s[0:1]
	s_and_saveexec_b64 s[44:45], s[2:3]
	s_cbranch_execz .LBB1483_169
; %bb.171:                              ;   in Loop: Header=BB1483_170 Depth=1
	s_add_u32 s40, s40, -1
	s_addc_u32 s41, s41, -1
	v_add_co_u32_e32 v10, vcc, 4, v10
	s_cmp_eq_u64 s[40:41], 0
	v_addc_co_u32_e32 v11, vcc, 0, v11, vcc
	s_cselect_b64 s[2:3], -1, 0
	v_add_co_u32_e32 v14, vcc, 4, v14
	s_andn2_b64 s[38:39], s[38:39], exec
	s_and_b64 s[42:43], s[46:47], exec
	s_andn2_b64 s[36:37], s[36:37], exec
	s_and_b64 s[2:3], s[2:3], exec
	v_addc_co_u32_e32 v15, vcc, 0, v15, vcc
	s_or_b64 s[38:39], s[38:39], s[42:43]
	s_andn2_b64 s[0:1], s[0:1], exec
	s_or_b64 s[36:37], s[36:37], s[2:3]
                                        ; implicit-def: $sgpr42_sgpr43
	s_branch .LBB1483_169
.LBB1483_172:
	s_or_b64 exec, exec, s[30:31]
	v_cndmask_b32_e64 v7, v7, v9, s[34:35]
	v_cndmask_b32_e64 v6, v6, v8, s[34:35]
.LBB1483_173:
	v_pk_mov_b32 v[8:9], v[6:7], v[6:7] op_sel:[0,1]
.LBB1483_174:
	s_or_b64 exec, exec, s[28:29]
	v_pk_mov_b32 v[6:7], v[8:9], v[8:9] op_sel:[0,1]
.LBB1483_175:
	s_or_b64 exec, exec, s[26:27]
.LBB1483_176:
	s_or_b64 exec, exec, s[4:5]
	v_and_b32_e32 v20, 0x1e0, v18
	v_or_b32_e32 v8, 16, v20
	v_min_u32_e32 v14, v17, v8
	v_add_u32_e32 v8, 16, v14
	v_min_u32_e32 v15, v17, v8
	v_and_b32_e32 v8, 28, v18
	v_min_u32_e32 v21, v17, v8
	v_sub_u32_e32 v8, v14, v20
	v_sub_u32_e32 v9, v15, v14
	v_sub_u32_e64 v23, v21, v9 clamp
	v_min_u32_e32 v24, v21, v8
	v_lshl_add_u32 v22, v20, 3, v16
	v_cmp_lt_u32_e32 vcc, v23, v24
	; wave barrier
	ds_write_b128 v19, v[0:3]
	ds_write_b128 v19, v[4:7] offset:16
	; wave barrier
	s_and_saveexec_b64 s[26:27], vcc
	s_cbranch_execz .LBB1483_186
; %bb.177:
	v_lshlrev_b32_e32 v8, 3, v14
	v_lshlrev_b32_e32 v9, 3, v21
	v_add3_u32 v25, v16, v8, v9
	v_cndmask_b32_e64 v8, 0, 1, s[24:25]
	s_lshl_b64 s[30:31], s[16:17], 2
	s_mov_b64 s[28:29], 0
	v_cmp_ne_u32_e64 s[0:1], 1, v8
	s_branch .LBB1483_180
.LBB1483_178:                           ;   in Loop: Header=BB1483_180 Depth=1
	s_or_b64 exec, exec, s[36:37]
.LBB1483_179:                           ;   in Loop: Header=BB1483_180 Depth=1
	v_add_u32_e32 v8, 1, v37
	v_cndmask_b32_e64 v24, v24, v37, s[34:35]
	v_cndmask_b32_e64 v23, v8, v23, s[34:35]
	v_cmp_ge_u32_e32 vcc, v23, v24
	s_or_b64 s[28:29], vcc, s[28:29]
	s_andn2_b64 exec, exec, s[28:29]
	s_cbranch_execz .LBB1483_185
.LBB1483_180:                           ; =>This Loop Header: Depth=1
                                        ;     Child Loop BB1483_183 Depth 2
	v_add_u32_e32 v8, v24, v23
	v_lshrrev_b32_e32 v37, 1, v8
	s_and_b64 vcc, exec, s[0:1]
	s_mov_b64 s[34:35], 0
	s_cbranch_vccnz .LBB1483_179
; %bb.181:                              ;   in Loop: Header=BB1483_180 Depth=1
	v_not_b32_e32 v8, v37
	v_lshl_add_u32 v8, v8, 3, v25
	ds_read_b64 v[8:9], v8
	v_lshl_add_u32 v38, v37, 3, v22
	ds_read_b64 v[38:39], v38
	v_pk_mov_b32 v[10:11], s[18:19], s[18:19] op_sel:[0,1]
	s_mov_b64 s[36:37], 0
	s_waitcnt lgkmcnt(1)
	v_mul_lo_u32 v40, s30, v9
	v_mul_lo_u32 v41, s31, v8
	v_mad_u64_u32 v[8:9], s[2:3], s30, v8, v[10:11]
	v_add3_u32 v9, v41, v9, v40
	s_waitcnt lgkmcnt(0)
	v_mul_lo_u32 v39, s30, v39
	v_mul_lo_u32 v40, s31, v38
	v_mad_u64_u32 v[10:11], s[2:3], s30, v38, v[10:11]
	v_add3_u32 v11, v40, v11, v39
	s_mov_b64 s[42:43], s[16:17]
                                        ; implicit-def: $sgpr34_sgpr35
                                        ; implicit-def: $sgpr38_sgpr39
                                        ; implicit-def: $sgpr40_sgpr41
                                        ; implicit-def: $sgpr2_sgpr3
                                        ; implicit-def: $sgpr44_sgpr45
	s_branch .LBB1483_183
.LBB1483_182:                           ;   in Loop: Header=BB1483_183 Depth=2
	s_or_b64 exec, exec, s[46:47]
	s_and_b64 s[4:5], exec, s[38:39]
	s_or_b64 s[36:37], s[4:5], s[36:37]
	s_andn2_b64 s[4:5], s[44:45], exec
	s_and_b64 s[44:45], s[40:41], exec
	s_or_b64 s[44:45], s[4:5], s[44:45]
	s_andn2_b64 s[4:5], s[34:35], exec
	s_and_b64 s[34:35], s[2:3], exec
	s_or_b64 s[34:35], s[4:5], s[34:35]
	s_andn2_b64 exec, exec, s[36:37]
	s_cbranch_execz .LBB1483_178
.LBB1483_183:                           ;   Parent Loop BB1483_180 Depth=1
                                        ; =>  This Inner Loop Header: Depth=2
	global_load_dword v38, v[8:9], off
	global_load_dword v39, v[10:11], off
	s_andn2_b64 s[46:47], s[2:3], exec
	s_andn2_b64 s[40:41], s[40:41], exec
	s_or_b64 s[38:39], s[38:39], exec
	s_waitcnt vmcnt(0)
	v_cmp_le_u32_e64 s[2:3], v38, v39
	v_cmp_lt_u32_e32 vcc, v38, v39
	s_and_b64 s[2:3], s[2:3], s[44:45]
	s_or_b64 s[48:49], vcc, s[2:3]
	s_and_b64 s[2:3], s[48:49], exec
	v_cmp_eq_u32_e64 s[4:5], v38, v39
	s_or_b64 s[2:3], s[46:47], s[2:3]
	s_and_saveexec_b64 s[46:47], s[4:5]
	s_cbranch_execz .LBB1483_182
; %bb.184:                              ;   in Loop: Header=BB1483_183 Depth=2
	s_add_u32 s42, s42, -1
	s_addc_u32 s43, s43, -1
	v_add_co_u32_e32 v8, vcc, 4, v8
	s_cmp_eq_u64 s[42:43], 0
	v_addc_co_u32_e32 v9, vcc, 0, v9, vcc
	s_cselect_b64 s[4:5], -1, 0
	v_add_co_u32_e32 v10, vcc, 4, v10
	s_andn2_b64 s[40:41], s[40:41], exec
	s_and_b64 s[44:45], s[48:49], exec
	s_andn2_b64 s[38:39], s[38:39], exec
	s_and_b64 s[4:5], s[4:5], exec
	v_addc_co_u32_e32 v11, vcc, 0, v11, vcc
	s_andn2_b64 s[2:3], s[2:3], exec
	s_or_b64 s[40:41], s[40:41], s[44:45]
	s_or_b64 s[38:39], s[38:39], s[4:5]
                                        ; implicit-def: $sgpr44_sgpr45
	s_branch .LBB1483_182
.LBB1483_185:
	s_or_b64 exec, exec, s[28:29]
.LBB1483_186:
	s_or_b64 exec, exec, s[26:27]
	v_add_u32_e32 v8, v14, v21
	v_add_u32_e32 v20, v23, v20
	v_sub_u32_e32 v21, v8, v23
	v_cmp_le_u32_e32 vcc, v20, v14
	v_cmp_le_u32_e64 s[0:1], v21, v15
	s_or_b64 s[0:1], vcc, s[0:1]
	s_and_saveexec_b64 s[4:5], s[0:1]
	s_cbranch_execz .LBB1483_233
; %bb.187:
	v_cmp_ge_u32_e32 vcc, v20, v14
	v_cmp_lt_u32_e64 s[0:1], v20, v14
                                        ; implicit-def: $vgpr0_vgpr1
	s_and_saveexec_b64 s[2:3], s[0:1]
	s_cbranch_execz .LBB1483_189
; %bb.188:
	v_lshl_add_u32 v0, v23, 3, v22
	ds_read_b64 v[0:1], v0
.LBB1483_189:
	s_or_b64 exec, exec, s[2:3]
	v_cmp_ge_u32_e64 s[26:27], v21, v15
	v_cmp_lt_u32_e64 s[0:1], v21, v15
                                        ; implicit-def: $vgpr4_vgpr5
	s_and_saveexec_b64 s[2:3], s[0:1]
	s_cbranch_execz .LBB1483_191
; %bb.190:
	v_lshl_add_u32 v2, v21, 3, v16
	ds_read_b64 v[4:5], v2
.LBB1483_191:
	s_or_b64 exec, exec, s[2:3]
	s_or_b64 s[0:1], vcc, s[26:27]
	s_mov_b64 s[28:29], -1
	s_xor_b64 s[0:1], s[0:1], -1
	s_and_saveexec_b64 s[30:31], s[0:1]
	s_cbranch_execz .LBB1483_200
; %bb.192:
	s_andn2_b64 vcc, exec, s[24:25]
	s_cbranch_vccnz .LBB1483_198
; %bb.193:
	s_waitcnt lgkmcnt(0)
	v_mul_lo_u32 v6, v5, s16
	v_mul_lo_u32 v7, v4, s17
	v_mad_u64_u32 v[2:3], s[0:1], v4, s16, 0
	v_add3_u32 v3, v3, v7, v6
	v_lshlrev_b64 v[2:3], 2, v[2:3]
	v_mov_b32_e32 v6, s19
	v_add_co_u32_e32 v2, vcc, s18, v2
	v_addc_co_u32_e32 v3, vcc, v6, v3, vcc
	v_mul_lo_u32 v8, v1, s16
	v_mul_lo_u32 v9, v0, s17
	v_mad_u64_u32 v[6:7], s[0:1], v0, s16, 0
	v_add3_u32 v7, v7, v9, v8
	v_lshlrev_b64 v[6:7], 2, v[6:7]
	v_mov_b32_e32 v8, s19
	v_add_co_u32_e32 v6, vcc, s18, v6
	v_addc_co_u32_e32 v7, vcc, v8, v7, vcc
	s_mov_b64 s[34:35], 0
	s_mov_b64 s[42:43], s[16:17]
                                        ; implicit-def: $sgpr36_sgpr37
                                        ; implicit-def: $sgpr38_sgpr39
                                        ; implicit-def: $sgpr0_sgpr1
                                        ; implicit-def: $sgpr40_sgpr41
                                        ; implicit-def: $sgpr44_sgpr45
	s_branch .LBB1483_195
.LBB1483_194:                           ;   in Loop: Header=BB1483_195 Depth=1
	s_or_b64 exec, exec, s[46:47]
	s_and_b64 s[2:3], exec, s[38:39]
	s_or_b64 s[34:35], s[2:3], s[34:35]
	s_andn2_b64 s[2:3], s[44:45], exec
	s_and_b64 s[44:45], s[40:41], exec
	s_or_b64 s[44:45], s[2:3], s[44:45]
	s_andn2_b64 s[2:3], s[36:37], exec
	s_and_b64 s[36:37], s[0:1], exec
	s_or_b64 s[36:37], s[2:3], s[36:37]
	s_andn2_b64 exec, exec, s[34:35]
	s_cbranch_execz .LBB1483_197
.LBB1483_195:                           ; =>This Inner Loop Header: Depth=1
	global_load_dword v8, v[2:3], off
	global_load_dword v9, v[6:7], off
	s_andn2_b64 s[46:47], s[0:1], exec
	s_andn2_b64 s[40:41], s[40:41], exec
	s_or_b64 s[38:39], s[38:39], exec
	s_waitcnt vmcnt(0)
	v_cmp_le_u32_e64 s[0:1], v8, v9
	v_cmp_lt_u32_e32 vcc, v8, v9
	s_and_b64 s[0:1], s[0:1], s[44:45]
	s_or_b64 s[48:49], vcc, s[0:1]
	s_and_b64 s[0:1], s[48:49], exec
	v_cmp_eq_u32_e64 s[2:3], v8, v9
	s_or_b64 s[0:1], s[46:47], s[0:1]
	s_and_saveexec_b64 s[46:47], s[2:3]
	s_cbranch_execz .LBB1483_194
; %bb.196:                              ;   in Loop: Header=BB1483_195 Depth=1
	s_add_u32 s42, s42, -1
	s_addc_u32 s43, s43, -1
	v_add_co_u32_e32 v2, vcc, 4, v2
	s_cmp_eq_u64 s[42:43], 0
	v_addc_co_u32_e32 v3, vcc, 0, v3, vcc
	s_cselect_b64 s[2:3], -1, 0
	v_add_co_u32_e32 v6, vcc, 4, v6
	s_andn2_b64 s[40:41], s[40:41], exec
	s_and_b64 s[44:45], s[48:49], exec
	s_andn2_b64 s[38:39], s[38:39], exec
	s_and_b64 s[2:3], s[2:3], exec
	v_addc_co_u32_e32 v7, vcc, 0, v7, vcc
	s_or_b64 s[40:41], s[40:41], s[44:45]
	s_andn2_b64 s[0:1], s[0:1], exec
	s_or_b64 s[38:39], s[38:39], s[2:3]
                                        ; implicit-def: $sgpr44_sgpr45
	s_branch .LBB1483_194
.LBB1483_197:
	s_or_b64 exec, exec, s[34:35]
	s_xor_b64 s[0:1], s[36:37], -1
	s_branch .LBB1483_199
.LBB1483_198:
	s_mov_b64 s[0:1], -1
.LBB1483_199:
	s_andn2_b64 s[2:3], s[26:27], exec
	s_and_b64 s[0:1], s[0:1], exec
	s_or_b64 s[26:27], s[2:3], s[0:1]
.LBB1483_200:
	s_or_b64 exec, exec, s[30:31]
	v_cndmask_b32_e64 v2, v21, v20, s[26:27]
	v_cndmask_b32_e64 v3, v15, v14, s[26:27]
	v_add_u32_e32 v6, 1, v2
	v_add_u32_e32 v2, -1, v3
	v_min_u32_e32 v2, v6, v2
	v_lshl_add_u32 v2, v2, 3, v16
	ds_read_b64 v[2:3], v2
	v_cndmask_b32_e64 v22, v6, v21, s[26:27]
	v_cndmask_b32_e64 v37, v20, v6, s[26:27]
	v_cmp_lt_u32_e32 vcc, v22, v15
	s_waitcnt lgkmcnt(0)
	v_cndmask_b32_e64 v8, v3, v5, s[26:27]
	v_cndmask_b32_e64 v9, v2, v4, s[26:27]
	;; [unrolled: 1-line block ×4, first 2 shown]
	s_and_saveexec_b64 s[30:31], vcc
	s_cbranch_execz .LBB1483_211
; %bb.201:
	v_cmp_lt_u32_e32 vcc, v37, v14
	s_mov_b64 s[0:1], 0
	s_and_saveexec_b64 s[28:29], vcc
	s_cbranch_execz .LBB1483_210
; %bb.202:
	s_andn2_b64 vcc, exec, s[24:25]
	s_cbranch_vccnz .LBB1483_208
; %bb.203:
	v_mul_lo_u32 v6, v8, s16
	v_mul_lo_u32 v7, v9, s17
	v_mad_u64_u32 v[2:3], s[0:1], v9, s16, 0
	v_add3_u32 v3, v3, v7, v6
	v_lshlrev_b64 v[2:3], 2, v[2:3]
	v_mov_b32_e32 v6, s19
	v_add_co_u32_e32 v2, vcc, s18, v2
	v_addc_co_u32_e32 v3, vcc, v6, v3, vcc
	v_mul_lo_u32 v20, v10, s16
	v_mul_lo_u32 v21, v11, s17
	v_mad_u64_u32 v[6:7], s[0:1], v11, s16, 0
	v_add3_u32 v7, v7, v21, v20
	v_lshlrev_b64 v[6:7], 2, v[6:7]
	v_mov_b32_e32 v20, s19
	v_add_co_u32_e32 v6, vcc, s18, v6
	v_addc_co_u32_e32 v7, vcc, v20, v7, vcc
	s_mov_b64 s[34:35], 0
	s_mov_b64 s[42:43], s[16:17]
                                        ; implicit-def: $sgpr36_sgpr37
                                        ; implicit-def: $sgpr38_sgpr39
                                        ; implicit-def: $sgpr0_sgpr1
                                        ; implicit-def: $sgpr40_sgpr41
                                        ; implicit-def: $sgpr44_sgpr45
	s_branch .LBB1483_205
.LBB1483_204:                           ;   in Loop: Header=BB1483_205 Depth=1
	s_or_b64 exec, exec, s[46:47]
	s_and_b64 s[2:3], exec, s[38:39]
	s_or_b64 s[34:35], s[2:3], s[34:35]
	s_andn2_b64 s[2:3], s[44:45], exec
	s_and_b64 s[44:45], s[40:41], exec
	s_or_b64 s[44:45], s[2:3], s[44:45]
	s_andn2_b64 s[2:3], s[36:37], exec
	s_and_b64 s[36:37], s[0:1], exec
	s_or_b64 s[36:37], s[2:3], s[36:37]
	s_andn2_b64 exec, exec, s[34:35]
	s_cbranch_execz .LBB1483_207
.LBB1483_205:                           ; =>This Inner Loop Header: Depth=1
	global_load_dword v20, v[2:3], off
	global_load_dword v21, v[6:7], off
	s_andn2_b64 s[46:47], s[0:1], exec
	s_andn2_b64 s[40:41], s[40:41], exec
	s_or_b64 s[38:39], s[38:39], exec
	s_waitcnt vmcnt(0)
	v_cmp_le_u32_e64 s[0:1], v20, v21
	v_cmp_lt_u32_e32 vcc, v20, v21
	s_and_b64 s[0:1], s[0:1], s[44:45]
	s_or_b64 s[48:49], vcc, s[0:1]
	s_and_b64 s[0:1], s[48:49], exec
	v_cmp_eq_u32_e64 s[2:3], v20, v21
	s_or_b64 s[0:1], s[46:47], s[0:1]
	s_and_saveexec_b64 s[46:47], s[2:3]
	s_cbranch_execz .LBB1483_204
; %bb.206:                              ;   in Loop: Header=BB1483_205 Depth=1
	s_add_u32 s42, s42, -1
	s_addc_u32 s43, s43, -1
	v_add_co_u32_e32 v2, vcc, 4, v2
	s_cmp_eq_u64 s[42:43], 0
	v_addc_co_u32_e32 v3, vcc, 0, v3, vcc
	s_cselect_b64 s[2:3], -1, 0
	v_add_co_u32_e32 v6, vcc, 4, v6
	s_andn2_b64 s[40:41], s[40:41], exec
	s_and_b64 s[44:45], s[48:49], exec
	s_andn2_b64 s[38:39], s[38:39], exec
	s_and_b64 s[2:3], s[2:3], exec
	v_addc_co_u32_e32 v7, vcc, 0, v7, vcc
	s_or_b64 s[40:41], s[40:41], s[44:45]
	s_andn2_b64 s[0:1], s[0:1], exec
	s_or_b64 s[38:39], s[38:39], s[2:3]
                                        ; implicit-def: $sgpr44_sgpr45
	s_branch .LBB1483_204
.LBB1483_207:
	s_or_b64 exec, exec, s[34:35]
	s_xor_b64 s[0:1], s[36:37], -1
	s_branch .LBB1483_209
.LBB1483_208:
	s_mov_b64 s[0:1], -1
.LBB1483_209:
	s_and_b64 s[0:1], s[0:1], exec
.LBB1483_210:
	s_or_b64 exec, exec, s[28:29]
	s_orn2_b64 s[28:29], s[0:1], exec
.LBB1483_211:
	s_or_b64 exec, exec, s[30:31]
	v_cndmask_b32_e64 v2, v22, v37, s[28:29]
	v_cndmask_b32_e64 v3, v15, v14, s[28:29]
	v_add_u32_e32 v6, 1, v2
	v_add_u32_e32 v2, -1, v3
	v_min_u32_e32 v2, v6, v2
	v_lshl_add_u32 v2, v2, 3, v16
	ds_read_b64 v[2:3], v2
	v_cndmask_b32_e64 v23, v6, v22, s[28:29]
	v_cndmask_b32_e64 v22, v37, v6, s[28:29]
	v_cmp_lt_u32_e32 vcc, v23, v15
	s_mov_b64 s[0:1], -1
	s_waitcnt lgkmcnt(0)
	v_cndmask_b32_e64 v20, v3, v8, s[28:29]
	v_cndmask_b32_e64 v21, v2, v9, s[28:29]
	;; [unrolled: 1-line block ×4, first 2 shown]
	s_and_saveexec_b64 s[30:31], vcc
	s_cbranch_execz .LBB1483_222
; %bb.212:
	v_cmp_lt_u32_e32 vcc, v22, v14
	s_mov_b64 s[0:1], 0
	s_and_saveexec_b64 s[34:35], vcc
	s_cbranch_execz .LBB1483_221
; %bb.213:
	s_andn2_b64 vcc, exec, s[24:25]
	s_cbranch_vccnz .LBB1483_219
; %bb.214:
	v_mul_lo_u32 v6, v20, s16
	v_mul_lo_u32 v7, v21, s17
	v_mad_u64_u32 v[2:3], s[0:1], v21, s16, 0
	v_add3_u32 v3, v3, v7, v6
	v_lshlrev_b64 v[2:3], 2, v[2:3]
	v_mov_b32_e32 v6, s19
	v_add_co_u32_e32 v2, vcc, s18, v2
	v_addc_co_u32_e32 v3, vcc, v6, v3, vcc
	v_mul_lo_u32 v37, v24, s16
	v_mul_lo_u32 v38, v25, s17
	v_mad_u64_u32 v[6:7], s[0:1], v25, s16, 0
	v_add3_u32 v7, v7, v38, v37
	v_lshlrev_b64 v[6:7], 2, v[6:7]
	v_mov_b32_e32 v37, s19
	v_add_co_u32_e32 v6, vcc, s18, v6
	v_addc_co_u32_e32 v7, vcc, v37, v7, vcc
	s_mov_b64 s[36:37], 0
	s_mov_b64 s[44:45], s[16:17]
                                        ; implicit-def: $sgpr38_sgpr39
                                        ; implicit-def: $sgpr40_sgpr41
                                        ; implicit-def: $sgpr0_sgpr1
                                        ; implicit-def: $sgpr42_sgpr43
                                        ; implicit-def: $sgpr46_sgpr47
	s_branch .LBB1483_216
.LBB1483_215:                           ;   in Loop: Header=BB1483_216 Depth=1
	s_or_b64 exec, exec, s[48:49]
	s_and_b64 s[2:3], exec, s[40:41]
	s_or_b64 s[36:37], s[2:3], s[36:37]
	s_andn2_b64 s[2:3], s[46:47], exec
	s_and_b64 s[46:47], s[42:43], exec
	s_or_b64 s[46:47], s[2:3], s[46:47]
	s_andn2_b64 s[2:3], s[38:39], exec
	s_and_b64 s[38:39], s[0:1], exec
	s_or_b64 s[38:39], s[2:3], s[38:39]
	s_andn2_b64 exec, exec, s[36:37]
	s_cbranch_execz .LBB1483_218
.LBB1483_216:                           ; =>This Inner Loop Header: Depth=1
	global_load_dword v37, v[2:3], off
	global_load_dword v38, v[6:7], off
	s_andn2_b64 s[48:49], s[0:1], exec
	s_andn2_b64 s[42:43], s[42:43], exec
	s_or_b64 s[40:41], s[40:41], exec
	s_waitcnt vmcnt(0)
	v_cmp_le_u32_e64 s[0:1], v37, v38
	v_cmp_lt_u32_e32 vcc, v37, v38
	s_and_b64 s[0:1], s[0:1], s[46:47]
	s_or_b64 s[50:51], vcc, s[0:1]
	s_and_b64 s[0:1], s[50:51], exec
	v_cmp_eq_u32_e64 s[2:3], v37, v38
	s_or_b64 s[0:1], s[48:49], s[0:1]
	s_and_saveexec_b64 s[48:49], s[2:3]
	s_cbranch_execz .LBB1483_215
; %bb.217:                              ;   in Loop: Header=BB1483_216 Depth=1
	s_add_u32 s44, s44, -1
	s_addc_u32 s45, s45, -1
	v_add_co_u32_e32 v2, vcc, 4, v2
	s_cmp_eq_u64 s[44:45], 0
	v_addc_co_u32_e32 v3, vcc, 0, v3, vcc
	s_cselect_b64 s[2:3], -1, 0
	v_add_co_u32_e32 v6, vcc, 4, v6
	s_andn2_b64 s[42:43], s[42:43], exec
	s_and_b64 s[46:47], s[50:51], exec
	s_andn2_b64 s[40:41], s[40:41], exec
	s_and_b64 s[2:3], s[2:3], exec
	v_addc_co_u32_e32 v7, vcc, 0, v7, vcc
	s_or_b64 s[42:43], s[42:43], s[46:47]
	s_andn2_b64 s[0:1], s[0:1], exec
	s_or_b64 s[40:41], s[40:41], s[2:3]
                                        ; implicit-def: $sgpr46_sgpr47
	s_branch .LBB1483_215
.LBB1483_218:
	s_or_b64 exec, exec, s[36:37]
	s_xor_b64 s[0:1], s[38:39], -1
	s_branch .LBB1483_220
.LBB1483_219:
	s_mov_b64 s[0:1], -1
.LBB1483_220:
	s_and_b64 s[0:1], s[0:1], exec
.LBB1483_221:
	s_or_b64 exec, exec, s[34:35]
	s_orn2_b64 s[0:1], s[0:1], exec
.LBB1483_222:
	s_or_b64 exec, exec, s[30:31]
	v_cndmask_b32_e64 v6, v23, v22, s[0:1]
	v_cndmask_b32_e64 v7, v15, v14, s[0:1]
	;; [unrolled: 1-line block ×3, first 2 shown]
	v_add_u32_e32 v10, 1, v6
	v_add_u32_e32 v6, -1, v7
	v_min_u32_e32 v6, v10, v6
	v_lshl_add_u32 v6, v6, 3, v16
	v_cndmask_b32_e64 v2, v9, v11, s[28:29]
	ds_read_b64 v[8:9], v6
	v_cndmask_b32_e64 v11, v10, v23, s[0:1]
	v_cndmask_b32_e64 v1, v5, v1, s[26:27]
	;; [unrolled: 1-line block ×5, first 2 shown]
	s_waitcnt lgkmcnt(0)
	v_cndmask_b32_e64 v7, v24, v9, s[0:1]
	v_cndmask_b32_e64 v6, v25, v8, s[0:1]
	v_cmp_lt_u32_e32 vcc, v11, v15
	s_and_saveexec_b64 s[26:27], vcc
	s_cbranch_execz .LBB1483_232
; %bb.223:
	v_cndmask_b32_e64 v10, v22, v10, s[0:1]
	v_cndmask_b32_e64 v9, v9, v20, s[0:1]
	;; [unrolled: 1-line block ×3, first 2 shown]
	v_cmp_lt_u32_e32 vcc, v10, v14
	s_and_saveexec_b64 s[28:29], vcc
	s_cbranch_execz .LBB1483_231
; %bb.224:
	s_andn2_b64 vcc, exec, s[24:25]
	s_cbranch_vccnz .LBB1483_230
; %bb.225:
	v_mul_lo_u32 v14, v9, s16
	v_mul_lo_u32 v15, v8, s17
	v_mad_u64_u32 v[10:11], s[0:1], v8, s16, 0
	v_add3_u32 v11, v11, v15, v14
	v_lshlrev_b64 v[10:11], 2, v[10:11]
	v_mov_b32_e32 v14, s19
	v_add_co_u32_e32 v10, vcc, s18, v10
	v_addc_co_u32_e32 v11, vcc, v14, v11, vcc
	v_mul_lo_u32 v20, v7, s16
	v_mul_lo_u32 v21, v6, s17
	v_mad_u64_u32 v[14:15], s[0:1], v6, s16, 0
	v_add3_u32 v15, v15, v21, v20
	v_lshlrev_b64 v[14:15], 2, v[14:15]
	v_mov_b32_e32 v20, s19
	v_add_co_u32_e32 v14, vcc, s18, v14
	v_addc_co_u32_e32 v15, vcc, v20, v15, vcc
	s_mov_b64 s[30:31], 0
	s_mov_b64 s[40:41], s[16:17]
                                        ; implicit-def: $sgpr34_sgpr35
                                        ; implicit-def: $sgpr36_sgpr37
                                        ; implicit-def: $sgpr0_sgpr1
                                        ; implicit-def: $sgpr38_sgpr39
                                        ; implicit-def: $sgpr42_sgpr43
	s_branch .LBB1483_227
.LBB1483_226:                           ;   in Loop: Header=BB1483_227 Depth=1
	s_or_b64 exec, exec, s[44:45]
	s_and_b64 s[2:3], exec, s[36:37]
	s_or_b64 s[30:31], s[2:3], s[30:31]
	s_andn2_b64 s[2:3], s[42:43], exec
	s_and_b64 s[42:43], s[38:39], exec
	s_or_b64 s[42:43], s[2:3], s[42:43]
	s_andn2_b64 s[2:3], s[34:35], exec
	s_and_b64 s[34:35], s[0:1], exec
	s_or_b64 s[34:35], s[2:3], s[34:35]
	s_andn2_b64 exec, exec, s[30:31]
	s_cbranch_execz .LBB1483_229
.LBB1483_227:                           ; =>This Inner Loop Header: Depth=1
	global_load_dword v20, v[10:11], off
	global_load_dword v21, v[14:15], off
	s_andn2_b64 s[44:45], s[0:1], exec
	s_andn2_b64 s[38:39], s[38:39], exec
	s_or_b64 s[36:37], s[36:37], exec
	s_waitcnt vmcnt(0)
	v_cmp_le_u32_e64 s[0:1], v20, v21
	v_cmp_lt_u32_e32 vcc, v20, v21
	s_and_b64 s[0:1], s[0:1], s[42:43]
	s_or_b64 s[46:47], vcc, s[0:1]
	s_and_b64 s[0:1], s[46:47], exec
	v_cmp_eq_u32_e64 s[2:3], v20, v21
	s_or_b64 s[0:1], s[44:45], s[0:1]
	s_and_saveexec_b64 s[44:45], s[2:3]
	s_cbranch_execz .LBB1483_226
; %bb.228:                              ;   in Loop: Header=BB1483_227 Depth=1
	s_add_u32 s40, s40, -1
	s_addc_u32 s41, s41, -1
	v_add_co_u32_e32 v10, vcc, 4, v10
	s_cmp_eq_u64 s[40:41], 0
	v_addc_co_u32_e32 v11, vcc, 0, v11, vcc
	s_cselect_b64 s[2:3], -1, 0
	v_add_co_u32_e32 v14, vcc, 4, v14
	s_andn2_b64 s[38:39], s[38:39], exec
	s_and_b64 s[42:43], s[46:47], exec
	s_andn2_b64 s[36:37], s[36:37], exec
	s_and_b64 s[2:3], s[2:3], exec
	v_addc_co_u32_e32 v15, vcc, 0, v15, vcc
	s_or_b64 s[38:39], s[38:39], s[42:43]
	s_andn2_b64 s[0:1], s[0:1], exec
	s_or_b64 s[36:37], s[36:37], s[2:3]
                                        ; implicit-def: $sgpr42_sgpr43
	s_branch .LBB1483_226
.LBB1483_229:
	s_or_b64 exec, exec, s[30:31]
	v_cndmask_b32_e64 v7, v7, v9, s[34:35]
	v_cndmask_b32_e64 v6, v6, v8, s[34:35]
.LBB1483_230:
	v_pk_mov_b32 v[8:9], v[6:7], v[6:7] op_sel:[0,1]
.LBB1483_231:
	s_or_b64 exec, exec, s[28:29]
	v_pk_mov_b32 v[6:7], v[8:9], v[8:9] op_sel:[0,1]
.LBB1483_232:
	s_or_b64 exec, exec, s[26:27]
.LBB1483_233:
	s_or_b64 exec, exec, s[4:5]
	v_and_b32_e32 v21, 0x1c0, v18
	v_or_b32_e32 v8, 32, v21
	v_min_u32_e32 v14, v17, v8
	v_add_u32_e32 v8, 32, v14
	v_min_u32_e32 v15, v17, v8
	v_and_b32_e32 v8, 60, v18
	v_min_u32_e32 v18, v17, v8
	v_sub_u32_e32 v8, v14, v21
	v_sub_u32_e32 v9, v15, v14
	v_sub_u32_e64 v20, v18, v9 clamp
	v_min_u32_e32 v17, v18, v8
	; wave barrier
	ds_write_b128 v19, v[0:3]
	ds_write_b128 v19, v[4:7] offset:16
	v_lshl_add_u32 v19, v21, 3, v16
	v_cmp_lt_u32_e32 vcc, v20, v17
	; wave barrier
	s_and_saveexec_b64 s[26:27], vcc
	s_cbranch_execz .LBB1483_243
; %bb.234:
	v_lshlrev_b32_e32 v8, 3, v14
	v_lshlrev_b32_e32 v9, 3, v18
	v_add3_u32 v22, v16, v8, v9
	v_cndmask_b32_e64 v8, 0, 1, s[24:25]
	s_lshl_b64 s[30:31], s[16:17], 2
	s_mov_b64 s[28:29], 0
	v_cmp_ne_u32_e64 s[0:1], 1, v8
	s_branch .LBB1483_237
.LBB1483_235:                           ;   in Loop: Header=BB1483_237 Depth=1
	s_or_b64 exec, exec, s[36:37]
.LBB1483_236:                           ;   in Loop: Header=BB1483_237 Depth=1
	v_add_u32_e32 v8, 1, v23
	v_cndmask_b32_e64 v17, v17, v23, s[34:35]
	v_cndmask_b32_e64 v20, v8, v20, s[34:35]
	v_cmp_ge_u32_e32 vcc, v20, v17
	s_or_b64 s[28:29], vcc, s[28:29]
	s_andn2_b64 exec, exec, s[28:29]
	s_cbranch_execz .LBB1483_242
.LBB1483_237:                           ; =>This Loop Header: Depth=1
                                        ;     Child Loop BB1483_240 Depth 2
	v_add_u32_e32 v8, v17, v20
	v_lshrrev_b32_e32 v23, 1, v8
	s_and_b64 vcc, exec, s[0:1]
	s_mov_b64 s[34:35], 0
	s_cbranch_vccnz .LBB1483_236
; %bb.238:                              ;   in Loop: Header=BB1483_237 Depth=1
	v_not_b32_e32 v8, v23
	v_lshl_add_u32 v8, v8, 3, v22
	ds_read_b64 v[8:9], v8
	v_lshl_add_u32 v24, v23, 3, v19
	ds_read_b64 v[24:25], v24
	v_pk_mov_b32 v[10:11], s[18:19], s[18:19] op_sel:[0,1]
	s_mov_b64 s[36:37], 0
	s_waitcnt lgkmcnt(1)
	v_mul_lo_u32 v37, s30, v9
	v_mul_lo_u32 v38, s31, v8
	v_mad_u64_u32 v[8:9], s[2:3], s30, v8, v[10:11]
	v_add3_u32 v9, v38, v9, v37
	s_waitcnt lgkmcnt(0)
	v_mul_lo_u32 v25, s30, v25
	v_mul_lo_u32 v37, s31, v24
	v_mad_u64_u32 v[10:11], s[2:3], s30, v24, v[10:11]
	v_add3_u32 v11, v37, v11, v25
	s_mov_b64 s[42:43], s[16:17]
                                        ; implicit-def: $sgpr34_sgpr35
                                        ; implicit-def: $sgpr38_sgpr39
                                        ; implicit-def: $sgpr40_sgpr41
                                        ; implicit-def: $sgpr2_sgpr3
                                        ; implicit-def: $sgpr44_sgpr45
	s_branch .LBB1483_240
.LBB1483_239:                           ;   in Loop: Header=BB1483_240 Depth=2
	s_or_b64 exec, exec, s[46:47]
	s_and_b64 s[4:5], exec, s[38:39]
	s_or_b64 s[36:37], s[4:5], s[36:37]
	s_andn2_b64 s[4:5], s[44:45], exec
	s_and_b64 s[44:45], s[40:41], exec
	s_or_b64 s[44:45], s[4:5], s[44:45]
	s_andn2_b64 s[4:5], s[34:35], exec
	s_and_b64 s[34:35], s[2:3], exec
	s_or_b64 s[34:35], s[4:5], s[34:35]
	s_andn2_b64 exec, exec, s[36:37]
	s_cbranch_execz .LBB1483_235
.LBB1483_240:                           ;   Parent Loop BB1483_237 Depth=1
                                        ; =>  This Inner Loop Header: Depth=2
	global_load_dword v24, v[8:9], off
	global_load_dword v25, v[10:11], off
	s_andn2_b64 s[46:47], s[2:3], exec
	s_andn2_b64 s[40:41], s[40:41], exec
	s_or_b64 s[38:39], s[38:39], exec
	s_waitcnt vmcnt(0)
	v_cmp_le_u32_e64 s[2:3], v24, v25
	v_cmp_lt_u32_e32 vcc, v24, v25
	s_and_b64 s[2:3], s[2:3], s[44:45]
	s_or_b64 s[48:49], vcc, s[2:3]
	s_and_b64 s[2:3], s[48:49], exec
	v_cmp_eq_u32_e64 s[4:5], v24, v25
	s_or_b64 s[2:3], s[46:47], s[2:3]
	s_and_saveexec_b64 s[46:47], s[4:5]
	s_cbranch_execz .LBB1483_239
; %bb.241:                              ;   in Loop: Header=BB1483_240 Depth=2
	s_add_u32 s42, s42, -1
	s_addc_u32 s43, s43, -1
	v_add_co_u32_e32 v8, vcc, 4, v8
	s_cmp_eq_u64 s[42:43], 0
	v_addc_co_u32_e32 v9, vcc, 0, v9, vcc
	s_cselect_b64 s[4:5], -1, 0
	v_add_co_u32_e32 v10, vcc, 4, v10
	s_andn2_b64 s[40:41], s[40:41], exec
	s_and_b64 s[44:45], s[48:49], exec
	s_andn2_b64 s[38:39], s[38:39], exec
	s_and_b64 s[4:5], s[4:5], exec
	v_addc_co_u32_e32 v11, vcc, 0, v11, vcc
	s_andn2_b64 s[2:3], s[2:3], exec
	s_or_b64 s[40:41], s[40:41], s[44:45]
	s_or_b64 s[38:39], s[38:39], s[4:5]
                                        ; implicit-def: $sgpr44_sgpr45
	s_branch .LBB1483_239
.LBB1483_242:
	s_or_b64 exec, exec, s[28:29]
.LBB1483_243:
	s_or_b64 exec, exec, s[26:27]
	v_add_u32_e32 v8, v14, v18
	v_add_u32_e32 v17, v20, v21
	v_sub_u32_e32 v18, v8, v20
	v_cmp_le_u32_e32 vcc, v17, v14
	v_cmp_le_u32_e64 s[0:1], v18, v15
	s_or_b64 s[0:1], vcc, s[0:1]
	s_and_saveexec_b64 s[4:5], s[0:1]
	s_cbranch_execz .LBB1483_290
; %bb.244:
	v_cmp_ge_u32_e32 vcc, v17, v14
	v_cmp_lt_u32_e64 s[0:1], v17, v14
                                        ; implicit-def: $vgpr0_vgpr1
	s_and_saveexec_b64 s[2:3], s[0:1]
	s_cbranch_execz .LBB1483_246
; %bb.245:
	v_lshl_add_u32 v0, v20, 3, v19
	ds_read_b64 v[0:1], v0
.LBB1483_246:
	s_or_b64 exec, exec, s[2:3]
	v_cmp_ge_u32_e64 s[26:27], v18, v15
	v_cmp_lt_u32_e64 s[0:1], v18, v15
                                        ; implicit-def: $vgpr4_vgpr5
	s_and_saveexec_b64 s[2:3], s[0:1]
	s_cbranch_execz .LBB1483_248
; %bb.247:
	v_lshl_add_u32 v2, v18, 3, v16
	ds_read_b64 v[4:5], v2
.LBB1483_248:
	s_or_b64 exec, exec, s[2:3]
	s_or_b64 s[0:1], vcc, s[26:27]
	s_mov_b64 s[28:29], -1
	s_xor_b64 s[0:1], s[0:1], -1
	s_and_saveexec_b64 s[30:31], s[0:1]
	s_cbranch_execz .LBB1483_257
; %bb.249:
	s_andn2_b64 vcc, exec, s[24:25]
	s_cbranch_vccnz .LBB1483_255
; %bb.250:
	s_waitcnt lgkmcnt(0)
	v_mul_lo_u32 v6, v5, s16
	v_mul_lo_u32 v7, v4, s17
	v_mad_u64_u32 v[2:3], s[0:1], v4, s16, 0
	v_add3_u32 v3, v3, v7, v6
	v_lshlrev_b64 v[2:3], 2, v[2:3]
	v_mov_b32_e32 v6, s19
	v_add_co_u32_e32 v2, vcc, s18, v2
	v_addc_co_u32_e32 v3, vcc, v6, v3, vcc
	v_mul_lo_u32 v8, v1, s16
	v_mul_lo_u32 v9, v0, s17
	v_mad_u64_u32 v[6:7], s[0:1], v0, s16, 0
	v_add3_u32 v7, v7, v9, v8
	v_lshlrev_b64 v[6:7], 2, v[6:7]
	v_mov_b32_e32 v8, s19
	v_add_co_u32_e32 v6, vcc, s18, v6
	v_addc_co_u32_e32 v7, vcc, v8, v7, vcc
	s_mov_b64 s[34:35], 0
	s_mov_b64 s[42:43], s[16:17]
                                        ; implicit-def: $sgpr36_sgpr37
                                        ; implicit-def: $sgpr38_sgpr39
                                        ; implicit-def: $sgpr0_sgpr1
                                        ; implicit-def: $sgpr40_sgpr41
                                        ; implicit-def: $sgpr44_sgpr45
	s_branch .LBB1483_252
.LBB1483_251:                           ;   in Loop: Header=BB1483_252 Depth=1
	s_or_b64 exec, exec, s[46:47]
	s_and_b64 s[2:3], exec, s[38:39]
	s_or_b64 s[34:35], s[2:3], s[34:35]
	s_andn2_b64 s[2:3], s[44:45], exec
	s_and_b64 s[44:45], s[40:41], exec
	s_or_b64 s[44:45], s[2:3], s[44:45]
	s_andn2_b64 s[2:3], s[36:37], exec
	s_and_b64 s[36:37], s[0:1], exec
	s_or_b64 s[36:37], s[2:3], s[36:37]
	s_andn2_b64 exec, exec, s[34:35]
	s_cbranch_execz .LBB1483_254
.LBB1483_252:                           ; =>This Inner Loop Header: Depth=1
	global_load_dword v8, v[2:3], off
	global_load_dword v9, v[6:7], off
	s_andn2_b64 s[46:47], s[0:1], exec
	s_andn2_b64 s[40:41], s[40:41], exec
	s_or_b64 s[38:39], s[38:39], exec
	s_waitcnt vmcnt(0)
	v_cmp_le_u32_e64 s[0:1], v8, v9
	v_cmp_lt_u32_e32 vcc, v8, v9
	s_and_b64 s[0:1], s[0:1], s[44:45]
	s_or_b64 s[48:49], vcc, s[0:1]
	s_and_b64 s[0:1], s[48:49], exec
	v_cmp_eq_u32_e64 s[2:3], v8, v9
	s_or_b64 s[0:1], s[46:47], s[0:1]
	s_and_saveexec_b64 s[46:47], s[2:3]
	s_cbranch_execz .LBB1483_251
; %bb.253:                              ;   in Loop: Header=BB1483_252 Depth=1
	s_add_u32 s42, s42, -1
	s_addc_u32 s43, s43, -1
	v_add_co_u32_e32 v2, vcc, 4, v2
	s_cmp_eq_u64 s[42:43], 0
	v_addc_co_u32_e32 v3, vcc, 0, v3, vcc
	s_cselect_b64 s[2:3], -1, 0
	v_add_co_u32_e32 v6, vcc, 4, v6
	s_andn2_b64 s[40:41], s[40:41], exec
	s_and_b64 s[44:45], s[48:49], exec
	s_andn2_b64 s[38:39], s[38:39], exec
	s_and_b64 s[2:3], s[2:3], exec
	v_addc_co_u32_e32 v7, vcc, 0, v7, vcc
	s_or_b64 s[40:41], s[40:41], s[44:45]
	s_andn2_b64 s[0:1], s[0:1], exec
	s_or_b64 s[38:39], s[38:39], s[2:3]
                                        ; implicit-def: $sgpr44_sgpr45
	s_branch .LBB1483_251
.LBB1483_254:
	s_or_b64 exec, exec, s[34:35]
	s_xor_b64 s[0:1], s[36:37], -1
	s_branch .LBB1483_256
.LBB1483_255:
	s_mov_b64 s[0:1], -1
.LBB1483_256:
	s_andn2_b64 s[2:3], s[26:27], exec
	s_and_b64 s[0:1], s[0:1], exec
	s_or_b64 s[26:27], s[2:3], s[0:1]
.LBB1483_257:
	s_or_b64 exec, exec, s[30:31]
	v_cndmask_b32_e64 v2, v18, v17, s[26:27]
	v_cndmask_b32_e64 v3, v15, v14, s[26:27]
	v_add_u32_e32 v6, 1, v2
	v_add_u32_e32 v2, -1, v3
	v_min_u32_e32 v2, v6, v2
	v_lshl_add_u32 v2, v2, 3, v16
	ds_read_b64 v[2:3], v2
	v_cndmask_b32_e64 v19, v6, v18, s[26:27]
	v_cndmask_b32_e64 v23, v17, v6, s[26:27]
	v_cmp_lt_u32_e32 vcc, v19, v15
	s_waitcnt lgkmcnt(0)
	v_cndmask_b32_e64 v8, v3, v5, s[26:27]
	v_cndmask_b32_e64 v9, v2, v4, s[26:27]
	;; [unrolled: 1-line block ×4, first 2 shown]
	s_and_saveexec_b64 s[30:31], vcc
	s_cbranch_execz .LBB1483_268
; %bb.258:
	v_cmp_lt_u32_e32 vcc, v23, v14
	s_mov_b64 s[0:1], 0
	s_and_saveexec_b64 s[28:29], vcc
	s_cbranch_execz .LBB1483_267
; %bb.259:
	s_andn2_b64 vcc, exec, s[24:25]
	s_cbranch_vccnz .LBB1483_265
; %bb.260:
	v_mul_lo_u32 v6, v8, s16
	v_mul_lo_u32 v7, v9, s17
	v_mad_u64_u32 v[2:3], s[0:1], v9, s16, 0
	v_add3_u32 v3, v3, v7, v6
	v_lshlrev_b64 v[2:3], 2, v[2:3]
	v_mov_b32_e32 v6, s19
	v_add_co_u32_e32 v2, vcc, s18, v2
	v_addc_co_u32_e32 v3, vcc, v6, v3, vcc
	v_mul_lo_u32 v17, v10, s16
	v_mul_lo_u32 v18, v11, s17
	v_mad_u64_u32 v[6:7], s[0:1], v11, s16, 0
	v_add3_u32 v7, v7, v18, v17
	v_lshlrev_b64 v[6:7], 2, v[6:7]
	v_mov_b32_e32 v17, s19
	v_add_co_u32_e32 v6, vcc, s18, v6
	v_addc_co_u32_e32 v7, vcc, v17, v7, vcc
	s_mov_b64 s[34:35], 0
	s_mov_b64 s[42:43], s[16:17]
                                        ; implicit-def: $sgpr36_sgpr37
                                        ; implicit-def: $sgpr38_sgpr39
                                        ; implicit-def: $sgpr0_sgpr1
                                        ; implicit-def: $sgpr40_sgpr41
                                        ; implicit-def: $sgpr44_sgpr45
	s_branch .LBB1483_262
.LBB1483_261:                           ;   in Loop: Header=BB1483_262 Depth=1
	s_or_b64 exec, exec, s[46:47]
	s_and_b64 s[2:3], exec, s[38:39]
	s_or_b64 s[34:35], s[2:3], s[34:35]
	s_andn2_b64 s[2:3], s[44:45], exec
	s_and_b64 s[44:45], s[40:41], exec
	s_or_b64 s[44:45], s[2:3], s[44:45]
	s_andn2_b64 s[2:3], s[36:37], exec
	s_and_b64 s[36:37], s[0:1], exec
	s_or_b64 s[36:37], s[2:3], s[36:37]
	s_andn2_b64 exec, exec, s[34:35]
	s_cbranch_execz .LBB1483_264
.LBB1483_262:                           ; =>This Inner Loop Header: Depth=1
	global_load_dword v17, v[2:3], off
	global_load_dword v18, v[6:7], off
	s_andn2_b64 s[46:47], s[0:1], exec
	s_andn2_b64 s[40:41], s[40:41], exec
	s_or_b64 s[38:39], s[38:39], exec
	s_waitcnt vmcnt(0)
	v_cmp_le_u32_e64 s[0:1], v17, v18
	v_cmp_lt_u32_e32 vcc, v17, v18
	s_and_b64 s[0:1], s[0:1], s[44:45]
	s_or_b64 s[48:49], vcc, s[0:1]
	s_and_b64 s[0:1], s[48:49], exec
	v_cmp_eq_u32_e64 s[2:3], v17, v18
	s_or_b64 s[0:1], s[46:47], s[0:1]
	s_and_saveexec_b64 s[46:47], s[2:3]
	s_cbranch_execz .LBB1483_261
; %bb.263:                              ;   in Loop: Header=BB1483_262 Depth=1
	s_add_u32 s42, s42, -1
	s_addc_u32 s43, s43, -1
	v_add_co_u32_e32 v2, vcc, 4, v2
	s_cmp_eq_u64 s[42:43], 0
	v_addc_co_u32_e32 v3, vcc, 0, v3, vcc
	s_cselect_b64 s[2:3], -1, 0
	v_add_co_u32_e32 v6, vcc, 4, v6
	s_andn2_b64 s[40:41], s[40:41], exec
	s_and_b64 s[44:45], s[48:49], exec
	s_andn2_b64 s[38:39], s[38:39], exec
	s_and_b64 s[2:3], s[2:3], exec
	v_addc_co_u32_e32 v7, vcc, 0, v7, vcc
	s_or_b64 s[40:41], s[40:41], s[44:45]
	s_andn2_b64 s[0:1], s[0:1], exec
	s_or_b64 s[38:39], s[38:39], s[2:3]
                                        ; implicit-def: $sgpr44_sgpr45
	s_branch .LBB1483_261
.LBB1483_264:
	s_or_b64 exec, exec, s[34:35]
	s_xor_b64 s[0:1], s[36:37], -1
	s_branch .LBB1483_266
.LBB1483_265:
	s_mov_b64 s[0:1], -1
.LBB1483_266:
	s_and_b64 s[0:1], s[0:1], exec
.LBB1483_267:
	s_or_b64 exec, exec, s[28:29]
	s_orn2_b64 s[28:29], s[0:1], exec
.LBB1483_268:
	s_or_b64 exec, exec, s[30:31]
	v_cndmask_b32_e64 v2, v19, v23, s[28:29]
	v_cndmask_b32_e64 v3, v15, v14, s[28:29]
	v_add_u32_e32 v6, 1, v2
	v_add_u32_e32 v2, -1, v3
	v_min_u32_e32 v2, v6, v2
	v_lshl_add_u32 v2, v2, 3, v16
	ds_read_b64 v[2:3], v2
	v_cndmask_b32_e64 v20, v6, v19, s[28:29]
	v_cndmask_b32_e64 v19, v23, v6, s[28:29]
	v_cmp_lt_u32_e32 vcc, v20, v15
	s_mov_b64 s[0:1], -1
	s_waitcnt lgkmcnt(0)
	v_cndmask_b32_e64 v17, v3, v8, s[28:29]
	v_cndmask_b32_e64 v18, v2, v9, s[28:29]
	;; [unrolled: 1-line block ×4, first 2 shown]
	s_and_saveexec_b64 s[30:31], vcc
	s_cbranch_execz .LBB1483_279
; %bb.269:
	v_cmp_lt_u32_e32 vcc, v19, v14
	s_mov_b64 s[0:1], 0
	s_and_saveexec_b64 s[34:35], vcc
	s_cbranch_execz .LBB1483_278
; %bb.270:
	s_andn2_b64 vcc, exec, s[24:25]
	s_cbranch_vccnz .LBB1483_276
; %bb.271:
	v_mul_lo_u32 v6, v17, s16
	v_mul_lo_u32 v7, v18, s17
	v_mad_u64_u32 v[2:3], s[0:1], v18, s16, 0
	v_add3_u32 v3, v3, v7, v6
	v_lshlrev_b64 v[2:3], 2, v[2:3]
	v_mov_b32_e32 v6, s19
	v_add_co_u32_e32 v2, vcc, s18, v2
	v_addc_co_u32_e32 v3, vcc, v6, v3, vcc
	v_mul_lo_u32 v23, v21, s16
	v_mul_lo_u32 v24, v22, s17
	v_mad_u64_u32 v[6:7], s[0:1], v22, s16, 0
	v_add3_u32 v7, v7, v24, v23
	v_lshlrev_b64 v[6:7], 2, v[6:7]
	v_mov_b32_e32 v23, s19
	v_add_co_u32_e32 v6, vcc, s18, v6
	v_addc_co_u32_e32 v7, vcc, v23, v7, vcc
	s_mov_b64 s[36:37], 0
	s_mov_b64 s[44:45], s[16:17]
                                        ; implicit-def: $sgpr38_sgpr39
                                        ; implicit-def: $sgpr40_sgpr41
                                        ; implicit-def: $sgpr0_sgpr1
                                        ; implicit-def: $sgpr42_sgpr43
                                        ; implicit-def: $sgpr46_sgpr47
	s_branch .LBB1483_273
.LBB1483_272:                           ;   in Loop: Header=BB1483_273 Depth=1
	s_or_b64 exec, exec, s[48:49]
	s_and_b64 s[2:3], exec, s[40:41]
	s_or_b64 s[36:37], s[2:3], s[36:37]
	s_andn2_b64 s[2:3], s[46:47], exec
	s_and_b64 s[46:47], s[42:43], exec
	s_or_b64 s[46:47], s[2:3], s[46:47]
	s_andn2_b64 s[2:3], s[38:39], exec
	s_and_b64 s[38:39], s[0:1], exec
	s_or_b64 s[38:39], s[2:3], s[38:39]
	s_andn2_b64 exec, exec, s[36:37]
	s_cbranch_execz .LBB1483_275
.LBB1483_273:                           ; =>This Inner Loop Header: Depth=1
	global_load_dword v23, v[2:3], off
	global_load_dword v24, v[6:7], off
	s_andn2_b64 s[48:49], s[0:1], exec
	s_andn2_b64 s[42:43], s[42:43], exec
	s_or_b64 s[40:41], s[40:41], exec
	s_waitcnt vmcnt(0)
	v_cmp_le_u32_e64 s[0:1], v23, v24
	v_cmp_lt_u32_e32 vcc, v23, v24
	s_and_b64 s[0:1], s[0:1], s[46:47]
	s_or_b64 s[50:51], vcc, s[0:1]
	s_and_b64 s[0:1], s[50:51], exec
	v_cmp_eq_u32_e64 s[2:3], v23, v24
	s_or_b64 s[0:1], s[48:49], s[0:1]
	s_and_saveexec_b64 s[48:49], s[2:3]
	s_cbranch_execz .LBB1483_272
; %bb.274:                              ;   in Loop: Header=BB1483_273 Depth=1
	s_add_u32 s44, s44, -1
	s_addc_u32 s45, s45, -1
	v_add_co_u32_e32 v2, vcc, 4, v2
	s_cmp_eq_u64 s[44:45], 0
	v_addc_co_u32_e32 v3, vcc, 0, v3, vcc
	s_cselect_b64 s[2:3], -1, 0
	v_add_co_u32_e32 v6, vcc, 4, v6
	s_andn2_b64 s[42:43], s[42:43], exec
	s_and_b64 s[46:47], s[50:51], exec
	s_andn2_b64 s[40:41], s[40:41], exec
	s_and_b64 s[2:3], s[2:3], exec
	v_addc_co_u32_e32 v7, vcc, 0, v7, vcc
	s_or_b64 s[42:43], s[42:43], s[46:47]
	s_andn2_b64 s[0:1], s[0:1], exec
	s_or_b64 s[40:41], s[40:41], s[2:3]
                                        ; implicit-def: $sgpr46_sgpr47
	s_branch .LBB1483_272
.LBB1483_275:
	s_or_b64 exec, exec, s[36:37]
	s_xor_b64 s[0:1], s[38:39], -1
	s_branch .LBB1483_277
.LBB1483_276:
	s_mov_b64 s[0:1], -1
.LBB1483_277:
	s_and_b64 s[0:1], s[0:1], exec
.LBB1483_278:
	s_or_b64 exec, exec, s[34:35]
	s_orn2_b64 s[0:1], s[0:1], exec
.LBB1483_279:
	s_or_b64 exec, exec, s[30:31]
	v_cndmask_b32_e64 v6, v20, v19, s[0:1]
	v_cndmask_b32_e64 v7, v15, v14, s[0:1]
	;; [unrolled: 1-line block ×3, first 2 shown]
	v_add_u32_e32 v10, 1, v6
	v_add_u32_e32 v6, -1, v7
	v_min_u32_e32 v6, v10, v6
	v_lshl_add_u32 v6, v6, 3, v16
	v_cndmask_b32_e64 v2, v9, v11, s[28:29]
	ds_read_b64 v[8:9], v6
	v_cndmask_b32_e64 v11, v10, v20, s[0:1]
	v_cndmask_b32_e64 v1, v5, v1, s[26:27]
	;; [unrolled: 1-line block ×5, first 2 shown]
	s_waitcnt lgkmcnt(0)
	v_cndmask_b32_e64 v7, v21, v9, s[0:1]
	v_cndmask_b32_e64 v6, v22, v8, s[0:1]
	v_cmp_lt_u32_e32 vcc, v11, v15
	s_and_saveexec_b64 s[26:27], vcc
	s_cbranch_execz .LBB1483_289
; %bb.280:
	v_cndmask_b32_e64 v10, v19, v10, s[0:1]
	v_cndmask_b32_e64 v9, v9, v17, s[0:1]
	;; [unrolled: 1-line block ×3, first 2 shown]
	v_cmp_lt_u32_e32 vcc, v10, v14
	s_and_saveexec_b64 s[28:29], vcc
	s_cbranch_execz .LBB1483_288
; %bb.281:
	s_andn2_b64 vcc, exec, s[24:25]
	s_cbranch_vccnz .LBB1483_287
; %bb.282:
	v_mul_lo_u32 v14, v9, s16
	v_mul_lo_u32 v15, v8, s17
	v_mad_u64_u32 v[10:11], s[0:1], v8, s16, 0
	v_add3_u32 v11, v11, v15, v14
	v_lshlrev_b64 v[10:11], 2, v[10:11]
	v_mov_b32_e32 v14, s19
	v_add_co_u32_e32 v10, vcc, s18, v10
	v_addc_co_u32_e32 v11, vcc, v14, v11, vcc
	v_mul_lo_u32 v16, v7, s16
	v_mul_lo_u32 v17, v6, s17
	v_mad_u64_u32 v[14:15], s[0:1], v6, s16, 0
	v_add3_u32 v15, v15, v17, v16
	v_lshlrev_b64 v[14:15], 2, v[14:15]
	v_mov_b32_e32 v16, s19
	v_add_co_u32_e32 v14, vcc, s18, v14
	v_addc_co_u32_e32 v15, vcc, v16, v15, vcc
	s_mov_b64 s[30:31], 0
	s_mov_b64 s[40:41], s[16:17]
                                        ; implicit-def: $sgpr34_sgpr35
                                        ; implicit-def: $sgpr36_sgpr37
                                        ; implicit-def: $sgpr0_sgpr1
                                        ; implicit-def: $sgpr38_sgpr39
                                        ; implicit-def: $sgpr42_sgpr43
	s_branch .LBB1483_284
.LBB1483_283:                           ;   in Loop: Header=BB1483_284 Depth=1
	s_or_b64 exec, exec, s[44:45]
	s_and_b64 s[2:3], exec, s[36:37]
	s_or_b64 s[30:31], s[2:3], s[30:31]
	s_andn2_b64 s[2:3], s[42:43], exec
	s_and_b64 s[42:43], s[38:39], exec
	s_or_b64 s[42:43], s[2:3], s[42:43]
	s_andn2_b64 s[2:3], s[34:35], exec
	s_and_b64 s[34:35], s[0:1], exec
	s_or_b64 s[34:35], s[2:3], s[34:35]
	s_andn2_b64 exec, exec, s[30:31]
	s_cbranch_execz .LBB1483_286
.LBB1483_284:                           ; =>This Inner Loop Header: Depth=1
	global_load_dword v16, v[10:11], off
	global_load_dword v17, v[14:15], off
	s_andn2_b64 s[44:45], s[0:1], exec
	s_andn2_b64 s[38:39], s[38:39], exec
	s_or_b64 s[36:37], s[36:37], exec
	s_waitcnt vmcnt(0)
	v_cmp_le_u32_e64 s[0:1], v16, v17
	v_cmp_lt_u32_e32 vcc, v16, v17
	s_and_b64 s[0:1], s[0:1], s[42:43]
	s_or_b64 s[46:47], vcc, s[0:1]
	s_and_b64 s[0:1], s[46:47], exec
	v_cmp_eq_u32_e64 s[2:3], v16, v17
	s_or_b64 s[0:1], s[44:45], s[0:1]
	s_and_saveexec_b64 s[44:45], s[2:3]
	s_cbranch_execz .LBB1483_283
; %bb.285:                              ;   in Loop: Header=BB1483_284 Depth=1
	s_add_u32 s40, s40, -1
	s_addc_u32 s41, s41, -1
	v_add_co_u32_e32 v10, vcc, 4, v10
	s_cmp_eq_u64 s[40:41], 0
	v_addc_co_u32_e32 v11, vcc, 0, v11, vcc
	s_cselect_b64 s[2:3], -1, 0
	v_add_co_u32_e32 v14, vcc, 4, v14
	s_andn2_b64 s[38:39], s[38:39], exec
	s_and_b64 s[42:43], s[46:47], exec
	s_andn2_b64 s[36:37], s[36:37], exec
	s_and_b64 s[2:3], s[2:3], exec
	v_addc_co_u32_e32 v15, vcc, 0, v15, vcc
	s_or_b64 s[38:39], s[38:39], s[42:43]
	s_andn2_b64 s[0:1], s[0:1], exec
	s_or_b64 s[36:37], s[36:37], s[2:3]
                                        ; implicit-def: $sgpr42_sgpr43
	s_branch .LBB1483_283
.LBB1483_286:
	s_or_b64 exec, exec, s[30:31]
	v_cndmask_b32_e64 v7, v7, v9, s[34:35]
	v_cndmask_b32_e64 v6, v6, v8, s[34:35]
.LBB1483_287:
	v_pk_mov_b32 v[8:9], v[6:7], v[6:7] op_sel:[0,1]
.LBB1483_288:
	s_or_b64 exec, exec, s[28:29]
	v_pk_mov_b32 v[6:7], v[8:9], v[8:9] op_sel:[0,1]
.LBB1483_289:
	s_or_b64 exec, exec, s[26:27]
.LBB1483_290:
	s_or_b64 exec, exec, s[4:5]
	v_and_b32_e32 v17, 0xf80, v27
	v_or_b32_e32 v8, 64, v17
	v_min_u32_e32 v14, 0x400, v8
	v_min_u32_e32 v8, 0x3c0, v8
	v_add_u32_e32 v15, 64, v8
	v_and_b32_e32 v18, 0x7c, v27
	v_sub_u32_e32 v8, v14, v17
	v_sub_u32_e32 v9, v15, v14
	v_sub_u32_e64 v20, v18, v9 clamp
	v_min_u32_e32 v21, v18, v8
	v_lshlrev_b32_e32 v16, 3, v27
	v_lshlrev_b32_e32 v19, 3, v17
	v_cmp_lt_u32_e32 vcc, v20, v21
	; wave barrier
	s_waitcnt lgkmcnt(0)
	s_barrier
	ds_write_b128 v16, v[0:3]
	ds_write_b128 v16, v[4:7] offset:16
	s_waitcnt lgkmcnt(0)
	s_barrier
	s_and_saveexec_b64 s[26:27], vcc
	s_cbranch_execz .LBB1483_300
; %bb.291:
	v_lshlrev_b32_e32 v8, 3, v18
	v_lshl_add_u32 v22, v14, 3, v8
	v_cndmask_b32_e64 v8, 0, 1, s[24:25]
	s_lshl_b64 s[30:31], s[16:17], 2
	s_mov_b64 s[28:29], 0
	v_cmp_ne_u32_e64 s[0:1], 1, v8
	s_branch .LBB1483_294
.LBB1483_292:                           ;   in Loop: Header=BB1483_294 Depth=1
	s_or_b64 exec, exec, s[36:37]
.LBB1483_293:                           ;   in Loop: Header=BB1483_294 Depth=1
	v_add_u32_e32 v8, 1, v23
	v_cndmask_b32_e64 v21, v21, v23, s[34:35]
	v_cndmask_b32_e64 v20, v8, v20, s[34:35]
	v_cmp_ge_u32_e32 vcc, v20, v21
	s_or_b64 s[28:29], vcc, s[28:29]
	s_andn2_b64 exec, exec, s[28:29]
	s_cbranch_execz .LBB1483_299
.LBB1483_294:                           ; =>This Loop Header: Depth=1
                                        ;     Child Loop BB1483_297 Depth 2
	v_add_u32_e32 v8, v21, v20
	v_lshrrev_b32_e32 v23, 1, v8
	s_and_b64 vcc, exec, s[0:1]
	s_mov_b64 s[34:35], 0
	s_cbranch_vccnz .LBB1483_293
; %bb.295:                              ;   in Loop: Header=BB1483_294 Depth=1
	v_not_b32_e32 v8, v23
	v_lshl_add_u32 v8, v8, 3, v22
	ds_read_b64 v[8:9], v8
	v_lshl_add_u32 v24, v23, 3, v19
	ds_read_b64 v[24:25], v24
	v_pk_mov_b32 v[10:11], s[18:19], s[18:19] op_sel:[0,1]
	s_mov_b64 s[36:37], 0
	s_waitcnt lgkmcnt(1)
	v_mul_lo_u32 v37, s30, v9
	v_mul_lo_u32 v38, s31, v8
	v_mad_u64_u32 v[8:9], s[2:3], s30, v8, v[10:11]
	v_add3_u32 v9, v38, v9, v37
	s_waitcnt lgkmcnt(0)
	v_mul_lo_u32 v25, s30, v25
	v_mul_lo_u32 v37, s31, v24
	v_mad_u64_u32 v[10:11], s[2:3], s30, v24, v[10:11]
	v_add3_u32 v11, v37, v11, v25
	s_mov_b64 s[42:43], s[16:17]
                                        ; implicit-def: $sgpr34_sgpr35
                                        ; implicit-def: $sgpr38_sgpr39
                                        ; implicit-def: $sgpr40_sgpr41
                                        ; implicit-def: $sgpr2_sgpr3
                                        ; implicit-def: $sgpr44_sgpr45
	s_branch .LBB1483_297
.LBB1483_296:                           ;   in Loop: Header=BB1483_297 Depth=2
	s_or_b64 exec, exec, s[46:47]
	s_and_b64 s[4:5], exec, s[38:39]
	s_or_b64 s[36:37], s[4:5], s[36:37]
	s_andn2_b64 s[4:5], s[44:45], exec
	s_and_b64 s[44:45], s[40:41], exec
	s_or_b64 s[44:45], s[4:5], s[44:45]
	s_andn2_b64 s[4:5], s[34:35], exec
	s_and_b64 s[34:35], s[2:3], exec
	s_or_b64 s[34:35], s[4:5], s[34:35]
	s_andn2_b64 exec, exec, s[36:37]
	s_cbranch_execz .LBB1483_292
.LBB1483_297:                           ;   Parent Loop BB1483_294 Depth=1
                                        ; =>  This Inner Loop Header: Depth=2
	global_load_dword v24, v[8:9], off
	global_load_dword v25, v[10:11], off
	s_andn2_b64 s[46:47], s[2:3], exec
	s_andn2_b64 s[40:41], s[40:41], exec
	s_or_b64 s[38:39], s[38:39], exec
	s_waitcnt vmcnt(0)
	v_cmp_le_u32_e64 s[2:3], v24, v25
	v_cmp_lt_u32_e32 vcc, v24, v25
	s_and_b64 s[2:3], s[2:3], s[44:45]
	s_or_b64 s[48:49], vcc, s[2:3]
	s_and_b64 s[2:3], s[48:49], exec
	v_cmp_eq_u32_e64 s[4:5], v24, v25
	s_or_b64 s[2:3], s[46:47], s[2:3]
	s_and_saveexec_b64 s[46:47], s[4:5]
	s_cbranch_execz .LBB1483_296
; %bb.298:                              ;   in Loop: Header=BB1483_297 Depth=2
	s_add_u32 s42, s42, -1
	s_addc_u32 s43, s43, -1
	v_add_co_u32_e32 v8, vcc, 4, v8
	s_cmp_eq_u64 s[42:43], 0
	v_addc_co_u32_e32 v9, vcc, 0, v9, vcc
	s_cselect_b64 s[4:5], -1, 0
	v_add_co_u32_e32 v10, vcc, 4, v10
	s_andn2_b64 s[40:41], s[40:41], exec
	s_and_b64 s[44:45], s[48:49], exec
	s_andn2_b64 s[38:39], s[38:39], exec
	s_and_b64 s[4:5], s[4:5], exec
	v_addc_co_u32_e32 v11, vcc, 0, v11, vcc
	s_andn2_b64 s[2:3], s[2:3], exec
	s_or_b64 s[40:41], s[40:41], s[44:45]
	s_or_b64 s[38:39], s[38:39], s[4:5]
                                        ; implicit-def: $sgpr44_sgpr45
	s_branch .LBB1483_296
.LBB1483_299:
	s_or_b64 exec, exec, s[28:29]
.LBB1483_300:
	s_or_b64 exec, exec, s[26:27]
	v_sub_u32_e32 v8, v18, v20
	v_add_u32_e32 v17, v20, v17
	v_add_u32_e32 v18, v8, v14
	v_cmp_le_u32_e32 vcc, v17, v14
	v_cmp_le_u32_e64 s[0:1], v18, v15
	s_or_b64 s[0:1], vcc, s[0:1]
	s_and_saveexec_b64 s[4:5], s[0:1]
	s_cbranch_execz .LBB1483_347
; %bb.301:
	v_cmp_ge_u32_e32 vcc, v17, v14
	v_cmp_lt_u32_e64 s[0:1], v17, v14
                                        ; implicit-def: $vgpr0_vgpr1
	s_and_saveexec_b64 s[2:3], s[0:1]
	s_cbranch_execz .LBB1483_303
; %bb.302:
	v_lshl_add_u32 v0, v20, 3, v19
	ds_read_b64 v[0:1], v0
.LBB1483_303:
	s_or_b64 exec, exec, s[2:3]
	v_cmp_ge_u32_e64 s[26:27], v18, v15
	v_cmp_lt_u32_e64 s[0:1], v18, v15
                                        ; implicit-def: $vgpr4_vgpr5
	s_and_saveexec_b64 s[2:3], s[0:1]
	s_cbranch_execz .LBB1483_305
; %bb.304:
	v_lshlrev_b32_e32 v2, 3, v18
	ds_read_b64 v[4:5], v2
.LBB1483_305:
	s_or_b64 exec, exec, s[2:3]
	s_or_b64 s[0:1], vcc, s[26:27]
	s_mov_b64 s[28:29], -1
	s_xor_b64 s[0:1], s[0:1], -1
	s_and_saveexec_b64 s[30:31], s[0:1]
	s_cbranch_execz .LBB1483_314
; %bb.306:
	s_andn2_b64 vcc, exec, s[24:25]
	s_cbranch_vccnz .LBB1483_312
; %bb.307:
	s_waitcnt lgkmcnt(0)
	v_mul_lo_u32 v6, v5, s16
	v_mul_lo_u32 v7, v4, s17
	v_mad_u64_u32 v[2:3], s[0:1], v4, s16, 0
	v_add3_u32 v3, v3, v7, v6
	v_lshlrev_b64 v[2:3], 2, v[2:3]
	v_mov_b32_e32 v6, s19
	v_add_co_u32_e32 v2, vcc, s18, v2
	v_addc_co_u32_e32 v3, vcc, v6, v3, vcc
	v_mul_lo_u32 v8, v1, s16
	v_mul_lo_u32 v9, v0, s17
	v_mad_u64_u32 v[6:7], s[0:1], v0, s16, 0
	v_add3_u32 v7, v7, v9, v8
	v_lshlrev_b64 v[6:7], 2, v[6:7]
	v_mov_b32_e32 v8, s19
	v_add_co_u32_e32 v6, vcc, s18, v6
	v_addc_co_u32_e32 v7, vcc, v8, v7, vcc
	s_mov_b64 s[34:35], 0
	s_mov_b64 s[42:43], s[16:17]
                                        ; implicit-def: $sgpr36_sgpr37
                                        ; implicit-def: $sgpr38_sgpr39
                                        ; implicit-def: $sgpr0_sgpr1
                                        ; implicit-def: $sgpr40_sgpr41
                                        ; implicit-def: $sgpr44_sgpr45
	s_branch .LBB1483_309
.LBB1483_308:                           ;   in Loop: Header=BB1483_309 Depth=1
	s_or_b64 exec, exec, s[46:47]
	s_and_b64 s[2:3], exec, s[38:39]
	s_or_b64 s[34:35], s[2:3], s[34:35]
	s_andn2_b64 s[2:3], s[44:45], exec
	s_and_b64 s[44:45], s[40:41], exec
	s_or_b64 s[44:45], s[2:3], s[44:45]
	s_andn2_b64 s[2:3], s[36:37], exec
	s_and_b64 s[36:37], s[0:1], exec
	s_or_b64 s[36:37], s[2:3], s[36:37]
	s_andn2_b64 exec, exec, s[34:35]
	s_cbranch_execz .LBB1483_311
.LBB1483_309:                           ; =>This Inner Loop Header: Depth=1
	global_load_dword v8, v[2:3], off
	global_load_dword v9, v[6:7], off
	s_andn2_b64 s[46:47], s[0:1], exec
	s_andn2_b64 s[40:41], s[40:41], exec
	s_or_b64 s[38:39], s[38:39], exec
	s_waitcnt vmcnt(0)
	v_cmp_le_u32_e64 s[0:1], v8, v9
	v_cmp_lt_u32_e32 vcc, v8, v9
	s_and_b64 s[0:1], s[0:1], s[44:45]
	s_or_b64 s[48:49], vcc, s[0:1]
	s_and_b64 s[0:1], s[48:49], exec
	v_cmp_eq_u32_e64 s[2:3], v8, v9
	s_or_b64 s[0:1], s[46:47], s[0:1]
	s_and_saveexec_b64 s[46:47], s[2:3]
	s_cbranch_execz .LBB1483_308
; %bb.310:                              ;   in Loop: Header=BB1483_309 Depth=1
	s_add_u32 s42, s42, -1
	s_addc_u32 s43, s43, -1
	v_add_co_u32_e32 v2, vcc, 4, v2
	s_cmp_eq_u64 s[42:43], 0
	v_addc_co_u32_e32 v3, vcc, 0, v3, vcc
	s_cselect_b64 s[2:3], -1, 0
	v_add_co_u32_e32 v6, vcc, 4, v6
	s_andn2_b64 s[40:41], s[40:41], exec
	s_and_b64 s[44:45], s[48:49], exec
	s_andn2_b64 s[38:39], s[38:39], exec
	s_and_b64 s[2:3], s[2:3], exec
	v_addc_co_u32_e32 v7, vcc, 0, v7, vcc
	s_or_b64 s[40:41], s[40:41], s[44:45]
	s_andn2_b64 s[0:1], s[0:1], exec
	s_or_b64 s[38:39], s[38:39], s[2:3]
                                        ; implicit-def: $sgpr44_sgpr45
	s_branch .LBB1483_308
.LBB1483_311:
	s_or_b64 exec, exec, s[34:35]
	s_xor_b64 s[0:1], s[36:37], -1
	s_branch .LBB1483_313
.LBB1483_312:
	s_mov_b64 s[0:1], -1
.LBB1483_313:
	s_andn2_b64 s[2:3], s[26:27], exec
	s_and_b64 s[0:1], s[0:1], exec
	s_or_b64 s[26:27], s[2:3], s[0:1]
.LBB1483_314:
	s_or_b64 exec, exec, s[30:31]
	v_cndmask_b32_e64 v2, v18, v17, s[26:27]
	v_cndmask_b32_e64 v3, v15, v14, s[26:27]
	v_add_u32_e32 v6, 1, v2
	v_add_u32_e32 v2, -1, v3
	v_min_u32_e32 v2, v6, v2
	v_lshlrev_b32_e32 v2, 3, v2
	ds_read_b64 v[2:3], v2
	v_cndmask_b32_e64 v19, v6, v18, s[26:27]
	v_cndmask_b32_e64 v23, v17, v6, s[26:27]
	v_cmp_lt_u32_e32 vcc, v19, v15
	s_waitcnt lgkmcnt(0)
	v_cndmask_b32_e64 v8, v3, v5, s[26:27]
	v_cndmask_b32_e64 v9, v2, v4, s[26:27]
	;; [unrolled: 1-line block ×4, first 2 shown]
	s_and_saveexec_b64 s[30:31], vcc
	s_cbranch_execz .LBB1483_325
; %bb.315:
	v_cmp_lt_u32_e32 vcc, v23, v14
	s_mov_b64 s[0:1], 0
	s_and_saveexec_b64 s[28:29], vcc
	s_cbranch_execz .LBB1483_324
; %bb.316:
	s_andn2_b64 vcc, exec, s[24:25]
	s_cbranch_vccnz .LBB1483_322
; %bb.317:
	v_mul_lo_u32 v6, v8, s16
	v_mul_lo_u32 v7, v9, s17
	v_mad_u64_u32 v[2:3], s[0:1], v9, s16, 0
	v_add3_u32 v3, v3, v7, v6
	v_lshlrev_b64 v[2:3], 2, v[2:3]
	v_mov_b32_e32 v6, s19
	v_add_co_u32_e32 v2, vcc, s18, v2
	v_addc_co_u32_e32 v3, vcc, v6, v3, vcc
	v_mul_lo_u32 v17, v10, s16
	v_mul_lo_u32 v18, v11, s17
	v_mad_u64_u32 v[6:7], s[0:1], v11, s16, 0
	v_add3_u32 v7, v7, v18, v17
	v_lshlrev_b64 v[6:7], 2, v[6:7]
	v_mov_b32_e32 v17, s19
	v_add_co_u32_e32 v6, vcc, s18, v6
	v_addc_co_u32_e32 v7, vcc, v17, v7, vcc
	s_mov_b64 s[34:35], 0
	s_mov_b64 s[42:43], s[16:17]
                                        ; implicit-def: $sgpr36_sgpr37
                                        ; implicit-def: $sgpr38_sgpr39
                                        ; implicit-def: $sgpr0_sgpr1
                                        ; implicit-def: $sgpr40_sgpr41
                                        ; implicit-def: $sgpr44_sgpr45
	s_branch .LBB1483_319
.LBB1483_318:                           ;   in Loop: Header=BB1483_319 Depth=1
	s_or_b64 exec, exec, s[46:47]
	s_and_b64 s[2:3], exec, s[38:39]
	s_or_b64 s[34:35], s[2:3], s[34:35]
	s_andn2_b64 s[2:3], s[44:45], exec
	s_and_b64 s[44:45], s[40:41], exec
	s_or_b64 s[44:45], s[2:3], s[44:45]
	s_andn2_b64 s[2:3], s[36:37], exec
	s_and_b64 s[36:37], s[0:1], exec
	s_or_b64 s[36:37], s[2:3], s[36:37]
	s_andn2_b64 exec, exec, s[34:35]
	s_cbranch_execz .LBB1483_321
.LBB1483_319:                           ; =>This Inner Loop Header: Depth=1
	global_load_dword v17, v[2:3], off
	global_load_dword v18, v[6:7], off
	s_andn2_b64 s[46:47], s[0:1], exec
	s_andn2_b64 s[40:41], s[40:41], exec
	s_or_b64 s[38:39], s[38:39], exec
	s_waitcnt vmcnt(0)
	v_cmp_le_u32_e64 s[0:1], v17, v18
	v_cmp_lt_u32_e32 vcc, v17, v18
	s_and_b64 s[0:1], s[0:1], s[44:45]
	s_or_b64 s[48:49], vcc, s[0:1]
	s_and_b64 s[0:1], s[48:49], exec
	v_cmp_eq_u32_e64 s[2:3], v17, v18
	s_or_b64 s[0:1], s[46:47], s[0:1]
	s_and_saveexec_b64 s[46:47], s[2:3]
	s_cbranch_execz .LBB1483_318
; %bb.320:                              ;   in Loop: Header=BB1483_319 Depth=1
	s_add_u32 s42, s42, -1
	s_addc_u32 s43, s43, -1
	v_add_co_u32_e32 v2, vcc, 4, v2
	s_cmp_eq_u64 s[42:43], 0
	v_addc_co_u32_e32 v3, vcc, 0, v3, vcc
	s_cselect_b64 s[2:3], -1, 0
	v_add_co_u32_e32 v6, vcc, 4, v6
	s_andn2_b64 s[40:41], s[40:41], exec
	s_and_b64 s[44:45], s[48:49], exec
	s_andn2_b64 s[38:39], s[38:39], exec
	s_and_b64 s[2:3], s[2:3], exec
	v_addc_co_u32_e32 v7, vcc, 0, v7, vcc
	s_or_b64 s[40:41], s[40:41], s[44:45]
	s_andn2_b64 s[0:1], s[0:1], exec
	s_or_b64 s[38:39], s[38:39], s[2:3]
                                        ; implicit-def: $sgpr44_sgpr45
	s_branch .LBB1483_318
.LBB1483_321:
	s_or_b64 exec, exec, s[34:35]
	s_xor_b64 s[0:1], s[36:37], -1
	s_branch .LBB1483_323
.LBB1483_322:
	s_mov_b64 s[0:1], -1
.LBB1483_323:
	s_and_b64 s[0:1], s[0:1], exec
.LBB1483_324:
	s_or_b64 exec, exec, s[28:29]
	s_orn2_b64 s[28:29], s[0:1], exec
.LBB1483_325:
	s_or_b64 exec, exec, s[30:31]
	v_cndmask_b32_e64 v2, v19, v23, s[28:29]
	v_cndmask_b32_e64 v3, v15, v14, s[28:29]
	v_add_u32_e32 v6, 1, v2
	v_add_u32_e32 v2, -1, v3
	v_min_u32_e32 v2, v6, v2
	v_lshlrev_b32_e32 v2, 3, v2
	ds_read_b64 v[2:3], v2
	v_cndmask_b32_e64 v20, v6, v19, s[28:29]
	v_cndmask_b32_e64 v19, v23, v6, s[28:29]
	v_cmp_lt_u32_e32 vcc, v20, v15
	s_mov_b64 s[0:1], -1
	s_waitcnt lgkmcnt(0)
	v_cndmask_b32_e64 v17, v3, v8, s[28:29]
	v_cndmask_b32_e64 v18, v2, v9, s[28:29]
	;; [unrolled: 1-line block ×4, first 2 shown]
	s_and_saveexec_b64 s[30:31], vcc
	s_cbranch_execz .LBB1483_336
; %bb.326:
	v_cmp_lt_u32_e32 vcc, v19, v14
	s_mov_b64 s[0:1], 0
	s_and_saveexec_b64 s[34:35], vcc
	s_cbranch_execz .LBB1483_335
; %bb.327:
	s_andn2_b64 vcc, exec, s[24:25]
	s_cbranch_vccnz .LBB1483_333
; %bb.328:
	v_mul_lo_u32 v6, v17, s16
	v_mul_lo_u32 v7, v18, s17
	v_mad_u64_u32 v[2:3], s[0:1], v18, s16, 0
	v_add3_u32 v3, v3, v7, v6
	v_lshlrev_b64 v[2:3], 2, v[2:3]
	v_mov_b32_e32 v6, s19
	v_add_co_u32_e32 v2, vcc, s18, v2
	v_addc_co_u32_e32 v3, vcc, v6, v3, vcc
	v_mul_lo_u32 v23, v21, s16
	v_mul_lo_u32 v24, v22, s17
	v_mad_u64_u32 v[6:7], s[0:1], v22, s16, 0
	v_add3_u32 v7, v7, v24, v23
	v_lshlrev_b64 v[6:7], 2, v[6:7]
	v_mov_b32_e32 v23, s19
	v_add_co_u32_e32 v6, vcc, s18, v6
	v_addc_co_u32_e32 v7, vcc, v23, v7, vcc
	s_mov_b64 s[36:37], 0
	s_mov_b64 s[44:45], s[16:17]
                                        ; implicit-def: $sgpr38_sgpr39
                                        ; implicit-def: $sgpr40_sgpr41
                                        ; implicit-def: $sgpr0_sgpr1
                                        ; implicit-def: $sgpr42_sgpr43
                                        ; implicit-def: $sgpr46_sgpr47
	s_branch .LBB1483_330
.LBB1483_329:                           ;   in Loop: Header=BB1483_330 Depth=1
	s_or_b64 exec, exec, s[48:49]
	s_and_b64 s[2:3], exec, s[40:41]
	s_or_b64 s[36:37], s[2:3], s[36:37]
	s_andn2_b64 s[2:3], s[46:47], exec
	s_and_b64 s[46:47], s[42:43], exec
	s_or_b64 s[46:47], s[2:3], s[46:47]
	s_andn2_b64 s[2:3], s[38:39], exec
	s_and_b64 s[38:39], s[0:1], exec
	s_or_b64 s[38:39], s[2:3], s[38:39]
	s_andn2_b64 exec, exec, s[36:37]
	s_cbranch_execz .LBB1483_332
.LBB1483_330:                           ; =>This Inner Loop Header: Depth=1
	global_load_dword v23, v[2:3], off
	global_load_dword v24, v[6:7], off
	s_andn2_b64 s[48:49], s[0:1], exec
	s_andn2_b64 s[42:43], s[42:43], exec
	s_or_b64 s[40:41], s[40:41], exec
	s_waitcnt vmcnt(0)
	v_cmp_le_u32_e64 s[0:1], v23, v24
	v_cmp_lt_u32_e32 vcc, v23, v24
	s_and_b64 s[0:1], s[0:1], s[46:47]
	s_or_b64 s[50:51], vcc, s[0:1]
	s_and_b64 s[0:1], s[50:51], exec
	v_cmp_eq_u32_e64 s[2:3], v23, v24
	s_or_b64 s[0:1], s[48:49], s[0:1]
	s_and_saveexec_b64 s[48:49], s[2:3]
	s_cbranch_execz .LBB1483_329
; %bb.331:                              ;   in Loop: Header=BB1483_330 Depth=1
	s_add_u32 s44, s44, -1
	s_addc_u32 s45, s45, -1
	v_add_co_u32_e32 v2, vcc, 4, v2
	s_cmp_eq_u64 s[44:45], 0
	v_addc_co_u32_e32 v3, vcc, 0, v3, vcc
	s_cselect_b64 s[2:3], -1, 0
	v_add_co_u32_e32 v6, vcc, 4, v6
	s_andn2_b64 s[42:43], s[42:43], exec
	s_and_b64 s[46:47], s[50:51], exec
	s_andn2_b64 s[40:41], s[40:41], exec
	s_and_b64 s[2:3], s[2:3], exec
	v_addc_co_u32_e32 v7, vcc, 0, v7, vcc
	s_or_b64 s[42:43], s[42:43], s[46:47]
	s_andn2_b64 s[0:1], s[0:1], exec
	s_or_b64 s[40:41], s[40:41], s[2:3]
                                        ; implicit-def: $sgpr46_sgpr47
	s_branch .LBB1483_329
.LBB1483_332:
	s_or_b64 exec, exec, s[36:37]
	s_xor_b64 s[0:1], s[38:39], -1
	s_branch .LBB1483_334
.LBB1483_333:
	s_mov_b64 s[0:1], -1
.LBB1483_334:
	s_and_b64 s[0:1], s[0:1], exec
.LBB1483_335:
	s_or_b64 exec, exec, s[34:35]
	s_orn2_b64 s[0:1], s[0:1], exec
.LBB1483_336:
	s_or_b64 exec, exec, s[30:31]
	v_cndmask_b32_e64 v6, v20, v19, s[0:1]
	v_cndmask_b32_e64 v7, v15, v14, s[0:1]
	;; [unrolled: 1-line block ×3, first 2 shown]
	v_add_u32_e32 v10, 1, v6
	v_add_u32_e32 v6, -1, v7
	v_min_u32_e32 v6, v10, v6
	v_lshlrev_b32_e32 v6, 3, v6
	v_cndmask_b32_e64 v2, v9, v11, s[28:29]
	ds_read_b64 v[8:9], v6
	v_cndmask_b32_e64 v11, v10, v20, s[0:1]
	v_cndmask_b32_e64 v1, v5, v1, s[26:27]
	;; [unrolled: 1-line block ×5, first 2 shown]
	s_waitcnt lgkmcnt(0)
	v_cndmask_b32_e64 v7, v21, v9, s[0:1]
	v_cndmask_b32_e64 v6, v22, v8, s[0:1]
	v_cmp_lt_u32_e32 vcc, v11, v15
	s_and_saveexec_b64 s[26:27], vcc
	s_cbranch_execz .LBB1483_346
; %bb.337:
	v_cndmask_b32_e64 v10, v19, v10, s[0:1]
	v_cndmask_b32_e64 v9, v9, v17, s[0:1]
	;; [unrolled: 1-line block ×3, first 2 shown]
	v_cmp_lt_u32_e32 vcc, v10, v14
	s_and_saveexec_b64 s[28:29], vcc
	s_cbranch_execz .LBB1483_345
; %bb.338:
	s_andn2_b64 vcc, exec, s[24:25]
	s_cbranch_vccnz .LBB1483_344
; %bb.339:
	v_mul_lo_u32 v14, v9, s16
	v_mul_lo_u32 v15, v8, s17
	v_mad_u64_u32 v[10:11], s[0:1], v8, s16, 0
	v_add3_u32 v11, v11, v15, v14
	v_lshlrev_b64 v[10:11], 2, v[10:11]
	v_mov_b32_e32 v14, s19
	v_add_co_u32_e32 v10, vcc, s18, v10
	v_addc_co_u32_e32 v11, vcc, v14, v11, vcc
	v_mul_lo_u32 v17, v7, s16
	v_mul_lo_u32 v18, v6, s17
	v_mad_u64_u32 v[14:15], s[0:1], v6, s16, 0
	v_add3_u32 v15, v15, v18, v17
	v_lshlrev_b64 v[14:15], 2, v[14:15]
	v_mov_b32_e32 v17, s19
	v_add_co_u32_e32 v14, vcc, s18, v14
	v_addc_co_u32_e32 v15, vcc, v17, v15, vcc
	s_mov_b64 s[30:31], 0
	s_mov_b64 s[40:41], s[16:17]
                                        ; implicit-def: $sgpr34_sgpr35
                                        ; implicit-def: $sgpr36_sgpr37
                                        ; implicit-def: $sgpr0_sgpr1
                                        ; implicit-def: $sgpr38_sgpr39
                                        ; implicit-def: $sgpr42_sgpr43
	s_branch .LBB1483_341
.LBB1483_340:                           ;   in Loop: Header=BB1483_341 Depth=1
	s_or_b64 exec, exec, s[44:45]
	s_and_b64 s[2:3], exec, s[36:37]
	s_or_b64 s[30:31], s[2:3], s[30:31]
	s_andn2_b64 s[2:3], s[42:43], exec
	s_and_b64 s[42:43], s[38:39], exec
	s_or_b64 s[42:43], s[2:3], s[42:43]
	s_andn2_b64 s[2:3], s[34:35], exec
	s_and_b64 s[34:35], s[0:1], exec
	s_or_b64 s[34:35], s[2:3], s[34:35]
	s_andn2_b64 exec, exec, s[30:31]
	s_cbranch_execz .LBB1483_343
.LBB1483_341:                           ; =>This Inner Loop Header: Depth=1
	global_load_dword v17, v[10:11], off
	global_load_dword v18, v[14:15], off
	s_andn2_b64 s[44:45], s[0:1], exec
	s_andn2_b64 s[38:39], s[38:39], exec
	s_or_b64 s[36:37], s[36:37], exec
	s_waitcnt vmcnt(0)
	v_cmp_le_u32_e64 s[0:1], v17, v18
	v_cmp_lt_u32_e32 vcc, v17, v18
	s_and_b64 s[0:1], s[0:1], s[42:43]
	s_or_b64 s[46:47], vcc, s[0:1]
	s_and_b64 s[0:1], s[46:47], exec
	v_cmp_eq_u32_e64 s[2:3], v17, v18
	s_or_b64 s[0:1], s[44:45], s[0:1]
	s_and_saveexec_b64 s[44:45], s[2:3]
	s_cbranch_execz .LBB1483_340
; %bb.342:                              ;   in Loop: Header=BB1483_341 Depth=1
	s_add_u32 s40, s40, -1
	s_addc_u32 s41, s41, -1
	v_add_co_u32_e32 v10, vcc, 4, v10
	s_cmp_eq_u64 s[40:41], 0
	v_addc_co_u32_e32 v11, vcc, 0, v11, vcc
	s_cselect_b64 s[2:3], -1, 0
	v_add_co_u32_e32 v14, vcc, 4, v14
	s_andn2_b64 s[38:39], s[38:39], exec
	s_and_b64 s[42:43], s[46:47], exec
	s_andn2_b64 s[36:37], s[36:37], exec
	s_and_b64 s[2:3], s[2:3], exec
	v_addc_co_u32_e32 v15, vcc, 0, v15, vcc
	s_or_b64 s[38:39], s[38:39], s[42:43]
	s_andn2_b64 s[0:1], s[0:1], exec
	s_or_b64 s[36:37], s[36:37], s[2:3]
                                        ; implicit-def: $sgpr42_sgpr43
	s_branch .LBB1483_340
.LBB1483_343:
	s_or_b64 exec, exec, s[30:31]
	v_cndmask_b32_e64 v7, v7, v9, s[34:35]
	v_cndmask_b32_e64 v6, v6, v8, s[34:35]
.LBB1483_344:
	v_pk_mov_b32 v[8:9], v[6:7], v[6:7] op_sel:[0,1]
.LBB1483_345:
	s_or_b64 exec, exec, s[28:29]
	v_pk_mov_b32 v[6:7], v[8:9], v[8:9] op_sel:[0,1]
.LBB1483_346:
	s_or_b64 exec, exec, s[26:27]
.LBB1483_347:
	s_or_b64 exec, exec, s[4:5]
	v_and_b32_e32 v17, 0xf00, v27
	v_or_b32_e32 v8, 0x80, v17
	v_min_u32_e32 v14, 0x400, v8
	v_min_u32_e32 v8, 0x380, v8
	v_add_u32_e32 v15, 0x80, v8
	v_and_b32_e32 v18, 0xfc, v27
	v_sub_u32_e32 v8, v14, v17
	v_sub_u32_e32 v9, v15, v14
	v_sub_u32_e64 v20, v18, v9 clamp
	v_min_u32_e32 v21, v18, v8
	v_lshlrev_b32_e32 v19, 3, v17
	v_cmp_lt_u32_e32 vcc, v20, v21
	s_barrier
	ds_write_b128 v16, v[0:3]
	ds_write_b128 v16, v[4:7] offset:16
	s_waitcnt lgkmcnt(0)
	s_barrier
	s_and_saveexec_b64 s[26:27], vcc
	s_cbranch_execz .LBB1483_357
; %bb.348:
	v_lshlrev_b32_e32 v8, 3, v18
	v_lshl_add_u32 v22, v14, 3, v8
	v_cndmask_b32_e64 v8, 0, 1, s[24:25]
	s_lshl_b64 s[30:31], s[16:17], 2
	s_mov_b64 s[28:29], 0
	v_cmp_ne_u32_e64 s[0:1], 1, v8
	s_branch .LBB1483_351
.LBB1483_349:                           ;   in Loop: Header=BB1483_351 Depth=1
	s_or_b64 exec, exec, s[36:37]
.LBB1483_350:                           ;   in Loop: Header=BB1483_351 Depth=1
	v_add_u32_e32 v8, 1, v23
	v_cndmask_b32_e64 v21, v21, v23, s[34:35]
	v_cndmask_b32_e64 v20, v8, v20, s[34:35]
	v_cmp_ge_u32_e32 vcc, v20, v21
	s_or_b64 s[28:29], vcc, s[28:29]
	s_andn2_b64 exec, exec, s[28:29]
	s_cbranch_execz .LBB1483_356
.LBB1483_351:                           ; =>This Loop Header: Depth=1
                                        ;     Child Loop BB1483_354 Depth 2
	v_add_u32_e32 v8, v21, v20
	v_lshrrev_b32_e32 v23, 1, v8
	s_and_b64 vcc, exec, s[0:1]
	s_mov_b64 s[34:35], 0
	s_cbranch_vccnz .LBB1483_350
; %bb.352:                              ;   in Loop: Header=BB1483_351 Depth=1
	v_not_b32_e32 v8, v23
	v_lshl_add_u32 v8, v8, 3, v22
	ds_read_b64 v[8:9], v8
	v_lshl_add_u32 v24, v23, 3, v19
	ds_read_b64 v[24:25], v24
	v_pk_mov_b32 v[10:11], s[18:19], s[18:19] op_sel:[0,1]
	s_mov_b64 s[36:37], 0
	s_waitcnt lgkmcnt(1)
	v_mul_lo_u32 v37, s30, v9
	v_mul_lo_u32 v38, s31, v8
	v_mad_u64_u32 v[8:9], s[2:3], s30, v8, v[10:11]
	v_add3_u32 v9, v38, v9, v37
	s_waitcnt lgkmcnt(0)
	v_mul_lo_u32 v25, s30, v25
	v_mul_lo_u32 v37, s31, v24
	v_mad_u64_u32 v[10:11], s[2:3], s30, v24, v[10:11]
	v_add3_u32 v11, v37, v11, v25
	s_mov_b64 s[42:43], s[16:17]
                                        ; implicit-def: $sgpr34_sgpr35
                                        ; implicit-def: $sgpr38_sgpr39
                                        ; implicit-def: $sgpr40_sgpr41
                                        ; implicit-def: $sgpr2_sgpr3
                                        ; implicit-def: $sgpr44_sgpr45
	s_branch .LBB1483_354
.LBB1483_353:                           ;   in Loop: Header=BB1483_354 Depth=2
	s_or_b64 exec, exec, s[46:47]
	s_and_b64 s[4:5], exec, s[38:39]
	s_or_b64 s[36:37], s[4:5], s[36:37]
	s_andn2_b64 s[4:5], s[44:45], exec
	s_and_b64 s[44:45], s[40:41], exec
	s_or_b64 s[44:45], s[4:5], s[44:45]
	s_andn2_b64 s[4:5], s[34:35], exec
	s_and_b64 s[34:35], s[2:3], exec
	s_or_b64 s[34:35], s[4:5], s[34:35]
	s_andn2_b64 exec, exec, s[36:37]
	s_cbranch_execz .LBB1483_349
.LBB1483_354:                           ;   Parent Loop BB1483_351 Depth=1
                                        ; =>  This Inner Loop Header: Depth=2
	global_load_dword v24, v[8:9], off
	global_load_dword v25, v[10:11], off
	s_andn2_b64 s[46:47], s[2:3], exec
	s_andn2_b64 s[40:41], s[40:41], exec
	s_or_b64 s[38:39], s[38:39], exec
	s_waitcnt vmcnt(0)
	v_cmp_le_u32_e64 s[2:3], v24, v25
	v_cmp_lt_u32_e32 vcc, v24, v25
	s_and_b64 s[2:3], s[2:3], s[44:45]
	s_or_b64 s[48:49], vcc, s[2:3]
	s_and_b64 s[2:3], s[48:49], exec
	v_cmp_eq_u32_e64 s[4:5], v24, v25
	s_or_b64 s[2:3], s[46:47], s[2:3]
	s_and_saveexec_b64 s[46:47], s[4:5]
	s_cbranch_execz .LBB1483_353
; %bb.355:                              ;   in Loop: Header=BB1483_354 Depth=2
	s_add_u32 s42, s42, -1
	s_addc_u32 s43, s43, -1
	v_add_co_u32_e32 v8, vcc, 4, v8
	s_cmp_eq_u64 s[42:43], 0
	v_addc_co_u32_e32 v9, vcc, 0, v9, vcc
	s_cselect_b64 s[4:5], -1, 0
	v_add_co_u32_e32 v10, vcc, 4, v10
	s_andn2_b64 s[40:41], s[40:41], exec
	s_and_b64 s[44:45], s[48:49], exec
	s_andn2_b64 s[38:39], s[38:39], exec
	s_and_b64 s[4:5], s[4:5], exec
	v_addc_co_u32_e32 v11, vcc, 0, v11, vcc
	s_andn2_b64 s[2:3], s[2:3], exec
	s_or_b64 s[40:41], s[40:41], s[44:45]
	s_or_b64 s[38:39], s[38:39], s[4:5]
                                        ; implicit-def: $sgpr44_sgpr45
	s_branch .LBB1483_353
.LBB1483_356:
	s_or_b64 exec, exec, s[28:29]
.LBB1483_357:
	s_or_b64 exec, exec, s[26:27]
	v_sub_u32_e32 v8, v18, v20
	v_add_u32_e32 v17, v20, v17
	v_add_u32_e32 v18, v8, v14
	v_cmp_le_u32_e32 vcc, v17, v14
	v_cmp_le_u32_e64 s[0:1], v18, v15
	s_or_b64 s[0:1], vcc, s[0:1]
	s_and_saveexec_b64 s[4:5], s[0:1]
	s_cbranch_execz .LBB1483_404
; %bb.358:
	v_cmp_ge_u32_e32 vcc, v17, v14
	v_cmp_lt_u32_e64 s[0:1], v17, v14
                                        ; implicit-def: $vgpr0_vgpr1
	s_and_saveexec_b64 s[2:3], s[0:1]
	s_cbranch_execz .LBB1483_360
; %bb.359:
	v_lshl_add_u32 v0, v20, 3, v19
	ds_read_b64 v[0:1], v0
.LBB1483_360:
	s_or_b64 exec, exec, s[2:3]
	v_cmp_ge_u32_e64 s[26:27], v18, v15
	v_cmp_lt_u32_e64 s[0:1], v18, v15
                                        ; implicit-def: $vgpr4_vgpr5
	s_and_saveexec_b64 s[2:3], s[0:1]
	s_cbranch_execz .LBB1483_362
; %bb.361:
	v_lshlrev_b32_e32 v2, 3, v18
	ds_read_b64 v[4:5], v2
.LBB1483_362:
	s_or_b64 exec, exec, s[2:3]
	s_or_b64 s[0:1], vcc, s[26:27]
	s_mov_b64 s[28:29], -1
	s_xor_b64 s[0:1], s[0:1], -1
	s_and_saveexec_b64 s[30:31], s[0:1]
	s_cbranch_execz .LBB1483_371
; %bb.363:
	s_andn2_b64 vcc, exec, s[24:25]
	s_cbranch_vccnz .LBB1483_369
; %bb.364:
	s_waitcnt lgkmcnt(0)
	v_mul_lo_u32 v6, v5, s16
	v_mul_lo_u32 v7, v4, s17
	v_mad_u64_u32 v[2:3], s[0:1], v4, s16, 0
	v_add3_u32 v3, v3, v7, v6
	v_lshlrev_b64 v[2:3], 2, v[2:3]
	v_mov_b32_e32 v6, s19
	v_add_co_u32_e32 v2, vcc, s18, v2
	v_addc_co_u32_e32 v3, vcc, v6, v3, vcc
	v_mul_lo_u32 v8, v1, s16
	v_mul_lo_u32 v9, v0, s17
	v_mad_u64_u32 v[6:7], s[0:1], v0, s16, 0
	v_add3_u32 v7, v7, v9, v8
	v_lshlrev_b64 v[6:7], 2, v[6:7]
	v_mov_b32_e32 v8, s19
	v_add_co_u32_e32 v6, vcc, s18, v6
	v_addc_co_u32_e32 v7, vcc, v8, v7, vcc
	s_mov_b64 s[34:35], 0
	s_mov_b64 s[42:43], s[16:17]
                                        ; implicit-def: $sgpr36_sgpr37
                                        ; implicit-def: $sgpr38_sgpr39
                                        ; implicit-def: $sgpr0_sgpr1
                                        ; implicit-def: $sgpr40_sgpr41
                                        ; implicit-def: $sgpr44_sgpr45
	s_branch .LBB1483_366
.LBB1483_365:                           ;   in Loop: Header=BB1483_366 Depth=1
	s_or_b64 exec, exec, s[46:47]
	s_and_b64 s[2:3], exec, s[38:39]
	s_or_b64 s[34:35], s[2:3], s[34:35]
	s_andn2_b64 s[2:3], s[44:45], exec
	s_and_b64 s[44:45], s[40:41], exec
	s_or_b64 s[44:45], s[2:3], s[44:45]
	s_andn2_b64 s[2:3], s[36:37], exec
	s_and_b64 s[36:37], s[0:1], exec
	s_or_b64 s[36:37], s[2:3], s[36:37]
	s_andn2_b64 exec, exec, s[34:35]
	s_cbranch_execz .LBB1483_368
.LBB1483_366:                           ; =>This Inner Loop Header: Depth=1
	global_load_dword v8, v[2:3], off
	global_load_dword v9, v[6:7], off
	s_andn2_b64 s[46:47], s[0:1], exec
	s_andn2_b64 s[40:41], s[40:41], exec
	s_or_b64 s[38:39], s[38:39], exec
	s_waitcnt vmcnt(0)
	v_cmp_le_u32_e64 s[0:1], v8, v9
	v_cmp_lt_u32_e32 vcc, v8, v9
	s_and_b64 s[0:1], s[0:1], s[44:45]
	s_or_b64 s[48:49], vcc, s[0:1]
	s_and_b64 s[0:1], s[48:49], exec
	v_cmp_eq_u32_e64 s[2:3], v8, v9
	s_or_b64 s[0:1], s[46:47], s[0:1]
	s_and_saveexec_b64 s[46:47], s[2:3]
	s_cbranch_execz .LBB1483_365
; %bb.367:                              ;   in Loop: Header=BB1483_366 Depth=1
	s_add_u32 s42, s42, -1
	s_addc_u32 s43, s43, -1
	v_add_co_u32_e32 v2, vcc, 4, v2
	s_cmp_eq_u64 s[42:43], 0
	v_addc_co_u32_e32 v3, vcc, 0, v3, vcc
	s_cselect_b64 s[2:3], -1, 0
	v_add_co_u32_e32 v6, vcc, 4, v6
	s_andn2_b64 s[40:41], s[40:41], exec
	s_and_b64 s[44:45], s[48:49], exec
	s_andn2_b64 s[38:39], s[38:39], exec
	s_and_b64 s[2:3], s[2:3], exec
	v_addc_co_u32_e32 v7, vcc, 0, v7, vcc
	s_or_b64 s[40:41], s[40:41], s[44:45]
	s_andn2_b64 s[0:1], s[0:1], exec
	s_or_b64 s[38:39], s[38:39], s[2:3]
                                        ; implicit-def: $sgpr44_sgpr45
	s_branch .LBB1483_365
.LBB1483_368:
	s_or_b64 exec, exec, s[34:35]
	s_xor_b64 s[0:1], s[36:37], -1
	s_branch .LBB1483_370
.LBB1483_369:
	s_mov_b64 s[0:1], -1
.LBB1483_370:
	s_andn2_b64 s[2:3], s[26:27], exec
	s_and_b64 s[0:1], s[0:1], exec
	s_or_b64 s[26:27], s[2:3], s[0:1]
.LBB1483_371:
	s_or_b64 exec, exec, s[30:31]
	v_cndmask_b32_e64 v2, v18, v17, s[26:27]
	v_cndmask_b32_e64 v3, v15, v14, s[26:27]
	v_add_u32_e32 v6, 1, v2
	v_add_u32_e32 v2, -1, v3
	v_min_u32_e32 v2, v6, v2
	v_lshlrev_b32_e32 v2, 3, v2
	ds_read_b64 v[2:3], v2
	v_cndmask_b32_e64 v19, v6, v18, s[26:27]
	v_cndmask_b32_e64 v23, v17, v6, s[26:27]
	v_cmp_lt_u32_e32 vcc, v19, v15
	s_waitcnt lgkmcnt(0)
	v_cndmask_b32_e64 v8, v3, v5, s[26:27]
	v_cndmask_b32_e64 v9, v2, v4, s[26:27]
	;; [unrolled: 1-line block ×4, first 2 shown]
	s_and_saveexec_b64 s[30:31], vcc
	s_cbranch_execz .LBB1483_382
; %bb.372:
	v_cmp_lt_u32_e32 vcc, v23, v14
	s_mov_b64 s[0:1], 0
	s_and_saveexec_b64 s[28:29], vcc
	s_cbranch_execz .LBB1483_381
; %bb.373:
	s_andn2_b64 vcc, exec, s[24:25]
	s_cbranch_vccnz .LBB1483_379
; %bb.374:
	v_mul_lo_u32 v6, v8, s16
	v_mul_lo_u32 v7, v9, s17
	v_mad_u64_u32 v[2:3], s[0:1], v9, s16, 0
	v_add3_u32 v3, v3, v7, v6
	v_lshlrev_b64 v[2:3], 2, v[2:3]
	v_mov_b32_e32 v6, s19
	v_add_co_u32_e32 v2, vcc, s18, v2
	v_addc_co_u32_e32 v3, vcc, v6, v3, vcc
	v_mul_lo_u32 v17, v10, s16
	v_mul_lo_u32 v18, v11, s17
	v_mad_u64_u32 v[6:7], s[0:1], v11, s16, 0
	v_add3_u32 v7, v7, v18, v17
	v_lshlrev_b64 v[6:7], 2, v[6:7]
	v_mov_b32_e32 v17, s19
	v_add_co_u32_e32 v6, vcc, s18, v6
	v_addc_co_u32_e32 v7, vcc, v17, v7, vcc
	s_mov_b64 s[34:35], 0
	s_mov_b64 s[42:43], s[16:17]
                                        ; implicit-def: $sgpr36_sgpr37
                                        ; implicit-def: $sgpr38_sgpr39
                                        ; implicit-def: $sgpr0_sgpr1
                                        ; implicit-def: $sgpr40_sgpr41
                                        ; implicit-def: $sgpr44_sgpr45
	s_branch .LBB1483_376
.LBB1483_375:                           ;   in Loop: Header=BB1483_376 Depth=1
	s_or_b64 exec, exec, s[46:47]
	s_and_b64 s[2:3], exec, s[38:39]
	s_or_b64 s[34:35], s[2:3], s[34:35]
	s_andn2_b64 s[2:3], s[44:45], exec
	s_and_b64 s[44:45], s[40:41], exec
	s_or_b64 s[44:45], s[2:3], s[44:45]
	s_andn2_b64 s[2:3], s[36:37], exec
	s_and_b64 s[36:37], s[0:1], exec
	s_or_b64 s[36:37], s[2:3], s[36:37]
	s_andn2_b64 exec, exec, s[34:35]
	s_cbranch_execz .LBB1483_378
.LBB1483_376:                           ; =>This Inner Loop Header: Depth=1
	global_load_dword v17, v[2:3], off
	global_load_dword v18, v[6:7], off
	s_andn2_b64 s[46:47], s[0:1], exec
	s_andn2_b64 s[40:41], s[40:41], exec
	s_or_b64 s[38:39], s[38:39], exec
	s_waitcnt vmcnt(0)
	v_cmp_le_u32_e64 s[0:1], v17, v18
	v_cmp_lt_u32_e32 vcc, v17, v18
	s_and_b64 s[0:1], s[0:1], s[44:45]
	s_or_b64 s[48:49], vcc, s[0:1]
	s_and_b64 s[0:1], s[48:49], exec
	v_cmp_eq_u32_e64 s[2:3], v17, v18
	s_or_b64 s[0:1], s[46:47], s[0:1]
	s_and_saveexec_b64 s[46:47], s[2:3]
	s_cbranch_execz .LBB1483_375
; %bb.377:                              ;   in Loop: Header=BB1483_376 Depth=1
	s_add_u32 s42, s42, -1
	s_addc_u32 s43, s43, -1
	v_add_co_u32_e32 v2, vcc, 4, v2
	s_cmp_eq_u64 s[42:43], 0
	v_addc_co_u32_e32 v3, vcc, 0, v3, vcc
	s_cselect_b64 s[2:3], -1, 0
	v_add_co_u32_e32 v6, vcc, 4, v6
	s_andn2_b64 s[40:41], s[40:41], exec
	s_and_b64 s[44:45], s[48:49], exec
	s_andn2_b64 s[38:39], s[38:39], exec
	s_and_b64 s[2:3], s[2:3], exec
	v_addc_co_u32_e32 v7, vcc, 0, v7, vcc
	s_or_b64 s[40:41], s[40:41], s[44:45]
	s_andn2_b64 s[0:1], s[0:1], exec
	s_or_b64 s[38:39], s[38:39], s[2:3]
                                        ; implicit-def: $sgpr44_sgpr45
	s_branch .LBB1483_375
.LBB1483_378:
	s_or_b64 exec, exec, s[34:35]
	s_xor_b64 s[0:1], s[36:37], -1
	s_branch .LBB1483_380
.LBB1483_379:
	s_mov_b64 s[0:1], -1
.LBB1483_380:
	s_and_b64 s[0:1], s[0:1], exec
.LBB1483_381:
	s_or_b64 exec, exec, s[28:29]
	s_orn2_b64 s[28:29], s[0:1], exec
.LBB1483_382:
	s_or_b64 exec, exec, s[30:31]
	v_cndmask_b32_e64 v2, v19, v23, s[28:29]
	v_cndmask_b32_e64 v3, v15, v14, s[28:29]
	v_add_u32_e32 v6, 1, v2
	v_add_u32_e32 v2, -1, v3
	v_min_u32_e32 v2, v6, v2
	v_lshlrev_b32_e32 v2, 3, v2
	ds_read_b64 v[2:3], v2
	v_cndmask_b32_e64 v20, v6, v19, s[28:29]
	v_cndmask_b32_e64 v19, v23, v6, s[28:29]
	v_cmp_lt_u32_e32 vcc, v20, v15
	s_mov_b64 s[0:1], -1
	s_waitcnt lgkmcnt(0)
	v_cndmask_b32_e64 v17, v3, v8, s[28:29]
	v_cndmask_b32_e64 v18, v2, v9, s[28:29]
	;; [unrolled: 1-line block ×4, first 2 shown]
	s_and_saveexec_b64 s[30:31], vcc
	s_cbranch_execz .LBB1483_393
; %bb.383:
	v_cmp_lt_u32_e32 vcc, v19, v14
	s_mov_b64 s[0:1], 0
	s_and_saveexec_b64 s[34:35], vcc
	s_cbranch_execz .LBB1483_392
; %bb.384:
	s_andn2_b64 vcc, exec, s[24:25]
	s_cbranch_vccnz .LBB1483_390
; %bb.385:
	v_mul_lo_u32 v6, v17, s16
	v_mul_lo_u32 v7, v18, s17
	v_mad_u64_u32 v[2:3], s[0:1], v18, s16, 0
	v_add3_u32 v3, v3, v7, v6
	v_lshlrev_b64 v[2:3], 2, v[2:3]
	v_mov_b32_e32 v6, s19
	v_add_co_u32_e32 v2, vcc, s18, v2
	v_addc_co_u32_e32 v3, vcc, v6, v3, vcc
	v_mul_lo_u32 v23, v21, s16
	v_mul_lo_u32 v24, v22, s17
	v_mad_u64_u32 v[6:7], s[0:1], v22, s16, 0
	v_add3_u32 v7, v7, v24, v23
	v_lshlrev_b64 v[6:7], 2, v[6:7]
	v_mov_b32_e32 v23, s19
	v_add_co_u32_e32 v6, vcc, s18, v6
	v_addc_co_u32_e32 v7, vcc, v23, v7, vcc
	s_mov_b64 s[36:37], 0
	s_mov_b64 s[44:45], s[16:17]
                                        ; implicit-def: $sgpr38_sgpr39
                                        ; implicit-def: $sgpr40_sgpr41
                                        ; implicit-def: $sgpr0_sgpr1
                                        ; implicit-def: $sgpr42_sgpr43
                                        ; implicit-def: $sgpr46_sgpr47
	s_branch .LBB1483_387
.LBB1483_386:                           ;   in Loop: Header=BB1483_387 Depth=1
	s_or_b64 exec, exec, s[48:49]
	s_and_b64 s[2:3], exec, s[40:41]
	s_or_b64 s[36:37], s[2:3], s[36:37]
	s_andn2_b64 s[2:3], s[46:47], exec
	s_and_b64 s[46:47], s[42:43], exec
	s_or_b64 s[46:47], s[2:3], s[46:47]
	s_andn2_b64 s[2:3], s[38:39], exec
	s_and_b64 s[38:39], s[0:1], exec
	s_or_b64 s[38:39], s[2:3], s[38:39]
	s_andn2_b64 exec, exec, s[36:37]
	s_cbranch_execz .LBB1483_389
.LBB1483_387:                           ; =>This Inner Loop Header: Depth=1
	global_load_dword v23, v[2:3], off
	global_load_dword v24, v[6:7], off
	s_andn2_b64 s[48:49], s[0:1], exec
	s_andn2_b64 s[42:43], s[42:43], exec
	s_or_b64 s[40:41], s[40:41], exec
	s_waitcnt vmcnt(0)
	v_cmp_le_u32_e64 s[0:1], v23, v24
	v_cmp_lt_u32_e32 vcc, v23, v24
	s_and_b64 s[0:1], s[0:1], s[46:47]
	s_or_b64 s[50:51], vcc, s[0:1]
	s_and_b64 s[0:1], s[50:51], exec
	v_cmp_eq_u32_e64 s[2:3], v23, v24
	s_or_b64 s[0:1], s[48:49], s[0:1]
	s_and_saveexec_b64 s[48:49], s[2:3]
	s_cbranch_execz .LBB1483_386
; %bb.388:                              ;   in Loop: Header=BB1483_387 Depth=1
	s_add_u32 s44, s44, -1
	s_addc_u32 s45, s45, -1
	v_add_co_u32_e32 v2, vcc, 4, v2
	s_cmp_eq_u64 s[44:45], 0
	v_addc_co_u32_e32 v3, vcc, 0, v3, vcc
	s_cselect_b64 s[2:3], -1, 0
	v_add_co_u32_e32 v6, vcc, 4, v6
	s_andn2_b64 s[42:43], s[42:43], exec
	s_and_b64 s[46:47], s[50:51], exec
	s_andn2_b64 s[40:41], s[40:41], exec
	s_and_b64 s[2:3], s[2:3], exec
	v_addc_co_u32_e32 v7, vcc, 0, v7, vcc
	s_or_b64 s[42:43], s[42:43], s[46:47]
	s_andn2_b64 s[0:1], s[0:1], exec
	s_or_b64 s[40:41], s[40:41], s[2:3]
                                        ; implicit-def: $sgpr46_sgpr47
	s_branch .LBB1483_386
.LBB1483_389:
	s_or_b64 exec, exec, s[36:37]
	s_xor_b64 s[0:1], s[38:39], -1
	s_branch .LBB1483_391
.LBB1483_390:
	s_mov_b64 s[0:1], -1
.LBB1483_391:
	s_and_b64 s[0:1], s[0:1], exec
.LBB1483_392:
	s_or_b64 exec, exec, s[34:35]
	s_orn2_b64 s[0:1], s[0:1], exec
.LBB1483_393:
	s_or_b64 exec, exec, s[30:31]
	v_cndmask_b32_e64 v6, v20, v19, s[0:1]
	v_cndmask_b32_e64 v7, v15, v14, s[0:1]
	;; [unrolled: 1-line block ×3, first 2 shown]
	v_add_u32_e32 v10, 1, v6
	v_add_u32_e32 v6, -1, v7
	v_min_u32_e32 v6, v10, v6
	v_lshlrev_b32_e32 v6, 3, v6
	v_cndmask_b32_e64 v2, v9, v11, s[28:29]
	ds_read_b64 v[8:9], v6
	v_cndmask_b32_e64 v11, v10, v20, s[0:1]
	v_cndmask_b32_e64 v1, v5, v1, s[26:27]
	;; [unrolled: 1-line block ×5, first 2 shown]
	s_waitcnt lgkmcnt(0)
	v_cndmask_b32_e64 v7, v21, v9, s[0:1]
	v_cndmask_b32_e64 v6, v22, v8, s[0:1]
	v_cmp_lt_u32_e32 vcc, v11, v15
	s_and_saveexec_b64 s[26:27], vcc
	s_cbranch_execz .LBB1483_403
; %bb.394:
	v_cndmask_b32_e64 v10, v19, v10, s[0:1]
	v_cndmask_b32_e64 v9, v9, v17, s[0:1]
	;; [unrolled: 1-line block ×3, first 2 shown]
	v_cmp_lt_u32_e32 vcc, v10, v14
	s_and_saveexec_b64 s[28:29], vcc
	s_cbranch_execz .LBB1483_402
; %bb.395:
	s_andn2_b64 vcc, exec, s[24:25]
	s_cbranch_vccnz .LBB1483_401
; %bb.396:
	v_mul_lo_u32 v14, v9, s16
	v_mul_lo_u32 v15, v8, s17
	v_mad_u64_u32 v[10:11], s[0:1], v8, s16, 0
	v_add3_u32 v11, v11, v15, v14
	v_lshlrev_b64 v[10:11], 2, v[10:11]
	v_mov_b32_e32 v14, s19
	v_add_co_u32_e32 v10, vcc, s18, v10
	v_addc_co_u32_e32 v11, vcc, v14, v11, vcc
	v_mul_lo_u32 v17, v7, s16
	v_mul_lo_u32 v18, v6, s17
	v_mad_u64_u32 v[14:15], s[0:1], v6, s16, 0
	v_add3_u32 v15, v15, v18, v17
	v_lshlrev_b64 v[14:15], 2, v[14:15]
	v_mov_b32_e32 v17, s19
	v_add_co_u32_e32 v14, vcc, s18, v14
	v_addc_co_u32_e32 v15, vcc, v17, v15, vcc
	s_mov_b64 s[30:31], 0
	s_mov_b64 s[40:41], s[16:17]
                                        ; implicit-def: $sgpr34_sgpr35
                                        ; implicit-def: $sgpr36_sgpr37
                                        ; implicit-def: $sgpr0_sgpr1
                                        ; implicit-def: $sgpr38_sgpr39
                                        ; implicit-def: $sgpr42_sgpr43
	s_branch .LBB1483_398
.LBB1483_397:                           ;   in Loop: Header=BB1483_398 Depth=1
	s_or_b64 exec, exec, s[44:45]
	s_and_b64 s[2:3], exec, s[36:37]
	s_or_b64 s[30:31], s[2:3], s[30:31]
	s_andn2_b64 s[2:3], s[42:43], exec
	s_and_b64 s[42:43], s[38:39], exec
	s_or_b64 s[42:43], s[2:3], s[42:43]
	s_andn2_b64 s[2:3], s[34:35], exec
	s_and_b64 s[34:35], s[0:1], exec
	s_or_b64 s[34:35], s[2:3], s[34:35]
	s_andn2_b64 exec, exec, s[30:31]
	s_cbranch_execz .LBB1483_400
.LBB1483_398:                           ; =>This Inner Loop Header: Depth=1
	global_load_dword v17, v[10:11], off
	global_load_dword v18, v[14:15], off
	s_andn2_b64 s[44:45], s[0:1], exec
	s_andn2_b64 s[38:39], s[38:39], exec
	s_or_b64 s[36:37], s[36:37], exec
	s_waitcnt vmcnt(0)
	v_cmp_le_u32_e64 s[0:1], v17, v18
	v_cmp_lt_u32_e32 vcc, v17, v18
	s_and_b64 s[0:1], s[0:1], s[42:43]
	s_or_b64 s[46:47], vcc, s[0:1]
	s_and_b64 s[0:1], s[46:47], exec
	v_cmp_eq_u32_e64 s[2:3], v17, v18
	s_or_b64 s[0:1], s[44:45], s[0:1]
	s_and_saveexec_b64 s[44:45], s[2:3]
	s_cbranch_execz .LBB1483_397
; %bb.399:                              ;   in Loop: Header=BB1483_398 Depth=1
	s_add_u32 s40, s40, -1
	s_addc_u32 s41, s41, -1
	v_add_co_u32_e32 v10, vcc, 4, v10
	s_cmp_eq_u64 s[40:41], 0
	v_addc_co_u32_e32 v11, vcc, 0, v11, vcc
	s_cselect_b64 s[2:3], -1, 0
	v_add_co_u32_e32 v14, vcc, 4, v14
	s_andn2_b64 s[38:39], s[38:39], exec
	s_and_b64 s[42:43], s[46:47], exec
	s_andn2_b64 s[36:37], s[36:37], exec
	s_and_b64 s[2:3], s[2:3], exec
	v_addc_co_u32_e32 v15, vcc, 0, v15, vcc
	s_or_b64 s[38:39], s[38:39], s[42:43]
	s_andn2_b64 s[0:1], s[0:1], exec
	s_or_b64 s[36:37], s[36:37], s[2:3]
                                        ; implicit-def: $sgpr42_sgpr43
	s_branch .LBB1483_397
.LBB1483_400:
	s_or_b64 exec, exec, s[30:31]
	v_cndmask_b32_e64 v7, v7, v9, s[34:35]
	v_cndmask_b32_e64 v6, v6, v8, s[34:35]
.LBB1483_401:
	v_pk_mov_b32 v[8:9], v[6:7], v[6:7] op_sel:[0,1]
.LBB1483_402:
	s_or_b64 exec, exec, s[28:29]
	v_pk_mov_b32 v[6:7], v[8:9], v[8:9] op_sel:[0,1]
.LBB1483_403:
	s_or_b64 exec, exec, s[26:27]
.LBB1483_404:
	s_or_b64 exec, exec, s[4:5]
	v_and_b32_e32 v17, 0xe00, v27
	v_or_b32_e32 v8, 0x100, v17
	v_min_u32_e32 v14, 0x400, v8
	v_min_u32_e32 v8, 0x300, v8
	v_add_u32_e32 v15, 0x100, v8
	v_and_b32_e32 v18, 0x1fc, v27
	v_sub_u32_e32 v8, v14, v17
	v_sub_u32_e32 v9, v15, v14
	v_sub_u32_e64 v20, v18, v9 clamp
	v_min_u32_e32 v21, v18, v8
	v_lshlrev_b32_e32 v19, 3, v17
	v_cmp_lt_u32_e32 vcc, v20, v21
	s_barrier
	ds_write_b128 v16, v[0:3]
	ds_write_b128 v16, v[4:7] offset:16
	s_waitcnt lgkmcnt(0)
	s_barrier
	s_and_saveexec_b64 s[26:27], vcc
	s_cbranch_execz .LBB1483_414
; %bb.405:
	v_lshlrev_b32_e32 v8, 3, v18
	v_lshl_add_u32 v22, v14, 3, v8
	v_cndmask_b32_e64 v8, 0, 1, s[24:25]
	s_lshl_b64 s[30:31], s[16:17], 2
	s_mov_b64 s[28:29], 0
	v_cmp_ne_u32_e64 s[0:1], 1, v8
	s_branch .LBB1483_408
.LBB1483_406:                           ;   in Loop: Header=BB1483_408 Depth=1
	s_or_b64 exec, exec, s[36:37]
.LBB1483_407:                           ;   in Loop: Header=BB1483_408 Depth=1
	v_add_u32_e32 v8, 1, v23
	v_cndmask_b32_e64 v21, v21, v23, s[34:35]
	v_cndmask_b32_e64 v20, v8, v20, s[34:35]
	v_cmp_ge_u32_e32 vcc, v20, v21
	s_or_b64 s[28:29], vcc, s[28:29]
	s_andn2_b64 exec, exec, s[28:29]
	s_cbranch_execz .LBB1483_413
.LBB1483_408:                           ; =>This Loop Header: Depth=1
                                        ;     Child Loop BB1483_411 Depth 2
	v_add_u32_e32 v8, v21, v20
	v_lshrrev_b32_e32 v23, 1, v8
	s_and_b64 vcc, exec, s[0:1]
	s_mov_b64 s[34:35], 0
	s_cbranch_vccnz .LBB1483_407
; %bb.409:                              ;   in Loop: Header=BB1483_408 Depth=1
	v_not_b32_e32 v8, v23
	v_lshl_add_u32 v8, v8, 3, v22
	ds_read_b64 v[8:9], v8
	v_lshl_add_u32 v24, v23, 3, v19
	ds_read_b64 v[24:25], v24
	v_pk_mov_b32 v[10:11], s[18:19], s[18:19] op_sel:[0,1]
	s_mov_b64 s[36:37], 0
	s_waitcnt lgkmcnt(1)
	v_mul_lo_u32 v37, s30, v9
	v_mul_lo_u32 v38, s31, v8
	v_mad_u64_u32 v[8:9], s[2:3], s30, v8, v[10:11]
	v_add3_u32 v9, v38, v9, v37
	s_waitcnt lgkmcnt(0)
	v_mul_lo_u32 v25, s30, v25
	v_mul_lo_u32 v37, s31, v24
	v_mad_u64_u32 v[10:11], s[2:3], s30, v24, v[10:11]
	v_add3_u32 v11, v37, v11, v25
	s_mov_b64 s[42:43], s[16:17]
                                        ; implicit-def: $sgpr34_sgpr35
                                        ; implicit-def: $sgpr38_sgpr39
                                        ; implicit-def: $sgpr40_sgpr41
                                        ; implicit-def: $sgpr2_sgpr3
                                        ; implicit-def: $sgpr44_sgpr45
	s_branch .LBB1483_411
.LBB1483_410:                           ;   in Loop: Header=BB1483_411 Depth=2
	s_or_b64 exec, exec, s[46:47]
	s_and_b64 s[4:5], exec, s[38:39]
	s_or_b64 s[36:37], s[4:5], s[36:37]
	s_andn2_b64 s[4:5], s[44:45], exec
	s_and_b64 s[44:45], s[40:41], exec
	s_or_b64 s[44:45], s[4:5], s[44:45]
	s_andn2_b64 s[4:5], s[34:35], exec
	s_and_b64 s[34:35], s[2:3], exec
	s_or_b64 s[34:35], s[4:5], s[34:35]
	s_andn2_b64 exec, exec, s[36:37]
	s_cbranch_execz .LBB1483_406
.LBB1483_411:                           ;   Parent Loop BB1483_408 Depth=1
                                        ; =>  This Inner Loop Header: Depth=2
	global_load_dword v24, v[8:9], off
	global_load_dword v25, v[10:11], off
	s_andn2_b64 s[46:47], s[2:3], exec
	s_andn2_b64 s[40:41], s[40:41], exec
	s_or_b64 s[38:39], s[38:39], exec
	s_waitcnt vmcnt(0)
	v_cmp_le_u32_e64 s[2:3], v24, v25
	v_cmp_lt_u32_e32 vcc, v24, v25
	s_and_b64 s[2:3], s[2:3], s[44:45]
	s_or_b64 s[48:49], vcc, s[2:3]
	s_and_b64 s[2:3], s[48:49], exec
	v_cmp_eq_u32_e64 s[4:5], v24, v25
	s_or_b64 s[2:3], s[46:47], s[2:3]
	s_and_saveexec_b64 s[46:47], s[4:5]
	s_cbranch_execz .LBB1483_410
; %bb.412:                              ;   in Loop: Header=BB1483_411 Depth=2
	s_add_u32 s42, s42, -1
	s_addc_u32 s43, s43, -1
	v_add_co_u32_e32 v8, vcc, 4, v8
	s_cmp_eq_u64 s[42:43], 0
	v_addc_co_u32_e32 v9, vcc, 0, v9, vcc
	s_cselect_b64 s[4:5], -1, 0
	v_add_co_u32_e32 v10, vcc, 4, v10
	s_andn2_b64 s[40:41], s[40:41], exec
	s_and_b64 s[44:45], s[48:49], exec
	s_andn2_b64 s[38:39], s[38:39], exec
	s_and_b64 s[4:5], s[4:5], exec
	v_addc_co_u32_e32 v11, vcc, 0, v11, vcc
	s_andn2_b64 s[2:3], s[2:3], exec
	s_or_b64 s[40:41], s[40:41], s[44:45]
	s_or_b64 s[38:39], s[38:39], s[4:5]
                                        ; implicit-def: $sgpr44_sgpr45
	s_branch .LBB1483_410
.LBB1483_413:
	s_or_b64 exec, exec, s[28:29]
.LBB1483_414:
	s_or_b64 exec, exec, s[26:27]
	v_sub_u32_e32 v8, v18, v20
	v_add_u32_e32 v17, v20, v17
	v_add_u32_e32 v18, v8, v14
	v_cmp_le_u32_e32 vcc, v17, v14
	v_cmp_le_u32_e64 s[0:1], v18, v15
	s_or_b64 s[0:1], vcc, s[0:1]
	s_and_saveexec_b64 s[4:5], s[0:1]
	s_cbranch_execz .LBB1483_461
; %bb.415:
	v_cmp_ge_u32_e32 vcc, v17, v14
	v_cmp_lt_u32_e64 s[0:1], v17, v14
                                        ; implicit-def: $vgpr0_vgpr1
	s_and_saveexec_b64 s[2:3], s[0:1]
	s_cbranch_execz .LBB1483_417
; %bb.416:
	v_lshl_add_u32 v0, v20, 3, v19
	ds_read_b64 v[0:1], v0
.LBB1483_417:
	s_or_b64 exec, exec, s[2:3]
	v_cmp_ge_u32_e64 s[26:27], v18, v15
	v_cmp_lt_u32_e64 s[0:1], v18, v15
                                        ; implicit-def: $vgpr4_vgpr5
	s_and_saveexec_b64 s[2:3], s[0:1]
	s_cbranch_execz .LBB1483_419
; %bb.418:
	v_lshlrev_b32_e32 v2, 3, v18
	ds_read_b64 v[4:5], v2
.LBB1483_419:
	s_or_b64 exec, exec, s[2:3]
	s_or_b64 s[0:1], vcc, s[26:27]
	s_mov_b64 s[28:29], -1
	s_xor_b64 s[0:1], s[0:1], -1
	s_and_saveexec_b64 s[30:31], s[0:1]
	s_cbranch_execz .LBB1483_428
; %bb.420:
	s_andn2_b64 vcc, exec, s[24:25]
	s_cbranch_vccnz .LBB1483_426
; %bb.421:
	s_waitcnt lgkmcnt(0)
	v_mul_lo_u32 v6, v5, s16
	v_mul_lo_u32 v7, v4, s17
	v_mad_u64_u32 v[2:3], s[0:1], v4, s16, 0
	v_add3_u32 v3, v3, v7, v6
	v_lshlrev_b64 v[2:3], 2, v[2:3]
	v_mov_b32_e32 v6, s19
	v_add_co_u32_e32 v2, vcc, s18, v2
	v_addc_co_u32_e32 v3, vcc, v6, v3, vcc
	v_mul_lo_u32 v8, v1, s16
	v_mul_lo_u32 v9, v0, s17
	v_mad_u64_u32 v[6:7], s[0:1], v0, s16, 0
	v_add3_u32 v7, v7, v9, v8
	v_lshlrev_b64 v[6:7], 2, v[6:7]
	v_mov_b32_e32 v8, s19
	v_add_co_u32_e32 v6, vcc, s18, v6
	v_addc_co_u32_e32 v7, vcc, v8, v7, vcc
	s_mov_b64 s[34:35], 0
	s_mov_b64 s[42:43], s[16:17]
                                        ; implicit-def: $sgpr36_sgpr37
                                        ; implicit-def: $sgpr38_sgpr39
                                        ; implicit-def: $sgpr0_sgpr1
                                        ; implicit-def: $sgpr40_sgpr41
                                        ; implicit-def: $sgpr44_sgpr45
	s_branch .LBB1483_423
.LBB1483_422:                           ;   in Loop: Header=BB1483_423 Depth=1
	s_or_b64 exec, exec, s[46:47]
	s_and_b64 s[2:3], exec, s[38:39]
	s_or_b64 s[34:35], s[2:3], s[34:35]
	s_andn2_b64 s[2:3], s[44:45], exec
	s_and_b64 s[44:45], s[40:41], exec
	s_or_b64 s[44:45], s[2:3], s[44:45]
	s_andn2_b64 s[2:3], s[36:37], exec
	s_and_b64 s[36:37], s[0:1], exec
	s_or_b64 s[36:37], s[2:3], s[36:37]
	s_andn2_b64 exec, exec, s[34:35]
	s_cbranch_execz .LBB1483_425
.LBB1483_423:                           ; =>This Inner Loop Header: Depth=1
	global_load_dword v8, v[2:3], off
	global_load_dword v9, v[6:7], off
	s_andn2_b64 s[46:47], s[0:1], exec
	s_andn2_b64 s[40:41], s[40:41], exec
	s_or_b64 s[38:39], s[38:39], exec
	s_waitcnt vmcnt(0)
	v_cmp_le_u32_e64 s[0:1], v8, v9
	v_cmp_lt_u32_e32 vcc, v8, v9
	s_and_b64 s[0:1], s[0:1], s[44:45]
	s_or_b64 s[48:49], vcc, s[0:1]
	s_and_b64 s[0:1], s[48:49], exec
	v_cmp_eq_u32_e64 s[2:3], v8, v9
	s_or_b64 s[0:1], s[46:47], s[0:1]
	s_and_saveexec_b64 s[46:47], s[2:3]
	s_cbranch_execz .LBB1483_422
; %bb.424:                              ;   in Loop: Header=BB1483_423 Depth=1
	s_add_u32 s42, s42, -1
	s_addc_u32 s43, s43, -1
	v_add_co_u32_e32 v2, vcc, 4, v2
	s_cmp_eq_u64 s[42:43], 0
	v_addc_co_u32_e32 v3, vcc, 0, v3, vcc
	s_cselect_b64 s[2:3], -1, 0
	v_add_co_u32_e32 v6, vcc, 4, v6
	s_andn2_b64 s[40:41], s[40:41], exec
	s_and_b64 s[44:45], s[48:49], exec
	s_andn2_b64 s[38:39], s[38:39], exec
	s_and_b64 s[2:3], s[2:3], exec
	v_addc_co_u32_e32 v7, vcc, 0, v7, vcc
	s_or_b64 s[40:41], s[40:41], s[44:45]
	s_andn2_b64 s[0:1], s[0:1], exec
	s_or_b64 s[38:39], s[38:39], s[2:3]
                                        ; implicit-def: $sgpr44_sgpr45
	s_branch .LBB1483_422
.LBB1483_425:
	s_or_b64 exec, exec, s[34:35]
	s_xor_b64 s[0:1], s[36:37], -1
	s_branch .LBB1483_427
.LBB1483_426:
	s_mov_b64 s[0:1], -1
.LBB1483_427:
	s_andn2_b64 s[2:3], s[26:27], exec
	s_and_b64 s[0:1], s[0:1], exec
	s_or_b64 s[26:27], s[2:3], s[0:1]
.LBB1483_428:
	s_or_b64 exec, exec, s[30:31]
	v_cndmask_b32_e64 v2, v18, v17, s[26:27]
	v_cndmask_b32_e64 v3, v15, v14, s[26:27]
	v_add_u32_e32 v6, 1, v2
	v_add_u32_e32 v2, -1, v3
	v_min_u32_e32 v2, v6, v2
	v_lshlrev_b32_e32 v2, 3, v2
	ds_read_b64 v[2:3], v2
	v_cndmask_b32_e64 v19, v6, v18, s[26:27]
	v_cndmask_b32_e64 v23, v17, v6, s[26:27]
	v_cmp_lt_u32_e32 vcc, v19, v15
	s_waitcnt lgkmcnt(0)
	v_cndmask_b32_e64 v8, v3, v5, s[26:27]
	v_cndmask_b32_e64 v9, v2, v4, s[26:27]
	;; [unrolled: 1-line block ×4, first 2 shown]
	s_and_saveexec_b64 s[30:31], vcc
	s_cbranch_execz .LBB1483_439
; %bb.429:
	v_cmp_lt_u32_e32 vcc, v23, v14
	s_mov_b64 s[0:1], 0
	s_and_saveexec_b64 s[28:29], vcc
	s_cbranch_execz .LBB1483_438
; %bb.430:
	s_andn2_b64 vcc, exec, s[24:25]
	s_cbranch_vccnz .LBB1483_436
; %bb.431:
	v_mul_lo_u32 v6, v8, s16
	v_mul_lo_u32 v7, v9, s17
	v_mad_u64_u32 v[2:3], s[0:1], v9, s16, 0
	v_add3_u32 v3, v3, v7, v6
	v_lshlrev_b64 v[2:3], 2, v[2:3]
	v_mov_b32_e32 v6, s19
	v_add_co_u32_e32 v2, vcc, s18, v2
	v_addc_co_u32_e32 v3, vcc, v6, v3, vcc
	v_mul_lo_u32 v17, v10, s16
	v_mul_lo_u32 v18, v11, s17
	v_mad_u64_u32 v[6:7], s[0:1], v11, s16, 0
	v_add3_u32 v7, v7, v18, v17
	v_lshlrev_b64 v[6:7], 2, v[6:7]
	v_mov_b32_e32 v17, s19
	v_add_co_u32_e32 v6, vcc, s18, v6
	v_addc_co_u32_e32 v7, vcc, v17, v7, vcc
	s_mov_b64 s[34:35], 0
	s_mov_b64 s[42:43], s[16:17]
                                        ; implicit-def: $sgpr36_sgpr37
                                        ; implicit-def: $sgpr38_sgpr39
                                        ; implicit-def: $sgpr0_sgpr1
                                        ; implicit-def: $sgpr40_sgpr41
                                        ; implicit-def: $sgpr44_sgpr45
	s_branch .LBB1483_433
.LBB1483_432:                           ;   in Loop: Header=BB1483_433 Depth=1
	s_or_b64 exec, exec, s[46:47]
	s_and_b64 s[2:3], exec, s[38:39]
	s_or_b64 s[34:35], s[2:3], s[34:35]
	s_andn2_b64 s[2:3], s[44:45], exec
	s_and_b64 s[44:45], s[40:41], exec
	s_or_b64 s[44:45], s[2:3], s[44:45]
	s_andn2_b64 s[2:3], s[36:37], exec
	s_and_b64 s[36:37], s[0:1], exec
	s_or_b64 s[36:37], s[2:3], s[36:37]
	s_andn2_b64 exec, exec, s[34:35]
	s_cbranch_execz .LBB1483_435
.LBB1483_433:                           ; =>This Inner Loop Header: Depth=1
	global_load_dword v17, v[2:3], off
	global_load_dword v18, v[6:7], off
	s_andn2_b64 s[46:47], s[0:1], exec
	s_andn2_b64 s[40:41], s[40:41], exec
	s_or_b64 s[38:39], s[38:39], exec
	s_waitcnt vmcnt(0)
	v_cmp_le_u32_e64 s[0:1], v17, v18
	v_cmp_lt_u32_e32 vcc, v17, v18
	s_and_b64 s[0:1], s[0:1], s[44:45]
	s_or_b64 s[48:49], vcc, s[0:1]
	s_and_b64 s[0:1], s[48:49], exec
	v_cmp_eq_u32_e64 s[2:3], v17, v18
	s_or_b64 s[0:1], s[46:47], s[0:1]
	s_and_saveexec_b64 s[46:47], s[2:3]
	s_cbranch_execz .LBB1483_432
; %bb.434:                              ;   in Loop: Header=BB1483_433 Depth=1
	s_add_u32 s42, s42, -1
	s_addc_u32 s43, s43, -1
	v_add_co_u32_e32 v2, vcc, 4, v2
	s_cmp_eq_u64 s[42:43], 0
	v_addc_co_u32_e32 v3, vcc, 0, v3, vcc
	s_cselect_b64 s[2:3], -1, 0
	v_add_co_u32_e32 v6, vcc, 4, v6
	s_andn2_b64 s[40:41], s[40:41], exec
	s_and_b64 s[44:45], s[48:49], exec
	s_andn2_b64 s[38:39], s[38:39], exec
	s_and_b64 s[2:3], s[2:3], exec
	v_addc_co_u32_e32 v7, vcc, 0, v7, vcc
	s_or_b64 s[40:41], s[40:41], s[44:45]
	s_andn2_b64 s[0:1], s[0:1], exec
	s_or_b64 s[38:39], s[38:39], s[2:3]
                                        ; implicit-def: $sgpr44_sgpr45
	s_branch .LBB1483_432
.LBB1483_435:
	s_or_b64 exec, exec, s[34:35]
	s_xor_b64 s[0:1], s[36:37], -1
	s_branch .LBB1483_437
.LBB1483_436:
	s_mov_b64 s[0:1], -1
.LBB1483_437:
	s_and_b64 s[0:1], s[0:1], exec
.LBB1483_438:
	s_or_b64 exec, exec, s[28:29]
	s_orn2_b64 s[28:29], s[0:1], exec
.LBB1483_439:
	s_or_b64 exec, exec, s[30:31]
	v_cndmask_b32_e64 v2, v19, v23, s[28:29]
	v_cndmask_b32_e64 v3, v15, v14, s[28:29]
	v_add_u32_e32 v6, 1, v2
	v_add_u32_e32 v2, -1, v3
	v_min_u32_e32 v2, v6, v2
	v_lshlrev_b32_e32 v2, 3, v2
	ds_read_b64 v[2:3], v2
	v_cndmask_b32_e64 v20, v6, v19, s[28:29]
	v_cndmask_b32_e64 v19, v23, v6, s[28:29]
	v_cmp_lt_u32_e32 vcc, v20, v15
	s_mov_b64 s[0:1], -1
	s_waitcnt lgkmcnt(0)
	v_cndmask_b32_e64 v17, v3, v8, s[28:29]
	v_cndmask_b32_e64 v18, v2, v9, s[28:29]
	;; [unrolled: 1-line block ×4, first 2 shown]
	s_and_saveexec_b64 s[30:31], vcc
	s_cbranch_execz .LBB1483_450
; %bb.440:
	v_cmp_lt_u32_e32 vcc, v19, v14
	s_mov_b64 s[0:1], 0
	s_and_saveexec_b64 s[34:35], vcc
	s_cbranch_execz .LBB1483_449
; %bb.441:
	s_andn2_b64 vcc, exec, s[24:25]
	s_cbranch_vccnz .LBB1483_447
; %bb.442:
	v_mul_lo_u32 v6, v17, s16
	v_mul_lo_u32 v7, v18, s17
	v_mad_u64_u32 v[2:3], s[0:1], v18, s16, 0
	v_add3_u32 v3, v3, v7, v6
	v_lshlrev_b64 v[2:3], 2, v[2:3]
	v_mov_b32_e32 v6, s19
	v_add_co_u32_e32 v2, vcc, s18, v2
	v_addc_co_u32_e32 v3, vcc, v6, v3, vcc
	v_mul_lo_u32 v23, v21, s16
	v_mul_lo_u32 v24, v22, s17
	v_mad_u64_u32 v[6:7], s[0:1], v22, s16, 0
	v_add3_u32 v7, v7, v24, v23
	v_lshlrev_b64 v[6:7], 2, v[6:7]
	v_mov_b32_e32 v23, s19
	v_add_co_u32_e32 v6, vcc, s18, v6
	v_addc_co_u32_e32 v7, vcc, v23, v7, vcc
	s_mov_b64 s[36:37], 0
	s_mov_b64 s[44:45], s[16:17]
                                        ; implicit-def: $sgpr38_sgpr39
                                        ; implicit-def: $sgpr40_sgpr41
                                        ; implicit-def: $sgpr0_sgpr1
                                        ; implicit-def: $sgpr42_sgpr43
                                        ; implicit-def: $sgpr46_sgpr47
	s_branch .LBB1483_444
.LBB1483_443:                           ;   in Loop: Header=BB1483_444 Depth=1
	s_or_b64 exec, exec, s[48:49]
	s_and_b64 s[2:3], exec, s[40:41]
	s_or_b64 s[36:37], s[2:3], s[36:37]
	s_andn2_b64 s[2:3], s[46:47], exec
	s_and_b64 s[46:47], s[42:43], exec
	s_or_b64 s[46:47], s[2:3], s[46:47]
	s_andn2_b64 s[2:3], s[38:39], exec
	s_and_b64 s[38:39], s[0:1], exec
	s_or_b64 s[38:39], s[2:3], s[38:39]
	s_andn2_b64 exec, exec, s[36:37]
	s_cbranch_execz .LBB1483_446
.LBB1483_444:                           ; =>This Inner Loop Header: Depth=1
	global_load_dword v23, v[2:3], off
	global_load_dword v24, v[6:7], off
	s_andn2_b64 s[48:49], s[0:1], exec
	s_andn2_b64 s[42:43], s[42:43], exec
	s_or_b64 s[40:41], s[40:41], exec
	s_waitcnt vmcnt(0)
	v_cmp_le_u32_e64 s[0:1], v23, v24
	v_cmp_lt_u32_e32 vcc, v23, v24
	s_and_b64 s[0:1], s[0:1], s[46:47]
	s_or_b64 s[50:51], vcc, s[0:1]
	s_and_b64 s[0:1], s[50:51], exec
	v_cmp_eq_u32_e64 s[2:3], v23, v24
	s_or_b64 s[0:1], s[48:49], s[0:1]
	s_and_saveexec_b64 s[48:49], s[2:3]
	s_cbranch_execz .LBB1483_443
; %bb.445:                              ;   in Loop: Header=BB1483_444 Depth=1
	s_add_u32 s44, s44, -1
	s_addc_u32 s45, s45, -1
	v_add_co_u32_e32 v2, vcc, 4, v2
	s_cmp_eq_u64 s[44:45], 0
	v_addc_co_u32_e32 v3, vcc, 0, v3, vcc
	s_cselect_b64 s[2:3], -1, 0
	v_add_co_u32_e32 v6, vcc, 4, v6
	s_andn2_b64 s[42:43], s[42:43], exec
	s_and_b64 s[46:47], s[50:51], exec
	s_andn2_b64 s[40:41], s[40:41], exec
	s_and_b64 s[2:3], s[2:3], exec
	v_addc_co_u32_e32 v7, vcc, 0, v7, vcc
	s_or_b64 s[42:43], s[42:43], s[46:47]
	s_andn2_b64 s[0:1], s[0:1], exec
	s_or_b64 s[40:41], s[40:41], s[2:3]
                                        ; implicit-def: $sgpr46_sgpr47
	s_branch .LBB1483_443
.LBB1483_446:
	s_or_b64 exec, exec, s[36:37]
	s_xor_b64 s[0:1], s[38:39], -1
	s_branch .LBB1483_448
.LBB1483_447:
	s_mov_b64 s[0:1], -1
.LBB1483_448:
	s_and_b64 s[0:1], s[0:1], exec
.LBB1483_449:
	s_or_b64 exec, exec, s[34:35]
	s_orn2_b64 s[0:1], s[0:1], exec
.LBB1483_450:
	s_or_b64 exec, exec, s[30:31]
	v_cndmask_b32_e64 v6, v20, v19, s[0:1]
	v_cndmask_b32_e64 v7, v15, v14, s[0:1]
	;; [unrolled: 1-line block ×3, first 2 shown]
	v_add_u32_e32 v10, 1, v6
	v_add_u32_e32 v6, -1, v7
	v_min_u32_e32 v6, v10, v6
	v_lshlrev_b32_e32 v6, 3, v6
	v_cndmask_b32_e64 v2, v9, v11, s[28:29]
	ds_read_b64 v[8:9], v6
	v_cndmask_b32_e64 v11, v10, v20, s[0:1]
	v_cndmask_b32_e64 v1, v5, v1, s[26:27]
	;; [unrolled: 1-line block ×5, first 2 shown]
	s_waitcnt lgkmcnt(0)
	v_cndmask_b32_e64 v7, v21, v9, s[0:1]
	v_cndmask_b32_e64 v6, v22, v8, s[0:1]
	v_cmp_lt_u32_e32 vcc, v11, v15
	s_and_saveexec_b64 s[26:27], vcc
	s_cbranch_execz .LBB1483_460
; %bb.451:
	v_cndmask_b32_e64 v10, v19, v10, s[0:1]
	v_cndmask_b32_e64 v9, v9, v17, s[0:1]
	;; [unrolled: 1-line block ×3, first 2 shown]
	v_cmp_lt_u32_e32 vcc, v10, v14
	s_and_saveexec_b64 s[28:29], vcc
	s_cbranch_execz .LBB1483_459
; %bb.452:
	s_andn2_b64 vcc, exec, s[24:25]
	s_cbranch_vccnz .LBB1483_458
; %bb.453:
	v_mul_lo_u32 v14, v9, s16
	v_mul_lo_u32 v15, v8, s17
	v_mad_u64_u32 v[10:11], s[0:1], v8, s16, 0
	v_add3_u32 v11, v11, v15, v14
	v_lshlrev_b64 v[10:11], 2, v[10:11]
	v_mov_b32_e32 v14, s19
	v_add_co_u32_e32 v10, vcc, s18, v10
	v_addc_co_u32_e32 v11, vcc, v14, v11, vcc
	v_mul_lo_u32 v17, v7, s16
	v_mul_lo_u32 v18, v6, s17
	v_mad_u64_u32 v[14:15], s[0:1], v6, s16, 0
	v_add3_u32 v15, v15, v18, v17
	v_lshlrev_b64 v[14:15], 2, v[14:15]
	v_mov_b32_e32 v17, s19
	v_add_co_u32_e32 v14, vcc, s18, v14
	v_addc_co_u32_e32 v15, vcc, v17, v15, vcc
	s_mov_b64 s[30:31], 0
	s_mov_b64 s[40:41], s[16:17]
                                        ; implicit-def: $sgpr34_sgpr35
                                        ; implicit-def: $sgpr36_sgpr37
                                        ; implicit-def: $sgpr0_sgpr1
                                        ; implicit-def: $sgpr38_sgpr39
                                        ; implicit-def: $sgpr42_sgpr43
	s_branch .LBB1483_455
.LBB1483_454:                           ;   in Loop: Header=BB1483_455 Depth=1
	s_or_b64 exec, exec, s[44:45]
	s_and_b64 s[2:3], exec, s[36:37]
	s_or_b64 s[30:31], s[2:3], s[30:31]
	s_andn2_b64 s[2:3], s[42:43], exec
	s_and_b64 s[42:43], s[38:39], exec
	s_or_b64 s[42:43], s[2:3], s[42:43]
	s_andn2_b64 s[2:3], s[34:35], exec
	s_and_b64 s[34:35], s[0:1], exec
	s_or_b64 s[34:35], s[2:3], s[34:35]
	s_andn2_b64 exec, exec, s[30:31]
	s_cbranch_execz .LBB1483_457
.LBB1483_455:                           ; =>This Inner Loop Header: Depth=1
	global_load_dword v17, v[10:11], off
	global_load_dword v18, v[14:15], off
	s_andn2_b64 s[44:45], s[0:1], exec
	s_andn2_b64 s[38:39], s[38:39], exec
	s_or_b64 s[36:37], s[36:37], exec
	s_waitcnt vmcnt(0)
	v_cmp_le_u32_e64 s[0:1], v17, v18
	v_cmp_lt_u32_e32 vcc, v17, v18
	s_and_b64 s[0:1], s[0:1], s[42:43]
	s_or_b64 s[46:47], vcc, s[0:1]
	s_and_b64 s[0:1], s[46:47], exec
	v_cmp_eq_u32_e64 s[2:3], v17, v18
	s_or_b64 s[0:1], s[44:45], s[0:1]
	s_and_saveexec_b64 s[44:45], s[2:3]
	s_cbranch_execz .LBB1483_454
; %bb.456:                              ;   in Loop: Header=BB1483_455 Depth=1
	s_add_u32 s40, s40, -1
	s_addc_u32 s41, s41, -1
	v_add_co_u32_e32 v10, vcc, 4, v10
	s_cmp_eq_u64 s[40:41], 0
	v_addc_co_u32_e32 v11, vcc, 0, v11, vcc
	s_cselect_b64 s[2:3], -1, 0
	v_add_co_u32_e32 v14, vcc, 4, v14
	s_andn2_b64 s[38:39], s[38:39], exec
	s_and_b64 s[42:43], s[46:47], exec
	s_andn2_b64 s[36:37], s[36:37], exec
	s_and_b64 s[2:3], s[2:3], exec
	v_addc_co_u32_e32 v15, vcc, 0, v15, vcc
	s_or_b64 s[38:39], s[38:39], s[42:43]
	s_andn2_b64 s[0:1], s[0:1], exec
	s_or_b64 s[36:37], s[36:37], s[2:3]
                                        ; implicit-def: $sgpr42_sgpr43
	s_branch .LBB1483_454
.LBB1483_457:
	s_or_b64 exec, exec, s[30:31]
	v_cndmask_b32_e64 v7, v7, v9, s[34:35]
	v_cndmask_b32_e64 v6, v6, v8, s[34:35]
.LBB1483_458:
	v_pk_mov_b32 v[8:9], v[6:7], v[6:7] op_sel:[0,1]
.LBB1483_459:
	s_or_b64 exec, exec, s[28:29]
	v_pk_mov_b32 v[6:7], v[8:9], v[8:9] op_sel:[0,1]
.LBB1483_460:
	s_or_b64 exec, exec, s[26:27]
.LBB1483_461:
	s_or_b64 exec, exec, s[4:5]
	s_barrier
	ds_write_b128 v16, v[0:3]
	ds_write_b128 v16, v[4:7] offset:16
	v_and_b32_e32 v16, 0xc00, v27
	v_or_b32_e32 v8, 0x200, v16
	v_min_u32_e32 v14, 0x400, v8
	v_and_b32_e32 v17, 0x3fc, v27
	v_sub_u32_e32 v8, v14, v16
	v_sub_u32_e32 v9, 0x400, v14
	v_sub_u32_e64 v18, v17, v9 clamp
	v_min_u32_e32 v19, v17, v8
	v_lshlrev_b32_e32 v15, 3, v16
	v_cmp_lt_u32_e32 vcc, v18, v19
	s_waitcnt lgkmcnt(0)
	s_barrier
	s_and_saveexec_b64 s[26:27], vcc
	s_cbranch_execz .LBB1483_471
; %bb.462:
	v_lshlrev_b32_e32 v8, 3, v17
	v_lshl_add_u32 v20, v14, 3, v8
	v_cndmask_b32_e64 v8, 0, 1, s[24:25]
	s_lshl_b64 s[30:31], s[16:17], 2
	s_mov_b64 s[28:29], 0
	v_cmp_ne_u32_e64 s[0:1], 1, v8
	s_branch .LBB1483_465
.LBB1483_463:                           ;   in Loop: Header=BB1483_465 Depth=1
	s_or_b64 exec, exec, s[36:37]
.LBB1483_464:                           ;   in Loop: Header=BB1483_465 Depth=1
	v_add_u32_e32 v8, 1, v21
	v_cndmask_b32_e64 v19, v19, v21, s[34:35]
	v_cndmask_b32_e64 v18, v8, v18, s[34:35]
	v_cmp_ge_u32_e32 vcc, v18, v19
	s_or_b64 s[28:29], vcc, s[28:29]
	s_andn2_b64 exec, exec, s[28:29]
	s_cbranch_execz .LBB1483_470
.LBB1483_465:                           ; =>This Loop Header: Depth=1
                                        ;     Child Loop BB1483_468 Depth 2
	v_add_u32_e32 v8, v19, v18
	v_lshrrev_b32_e32 v21, 1, v8
	s_and_b64 vcc, exec, s[0:1]
	s_mov_b64 s[34:35], 0
	s_cbranch_vccnz .LBB1483_464
; %bb.466:                              ;   in Loop: Header=BB1483_465 Depth=1
	v_not_b32_e32 v8, v21
	v_lshl_add_u32 v8, v8, 3, v20
	ds_read_b64 v[8:9], v8
	v_lshl_add_u32 v22, v21, 3, v15
	ds_read_b64 v[22:23], v22
	v_pk_mov_b32 v[10:11], s[18:19], s[18:19] op_sel:[0,1]
	s_mov_b64 s[36:37], 0
	s_waitcnt lgkmcnt(1)
	v_mul_lo_u32 v24, s30, v9
	v_mul_lo_u32 v25, s31, v8
	v_mad_u64_u32 v[8:9], s[2:3], s30, v8, v[10:11]
	v_add3_u32 v9, v25, v9, v24
	s_waitcnt lgkmcnt(0)
	v_mul_lo_u32 v23, s30, v23
	v_mul_lo_u32 v24, s31, v22
	v_mad_u64_u32 v[10:11], s[2:3], s30, v22, v[10:11]
	v_add3_u32 v11, v24, v11, v23
	s_mov_b64 s[42:43], s[16:17]
                                        ; implicit-def: $sgpr34_sgpr35
                                        ; implicit-def: $sgpr38_sgpr39
                                        ; implicit-def: $sgpr40_sgpr41
                                        ; implicit-def: $sgpr2_sgpr3
                                        ; implicit-def: $sgpr44_sgpr45
	s_branch .LBB1483_468
.LBB1483_467:                           ;   in Loop: Header=BB1483_468 Depth=2
	s_or_b64 exec, exec, s[46:47]
	s_and_b64 s[4:5], exec, s[38:39]
	s_or_b64 s[36:37], s[4:5], s[36:37]
	s_andn2_b64 s[4:5], s[44:45], exec
	s_and_b64 s[44:45], s[40:41], exec
	s_or_b64 s[44:45], s[4:5], s[44:45]
	s_andn2_b64 s[4:5], s[34:35], exec
	s_and_b64 s[34:35], s[2:3], exec
	s_or_b64 s[34:35], s[4:5], s[34:35]
	s_andn2_b64 exec, exec, s[36:37]
	s_cbranch_execz .LBB1483_463
.LBB1483_468:                           ;   Parent Loop BB1483_465 Depth=1
                                        ; =>  This Inner Loop Header: Depth=2
	global_load_dword v22, v[8:9], off
	global_load_dword v23, v[10:11], off
	s_andn2_b64 s[46:47], s[2:3], exec
	s_andn2_b64 s[40:41], s[40:41], exec
	s_or_b64 s[38:39], s[38:39], exec
	s_waitcnt vmcnt(0)
	v_cmp_le_u32_e64 s[2:3], v22, v23
	v_cmp_lt_u32_e32 vcc, v22, v23
	s_and_b64 s[2:3], s[2:3], s[44:45]
	s_or_b64 s[48:49], vcc, s[2:3]
	s_and_b64 s[2:3], s[48:49], exec
	v_cmp_eq_u32_e64 s[4:5], v22, v23
	s_or_b64 s[2:3], s[46:47], s[2:3]
	s_and_saveexec_b64 s[46:47], s[4:5]
	s_cbranch_execz .LBB1483_467
; %bb.469:                              ;   in Loop: Header=BB1483_468 Depth=2
	s_add_u32 s42, s42, -1
	s_addc_u32 s43, s43, -1
	v_add_co_u32_e32 v8, vcc, 4, v8
	s_cmp_eq_u64 s[42:43], 0
	v_addc_co_u32_e32 v9, vcc, 0, v9, vcc
	s_cselect_b64 s[4:5], -1, 0
	v_add_co_u32_e32 v10, vcc, 4, v10
	s_andn2_b64 s[40:41], s[40:41], exec
	s_and_b64 s[44:45], s[48:49], exec
	s_andn2_b64 s[38:39], s[38:39], exec
	s_and_b64 s[4:5], s[4:5], exec
	v_addc_co_u32_e32 v11, vcc, 0, v11, vcc
	s_andn2_b64 s[2:3], s[2:3], exec
	s_or_b64 s[40:41], s[40:41], s[44:45]
	s_or_b64 s[38:39], s[38:39], s[4:5]
                                        ; implicit-def: $sgpr44_sgpr45
	s_branch .LBB1483_467
.LBB1483_470:
	s_or_b64 exec, exec, s[28:29]
.LBB1483_471:
	s_or_b64 exec, exec, s[26:27]
	v_sub_u32_e32 v8, v17, v18
	v_add_u32_e32 v16, v18, v16
	v_add_u32_e32 v17, v8, v14
	s_movk_i32 s0, 0x401
	v_cmp_le_u32_e32 vcc, v16, v14
	v_cmp_gt_u32_e64 s[0:1], s0, v17
	s_or_b64 s[0:1], vcc, s[0:1]
	s_and_saveexec_b64 s[4:5], s[0:1]
	s_cbranch_execz .LBB1483_518
; %bb.472:
	v_cmp_ge_u32_e32 vcc, v16, v14
	v_cmp_lt_u32_e64 s[0:1], v16, v14
                                        ; implicit-def: $vgpr0_vgpr1
	s_and_saveexec_b64 s[2:3], s[0:1]
	s_cbranch_execz .LBB1483_474
; %bb.473:
	v_lshl_add_u32 v0, v18, 3, v15
	ds_read_b64 v[0:1], v0
.LBB1483_474:
	s_or_b64 exec, exec, s[2:3]
	s_movk_i32 s0, 0x3ff
	v_cmp_lt_u32_e64 s[26:27], s0, v17
	s_movk_i32 s0, 0x400
	v_cmp_gt_u32_e64 s[0:1], s0, v17
                                        ; implicit-def: $vgpr4_vgpr5
	s_and_saveexec_b64 s[2:3], s[0:1]
	s_cbranch_execz .LBB1483_476
; %bb.475:
	v_lshlrev_b32_e32 v2, 3, v17
	ds_read_b64 v[4:5], v2
.LBB1483_476:
	s_or_b64 exec, exec, s[2:3]
	s_or_b64 s[0:1], vcc, s[26:27]
	s_mov_b64 s[28:29], -1
	s_xor_b64 s[0:1], s[0:1], -1
	s_and_saveexec_b64 s[30:31], s[0:1]
	s_cbranch_execz .LBB1483_485
; %bb.477:
	s_andn2_b64 vcc, exec, s[24:25]
	s_cbranch_vccnz .LBB1483_483
; %bb.478:
	s_waitcnt lgkmcnt(0)
	v_mul_lo_u32 v6, v5, s16
	v_mul_lo_u32 v7, v4, s17
	v_mad_u64_u32 v[2:3], s[0:1], v4, s16, 0
	v_add3_u32 v3, v3, v7, v6
	v_lshlrev_b64 v[2:3], 2, v[2:3]
	v_mov_b32_e32 v6, s19
	v_add_co_u32_e32 v2, vcc, s18, v2
	v_addc_co_u32_e32 v3, vcc, v6, v3, vcc
	v_mul_lo_u32 v8, v1, s16
	v_mul_lo_u32 v9, v0, s17
	v_mad_u64_u32 v[6:7], s[0:1], v0, s16, 0
	v_add3_u32 v7, v7, v9, v8
	v_lshlrev_b64 v[6:7], 2, v[6:7]
	v_mov_b32_e32 v8, s19
	v_add_co_u32_e32 v6, vcc, s18, v6
	v_addc_co_u32_e32 v7, vcc, v8, v7, vcc
	s_mov_b64 s[34:35], 0
	s_mov_b64 s[42:43], s[16:17]
                                        ; implicit-def: $sgpr36_sgpr37
                                        ; implicit-def: $sgpr38_sgpr39
                                        ; implicit-def: $sgpr0_sgpr1
                                        ; implicit-def: $sgpr40_sgpr41
                                        ; implicit-def: $sgpr44_sgpr45
	s_branch .LBB1483_480
.LBB1483_479:                           ;   in Loop: Header=BB1483_480 Depth=1
	s_or_b64 exec, exec, s[46:47]
	s_and_b64 s[2:3], exec, s[38:39]
	s_or_b64 s[34:35], s[2:3], s[34:35]
	s_andn2_b64 s[2:3], s[44:45], exec
	s_and_b64 s[44:45], s[40:41], exec
	s_or_b64 s[44:45], s[2:3], s[44:45]
	s_andn2_b64 s[2:3], s[36:37], exec
	s_and_b64 s[36:37], s[0:1], exec
	s_or_b64 s[36:37], s[2:3], s[36:37]
	s_andn2_b64 exec, exec, s[34:35]
	s_cbranch_execz .LBB1483_482
.LBB1483_480:                           ; =>This Inner Loop Header: Depth=1
	global_load_dword v8, v[2:3], off
	global_load_dword v9, v[6:7], off
	s_andn2_b64 s[46:47], s[0:1], exec
	s_andn2_b64 s[40:41], s[40:41], exec
	s_or_b64 s[38:39], s[38:39], exec
	s_waitcnt vmcnt(0)
	v_cmp_le_u32_e64 s[0:1], v8, v9
	v_cmp_lt_u32_e32 vcc, v8, v9
	s_and_b64 s[0:1], s[0:1], s[44:45]
	s_or_b64 s[48:49], vcc, s[0:1]
	s_and_b64 s[0:1], s[48:49], exec
	v_cmp_eq_u32_e64 s[2:3], v8, v9
	s_or_b64 s[0:1], s[46:47], s[0:1]
	s_and_saveexec_b64 s[46:47], s[2:3]
	s_cbranch_execz .LBB1483_479
; %bb.481:                              ;   in Loop: Header=BB1483_480 Depth=1
	s_add_u32 s42, s42, -1
	s_addc_u32 s43, s43, -1
	v_add_co_u32_e32 v2, vcc, 4, v2
	s_cmp_eq_u64 s[42:43], 0
	v_addc_co_u32_e32 v3, vcc, 0, v3, vcc
	s_cselect_b64 s[2:3], -1, 0
	v_add_co_u32_e32 v6, vcc, 4, v6
	s_andn2_b64 s[40:41], s[40:41], exec
	s_and_b64 s[44:45], s[48:49], exec
	s_andn2_b64 s[38:39], s[38:39], exec
	s_and_b64 s[2:3], s[2:3], exec
	v_addc_co_u32_e32 v7, vcc, 0, v7, vcc
	s_or_b64 s[40:41], s[40:41], s[44:45]
	s_andn2_b64 s[0:1], s[0:1], exec
	s_or_b64 s[38:39], s[38:39], s[2:3]
                                        ; implicit-def: $sgpr44_sgpr45
	s_branch .LBB1483_479
.LBB1483_482:
	s_or_b64 exec, exec, s[34:35]
	s_xor_b64 s[0:1], s[36:37], -1
	s_branch .LBB1483_484
.LBB1483_483:
	s_mov_b64 s[0:1], -1
.LBB1483_484:
	s_andn2_b64 s[2:3], s[26:27], exec
	s_and_b64 s[0:1], s[0:1], exec
	s_or_b64 s[26:27], s[2:3], s[0:1]
.LBB1483_485:
	s_or_b64 exec, exec, s[30:31]
	v_cndmask_b32_e64 v2, v17, v16, s[26:27]
	v_add_u32_e32 v8, -1, v14
	v_mov_b32_e32 v18, 0x3ff
	v_add_u32_e32 v6, 1, v2
	v_cndmask_b32_e64 v2, v18, v8, s[26:27]
	v_min_u32_e32 v2, v6, v2
	v_lshlrev_b32_e32 v2, 3, v2
	ds_read_b64 v[2:3], v2
	v_cndmask_b32_e64 v19, v6, v17, s[26:27]
	s_movk_i32 s7, 0x400
	v_cndmask_b32_e64 v22, v16, v6, s[26:27]
	v_cmp_gt_u32_e32 vcc, s7, v19
	s_waitcnt lgkmcnt(0)
	v_cndmask_b32_e64 v9, v3, v5, s[26:27]
	v_cndmask_b32_e64 v10, v2, v4, s[26:27]
	;; [unrolled: 1-line block ×4, first 2 shown]
	s_and_saveexec_b64 s[30:31], vcc
	s_cbranch_execz .LBB1483_496
; %bb.486:
	v_cmp_lt_u32_e32 vcc, v22, v14
	s_mov_b64 s[0:1], 0
	s_and_saveexec_b64 s[28:29], vcc
	s_cbranch_execz .LBB1483_495
; %bb.487:
	s_andn2_b64 vcc, exec, s[24:25]
	s_cbranch_vccnz .LBB1483_493
; %bb.488:
	v_mul_lo_u32 v6, v9, s16
	v_mul_lo_u32 v7, v10, s17
	v_mad_u64_u32 v[2:3], s[0:1], v10, s16, 0
	v_add3_u32 v3, v3, v7, v6
	v_lshlrev_b64 v[2:3], 2, v[2:3]
	v_mov_b32_e32 v6, s19
	v_add_co_u32_e32 v2, vcc, s18, v2
	v_addc_co_u32_e32 v3, vcc, v6, v3, vcc
	v_mul_lo_u32 v16, v11, s16
	v_mul_lo_u32 v17, v15, s17
	v_mad_u64_u32 v[6:7], s[0:1], v15, s16, 0
	v_add3_u32 v7, v7, v17, v16
	v_lshlrev_b64 v[6:7], 2, v[6:7]
	v_mov_b32_e32 v16, s19
	v_add_co_u32_e32 v6, vcc, s18, v6
	v_addc_co_u32_e32 v7, vcc, v16, v7, vcc
	s_mov_b64 s[34:35], 0
	s_mov_b64 s[42:43], s[16:17]
                                        ; implicit-def: $sgpr36_sgpr37
                                        ; implicit-def: $sgpr38_sgpr39
                                        ; implicit-def: $sgpr0_sgpr1
                                        ; implicit-def: $sgpr40_sgpr41
                                        ; implicit-def: $sgpr44_sgpr45
	s_branch .LBB1483_490
.LBB1483_489:                           ;   in Loop: Header=BB1483_490 Depth=1
	s_or_b64 exec, exec, s[46:47]
	s_and_b64 s[2:3], exec, s[38:39]
	s_or_b64 s[34:35], s[2:3], s[34:35]
	s_andn2_b64 s[2:3], s[44:45], exec
	s_and_b64 s[44:45], s[40:41], exec
	s_or_b64 s[44:45], s[2:3], s[44:45]
	s_andn2_b64 s[2:3], s[36:37], exec
	s_and_b64 s[36:37], s[0:1], exec
	s_or_b64 s[36:37], s[2:3], s[36:37]
	s_andn2_b64 exec, exec, s[34:35]
	s_cbranch_execz .LBB1483_492
.LBB1483_490:                           ; =>This Inner Loop Header: Depth=1
	global_load_dword v16, v[2:3], off
	global_load_dword v17, v[6:7], off
	s_andn2_b64 s[46:47], s[0:1], exec
	s_andn2_b64 s[40:41], s[40:41], exec
	s_or_b64 s[38:39], s[38:39], exec
	s_waitcnt vmcnt(0)
	v_cmp_le_u32_e64 s[0:1], v16, v17
	v_cmp_lt_u32_e32 vcc, v16, v17
	s_and_b64 s[0:1], s[0:1], s[44:45]
	s_or_b64 s[48:49], vcc, s[0:1]
	s_and_b64 s[0:1], s[48:49], exec
	v_cmp_eq_u32_e64 s[2:3], v16, v17
	s_or_b64 s[0:1], s[46:47], s[0:1]
	s_and_saveexec_b64 s[46:47], s[2:3]
	s_cbranch_execz .LBB1483_489
; %bb.491:                              ;   in Loop: Header=BB1483_490 Depth=1
	s_add_u32 s42, s42, -1
	s_addc_u32 s43, s43, -1
	v_add_co_u32_e32 v2, vcc, 4, v2
	s_cmp_eq_u64 s[42:43], 0
	v_addc_co_u32_e32 v3, vcc, 0, v3, vcc
	s_cselect_b64 s[2:3], -1, 0
	v_add_co_u32_e32 v6, vcc, 4, v6
	s_andn2_b64 s[40:41], s[40:41], exec
	s_and_b64 s[44:45], s[48:49], exec
	s_andn2_b64 s[38:39], s[38:39], exec
	s_and_b64 s[2:3], s[2:3], exec
	v_addc_co_u32_e32 v7, vcc, 0, v7, vcc
	s_or_b64 s[40:41], s[40:41], s[44:45]
	s_andn2_b64 s[0:1], s[0:1], exec
	s_or_b64 s[38:39], s[38:39], s[2:3]
                                        ; implicit-def: $sgpr44_sgpr45
	s_branch .LBB1483_489
.LBB1483_492:
	s_or_b64 exec, exec, s[34:35]
	s_xor_b64 s[0:1], s[36:37], -1
	s_branch .LBB1483_494
.LBB1483_493:
	s_mov_b64 s[0:1], -1
.LBB1483_494:
	s_and_b64 s[0:1], s[0:1], exec
.LBB1483_495:
	s_or_b64 exec, exec, s[28:29]
	s_orn2_b64 s[28:29], s[0:1], exec
.LBB1483_496:
	s_or_b64 exec, exec, s[30:31]
	v_cndmask_b32_e64 v2, v19, v22, s[28:29]
	v_add_u32_e32 v6, 1, v2
	v_cndmask_b32_e64 v2, v18, v8, s[28:29]
	v_min_u32_e32 v2, v6, v2
	v_lshlrev_b32_e32 v2, 3, v2
	ds_read_b64 v[2:3], v2
	v_cndmask_b32_e64 v19, v6, v19, s[28:29]
	v_cndmask_b32_e64 v18, v22, v6, s[28:29]
	v_cmp_gt_u32_e32 vcc, s7, v19
	s_mov_b64 s[0:1], -1
	s_waitcnt lgkmcnt(0)
	v_cndmask_b32_e64 v16, v3, v9, s[28:29]
	v_cndmask_b32_e64 v17, v2, v10, s[28:29]
	;; [unrolled: 1-line block ×4, first 2 shown]
	s_and_saveexec_b64 s[30:31], vcc
	s_cbranch_execz .LBB1483_507
; %bb.497:
	v_cmp_lt_u32_e32 vcc, v18, v14
	s_mov_b64 s[0:1], 0
	s_and_saveexec_b64 s[34:35], vcc
	s_cbranch_execz .LBB1483_506
; %bb.498:
	s_andn2_b64 vcc, exec, s[24:25]
	s_cbranch_vccnz .LBB1483_504
; %bb.499:
	v_mul_lo_u32 v6, v16, s16
	v_mul_lo_u32 v7, v17, s17
	v_mad_u64_u32 v[2:3], s[0:1], v17, s16, 0
	v_add3_u32 v3, v3, v7, v6
	v_lshlrev_b64 v[2:3], 2, v[2:3]
	v_mov_b32_e32 v6, s19
	v_add_co_u32_e32 v2, vcc, s18, v2
	v_addc_co_u32_e32 v3, vcc, v6, v3, vcc
	v_mul_lo_u32 v22, v20, s16
	v_mul_lo_u32 v23, v21, s17
	v_mad_u64_u32 v[6:7], s[0:1], v21, s16, 0
	v_add3_u32 v7, v7, v23, v22
	v_lshlrev_b64 v[6:7], 2, v[6:7]
	v_mov_b32_e32 v22, s19
	v_add_co_u32_e32 v6, vcc, s18, v6
	v_addc_co_u32_e32 v7, vcc, v22, v7, vcc
	s_mov_b64 s[36:37], 0
	s_mov_b64 s[44:45], s[16:17]
                                        ; implicit-def: $sgpr38_sgpr39
                                        ; implicit-def: $sgpr40_sgpr41
                                        ; implicit-def: $sgpr0_sgpr1
                                        ; implicit-def: $sgpr42_sgpr43
                                        ; implicit-def: $sgpr46_sgpr47
	s_branch .LBB1483_501
.LBB1483_500:                           ;   in Loop: Header=BB1483_501 Depth=1
	s_or_b64 exec, exec, s[48:49]
	s_and_b64 s[2:3], exec, s[40:41]
	s_or_b64 s[36:37], s[2:3], s[36:37]
	s_andn2_b64 s[2:3], s[46:47], exec
	s_and_b64 s[46:47], s[42:43], exec
	s_or_b64 s[46:47], s[2:3], s[46:47]
	s_andn2_b64 s[2:3], s[38:39], exec
	s_and_b64 s[38:39], s[0:1], exec
	s_or_b64 s[38:39], s[2:3], s[38:39]
	s_andn2_b64 exec, exec, s[36:37]
	s_cbranch_execz .LBB1483_503
.LBB1483_501:                           ; =>This Inner Loop Header: Depth=1
	global_load_dword v22, v[2:3], off
	global_load_dword v23, v[6:7], off
	s_andn2_b64 s[48:49], s[0:1], exec
	s_andn2_b64 s[42:43], s[42:43], exec
	s_or_b64 s[40:41], s[40:41], exec
	s_waitcnt vmcnt(0)
	v_cmp_le_u32_e64 s[0:1], v22, v23
	v_cmp_lt_u32_e32 vcc, v22, v23
	s_and_b64 s[0:1], s[0:1], s[46:47]
	s_or_b64 s[50:51], vcc, s[0:1]
	s_and_b64 s[0:1], s[50:51], exec
	v_cmp_eq_u32_e64 s[2:3], v22, v23
	s_or_b64 s[0:1], s[48:49], s[0:1]
	s_and_saveexec_b64 s[48:49], s[2:3]
	s_cbranch_execz .LBB1483_500
; %bb.502:                              ;   in Loop: Header=BB1483_501 Depth=1
	s_add_u32 s44, s44, -1
	s_addc_u32 s45, s45, -1
	v_add_co_u32_e32 v2, vcc, 4, v2
	s_cmp_eq_u64 s[44:45], 0
	v_addc_co_u32_e32 v3, vcc, 0, v3, vcc
	s_cselect_b64 s[2:3], -1, 0
	v_add_co_u32_e32 v6, vcc, 4, v6
	s_andn2_b64 s[42:43], s[42:43], exec
	s_and_b64 s[46:47], s[50:51], exec
	s_andn2_b64 s[40:41], s[40:41], exec
	s_and_b64 s[2:3], s[2:3], exec
	v_addc_co_u32_e32 v7, vcc, 0, v7, vcc
	s_or_b64 s[42:43], s[42:43], s[46:47]
	s_andn2_b64 s[0:1], s[0:1], exec
	s_or_b64 s[40:41], s[40:41], s[2:3]
                                        ; implicit-def: $sgpr46_sgpr47
	s_branch .LBB1483_500
.LBB1483_503:
	s_or_b64 exec, exec, s[36:37]
	s_xor_b64 s[0:1], s[38:39], -1
	s_branch .LBB1483_505
.LBB1483_504:
	s_mov_b64 s[0:1], -1
.LBB1483_505:
	s_and_b64 s[0:1], s[0:1], exec
.LBB1483_506:
	s_or_b64 exec, exec, s[34:35]
	s_orn2_b64 s[0:1], s[0:1], exec
.LBB1483_507:
	s_or_b64 exec, exec, s[30:31]
	v_cndmask_b32_e64 v6, v19, v18, s[0:1]
	v_cndmask_b32_e64 v2, v10, v15, s[28:29]
	v_add_u32_e32 v10, 1, v6
	v_mov_b32_e32 v6, 0x3ff
	v_cndmask_b32_e64 v6, v6, v8, s[0:1]
	v_min_u32_e32 v6, v10, v6
	v_lshlrev_b32_e32 v6, 3, v6
	v_cndmask_b32_e64 v3, v9, v11, s[28:29]
	ds_read_b64 v[8:9], v6
	v_cndmask_b32_e64 v11, v10, v19, s[0:1]
	s_movk_i32 s2, 0x400
	v_cndmask_b32_e64 v1, v5, v1, s[26:27]
	v_cndmask_b32_e64 v0, v4, v0, s[26:27]
	;; [unrolled: 1-line block ×4, first 2 shown]
	s_waitcnt lgkmcnt(0)
	v_cndmask_b32_e64 v7, v20, v9, s[0:1]
	v_cndmask_b32_e64 v6, v21, v8, s[0:1]
	v_cmp_gt_u32_e32 vcc, s2, v11
	s_and_saveexec_b64 s[26:27], vcc
	s_cbranch_execz .LBB1483_517
; %bb.508:
	v_cndmask_b32_e64 v10, v18, v10, s[0:1]
	v_cndmask_b32_e64 v9, v9, v16, s[0:1]
	;; [unrolled: 1-line block ×3, first 2 shown]
	v_cmp_lt_u32_e32 vcc, v10, v14
	s_and_saveexec_b64 s[28:29], vcc
	s_cbranch_execz .LBB1483_516
; %bb.509:
	s_andn2_b64 vcc, exec, s[24:25]
	s_cbranch_vccnz .LBB1483_515
; %bb.510:
	v_mul_lo_u32 v14, v9, s16
	v_mul_lo_u32 v15, v8, s17
	v_mad_u64_u32 v[10:11], s[0:1], v8, s16, 0
	v_add3_u32 v11, v11, v15, v14
	v_lshlrev_b64 v[10:11], 2, v[10:11]
	v_mov_b32_e32 v14, s19
	v_add_co_u32_e32 v10, vcc, s18, v10
	v_addc_co_u32_e32 v11, vcc, v14, v11, vcc
	v_mul_lo_u32 v16, v7, s16
	v_mul_lo_u32 v17, v6, s17
	v_mad_u64_u32 v[14:15], s[0:1], v6, s16, 0
	v_add3_u32 v15, v15, v17, v16
	v_lshlrev_b64 v[14:15], 2, v[14:15]
	v_mov_b32_e32 v16, s19
	v_add_co_u32_e32 v14, vcc, s18, v14
	v_addc_co_u32_e32 v15, vcc, v16, v15, vcc
	s_mov_b64 s[24:25], 0
	s_mov_b64 s[38:39], s[16:17]
                                        ; implicit-def: $sgpr30_sgpr31
                                        ; implicit-def: $sgpr34_sgpr35
                                        ; implicit-def: $sgpr0_sgpr1
                                        ; implicit-def: $sgpr36_sgpr37
                                        ; implicit-def: $sgpr40_sgpr41
	s_branch .LBB1483_512
.LBB1483_511:                           ;   in Loop: Header=BB1483_512 Depth=1
	s_or_b64 exec, exec, s[42:43]
	s_and_b64 s[2:3], exec, s[34:35]
	s_or_b64 s[24:25], s[2:3], s[24:25]
	s_andn2_b64 s[2:3], s[40:41], exec
	s_and_b64 s[40:41], s[36:37], exec
	s_or_b64 s[40:41], s[2:3], s[40:41]
	s_andn2_b64 s[2:3], s[30:31], exec
	s_and_b64 s[30:31], s[0:1], exec
	s_or_b64 s[30:31], s[2:3], s[30:31]
	s_andn2_b64 exec, exec, s[24:25]
	s_cbranch_execz .LBB1483_514
.LBB1483_512:                           ; =>This Inner Loop Header: Depth=1
	global_load_dword v16, v[10:11], off
	global_load_dword v17, v[14:15], off
	s_andn2_b64 s[42:43], s[0:1], exec
	s_andn2_b64 s[36:37], s[36:37], exec
	s_or_b64 s[34:35], s[34:35], exec
	s_waitcnt vmcnt(0)
	v_cmp_le_u32_e64 s[0:1], v16, v17
	v_cmp_lt_u32_e32 vcc, v16, v17
	s_and_b64 s[0:1], s[0:1], s[40:41]
	s_or_b64 s[44:45], vcc, s[0:1]
	s_and_b64 s[0:1], s[44:45], exec
	v_cmp_eq_u32_e64 s[2:3], v16, v17
	s_or_b64 s[0:1], s[42:43], s[0:1]
	s_and_saveexec_b64 s[42:43], s[2:3]
	s_cbranch_execz .LBB1483_511
; %bb.513:                              ;   in Loop: Header=BB1483_512 Depth=1
	s_add_u32 s38, s38, -1
	s_addc_u32 s39, s39, -1
	v_add_co_u32_e32 v10, vcc, 4, v10
	s_cmp_eq_u64 s[38:39], 0
	v_addc_co_u32_e32 v11, vcc, 0, v11, vcc
	s_cselect_b64 s[2:3], -1, 0
	v_add_co_u32_e32 v14, vcc, 4, v14
	s_andn2_b64 s[36:37], s[36:37], exec
	s_and_b64 s[40:41], s[44:45], exec
	s_andn2_b64 s[34:35], s[34:35], exec
	s_and_b64 s[2:3], s[2:3], exec
	v_addc_co_u32_e32 v15, vcc, 0, v15, vcc
	s_or_b64 s[36:37], s[36:37], s[40:41]
	s_andn2_b64 s[0:1], s[0:1], exec
	s_or_b64 s[34:35], s[34:35], s[2:3]
                                        ; implicit-def: $sgpr40_sgpr41
	s_branch .LBB1483_511
.LBB1483_514:
	s_or_b64 exec, exec, s[24:25]
	v_cndmask_b32_e64 v7, v7, v9, s[30:31]
	v_cndmask_b32_e64 v6, v6, v8, s[30:31]
.LBB1483_515:
	v_pk_mov_b32 v[8:9], v[6:7], v[6:7] op_sel:[0,1]
.LBB1483_516:
	s_or_b64 exec, exec, s[28:29]
	v_pk_mov_b32 v[6:7], v[8:9], v[8:9] op_sel:[0,1]
.LBB1483_517:
	s_or_b64 exec, exec, s[26:27]
.LBB1483_518:
	s_or_b64 exec, exec, s[4:5]
	s_barrier
	s_barrier
	ds_write2_b64 v33, v[0:1], v[2:3] offset1:1
	ds_write2_b64 v33, v[4:5], v[6:7] offset0:2 offset1:3
	s_waitcnt lgkmcnt(0)
	s_barrier
	ds_read_b64 v[2:3], v32
	ds_read_b64 v[4:5], v34 offset:2048
	ds_read_b64 v[6:7], v35 offset:4096
	;; [unrolled: 1-line block ×3, first 2 shown]
	v_mov_b32_e32 v8, s21
	v_add_co_u32_e32 v9, vcc, s20, v26
	v_addc_co_u32_e32 v8, vcc, 0, v8, vcc
	s_waitcnt lgkmcnt(3)
	global_store_dwordx2 v26, v[2:3], s[20:21]
	s_waitcnt lgkmcnt(2)
	global_store_dwordx2 v26, v[4:5], s[20:21] offset:2048
	v_add_co_u32_e32 v2, vcc, 0x1000, v9
	v_addc_co_u32_e32 v3, vcc, 0, v8, vcc
	s_waitcnt lgkmcnt(1)
	global_store_dwordx2 v[2:3], v[6:7], off
	s_mov_b64 s[24:25], -1
	s_branch .LBB1483_874
.LBB1483_519:
	s_lshl_b64 s[0:1], s[14:15], 10
	s_sub_i32 s33, s22, s0
	v_cmp_gt_u32_e64 s[0:1], s33, v12
                                        ; implicit-def: $vgpr0_vgpr1_vgpr2_vgpr3_vgpr4_vgpr5_vgpr6_vgpr7
	s_and_saveexec_b64 s[2:3], s[0:1]
	s_cbranch_execz .LBB1483_521
; %bb.520:
	s_waitcnt lgkmcnt(0)
	global_load_dwordx2 v[0:1], v26, s[8:9]
.LBB1483_521:
	s_or_b64 exec, exec, s[2:3]
	v_add_u32_e32 v8, 0x100, v12
	v_cmp_gt_u32_e64 s[2:3], s33, v8
	s_and_saveexec_b64 s[4:5], s[2:3]
	s_cbranch_execz .LBB1483_523
; %bb.522:
	global_load_dwordx2 v[2:3], v26, s[8:9] offset:2048
.LBB1483_523:
	s_or_b64 exec, exec, s[4:5]
	v_add_u32_e32 v9, 0x200, v12
	v_cmp_gt_u32_e64 s[4:5], s33, v9
	s_and_saveexec_b64 s[14:15], s[4:5]
	s_cbranch_execz .LBB1483_525
; %bb.524:
	v_lshlrev_b32_e32 v4, 3, v9
	global_load_dwordx2 v[4:5], v4, s[8:9]
.LBB1483_525:
	s_or_b64 exec, exec, s[14:15]
	v_add_u32_e32 v10, 0x300, v12
	v_cmp_gt_u32_e64 s[24:25], s33, v10
	s_and_saveexec_b64 s[14:15], s[24:25]
	s_cbranch_execz .LBB1483_527
; %bb.526:
	v_lshlrev_b32_e32 v6, 3, v10
	global_load_dwordx2 v[6:7], v6, s[8:9]
.LBB1483_527:
	s_or_b64 exec, exec, s[14:15]
	v_and_b32_e32 v11, 0xf8, v31
	v_add_u32_e32 v14, v11, v26
	s_waitcnt vmcnt(0) lgkmcnt(0)
	ds_write_b64 v14, v[0:1]
	v_lshrrev_b32_e32 v0, 2, v8
	v_and_b32_e32 v0, 0x1f8, v0
	v_add_u32_e32 v13, v0, v26
	v_lshrrev_b32_e32 v0, 2, v9
	v_and_b32_e32 v0, 0x1f8, v0
	v_add_u32_e32 v15, v0, v26
	;; [unrolled: 3-line block ×3, first 2 shown]
	v_add_lshl_u32 v17, v30, v27, 3
	ds_write_b64 v13, v[2:3] offset:2048
	ds_write_b64 v15, v[4:5] offset:4096
	;; [unrolled: 1-line block ×3, first 2 shown]
	s_waitcnt lgkmcnt(0)
	s_barrier
	ds_read2_b64 v[0:3], v17 offset1:1
	ds_read2_b64 v[4:7], v17 offset0:2 offset1:3
	s_waitcnt lgkmcnt(0)
	s_barrier
	s_load_dword s7, s[10:11], 0xc
	v_mov_b32_e32 v8, 0
	v_cmp_gt_i64_e64 s[22:23], s[16:17], 0
	s_waitcnt lgkmcnt(0)
	s_lshr_b32 s8, s7, 16
	s_cmp_lt_u32 s6, s12
	s_cselect_b32 s6, 12, 18
	s_add_u32 s6, s10, s6
	s_addc_u32 s7, s11, 0
	global_load_ushort v8, v8, s[6:7]
	v_mad_u32_u24 v9, v29, s8, v28
	s_waitcnt vmcnt(0)
	v_mul_lo_u32 v8, v9, v8
	v_add_lshl_u32 v18, v8, v12, 2
	v_sub_u32_e64 v19, s33, v18 clamp
	v_cmp_lt_u32_e64 s[6:7], 1, v19
	s_and_saveexec_b64 s[12:13], s[6:7]
	s_cbranch_execz .LBB1483_536
; %bb.528:
	s_andn2_b64 vcc, exec, s[22:23]
	s_cbranch_vccnz .LBB1483_536
; %bb.529:
	v_mul_lo_u32 v10, v3, s16
	v_mul_lo_u32 v11, v2, s17
	v_mad_u64_u32 v[8:9], s[8:9], v2, s16, 0
	v_add3_u32 v9, v9, v11, v10
	v_lshlrev_b64 v[8:9], 2, v[8:9]
	v_mov_b32_e32 v10, s19
	v_add_co_u32_e32 v8, vcc, s18, v8
	v_addc_co_u32_e32 v9, vcc, v10, v9, vcc
	v_mul_lo_u32 v20, v1, s16
	v_mul_lo_u32 v21, v0, s17
	v_mad_u64_u32 v[10:11], s[8:9], v0, s16, 0
	v_add3_u32 v11, v11, v21, v20
	v_lshlrev_b64 v[10:11], 2, v[10:11]
	v_mov_b32_e32 v20, s19
	v_add_co_u32_e32 v10, vcc, s18, v10
	v_addc_co_u32_e32 v11, vcc, v20, v11, vcc
	s_mov_b64 s[26:27], 0
	s_mov_b64 s[38:39], s[16:17]
                                        ; implicit-def: $sgpr14_sgpr15
                                        ; implicit-def: $sgpr28_sgpr29
                                        ; implicit-def: $sgpr34_sgpr35
                                        ; implicit-def: $sgpr30_sgpr31
                                        ; implicit-def: $sgpr36_sgpr37
                                        ; implicit-def: $sgpr40_sgpr41
	s_branch .LBB1483_531
.LBB1483_530:                           ;   in Loop: Header=BB1483_531 Depth=1
	s_or_b64 exec, exec, s[42:43]
	s_and_b64 s[10:11], exec, s[34:35]
	s_or_b64 s[26:27], s[10:11], s[26:27]
	s_andn2_b64 s[10:11], s[40:41], exec
	s_and_b64 s[40:41], s[36:37], exec
	s_or_b64 s[40:41], s[10:11], s[40:41]
	s_andn2_b64 s[10:11], s[28:29], exec
	s_and_b64 s[28:29], s[30:31], exec
	;; [unrolled: 3-line block ×3, first 2 shown]
	s_or_b64 s[14:15], s[10:11], s[8:9]
	s_andn2_b64 exec, exec, s[26:27]
	s_cbranch_execz .LBB1483_533
.LBB1483_531:                           ; =>This Inner Loop Header: Depth=1
	global_load_dword v20, v[8:9], off
	global_load_dword v21, v[10:11], off
	s_andn2_b64 s[36:37], s[36:37], exec
	s_or_b64 s[30:31], s[30:31], exec
	s_or_b64 s[34:35], s[34:35], exec
	s_waitcnt vmcnt(0)
	v_cmp_le_u32_e64 s[8:9], v20, v21
	v_cmp_lt_u32_e32 vcc, v20, v21
	s_and_b64 s[8:9], s[8:9], s[40:41]
	v_cmp_eq_u32_e64 s[10:11], v20, v21
	s_or_b64 s[8:9], vcc, s[8:9]
	s_and_saveexec_b64 s[42:43], s[10:11]
	s_cbranch_execz .LBB1483_530
; %bb.532:                              ;   in Loop: Header=BB1483_531 Depth=1
	s_add_u32 s38, s38, -1
	s_addc_u32 s39, s39, -1
	v_add_co_u32_e32 v8, vcc, 4, v8
	s_cmp_eq_u64 s[38:39], 0
	v_addc_co_u32_e32 v9, vcc, 0, v9, vcc
	s_cselect_b64 s[10:11], -1, 0
	v_add_co_u32_e32 v10, vcc, 4, v10
	s_andn2_b64 s[36:37], s[36:37], exec
	s_and_b64 s[40:41], s[8:9], exec
	s_andn2_b64 s[34:35], s[34:35], exec
	s_and_b64 s[10:11], s[10:11], exec
	v_addc_co_u32_e32 v11, vcc, 0, v11, vcc
	s_or_b64 s[36:37], s[36:37], s[40:41]
	s_andn2_b64 s[30:31], s[30:31], exec
	s_or_b64 s[34:35], s[34:35], s[10:11]
                                        ; implicit-def: $sgpr40_sgpr41
	s_branch .LBB1483_530
.LBB1483_533:
	s_or_b64 exec, exec, s[26:27]
	s_and_saveexec_b64 s[8:9], s[28:29]
	s_xor_b64 s[8:9], exec, s[8:9]
	s_cbranch_execz .LBB1483_535
; %bb.534:
	v_cndmask_b32_e64 v29, v1, v3, s[14:15]
	v_cndmask_b32_e64 v28, v0, v2, s[14:15]
	;; [unrolled: 1-line block ×4, first 2 shown]
	v_mov_b32_e32 v32, v4
	v_mov_b32_e32 v33, v5
	;; [unrolled: 1-line block ×4, first 2 shown]
	v_pk_mov_b32 v[0:1], v[28:29], v[28:29] op_sel:[0,1]
	v_pk_mov_b32 v[2:3], v[30:31], v[30:31] op_sel:[0,1]
	;; [unrolled: 1-line block ×4, first 2 shown]
.LBB1483_535:
	s_or_b64 exec, exec, s[8:9]
.LBB1483_536:
	s_or_b64 exec, exec, s[12:13]
	v_cmp_lt_u32_e64 s[8:9], 3, v19
	s_and_saveexec_b64 s[14:15], s[8:9]
	s_cbranch_execz .LBB1483_545
; %bb.537:
	s_andn2_b64 vcc, exec, s[22:23]
	s_cbranch_vccnz .LBB1483_545
; %bb.538:
	v_mul_lo_u32 v10, v7, s16
	v_mul_lo_u32 v11, v6, s17
	v_mad_u64_u32 v[8:9], s[10:11], v6, s16, 0
	v_add3_u32 v9, v9, v11, v10
	v_lshlrev_b64 v[8:9], 2, v[8:9]
	v_mov_b32_e32 v10, s19
	v_add_co_u32_e32 v8, vcc, s18, v8
	v_addc_co_u32_e32 v9, vcc, v10, v9, vcc
	v_mul_lo_u32 v20, v5, s16
	v_mul_lo_u32 v21, v4, s17
	v_mad_u64_u32 v[10:11], s[10:11], v4, s16, 0
	v_add3_u32 v11, v11, v21, v20
	v_lshlrev_b64 v[10:11], 2, v[10:11]
	v_mov_b32_e32 v20, s19
	v_add_co_u32_e32 v10, vcc, s18, v10
	v_addc_co_u32_e32 v11, vcc, v20, v11, vcc
	s_mov_b64 s[28:29], 0
	s_mov_b64 s[40:41], s[16:17]
                                        ; implicit-def: $sgpr26_sgpr27
                                        ; implicit-def: $sgpr30_sgpr31
                                        ; implicit-def: $sgpr36_sgpr37
                                        ; implicit-def: $sgpr34_sgpr35
                                        ; implicit-def: $sgpr38_sgpr39
                                        ; implicit-def: $sgpr42_sgpr43
	s_branch .LBB1483_540
.LBB1483_539:                           ;   in Loop: Header=BB1483_540 Depth=1
	s_or_b64 exec, exec, s[44:45]
	s_and_b64 s[12:13], exec, s[36:37]
	s_or_b64 s[28:29], s[12:13], s[28:29]
	s_andn2_b64 s[12:13], s[42:43], exec
	s_and_b64 s[42:43], s[38:39], exec
	s_or_b64 s[42:43], s[12:13], s[42:43]
	s_andn2_b64 s[12:13], s[30:31], exec
	s_and_b64 s[30:31], s[34:35], exec
	;; [unrolled: 3-line block ×3, first 2 shown]
	s_or_b64 s[26:27], s[12:13], s[10:11]
	s_andn2_b64 exec, exec, s[28:29]
	s_cbranch_execz .LBB1483_542
.LBB1483_540:                           ; =>This Inner Loop Header: Depth=1
	global_load_dword v20, v[8:9], off
	global_load_dword v21, v[10:11], off
	s_andn2_b64 s[38:39], s[38:39], exec
	s_or_b64 s[34:35], s[34:35], exec
	s_or_b64 s[36:37], s[36:37], exec
	s_waitcnt vmcnt(0)
	v_cmp_le_u32_e64 s[10:11], v20, v21
	v_cmp_lt_u32_e32 vcc, v20, v21
	s_and_b64 s[10:11], s[10:11], s[42:43]
	v_cmp_eq_u32_e64 s[12:13], v20, v21
	s_or_b64 s[10:11], vcc, s[10:11]
	s_and_saveexec_b64 s[44:45], s[12:13]
	s_cbranch_execz .LBB1483_539
; %bb.541:                              ;   in Loop: Header=BB1483_540 Depth=1
	s_add_u32 s40, s40, -1
	s_addc_u32 s41, s41, -1
	v_add_co_u32_e32 v8, vcc, 4, v8
	s_cmp_eq_u64 s[40:41], 0
	v_addc_co_u32_e32 v9, vcc, 0, v9, vcc
	s_cselect_b64 s[12:13], -1, 0
	v_add_co_u32_e32 v10, vcc, 4, v10
	s_andn2_b64 s[38:39], s[38:39], exec
	s_and_b64 s[42:43], s[10:11], exec
	s_andn2_b64 s[36:37], s[36:37], exec
	s_and_b64 s[12:13], s[12:13], exec
	v_addc_co_u32_e32 v11, vcc, 0, v11, vcc
	s_or_b64 s[38:39], s[38:39], s[42:43]
	s_andn2_b64 s[34:35], s[34:35], exec
	s_or_b64 s[36:37], s[36:37], s[12:13]
                                        ; implicit-def: $sgpr42_sgpr43
	s_branch .LBB1483_539
.LBB1483_542:
	s_or_b64 exec, exec, s[28:29]
	s_and_saveexec_b64 s[10:11], s[30:31]
	s_xor_b64 s[10:11], exec, s[10:11]
; %bb.543:
	v_cndmask_b32_e64 v8, v7, v5, s[26:27]
	v_cndmask_b32_e64 v9, v6, v4, s[26:27]
	;; [unrolled: 1-line block ×4, first 2 shown]
	v_mov_b32_e32 v6, v9
	v_mov_b32_e32 v7, v8
; %bb.544:
	s_or_b64 exec, exec, s[10:11]
.LBB1483_545:
	s_or_b64 exec, exec, s[14:15]
	v_cmp_lt_u32_e64 s[10:11], 2, v19
	s_and_saveexec_b64 s[12:13], s[10:11]
	s_xor_b64 s[26:27], exec, s[12:13]
	s_cbranch_execz .LBB1483_554
; %bb.546:
	s_andn2_b64 vcc, exec, s[22:23]
	s_cbranch_vccnz .LBB1483_554
; %bb.547:
	v_mul_lo_u32 v10, v5, s16
	v_mul_lo_u32 v11, v4, s17
	v_mad_u64_u32 v[8:9], s[12:13], v4, s16, 0
	v_add3_u32 v9, v9, v11, v10
	v_lshlrev_b64 v[8:9], 2, v[8:9]
	v_mov_b32_e32 v10, s19
	v_add_co_u32_e32 v8, vcc, s18, v8
	v_addc_co_u32_e32 v9, vcc, v10, v9, vcc
	v_mul_lo_u32 v19, v3, s16
	v_mul_lo_u32 v20, v2, s17
	v_mad_u64_u32 v[10:11], s[12:13], v2, s16, 0
	v_add3_u32 v11, v11, v20, v19
	v_lshlrev_b64 v[10:11], 2, v[10:11]
	v_mov_b32_e32 v19, s19
	v_add_co_u32_e32 v10, vcc, s18, v10
	v_addc_co_u32_e32 v11, vcc, v19, v11, vcc
	s_mov_b64 s[30:31], 0
	s_mov_b64 s[42:43], s[16:17]
                                        ; implicit-def: $sgpr28_sgpr29
                                        ; implicit-def: $sgpr34_sgpr35
                                        ; implicit-def: $sgpr38_sgpr39
                                        ; implicit-def: $sgpr36_sgpr37
                                        ; implicit-def: $sgpr40_sgpr41
                                        ; implicit-def: $sgpr44_sgpr45
	s_branch .LBB1483_549
.LBB1483_548:                           ;   in Loop: Header=BB1483_549 Depth=1
	s_or_b64 exec, exec, s[46:47]
	s_and_b64 s[14:15], exec, s[38:39]
	s_or_b64 s[30:31], s[14:15], s[30:31]
	s_andn2_b64 s[14:15], s[44:45], exec
	s_and_b64 s[44:45], s[40:41], exec
	s_or_b64 s[44:45], s[14:15], s[44:45]
	s_andn2_b64 s[14:15], s[34:35], exec
	s_and_b64 s[34:35], s[36:37], exec
	;; [unrolled: 3-line block ×3, first 2 shown]
	s_or_b64 s[28:29], s[14:15], s[12:13]
	s_andn2_b64 exec, exec, s[30:31]
	s_cbranch_execz .LBB1483_551
.LBB1483_549:                           ; =>This Inner Loop Header: Depth=1
	global_load_dword v19, v[8:9], off
	global_load_dword v20, v[10:11], off
	s_andn2_b64 s[40:41], s[40:41], exec
	s_or_b64 s[36:37], s[36:37], exec
	s_or_b64 s[38:39], s[38:39], exec
	s_waitcnt vmcnt(0)
	v_cmp_le_u32_e64 s[12:13], v19, v20
	v_cmp_lt_u32_e32 vcc, v19, v20
	s_and_b64 s[12:13], s[12:13], s[44:45]
	v_cmp_eq_u32_e64 s[14:15], v19, v20
	s_or_b64 s[12:13], vcc, s[12:13]
	s_and_saveexec_b64 s[46:47], s[14:15]
	s_cbranch_execz .LBB1483_548
; %bb.550:                              ;   in Loop: Header=BB1483_549 Depth=1
	s_add_u32 s42, s42, -1
	s_addc_u32 s43, s43, -1
	v_add_co_u32_e32 v8, vcc, 4, v8
	s_cmp_eq_u64 s[42:43], 0
	v_addc_co_u32_e32 v9, vcc, 0, v9, vcc
	s_cselect_b64 s[14:15], -1, 0
	v_add_co_u32_e32 v10, vcc, 4, v10
	s_andn2_b64 s[40:41], s[40:41], exec
	s_and_b64 s[44:45], s[12:13], exec
	s_andn2_b64 s[38:39], s[38:39], exec
	s_and_b64 s[14:15], s[14:15], exec
	v_addc_co_u32_e32 v11, vcc, 0, v11, vcc
	s_or_b64 s[40:41], s[40:41], s[44:45]
	s_andn2_b64 s[36:37], s[36:37], exec
	s_or_b64 s[38:39], s[38:39], s[14:15]
                                        ; implicit-def: $sgpr44_sgpr45
	s_branch .LBB1483_548
.LBB1483_551:
	s_or_b64 exec, exec, s[30:31]
	s_and_saveexec_b64 s[12:13], s[34:35]
	s_xor_b64 s[12:13], exec, s[12:13]
; %bb.552:
	v_cndmask_b32_e64 v8, v5, v3, s[28:29]
	v_cndmask_b32_e64 v9, v4, v2, s[28:29]
	;; [unrolled: 1-line block ×4, first 2 shown]
	v_mov_b32_e32 v4, v9
	v_mov_b32_e32 v5, v8
; %bb.553:
	s_or_b64 exec, exec, s[12:13]
.LBB1483_554:
	s_or_b64 exec, exec, s[26:27]
	s_and_saveexec_b64 s[14:15], s[6:7]
	s_cbranch_execz .LBB1483_563
; %bb.555:
	s_andn2_b64 vcc, exec, s[22:23]
	s_cbranch_vccnz .LBB1483_563
; %bb.556:
	v_mul_lo_u32 v10, v3, s16
	v_mul_lo_u32 v11, v2, s17
	v_mad_u64_u32 v[8:9], s[6:7], v2, s16, 0
	v_add3_u32 v9, v9, v11, v10
	v_lshlrev_b64 v[8:9], 2, v[8:9]
	v_mov_b32_e32 v10, s19
	v_add_co_u32_e32 v8, vcc, s18, v8
	v_addc_co_u32_e32 v9, vcc, v10, v9, vcc
	v_mul_lo_u32 v19, v1, s16
	v_mul_lo_u32 v20, v0, s17
	v_mad_u64_u32 v[10:11], s[6:7], v0, s16, 0
	v_add3_u32 v11, v11, v20, v19
	v_lshlrev_b64 v[10:11], 2, v[10:11]
	v_mov_b32_e32 v19, s19
	v_add_co_u32_e32 v10, vcc, s18, v10
	v_addc_co_u32_e32 v11, vcc, v19, v11, vcc
	s_mov_b64 s[28:29], 0
	s_mov_b64 s[40:41], s[16:17]
                                        ; implicit-def: $sgpr26_sgpr27
                                        ; implicit-def: $sgpr30_sgpr31
                                        ; implicit-def: $sgpr36_sgpr37
                                        ; implicit-def: $sgpr34_sgpr35
                                        ; implicit-def: $sgpr38_sgpr39
                                        ; implicit-def: $sgpr42_sgpr43
	s_branch .LBB1483_558
.LBB1483_557:                           ;   in Loop: Header=BB1483_558 Depth=1
	s_or_b64 exec, exec, s[44:45]
	s_and_b64 s[12:13], exec, s[36:37]
	s_or_b64 s[28:29], s[12:13], s[28:29]
	s_andn2_b64 s[12:13], s[42:43], exec
	s_and_b64 s[42:43], s[38:39], exec
	s_or_b64 s[42:43], s[12:13], s[42:43]
	s_andn2_b64 s[12:13], s[30:31], exec
	s_and_b64 s[30:31], s[34:35], exec
	;; [unrolled: 3-line block ×3, first 2 shown]
	s_or_b64 s[26:27], s[12:13], s[6:7]
	s_andn2_b64 exec, exec, s[28:29]
	s_cbranch_execz .LBB1483_560
.LBB1483_558:                           ; =>This Inner Loop Header: Depth=1
	global_load_dword v19, v[8:9], off
	global_load_dword v20, v[10:11], off
	s_andn2_b64 s[38:39], s[38:39], exec
	s_or_b64 s[34:35], s[34:35], exec
	s_or_b64 s[36:37], s[36:37], exec
	s_waitcnt vmcnt(0)
	v_cmp_le_u32_e64 s[6:7], v19, v20
	v_cmp_lt_u32_e32 vcc, v19, v20
	s_and_b64 s[6:7], s[6:7], s[42:43]
	v_cmp_eq_u32_e64 s[12:13], v19, v20
	s_or_b64 s[6:7], vcc, s[6:7]
	s_and_saveexec_b64 s[44:45], s[12:13]
	s_cbranch_execz .LBB1483_557
; %bb.559:                              ;   in Loop: Header=BB1483_558 Depth=1
	s_add_u32 s40, s40, -1
	s_addc_u32 s41, s41, -1
	v_add_co_u32_e32 v8, vcc, 4, v8
	s_cmp_eq_u64 s[40:41], 0
	v_addc_co_u32_e32 v9, vcc, 0, v9, vcc
	s_cselect_b64 s[12:13], -1, 0
	v_add_co_u32_e32 v10, vcc, 4, v10
	s_andn2_b64 s[38:39], s[38:39], exec
	s_and_b64 s[42:43], s[6:7], exec
	s_andn2_b64 s[36:37], s[36:37], exec
	s_and_b64 s[12:13], s[12:13], exec
	v_addc_co_u32_e32 v11, vcc, 0, v11, vcc
	s_or_b64 s[38:39], s[38:39], s[42:43]
	s_andn2_b64 s[34:35], s[34:35], exec
	s_or_b64 s[36:37], s[36:37], s[12:13]
                                        ; implicit-def: $sgpr42_sgpr43
	s_branch .LBB1483_557
.LBB1483_560:
	s_or_b64 exec, exec, s[28:29]
	s_and_saveexec_b64 s[6:7], s[30:31]
	s_xor_b64 s[6:7], exec, s[6:7]
	s_cbranch_execz .LBB1483_562
; %bb.561:
	v_cndmask_b32_e64 v29, v1, v3, s[26:27]
	v_cndmask_b32_e64 v28, v0, v2, s[26:27]
	;; [unrolled: 1-line block ×4, first 2 shown]
	v_mov_b32_e32 v32, v4
	v_mov_b32_e32 v33, v5
	;; [unrolled: 1-line block ×4, first 2 shown]
	v_pk_mov_b32 v[0:1], v[28:29], v[28:29] op_sel:[0,1]
	v_pk_mov_b32 v[2:3], v[30:31], v[30:31] op_sel:[0,1]
	;; [unrolled: 1-line block ×4, first 2 shown]
.LBB1483_562:
	s_or_b64 exec, exec, s[6:7]
.LBB1483_563:
	s_or_b64 exec, exec, s[14:15]
	s_and_saveexec_b64 s[12:13], s[8:9]
	s_cbranch_execz .LBB1483_572
; %bb.564:
	s_andn2_b64 vcc, exec, s[22:23]
	s_cbranch_vccnz .LBB1483_572
; %bb.565:
	v_mul_lo_u32 v10, v7, s16
	v_mul_lo_u32 v11, v6, s17
	v_mad_u64_u32 v[8:9], s[6:7], v6, s16, 0
	v_add3_u32 v9, v9, v11, v10
	v_lshlrev_b64 v[8:9], 2, v[8:9]
	v_mov_b32_e32 v10, s19
	v_add_co_u32_e32 v8, vcc, s18, v8
	v_addc_co_u32_e32 v9, vcc, v10, v9, vcc
	v_mul_lo_u32 v19, v5, s16
	v_mul_lo_u32 v20, v4, s17
	v_mad_u64_u32 v[10:11], s[6:7], v4, s16, 0
	v_add3_u32 v11, v11, v20, v19
	v_lshlrev_b64 v[10:11], 2, v[10:11]
	v_mov_b32_e32 v19, s19
	v_add_co_u32_e32 v10, vcc, s18, v10
	v_addc_co_u32_e32 v11, vcc, v19, v11, vcc
	s_mov_b64 s[26:27], 0
	s_mov_b64 s[38:39], s[16:17]
                                        ; implicit-def: $sgpr14_sgpr15
                                        ; implicit-def: $sgpr28_sgpr29
                                        ; implicit-def: $sgpr34_sgpr35
                                        ; implicit-def: $sgpr30_sgpr31
                                        ; implicit-def: $sgpr36_sgpr37
                                        ; implicit-def: $sgpr40_sgpr41
	s_branch .LBB1483_567
.LBB1483_566:                           ;   in Loop: Header=BB1483_567 Depth=1
	s_or_b64 exec, exec, s[42:43]
	s_and_b64 s[8:9], exec, s[34:35]
	s_or_b64 s[26:27], s[8:9], s[26:27]
	s_andn2_b64 s[8:9], s[40:41], exec
	s_and_b64 s[40:41], s[36:37], exec
	s_or_b64 s[40:41], s[8:9], s[40:41]
	s_andn2_b64 s[8:9], s[28:29], exec
	s_and_b64 s[28:29], s[30:31], exec
	;; [unrolled: 3-line block ×3, first 2 shown]
	s_or_b64 s[14:15], s[8:9], s[6:7]
	s_andn2_b64 exec, exec, s[26:27]
	s_cbranch_execz .LBB1483_569
.LBB1483_567:                           ; =>This Inner Loop Header: Depth=1
	global_load_dword v19, v[8:9], off
	global_load_dword v20, v[10:11], off
	s_andn2_b64 s[36:37], s[36:37], exec
	s_or_b64 s[30:31], s[30:31], exec
	s_or_b64 s[34:35], s[34:35], exec
	s_waitcnt vmcnt(0)
	v_cmp_le_u32_e64 s[6:7], v19, v20
	v_cmp_lt_u32_e32 vcc, v19, v20
	s_and_b64 s[6:7], s[6:7], s[40:41]
	v_cmp_eq_u32_e64 s[8:9], v19, v20
	s_or_b64 s[6:7], vcc, s[6:7]
	s_and_saveexec_b64 s[42:43], s[8:9]
	s_cbranch_execz .LBB1483_566
; %bb.568:                              ;   in Loop: Header=BB1483_567 Depth=1
	s_add_u32 s38, s38, -1
	s_addc_u32 s39, s39, -1
	v_add_co_u32_e32 v8, vcc, 4, v8
	s_cmp_eq_u64 s[38:39], 0
	v_addc_co_u32_e32 v9, vcc, 0, v9, vcc
	s_cselect_b64 s[8:9], -1, 0
	v_add_co_u32_e32 v10, vcc, 4, v10
	s_andn2_b64 s[36:37], s[36:37], exec
	s_and_b64 s[40:41], s[6:7], exec
	s_andn2_b64 s[34:35], s[34:35], exec
	s_and_b64 s[8:9], s[8:9], exec
	v_addc_co_u32_e32 v11, vcc, 0, v11, vcc
	s_or_b64 s[36:37], s[36:37], s[40:41]
	s_andn2_b64 s[30:31], s[30:31], exec
	s_or_b64 s[34:35], s[34:35], s[8:9]
                                        ; implicit-def: $sgpr40_sgpr41
	s_branch .LBB1483_566
.LBB1483_569:
	s_or_b64 exec, exec, s[26:27]
	s_and_saveexec_b64 s[6:7], s[28:29]
	s_xor_b64 s[6:7], exec, s[6:7]
; %bb.570:
	v_cndmask_b32_e64 v8, v7, v5, s[14:15]
	v_cndmask_b32_e64 v9, v6, v4, s[14:15]
	;; [unrolled: 1-line block ×4, first 2 shown]
	v_mov_b32_e32 v6, v9
	v_mov_b32_e32 v7, v8
; %bb.571:
	s_or_b64 exec, exec, s[6:7]
.LBB1483_572:
	s_or_b64 exec, exec, s[12:13]
	s_and_saveexec_b64 s[12:13], s[10:11]
	s_cbranch_execz .LBB1483_581
; %bb.573:
	s_andn2_b64 vcc, exec, s[22:23]
	s_cbranch_vccnz .LBB1483_581
; %bb.574:
	v_mul_lo_u32 v10, v5, s16
	v_mul_lo_u32 v11, v4, s17
	v_mad_u64_u32 v[8:9], s[6:7], v4, s16, 0
	v_add3_u32 v9, v9, v11, v10
	v_lshlrev_b64 v[8:9], 2, v[8:9]
	v_mov_b32_e32 v10, s19
	v_add_co_u32_e32 v8, vcc, s18, v8
	v_addc_co_u32_e32 v9, vcc, v10, v9, vcc
	v_mul_lo_u32 v19, v3, s16
	v_mul_lo_u32 v20, v2, s17
	v_mad_u64_u32 v[10:11], s[6:7], v2, s16, 0
	v_add3_u32 v11, v11, v20, v19
	v_lshlrev_b64 v[10:11], 2, v[10:11]
	v_mov_b32_e32 v19, s19
	v_add_co_u32_e32 v10, vcc, s18, v10
	v_addc_co_u32_e32 v11, vcc, v19, v11, vcc
	s_mov_b64 s[14:15], 0
	s_mov_b64 s[36:37], s[16:17]
                                        ; implicit-def: $sgpr10_sgpr11
                                        ; implicit-def: $sgpr26_sgpr27
                                        ; implicit-def: $sgpr30_sgpr31
                                        ; implicit-def: $sgpr28_sgpr29
                                        ; implicit-def: $sgpr34_sgpr35
                                        ; implicit-def: $sgpr38_sgpr39
	s_branch .LBB1483_576
.LBB1483_575:                           ;   in Loop: Header=BB1483_576 Depth=1
	s_or_b64 exec, exec, s[40:41]
	s_and_b64 s[8:9], exec, s[30:31]
	s_or_b64 s[14:15], s[8:9], s[14:15]
	s_andn2_b64 s[8:9], s[38:39], exec
	s_and_b64 s[38:39], s[34:35], exec
	s_or_b64 s[38:39], s[8:9], s[38:39]
	s_andn2_b64 s[8:9], s[26:27], exec
	s_and_b64 s[26:27], s[28:29], exec
	;; [unrolled: 3-line block ×3, first 2 shown]
	s_or_b64 s[10:11], s[8:9], s[6:7]
	s_andn2_b64 exec, exec, s[14:15]
	s_cbranch_execz .LBB1483_578
.LBB1483_576:                           ; =>This Inner Loop Header: Depth=1
	global_load_dword v19, v[8:9], off
	global_load_dword v20, v[10:11], off
	s_andn2_b64 s[34:35], s[34:35], exec
	s_or_b64 s[28:29], s[28:29], exec
	s_or_b64 s[30:31], s[30:31], exec
	s_waitcnt vmcnt(0)
	v_cmp_le_u32_e64 s[6:7], v19, v20
	v_cmp_lt_u32_e32 vcc, v19, v20
	s_and_b64 s[6:7], s[6:7], s[38:39]
	v_cmp_eq_u32_e64 s[8:9], v19, v20
	s_or_b64 s[6:7], vcc, s[6:7]
	s_and_saveexec_b64 s[40:41], s[8:9]
	s_cbranch_execz .LBB1483_575
; %bb.577:                              ;   in Loop: Header=BB1483_576 Depth=1
	s_add_u32 s36, s36, -1
	s_addc_u32 s37, s37, -1
	v_add_co_u32_e32 v8, vcc, 4, v8
	s_cmp_eq_u64 s[36:37], 0
	v_addc_co_u32_e32 v9, vcc, 0, v9, vcc
	s_cselect_b64 s[8:9], -1, 0
	v_add_co_u32_e32 v10, vcc, 4, v10
	s_andn2_b64 s[34:35], s[34:35], exec
	s_and_b64 s[38:39], s[6:7], exec
	s_andn2_b64 s[30:31], s[30:31], exec
	s_and_b64 s[8:9], s[8:9], exec
	v_addc_co_u32_e32 v11, vcc, 0, v11, vcc
	s_or_b64 s[34:35], s[34:35], s[38:39]
	s_andn2_b64 s[28:29], s[28:29], exec
	s_or_b64 s[30:31], s[30:31], s[8:9]
                                        ; implicit-def: $sgpr38_sgpr39
	s_branch .LBB1483_575
.LBB1483_578:
	s_or_b64 exec, exec, s[14:15]
	s_and_saveexec_b64 s[6:7], s[26:27]
	s_xor_b64 s[6:7], exec, s[6:7]
; %bb.579:
	v_cndmask_b32_e64 v8, v5, v3, s[10:11]
	v_cndmask_b32_e64 v9, v4, v2, s[10:11]
	;; [unrolled: 1-line block ×4, first 2 shown]
	v_mov_b32_e32 v4, v9
	v_mov_b32_e32 v5, v8
; %bb.580:
	s_or_b64 exec, exec, s[6:7]
.LBB1483_581:
	s_or_b64 exec, exec, s[12:13]
	v_mbcnt_lo_u32_b32 v8, -1, 0
	v_mbcnt_hi_u32_b32 v8, -1, v8
	v_and_b32_e32 v9, 0xffffff00, v18
	v_lshlrev_b32_e32 v18, 3, v9
	v_lshlrev_b32_e32 v20, 2, v8
	v_sub_u32_e64 v19, s33, v9 clamp
	v_lshl_add_u32 v21, v8, 5, v18
	v_or_b32_e32 v8, 4, v20
	v_min_u32_e32 v22, v19, v8
	v_add_u32_e32 v8, 4, v22
	v_and_b32_e32 v28, 0x1f8, v20
	v_min_u32_e32 v23, v19, v8
	v_and_b32_e32 v8, 4, v20
	v_min_u32_e32 v29, v19, v8
	v_sub_u32_e32 v8, v22, v28
	v_sub_u32_e32 v9, v23, v22
	v_sub_u32_e64 v25, v29, v9 clamp
	v_min_u32_e32 v30, v29, v8
	v_lshl_add_u32 v24, v28, 3, v18
	v_cmp_lt_u32_e32 vcc, v25, v30
	ds_write_b128 v21, v[0:3]
	ds_write_b128 v21, v[4:7] offset:16
	; wave barrier
	s_and_saveexec_b64 s[12:13], vcc
	s_cbranch_execz .LBB1483_591
; %bb.582:
	v_lshlrev_b32_e32 v8, 3, v22
	v_lshlrev_b32_e32 v9, 3, v29
	v_add3_u32 v31, v18, v8, v9
	v_cndmask_b32_e64 v8, 0, 1, s[22:23]
	s_lshl_b64 s[26:27], s[16:17], 2
	s_mov_b64 s[14:15], 0
	v_cmp_ne_u32_e64 s[6:7], 1, v8
	s_branch .LBB1483_585
.LBB1483_583:                           ;   in Loop: Header=BB1483_585 Depth=1
	s_or_b64 exec, exec, s[30:31]
.LBB1483_584:                           ;   in Loop: Header=BB1483_585 Depth=1
	v_add_u32_e32 v8, 1, v32
	v_cndmask_b32_e64 v30, v30, v32, s[28:29]
	v_cndmask_b32_e64 v25, v8, v25, s[28:29]
	v_cmp_ge_u32_e32 vcc, v25, v30
	s_or_b64 s[14:15], vcc, s[14:15]
	s_andn2_b64 exec, exec, s[14:15]
	s_cbranch_execz .LBB1483_590
.LBB1483_585:                           ; =>This Loop Header: Depth=1
                                        ;     Child Loop BB1483_588 Depth 2
	v_add_u32_e32 v8, v30, v25
	v_lshrrev_b32_e32 v32, 1, v8
	s_and_b64 vcc, exec, s[6:7]
	s_mov_b64 s[28:29], 0
	s_cbranch_vccnz .LBB1483_584
; %bb.586:                              ;   in Loop: Header=BB1483_585 Depth=1
	v_not_b32_e32 v8, v32
	v_lshl_add_u32 v8, v8, 3, v31
	ds_read_b64 v[8:9], v8
	v_lshl_add_u32 v33, v32, 3, v24
	ds_read_b64 v[34:35], v33
	v_pk_mov_b32 v[10:11], s[18:19], s[18:19] op_sel:[0,1]
	s_mov_b64 s[30:31], 0
	s_waitcnt lgkmcnt(1)
	v_mul_lo_u32 v33, s26, v9
	v_mul_lo_u32 v36, s27, v8
	v_mad_u64_u32 v[8:9], s[8:9], s26, v8, v[10:11]
	v_add3_u32 v9, v36, v9, v33
	s_waitcnt lgkmcnt(0)
	v_mul_lo_u32 v33, s26, v35
	v_mul_lo_u32 v35, s27, v34
	v_mad_u64_u32 v[10:11], s[8:9], s26, v34, v[10:11]
	v_add3_u32 v11, v35, v11, v33
	s_mov_b64 s[38:39], s[16:17]
                                        ; implicit-def: $sgpr28_sgpr29
                                        ; implicit-def: $sgpr34_sgpr35
                                        ; implicit-def: $sgpr36_sgpr37
                                        ; implicit-def: $sgpr8_sgpr9
                                        ; implicit-def: $sgpr40_sgpr41
	s_branch .LBB1483_588
.LBB1483_587:                           ;   in Loop: Header=BB1483_588 Depth=2
	s_or_b64 exec, exec, s[42:43]
	s_and_b64 s[10:11], exec, s[34:35]
	s_or_b64 s[30:31], s[10:11], s[30:31]
	s_andn2_b64 s[10:11], s[40:41], exec
	s_and_b64 s[40:41], s[36:37], exec
	s_or_b64 s[40:41], s[10:11], s[40:41]
	s_andn2_b64 s[10:11], s[28:29], exec
	s_and_b64 s[28:29], s[8:9], exec
	s_or_b64 s[28:29], s[10:11], s[28:29]
	s_andn2_b64 exec, exec, s[30:31]
	s_cbranch_execz .LBB1483_583
.LBB1483_588:                           ;   Parent Loop BB1483_585 Depth=1
                                        ; =>  This Inner Loop Header: Depth=2
	global_load_dword v33, v[8:9], off
	global_load_dword v34, v[10:11], off
	s_andn2_b64 s[42:43], s[8:9], exec
	s_andn2_b64 s[36:37], s[36:37], exec
	s_or_b64 s[34:35], s[34:35], exec
	s_waitcnt vmcnt(0)
	v_cmp_le_u32_e64 s[8:9], v33, v34
	v_cmp_lt_u32_e32 vcc, v33, v34
	s_and_b64 s[8:9], s[8:9], s[40:41]
	s_or_b64 s[44:45], vcc, s[8:9]
	s_and_b64 s[8:9], s[44:45], exec
	v_cmp_eq_u32_e64 s[10:11], v33, v34
	s_or_b64 s[8:9], s[42:43], s[8:9]
	s_and_saveexec_b64 s[42:43], s[10:11]
	s_cbranch_execz .LBB1483_587
; %bb.589:                              ;   in Loop: Header=BB1483_588 Depth=2
	s_add_u32 s38, s38, -1
	s_addc_u32 s39, s39, -1
	v_add_co_u32_e32 v8, vcc, 4, v8
	s_cmp_eq_u64 s[38:39], 0
	v_addc_co_u32_e32 v9, vcc, 0, v9, vcc
	s_cselect_b64 s[10:11], -1, 0
	v_add_co_u32_e32 v10, vcc, 4, v10
	s_andn2_b64 s[36:37], s[36:37], exec
	s_and_b64 s[40:41], s[44:45], exec
	s_andn2_b64 s[34:35], s[34:35], exec
	s_and_b64 s[10:11], s[10:11], exec
	v_addc_co_u32_e32 v11, vcc, 0, v11, vcc
	s_andn2_b64 s[8:9], s[8:9], exec
	s_or_b64 s[36:37], s[36:37], s[40:41]
	s_or_b64 s[34:35], s[34:35], s[10:11]
                                        ; implicit-def: $sgpr40_sgpr41
	s_branch .LBB1483_587
.LBB1483_590:
	s_or_b64 exec, exec, s[14:15]
.LBB1483_591:
	s_or_b64 exec, exec, s[12:13]
	v_add_u32_e32 v9, v22, v29
	v_add_u32_e32 v8, v25, v28
	v_sub_u32_e32 v9, v9, v25
	v_cmp_le_u32_e32 vcc, v8, v22
	v_cmp_le_u32_e64 s[6:7], v9, v23
	s_or_b64 s[6:7], vcc, s[6:7]
	s_and_saveexec_b64 s[10:11], s[6:7]
	s_cbranch_execz .LBB1483_638
; %bb.592:
	v_cmp_ge_u32_e32 vcc, v8, v22
	v_cmp_lt_u32_e64 s[6:7], v8, v22
                                        ; implicit-def: $vgpr0_vgpr1
	s_and_saveexec_b64 s[8:9], s[6:7]
	s_cbranch_execz .LBB1483_594
; %bb.593:
	v_lshl_add_u32 v0, v25, 3, v24
	ds_read_b64 v[0:1], v0
.LBB1483_594:
	s_or_b64 exec, exec, s[8:9]
	v_cmp_ge_u32_e64 s[12:13], v9, v23
	v_cmp_lt_u32_e64 s[6:7], v9, v23
                                        ; implicit-def: $vgpr2_vgpr3
	s_and_saveexec_b64 s[8:9], s[6:7]
	s_cbranch_execz .LBB1483_596
; %bb.595:
	v_lshl_add_u32 v2, v9, 3, v18
	ds_read_b64 v[2:3], v2
.LBB1483_596:
	s_or_b64 exec, exec, s[8:9]
	s_or_b64 s[6:7], vcc, s[12:13]
	s_mov_b64 s[14:15], -1
	s_xor_b64 s[6:7], s[6:7], -1
	s_and_saveexec_b64 s[26:27], s[6:7]
	s_cbranch_execz .LBB1483_605
; %bb.597:
	s_andn2_b64 vcc, exec, s[22:23]
	s_cbranch_vccnz .LBB1483_603
; %bb.598:
	s_waitcnt lgkmcnt(0)
	v_mul_lo_u32 v6, v3, s16
	v_mul_lo_u32 v7, v2, s17
	v_mad_u64_u32 v[4:5], s[6:7], v2, s16, 0
	v_add3_u32 v5, v5, v7, v6
	v_lshlrev_b64 v[4:5], 2, v[4:5]
	v_mov_b32_e32 v6, s19
	v_add_co_u32_e32 v4, vcc, s18, v4
	v_addc_co_u32_e32 v5, vcc, v6, v5, vcc
	v_mul_lo_u32 v10, v1, s16
	v_mul_lo_u32 v11, v0, s17
	v_mad_u64_u32 v[6:7], s[6:7], v0, s16, 0
	v_add3_u32 v7, v7, v11, v10
	v_lshlrev_b64 v[6:7], 2, v[6:7]
	v_mov_b32_e32 v10, s19
	v_add_co_u32_e32 v6, vcc, s18, v6
	v_addc_co_u32_e32 v7, vcc, v10, v7, vcc
	s_mov_b64 s[28:29], 0
	s_mov_b64 s[38:39], s[16:17]
                                        ; implicit-def: $sgpr30_sgpr31
                                        ; implicit-def: $sgpr34_sgpr35
                                        ; implicit-def: $sgpr6_sgpr7
                                        ; implicit-def: $sgpr36_sgpr37
                                        ; implicit-def: $sgpr40_sgpr41
	s_branch .LBB1483_600
.LBB1483_599:                           ;   in Loop: Header=BB1483_600 Depth=1
	s_or_b64 exec, exec, s[42:43]
	s_and_b64 s[8:9], exec, s[34:35]
	s_or_b64 s[28:29], s[8:9], s[28:29]
	s_andn2_b64 s[8:9], s[40:41], exec
	s_and_b64 s[40:41], s[36:37], exec
	s_or_b64 s[40:41], s[8:9], s[40:41]
	s_andn2_b64 s[8:9], s[30:31], exec
	s_and_b64 s[30:31], s[6:7], exec
	s_or_b64 s[30:31], s[8:9], s[30:31]
	s_andn2_b64 exec, exec, s[28:29]
	s_cbranch_execz .LBB1483_602
.LBB1483_600:                           ; =>This Inner Loop Header: Depth=1
	global_load_dword v10, v[4:5], off
	global_load_dword v11, v[6:7], off
	s_andn2_b64 s[42:43], s[6:7], exec
	s_andn2_b64 s[36:37], s[36:37], exec
	s_or_b64 s[34:35], s[34:35], exec
	s_waitcnt vmcnt(0)
	v_cmp_le_u32_e64 s[6:7], v10, v11
	v_cmp_lt_u32_e32 vcc, v10, v11
	s_and_b64 s[6:7], s[6:7], s[40:41]
	s_or_b64 s[44:45], vcc, s[6:7]
	s_and_b64 s[6:7], s[44:45], exec
	v_cmp_eq_u32_e64 s[8:9], v10, v11
	s_or_b64 s[6:7], s[42:43], s[6:7]
	s_and_saveexec_b64 s[42:43], s[8:9]
	s_cbranch_execz .LBB1483_599
; %bb.601:                              ;   in Loop: Header=BB1483_600 Depth=1
	s_add_u32 s38, s38, -1
	s_addc_u32 s39, s39, -1
	v_add_co_u32_e32 v4, vcc, 4, v4
	s_cmp_eq_u64 s[38:39], 0
	v_addc_co_u32_e32 v5, vcc, 0, v5, vcc
	s_cselect_b64 s[8:9], -1, 0
	v_add_co_u32_e32 v6, vcc, 4, v6
	s_andn2_b64 s[36:37], s[36:37], exec
	s_and_b64 s[40:41], s[44:45], exec
	s_andn2_b64 s[34:35], s[34:35], exec
	s_and_b64 s[8:9], s[8:9], exec
	v_addc_co_u32_e32 v7, vcc, 0, v7, vcc
	s_or_b64 s[36:37], s[36:37], s[40:41]
	s_andn2_b64 s[6:7], s[6:7], exec
	s_or_b64 s[34:35], s[34:35], s[8:9]
                                        ; implicit-def: $sgpr40_sgpr41
	s_branch .LBB1483_599
.LBB1483_602:
	s_or_b64 exec, exec, s[28:29]
	s_xor_b64 s[6:7], s[30:31], -1
	s_branch .LBB1483_604
.LBB1483_603:
	s_mov_b64 s[6:7], -1
.LBB1483_604:
	s_andn2_b64 s[8:9], s[12:13], exec
	s_and_b64 s[6:7], s[6:7], exec
	s_or_b64 s[12:13], s[8:9], s[6:7]
.LBB1483_605:
	s_or_b64 exec, exec, s[26:27]
	v_cndmask_b32_e64 v4, v9, v8, s[12:13]
	v_cndmask_b32_e64 v5, v23, v22, s[12:13]
	v_add_u32_e32 v6, 1, v4
	v_add_u32_e32 v4, -1, v5
	v_min_u32_e32 v4, v6, v4
	v_lshl_add_u32 v4, v4, 3, v18
	ds_read_b64 v[4:5], v4
	v_cndmask_b32_e64 v9, v6, v9, s[12:13]
	v_cndmask_b32_e64 v8, v8, v6, s[12:13]
	v_cmp_lt_u32_e32 vcc, v9, v23
	s_waitcnt lgkmcnt(0)
	v_cndmask_b32_e64 v24, v5, v3, s[12:13]
	v_cndmask_b32_e64 v25, v4, v2, s[12:13]
	v_cndmask_b32_e64 v28, v1, v5, s[12:13]
	v_cndmask_b32_e64 v29, v0, v4, s[12:13]
	s_and_saveexec_b64 s[26:27], vcc
	s_cbranch_execz .LBB1483_616
; %bb.606:
	v_cmp_lt_u32_e32 vcc, v8, v22
	s_mov_b64 s[6:7], 0
	s_and_saveexec_b64 s[14:15], vcc
	s_cbranch_execz .LBB1483_615
; %bb.607:
	s_andn2_b64 vcc, exec, s[22:23]
	s_cbranch_vccnz .LBB1483_613
; %bb.608:
	v_mul_lo_u32 v6, v24, s16
	v_mul_lo_u32 v7, v25, s17
	v_mad_u64_u32 v[4:5], s[6:7], v25, s16, 0
	v_add3_u32 v5, v5, v7, v6
	v_lshlrev_b64 v[4:5], 2, v[4:5]
	v_mov_b32_e32 v6, s19
	v_add_co_u32_e32 v4, vcc, s18, v4
	v_addc_co_u32_e32 v5, vcc, v6, v5, vcc
	v_mul_lo_u32 v10, v28, s16
	v_mul_lo_u32 v11, v29, s17
	v_mad_u64_u32 v[6:7], s[6:7], v29, s16, 0
	v_add3_u32 v7, v7, v11, v10
	v_lshlrev_b64 v[6:7], 2, v[6:7]
	v_mov_b32_e32 v10, s19
	v_add_co_u32_e32 v6, vcc, s18, v6
	v_addc_co_u32_e32 v7, vcc, v10, v7, vcc
	s_mov_b64 s[28:29], 0
	s_mov_b64 s[38:39], s[16:17]
                                        ; implicit-def: $sgpr30_sgpr31
                                        ; implicit-def: $sgpr34_sgpr35
                                        ; implicit-def: $sgpr6_sgpr7
                                        ; implicit-def: $sgpr36_sgpr37
                                        ; implicit-def: $sgpr40_sgpr41
	s_branch .LBB1483_610
.LBB1483_609:                           ;   in Loop: Header=BB1483_610 Depth=1
	s_or_b64 exec, exec, s[42:43]
	s_and_b64 s[8:9], exec, s[34:35]
	s_or_b64 s[28:29], s[8:9], s[28:29]
	s_andn2_b64 s[8:9], s[40:41], exec
	s_and_b64 s[40:41], s[36:37], exec
	s_or_b64 s[40:41], s[8:9], s[40:41]
	s_andn2_b64 s[8:9], s[30:31], exec
	s_and_b64 s[30:31], s[6:7], exec
	s_or_b64 s[30:31], s[8:9], s[30:31]
	s_andn2_b64 exec, exec, s[28:29]
	s_cbranch_execz .LBB1483_612
.LBB1483_610:                           ; =>This Inner Loop Header: Depth=1
	global_load_dword v10, v[4:5], off
	global_load_dword v11, v[6:7], off
	s_andn2_b64 s[42:43], s[6:7], exec
	s_andn2_b64 s[36:37], s[36:37], exec
	s_or_b64 s[34:35], s[34:35], exec
	s_waitcnt vmcnt(0)
	v_cmp_le_u32_e64 s[6:7], v10, v11
	v_cmp_lt_u32_e32 vcc, v10, v11
	s_and_b64 s[6:7], s[6:7], s[40:41]
	s_or_b64 s[44:45], vcc, s[6:7]
	s_and_b64 s[6:7], s[44:45], exec
	v_cmp_eq_u32_e64 s[8:9], v10, v11
	s_or_b64 s[6:7], s[42:43], s[6:7]
	s_and_saveexec_b64 s[42:43], s[8:9]
	s_cbranch_execz .LBB1483_609
; %bb.611:                              ;   in Loop: Header=BB1483_610 Depth=1
	s_add_u32 s38, s38, -1
	s_addc_u32 s39, s39, -1
	v_add_co_u32_e32 v4, vcc, 4, v4
	s_cmp_eq_u64 s[38:39], 0
	v_addc_co_u32_e32 v5, vcc, 0, v5, vcc
	s_cselect_b64 s[8:9], -1, 0
	v_add_co_u32_e32 v6, vcc, 4, v6
	s_andn2_b64 s[36:37], s[36:37], exec
	s_and_b64 s[40:41], s[44:45], exec
	s_andn2_b64 s[34:35], s[34:35], exec
	s_and_b64 s[8:9], s[8:9], exec
	v_addc_co_u32_e32 v7, vcc, 0, v7, vcc
	s_or_b64 s[36:37], s[36:37], s[40:41]
	s_andn2_b64 s[6:7], s[6:7], exec
	s_or_b64 s[34:35], s[34:35], s[8:9]
                                        ; implicit-def: $sgpr40_sgpr41
	s_branch .LBB1483_609
.LBB1483_612:
	s_or_b64 exec, exec, s[28:29]
	s_xor_b64 s[6:7], s[30:31], -1
	s_branch .LBB1483_614
.LBB1483_613:
	s_mov_b64 s[6:7], -1
.LBB1483_614:
	s_and_b64 s[6:7], s[6:7], exec
.LBB1483_615:
	s_or_b64 exec, exec, s[14:15]
	s_orn2_b64 s[14:15], s[6:7], exec
.LBB1483_616:
	s_or_b64 exec, exec, s[26:27]
	v_cndmask_b32_e64 v4, v9, v8, s[14:15]
	v_cndmask_b32_e64 v5, v23, v22, s[14:15]
	v_add_u32_e32 v6, 1, v4
	v_add_u32_e32 v4, -1, v5
	v_min_u32_e32 v4, v6, v4
	v_lshl_add_u32 v4, v4, 3, v18
	ds_read_b64 v[4:5], v4
	v_cndmask_b32_e64 v9, v6, v9, s[14:15]
	v_cndmask_b32_e64 v8, v8, v6, s[14:15]
	v_cmp_lt_u32_e32 vcc, v9, v23
	s_mov_b64 s[26:27], -1
	s_waitcnt lgkmcnt(0)
	v_cndmask_b32_e64 v30, v5, v24, s[14:15]
	v_cndmask_b32_e64 v31, v4, v25, s[14:15]
	;; [unrolled: 1-line block ×4, first 2 shown]
	s_and_saveexec_b64 s[28:29], vcc
	s_cbranch_execz .LBB1483_627
; %bb.617:
	v_cmp_lt_u32_e32 vcc, v8, v22
	s_mov_b64 s[6:7], 0
	s_and_saveexec_b64 s[26:27], vcc
	s_cbranch_execz .LBB1483_626
; %bb.618:
	s_andn2_b64 vcc, exec, s[22:23]
	s_cbranch_vccnz .LBB1483_624
; %bb.619:
	v_mul_lo_u32 v6, v30, s16
	v_mul_lo_u32 v7, v31, s17
	v_mad_u64_u32 v[4:5], s[6:7], v31, s16, 0
	v_add3_u32 v5, v5, v7, v6
	v_lshlrev_b64 v[4:5], 2, v[4:5]
	v_mov_b32_e32 v6, s19
	v_add_co_u32_e32 v4, vcc, s18, v4
	v_addc_co_u32_e32 v5, vcc, v6, v5, vcc
	v_mul_lo_u32 v10, v32, s16
	v_mul_lo_u32 v11, v33, s17
	v_mad_u64_u32 v[6:7], s[6:7], v33, s16, 0
	v_add3_u32 v7, v7, v11, v10
	v_lshlrev_b64 v[6:7], 2, v[6:7]
	v_mov_b32_e32 v10, s19
	v_add_co_u32_e32 v6, vcc, s18, v6
	v_addc_co_u32_e32 v7, vcc, v10, v7, vcc
	s_mov_b64 s[30:31], 0
	s_mov_b64 s[40:41], s[16:17]
                                        ; implicit-def: $sgpr34_sgpr35
                                        ; implicit-def: $sgpr36_sgpr37
                                        ; implicit-def: $sgpr6_sgpr7
                                        ; implicit-def: $sgpr38_sgpr39
                                        ; implicit-def: $sgpr42_sgpr43
	s_branch .LBB1483_621
.LBB1483_620:                           ;   in Loop: Header=BB1483_621 Depth=1
	s_or_b64 exec, exec, s[44:45]
	s_and_b64 s[8:9], exec, s[36:37]
	s_or_b64 s[30:31], s[8:9], s[30:31]
	s_andn2_b64 s[8:9], s[42:43], exec
	s_and_b64 s[42:43], s[38:39], exec
	s_or_b64 s[42:43], s[8:9], s[42:43]
	s_andn2_b64 s[8:9], s[34:35], exec
	s_and_b64 s[34:35], s[6:7], exec
	s_or_b64 s[34:35], s[8:9], s[34:35]
	s_andn2_b64 exec, exec, s[30:31]
	s_cbranch_execz .LBB1483_623
.LBB1483_621:                           ; =>This Inner Loop Header: Depth=1
	global_load_dword v10, v[4:5], off
	global_load_dword v11, v[6:7], off
	s_andn2_b64 s[44:45], s[6:7], exec
	s_andn2_b64 s[38:39], s[38:39], exec
	s_or_b64 s[36:37], s[36:37], exec
	s_waitcnt vmcnt(0)
	v_cmp_le_u32_e64 s[6:7], v10, v11
	v_cmp_lt_u32_e32 vcc, v10, v11
	s_and_b64 s[6:7], s[6:7], s[42:43]
	s_or_b64 s[46:47], vcc, s[6:7]
	s_and_b64 s[6:7], s[46:47], exec
	v_cmp_eq_u32_e64 s[8:9], v10, v11
	s_or_b64 s[6:7], s[44:45], s[6:7]
	s_and_saveexec_b64 s[44:45], s[8:9]
	s_cbranch_execz .LBB1483_620
; %bb.622:                              ;   in Loop: Header=BB1483_621 Depth=1
	s_add_u32 s40, s40, -1
	s_addc_u32 s41, s41, -1
	v_add_co_u32_e32 v4, vcc, 4, v4
	s_cmp_eq_u64 s[40:41], 0
	v_addc_co_u32_e32 v5, vcc, 0, v5, vcc
	s_cselect_b64 s[8:9], -1, 0
	v_add_co_u32_e32 v6, vcc, 4, v6
	s_andn2_b64 s[38:39], s[38:39], exec
	s_and_b64 s[42:43], s[46:47], exec
	s_andn2_b64 s[36:37], s[36:37], exec
	s_and_b64 s[8:9], s[8:9], exec
	v_addc_co_u32_e32 v7, vcc, 0, v7, vcc
	s_or_b64 s[38:39], s[38:39], s[42:43]
	s_andn2_b64 s[6:7], s[6:7], exec
	s_or_b64 s[36:37], s[36:37], s[8:9]
                                        ; implicit-def: $sgpr42_sgpr43
	s_branch .LBB1483_620
.LBB1483_623:
	s_or_b64 exec, exec, s[30:31]
	s_xor_b64 s[6:7], s[34:35], -1
	s_branch .LBB1483_625
.LBB1483_624:
	s_mov_b64 s[6:7], -1
.LBB1483_625:
	s_and_b64 s[6:7], s[6:7], exec
.LBB1483_626:
	s_or_b64 exec, exec, s[26:27]
	s_orn2_b64 s[26:27], s[6:7], exec
.LBB1483_627:
	s_or_b64 exec, exec, s[28:29]
	v_cndmask_b32_e64 v4, v9, v8, s[26:27]
	v_cndmask_b32_e64 v5, v23, v22, s[26:27]
	v_add_u32_e32 v10, 1, v4
	v_add_u32_e32 v4, -1, v5
	v_min_u32_e32 v4, v10, v4
	v_lshl_add_u32 v4, v4, 3, v18
	ds_read_b64 v[4:5], v4
	v_cndmask_b32_e64 v9, v10, v9, s[26:27]
	v_cmp_lt_u32_e32 vcc, v9, v23
	s_waitcnt lgkmcnt(0)
	v_cndmask_b32_e64 v7, v32, v5, s[26:27]
	v_cndmask_b32_e64 v6, v33, v4, s[26:27]
	s_and_saveexec_b64 s[28:29], vcc
	s_cbranch_execz .LBB1483_637
; %bb.628:
	v_cndmask_b32_e64 v8, v8, v10, s[26:27]
	v_cndmask_b32_e64 v5, v5, v30, s[26:27]
	;; [unrolled: 1-line block ×3, first 2 shown]
	v_cmp_lt_u32_e32 vcc, v8, v22
	s_and_saveexec_b64 s[30:31], vcc
	s_cbranch_execz .LBB1483_636
; %bb.629:
	s_andn2_b64 vcc, exec, s[22:23]
	s_cbranch_vccnz .LBB1483_635
; %bb.630:
	v_mul_lo_u32 v10, v5, s16
	v_mul_lo_u32 v11, v4, s17
	v_mad_u64_u32 v[8:9], s[6:7], v4, s16, 0
	v_add3_u32 v9, v9, v11, v10
	v_lshlrev_b64 v[8:9], 2, v[8:9]
	v_mov_b32_e32 v10, s19
	v_add_co_u32_e32 v8, vcc, s18, v8
	v_addc_co_u32_e32 v9, vcc, v10, v9, vcc
	v_mul_lo_u32 v22, v7, s16
	v_mul_lo_u32 v23, v6, s17
	v_mad_u64_u32 v[10:11], s[6:7], v6, s16, 0
	v_add3_u32 v11, v11, v23, v22
	v_lshlrev_b64 v[10:11], 2, v[10:11]
	v_mov_b32_e32 v22, s19
	v_add_co_u32_e32 v10, vcc, s18, v10
	v_addc_co_u32_e32 v11, vcc, v22, v11, vcc
	s_mov_b64 s[34:35], 0
	s_mov_b64 s[42:43], s[16:17]
                                        ; implicit-def: $sgpr36_sgpr37
                                        ; implicit-def: $sgpr38_sgpr39
                                        ; implicit-def: $sgpr6_sgpr7
                                        ; implicit-def: $sgpr40_sgpr41
                                        ; implicit-def: $sgpr44_sgpr45
	s_branch .LBB1483_632
.LBB1483_631:                           ;   in Loop: Header=BB1483_632 Depth=1
	s_or_b64 exec, exec, s[46:47]
	s_and_b64 s[8:9], exec, s[38:39]
	s_or_b64 s[34:35], s[8:9], s[34:35]
	s_andn2_b64 s[8:9], s[44:45], exec
	s_and_b64 s[44:45], s[40:41], exec
	s_or_b64 s[44:45], s[8:9], s[44:45]
	s_andn2_b64 s[8:9], s[36:37], exec
	s_and_b64 s[36:37], s[6:7], exec
	s_or_b64 s[36:37], s[8:9], s[36:37]
	s_andn2_b64 exec, exec, s[34:35]
	s_cbranch_execz .LBB1483_634
.LBB1483_632:                           ; =>This Inner Loop Header: Depth=1
	global_load_dword v22, v[8:9], off
	global_load_dword v23, v[10:11], off
	s_andn2_b64 s[46:47], s[6:7], exec
	s_andn2_b64 s[40:41], s[40:41], exec
	s_or_b64 s[38:39], s[38:39], exec
	s_waitcnt vmcnt(0)
	v_cmp_le_u32_e64 s[6:7], v22, v23
	v_cmp_lt_u32_e32 vcc, v22, v23
	s_and_b64 s[6:7], s[6:7], s[44:45]
	s_or_b64 s[48:49], vcc, s[6:7]
	s_and_b64 s[6:7], s[48:49], exec
	v_cmp_eq_u32_e64 s[8:9], v22, v23
	s_or_b64 s[6:7], s[46:47], s[6:7]
	s_and_saveexec_b64 s[46:47], s[8:9]
	s_cbranch_execz .LBB1483_631
; %bb.633:                              ;   in Loop: Header=BB1483_632 Depth=1
	s_add_u32 s42, s42, -1
	s_addc_u32 s43, s43, -1
	v_add_co_u32_e32 v8, vcc, 4, v8
	s_cmp_eq_u64 s[42:43], 0
	v_addc_co_u32_e32 v9, vcc, 0, v9, vcc
	s_cselect_b64 s[8:9], -1, 0
	v_add_co_u32_e32 v10, vcc, 4, v10
	s_andn2_b64 s[40:41], s[40:41], exec
	s_and_b64 s[44:45], s[48:49], exec
	s_andn2_b64 s[38:39], s[38:39], exec
	s_and_b64 s[8:9], s[8:9], exec
	v_addc_co_u32_e32 v11, vcc, 0, v11, vcc
	s_or_b64 s[40:41], s[40:41], s[44:45]
	s_andn2_b64 s[6:7], s[6:7], exec
	s_or_b64 s[38:39], s[38:39], s[8:9]
                                        ; implicit-def: $sgpr44_sgpr45
	s_branch .LBB1483_631
.LBB1483_634:
	s_or_b64 exec, exec, s[34:35]
	v_cndmask_b32_e64 v7, v7, v5, s[36:37]
	v_cndmask_b32_e64 v6, v6, v4, s[36:37]
.LBB1483_635:
	v_pk_mov_b32 v[4:5], v[6:7], v[6:7] op_sel:[0,1]
.LBB1483_636:
	s_or_b64 exec, exec, s[30:31]
	v_pk_mov_b32 v[6:7], v[4:5], v[4:5] op_sel:[0,1]
.LBB1483_637:
	s_or_b64 exec, exec, s[28:29]
	v_cndmask_b32_e64 v1, v3, v1, s[12:13]
	v_cndmask_b32_e64 v0, v2, v0, s[12:13]
	;; [unrolled: 1-line block ×6, first 2 shown]
.LBB1483_638:
	s_or_b64 exec, exec, s[10:11]
	v_and_b32_e32 v28, 0x1f0, v20
	v_or_b32_e32 v8, 8, v28
	v_min_u32_e32 v22, v19, v8
	v_add_u32_e32 v8, 8, v22
	v_min_u32_e32 v23, v19, v8
	v_and_b32_e32 v8, 12, v20
	v_min_u32_e32 v29, v19, v8
	v_sub_u32_e32 v8, v22, v28
	v_sub_u32_e32 v9, v23, v22
	v_sub_u32_e64 v25, v29, v9 clamp
	v_min_u32_e32 v30, v29, v8
	v_lshl_add_u32 v24, v28, 3, v18
	v_cmp_lt_u32_e32 vcc, v25, v30
	; wave barrier
	ds_write_b128 v21, v[0:3]
	ds_write_b128 v21, v[4:7] offset:16
	; wave barrier
	s_and_saveexec_b64 s[12:13], vcc
	s_cbranch_execz .LBB1483_648
; %bb.639:
	v_lshlrev_b32_e32 v8, 3, v22
	v_lshlrev_b32_e32 v9, 3, v29
	v_add3_u32 v31, v18, v8, v9
	v_cndmask_b32_e64 v8, 0, 1, s[22:23]
	s_lshl_b64 s[26:27], s[16:17], 2
	s_mov_b64 s[14:15], 0
	v_cmp_ne_u32_e64 s[6:7], 1, v8
	s_branch .LBB1483_642
.LBB1483_640:                           ;   in Loop: Header=BB1483_642 Depth=1
	s_or_b64 exec, exec, s[30:31]
.LBB1483_641:                           ;   in Loop: Header=BB1483_642 Depth=1
	v_add_u32_e32 v8, 1, v32
	v_cndmask_b32_e64 v30, v30, v32, s[28:29]
	v_cndmask_b32_e64 v25, v8, v25, s[28:29]
	v_cmp_ge_u32_e32 vcc, v25, v30
	s_or_b64 s[14:15], vcc, s[14:15]
	s_andn2_b64 exec, exec, s[14:15]
	s_cbranch_execz .LBB1483_647
.LBB1483_642:                           ; =>This Loop Header: Depth=1
                                        ;     Child Loop BB1483_645 Depth 2
	v_add_u32_e32 v8, v30, v25
	v_lshrrev_b32_e32 v32, 1, v8
	s_and_b64 vcc, exec, s[6:7]
	s_mov_b64 s[28:29], 0
	s_cbranch_vccnz .LBB1483_641
; %bb.643:                              ;   in Loop: Header=BB1483_642 Depth=1
	v_not_b32_e32 v8, v32
	v_lshl_add_u32 v8, v8, 3, v31
	ds_read_b64 v[8:9], v8
	v_lshl_add_u32 v33, v32, 3, v24
	ds_read_b64 v[34:35], v33
	v_pk_mov_b32 v[10:11], s[18:19], s[18:19] op_sel:[0,1]
	s_mov_b64 s[30:31], 0
	s_waitcnt lgkmcnt(1)
	v_mul_lo_u32 v33, s26, v9
	v_mul_lo_u32 v36, s27, v8
	v_mad_u64_u32 v[8:9], s[8:9], s26, v8, v[10:11]
	v_add3_u32 v9, v36, v9, v33
	s_waitcnt lgkmcnt(0)
	v_mul_lo_u32 v33, s26, v35
	v_mul_lo_u32 v35, s27, v34
	v_mad_u64_u32 v[10:11], s[8:9], s26, v34, v[10:11]
	v_add3_u32 v11, v35, v11, v33
	s_mov_b64 s[38:39], s[16:17]
                                        ; implicit-def: $sgpr28_sgpr29
                                        ; implicit-def: $sgpr34_sgpr35
                                        ; implicit-def: $sgpr36_sgpr37
                                        ; implicit-def: $sgpr8_sgpr9
                                        ; implicit-def: $sgpr40_sgpr41
	s_branch .LBB1483_645
.LBB1483_644:                           ;   in Loop: Header=BB1483_645 Depth=2
	s_or_b64 exec, exec, s[42:43]
	s_and_b64 s[10:11], exec, s[34:35]
	s_or_b64 s[30:31], s[10:11], s[30:31]
	s_andn2_b64 s[10:11], s[40:41], exec
	s_and_b64 s[40:41], s[36:37], exec
	s_or_b64 s[40:41], s[10:11], s[40:41]
	s_andn2_b64 s[10:11], s[28:29], exec
	s_and_b64 s[28:29], s[8:9], exec
	s_or_b64 s[28:29], s[10:11], s[28:29]
	s_andn2_b64 exec, exec, s[30:31]
	s_cbranch_execz .LBB1483_640
.LBB1483_645:                           ;   Parent Loop BB1483_642 Depth=1
                                        ; =>  This Inner Loop Header: Depth=2
	global_load_dword v33, v[8:9], off
	global_load_dword v34, v[10:11], off
	s_andn2_b64 s[42:43], s[8:9], exec
	s_andn2_b64 s[36:37], s[36:37], exec
	s_or_b64 s[34:35], s[34:35], exec
	s_waitcnt vmcnt(0)
	v_cmp_le_u32_e64 s[8:9], v33, v34
	v_cmp_lt_u32_e32 vcc, v33, v34
	s_and_b64 s[8:9], s[8:9], s[40:41]
	s_or_b64 s[44:45], vcc, s[8:9]
	s_and_b64 s[8:9], s[44:45], exec
	v_cmp_eq_u32_e64 s[10:11], v33, v34
	s_or_b64 s[8:9], s[42:43], s[8:9]
	s_and_saveexec_b64 s[42:43], s[10:11]
	s_cbranch_execz .LBB1483_644
; %bb.646:                              ;   in Loop: Header=BB1483_645 Depth=2
	s_add_u32 s38, s38, -1
	s_addc_u32 s39, s39, -1
	v_add_co_u32_e32 v8, vcc, 4, v8
	s_cmp_eq_u64 s[38:39], 0
	v_addc_co_u32_e32 v9, vcc, 0, v9, vcc
	s_cselect_b64 s[10:11], -1, 0
	v_add_co_u32_e32 v10, vcc, 4, v10
	s_andn2_b64 s[36:37], s[36:37], exec
	s_and_b64 s[40:41], s[44:45], exec
	s_andn2_b64 s[34:35], s[34:35], exec
	s_and_b64 s[10:11], s[10:11], exec
	v_addc_co_u32_e32 v11, vcc, 0, v11, vcc
	s_andn2_b64 s[8:9], s[8:9], exec
	s_or_b64 s[36:37], s[36:37], s[40:41]
	s_or_b64 s[34:35], s[34:35], s[10:11]
                                        ; implicit-def: $sgpr40_sgpr41
	s_branch .LBB1483_644
.LBB1483_647:
	s_or_b64 exec, exec, s[14:15]
.LBB1483_648:
	s_or_b64 exec, exec, s[12:13]
	v_add_u32_e32 v9, v22, v29
	v_add_u32_e32 v8, v25, v28
	v_sub_u32_e32 v9, v9, v25
	v_cmp_le_u32_e32 vcc, v8, v22
	v_cmp_le_u32_e64 s[6:7], v9, v23
	s_or_b64 s[6:7], vcc, s[6:7]
	s_and_saveexec_b64 s[10:11], s[6:7]
	s_cbranch_execz .LBB1483_695
; %bb.649:
	v_cmp_ge_u32_e32 vcc, v8, v22
	v_cmp_lt_u32_e64 s[6:7], v8, v22
                                        ; implicit-def: $vgpr0_vgpr1
	s_and_saveexec_b64 s[8:9], s[6:7]
	s_cbranch_execz .LBB1483_651
; %bb.650:
	v_lshl_add_u32 v0, v25, 3, v24
	ds_read_b64 v[0:1], v0
.LBB1483_651:
	s_or_b64 exec, exec, s[8:9]
	v_cmp_ge_u32_e64 s[12:13], v9, v23
	v_cmp_lt_u32_e64 s[6:7], v9, v23
                                        ; implicit-def: $vgpr2_vgpr3
	s_and_saveexec_b64 s[8:9], s[6:7]
	s_cbranch_execz .LBB1483_653
; %bb.652:
	v_lshl_add_u32 v2, v9, 3, v18
	ds_read_b64 v[2:3], v2
.LBB1483_653:
	s_or_b64 exec, exec, s[8:9]
	s_or_b64 s[6:7], vcc, s[12:13]
	s_mov_b64 s[14:15], -1
	s_xor_b64 s[6:7], s[6:7], -1
	s_and_saveexec_b64 s[26:27], s[6:7]
	s_cbranch_execz .LBB1483_662
; %bb.654:
	s_andn2_b64 vcc, exec, s[22:23]
	s_cbranch_vccnz .LBB1483_660
; %bb.655:
	s_waitcnt lgkmcnt(0)
	v_mul_lo_u32 v6, v3, s16
	v_mul_lo_u32 v7, v2, s17
	v_mad_u64_u32 v[4:5], s[6:7], v2, s16, 0
	v_add3_u32 v5, v5, v7, v6
	v_lshlrev_b64 v[4:5], 2, v[4:5]
	v_mov_b32_e32 v6, s19
	v_add_co_u32_e32 v4, vcc, s18, v4
	v_addc_co_u32_e32 v5, vcc, v6, v5, vcc
	v_mul_lo_u32 v10, v1, s16
	v_mul_lo_u32 v11, v0, s17
	v_mad_u64_u32 v[6:7], s[6:7], v0, s16, 0
	v_add3_u32 v7, v7, v11, v10
	v_lshlrev_b64 v[6:7], 2, v[6:7]
	v_mov_b32_e32 v10, s19
	v_add_co_u32_e32 v6, vcc, s18, v6
	v_addc_co_u32_e32 v7, vcc, v10, v7, vcc
	s_mov_b64 s[28:29], 0
	s_mov_b64 s[38:39], s[16:17]
                                        ; implicit-def: $sgpr30_sgpr31
                                        ; implicit-def: $sgpr34_sgpr35
                                        ; implicit-def: $sgpr6_sgpr7
                                        ; implicit-def: $sgpr36_sgpr37
                                        ; implicit-def: $sgpr40_sgpr41
	s_branch .LBB1483_657
.LBB1483_656:                           ;   in Loop: Header=BB1483_657 Depth=1
	s_or_b64 exec, exec, s[42:43]
	s_and_b64 s[8:9], exec, s[34:35]
	s_or_b64 s[28:29], s[8:9], s[28:29]
	s_andn2_b64 s[8:9], s[40:41], exec
	s_and_b64 s[40:41], s[36:37], exec
	s_or_b64 s[40:41], s[8:9], s[40:41]
	s_andn2_b64 s[8:9], s[30:31], exec
	s_and_b64 s[30:31], s[6:7], exec
	s_or_b64 s[30:31], s[8:9], s[30:31]
	s_andn2_b64 exec, exec, s[28:29]
	s_cbranch_execz .LBB1483_659
.LBB1483_657:                           ; =>This Inner Loop Header: Depth=1
	global_load_dword v10, v[4:5], off
	global_load_dword v11, v[6:7], off
	s_andn2_b64 s[42:43], s[6:7], exec
	s_andn2_b64 s[36:37], s[36:37], exec
	s_or_b64 s[34:35], s[34:35], exec
	s_waitcnt vmcnt(0)
	v_cmp_le_u32_e64 s[6:7], v10, v11
	v_cmp_lt_u32_e32 vcc, v10, v11
	s_and_b64 s[6:7], s[6:7], s[40:41]
	s_or_b64 s[44:45], vcc, s[6:7]
	s_and_b64 s[6:7], s[44:45], exec
	v_cmp_eq_u32_e64 s[8:9], v10, v11
	s_or_b64 s[6:7], s[42:43], s[6:7]
	s_and_saveexec_b64 s[42:43], s[8:9]
	s_cbranch_execz .LBB1483_656
; %bb.658:                              ;   in Loop: Header=BB1483_657 Depth=1
	s_add_u32 s38, s38, -1
	s_addc_u32 s39, s39, -1
	v_add_co_u32_e32 v4, vcc, 4, v4
	s_cmp_eq_u64 s[38:39], 0
	v_addc_co_u32_e32 v5, vcc, 0, v5, vcc
	s_cselect_b64 s[8:9], -1, 0
	v_add_co_u32_e32 v6, vcc, 4, v6
	s_andn2_b64 s[36:37], s[36:37], exec
	s_and_b64 s[40:41], s[44:45], exec
	s_andn2_b64 s[34:35], s[34:35], exec
	s_and_b64 s[8:9], s[8:9], exec
	v_addc_co_u32_e32 v7, vcc, 0, v7, vcc
	s_or_b64 s[36:37], s[36:37], s[40:41]
	s_andn2_b64 s[6:7], s[6:7], exec
	s_or_b64 s[34:35], s[34:35], s[8:9]
                                        ; implicit-def: $sgpr40_sgpr41
	s_branch .LBB1483_656
.LBB1483_659:
	s_or_b64 exec, exec, s[28:29]
	s_xor_b64 s[6:7], s[30:31], -1
	s_branch .LBB1483_661
.LBB1483_660:
	s_mov_b64 s[6:7], -1
.LBB1483_661:
	s_andn2_b64 s[8:9], s[12:13], exec
	s_and_b64 s[6:7], s[6:7], exec
	s_or_b64 s[12:13], s[8:9], s[6:7]
.LBB1483_662:
	s_or_b64 exec, exec, s[26:27]
	v_cndmask_b32_e64 v4, v9, v8, s[12:13]
	v_cndmask_b32_e64 v5, v23, v22, s[12:13]
	v_add_u32_e32 v6, 1, v4
	v_add_u32_e32 v4, -1, v5
	v_min_u32_e32 v4, v6, v4
	v_lshl_add_u32 v4, v4, 3, v18
	ds_read_b64 v[4:5], v4
	v_cndmask_b32_e64 v9, v6, v9, s[12:13]
	v_cndmask_b32_e64 v8, v8, v6, s[12:13]
	v_cmp_lt_u32_e32 vcc, v9, v23
	s_waitcnt lgkmcnt(0)
	v_cndmask_b32_e64 v24, v5, v3, s[12:13]
	v_cndmask_b32_e64 v25, v4, v2, s[12:13]
	;; [unrolled: 1-line block ×4, first 2 shown]
	s_and_saveexec_b64 s[26:27], vcc
	s_cbranch_execz .LBB1483_673
; %bb.663:
	v_cmp_lt_u32_e32 vcc, v8, v22
	s_mov_b64 s[6:7], 0
	s_and_saveexec_b64 s[14:15], vcc
	s_cbranch_execz .LBB1483_672
; %bb.664:
	s_andn2_b64 vcc, exec, s[22:23]
	s_cbranch_vccnz .LBB1483_670
; %bb.665:
	v_mul_lo_u32 v6, v24, s16
	v_mul_lo_u32 v7, v25, s17
	v_mad_u64_u32 v[4:5], s[6:7], v25, s16, 0
	v_add3_u32 v5, v5, v7, v6
	v_lshlrev_b64 v[4:5], 2, v[4:5]
	v_mov_b32_e32 v6, s19
	v_add_co_u32_e32 v4, vcc, s18, v4
	v_addc_co_u32_e32 v5, vcc, v6, v5, vcc
	v_mul_lo_u32 v10, v28, s16
	v_mul_lo_u32 v11, v29, s17
	v_mad_u64_u32 v[6:7], s[6:7], v29, s16, 0
	v_add3_u32 v7, v7, v11, v10
	v_lshlrev_b64 v[6:7], 2, v[6:7]
	v_mov_b32_e32 v10, s19
	v_add_co_u32_e32 v6, vcc, s18, v6
	v_addc_co_u32_e32 v7, vcc, v10, v7, vcc
	s_mov_b64 s[28:29], 0
	s_mov_b64 s[38:39], s[16:17]
                                        ; implicit-def: $sgpr30_sgpr31
                                        ; implicit-def: $sgpr34_sgpr35
                                        ; implicit-def: $sgpr6_sgpr7
                                        ; implicit-def: $sgpr36_sgpr37
                                        ; implicit-def: $sgpr40_sgpr41
	s_branch .LBB1483_667
.LBB1483_666:                           ;   in Loop: Header=BB1483_667 Depth=1
	s_or_b64 exec, exec, s[42:43]
	s_and_b64 s[8:9], exec, s[34:35]
	s_or_b64 s[28:29], s[8:9], s[28:29]
	s_andn2_b64 s[8:9], s[40:41], exec
	s_and_b64 s[40:41], s[36:37], exec
	s_or_b64 s[40:41], s[8:9], s[40:41]
	s_andn2_b64 s[8:9], s[30:31], exec
	s_and_b64 s[30:31], s[6:7], exec
	s_or_b64 s[30:31], s[8:9], s[30:31]
	s_andn2_b64 exec, exec, s[28:29]
	s_cbranch_execz .LBB1483_669
.LBB1483_667:                           ; =>This Inner Loop Header: Depth=1
	global_load_dword v10, v[4:5], off
	global_load_dword v11, v[6:7], off
	s_andn2_b64 s[42:43], s[6:7], exec
	s_andn2_b64 s[36:37], s[36:37], exec
	s_or_b64 s[34:35], s[34:35], exec
	s_waitcnt vmcnt(0)
	v_cmp_le_u32_e64 s[6:7], v10, v11
	v_cmp_lt_u32_e32 vcc, v10, v11
	s_and_b64 s[6:7], s[6:7], s[40:41]
	s_or_b64 s[44:45], vcc, s[6:7]
	s_and_b64 s[6:7], s[44:45], exec
	v_cmp_eq_u32_e64 s[8:9], v10, v11
	s_or_b64 s[6:7], s[42:43], s[6:7]
	s_and_saveexec_b64 s[42:43], s[8:9]
	s_cbranch_execz .LBB1483_666
; %bb.668:                              ;   in Loop: Header=BB1483_667 Depth=1
	s_add_u32 s38, s38, -1
	s_addc_u32 s39, s39, -1
	v_add_co_u32_e32 v4, vcc, 4, v4
	s_cmp_eq_u64 s[38:39], 0
	v_addc_co_u32_e32 v5, vcc, 0, v5, vcc
	s_cselect_b64 s[8:9], -1, 0
	v_add_co_u32_e32 v6, vcc, 4, v6
	s_andn2_b64 s[36:37], s[36:37], exec
	s_and_b64 s[40:41], s[44:45], exec
	s_andn2_b64 s[34:35], s[34:35], exec
	s_and_b64 s[8:9], s[8:9], exec
	v_addc_co_u32_e32 v7, vcc, 0, v7, vcc
	s_or_b64 s[36:37], s[36:37], s[40:41]
	s_andn2_b64 s[6:7], s[6:7], exec
	s_or_b64 s[34:35], s[34:35], s[8:9]
                                        ; implicit-def: $sgpr40_sgpr41
	s_branch .LBB1483_666
.LBB1483_669:
	s_or_b64 exec, exec, s[28:29]
	s_xor_b64 s[6:7], s[30:31], -1
	s_branch .LBB1483_671
.LBB1483_670:
	s_mov_b64 s[6:7], -1
.LBB1483_671:
	s_and_b64 s[6:7], s[6:7], exec
.LBB1483_672:
	s_or_b64 exec, exec, s[14:15]
	s_orn2_b64 s[14:15], s[6:7], exec
.LBB1483_673:
	s_or_b64 exec, exec, s[26:27]
	v_cndmask_b32_e64 v4, v9, v8, s[14:15]
	v_cndmask_b32_e64 v5, v23, v22, s[14:15]
	v_add_u32_e32 v6, 1, v4
	v_add_u32_e32 v4, -1, v5
	v_min_u32_e32 v4, v6, v4
	v_lshl_add_u32 v4, v4, 3, v18
	ds_read_b64 v[4:5], v4
	v_cndmask_b32_e64 v9, v6, v9, s[14:15]
	v_cndmask_b32_e64 v8, v8, v6, s[14:15]
	v_cmp_lt_u32_e32 vcc, v9, v23
	s_mov_b64 s[26:27], -1
	s_waitcnt lgkmcnt(0)
	v_cndmask_b32_e64 v30, v5, v24, s[14:15]
	v_cndmask_b32_e64 v31, v4, v25, s[14:15]
	;; [unrolled: 1-line block ×4, first 2 shown]
	s_and_saveexec_b64 s[28:29], vcc
	s_cbranch_execz .LBB1483_684
; %bb.674:
	v_cmp_lt_u32_e32 vcc, v8, v22
	s_mov_b64 s[6:7], 0
	s_and_saveexec_b64 s[26:27], vcc
	s_cbranch_execz .LBB1483_683
; %bb.675:
	s_andn2_b64 vcc, exec, s[22:23]
	s_cbranch_vccnz .LBB1483_681
; %bb.676:
	v_mul_lo_u32 v6, v30, s16
	v_mul_lo_u32 v7, v31, s17
	v_mad_u64_u32 v[4:5], s[6:7], v31, s16, 0
	v_add3_u32 v5, v5, v7, v6
	v_lshlrev_b64 v[4:5], 2, v[4:5]
	v_mov_b32_e32 v6, s19
	v_add_co_u32_e32 v4, vcc, s18, v4
	v_addc_co_u32_e32 v5, vcc, v6, v5, vcc
	v_mul_lo_u32 v10, v32, s16
	v_mul_lo_u32 v11, v33, s17
	v_mad_u64_u32 v[6:7], s[6:7], v33, s16, 0
	v_add3_u32 v7, v7, v11, v10
	v_lshlrev_b64 v[6:7], 2, v[6:7]
	v_mov_b32_e32 v10, s19
	v_add_co_u32_e32 v6, vcc, s18, v6
	v_addc_co_u32_e32 v7, vcc, v10, v7, vcc
	s_mov_b64 s[30:31], 0
	s_mov_b64 s[40:41], s[16:17]
                                        ; implicit-def: $sgpr34_sgpr35
                                        ; implicit-def: $sgpr36_sgpr37
                                        ; implicit-def: $sgpr6_sgpr7
                                        ; implicit-def: $sgpr38_sgpr39
                                        ; implicit-def: $sgpr42_sgpr43
	s_branch .LBB1483_678
.LBB1483_677:                           ;   in Loop: Header=BB1483_678 Depth=1
	s_or_b64 exec, exec, s[44:45]
	s_and_b64 s[8:9], exec, s[36:37]
	s_or_b64 s[30:31], s[8:9], s[30:31]
	s_andn2_b64 s[8:9], s[42:43], exec
	s_and_b64 s[42:43], s[38:39], exec
	s_or_b64 s[42:43], s[8:9], s[42:43]
	s_andn2_b64 s[8:9], s[34:35], exec
	s_and_b64 s[34:35], s[6:7], exec
	s_or_b64 s[34:35], s[8:9], s[34:35]
	s_andn2_b64 exec, exec, s[30:31]
	s_cbranch_execz .LBB1483_680
.LBB1483_678:                           ; =>This Inner Loop Header: Depth=1
	global_load_dword v10, v[4:5], off
	global_load_dword v11, v[6:7], off
	s_andn2_b64 s[44:45], s[6:7], exec
	s_andn2_b64 s[38:39], s[38:39], exec
	s_or_b64 s[36:37], s[36:37], exec
	s_waitcnt vmcnt(0)
	v_cmp_le_u32_e64 s[6:7], v10, v11
	v_cmp_lt_u32_e32 vcc, v10, v11
	s_and_b64 s[6:7], s[6:7], s[42:43]
	s_or_b64 s[46:47], vcc, s[6:7]
	s_and_b64 s[6:7], s[46:47], exec
	v_cmp_eq_u32_e64 s[8:9], v10, v11
	s_or_b64 s[6:7], s[44:45], s[6:7]
	s_and_saveexec_b64 s[44:45], s[8:9]
	s_cbranch_execz .LBB1483_677
; %bb.679:                              ;   in Loop: Header=BB1483_678 Depth=1
	s_add_u32 s40, s40, -1
	s_addc_u32 s41, s41, -1
	v_add_co_u32_e32 v4, vcc, 4, v4
	s_cmp_eq_u64 s[40:41], 0
	v_addc_co_u32_e32 v5, vcc, 0, v5, vcc
	s_cselect_b64 s[8:9], -1, 0
	v_add_co_u32_e32 v6, vcc, 4, v6
	s_andn2_b64 s[38:39], s[38:39], exec
	s_and_b64 s[42:43], s[46:47], exec
	s_andn2_b64 s[36:37], s[36:37], exec
	s_and_b64 s[8:9], s[8:9], exec
	v_addc_co_u32_e32 v7, vcc, 0, v7, vcc
	s_or_b64 s[38:39], s[38:39], s[42:43]
	s_andn2_b64 s[6:7], s[6:7], exec
	s_or_b64 s[36:37], s[36:37], s[8:9]
                                        ; implicit-def: $sgpr42_sgpr43
	s_branch .LBB1483_677
.LBB1483_680:
	s_or_b64 exec, exec, s[30:31]
	s_xor_b64 s[6:7], s[34:35], -1
	s_branch .LBB1483_682
.LBB1483_681:
	s_mov_b64 s[6:7], -1
.LBB1483_682:
	s_and_b64 s[6:7], s[6:7], exec
.LBB1483_683:
	s_or_b64 exec, exec, s[26:27]
	s_orn2_b64 s[26:27], s[6:7], exec
.LBB1483_684:
	s_or_b64 exec, exec, s[28:29]
	v_cndmask_b32_e64 v4, v9, v8, s[26:27]
	v_cndmask_b32_e64 v5, v23, v22, s[26:27]
	v_add_u32_e32 v10, 1, v4
	v_add_u32_e32 v4, -1, v5
	v_min_u32_e32 v4, v10, v4
	v_lshl_add_u32 v4, v4, 3, v18
	ds_read_b64 v[4:5], v4
	v_cndmask_b32_e64 v9, v10, v9, s[26:27]
	v_cmp_lt_u32_e32 vcc, v9, v23
	s_waitcnt lgkmcnt(0)
	v_cndmask_b32_e64 v7, v32, v5, s[26:27]
	v_cndmask_b32_e64 v6, v33, v4, s[26:27]
	s_and_saveexec_b64 s[28:29], vcc
	s_cbranch_execz .LBB1483_694
; %bb.685:
	v_cndmask_b32_e64 v8, v8, v10, s[26:27]
	v_cndmask_b32_e64 v5, v5, v30, s[26:27]
	;; [unrolled: 1-line block ×3, first 2 shown]
	v_cmp_lt_u32_e32 vcc, v8, v22
	s_and_saveexec_b64 s[30:31], vcc
	s_cbranch_execz .LBB1483_693
; %bb.686:
	s_andn2_b64 vcc, exec, s[22:23]
	s_cbranch_vccnz .LBB1483_692
; %bb.687:
	v_mul_lo_u32 v10, v5, s16
	v_mul_lo_u32 v11, v4, s17
	v_mad_u64_u32 v[8:9], s[6:7], v4, s16, 0
	v_add3_u32 v9, v9, v11, v10
	v_lshlrev_b64 v[8:9], 2, v[8:9]
	v_mov_b32_e32 v10, s19
	v_add_co_u32_e32 v8, vcc, s18, v8
	v_addc_co_u32_e32 v9, vcc, v10, v9, vcc
	v_mul_lo_u32 v22, v7, s16
	v_mul_lo_u32 v23, v6, s17
	v_mad_u64_u32 v[10:11], s[6:7], v6, s16, 0
	v_add3_u32 v11, v11, v23, v22
	v_lshlrev_b64 v[10:11], 2, v[10:11]
	v_mov_b32_e32 v22, s19
	v_add_co_u32_e32 v10, vcc, s18, v10
	v_addc_co_u32_e32 v11, vcc, v22, v11, vcc
	s_mov_b64 s[34:35], 0
	s_mov_b64 s[42:43], s[16:17]
                                        ; implicit-def: $sgpr36_sgpr37
                                        ; implicit-def: $sgpr38_sgpr39
                                        ; implicit-def: $sgpr6_sgpr7
                                        ; implicit-def: $sgpr40_sgpr41
                                        ; implicit-def: $sgpr44_sgpr45
	s_branch .LBB1483_689
.LBB1483_688:                           ;   in Loop: Header=BB1483_689 Depth=1
	s_or_b64 exec, exec, s[46:47]
	s_and_b64 s[8:9], exec, s[38:39]
	s_or_b64 s[34:35], s[8:9], s[34:35]
	s_andn2_b64 s[8:9], s[44:45], exec
	s_and_b64 s[44:45], s[40:41], exec
	s_or_b64 s[44:45], s[8:9], s[44:45]
	s_andn2_b64 s[8:9], s[36:37], exec
	s_and_b64 s[36:37], s[6:7], exec
	s_or_b64 s[36:37], s[8:9], s[36:37]
	s_andn2_b64 exec, exec, s[34:35]
	s_cbranch_execz .LBB1483_691
.LBB1483_689:                           ; =>This Inner Loop Header: Depth=1
	global_load_dword v22, v[8:9], off
	global_load_dword v23, v[10:11], off
	s_andn2_b64 s[46:47], s[6:7], exec
	s_andn2_b64 s[40:41], s[40:41], exec
	s_or_b64 s[38:39], s[38:39], exec
	s_waitcnt vmcnt(0)
	v_cmp_le_u32_e64 s[6:7], v22, v23
	v_cmp_lt_u32_e32 vcc, v22, v23
	s_and_b64 s[6:7], s[6:7], s[44:45]
	s_or_b64 s[48:49], vcc, s[6:7]
	s_and_b64 s[6:7], s[48:49], exec
	v_cmp_eq_u32_e64 s[8:9], v22, v23
	s_or_b64 s[6:7], s[46:47], s[6:7]
	s_and_saveexec_b64 s[46:47], s[8:9]
	s_cbranch_execz .LBB1483_688
; %bb.690:                              ;   in Loop: Header=BB1483_689 Depth=1
	s_add_u32 s42, s42, -1
	s_addc_u32 s43, s43, -1
	v_add_co_u32_e32 v8, vcc, 4, v8
	s_cmp_eq_u64 s[42:43], 0
	v_addc_co_u32_e32 v9, vcc, 0, v9, vcc
	s_cselect_b64 s[8:9], -1, 0
	v_add_co_u32_e32 v10, vcc, 4, v10
	s_andn2_b64 s[40:41], s[40:41], exec
	s_and_b64 s[44:45], s[48:49], exec
	s_andn2_b64 s[38:39], s[38:39], exec
	s_and_b64 s[8:9], s[8:9], exec
	v_addc_co_u32_e32 v11, vcc, 0, v11, vcc
	s_or_b64 s[40:41], s[40:41], s[44:45]
	s_andn2_b64 s[6:7], s[6:7], exec
	s_or_b64 s[38:39], s[38:39], s[8:9]
                                        ; implicit-def: $sgpr44_sgpr45
	s_branch .LBB1483_688
.LBB1483_691:
	s_or_b64 exec, exec, s[34:35]
	v_cndmask_b32_e64 v7, v7, v5, s[36:37]
	v_cndmask_b32_e64 v6, v6, v4, s[36:37]
.LBB1483_692:
	v_pk_mov_b32 v[4:5], v[6:7], v[6:7] op_sel:[0,1]
.LBB1483_693:
	s_or_b64 exec, exec, s[30:31]
	v_pk_mov_b32 v[6:7], v[4:5], v[4:5] op_sel:[0,1]
.LBB1483_694:
	s_or_b64 exec, exec, s[28:29]
	v_cndmask_b32_e64 v1, v3, v1, s[12:13]
	v_cndmask_b32_e64 v0, v2, v0, s[12:13]
	v_cndmask_b32_e64 v3, v24, v28, s[14:15]
	v_cndmask_b32_e64 v2, v25, v29, s[14:15]
	v_cndmask_b32_e64 v5, v30, v32, s[26:27]
	v_cndmask_b32_e64 v4, v31, v33, s[26:27]
.LBB1483_695:
	s_or_b64 exec, exec, s[10:11]
	v_and_b32_e32 v28, 0x1e0, v20
	v_or_b32_e32 v8, 16, v28
	v_min_u32_e32 v22, v19, v8
	v_add_u32_e32 v8, 16, v22
	v_min_u32_e32 v23, v19, v8
	v_and_b32_e32 v8, 28, v20
	v_min_u32_e32 v29, v19, v8
	v_sub_u32_e32 v8, v22, v28
	v_sub_u32_e32 v9, v23, v22
	v_sub_u32_e64 v25, v29, v9 clamp
	v_min_u32_e32 v30, v29, v8
	v_lshl_add_u32 v24, v28, 3, v18
	v_cmp_lt_u32_e32 vcc, v25, v30
	; wave barrier
	ds_write_b128 v21, v[0:3]
	ds_write_b128 v21, v[4:7] offset:16
	; wave barrier
	s_and_saveexec_b64 s[12:13], vcc
	s_cbranch_execz .LBB1483_705
; %bb.696:
	v_lshlrev_b32_e32 v8, 3, v22
	v_lshlrev_b32_e32 v9, 3, v29
	v_add3_u32 v31, v18, v8, v9
	v_cndmask_b32_e64 v8, 0, 1, s[22:23]
	s_lshl_b64 s[26:27], s[16:17], 2
	s_mov_b64 s[14:15], 0
	v_cmp_ne_u32_e64 s[6:7], 1, v8
	s_branch .LBB1483_699
.LBB1483_697:                           ;   in Loop: Header=BB1483_699 Depth=1
	s_or_b64 exec, exec, s[30:31]
.LBB1483_698:                           ;   in Loop: Header=BB1483_699 Depth=1
	v_add_u32_e32 v8, 1, v32
	v_cndmask_b32_e64 v30, v30, v32, s[28:29]
	v_cndmask_b32_e64 v25, v8, v25, s[28:29]
	v_cmp_ge_u32_e32 vcc, v25, v30
	s_or_b64 s[14:15], vcc, s[14:15]
	s_andn2_b64 exec, exec, s[14:15]
	s_cbranch_execz .LBB1483_704
.LBB1483_699:                           ; =>This Loop Header: Depth=1
                                        ;     Child Loop BB1483_702 Depth 2
	v_add_u32_e32 v8, v30, v25
	v_lshrrev_b32_e32 v32, 1, v8
	s_and_b64 vcc, exec, s[6:7]
	s_mov_b64 s[28:29], 0
	s_cbranch_vccnz .LBB1483_698
; %bb.700:                              ;   in Loop: Header=BB1483_699 Depth=1
	v_not_b32_e32 v8, v32
	v_lshl_add_u32 v8, v8, 3, v31
	ds_read_b64 v[8:9], v8
	v_lshl_add_u32 v33, v32, 3, v24
	ds_read_b64 v[34:35], v33
	v_pk_mov_b32 v[10:11], s[18:19], s[18:19] op_sel:[0,1]
	s_mov_b64 s[30:31], 0
	s_waitcnt lgkmcnt(1)
	v_mul_lo_u32 v33, s26, v9
	v_mul_lo_u32 v36, s27, v8
	v_mad_u64_u32 v[8:9], s[8:9], s26, v8, v[10:11]
	v_add3_u32 v9, v36, v9, v33
	s_waitcnt lgkmcnt(0)
	v_mul_lo_u32 v33, s26, v35
	v_mul_lo_u32 v35, s27, v34
	v_mad_u64_u32 v[10:11], s[8:9], s26, v34, v[10:11]
	v_add3_u32 v11, v35, v11, v33
	s_mov_b64 s[38:39], s[16:17]
                                        ; implicit-def: $sgpr28_sgpr29
                                        ; implicit-def: $sgpr34_sgpr35
                                        ; implicit-def: $sgpr36_sgpr37
                                        ; implicit-def: $sgpr8_sgpr9
                                        ; implicit-def: $sgpr40_sgpr41
	s_branch .LBB1483_702
.LBB1483_701:                           ;   in Loop: Header=BB1483_702 Depth=2
	s_or_b64 exec, exec, s[42:43]
	s_and_b64 s[10:11], exec, s[34:35]
	s_or_b64 s[30:31], s[10:11], s[30:31]
	s_andn2_b64 s[10:11], s[40:41], exec
	s_and_b64 s[40:41], s[36:37], exec
	s_or_b64 s[40:41], s[10:11], s[40:41]
	s_andn2_b64 s[10:11], s[28:29], exec
	s_and_b64 s[28:29], s[8:9], exec
	s_or_b64 s[28:29], s[10:11], s[28:29]
	s_andn2_b64 exec, exec, s[30:31]
	s_cbranch_execz .LBB1483_697
.LBB1483_702:                           ;   Parent Loop BB1483_699 Depth=1
                                        ; =>  This Inner Loop Header: Depth=2
	global_load_dword v33, v[8:9], off
	global_load_dword v34, v[10:11], off
	s_andn2_b64 s[42:43], s[8:9], exec
	s_andn2_b64 s[36:37], s[36:37], exec
	s_or_b64 s[34:35], s[34:35], exec
	s_waitcnt vmcnt(0)
	v_cmp_le_u32_e64 s[8:9], v33, v34
	v_cmp_lt_u32_e32 vcc, v33, v34
	s_and_b64 s[8:9], s[8:9], s[40:41]
	s_or_b64 s[44:45], vcc, s[8:9]
	s_and_b64 s[8:9], s[44:45], exec
	v_cmp_eq_u32_e64 s[10:11], v33, v34
	s_or_b64 s[8:9], s[42:43], s[8:9]
	s_and_saveexec_b64 s[42:43], s[10:11]
	s_cbranch_execz .LBB1483_701
; %bb.703:                              ;   in Loop: Header=BB1483_702 Depth=2
	s_add_u32 s38, s38, -1
	s_addc_u32 s39, s39, -1
	v_add_co_u32_e32 v8, vcc, 4, v8
	s_cmp_eq_u64 s[38:39], 0
	v_addc_co_u32_e32 v9, vcc, 0, v9, vcc
	s_cselect_b64 s[10:11], -1, 0
	v_add_co_u32_e32 v10, vcc, 4, v10
	s_andn2_b64 s[36:37], s[36:37], exec
	s_and_b64 s[40:41], s[44:45], exec
	s_andn2_b64 s[34:35], s[34:35], exec
	s_and_b64 s[10:11], s[10:11], exec
	v_addc_co_u32_e32 v11, vcc, 0, v11, vcc
	s_andn2_b64 s[8:9], s[8:9], exec
	s_or_b64 s[36:37], s[36:37], s[40:41]
	s_or_b64 s[34:35], s[34:35], s[10:11]
                                        ; implicit-def: $sgpr40_sgpr41
	s_branch .LBB1483_701
.LBB1483_704:
	s_or_b64 exec, exec, s[14:15]
.LBB1483_705:
	s_or_b64 exec, exec, s[12:13]
	v_add_u32_e32 v9, v22, v29
	v_add_u32_e32 v8, v25, v28
	v_sub_u32_e32 v9, v9, v25
	v_cmp_le_u32_e32 vcc, v8, v22
	v_cmp_le_u32_e64 s[6:7], v9, v23
	s_or_b64 s[6:7], vcc, s[6:7]
	s_and_saveexec_b64 s[10:11], s[6:7]
	s_cbranch_execz .LBB1483_752
; %bb.706:
	v_cmp_ge_u32_e32 vcc, v8, v22
	v_cmp_lt_u32_e64 s[6:7], v8, v22
                                        ; implicit-def: $vgpr0_vgpr1
	s_and_saveexec_b64 s[8:9], s[6:7]
	s_cbranch_execz .LBB1483_708
; %bb.707:
	v_lshl_add_u32 v0, v25, 3, v24
	ds_read_b64 v[0:1], v0
.LBB1483_708:
	s_or_b64 exec, exec, s[8:9]
	v_cmp_ge_u32_e64 s[12:13], v9, v23
	v_cmp_lt_u32_e64 s[6:7], v9, v23
                                        ; implicit-def: $vgpr2_vgpr3
	s_and_saveexec_b64 s[8:9], s[6:7]
	s_cbranch_execz .LBB1483_710
; %bb.709:
	v_lshl_add_u32 v2, v9, 3, v18
	ds_read_b64 v[2:3], v2
.LBB1483_710:
	s_or_b64 exec, exec, s[8:9]
	s_or_b64 s[6:7], vcc, s[12:13]
	s_mov_b64 s[14:15], -1
	s_xor_b64 s[6:7], s[6:7], -1
	s_and_saveexec_b64 s[26:27], s[6:7]
	s_cbranch_execz .LBB1483_719
; %bb.711:
	s_andn2_b64 vcc, exec, s[22:23]
	s_cbranch_vccnz .LBB1483_717
; %bb.712:
	s_waitcnt lgkmcnt(0)
	v_mul_lo_u32 v6, v3, s16
	v_mul_lo_u32 v7, v2, s17
	v_mad_u64_u32 v[4:5], s[6:7], v2, s16, 0
	v_add3_u32 v5, v5, v7, v6
	v_lshlrev_b64 v[4:5], 2, v[4:5]
	v_mov_b32_e32 v6, s19
	v_add_co_u32_e32 v4, vcc, s18, v4
	v_addc_co_u32_e32 v5, vcc, v6, v5, vcc
	v_mul_lo_u32 v10, v1, s16
	v_mul_lo_u32 v11, v0, s17
	v_mad_u64_u32 v[6:7], s[6:7], v0, s16, 0
	v_add3_u32 v7, v7, v11, v10
	v_lshlrev_b64 v[6:7], 2, v[6:7]
	v_mov_b32_e32 v10, s19
	v_add_co_u32_e32 v6, vcc, s18, v6
	v_addc_co_u32_e32 v7, vcc, v10, v7, vcc
	s_mov_b64 s[28:29], 0
	s_mov_b64 s[38:39], s[16:17]
                                        ; implicit-def: $sgpr30_sgpr31
                                        ; implicit-def: $sgpr34_sgpr35
                                        ; implicit-def: $sgpr6_sgpr7
                                        ; implicit-def: $sgpr36_sgpr37
                                        ; implicit-def: $sgpr40_sgpr41
	s_branch .LBB1483_714
.LBB1483_713:                           ;   in Loop: Header=BB1483_714 Depth=1
	s_or_b64 exec, exec, s[42:43]
	s_and_b64 s[8:9], exec, s[34:35]
	s_or_b64 s[28:29], s[8:9], s[28:29]
	s_andn2_b64 s[8:9], s[40:41], exec
	s_and_b64 s[40:41], s[36:37], exec
	s_or_b64 s[40:41], s[8:9], s[40:41]
	s_andn2_b64 s[8:9], s[30:31], exec
	s_and_b64 s[30:31], s[6:7], exec
	s_or_b64 s[30:31], s[8:9], s[30:31]
	s_andn2_b64 exec, exec, s[28:29]
	s_cbranch_execz .LBB1483_716
.LBB1483_714:                           ; =>This Inner Loop Header: Depth=1
	global_load_dword v10, v[4:5], off
	global_load_dword v11, v[6:7], off
	s_andn2_b64 s[42:43], s[6:7], exec
	s_andn2_b64 s[36:37], s[36:37], exec
	s_or_b64 s[34:35], s[34:35], exec
	s_waitcnt vmcnt(0)
	v_cmp_le_u32_e64 s[6:7], v10, v11
	v_cmp_lt_u32_e32 vcc, v10, v11
	s_and_b64 s[6:7], s[6:7], s[40:41]
	s_or_b64 s[44:45], vcc, s[6:7]
	s_and_b64 s[6:7], s[44:45], exec
	v_cmp_eq_u32_e64 s[8:9], v10, v11
	s_or_b64 s[6:7], s[42:43], s[6:7]
	s_and_saveexec_b64 s[42:43], s[8:9]
	s_cbranch_execz .LBB1483_713
; %bb.715:                              ;   in Loop: Header=BB1483_714 Depth=1
	s_add_u32 s38, s38, -1
	s_addc_u32 s39, s39, -1
	v_add_co_u32_e32 v4, vcc, 4, v4
	s_cmp_eq_u64 s[38:39], 0
	v_addc_co_u32_e32 v5, vcc, 0, v5, vcc
	s_cselect_b64 s[8:9], -1, 0
	v_add_co_u32_e32 v6, vcc, 4, v6
	s_andn2_b64 s[36:37], s[36:37], exec
	s_and_b64 s[40:41], s[44:45], exec
	s_andn2_b64 s[34:35], s[34:35], exec
	s_and_b64 s[8:9], s[8:9], exec
	v_addc_co_u32_e32 v7, vcc, 0, v7, vcc
	s_or_b64 s[36:37], s[36:37], s[40:41]
	s_andn2_b64 s[6:7], s[6:7], exec
	s_or_b64 s[34:35], s[34:35], s[8:9]
                                        ; implicit-def: $sgpr40_sgpr41
	s_branch .LBB1483_713
.LBB1483_716:
	s_or_b64 exec, exec, s[28:29]
	s_xor_b64 s[6:7], s[30:31], -1
	s_branch .LBB1483_718
.LBB1483_717:
	s_mov_b64 s[6:7], -1
.LBB1483_718:
	s_andn2_b64 s[8:9], s[12:13], exec
	s_and_b64 s[6:7], s[6:7], exec
	s_or_b64 s[12:13], s[8:9], s[6:7]
.LBB1483_719:
	s_or_b64 exec, exec, s[26:27]
	v_cndmask_b32_e64 v4, v9, v8, s[12:13]
	v_cndmask_b32_e64 v5, v23, v22, s[12:13]
	v_add_u32_e32 v6, 1, v4
	v_add_u32_e32 v4, -1, v5
	v_min_u32_e32 v4, v6, v4
	v_lshl_add_u32 v4, v4, 3, v18
	ds_read_b64 v[4:5], v4
	v_cndmask_b32_e64 v9, v6, v9, s[12:13]
	v_cndmask_b32_e64 v8, v8, v6, s[12:13]
	v_cmp_lt_u32_e32 vcc, v9, v23
	s_waitcnt lgkmcnt(0)
	v_cndmask_b32_e64 v24, v5, v3, s[12:13]
	v_cndmask_b32_e64 v25, v4, v2, s[12:13]
	v_cndmask_b32_e64 v28, v1, v5, s[12:13]
	v_cndmask_b32_e64 v29, v0, v4, s[12:13]
	s_and_saveexec_b64 s[26:27], vcc
	s_cbranch_execz .LBB1483_730
; %bb.720:
	v_cmp_lt_u32_e32 vcc, v8, v22
	s_mov_b64 s[6:7], 0
	s_and_saveexec_b64 s[14:15], vcc
	s_cbranch_execz .LBB1483_729
; %bb.721:
	s_andn2_b64 vcc, exec, s[22:23]
	s_cbranch_vccnz .LBB1483_727
; %bb.722:
	v_mul_lo_u32 v6, v24, s16
	v_mul_lo_u32 v7, v25, s17
	v_mad_u64_u32 v[4:5], s[6:7], v25, s16, 0
	v_add3_u32 v5, v5, v7, v6
	v_lshlrev_b64 v[4:5], 2, v[4:5]
	v_mov_b32_e32 v6, s19
	v_add_co_u32_e32 v4, vcc, s18, v4
	v_addc_co_u32_e32 v5, vcc, v6, v5, vcc
	v_mul_lo_u32 v10, v28, s16
	v_mul_lo_u32 v11, v29, s17
	v_mad_u64_u32 v[6:7], s[6:7], v29, s16, 0
	v_add3_u32 v7, v7, v11, v10
	v_lshlrev_b64 v[6:7], 2, v[6:7]
	v_mov_b32_e32 v10, s19
	v_add_co_u32_e32 v6, vcc, s18, v6
	v_addc_co_u32_e32 v7, vcc, v10, v7, vcc
	s_mov_b64 s[28:29], 0
	s_mov_b64 s[38:39], s[16:17]
                                        ; implicit-def: $sgpr30_sgpr31
                                        ; implicit-def: $sgpr34_sgpr35
                                        ; implicit-def: $sgpr6_sgpr7
                                        ; implicit-def: $sgpr36_sgpr37
                                        ; implicit-def: $sgpr40_sgpr41
	s_branch .LBB1483_724
.LBB1483_723:                           ;   in Loop: Header=BB1483_724 Depth=1
	s_or_b64 exec, exec, s[42:43]
	s_and_b64 s[8:9], exec, s[34:35]
	s_or_b64 s[28:29], s[8:9], s[28:29]
	s_andn2_b64 s[8:9], s[40:41], exec
	s_and_b64 s[40:41], s[36:37], exec
	s_or_b64 s[40:41], s[8:9], s[40:41]
	s_andn2_b64 s[8:9], s[30:31], exec
	s_and_b64 s[30:31], s[6:7], exec
	s_or_b64 s[30:31], s[8:9], s[30:31]
	s_andn2_b64 exec, exec, s[28:29]
	s_cbranch_execz .LBB1483_726
.LBB1483_724:                           ; =>This Inner Loop Header: Depth=1
	global_load_dword v10, v[4:5], off
	global_load_dword v11, v[6:7], off
	s_andn2_b64 s[42:43], s[6:7], exec
	s_andn2_b64 s[36:37], s[36:37], exec
	s_or_b64 s[34:35], s[34:35], exec
	s_waitcnt vmcnt(0)
	v_cmp_le_u32_e64 s[6:7], v10, v11
	v_cmp_lt_u32_e32 vcc, v10, v11
	s_and_b64 s[6:7], s[6:7], s[40:41]
	s_or_b64 s[44:45], vcc, s[6:7]
	s_and_b64 s[6:7], s[44:45], exec
	v_cmp_eq_u32_e64 s[8:9], v10, v11
	s_or_b64 s[6:7], s[42:43], s[6:7]
	s_and_saveexec_b64 s[42:43], s[8:9]
	s_cbranch_execz .LBB1483_723
; %bb.725:                              ;   in Loop: Header=BB1483_724 Depth=1
	s_add_u32 s38, s38, -1
	s_addc_u32 s39, s39, -1
	v_add_co_u32_e32 v4, vcc, 4, v4
	s_cmp_eq_u64 s[38:39], 0
	v_addc_co_u32_e32 v5, vcc, 0, v5, vcc
	s_cselect_b64 s[8:9], -1, 0
	v_add_co_u32_e32 v6, vcc, 4, v6
	s_andn2_b64 s[36:37], s[36:37], exec
	s_and_b64 s[40:41], s[44:45], exec
	s_andn2_b64 s[34:35], s[34:35], exec
	s_and_b64 s[8:9], s[8:9], exec
	v_addc_co_u32_e32 v7, vcc, 0, v7, vcc
	s_or_b64 s[36:37], s[36:37], s[40:41]
	s_andn2_b64 s[6:7], s[6:7], exec
	s_or_b64 s[34:35], s[34:35], s[8:9]
                                        ; implicit-def: $sgpr40_sgpr41
	s_branch .LBB1483_723
.LBB1483_726:
	s_or_b64 exec, exec, s[28:29]
	s_xor_b64 s[6:7], s[30:31], -1
	s_branch .LBB1483_728
.LBB1483_727:
	s_mov_b64 s[6:7], -1
.LBB1483_728:
	s_and_b64 s[6:7], s[6:7], exec
.LBB1483_729:
	s_or_b64 exec, exec, s[14:15]
	s_orn2_b64 s[14:15], s[6:7], exec
.LBB1483_730:
	s_or_b64 exec, exec, s[26:27]
	v_cndmask_b32_e64 v4, v9, v8, s[14:15]
	v_cndmask_b32_e64 v5, v23, v22, s[14:15]
	v_add_u32_e32 v6, 1, v4
	v_add_u32_e32 v4, -1, v5
	v_min_u32_e32 v4, v6, v4
	v_lshl_add_u32 v4, v4, 3, v18
	ds_read_b64 v[4:5], v4
	v_cndmask_b32_e64 v9, v6, v9, s[14:15]
	v_cndmask_b32_e64 v8, v8, v6, s[14:15]
	v_cmp_lt_u32_e32 vcc, v9, v23
	s_mov_b64 s[26:27], -1
	s_waitcnt lgkmcnt(0)
	v_cndmask_b32_e64 v30, v5, v24, s[14:15]
	v_cndmask_b32_e64 v31, v4, v25, s[14:15]
	;; [unrolled: 1-line block ×4, first 2 shown]
	s_and_saveexec_b64 s[28:29], vcc
	s_cbranch_execz .LBB1483_741
; %bb.731:
	v_cmp_lt_u32_e32 vcc, v8, v22
	s_mov_b64 s[6:7], 0
	s_and_saveexec_b64 s[26:27], vcc
	s_cbranch_execz .LBB1483_740
; %bb.732:
	s_andn2_b64 vcc, exec, s[22:23]
	s_cbranch_vccnz .LBB1483_738
; %bb.733:
	v_mul_lo_u32 v6, v30, s16
	v_mul_lo_u32 v7, v31, s17
	v_mad_u64_u32 v[4:5], s[6:7], v31, s16, 0
	v_add3_u32 v5, v5, v7, v6
	v_lshlrev_b64 v[4:5], 2, v[4:5]
	v_mov_b32_e32 v6, s19
	v_add_co_u32_e32 v4, vcc, s18, v4
	v_addc_co_u32_e32 v5, vcc, v6, v5, vcc
	v_mul_lo_u32 v10, v32, s16
	v_mul_lo_u32 v11, v33, s17
	v_mad_u64_u32 v[6:7], s[6:7], v33, s16, 0
	v_add3_u32 v7, v7, v11, v10
	v_lshlrev_b64 v[6:7], 2, v[6:7]
	v_mov_b32_e32 v10, s19
	v_add_co_u32_e32 v6, vcc, s18, v6
	v_addc_co_u32_e32 v7, vcc, v10, v7, vcc
	s_mov_b64 s[30:31], 0
	s_mov_b64 s[40:41], s[16:17]
                                        ; implicit-def: $sgpr34_sgpr35
                                        ; implicit-def: $sgpr36_sgpr37
                                        ; implicit-def: $sgpr6_sgpr7
                                        ; implicit-def: $sgpr38_sgpr39
                                        ; implicit-def: $sgpr42_sgpr43
	s_branch .LBB1483_735
.LBB1483_734:                           ;   in Loop: Header=BB1483_735 Depth=1
	s_or_b64 exec, exec, s[44:45]
	s_and_b64 s[8:9], exec, s[36:37]
	s_or_b64 s[30:31], s[8:9], s[30:31]
	s_andn2_b64 s[8:9], s[42:43], exec
	s_and_b64 s[42:43], s[38:39], exec
	s_or_b64 s[42:43], s[8:9], s[42:43]
	s_andn2_b64 s[8:9], s[34:35], exec
	s_and_b64 s[34:35], s[6:7], exec
	s_or_b64 s[34:35], s[8:9], s[34:35]
	s_andn2_b64 exec, exec, s[30:31]
	s_cbranch_execz .LBB1483_737
.LBB1483_735:                           ; =>This Inner Loop Header: Depth=1
	global_load_dword v10, v[4:5], off
	global_load_dword v11, v[6:7], off
	s_andn2_b64 s[44:45], s[6:7], exec
	s_andn2_b64 s[38:39], s[38:39], exec
	s_or_b64 s[36:37], s[36:37], exec
	s_waitcnt vmcnt(0)
	v_cmp_le_u32_e64 s[6:7], v10, v11
	v_cmp_lt_u32_e32 vcc, v10, v11
	s_and_b64 s[6:7], s[6:7], s[42:43]
	s_or_b64 s[46:47], vcc, s[6:7]
	s_and_b64 s[6:7], s[46:47], exec
	v_cmp_eq_u32_e64 s[8:9], v10, v11
	s_or_b64 s[6:7], s[44:45], s[6:7]
	s_and_saveexec_b64 s[44:45], s[8:9]
	s_cbranch_execz .LBB1483_734
; %bb.736:                              ;   in Loop: Header=BB1483_735 Depth=1
	s_add_u32 s40, s40, -1
	s_addc_u32 s41, s41, -1
	v_add_co_u32_e32 v4, vcc, 4, v4
	s_cmp_eq_u64 s[40:41], 0
	v_addc_co_u32_e32 v5, vcc, 0, v5, vcc
	s_cselect_b64 s[8:9], -1, 0
	v_add_co_u32_e32 v6, vcc, 4, v6
	s_andn2_b64 s[38:39], s[38:39], exec
	s_and_b64 s[42:43], s[46:47], exec
	s_andn2_b64 s[36:37], s[36:37], exec
	s_and_b64 s[8:9], s[8:9], exec
	v_addc_co_u32_e32 v7, vcc, 0, v7, vcc
	s_or_b64 s[38:39], s[38:39], s[42:43]
	s_andn2_b64 s[6:7], s[6:7], exec
	s_or_b64 s[36:37], s[36:37], s[8:9]
                                        ; implicit-def: $sgpr42_sgpr43
	s_branch .LBB1483_734
.LBB1483_737:
	s_or_b64 exec, exec, s[30:31]
	s_xor_b64 s[6:7], s[34:35], -1
	s_branch .LBB1483_739
.LBB1483_738:
	s_mov_b64 s[6:7], -1
.LBB1483_739:
	s_and_b64 s[6:7], s[6:7], exec
.LBB1483_740:
	s_or_b64 exec, exec, s[26:27]
	s_orn2_b64 s[26:27], s[6:7], exec
.LBB1483_741:
	s_or_b64 exec, exec, s[28:29]
	v_cndmask_b32_e64 v4, v9, v8, s[26:27]
	v_cndmask_b32_e64 v5, v23, v22, s[26:27]
	v_add_u32_e32 v10, 1, v4
	v_add_u32_e32 v4, -1, v5
	v_min_u32_e32 v4, v10, v4
	v_lshl_add_u32 v4, v4, 3, v18
	ds_read_b64 v[4:5], v4
	v_cndmask_b32_e64 v9, v10, v9, s[26:27]
	v_cmp_lt_u32_e32 vcc, v9, v23
	s_waitcnt lgkmcnt(0)
	v_cndmask_b32_e64 v7, v32, v5, s[26:27]
	v_cndmask_b32_e64 v6, v33, v4, s[26:27]
	s_and_saveexec_b64 s[28:29], vcc
	s_cbranch_execz .LBB1483_751
; %bb.742:
	v_cndmask_b32_e64 v8, v8, v10, s[26:27]
	v_cndmask_b32_e64 v5, v5, v30, s[26:27]
	v_cndmask_b32_e64 v4, v4, v31, s[26:27]
	v_cmp_lt_u32_e32 vcc, v8, v22
	s_and_saveexec_b64 s[30:31], vcc
	s_cbranch_execz .LBB1483_750
; %bb.743:
	s_andn2_b64 vcc, exec, s[22:23]
	s_cbranch_vccnz .LBB1483_749
; %bb.744:
	v_mul_lo_u32 v10, v5, s16
	v_mul_lo_u32 v11, v4, s17
	v_mad_u64_u32 v[8:9], s[6:7], v4, s16, 0
	v_add3_u32 v9, v9, v11, v10
	v_lshlrev_b64 v[8:9], 2, v[8:9]
	v_mov_b32_e32 v10, s19
	v_add_co_u32_e32 v8, vcc, s18, v8
	v_addc_co_u32_e32 v9, vcc, v10, v9, vcc
	v_mul_lo_u32 v22, v7, s16
	v_mul_lo_u32 v23, v6, s17
	v_mad_u64_u32 v[10:11], s[6:7], v6, s16, 0
	v_add3_u32 v11, v11, v23, v22
	v_lshlrev_b64 v[10:11], 2, v[10:11]
	v_mov_b32_e32 v22, s19
	v_add_co_u32_e32 v10, vcc, s18, v10
	v_addc_co_u32_e32 v11, vcc, v22, v11, vcc
	s_mov_b64 s[34:35], 0
	s_mov_b64 s[42:43], s[16:17]
                                        ; implicit-def: $sgpr36_sgpr37
                                        ; implicit-def: $sgpr38_sgpr39
                                        ; implicit-def: $sgpr6_sgpr7
                                        ; implicit-def: $sgpr40_sgpr41
                                        ; implicit-def: $sgpr44_sgpr45
	s_branch .LBB1483_746
.LBB1483_745:                           ;   in Loop: Header=BB1483_746 Depth=1
	s_or_b64 exec, exec, s[46:47]
	s_and_b64 s[8:9], exec, s[38:39]
	s_or_b64 s[34:35], s[8:9], s[34:35]
	s_andn2_b64 s[8:9], s[44:45], exec
	s_and_b64 s[44:45], s[40:41], exec
	s_or_b64 s[44:45], s[8:9], s[44:45]
	s_andn2_b64 s[8:9], s[36:37], exec
	s_and_b64 s[36:37], s[6:7], exec
	s_or_b64 s[36:37], s[8:9], s[36:37]
	s_andn2_b64 exec, exec, s[34:35]
	s_cbranch_execz .LBB1483_748
.LBB1483_746:                           ; =>This Inner Loop Header: Depth=1
	global_load_dword v22, v[8:9], off
	global_load_dword v23, v[10:11], off
	s_andn2_b64 s[46:47], s[6:7], exec
	s_andn2_b64 s[40:41], s[40:41], exec
	s_or_b64 s[38:39], s[38:39], exec
	s_waitcnt vmcnt(0)
	v_cmp_le_u32_e64 s[6:7], v22, v23
	v_cmp_lt_u32_e32 vcc, v22, v23
	s_and_b64 s[6:7], s[6:7], s[44:45]
	s_or_b64 s[48:49], vcc, s[6:7]
	s_and_b64 s[6:7], s[48:49], exec
	v_cmp_eq_u32_e64 s[8:9], v22, v23
	s_or_b64 s[6:7], s[46:47], s[6:7]
	s_and_saveexec_b64 s[46:47], s[8:9]
	s_cbranch_execz .LBB1483_745
; %bb.747:                              ;   in Loop: Header=BB1483_746 Depth=1
	s_add_u32 s42, s42, -1
	s_addc_u32 s43, s43, -1
	v_add_co_u32_e32 v8, vcc, 4, v8
	s_cmp_eq_u64 s[42:43], 0
	v_addc_co_u32_e32 v9, vcc, 0, v9, vcc
	s_cselect_b64 s[8:9], -1, 0
	v_add_co_u32_e32 v10, vcc, 4, v10
	s_andn2_b64 s[40:41], s[40:41], exec
	s_and_b64 s[44:45], s[48:49], exec
	s_andn2_b64 s[38:39], s[38:39], exec
	s_and_b64 s[8:9], s[8:9], exec
	v_addc_co_u32_e32 v11, vcc, 0, v11, vcc
	s_or_b64 s[40:41], s[40:41], s[44:45]
	s_andn2_b64 s[6:7], s[6:7], exec
	s_or_b64 s[38:39], s[38:39], s[8:9]
                                        ; implicit-def: $sgpr44_sgpr45
	s_branch .LBB1483_745
.LBB1483_748:
	s_or_b64 exec, exec, s[34:35]
	v_cndmask_b32_e64 v7, v7, v5, s[36:37]
	v_cndmask_b32_e64 v6, v6, v4, s[36:37]
.LBB1483_749:
	v_pk_mov_b32 v[4:5], v[6:7], v[6:7] op_sel:[0,1]
.LBB1483_750:
	s_or_b64 exec, exec, s[30:31]
	v_pk_mov_b32 v[6:7], v[4:5], v[4:5] op_sel:[0,1]
.LBB1483_751:
	s_or_b64 exec, exec, s[28:29]
	v_cndmask_b32_e64 v1, v3, v1, s[12:13]
	v_cndmask_b32_e64 v0, v2, v0, s[12:13]
	;; [unrolled: 1-line block ×6, first 2 shown]
.LBB1483_752:
	s_or_b64 exec, exec, s[10:11]
	v_and_b32_e32 v23, 0x1c0, v20
	v_or_b32_e32 v8, 32, v23
	; wave barrier
	ds_write_b128 v21, v[0:3]
	ds_write_b128 v21, v[4:7] offset:16
	v_min_u32_e32 v21, v19, v8
	v_add_u32_e32 v8, 32, v21
	v_min_u32_e32 v22, v19, v8
	v_and_b32_e32 v8, 60, v20
	v_min_u32_e32 v24, v19, v8
	v_sub_u32_e32 v8, v21, v23
	v_sub_u32_e32 v9, v22, v21
	v_sub_u32_e64 v20, v24, v9 clamp
	v_min_u32_e32 v25, v24, v8
	v_lshl_add_u32 v19, v23, 3, v18
	v_cmp_lt_u32_e32 vcc, v20, v25
	; wave barrier
	s_and_saveexec_b64 s[12:13], vcc
	s_cbranch_execz .LBB1483_762
; %bb.753:
	v_lshlrev_b32_e32 v8, 3, v21
	v_lshlrev_b32_e32 v9, 3, v24
	v_add3_u32 v28, v18, v8, v9
	v_cndmask_b32_e64 v8, 0, 1, s[22:23]
	s_lshl_b64 s[26:27], s[16:17], 2
	s_mov_b64 s[14:15], 0
	v_cmp_ne_u32_e64 s[6:7], 1, v8
	s_branch .LBB1483_756
.LBB1483_754:                           ;   in Loop: Header=BB1483_756 Depth=1
	s_or_b64 exec, exec, s[30:31]
.LBB1483_755:                           ;   in Loop: Header=BB1483_756 Depth=1
	v_add_u32_e32 v8, 1, v29
	v_cndmask_b32_e64 v25, v25, v29, s[28:29]
	v_cndmask_b32_e64 v20, v8, v20, s[28:29]
	v_cmp_ge_u32_e32 vcc, v20, v25
	s_or_b64 s[14:15], vcc, s[14:15]
	s_andn2_b64 exec, exec, s[14:15]
	s_cbranch_execz .LBB1483_761
.LBB1483_756:                           ; =>This Loop Header: Depth=1
                                        ;     Child Loop BB1483_759 Depth 2
	v_add_u32_e32 v8, v25, v20
	v_lshrrev_b32_e32 v29, 1, v8
	s_and_b64 vcc, exec, s[6:7]
	s_mov_b64 s[28:29], 0
	s_cbranch_vccnz .LBB1483_755
; %bb.757:                              ;   in Loop: Header=BB1483_756 Depth=1
	v_not_b32_e32 v8, v29
	v_lshl_add_u32 v8, v8, 3, v28
	ds_read_b64 v[8:9], v8
	v_lshl_add_u32 v30, v29, 3, v19
	ds_read_b64 v[30:31], v30
	v_pk_mov_b32 v[10:11], s[18:19], s[18:19] op_sel:[0,1]
	s_mov_b64 s[30:31], 0
	s_waitcnt lgkmcnt(1)
	v_mul_lo_u32 v32, s26, v9
	v_mul_lo_u32 v33, s27, v8
	v_mad_u64_u32 v[8:9], s[8:9], s26, v8, v[10:11]
	v_add3_u32 v9, v33, v9, v32
	s_waitcnt lgkmcnt(0)
	v_mul_lo_u32 v31, s26, v31
	v_mul_lo_u32 v32, s27, v30
	v_mad_u64_u32 v[10:11], s[8:9], s26, v30, v[10:11]
	v_add3_u32 v11, v32, v11, v31
	s_mov_b64 s[38:39], s[16:17]
                                        ; implicit-def: $sgpr28_sgpr29
                                        ; implicit-def: $sgpr34_sgpr35
                                        ; implicit-def: $sgpr36_sgpr37
                                        ; implicit-def: $sgpr8_sgpr9
                                        ; implicit-def: $sgpr40_sgpr41
	s_branch .LBB1483_759
.LBB1483_758:                           ;   in Loop: Header=BB1483_759 Depth=2
	s_or_b64 exec, exec, s[42:43]
	s_and_b64 s[10:11], exec, s[34:35]
	s_or_b64 s[30:31], s[10:11], s[30:31]
	s_andn2_b64 s[10:11], s[40:41], exec
	s_and_b64 s[40:41], s[36:37], exec
	s_or_b64 s[40:41], s[10:11], s[40:41]
	s_andn2_b64 s[10:11], s[28:29], exec
	s_and_b64 s[28:29], s[8:9], exec
	s_or_b64 s[28:29], s[10:11], s[28:29]
	s_andn2_b64 exec, exec, s[30:31]
	s_cbranch_execz .LBB1483_754
.LBB1483_759:                           ;   Parent Loop BB1483_756 Depth=1
                                        ; =>  This Inner Loop Header: Depth=2
	global_load_dword v30, v[8:9], off
	global_load_dword v31, v[10:11], off
	s_andn2_b64 s[42:43], s[8:9], exec
	s_andn2_b64 s[36:37], s[36:37], exec
	s_or_b64 s[34:35], s[34:35], exec
	s_waitcnt vmcnt(0)
	v_cmp_le_u32_e64 s[8:9], v30, v31
	v_cmp_lt_u32_e32 vcc, v30, v31
	s_and_b64 s[8:9], s[8:9], s[40:41]
	s_or_b64 s[44:45], vcc, s[8:9]
	s_and_b64 s[8:9], s[44:45], exec
	v_cmp_eq_u32_e64 s[10:11], v30, v31
	s_or_b64 s[8:9], s[42:43], s[8:9]
	s_and_saveexec_b64 s[42:43], s[10:11]
	s_cbranch_execz .LBB1483_758
; %bb.760:                              ;   in Loop: Header=BB1483_759 Depth=2
	s_add_u32 s38, s38, -1
	s_addc_u32 s39, s39, -1
	v_add_co_u32_e32 v8, vcc, 4, v8
	s_cmp_eq_u64 s[38:39], 0
	v_addc_co_u32_e32 v9, vcc, 0, v9, vcc
	s_cselect_b64 s[10:11], -1, 0
	v_add_co_u32_e32 v10, vcc, 4, v10
	s_andn2_b64 s[36:37], s[36:37], exec
	s_and_b64 s[40:41], s[44:45], exec
	s_andn2_b64 s[34:35], s[34:35], exec
	s_and_b64 s[10:11], s[10:11], exec
	v_addc_co_u32_e32 v11, vcc, 0, v11, vcc
	s_andn2_b64 s[8:9], s[8:9], exec
	s_or_b64 s[36:37], s[36:37], s[40:41]
	s_or_b64 s[34:35], s[34:35], s[10:11]
                                        ; implicit-def: $sgpr40_sgpr41
	s_branch .LBB1483_758
.LBB1483_761:
	s_or_b64 exec, exec, s[14:15]
.LBB1483_762:
	s_or_b64 exec, exec, s[12:13]
	v_add_u32_e32 v9, v21, v24
	v_add_u32_e32 v8, v20, v23
	v_sub_u32_e32 v9, v9, v20
	v_cmp_le_u32_e32 vcc, v8, v21
	v_cmp_le_u32_e64 s[6:7], v9, v22
	s_or_b64 s[6:7], vcc, s[6:7]
	s_and_saveexec_b64 s[10:11], s[6:7]
	s_cbranch_execz .LBB1483_809
; %bb.763:
	v_cmp_ge_u32_e32 vcc, v8, v21
	v_cmp_lt_u32_e64 s[6:7], v8, v21
                                        ; implicit-def: $vgpr0_vgpr1
	s_and_saveexec_b64 s[8:9], s[6:7]
	s_cbranch_execz .LBB1483_765
; %bb.764:
	v_lshl_add_u32 v0, v20, 3, v19
	ds_read_b64 v[0:1], v0
.LBB1483_765:
	s_or_b64 exec, exec, s[8:9]
	v_cmp_ge_u32_e64 s[12:13], v9, v22
	v_cmp_lt_u32_e64 s[6:7], v9, v22
                                        ; implicit-def: $vgpr2_vgpr3
	s_and_saveexec_b64 s[8:9], s[6:7]
	s_cbranch_execz .LBB1483_767
; %bb.766:
	v_lshl_add_u32 v2, v9, 3, v18
	ds_read_b64 v[2:3], v2
.LBB1483_767:
	s_or_b64 exec, exec, s[8:9]
	s_or_b64 s[6:7], vcc, s[12:13]
	s_mov_b64 s[14:15], -1
	s_xor_b64 s[6:7], s[6:7], -1
	s_and_saveexec_b64 s[26:27], s[6:7]
	s_cbranch_execz .LBB1483_776
; %bb.768:
	s_andn2_b64 vcc, exec, s[22:23]
	s_cbranch_vccnz .LBB1483_774
; %bb.769:
	s_waitcnt lgkmcnt(0)
	v_mul_lo_u32 v6, v3, s16
	v_mul_lo_u32 v7, v2, s17
	v_mad_u64_u32 v[4:5], s[6:7], v2, s16, 0
	v_add3_u32 v5, v5, v7, v6
	v_lshlrev_b64 v[4:5], 2, v[4:5]
	v_mov_b32_e32 v6, s19
	v_add_co_u32_e32 v4, vcc, s18, v4
	v_addc_co_u32_e32 v5, vcc, v6, v5, vcc
	v_mul_lo_u32 v10, v1, s16
	v_mul_lo_u32 v11, v0, s17
	v_mad_u64_u32 v[6:7], s[6:7], v0, s16, 0
	v_add3_u32 v7, v7, v11, v10
	v_lshlrev_b64 v[6:7], 2, v[6:7]
	v_mov_b32_e32 v10, s19
	v_add_co_u32_e32 v6, vcc, s18, v6
	v_addc_co_u32_e32 v7, vcc, v10, v7, vcc
	s_mov_b64 s[28:29], 0
	s_mov_b64 s[38:39], s[16:17]
                                        ; implicit-def: $sgpr30_sgpr31
                                        ; implicit-def: $sgpr34_sgpr35
                                        ; implicit-def: $sgpr6_sgpr7
                                        ; implicit-def: $sgpr36_sgpr37
                                        ; implicit-def: $sgpr40_sgpr41
	s_branch .LBB1483_771
.LBB1483_770:                           ;   in Loop: Header=BB1483_771 Depth=1
	s_or_b64 exec, exec, s[42:43]
	s_and_b64 s[8:9], exec, s[34:35]
	s_or_b64 s[28:29], s[8:9], s[28:29]
	s_andn2_b64 s[8:9], s[40:41], exec
	s_and_b64 s[40:41], s[36:37], exec
	s_or_b64 s[40:41], s[8:9], s[40:41]
	s_andn2_b64 s[8:9], s[30:31], exec
	s_and_b64 s[30:31], s[6:7], exec
	s_or_b64 s[30:31], s[8:9], s[30:31]
	s_andn2_b64 exec, exec, s[28:29]
	s_cbranch_execz .LBB1483_773
.LBB1483_771:                           ; =>This Inner Loop Header: Depth=1
	global_load_dword v10, v[4:5], off
	global_load_dword v11, v[6:7], off
	s_andn2_b64 s[42:43], s[6:7], exec
	s_andn2_b64 s[36:37], s[36:37], exec
	s_or_b64 s[34:35], s[34:35], exec
	s_waitcnt vmcnt(0)
	v_cmp_le_u32_e64 s[6:7], v10, v11
	v_cmp_lt_u32_e32 vcc, v10, v11
	s_and_b64 s[6:7], s[6:7], s[40:41]
	s_or_b64 s[44:45], vcc, s[6:7]
	s_and_b64 s[6:7], s[44:45], exec
	v_cmp_eq_u32_e64 s[8:9], v10, v11
	s_or_b64 s[6:7], s[42:43], s[6:7]
	s_and_saveexec_b64 s[42:43], s[8:9]
	s_cbranch_execz .LBB1483_770
; %bb.772:                              ;   in Loop: Header=BB1483_771 Depth=1
	s_add_u32 s38, s38, -1
	s_addc_u32 s39, s39, -1
	v_add_co_u32_e32 v4, vcc, 4, v4
	s_cmp_eq_u64 s[38:39], 0
	v_addc_co_u32_e32 v5, vcc, 0, v5, vcc
	s_cselect_b64 s[8:9], -1, 0
	v_add_co_u32_e32 v6, vcc, 4, v6
	s_andn2_b64 s[36:37], s[36:37], exec
	s_and_b64 s[40:41], s[44:45], exec
	s_andn2_b64 s[34:35], s[34:35], exec
	s_and_b64 s[8:9], s[8:9], exec
	v_addc_co_u32_e32 v7, vcc, 0, v7, vcc
	s_or_b64 s[36:37], s[36:37], s[40:41]
	s_andn2_b64 s[6:7], s[6:7], exec
	s_or_b64 s[34:35], s[34:35], s[8:9]
                                        ; implicit-def: $sgpr40_sgpr41
	s_branch .LBB1483_770
.LBB1483_773:
	s_or_b64 exec, exec, s[28:29]
	s_xor_b64 s[6:7], s[30:31], -1
	s_branch .LBB1483_775
.LBB1483_774:
	s_mov_b64 s[6:7], -1
.LBB1483_775:
	s_andn2_b64 s[8:9], s[12:13], exec
	s_and_b64 s[6:7], s[6:7], exec
	s_or_b64 s[12:13], s[8:9], s[6:7]
.LBB1483_776:
	s_or_b64 exec, exec, s[26:27]
	v_cndmask_b32_e64 v4, v9, v8, s[12:13]
	v_cndmask_b32_e64 v5, v22, v21, s[12:13]
	v_add_u32_e32 v6, 1, v4
	v_add_u32_e32 v4, -1, v5
	v_min_u32_e32 v4, v6, v4
	v_lshl_add_u32 v4, v4, 3, v18
	ds_read_b64 v[4:5], v4
	v_cndmask_b32_e64 v9, v6, v9, s[12:13]
	v_cndmask_b32_e64 v8, v8, v6, s[12:13]
	v_cmp_lt_u32_e32 vcc, v9, v22
	s_waitcnt lgkmcnt(0)
	v_cndmask_b32_e64 v19, v5, v3, s[12:13]
	v_cndmask_b32_e64 v20, v4, v2, s[12:13]
	;; [unrolled: 1-line block ×4, first 2 shown]
	s_and_saveexec_b64 s[26:27], vcc
	s_cbranch_execz .LBB1483_787
; %bb.777:
	v_cmp_lt_u32_e32 vcc, v8, v21
	s_mov_b64 s[6:7], 0
	s_and_saveexec_b64 s[14:15], vcc
	s_cbranch_execz .LBB1483_786
; %bb.778:
	s_andn2_b64 vcc, exec, s[22:23]
	s_cbranch_vccnz .LBB1483_784
; %bb.779:
	v_mul_lo_u32 v6, v19, s16
	v_mul_lo_u32 v7, v20, s17
	v_mad_u64_u32 v[4:5], s[6:7], v20, s16, 0
	v_add3_u32 v5, v5, v7, v6
	v_lshlrev_b64 v[4:5], 2, v[4:5]
	v_mov_b32_e32 v6, s19
	v_add_co_u32_e32 v4, vcc, s18, v4
	v_addc_co_u32_e32 v5, vcc, v6, v5, vcc
	v_mul_lo_u32 v10, v23, s16
	v_mul_lo_u32 v11, v24, s17
	v_mad_u64_u32 v[6:7], s[6:7], v24, s16, 0
	v_add3_u32 v7, v7, v11, v10
	v_lshlrev_b64 v[6:7], 2, v[6:7]
	v_mov_b32_e32 v10, s19
	v_add_co_u32_e32 v6, vcc, s18, v6
	v_addc_co_u32_e32 v7, vcc, v10, v7, vcc
	s_mov_b64 s[28:29], 0
	s_mov_b64 s[38:39], s[16:17]
                                        ; implicit-def: $sgpr30_sgpr31
                                        ; implicit-def: $sgpr34_sgpr35
                                        ; implicit-def: $sgpr6_sgpr7
                                        ; implicit-def: $sgpr36_sgpr37
                                        ; implicit-def: $sgpr40_sgpr41
	s_branch .LBB1483_781
.LBB1483_780:                           ;   in Loop: Header=BB1483_781 Depth=1
	s_or_b64 exec, exec, s[42:43]
	s_and_b64 s[8:9], exec, s[34:35]
	s_or_b64 s[28:29], s[8:9], s[28:29]
	s_andn2_b64 s[8:9], s[40:41], exec
	s_and_b64 s[40:41], s[36:37], exec
	s_or_b64 s[40:41], s[8:9], s[40:41]
	s_andn2_b64 s[8:9], s[30:31], exec
	s_and_b64 s[30:31], s[6:7], exec
	s_or_b64 s[30:31], s[8:9], s[30:31]
	s_andn2_b64 exec, exec, s[28:29]
	s_cbranch_execz .LBB1483_783
.LBB1483_781:                           ; =>This Inner Loop Header: Depth=1
	global_load_dword v10, v[4:5], off
	global_load_dword v11, v[6:7], off
	s_andn2_b64 s[42:43], s[6:7], exec
	s_andn2_b64 s[36:37], s[36:37], exec
	s_or_b64 s[34:35], s[34:35], exec
	s_waitcnt vmcnt(0)
	v_cmp_le_u32_e64 s[6:7], v10, v11
	v_cmp_lt_u32_e32 vcc, v10, v11
	s_and_b64 s[6:7], s[6:7], s[40:41]
	s_or_b64 s[44:45], vcc, s[6:7]
	s_and_b64 s[6:7], s[44:45], exec
	v_cmp_eq_u32_e64 s[8:9], v10, v11
	s_or_b64 s[6:7], s[42:43], s[6:7]
	s_and_saveexec_b64 s[42:43], s[8:9]
	s_cbranch_execz .LBB1483_780
; %bb.782:                              ;   in Loop: Header=BB1483_781 Depth=1
	s_add_u32 s38, s38, -1
	s_addc_u32 s39, s39, -1
	v_add_co_u32_e32 v4, vcc, 4, v4
	s_cmp_eq_u64 s[38:39], 0
	v_addc_co_u32_e32 v5, vcc, 0, v5, vcc
	s_cselect_b64 s[8:9], -1, 0
	v_add_co_u32_e32 v6, vcc, 4, v6
	s_andn2_b64 s[36:37], s[36:37], exec
	s_and_b64 s[40:41], s[44:45], exec
	s_andn2_b64 s[34:35], s[34:35], exec
	s_and_b64 s[8:9], s[8:9], exec
	v_addc_co_u32_e32 v7, vcc, 0, v7, vcc
	s_or_b64 s[36:37], s[36:37], s[40:41]
	s_andn2_b64 s[6:7], s[6:7], exec
	s_or_b64 s[34:35], s[34:35], s[8:9]
                                        ; implicit-def: $sgpr40_sgpr41
	s_branch .LBB1483_780
.LBB1483_783:
	s_or_b64 exec, exec, s[28:29]
	s_xor_b64 s[6:7], s[30:31], -1
	s_branch .LBB1483_785
.LBB1483_784:
	s_mov_b64 s[6:7], -1
.LBB1483_785:
	s_and_b64 s[6:7], s[6:7], exec
.LBB1483_786:
	s_or_b64 exec, exec, s[14:15]
	s_orn2_b64 s[14:15], s[6:7], exec
.LBB1483_787:
	s_or_b64 exec, exec, s[26:27]
	v_cndmask_b32_e64 v4, v9, v8, s[14:15]
	v_cndmask_b32_e64 v5, v22, v21, s[14:15]
	v_add_u32_e32 v6, 1, v4
	v_add_u32_e32 v4, -1, v5
	v_min_u32_e32 v4, v6, v4
	v_lshl_add_u32 v4, v4, 3, v18
	ds_read_b64 v[4:5], v4
	v_cndmask_b32_e64 v9, v6, v9, s[14:15]
	v_cndmask_b32_e64 v8, v8, v6, s[14:15]
	v_cmp_lt_u32_e32 vcc, v9, v22
	s_mov_b64 s[26:27], -1
	s_waitcnt lgkmcnt(0)
	v_cndmask_b32_e64 v25, v5, v19, s[14:15]
	v_cndmask_b32_e64 v28, v4, v20, s[14:15]
	;; [unrolled: 1-line block ×4, first 2 shown]
	s_and_saveexec_b64 s[28:29], vcc
	s_cbranch_execz .LBB1483_798
; %bb.788:
	v_cmp_lt_u32_e32 vcc, v8, v21
	s_mov_b64 s[6:7], 0
	s_and_saveexec_b64 s[26:27], vcc
	s_cbranch_execz .LBB1483_797
; %bb.789:
	s_andn2_b64 vcc, exec, s[22:23]
	s_cbranch_vccnz .LBB1483_795
; %bb.790:
	v_mul_lo_u32 v6, v25, s16
	v_mul_lo_u32 v7, v28, s17
	v_mad_u64_u32 v[4:5], s[6:7], v28, s16, 0
	v_add3_u32 v5, v5, v7, v6
	v_lshlrev_b64 v[4:5], 2, v[4:5]
	v_mov_b32_e32 v6, s19
	v_add_co_u32_e32 v4, vcc, s18, v4
	v_addc_co_u32_e32 v5, vcc, v6, v5, vcc
	v_mul_lo_u32 v10, v29, s16
	v_mul_lo_u32 v11, v30, s17
	v_mad_u64_u32 v[6:7], s[6:7], v30, s16, 0
	v_add3_u32 v7, v7, v11, v10
	v_lshlrev_b64 v[6:7], 2, v[6:7]
	v_mov_b32_e32 v10, s19
	v_add_co_u32_e32 v6, vcc, s18, v6
	v_addc_co_u32_e32 v7, vcc, v10, v7, vcc
	s_mov_b64 s[30:31], 0
	s_mov_b64 s[40:41], s[16:17]
                                        ; implicit-def: $sgpr34_sgpr35
                                        ; implicit-def: $sgpr36_sgpr37
                                        ; implicit-def: $sgpr6_sgpr7
                                        ; implicit-def: $sgpr38_sgpr39
                                        ; implicit-def: $sgpr42_sgpr43
	s_branch .LBB1483_792
.LBB1483_791:                           ;   in Loop: Header=BB1483_792 Depth=1
	s_or_b64 exec, exec, s[44:45]
	s_and_b64 s[8:9], exec, s[36:37]
	s_or_b64 s[30:31], s[8:9], s[30:31]
	s_andn2_b64 s[8:9], s[42:43], exec
	s_and_b64 s[42:43], s[38:39], exec
	s_or_b64 s[42:43], s[8:9], s[42:43]
	s_andn2_b64 s[8:9], s[34:35], exec
	s_and_b64 s[34:35], s[6:7], exec
	s_or_b64 s[34:35], s[8:9], s[34:35]
	s_andn2_b64 exec, exec, s[30:31]
	s_cbranch_execz .LBB1483_794
.LBB1483_792:                           ; =>This Inner Loop Header: Depth=1
	global_load_dword v10, v[4:5], off
	global_load_dword v11, v[6:7], off
	s_andn2_b64 s[44:45], s[6:7], exec
	s_andn2_b64 s[38:39], s[38:39], exec
	s_or_b64 s[36:37], s[36:37], exec
	s_waitcnt vmcnt(0)
	v_cmp_le_u32_e64 s[6:7], v10, v11
	v_cmp_lt_u32_e32 vcc, v10, v11
	s_and_b64 s[6:7], s[6:7], s[42:43]
	s_or_b64 s[46:47], vcc, s[6:7]
	s_and_b64 s[6:7], s[46:47], exec
	v_cmp_eq_u32_e64 s[8:9], v10, v11
	s_or_b64 s[6:7], s[44:45], s[6:7]
	s_and_saveexec_b64 s[44:45], s[8:9]
	s_cbranch_execz .LBB1483_791
; %bb.793:                              ;   in Loop: Header=BB1483_792 Depth=1
	s_add_u32 s40, s40, -1
	s_addc_u32 s41, s41, -1
	v_add_co_u32_e32 v4, vcc, 4, v4
	s_cmp_eq_u64 s[40:41], 0
	v_addc_co_u32_e32 v5, vcc, 0, v5, vcc
	s_cselect_b64 s[8:9], -1, 0
	v_add_co_u32_e32 v6, vcc, 4, v6
	s_andn2_b64 s[38:39], s[38:39], exec
	s_and_b64 s[42:43], s[46:47], exec
	s_andn2_b64 s[36:37], s[36:37], exec
	s_and_b64 s[8:9], s[8:9], exec
	v_addc_co_u32_e32 v7, vcc, 0, v7, vcc
	s_or_b64 s[38:39], s[38:39], s[42:43]
	s_andn2_b64 s[6:7], s[6:7], exec
	s_or_b64 s[36:37], s[36:37], s[8:9]
                                        ; implicit-def: $sgpr42_sgpr43
	s_branch .LBB1483_791
.LBB1483_794:
	s_or_b64 exec, exec, s[30:31]
	s_xor_b64 s[6:7], s[34:35], -1
	s_branch .LBB1483_796
.LBB1483_795:
	s_mov_b64 s[6:7], -1
.LBB1483_796:
	s_and_b64 s[6:7], s[6:7], exec
.LBB1483_797:
	s_or_b64 exec, exec, s[26:27]
	s_orn2_b64 s[26:27], s[6:7], exec
.LBB1483_798:
	s_or_b64 exec, exec, s[28:29]
	v_cndmask_b32_e64 v4, v9, v8, s[26:27]
	v_cndmask_b32_e64 v5, v22, v21, s[26:27]
	v_add_u32_e32 v10, 1, v4
	v_add_u32_e32 v4, -1, v5
	v_min_u32_e32 v4, v10, v4
	v_lshl_add_u32 v4, v4, 3, v18
	ds_read_b64 v[4:5], v4
	v_cndmask_b32_e64 v9, v10, v9, s[26:27]
	v_cmp_lt_u32_e32 vcc, v9, v22
	s_waitcnt lgkmcnt(0)
	v_cndmask_b32_e64 v7, v29, v5, s[26:27]
	v_cndmask_b32_e64 v6, v30, v4, s[26:27]
	s_and_saveexec_b64 s[28:29], vcc
	s_cbranch_execz .LBB1483_808
; %bb.799:
	v_cndmask_b32_e64 v8, v8, v10, s[26:27]
	v_cndmask_b32_e64 v5, v5, v25, s[26:27]
	;; [unrolled: 1-line block ×3, first 2 shown]
	v_cmp_lt_u32_e32 vcc, v8, v21
	s_and_saveexec_b64 s[30:31], vcc
	s_cbranch_execz .LBB1483_807
; %bb.800:
	s_andn2_b64 vcc, exec, s[22:23]
	s_cbranch_vccnz .LBB1483_806
; %bb.801:
	v_mul_lo_u32 v10, v5, s16
	v_mul_lo_u32 v11, v4, s17
	v_mad_u64_u32 v[8:9], s[6:7], v4, s16, 0
	v_add3_u32 v9, v9, v11, v10
	v_lshlrev_b64 v[8:9], 2, v[8:9]
	v_mov_b32_e32 v10, s19
	v_add_co_u32_e32 v8, vcc, s18, v8
	v_addc_co_u32_e32 v9, vcc, v10, v9, vcc
	v_mul_lo_u32 v18, v7, s16
	v_mul_lo_u32 v21, v6, s17
	v_mad_u64_u32 v[10:11], s[6:7], v6, s16, 0
	v_add3_u32 v11, v11, v21, v18
	v_lshlrev_b64 v[10:11], 2, v[10:11]
	v_mov_b32_e32 v18, s19
	v_add_co_u32_e32 v10, vcc, s18, v10
	v_addc_co_u32_e32 v11, vcc, v18, v11, vcc
	s_mov_b64 s[34:35], 0
	s_mov_b64 s[42:43], s[16:17]
                                        ; implicit-def: $sgpr36_sgpr37
                                        ; implicit-def: $sgpr38_sgpr39
                                        ; implicit-def: $sgpr6_sgpr7
                                        ; implicit-def: $sgpr40_sgpr41
                                        ; implicit-def: $sgpr44_sgpr45
	s_branch .LBB1483_803
.LBB1483_802:                           ;   in Loop: Header=BB1483_803 Depth=1
	s_or_b64 exec, exec, s[46:47]
	s_and_b64 s[8:9], exec, s[38:39]
	s_or_b64 s[34:35], s[8:9], s[34:35]
	s_andn2_b64 s[8:9], s[44:45], exec
	s_and_b64 s[44:45], s[40:41], exec
	s_or_b64 s[44:45], s[8:9], s[44:45]
	s_andn2_b64 s[8:9], s[36:37], exec
	s_and_b64 s[36:37], s[6:7], exec
	s_or_b64 s[36:37], s[8:9], s[36:37]
	s_andn2_b64 exec, exec, s[34:35]
	s_cbranch_execz .LBB1483_805
.LBB1483_803:                           ; =>This Inner Loop Header: Depth=1
	global_load_dword v18, v[8:9], off
	global_load_dword v21, v[10:11], off
	s_andn2_b64 s[46:47], s[6:7], exec
	s_andn2_b64 s[40:41], s[40:41], exec
	s_or_b64 s[38:39], s[38:39], exec
	s_waitcnt vmcnt(0)
	v_cmp_le_u32_e64 s[6:7], v18, v21
	v_cmp_lt_u32_e32 vcc, v18, v21
	s_and_b64 s[6:7], s[6:7], s[44:45]
	s_or_b64 s[48:49], vcc, s[6:7]
	s_and_b64 s[6:7], s[48:49], exec
	v_cmp_eq_u32_e64 s[8:9], v18, v21
	s_or_b64 s[6:7], s[46:47], s[6:7]
	s_and_saveexec_b64 s[46:47], s[8:9]
	s_cbranch_execz .LBB1483_802
; %bb.804:                              ;   in Loop: Header=BB1483_803 Depth=1
	s_add_u32 s42, s42, -1
	s_addc_u32 s43, s43, -1
	v_add_co_u32_e32 v8, vcc, 4, v8
	s_cmp_eq_u64 s[42:43], 0
	v_addc_co_u32_e32 v9, vcc, 0, v9, vcc
	s_cselect_b64 s[8:9], -1, 0
	v_add_co_u32_e32 v10, vcc, 4, v10
	s_andn2_b64 s[40:41], s[40:41], exec
	s_and_b64 s[44:45], s[48:49], exec
	s_andn2_b64 s[38:39], s[38:39], exec
	s_and_b64 s[8:9], s[8:9], exec
	v_addc_co_u32_e32 v11, vcc, 0, v11, vcc
	s_or_b64 s[40:41], s[40:41], s[44:45]
	s_andn2_b64 s[6:7], s[6:7], exec
	s_or_b64 s[38:39], s[38:39], s[8:9]
                                        ; implicit-def: $sgpr44_sgpr45
	s_branch .LBB1483_802
.LBB1483_805:
	s_or_b64 exec, exec, s[34:35]
	v_cndmask_b32_e64 v7, v7, v5, s[36:37]
	v_cndmask_b32_e64 v6, v6, v4, s[36:37]
.LBB1483_806:
	v_pk_mov_b32 v[4:5], v[6:7], v[6:7] op_sel:[0,1]
.LBB1483_807:
	s_or_b64 exec, exec, s[30:31]
	v_pk_mov_b32 v[6:7], v[4:5], v[4:5] op_sel:[0,1]
.LBB1483_808:
	s_or_b64 exec, exec, s[28:29]
	v_cndmask_b32_e64 v1, v3, v1, s[12:13]
	v_cndmask_b32_e64 v0, v2, v0, s[12:13]
	;; [unrolled: 1-line block ×6, first 2 shown]
.LBB1483_809:
	s_or_b64 exec, exec, s[10:11]
	s_cmpk_lt_u32 s33, 0x41
	; wave barrier
	s_waitcnt lgkmcnt(0)
	s_barrier
	s_cbranch_scc1 .LBB1483_869
; %bb.810:
	v_cndmask_b32_e64 v8, 0, 1, s[22:23]
	v_lshlrev_b32_e32 v18, 3, v27
	s_lshl_b64 s[12:13], s[16:17], 2
	s_mov_b32 s52, 64
	v_cmp_ne_u32_e64 s[6:7], 1, v8
	s_branch .LBB1483_816
.LBB1483_811:                           ;   in Loop: Header=BB1483_816 Depth=1
	s_or_b64 exec, exec, s[36:37]
	v_cndmask_b32_e64 v7, v7, v5, s[38:39]
	v_cndmask_b32_e64 v6, v6, v4, s[38:39]
.LBB1483_812:                           ;   in Loop: Header=BB1483_816 Depth=1
	v_pk_mov_b32 v[4:5], v[6:7], v[6:7] op_sel:[0,1]
.LBB1483_813:                           ;   in Loop: Header=BB1483_816 Depth=1
	s_or_b64 exec, exec, s[34:35]
	v_pk_mov_b32 v[6:7], v[4:5], v[4:5] op_sel:[0,1]
.LBB1483_814:                           ;   in Loop: Header=BB1483_816 Depth=1
	s_or_b64 exec, exec, s[30:31]
	v_cndmask_b32_e64 v1, v3, v1, s[22:23]
	v_cndmask_b32_e64 v0, v2, v0, s[22:23]
	;; [unrolled: 1-line block ×6, first 2 shown]
.LBB1483_815:                           ;   in Loop: Header=BB1483_816 Depth=1
	s_or_b64 exec, exec, s[14:15]
	s_cmp_lt_u32 s52, s33
	s_barrier
	s_cbranch_scc0 .LBB1483_869
.LBB1483_816:                           ; =>This Loop Header: Depth=1
                                        ;     Child Loop BB1483_820 Depth 2
                                        ;       Child Loop BB1483_823 Depth 3
                                        ;     Child Loop BB1483_835 Depth 2
                                        ;     Child Loop BB1483_845 Depth 2
	;; [unrolled: 1-line block ×4, first 2 shown]
	s_mov_b32 s8, s52
	s_lshl_b32 s52, s52, 1
	s_sub_i32 s10, 0, s52
	v_and_b32_e32 v23, s10, v27
	v_add_u32_e32 v8, s8, v23
	v_min_u32_e32 v19, s33, v8
	s_add_i32 s9, s52, -1
	v_add_u32_e32 v8, s8, v19
	v_min_u32_e32 v20, s33, v8
	v_and_b32_e32 v8, s9, v27
	v_min_u32_e32 v24, s33, v8
	v_sub_u32_e32 v8, v19, v23
	v_sub_u32_e32 v9, v20, v19
	v_sub_u32_e64 v22, v24, v9 clamp
	v_min_u32_e32 v25, v24, v8
	v_lshlrev_b32_e32 v21, 3, v23
	v_cmp_lt_u32_e32 vcc, v22, v25
	ds_write_b128 v18, v[0:3]
	ds_write_b128 v18, v[4:7] offset:16
	s_waitcnt lgkmcnt(0)
	s_barrier
	s_and_saveexec_b64 s[14:15], vcc
	s_cbranch_execz .LBB1483_826
; %bb.817:                              ;   in Loop: Header=BB1483_816 Depth=1
	v_lshlrev_b32_e32 v8, 3, v24
	v_lshl_add_u32 v28, v19, 3, v8
	s_mov_b64 s[22:23], 0
	s_branch .LBB1483_820
.LBB1483_818:                           ;   in Loop: Header=BB1483_820 Depth=2
	s_or_b64 exec, exec, s[28:29]
.LBB1483_819:                           ;   in Loop: Header=BB1483_820 Depth=2
	v_add_u32_e32 v8, 1, v29
	v_cndmask_b32_e64 v25, v25, v29, s[26:27]
	v_cndmask_b32_e64 v22, v8, v22, s[26:27]
	v_cmp_ge_u32_e32 vcc, v22, v25
	s_or_b64 s[22:23], vcc, s[22:23]
	s_andn2_b64 exec, exec, s[22:23]
	s_cbranch_execz .LBB1483_825
.LBB1483_820:                           ;   Parent Loop BB1483_816 Depth=1
                                        ; =>  This Loop Header: Depth=2
                                        ;       Child Loop BB1483_823 Depth 3
	v_add_u32_e32 v8, v25, v22
	v_lshrrev_b32_e32 v29, 1, v8
	s_and_b64 vcc, exec, s[6:7]
	s_mov_b64 s[26:27], 0
	s_cbranch_vccnz .LBB1483_819
; %bb.821:                              ;   in Loop: Header=BB1483_820 Depth=2
	v_not_b32_e32 v8, v29
	v_lshl_add_u32 v8, v8, 3, v28
	ds_read_b64 v[8:9], v8
	v_lshl_add_u32 v30, v29, 3, v21
	ds_read_b64 v[30:31], v30
	v_pk_mov_b32 v[10:11], s[18:19], s[18:19] op_sel:[0,1]
	s_mov_b64 s[28:29], 0
	s_waitcnt lgkmcnt(1)
	v_mul_lo_u32 v32, s12, v9
	v_mul_lo_u32 v33, s13, v8
	v_mad_u64_u32 v[8:9], s[8:9], s12, v8, v[10:11]
	v_add3_u32 v9, v33, v9, v32
	s_waitcnt lgkmcnt(0)
	v_mul_lo_u32 v31, s12, v31
	v_mul_lo_u32 v32, s13, v30
	v_mad_u64_u32 v[10:11], s[8:9], s12, v30, v[10:11]
	v_add3_u32 v11, v32, v11, v31
	s_mov_b64 s[36:37], s[16:17]
                                        ; implicit-def: $sgpr26_sgpr27
                                        ; implicit-def: $sgpr30_sgpr31
                                        ; implicit-def: $sgpr34_sgpr35
                                        ; implicit-def: $sgpr8_sgpr9
                                        ; implicit-def: $sgpr38_sgpr39
	s_branch .LBB1483_823
.LBB1483_822:                           ;   in Loop: Header=BB1483_823 Depth=3
	s_or_b64 exec, exec, s[40:41]
	s_and_b64 s[10:11], exec, s[30:31]
	s_or_b64 s[28:29], s[10:11], s[28:29]
	s_andn2_b64 s[10:11], s[38:39], exec
	s_and_b64 s[38:39], s[34:35], exec
	s_or_b64 s[38:39], s[10:11], s[38:39]
	s_andn2_b64 s[10:11], s[26:27], exec
	s_and_b64 s[26:27], s[8:9], exec
	s_or_b64 s[26:27], s[10:11], s[26:27]
	s_andn2_b64 exec, exec, s[28:29]
	s_cbranch_execz .LBB1483_818
.LBB1483_823:                           ;   Parent Loop BB1483_816 Depth=1
                                        ;     Parent Loop BB1483_820 Depth=2
                                        ; =>    This Inner Loop Header: Depth=3
	global_load_dword v30, v[8:9], off
	global_load_dword v31, v[10:11], off
	s_andn2_b64 s[40:41], s[8:9], exec
	s_andn2_b64 s[34:35], s[34:35], exec
	s_or_b64 s[30:31], s[30:31], exec
	s_waitcnt vmcnt(0)
	v_cmp_le_u32_e64 s[8:9], v30, v31
	v_cmp_lt_u32_e32 vcc, v30, v31
	s_and_b64 s[8:9], s[8:9], s[38:39]
	s_or_b64 s[42:43], vcc, s[8:9]
	s_and_b64 s[8:9], s[42:43], exec
	v_cmp_eq_u32_e64 s[10:11], v30, v31
	s_or_b64 s[8:9], s[40:41], s[8:9]
	s_and_saveexec_b64 s[40:41], s[10:11]
	s_cbranch_execz .LBB1483_822
; %bb.824:                              ;   in Loop: Header=BB1483_823 Depth=3
	s_add_u32 s36, s36, -1
	s_addc_u32 s37, s37, -1
	v_add_co_u32_e32 v8, vcc, 4, v8
	s_cmp_eq_u64 s[36:37], 0
	v_addc_co_u32_e32 v9, vcc, 0, v9, vcc
	s_cselect_b64 s[10:11], -1, 0
	v_add_co_u32_e32 v10, vcc, 4, v10
	s_andn2_b64 s[34:35], s[34:35], exec
	s_and_b64 s[38:39], s[42:43], exec
	s_andn2_b64 s[30:31], s[30:31], exec
	s_and_b64 s[10:11], s[10:11], exec
	v_addc_co_u32_e32 v11, vcc, 0, v11, vcc
	s_andn2_b64 s[8:9], s[8:9], exec
	s_or_b64 s[34:35], s[34:35], s[38:39]
	s_or_b64 s[30:31], s[30:31], s[10:11]
                                        ; implicit-def: $sgpr38_sgpr39
	s_branch .LBB1483_822
.LBB1483_825:                           ;   in Loop: Header=BB1483_816 Depth=1
	s_or_b64 exec, exec, s[22:23]
.LBB1483_826:                           ;   in Loop: Header=BB1483_816 Depth=1
	s_or_b64 exec, exec, s[14:15]
	v_sub_u32_e32 v9, v24, v22
	v_add_u32_e32 v8, v22, v23
	v_add_u32_e32 v9, v9, v19
	v_cmp_le_u32_e32 vcc, v8, v19
	v_cmp_le_u32_e64 s[8:9], v9, v20
	s_or_b64 s[8:9], vcc, s[8:9]
	s_and_saveexec_b64 s[14:15], s[8:9]
	s_cbranch_execz .LBB1483_815
; %bb.827:                              ;   in Loop: Header=BB1483_816 Depth=1
	v_cmp_ge_u32_e32 vcc, v8, v19
	v_cmp_lt_u32_e64 s[8:9], v8, v19
                                        ; implicit-def: $vgpr0_vgpr1
	s_and_saveexec_b64 s[10:11], s[8:9]
	s_cbranch_execz .LBB1483_829
; %bb.828:                              ;   in Loop: Header=BB1483_816 Depth=1
	v_lshl_add_u32 v0, v22, 3, v21
	ds_read_b64 v[0:1], v0
.LBB1483_829:                           ;   in Loop: Header=BB1483_816 Depth=1
	s_or_b64 exec, exec, s[10:11]
	v_cmp_ge_u32_e64 s[22:23], v9, v20
	v_cmp_lt_u32_e64 s[8:9], v9, v20
                                        ; implicit-def: $vgpr2_vgpr3
	s_and_saveexec_b64 s[10:11], s[8:9]
	s_cbranch_execz .LBB1483_831
; %bb.830:                              ;   in Loop: Header=BB1483_816 Depth=1
	v_lshlrev_b32_e32 v2, 3, v9
	ds_read_b64 v[2:3], v2
.LBB1483_831:                           ;   in Loop: Header=BB1483_816 Depth=1
	s_or_b64 exec, exec, s[10:11]
	s_or_b64 s[8:9], vcc, s[22:23]
	s_xor_b64 s[8:9], s[8:9], -1
	s_and_saveexec_b64 s[26:27], s[8:9]
	s_cbranch_execz .LBB1483_840
; %bb.832:                              ;   in Loop: Header=BB1483_816 Depth=1
	s_and_b64 vcc, exec, s[6:7]
	s_cbranch_vccnz .LBB1483_838
; %bb.833:                              ;   in Loop: Header=BB1483_816 Depth=1
	v_pk_mov_b32 v[6:7], s[18:19], s[18:19] op_sel:[0,1]
	s_waitcnt lgkmcnt(0)
	v_mad_u64_u32 v[4:5], s[8:9], s12, v2, v[6:7]
	v_mul_lo_u32 v10, s12, v3
	v_mul_lo_u32 v11, s13, v2
	v_add3_u32 v5, v11, v5, v10
	v_mad_u64_u32 v[6:7], s[8:9], s12, v0, v[6:7]
	v_mul_lo_u32 v10, s12, v1
	v_mul_lo_u32 v11, s13, v0
	v_add3_u32 v7, v11, v7, v10
	s_mov_b64 s[28:29], 0
	s_mov_b64 s[38:39], s[16:17]
                                        ; implicit-def: $sgpr30_sgpr31
                                        ; implicit-def: $sgpr34_sgpr35
                                        ; implicit-def: $sgpr8_sgpr9
                                        ; implicit-def: $sgpr36_sgpr37
                                        ; implicit-def: $sgpr40_sgpr41
	s_branch .LBB1483_835
.LBB1483_834:                           ;   in Loop: Header=BB1483_835 Depth=2
	s_or_b64 exec, exec, s[42:43]
	s_and_b64 s[10:11], exec, s[34:35]
	s_or_b64 s[28:29], s[10:11], s[28:29]
	s_andn2_b64 s[10:11], s[40:41], exec
	s_and_b64 s[40:41], s[36:37], exec
	s_or_b64 s[40:41], s[10:11], s[40:41]
	s_andn2_b64 s[10:11], s[30:31], exec
	s_and_b64 s[30:31], s[8:9], exec
	s_or_b64 s[30:31], s[10:11], s[30:31]
	s_andn2_b64 exec, exec, s[28:29]
	s_cbranch_execz .LBB1483_837
.LBB1483_835:                           ;   Parent Loop BB1483_816 Depth=1
                                        ; =>  This Inner Loop Header: Depth=2
	global_load_dword v10, v[4:5], off
	global_load_dword v11, v[6:7], off
	s_andn2_b64 s[42:43], s[8:9], exec
	s_andn2_b64 s[36:37], s[36:37], exec
	s_or_b64 s[34:35], s[34:35], exec
	s_waitcnt vmcnt(0)
	v_cmp_le_u32_e64 s[8:9], v10, v11
	v_cmp_lt_u32_e32 vcc, v10, v11
	s_and_b64 s[8:9], s[8:9], s[40:41]
	s_or_b64 s[44:45], vcc, s[8:9]
	s_and_b64 s[8:9], s[44:45], exec
	v_cmp_eq_u32_e64 s[10:11], v10, v11
	s_or_b64 s[8:9], s[42:43], s[8:9]
	s_and_saveexec_b64 s[42:43], s[10:11]
	s_cbranch_execz .LBB1483_834
; %bb.836:                              ;   in Loop: Header=BB1483_835 Depth=2
	s_add_u32 s38, s38, -1
	s_addc_u32 s39, s39, -1
	v_add_co_u32_e32 v4, vcc, 4, v4
	s_cmp_eq_u64 s[38:39], 0
	v_addc_co_u32_e32 v5, vcc, 0, v5, vcc
	s_cselect_b64 s[10:11], -1, 0
	v_add_co_u32_e32 v6, vcc, 4, v6
	s_andn2_b64 s[36:37], s[36:37], exec
	s_and_b64 s[40:41], s[44:45], exec
	s_andn2_b64 s[34:35], s[34:35], exec
	s_and_b64 s[10:11], s[10:11], exec
	v_addc_co_u32_e32 v7, vcc, 0, v7, vcc
	s_or_b64 s[36:37], s[36:37], s[40:41]
	s_andn2_b64 s[8:9], s[8:9], exec
	s_or_b64 s[34:35], s[34:35], s[10:11]
                                        ; implicit-def: $sgpr40_sgpr41
	s_branch .LBB1483_834
.LBB1483_837:                           ;   in Loop: Header=BB1483_816 Depth=1
	s_or_b64 exec, exec, s[28:29]
	s_xor_b64 s[8:9], s[30:31], -1
	s_branch .LBB1483_839
.LBB1483_838:                           ;   in Loop: Header=BB1483_816 Depth=1
	s_mov_b64 s[8:9], -1
.LBB1483_839:                           ;   in Loop: Header=BB1483_816 Depth=1
	s_andn2_b64 s[10:11], s[22:23], exec
	s_and_b64 s[8:9], s[8:9], exec
	s_or_b64 s[22:23], s[10:11], s[8:9]
.LBB1483_840:                           ;   in Loop: Header=BB1483_816 Depth=1
	s_or_b64 exec, exec, s[26:27]
	v_cndmask_b32_e64 v4, v9, v8, s[22:23]
	v_cndmask_b32_e64 v5, v20, v19, s[22:23]
	v_add_u32_e32 v6, 1, v4
	v_add_u32_e32 v4, -1, v5
	v_min_u32_e32 v4, v6, v4
	v_lshlrev_b32_e32 v4, 3, v4
	ds_read_b64 v[4:5], v4
	v_cndmask_b32_e64 v9, v6, v9, s[22:23]
	v_cndmask_b32_e64 v8, v8, v6, s[22:23]
	v_cmp_lt_u32_e32 vcc, v9, v20
	s_mov_b64 s[26:27], -1
	s_waitcnt lgkmcnt(0)
	v_cndmask_b32_e64 v21, v5, v3, s[22:23]
	v_cndmask_b32_e64 v22, v4, v2, s[22:23]
	;; [unrolled: 1-line block ×4, first 2 shown]
	s_mov_b64 s[28:29], -1
	s_and_saveexec_b64 s[30:31], vcc
	s_cbranch_execz .LBB1483_851
; %bb.841:                              ;   in Loop: Header=BB1483_816 Depth=1
	v_cmp_lt_u32_e32 vcc, v8, v19
	s_mov_b64 s[8:9], 0
	s_and_saveexec_b64 s[28:29], vcc
	s_cbranch_execz .LBB1483_850
; %bb.842:                              ;   in Loop: Header=BB1483_816 Depth=1
	s_and_b64 vcc, exec, s[6:7]
	s_cbranch_vccnz .LBB1483_848
; %bb.843:                              ;   in Loop: Header=BB1483_816 Depth=1
	v_pk_mov_b32 v[6:7], s[18:19], s[18:19] op_sel:[0,1]
	v_mad_u64_u32 v[4:5], s[8:9], s12, v22, v[6:7]
	v_mul_lo_u32 v10, s12, v21
	v_mul_lo_u32 v11, s13, v22
	v_add3_u32 v5, v11, v5, v10
	v_mad_u64_u32 v[6:7], s[8:9], s12, v24, v[6:7]
	v_mul_lo_u32 v10, s12, v23
	v_mul_lo_u32 v11, s13, v24
	v_add3_u32 v7, v11, v7, v10
	s_mov_b64 s[34:35], 0
	s_mov_b64 s[42:43], s[16:17]
                                        ; implicit-def: $sgpr36_sgpr37
                                        ; implicit-def: $sgpr38_sgpr39
                                        ; implicit-def: $sgpr8_sgpr9
                                        ; implicit-def: $sgpr40_sgpr41
                                        ; implicit-def: $sgpr44_sgpr45
	s_branch .LBB1483_845
.LBB1483_844:                           ;   in Loop: Header=BB1483_845 Depth=2
	s_or_b64 exec, exec, s[46:47]
	s_and_b64 s[10:11], exec, s[38:39]
	s_or_b64 s[34:35], s[10:11], s[34:35]
	s_andn2_b64 s[10:11], s[44:45], exec
	s_and_b64 s[44:45], s[40:41], exec
	s_or_b64 s[44:45], s[10:11], s[44:45]
	s_andn2_b64 s[10:11], s[36:37], exec
	s_and_b64 s[36:37], s[8:9], exec
	s_or_b64 s[36:37], s[10:11], s[36:37]
	s_andn2_b64 exec, exec, s[34:35]
	s_cbranch_execz .LBB1483_847
.LBB1483_845:                           ;   Parent Loop BB1483_816 Depth=1
                                        ; =>  This Inner Loop Header: Depth=2
	global_load_dword v10, v[4:5], off
	global_load_dword v11, v[6:7], off
	s_andn2_b64 s[46:47], s[8:9], exec
	s_andn2_b64 s[40:41], s[40:41], exec
	s_or_b64 s[38:39], s[38:39], exec
	s_waitcnt vmcnt(0)
	v_cmp_le_u32_e64 s[8:9], v10, v11
	v_cmp_lt_u32_e32 vcc, v10, v11
	s_and_b64 s[8:9], s[8:9], s[44:45]
	s_or_b64 s[48:49], vcc, s[8:9]
	s_and_b64 s[8:9], s[48:49], exec
	v_cmp_eq_u32_e64 s[10:11], v10, v11
	s_or_b64 s[8:9], s[46:47], s[8:9]
	s_and_saveexec_b64 s[46:47], s[10:11]
	s_cbranch_execz .LBB1483_844
; %bb.846:                              ;   in Loop: Header=BB1483_845 Depth=2
	s_add_u32 s42, s42, -1
	s_addc_u32 s43, s43, -1
	v_add_co_u32_e32 v4, vcc, 4, v4
	s_cmp_eq_u64 s[42:43], 0
	v_addc_co_u32_e32 v5, vcc, 0, v5, vcc
	s_cselect_b64 s[10:11], -1, 0
	v_add_co_u32_e32 v6, vcc, 4, v6
	s_andn2_b64 s[40:41], s[40:41], exec
	s_and_b64 s[44:45], s[48:49], exec
	s_andn2_b64 s[38:39], s[38:39], exec
	s_and_b64 s[10:11], s[10:11], exec
	v_addc_co_u32_e32 v7, vcc, 0, v7, vcc
	s_or_b64 s[40:41], s[40:41], s[44:45]
	s_andn2_b64 s[8:9], s[8:9], exec
	s_or_b64 s[38:39], s[38:39], s[10:11]
                                        ; implicit-def: $sgpr44_sgpr45
	s_branch .LBB1483_844
.LBB1483_847:                           ;   in Loop: Header=BB1483_816 Depth=1
	s_or_b64 exec, exec, s[34:35]
	s_xor_b64 s[8:9], s[36:37], -1
	s_branch .LBB1483_849
.LBB1483_848:                           ;   in Loop: Header=BB1483_816 Depth=1
	s_mov_b64 s[8:9], -1
.LBB1483_849:                           ;   in Loop: Header=BB1483_816 Depth=1
	s_and_b64 s[8:9], s[8:9], exec
.LBB1483_850:                           ;   in Loop: Header=BB1483_816 Depth=1
	s_or_b64 exec, exec, s[28:29]
	s_orn2_b64 s[28:29], s[8:9], exec
.LBB1483_851:                           ;   in Loop: Header=BB1483_816 Depth=1
	s_or_b64 exec, exec, s[30:31]
	v_cndmask_b32_e64 v4, v9, v8, s[28:29]
	v_cndmask_b32_e64 v5, v20, v19, s[28:29]
	v_add_u32_e32 v6, 1, v4
	v_add_u32_e32 v4, -1, v5
	v_min_u32_e32 v4, v6, v4
	v_lshlrev_b32_e32 v4, 3, v4
	ds_read_b64 v[4:5], v4
	v_cndmask_b32_e64 v9, v6, v9, s[28:29]
	v_cndmask_b32_e64 v8, v8, v6, s[28:29]
	v_cmp_lt_u32_e32 vcc, v9, v20
	s_waitcnt lgkmcnt(0)
	v_cndmask_b32_e64 v25, v5, v21, s[28:29]
	v_cndmask_b32_e64 v28, v4, v22, s[28:29]
	;; [unrolled: 1-line block ×4, first 2 shown]
	s_and_saveexec_b64 s[30:31], vcc
	s_cbranch_execz .LBB1483_862
; %bb.852:                              ;   in Loop: Header=BB1483_816 Depth=1
	v_cmp_lt_u32_e32 vcc, v8, v19
	s_mov_b64 s[8:9], 0
	s_and_saveexec_b64 s[26:27], vcc
	s_cbranch_execz .LBB1483_861
; %bb.853:                              ;   in Loop: Header=BB1483_816 Depth=1
	s_and_b64 vcc, exec, s[6:7]
	s_cbranch_vccnz .LBB1483_859
; %bb.854:                              ;   in Loop: Header=BB1483_816 Depth=1
	v_pk_mov_b32 v[6:7], s[18:19], s[18:19] op_sel:[0,1]
	v_mad_u64_u32 v[4:5], s[8:9], s12, v28, v[6:7]
	v_mul_lo_u32 v10, s12, v25
	v_mul_lo_u32 v11, s13, v28
	v_add3_u32 v5, v11, v5, v10
	v_mad_u64_u32 v[6:7], s[8:9], s12, v30, v[6:7]
	v_mul_lo_u32 v10, s12, v29
	v_mul_lo_u32 v11, s13, v30
	v_add3_u32 v7, v11, v7, v10
	s_mov_b64 s[34:35], 0
	s_mov_b64 s[42:43], s[16:17]
                                        ; implicit-def: $sgpr36_sgpr37
                                        ; implicit-def: $sgpr38_sgpr39
                                        ; implicit-def: $sgpr8_sgpr9
                                        ; implicit-def: $sgpr40_sgpr41
                                        ; implicit-def: $sgpr44_sgpr45
	s_branch .LBB1483_856
.LBB1483_855:                           ;   in Loop: Header=BB1483_856 Depth=2
	s_or_b64 exec, exec, s[46:47]
	s_and_b64 s[10:11], exec, s[38:39]
	s_or_b64 s[34:35], s[10:11], s[34:35]
	s_andn2_b64 s[10:11], s[44:45], exec
	s_and_b64 s[44:45], s[40:41], exec
	s_or_b64 s[44:45], s[10:11], s[44:45]
	s_andn2_b64 s[10:11], s[36:37], exec
	s_and_b64 s[36:37], s[8:9], exec
	s_or_b64 s[36:37], s[10:11], s[36:37]
	s_andn2_b64 exec, exec, s[34:35]
	s_cbranch_execz .LBB1483_858
.LBB1483_856:                           ;   Parent Loop BB1483_816 Depth=1
                                        ; =>  This Inner Loop Header: Depth=2
	global_load_dword v10, v[4:5], off
	global_load_dword v11, v[6:7], off
	s_andn2_b64 s[46:47], s[8:9], exec
	s_andn2_b64 s[40:41], s[40:41], exec
	s_or_b64 s[38:39], s[38:39], exec
	s_waitcnt vmcnt(0)
	v_cmp_le_u32_e64 s[8:9], v10, v11
	v_cmp_lt_u32_e32 vcc, v10, v11
	s_and_b64 s[8:9], s[8:9], s[44:45]
	s_or_b64 s[48:49], vcc, s[8:9]
	s_and_b64 s[8:9], s[48:49], exec
	v_cmp_eq_u32_e64 s[10:11], v10, v11
	s_or_b64 s[8:9], s[46:47], s[8:9]
	s_and_saveexec_b64 s[46:47], s[10:11]
	s_cbranch_execz .LBB1483_855
; %bb.857:                              ;   in Loop: Header=BB1483_856 Depth=2
	s_add_u32 s42, s42, -1
	s_addc_u32 s43, s43, -1
	v_add_co_u32_e32 v4, vcc, 4, v4
	s_cmp_eq_u64 s[42:43], 0
	v_addc_co_u32_e32 v5, vcc, 0, v5, vcc
	s_cselect_b64 s[10:11], -1, 0
	v_add_co_u32_e32 v6, vcc, 4, v6
	s_andn2_b64 s[40:41], s[40:41], exec
	s_and_b64 s[44:45], s[48:49], exec
	s_andn2_b64 s[38:39], s[38:39], exec
	s_and_b64 s[10:11], s[10:11], exec
	v_addc_co_u32_e32 v7, vcc, 0, v7, vcc
	s_or_b64 s[40:41], s[40:41], s[44:45]
	s_andn2_b64 s[8:9], s[8:9], exec
	s_or_b64 s[38:39], s[38:39], s[10:11]
                                        ; implicit-def: $sgpr44_sgpr45
	s_branch .LBB1483_855
.LBB1483_858:                           ;   in Loop: Header=BB1483_816 Depth=1
	s_or_b64 exec, exec, s[34:35]
	s_xor_b64 s[8:9], s[36:37], -1
	s_branch .LBB1483_860
.LBB1483_859:                           ;   in Loop: Header=BB1483_816 Depth=1
	s_mov_b64 s[8:9], -1
.LBB1483_860:                           ;   in Loop: Header=BB1483_816 Depth=1
	s_and_b64 s[8:9], s[8:9], exec
.LBB1483_861:                           ;   in Loop: Header=BB1483_816 Depth=1
	s_or_b64 exec, exec, s[26:27]
	s_orn2_b64 s[26:27], s[8:9], exec
.LBB1483_862:                           ;   in Loop: Header=BB1483_816 Depth=1
	s_or_b64 exec, exec, s[30:31]
	v_cndmask_b32_e64 v4, v9, v8, s[26:27]
	v_cndmask_b32_e64 v5, v20, v19, s[26:27]
	v_add_u32_e32 v10, 1, v4
	v_add_u32_e32 v4, -1, v5
	v_min_u32_e32 v4, v10, v4
	v_lshlrev_b32_e32 v4, 3, v4
	ds_read_b64 v[4:5], v4
	v_cndmask_b32_e64 v9, v10, v9, s[26:27]
	v_cmp_lt_u32_e32 vcc, v9, v20
	s_waitcnt lgkmcnt(0)
	v_cndmask_b32_e64 v7, v29, v5, s[26:27]
	v_cndmask_b32_e64 v6, v30, v4, s[26:27]
	s_and_saveexec_b64 s[30:31], vcc
	s_cbranch_execz .LBB1483_814
; %bb.863:                              ;   in Loop: Header=BB1483_816 Depth=1
	v_cndmask_b32_e64 v8, v8, v10, s[26:27]
	v_cndmask_b32_e64 v5, v5, v25, s[26:27]
	;; [unrolled: 1-line block ×3, first 2 shown]
	v_cmp_lt_u32_e32 vcc, v8, v19
	s_and_saveexec_b64 s[34:35], vcc
	s_cbranch_execz .LBB1483_813
; %bb.864:                              ;   in Loop: Header=BB1483_816 Depth=1
	s_and_b64 vcc, exec, s[6:7]
	s_cbranch_vccnz .LBB1483_812
; %bb.865:                              ;   in Loop: Header=BB1483_816 Depth=1
	v_pk_mov_b32 v[10:11], s[18:19], s[18:19] op_sel:[0,1]
	v_mad_u64_u32 v[8:9], s[8:9], s12, v4, v[10:11]
	v_mul_lo_u32 v19, s12, v5
	v_mul_lo_u32 v20, s13, v4
	v_add3_u32 v9, v20, v9, v19
	v_mad_u64_u32 v[10:11], s[8:9], s12, v6, v[10:11]
	v_mul_lo_u32 v19, s12, v7
	v_mul_lo_u32 v20, s13, v6
	v_add3_u32 v11, v20, v11, v19
	s_mov_b64 s[36:37], 0
	s_mov_b64 s[44:45], s[16:17]
                                        ; implicit-def: $sgpr38_sgpr39
                                        ; implicit-def: $sgpr40_sgpr41
                                        ; implicit-def: $sgpr8_sgpr9
                                        ; implicit-def: $sgpr42_sgpr43
                                        ; implicit-def: $sgpr46_sgpr47
	s_branch .LBB1483_867
.LBB1483_866:                           ;   in Loop: Header=BB1483_867 Depth=2
	s_or_b64 exec, exec, s[48:49]
	s_and_b64 s[10:11], exec, s[40:41]
	s_or_b64 s[36:37], s[10:11], s[36:37]
	s_andn2_b64 s[10:11], s[46:47], exec
	s_and_b64 s[46:47], s[42:43], exec
	s_or_b64 s[46:47], s[10:11], s[46:47]
	s_andn2_b64 s[10:11], s[38:39], exec
	s_and_b64 s[38:39], s[8:9], exec
	s_or_b64 s[38:39], s[10:11], s[38:39]
	s_andn2_b64 exec, exec, s[36:37]
	s_cbranch_execz .LBB1483_811
.LBB1483_867:                           ;   Parent Loop BB1483_816 Depth=1
                                        ; =>  This Inner Loop Header: Depth=2
	global_load_dword v19, v[8:9], off
	global_load_dword v20, v[10:11], off
	s_andn2_b64 s[48:49], s[8:9], exec
	s_andn2_b64 s[42:43], s[42:43], exec
	s_or_b64 s[40:41], s[40:41], exec
	s_waitcnt vmcnt(0)
	v_cmp_le_u32_e64 s[8:9], v19, v20
	v_cmp_lt_u32_e32 vcc, v19, v20
	s_and_b64 s[8:9], s[8:9], s[46:47]
	s_or_b64 s[50:51], vcc, s[8:9]
	s_and_b64 s[8:9], s[50:51], exec
	v_cmp_eq_u32_e64 s[10:11], v19, v20
	s_or_b64 s[8:9], s[48:49], s[8:9]
	s_and_saveexec_b64 s[48:49], s[10:11]
	s_cbranch_execz .LBB1483_866
; %bb.868:                              ;   in Loop: Header=BB1483_867 Depth=2
	s_add_u32 s44, s44, -1
	s_addc_u32 s45, s45, -1
	v_add_co_u32_e32 v8, vcc, 4, v8
	s_cmp_eq_u64 s[44:45], 0
	v_addc_co_u32_e32 v9, vcc, 0, v9, vcc
	s_cselect_b64 s[10:11], -1, 0
	v_add_co_u32_e32 v10, vcc, 4, v10
	s_andn2_b64 s[42:43], s[42:43], exec
	s_and_b64 s[46:47], s[50:51], exec
	s_andn2_b64 s[40:41], s[40:41], exec
	s_and_b64 s[10:11], s[10:11], exec
	v_addc_co_u32_e32 v11, vcc, 0, v11, vcc
	s_or_b64 s[42:43], s[42:43], s[46:47]
	s_andn2_b64 s[8:9], s[8:9], exec
	s_or_b64 s[40:41], s[40:41], s[10:11]
                                        ; implicit-def: $sgpr46_sgpr47
	s_branch .LBB1483_866
.LBB1483_869:
	s_barrier
	ds_write2_b64 v17, v[0:1], v[2:3] offset1:1
	ds_write2_b64 v17, v[4:5], v[6:7] offset0:2 offset1:3
	s_waitcnt lgkmcnt(0)
	s_barrier
	ds_read_b64 v[6:7], v13 offset:2048
	ds_read_b64 v[2:3], v15 offset:4096
	;; [unrolled: 1-line block ×3, first 2 shown]
	v_mov_b32_e32 v5, s21
	v_add_co_u32_e32 v4, vcc, s20, v26
	v_mov_b32_e32 v13, 0
	v_addc_co_u32_e32 v5, vcc, 0, v5, vcc
	s_and_saveexec_b64 s[6:7], s[0:1]
	s_cbranch_execnz .LBB1483_877
; %bb.870:
	s_or_b64 exec, exec, s[6:7]
	s_and_saveexec_b64 s[0:1], s[2:3]
	s_cbranch_execnz .LBB1483_878
.LBB1483_871:
	s_or_b64 exec, exec, s[0:1]
	s_and_saveexec_b64 s[0:1], s[4:5]
	s_cbranch_execz .LBB1483_873
.LBB1483_872:
	v_add_co_u32_e32 v4, vcc, 0x1000, v4
	v_addc_co_u32_e32 v5, vcc, 0, v5, vcc
	s_waitcnt lgkmcnt(1)
	global_store_dwordx2 v[4:5], v[2:3], off
.LBB1483_873:
	s_or_b64 exec, exec, s[0:1]
.LBB1483_874:
	s_and_saveexec_b64 s[0:1], s[24:25]
	s_cbranch_execz .LBB1483_876
; %bb.875:
	s_waitcnt lgkmcnt(1)
	v_lshlrev_b64 v[2:3], 3, v[12:13]
	v_mov_b32_e32 v4, s21
	v_add_co_u32_e32 v2, vcc, s20, v2
	v_addc_co_u32_e32 v3, vcc, v4, v3, vcc
	v_add_co_u32_e32 v2, vcc, 0x1000, v2
	v_addc_co_u32_e32 v3, vcc, 0, v3, vcc
	s_waitcnt lgkmcnt(0)
	global_store_dwordx2 v[2:3], v[0:1], off offset:2048
.LBB1483_876:
	s_endpgm
.LBB1483_877:
	ds_read_b64 v[8:9], v14
	s_waitcnt lgkmcnt(0)
	global_store_dwordx2 v[4:5], v[8:9], off
	s_or_b64 exec, exec, s[6:7]
	s_and_saveexec_b64 s[0:1], s[2:3]
	s_cbranch_execz .LBB1483_871
.LBB1483_878:
	s_waitcnt lgkmcnt(2)
	global_store_dwordx2 v[4:5], v[6:7], off offset:2048
	s_or_b64 exec, exec, s[0:1]
	s_and_saveexec_b64 s[0:1], s[4:5]
	s_cbranch_execnz .LBB1483_872
	s_branch .LBB1483_873
	.section	.rodata,"a",@progbits
	.p2align	6, 0x0
	.amdhsa_kernel _ZN7rocprim17ROCPRIM_400000_NS6detail17trampoline_kernelINS0_14default_configENS1_37merge_sort_block_sort_config_selectorIlNS0_10empty_typeEEEZNS1_21merge_sort_block_sortIS3_PlS8_PS5_S9_ZN2at6native12_GLOBAL__N_124unique_dim_cuda_templateIjEESt5tupleIJNSA_6TensorESF_SF_EERKSF_lbbbEUlllE_EE10hipError_tT0_T1_T2_T3_mRjT4_P12ihipStream_tbNS1_7vsmem_tEEUlT_E_NS1_11comp_targetILNS1_3genE4ELNS1_11target_archE910ELNS1_3gpuE8ELNS1_3repE0EEENS1_30default_config_static_selectorELNS0_4arch9wavefront6targetE1EEEvSM_
		.amdhsa_group_segment_fixed_size 8448
		.amdhsa_private_segment_fixed_size 0
		.amdhsa_kernarg_size 328
		.amdhsa_user_sgpr_count 6
		.amdhsa_user_sgpr_private_segment_buffer 1
		.amdhsa_user_sgpr_dispatch_ptr 0
		.amdhsa_user_sgpr_queue_ptr 0
		.amdhsa_user_sgpr_kernarg_segment_ptr 1
		.amdhsa_user_sgpr_dispatch_id 0
		.amdhsa_user_sgpr_flat_scratch_init 0
		.amdhsa_user_sgpr_kernarg_preload_length 0
		.amdhsa_user_sgpr_kernarg_preload_offset 0
		.amdhsa_user_sgpr_private_segment_size 0
		.amdhsa_uses_dynamic_stack 0
		.amdhsa_system_sgpr_private_segment_wavefront_offset 0
		.amdhsa_system_sgpr_workgroup_id_x 1
		.amdhsa_system_sgpr_workgroup_id_y 1
		.amdhsa_system_sgpr_workgroup_id_z 1
		.amdhsa_system_sgpr_workgroup_info 0
		.amdhsa_system_vgpr_workitem_id 2
		.amdhsa_next_free_vgpr 46
		.amdhsa_next_free_sgpr 54
		.amdhsa_accum_offset 48
		.amdhsa_reserve_vcc 1
		.amdhsa_reserve_flat_scratch 0
		.amdhsa_float_round_mode_32 0
		.amdhsa_float_round_mode_16_64 0
		.amdhsa_float_denorm_mode_32 3
		.amdhsa_float_denorm_mode_16_64 3
		.amdhsa_dx10_clamp 1
		.amdhsa_ieee_mode 1
		.amdhsa_fp16_overflow 0
		.amdhsa_tg_split 0
		.amdhsa_exception_fp_ieee_invalid_op 0
		.amdhsa_exception_fp_denorm_src 0
		.amdhsa_exception_fp_ieee_div_zero 0
		.amdhsa_exception_fp_ieee_overflow 0
		.amdhsa_exception_fp_ieee_underflow 0
		.amdhsa_exception_fp_ieee_inexact 0
		.amdhsa_exception_int_div_zero 0
	.end_amdhsa_kernel
	.section	.text._ZN7rocprim17ROCPRIM_400000_NS6detail17trampoline_kernelINS0_14default_configENS1_37merge_sort_block_sort_config_selectorIlNS0_10empty_typeEEEZNS1_21merge_sort_block_sortIS3_PlS8_PS5_S9_ZN2at6native12_GLOBAL__N_124unique_dim_cuda_templateIjEESt5tupleIJNSA_6TensorESF_SF_EERKSF_lbbbEUlllE_EE10hipError_tT0_T1_T2_T3_mRjT4_P12ihipStream_tbNS1_7vsmem_tEEUlT_E_NS1_11comp_targetILNS1_3genE4ELNS1_11target_archE910ELNS1_3gpuE8ELNS1_3repE0EEENS1_30default_config_static_selectorELNS0_4arch9wavefront6targetE1EEEvSM_,"axG",@progbits,_ZN7rocprim17ROCPRIM_400000_NS6detail17trampoline_kernelINS0_14default_configENS1_37merge_sort_block_sort_config_selectorIlNS0_10empty_typeEEEZNS1_21merge_sort_block_sortIS3_PlS8_PS5_S9_ZN2at6native12_GLOBAL__N_124unique_dim_cuda_templateIjEESt5tupleIJNSA_6TensorESF_SF_EERKSF_lbbbEUlllE_EE10hipError_tT0_T1_T2_T3_mRjT4_P12ihipStream_tbNS1_7vsmem_tEEUlT_E_NS1_11comp_targetILNS1_3genE4ELNS1_11target_archE910ELNS1_3gpuE8ELNS1_3repE0EEENS1_30default_config_static_selectorELNS0_4arch9wavefront6targetE1EEEvSM_,comdat
.Lfunc_end1483:
	.size	_ZN7rocprim17ROCPRIM_400000_NS6detail17trampoline_kernelINS0_14default_configENS1_37merge_sort_block_sort_config_selectorIlNS0_10empty_typeEEEZNS1_21merge_sort_block_sortIS3_PlS8_PS5_S9_ZN2at6native12_GLOBAL__N_124unique_dim_cuda_templateIjEESt5tupleIJNSA_6TensorESF_SF_EERKSF_lbbbEUlllE_EE10hipError_tT0_T1_T2_T3_mRjT4_P12ihipStream_tbNS1_7vsmem_tEEUlT_E_NS1_11comp_targetILNS1_3genE4ELNS1_11target_archE910ELNS1_3gpuE8ELNS1_3repE0EEENS1_30default_config_static_selectorELNS0_4arch9wavefront6targetE1EEEvSM_, .Lfunc_end1483-_ZN7rocprim17ROCPRIM_400000_NS6detail17trampoline_kernelINS0_14default_configENS1_37merge_sort_block_sort_config_selectorIlNS0_10empty_typeEEEZNS1_21merge_sort_block_sortIS3_PlS8_PS5_S9_ZN2at6native12_GLOBAL__N_124unique_dim_cuda_templateIjEESt5tupleIJNSA_6TensorESF_SF_EERKSF_lbbbEUlllE_EE10hipError_tT0_T1_T2_T3_mRjT4_P12ihipStream_tbNS1_7vsmem_tEEUlT_E_NS1_11comp_targetILNS1_3genE4ELNS1_11target_archE910ELNS1_3gpuE8ELNS1_3repE0EEENS1_30default_config_static_selectorELNS0_4arch9wavefront6targetE1EEEvSM_
                                        ; -- End function
	.section	.AMDGPU.csdata,"",@progbits
; Kernel info:
; codeLenInByte = 37876
; NumSgprs: 58
; NumVgprs: 46
; NumAgprs: 0
; TotalNumVgprs: 46
; ScratchSize: 0
; MemoryBound: 0
; FloatMode: 240
; IeeeMode: 1
; LDSByteSize: 8448 bytes/workgroup (compile time only)
; SGPRBlocks: 7
; VGPRBlocks: 5
; NumSGPRsForWavesPerEU: 58
; NumVGPRsForWavesPerEU: 46
; AccumOffset: 48
; Occupancy: 7
; WaveLimiterHint : 1
; COMPUTE_PGM_RSRC2:SCRATCH_EN: 0
; COMPUTE_PGM_RSRC2:USER_SGPR: 6
; COMPUTE_PGM_RSRC2:TRAP_HANDLER: 0
; COMPUTE_PGM_RSRC2:TGID_X_EN: 1
; COMPUTE_PGM_RSRC2:TGID_Y_EN: 1
; COMPUTE_PGM_RSRC2:TGID_Z_EN: 1
; COMPUTE_PGM_RSRC2:TIDIG_COMP_CNT: 2
; COMPUTE_PGM_RSRC3_GFX90A:ACCUM_OFFSET: 11
; COMPUTE_PGM_RSRC3_GFX90A:TG_SPLIT: 0
	.section	.text._ZN7rocprim17ROCPRIM_400000_NS6detail17trampoline_kernelINS0_14default_configENS1_37merge_sort_block_sort_config_selectorIlNS0_10empty_typeEEEZNS1_21merge_sort_block_sortIS3_PlS8_PS5_S9_ZN2at6native12_GLOBAL__N_124unique_dim_cuda_templateIjEESt5tupleIJNSA_6TensorESF_SF_EERKSF_lbbbEUlllE_EE10hipError_tT0_T1_T2_T3_mRjT4_P12ihipStream_tbNS1_7vsmem_tEEUlT_E_NS1_11comp_targetILNS1_3genE3ELNS1_11target_archE908ELNS1_3gpuE7ELNS1_3repE0EEENS1_30default_config_static_selectorELNS0_4arch9wavefront6targetE1EEEvSM_,"axG",@progbits,_ZN7rocprim17ROCPRIM_400000_NS6detail17trampoline_kernelINS0_14default_configENS1_37merge_sort_block_sort_config_selectorIlNS0_10empty_typeEEEZNS1_21merge_sort_block_sortIS3_PlS8_PS5_S9_ZN2at6native12_GLOBAL__N_124unique_dim_cuda_templateIjEESt5tupleIJNSA_6TensorESF_SF_EERKSF_lbbbEUlllE_EE10hipError_tT0_T1_T2_T3_mRjT4_P12ihipStream_tbNS1_7vsmem_tEEUlT_E_NS1_11comp_targetILNS1_3genE3ELNS1_11target_archE908ELNS1_3gpuE7ELNS1_3repE0EEENS1_30default_config_static_selectorELNS0_4arch9wavefront6targetE1EEEvSM_,comdat
	.globl	_ZN7rocprim17ROCPRIM_400000_NS6detail17trampoline_kernelINS0_14default_configENS1_37merge_sort_block_sort_config_selectorIlNS0_10empty_typeEEEZNS1_21merge_sort_block_sortIS3_PlS8_PS5_S9_ZN2at6native12_GLOBAL__N_124unique_dim_cuda_templateIjEESt5tupleIJNSA_6TensorESF_SF_EERKSF_lbbbEUlllE_EE10hipError_tT0_T1_T2_T3_mRjT4_P12ihipStream_tbNS1_7vsmem_tEEUlT_E_NS1_11comp_targetILNS1_3genE3ELNS1_11target_archE908ELNS1_3gpuE7ELNS1_3repE0EEENS1_30default_config_static_selectorELNS0_4arch9wavefront6targetE1EEEvSM_ ; -- Begin function _ZN7rocprim17ROCPRIM_400000_NS6detail17trampoline_kernelINS0_14default_configENS1_37merge_sort_block_sort_config_selectorIlNS0_10empty_typeEEEZNS1_21merge_sort_block_sortIS3_PlS8_PS5_S9_ZN2at6native12_GLOBAL__N_124unique_dim_cuda_templateIjEESt5tupleIJNSA_6TensorESF_SF_EERKSF_lbbbEUlllE_EE10hipError_tT0_T1_T2_T3_mRjT4_P12ihipStream_tbNS1_7vsmem_tEEUlT_E_NS1_11comp_targetILNS1_3genE3ELNS1_11target_archE908ELNS1_3gpuE7ELNS1_3repE0EEENS1_30default_config_static_selectorELNS0_4arch9wavefront6targetE1EEEvSM_
	.p2align	8
	.type	_ZN7rocprim17ROCPRIM_400000_NS6detail17trampoline_kernelINS0_14default_configENS1_37merge_sort_block_sort_config_selectorIlNS0_10empty_typeEEEZNS1_21merge_sort_block_sortIS3_PlS8_PS5_S9_ZN2at6native12_GLOBAL__N_124unique_dim_cuda_templateIjEESt5tupleIJNSA_6TensorESF_SF_EERKSF_lbbbEUlllE_EE10hipError_tT0_T1_T2_T3_mRjT4_P12ihipStream_tbNS1_7vsmem_tEEUlT_E_NS1_11comp_targetILNS1_3genE3ELNS1_11target_archE908ELNS1_3gpuE7ELNS1_3repE0EEENS1_30default_config_static_selectorELNS0_4arch9wavefront6targetE1EEEvSM_,@function
_ZN7rocprim17ROCPRIM_400000_NS6detail17trampoline_kernelINS0_14default_configENS1_37merge_sort_block_sort_config_selectorIlNS0_10empty_typeEEEZNS1_21merge_sort_block_sortIS3_PlS8_PS5_S9_ZN2at6native12_GLOBAL__N_124unique_dim_cuda_templateIjEESt5tupleIJNSA_6TensorESF_SF_EERKSF_lbbbEUlllE_EE10hipError_tT0_T1_T2_T3_mRjT4_P12ihipStream_tbNS1_7vsmem_tEEUlT_E_NS1_11comp_targetILNS1_3genE3ELNS1_11target_archE908ELNS1_3gpuE7ELNS1_3repE0EEENS1_30default_config_static_selectorELNS0_4arch9wavefront6targetE1EEEvSM_: ; @_ZN7rocprim17ROCPRIM_400000_NS6detail17trampoline_kernelINS0_14default_configENS1_37merge_sort_block_sort_config_selectorIlNS0_10empty_typeEEEZNS1_21merge_sort_block_sortIS3_PlS8_PS5_S9_ZN2at6native12_GLOBAL__N_124unique_dim_cuda_templateIjEESt5tupleIJNSA_6TensorESF_SF_EERKSF_lbbbEUlllE_EE10hipError_tT0_T1_T2_T3_mRjT4_P12ihipStream_tbNS1_7vsmem_tEEUlT_E_NS1_11comp_targetILNS1_3genE3ELNS1_11target_archE908ELNS1_3gpuE7ELNS1_3repE0EEENS1_30default_config_static_selectorELNS0_4arch9wavefront6targetE1EEEvSM_
; %bb.0:
	.section	.rodata,"a",@progbits
	.p2align	6, 0x0
	.amdhsa_kernel _ZN7rocprim17ROCPRIM_400000_NS6detail17trampoline_kernelINS0_14default_configENS1_37merge_sort_block_sort_config_selectorIlNS0_10empty_typeEEEZNS1_21merge_sort_block_sortIS3_PlS8_PS5_S9_ZN2at6native12_GLOBAL__N_124unique_dim_cuda_templateIjEESt5tupleIJNSA_6TensorESF_SF_EERKSF_lbbbEUlllE_EE10hipError_tT0_T1_T2_T3_mRjT4_P12ihipStream_tbNS1_7vsmem_tEEUlT_E_NS1_11comp_targetILNS1_3genE3ELNS1_11target_archE908ELNS1_3gpuE7ELNS1_3repE0EEENS1_30default_config_static_selectorELNS0_4arch9wavefront6targetE1EEEvSM_
		.amdhsa_group_segment_fixed_size 0
		.amdhsa_private_segment_fixed_size 0
		.amdhsa_kernarg_size 72
		.amdhsa_user_sgpr_count 6
		.amdhsa_user_sgpr_private_segment_buffer 1
		.amdhsa_user_sgpr_dispatch_ptr 0
		.amdhsa_user_sgpr_queue_ptr 0
		.amdhsa_user_sgpr_kernarg_segment_ptr 1
		.amdhsa_user_sgpr_dispatch_id 0
		.amdhsa_user_sgpr_flat_scratch_init 0
		.amdhsa_user_sgpr_kernarg_preload_length 0
		.amdhsa_user_sgpr_kernarg_preload_offset 0
		.amdhsa_user_sgpr_private_segment_size 0
		.amdhsa_uses_dynamic_stack 0
		.amdhsa_system_sgpr_private_segment_wavefront_offset 0
		.amdhsa_system_sgpr_workgroup_id_x 1
		.amdhsa_system_sgpr_workgroup_id_y 0
		.amdhsa_system_sgpr_workgroup_id_z 0
		.amdhsa_system_sgpr_workgroup_info 0
		.amdhsa_system_vgpr_workitem_id 0
		.amdhsa_next_free_vgpr 1
		.amdhsa_next_free_sgpr 0
		.amdhsa_accum_offset 4
		.amdhsa_reserve_vcc 0
		.amdhsa_reserve_flat_scratch 0
		.amdhsa_float_round_mode_32 0
		.amdhsa_float_round_mode_16_64 0
		.amdhsa_float_denorm_mode_32 3
		.amdhsa_float_denorm_mode_16_64 3
		.amdhsa_dx10_clamp 1
		.amdhsa_ieee_mode 1
		.amdhsa_fp16_overflow 0
		.amdhsa_tg_split 0
		.amdhsa_exception_fp_ieee_invalid_op 0
		.amdhsa_exception_fp_denorm_src 0
		.amdhsa_exception_fp_ieee_div_zero 0
		.amdhsa_exception_fp_ieee_overflow 0
		.amdhsa_exception_fp_ieee_underflow 0
		.amdhsa_exception_fp_ieee_inexact 0
		.amdhsa_exception_int_div_zero 0
	.end_amdhsa_kernel
	.section	.text._ZN7rocprim17ROCPRIM_400000_NS6detail17trampoline_kernelINS0_14default_configENS1_37merge_sort_block_sort_config_selectorIlNS0_10empty_typeEEEZNS1_21merge_sort_block_sortIS3_PlS8_PS5_S9_ZN2at6native12_GLOBAL__N_124unique_dim_cuda_templateIjEESt5tupleIJNSA_6TensorESF_SF_EERKSF_lbbbEUlllE_EE10hipError_tT0_T1_T2_T3_mRjT4_P12ihipStream_tbNS1_7vsmem_tEEUlT_E_NS1_11comp_targetILNS1_3genE3ELNS1_11target_archE908ELNS1_3gpuE7ELNS1_3repE0EEENS1_30default_config_static_selectorELNS0_4arch9wavefront6targetE1EEEvSM_,"axG",@progbits,_ZN7rocprim17ROCPRIM_400000_NS6detail17trampoline_kernelINS0_14default_configENS1_37merge_sort_block_sort_config_selectorIlNS0_10empty_typeEEEZNS1_21merge_sort_block_sortIS3_PlS8_PS5_S9_ZN2at6native12_GLOBAL__N_124unique_dim_cuda_templateIjEESt5tupleIJNSA_6TensorESF_SF_EERKSF_lbbbEUlllE_EE10hipError_tT0_T1_T2_T3_mRjT4_P12ihipStream_tbNS1_7vsmem_tEEUlT_E_NS1_11comp_targetILNS1_3genE3ELNS1_11target_archE908ELNS1_3gpuE7ELNS1_3repE0EEENS1_30default_config_static_selectorELNS0_4arch9wavefront6targetE1EEEvSM_,comdat
.Lfunc_end1484:
	.size	_ZN7rocprim17ROCPRIM_400000_NS6detail17trampoline_kernelINS0_14default_configENS1_37merge_sort_block_sort_config_selectorIlNS0_10empty_typeEEEZNS1_21merge_sort_block_sortIS3_PlS8_PS5_S9_ZN2at6native12_GLOBAL__N_124unique_dim_cuda_templateIjEESt5tupleIJNSA_6TensorESF_SF_EERKSF_lbbbEUlllE_EE10hipError_tT0_T1_T2_T3_mRjT4_P12ihipStream_tbNS1_7vsmem_tEEUlT_E_NS1_11comp_targetILNS1_3genE3ELNS1_11target_archE908ELNS1_3gpuE7ELNS1_3repE0EEENS1_30default_config_static_selectorELNS0_4arch9wavefront6targetE1EEEvSM_, .Lfunc_end1484-_ZN7rocprim17ROCPRIM_400000_NS6detail17trampoline_kernelINS0_14default_configENS1_37merge_sort_block_sort_config_selectorIlNS0_10empty_typeEEEZNS1_21merge_sort_block_sortIS3_PlS8_PS5_S9_ZN2at6native12_GLOBAL__N_124unique_dim_cuda_templateIjEESt5tupleIJNSA_6TensorESF_SF_EERKSF_lbbbEUlllE_EE10hipError_tT0_T1_T2_T3_mRjT4_P12ihipStream_tbNS1_7vsmem_tEEUlT_E_NS1_11comp_targetILNS1_3genE3ELNS1_11target_archE908ELNS1_3gpuE7ELNS1_3repE0EEENS1_30default_config_static_selectorELNS0_4arch9wavefront6targetE1EEEvSM_
                                        ; -- End function
	.section	.AMDGPU.csdata,"",@progbits
; Kernel info:
; codeLenInByte = 0
; NumSgprs: 4
; NumVgprs: 0
; NumAgprs: 0
; TotalNumVgprs: 0
; ScratchSize: 0
; MemoryBound: 0
; FloatMode: 240
; IeeeMode: 1
; LDSByteSize: 0 bytes/workgroup (compile time only)
; SGPRBlocks: 0
; VGPRBlocks: 0
; NumSGPRsForWavesPerEU: 4
; NumVGPRsForWavesPerEU: 1
; AccumOffset: 4
; Occupancy: 8
; WaveLimiterHint : 0
; COMPUTE_PGM_RSRC2:SCRATCH_EN: 0
; COMPUTE_PGM_RSRC2:USER_SGPR: 6
; COMPUTE_PGM_RSRC2:TRAP_HANDLER: 0
; COMPUTE_PGM_RSRC2:TGID_X_EN: 1
; COMPUTE_PGM_RSRC2:TGID_Y_EN: 0
; COMPUTE_PGM_RSRC2:TGID_Z_EN: 0
; COMPUTE_PGM_RSRC2:TIDIG_COMP_CNT: 0
; COMPUTE_PGM_RSRC3_GFX90A:ACCUM_OFFSET: 0
; COMPUTE_PGM_RSRC3_GFX90A:TG_SPLIT: 0
	.section	.text._ZN7rocprim17ROCPRIM_400000_NS6detail17trampoline_kernelINS0_14default_configENS1_37merge_sort_block_sort_config_selectorIlNS0_10empty_typeEEEZNS1_21merge_sort_block_sortIS3_PlS8_PS5_S9_ZN2at6native12_GLOBAL__N_124unique_dim_cuda_templateIjEESt5tupleIJNSA_6TensorESF_SF_EERKSF_lbbbEUlllE_EE10hipError_tT0_T1_T2_T3_mRjT4_P12ihipStream_tbNS1_7vsmem_tEEUlT_E_NS1_11comp_targetILNS1_3genE2ELNS1_11target_archE906ELNS1_3gpuE6ELNS1_3repE0EEENS1_30default_config_static_selectorELNS0_4arch9wavefront6targetE1EEEvSM_,"axG",@progbits,_ZN7rocprim17ROCPRIM_400000_NS6detail17trampoline_kernelINS0_14default_configENS1_37merge_sort_block_sort_config_selectorIlNS0_10empty_typeEEEZNS1_21merge_sort_block_sortIS3_PlS8_PS5_S9_ZN2at6native12_GLOBAL__N_124unique_dim_cuda_templateIjEESt5tupleIJNSA_6TensorESF_SF_EERKSF_lbbbEUlllE_EE10hipError_tT0_T1_T2_T3_mRjT4_P12ihipStream_tbNS1_7vsmem_tEEUlT_E_NS1_11comp_targetILNS1_3genE2ELNS1_11target_archE906ELNS1_3gpuE6ELNS1_3repE0EEENS1_30default_config_static_selectorELNS0_4arch9wavefront6targetE1EEEvSM_,comdat
	.globl	_ZN7rocprim17ROCPRIM_400000_NS6detail17trampoline_kernelINS0_14default_configENS1_37merge_sort_block_sort_config_selectorIlNS0_10empty_typeEEEZNS1_21merge_sort_block_sortIS3_PlS8_PS5_S9_ZN2at6native12_GLOBAL__N_124unique_dim_cuda_templateIjEESt5tupleIJNSA_6TensorESF_SF_EERKSF_lbbbEUlllE_EE10hipError_tT0_T1_T2_T3_mRjT4_P12ihipStream_tbNS1_7vsmem_tEEUlT_E_NS1_11comp_targetILNS1_3genE2ELNS1_11target_archE906ELNS1_3gpuE6ELNS1_3repE0EEENS1_30default_config_static_selectorELNS0_4arch9wavefront6targetE1EEEvSM_ ; -- Begin function _ZN7rocprim17ROCPRIM_400000_NS6detail17trampoline_kernelINS0_14default_configENS1_37merge_sort_block_sort_config_selectorIlNS0_10empty_typeEEEZNS1_21merge_sort_block_sortIS3_PlS8_PS5_S9_ZN2at6native12_GLOBAL__N_124unique_dim_cuda_templateIjEESt5tupleIJNSA_6TensorESF_SF_EERKSF_lbbbEUlllE_EE10hipError_tT0_T1_T2_T3_mRjT4_P12ihipStream_tbNS1_7vsmem_tEEUlT_E_NS1_11comp_targetILNS1_3genE2ELNS1_11target_archE906ELNS1_3gpuE6ELNS1_3repE0EEENS1_30default_config_static_selectorELNS0_4arch9wavefront6targetE1EEEvSM_
	.p2align	8
	.type	_ZN7rocprim17ROCPRIM_400000_NS6detail17trampoline_kernelINS0_14default_configENS1_37merge_sort_block_sort_config_selectorIlNS0_10empty_typeEEEZNS1_21merge_sort_block_sortIS3_PlS8_PS5_S9_ZN2at6native12_GLOBAL__N_124unique_dim_cuda_templateIjEESt5tupleIJNSA_6TensorESF_SF_EERKSF_lbbbEUlllE_EE10hipError_tT0_T1_T2_T3_mRjT4_P12ihipStream_tbNS1_7vsmem_tEEUlT_E_NS1_11comp_targetILNS1_3genE2ELNS1_11target_archE906ELNS1_3gpuE6ELNS1_3repE0EEENS1_30default_config_static_selectorELNS0_4arch9wavefront6targetE1EEEvSM_,@function
_ZN7rocprim17ROCPRIM_400000_NS6detail17trampoline_kernelINS0_14default_configENS1_37merge_sort_block_sort_config_selectorIlNS0_10empty_typeEEEZNS1_21merge_sort_block_sortIS3_PlS8_PS5_S9_ZN2at6native12_GLOBAL__N_124unique_dim_cuda_templateIjEESt5tupleIJNSA_6TensorESF_SF_EERKSF_lbbbEUlllE_EE10hipError_tT0_T1_T2_T3_mRjT4_P12ihipStream_tbNS1_7vsmem_tEEUlT_E_NS1_11comp_targetILNS1_3genE2ELNS1_11target_archE906ELNS1_3gpuE6ELNS1_3repE0EEENS1_30default_config_static_selectorELNS0_4arch9wavefront6targetE1EEEvSM_: ; @_ZN7rocprim17ROCPRIM_400000_NS6detail17trampoline_kernelINS0_14default_configENS1_37merge_sort_block_sort_config_selectorIlNS0_10empty_typeEEEZNS1_21merge_sort_block_sortIS3_PlS8_PS5_S9_ZN2at6native12_GLOBAL__N_124unique_dim_cuda_templateIjEESt5tupleIJNSA_6TensorESF_SF_EERKSF_lbbbEUlllE_EE10hipError_tT0_T1_T2_T3_mRjT4_P12ihipStream_tbNS1_7vsmem_tEEUlT_E_NS1_11comp_targetILNS1_3genE2ELNS1_11target_archE906ELNS1_3gpuE6ELNS1_3repE0EEENS1_30default_config_static_selectorELNS0_4arch9wavefront6targetE1EEEvSM_
; %bb.0:
	.section	.rodata,"a",@progbits
	.p2align	6, 0x0
	.amdhsa_kernel _ZN7rocprim17ROCPRIM_400000_NS6detail17trampoline_kernelINS0_14default_configENS1_37merge_sort_block_sort_config_selectorIlNS0_10empty_typeEEEZNS1_21merge_sort_block_sortIS3_PlS8_PS5_S9_ZN2at6native12_GLOBAL__N_124unique_dim_cuda_templateIjEESt5tupleIJNSA_6TensorESF_SF_EERKSF_lbbbEUlllE_EE10hipError_tT0_T1_T2_T3_mRjT4_P12ihipStream_tbNS1_7vsmem_tEEUlT_E_NS1_11comp_targetILNS1_3genE2ELNS1_11target_archE906ELNS1_3gpuE6ELNS1_3repE0EEENS1_30default_config_static_selectorELNS0_4arch9wavefront6targetE1EEEvSM_
		.amdhsa_group_segment_fixed_size 0
		.amdhsa_private_segment_fixed_size 0
		.amdhsa_kernarg_size 72
		.amdhsa_user_sgpr_count 6
		.amdhsa_user_sgpr_private_segment_buffer 1
		.amdhsa_user_sgpr_dispatch_ptr 0
		.amdhsa_user_sgpr_queue_ptr 0
		.amdhsa_user_sgpr_kernarg_segment_ptr 1
		.amdhsa_user_sgpr_dispatch_id 0
		.amdhsa_user_sgpr_flat_scratch_init 0
		.amdhsa_user_sgpr_kernarg_preload_length 0
		.amdhsa_user_sgpr_kernarg_preload_offset 0
		.amdhsa_user_sgpr_private_segment_size 0
		.amdhsa_uses_dynamic_stack 0
		.amdhsa_system_sgpr_private_segment_wavefront_offset 0
		.amdhsa_system_sgpr_workgroup_id_x 1
		.amdhsa_system_sgpr_workgroup_id_y 0
		.amdhsa_system_sgpr_workgroup_id_z 0
		.amdhsa_system_sgpr_workgroup_info 0
		.amdhsa_system_vgpr_workitem_id 0
		.amdhsa_next_free_vgpr 1
		.amdhsa_next_free_sgpr 0
		.amdhsa_accum_offset 4
		.amdhsa_reserve_vcc 0
		.amdhsa_reserve_flat_scratch 0
		.amdhsa_float_round_mode_32 0
		.amdhsa_float_round_mode_16_64 0
		.amdhsa_float_denorm_mode_32 3
		.amdhsa_float_denorm_mode_16_64 3
		.amdhsa_dx10_clamp 1
		.amdhsa_ieee_mode 1
		.amdhsa_fp16_overflow 0
		.amdhsa_tg_split 0
		.amdhsa_exception_fp_ieee_invalid_op 0
		.amdhsa_exception_fp_denorm_src 0
		.amdhsa_exception_fp_ieee_div_zero 0
		.amdhsa_exception_fp_ieee_overflow 0
		.amdhsa_exception_fp_ieee_underflow 0
		.amdhsa_exception_fp_ieee_inexact 0
		.amdhsa_exception_int_div_zero 0
	.end_amdhsa_kernel
	.section	.text._ZN7rocprim17ROCPRIM_400000_NS6detail17trampoline_kernelINS0_14default_configENS1_37merge_sort_block_sort_config_selectorIlNS0_10empty_typeEEEZNS1_21merge_sort_block_sortIS3_PlS8_PS5_S9_ZN2at6native12_GLOBAL__N_124unique_dim_cuda_templateIjEESt5tupleIJNSA_6TensorESF_SF_EERKSF_lbbbEUlllE_EE10hipError_tT0_T1_T2_T3_mRjT4_P12ihipStream_tbNS1_7vsmem_tEEUlT_E_NS1_11comp_targetILNS1_3genE2ELNS1_11target_archE906ELNS1_3gpuE6ELNS1_3repE0EEENS1_30default_config_static_selectorELNS0_4arch9wavefront6targetE1EEEvSM_,"axG",@progbits,_ZN7rocprim17ROCPRIM_400000_NS6detail17trampoline_kernelINS0_14default_configENS1_37merge_sort_block_sort_config_selectorIlNS0_10empty_typeEEEZNS1_21merge_sort_block_sortIS3_PlS8_PS5_S9_ZN2at6native12_GLOBAL__N_124unique_dim_cuda_templateIjEESt5tupleIJNSA_6TensorESF_SF_EERKSF_lbbbEUlllE_EE10hipError_tT0_T1_T2_T3_mRjT4_P12ihipStream_tbNS1_7vsmem_tEEUlT_E_NS1_11comp_targetILNS1_3genE2ELNS1_11target_archE906ELNS1_3gpuE6ELNS1_3repE0EEENS1_30default_config_static_selectorELNS0_4arch9wavefront6targetE1EEEvSM_,comdat
.Lfunc_end1485:
	.size	_ZN7rocprim17ROCPRIM_400000_NS6detail17trampoline_kernelINS0_14default_configENS1_37merge_sort_block_sort_config_selectorIlNS0_10empty_typeEEEZNS1_21merge_sort_block_sortIS3_PlS8_PS5_S9_ZN2at6native12_GLOBAL__N_124unique_dim_cuda_templateIjEESt5tupleIJNSA_6TensorESF_SF_EERKSF_lbbbEUlllE_EE10hipError_tT0_T1_T2_T3_mRjT4_P12ihipStream_tbNS1_7vsmem_tEEUlT_E_NS1_11comp_targetILNS1_3genE2ELNS1_11target_archE906ELNS1_3gpuE6ELNS1_3repE0EEENS1_30default_config_static_selectorELNS0_4arch9wavefront6targetE1EEEvSM_, .Lfunc_end1485-_ZN7rocprim17ROCPRIM_400000_NS6detail17trampoline_kernelINS0_14default_configENS1_37merge_sort_block_sort_config_selectorIlNS0_10empty_typeEEEZNS1_21merge_sort_block_sortIS3_PlS8_PS5_S9_ZN2at6native12_GLOBAL__N_124unique_dim_cuda_templateIjEESt5tupleIJNSA_6TensorESF_SF_EERKSF_lbbbEUlllE_EE10hipError_tT0_T1_T2_T3_mRjT4_P12ihipStream_tbNS1_7vsmem_tEEUlT_E_NS1_11comp_targetILNS1_3genE2ELNS1_11target_archE906ELNS1_3gpuE6ELNS1_3repE0EEENS1_30default_config_static_selectorELNS0_4arch9wavefront6targetE1EEEvSM_
                                        ; -- End function
	.section	.AMDGPU.csdata,"",@progbits
; Kernel info:
; codeLenInByte = 0
; NumSgprs: 4
; NumVgprs: 0
; NumAgprs: 0
; TotalNumVgprs: 0
; ScratchSize: 0
; MemoryBound: 0
; FloatMode: 240
; IeeeMode: 1
; LDSByteSize: 0 bytes/workgroup (compile time only)
; SGPRBlocks: 0
; VGPRBlocks: 0
; NumSGPRsForWavesPerEU: 4
; NumVGPRsForWavesPerEU: 1
; AccumOffset: 4
; Occupancy: 8
; WaveLimiterHint : 0
; COMPUTE_PGM_RSRC2:SCRATCH_EN: 0
; COMPUTE_PGM_RSRC2:USER_SGPR: 6
; COMPUTE_PGM_RSRC2:TRAP_HANDLER: 0
; COMPUTE_PGM_RSRC2:TGID_X_EN: 1
; COMPUTE_PGM_RSRC2:TGID_Y_EN: 0
; COMPUTE_PGM_RSRC2:TGID_Z_EN: 0
; COMPUTE_PGM_RSRC2:TIDIG_COMP_CNT: 0
; COMPUTE_PGM_RSRC3_GFX90A:ACCUM_OFFSET: 0
; COMPUTE_PGM_RSRC3_GFX90A:TG_SPLIT: 0
	.section	.text._ZN7rocprim17ROCPRIM_400000_NS6detail17trampoline_kernelINS0_14default_configENS1_37merge_sort_block_sort_config_selectorIlNS0_10empty_typeEEEZNS1_21merge_sort_block_sortIS3_PlS8_PS5_S9_ZN2at6native12_GLOBAL__N_124unique_dim_cuda_templateIjEESt5tupleIJNSA_6TensorESF_SF_EERKSF_lbbbEUlllE_EE10hipError_tT0_T1_T2_T3_mRjT4_P12ihipStream_tbNS1_7vsmem_tEEUlT_E_NS1_11comp_targetILNS1_3genE10ELNS1_11target_archE1201ELNS1_3gpuE5ELNS1_3repE0EEENS1_30default_config_static_selectorELNS0_4arch9wavefront6targetE1EEEvSM_,"axG",@progbits,_ZN7rocprim17ROCPRIM_400000_NS6detail17trampoline_kernelINS0_14default_configENS1_37merge_sort_block_sort_config_selectorIlNS0_10empty_typeEEEZNS1_21merge_sort_block_sortIS3_PlS8_PS5_S9_ZN2at6native12_GLOBAL__N_124unique_dim_cuda_templateIjEESt5tupleIJNSA_6TensorESF_SF_EERKSF_lbbbEUlllE_EE10hipError_tT0_T1_T2_T3_mRjT4_P12ihipStream_tbNS1_7vsmem_tEEUlT_E_NS1_11comp_targetILNS1_3genE10ELNS1_11target_archE1201ELNS1_3gpuE5ELNS1_3repE0EEENS1_30default_config_static_selectorELNS0_4arch9wavefront6targetE1EEEvSM_,comdat
	.globl	_ZN7rocprim17ROCPRIM_400000_NS6detail17trampoline_kernelINS0_14default_configENS1_37merge_sort_block_sort_config_selectorIlNS0_10empty_typeEEEZNS1_21merge_sort_block_sortIS3_PlS8_PS5_S9_ZN2at6native12_GLOBAL__N_124unique_dim_cuda_templateIjEESt5tupleIJNSA_6TensorESF_SF_EERKSF_lbbbEUlllE_EE10hipError_tT0_T1_T2_T3_mRjT4_P12ihipStream_tbNS1_7vsmem_tEEUlT_E_NS1_11comp_targetILNS1_3genE10ELNS1_11target_archE1201ELNS1_3gpuE5ELNS1_3repE0EEENS1_30default_config_static_selectorELNS0_4arch9wavefront6targetE1EEEvSM_ ; -- Begin function _ZN7rocprim17ROCPRIM_400000_NS6detail17trampoline_kernelINS0_14default_configENS1_37merge_sort_block_sort_config_selectorIlNS0_10empty_typeEEEZNS1_21merge_sort_block_sortIS3_PlS8_PS5_S9_ZN2at6native12_GLOBAL__N_124unique_dim_cuda_templateIjEESt5tupleIJNSA_6TensorESF_SF_EERKSF_lbbbEUlllE_EE10hipError_tT0_T1_T2_T3_mRjT4_P12ihipStream_tbNS1_7vsmem_tEEUlT_E_NS1_11comp_targetILNS1_3genE10ELNS1_11target_archE1201ELNS1_3gpuE5ELNS1_3repE0EEENS1_30default_config_static_selectorELNS0_4arch9wavefront6targetE1EEEvSM_
	.p2align	8
	.type	_ZN7rocprim17ROCPRIM_400000_NS6detail17trampoline_kernelINS0_14default_configENS1_37merge_sort_block_sort_config_selectorIlNS0_10empty_typeEEEZNS1_21merge_sort_block_sortIS3_PlS8_PS5_S9_ZN2at6native12_GLOBAL__N_124unique_dim_cuda_templateIjEESt5tupleIJNSA_6TensorESF_SF_EERKSF_lbbbEUlllE_EE10hipError_tT0_T1_T2_T3_mRjT4_P12ihipStream_tbNS1_7vsmem_tEEUlT_E_NS1_11comp_targetILNS1_3genE10ELNS1_11target_archE1201ELNS1_3gpuE5ELNS1_3repE0EEENS1_30default_config_static_selectorELNS0_4arch9wavefront6targetE1EEEvSM_,@function
_ZN7rocprim17ROCPRIM_400000_NS6detail17trampoline_kernelINS0_14default_configENS1_37merge_sort_block_sort_config_selectorIlNS0_10empty_typeEEEZNS1_21merge_sort_block_sortIS3_PlS8_PS5_S9_ZN2at6native12_GLOBAL__N_124unique_dim_cuda_templateIjEESt5tupleIJNSA_6TensorESF_SF_EERKSF_lbbbEUlllE_EE10hipError_tT0_T1_T2_T3_mRjT4_P12ihipStream_tbNS1_7vsmem_tEEUlT_E_NS1_11comp_targetILNS1_3genE10ELNS1_11target_archE1201ELNS1_3gpuE5ELNS1_3repE0EEENS1_30default_config_static_selectorELNS0_4arch9wavefront6targetE1EEEvSM_: ; @_ZN7rocprim17ROCPRIM_400000_NS6detail17trampoline_kernelINS0_14default_configENS1_37merge_sort_block_sort_config_selectorIlNS0_10empty_typeEEEZNS1_21merge_sort_block_sortIS3_PlS8_PS5_S9_ZN2at6native12_GLOBAL__N_124unique_dim_cuda_templateIjEESt5tupleIJNSA_6TensorESF_SF_EERKSF_lbbbEUlllE_EE10hipError_tT0_T1_T2_T3_mRjT4_P12ihipStream_tbNS1_7vsmem_tEEUlT_E_NS1_11comp_targetILNS1_3genE10ELNS1_11target_archE1201ELNS1_3gpuE5ELNS1_3repE0EEENS1_30default_config_static_selectorELNS0_4arch9wavefront6targetE1EEEvSM_
; %bb.0:
	.section	.rodata,"a",@progbits
	.p2align	6, 0x0
	.amdhsa_kernel _ZN7rocprim17ROCPRIM_400000_NS6detail17trampoline_kernelINS0_14default_configENS1_37merge_sort_block_sort_config_selectorIlNS0_10empty_typeEEEZNS1_21merge_sort_block_sortIS3_PlS8_PS5_S9_ZN2at6native12_GLOBAL__N_124unique_dim_cuda_templateIjEESt5tupleIJNSA_6TensorESF_SF_EERKSF_lbbbEUlllE_EE10hipError_tT0_T1_T2_T3_mRjT4_P12ihipStream_tbNS1_7vsmem_tEEUlT_E_NS1_11comp_targetILNS1_3genE10ELNS1_11target_archE1201ELNS1_3gpuE5ELNS1_3repE0EEENS1_30default_config_static_selectorELNS0_4arch9wavefront6targetE1EEEvSM_
		.amdhsa_group_segment_fixed_size 0
		.amdhsa_private_segment_fixed_size 0
		.amdhsa_kernarg_size 72
		.amdhsa_user_sgpr_count 6
		.amdhsa_user_sgpr_private_segment_buffer 1
		.amdhsa_user_sgpr_dispatch_ptr 0
		.amdhsa_user_sgpr_queue_ptr 0
		.amdhsa_user_sgpr_kernarg_segment_ptr 1
		.amdhsa_user_sgpr_dispatch_id 0
		.amdhsa_user_sgpr_flat_scratch_init 0
		.amdhsa_user_sgpr_kernarg_preload_length 0
		.amdhsa_user_sgpr_kernarg_preload_offset 0
		.amdhsa_user_sgpr_private_segment_size 0
		.amdhsa_uses_dynamic_stack 0
		.amdhsa_system_sgpr_private_segment_wavefront_offset 0
		.amdhsa_system_sgpr_workgroup_id_x 1
		.amdhsa_system_sgpr_workgroup_id_y 0
		.amdhsa_system_sgpr_workgroup_id_z 0
		.amdhsa_system_sgpr_workgroup_info 0
		.amdhsa_system_vgpr_workitem_id 0
		.amdhsa_next_free_vgpr 1
		.amdhsa_next_free_sgpr 0
		.amdhsa_accum_offset 4
		.amdhsa_reserve_vcc 0
		.amdhsa_reserve_flat_scratch 0
		.amdhsa_float_round_mode_32 0
		.amdhsa_float_round_mode_16_64 0
		.amdhsa_float_denorm_mode_32 3
		.amdhsa_float_denorm_mode_16_64 3
		.amdhsa_dx10_clamp 1
		.amdhsa_ieee_mode 1
		.amdhsa_fp16_overflow 0
		.amdhsa_tg_split 0
		.amdhsa_exception_fp_ieee_invalid_op 0
		.amdhsa_exception_fp_denorm_src 0
		.amdhsa_exception_fp_ieee_div_zero 0
		.amdhsa_exception_fp_ieee_overflow 0
		.amdhsa_exception_fp_ieee_underflow 0
		.amdhsa_exception_fp_ieee_inexact 0
		.amdhsa_exception_int_div_zero 0
	.end_amdhsa_kernel
	.section	.text._ZN7rocprim17ROCPRIM_400000_NS6detail17trampoline_kernelINS0_14default_configENS1_37merge_sort_block_sort_config_selectorIlNS0_10empty_typeEEEZNS1_21merge_sort_block_sortIS3_PlS8_PS5_S9_ZN2at6native12_GLOBAL__N_124unique_dim_cuda_templateIjEESt5tupleIJNSA_6TensorESF_SF_EERKSF_lbbbEUlllE_EE10hipError_tT0_T1_T2_T3_mRjT4_P12ihipStream_tbNS1_7vsmem_tEEUlT_E_NS1_11comp_targetILNS1_3genE10ELNS1_11target_archE1201ELNS1_3gpuE5ELNS1_3repE0EEENS1_30default_config_static_selectorELNS0_4arch9wavefront6targetE1EEEvSM_,"axG",@progbits,_ZN7rocprim17ROCPRIM_400000_NS6detail17trampoline_kernelINS0_14default_configENS1_37merge_sort_block_sort_config_selectorIlNS0_10empty_typeEEEZNS1_21merge_sort_block_sortIS3_PlS8_PS5_S9_ZN2at6native12_GLOBAL__N_124unique_dim_cuda_templateIjEESt5tupleIJNSA_6TensorESF_SF_EERKSF_lbbbEUlllE_EE10hipError_tT0_T1_T2_T3_mRjT4_P12ihipStream_tbNS1_7vsmem_tEEUlT_E_NS1_11comp_targetILNS1_3genE10ELNS1_11target_archE1201ELNS1_3gpuE5ELNS1_3repE0EEENS1_30default_config_static_selectorELNS0_4arch9wavefront6targetE1EEEvSM_,comdat
.Lfunc_end1486:
	.size	_ZN7rocprim17ROCPRIM_400000_NS6detail17trampoline_kernelINS0_14default_configENS1_37merge_sort_block_sort_config_selectorIlNS0_10empty_typeEEEZNS1_21merge_sort_block_sortIS3_PlS8_PS5_S9_ZN2at6native12_GLOBAL__N_124unique_dim_cuda_templateIjEESt5tupleIJNSA_6TensorESF_SF_EERKSF_lbbbEUlllE_EE10hipError_tT0_T1_T2_T3_mRjT4_P12ihipStream_tbNS1_7vsmem_tEEUlT_E_NS1_11comp_targetILNS1_3genE10ELNS1_11target_archE1201ELNS1_3gpuE5ELNS1_3repE0EEENS1_30default_config_static_selectorELNS0_4arch9wavefront6targetE1EEEvSM_, .Lfunc_end1486-_ZN7rocprim17ROCPRIM_400000_NS6detail17trampoline_kernelINS0_14default_configENS1_37merge_sort_block_sort_config_selectorIlNS0_10empty_typeEEEZNS1_21merge_sort_block_sortIS3_PlS8_PS5_S9_ZN2at6native12_GLOBAL__N_124unique_dim_cuda_templateIjEESt5tupleIJNSA_6TensorESF_SF_EERKSF_lbbbEUlllE_EE10hipError_tT0_T1_T2_T3_mRjT4_P12ihipStream_tbNS1_7vsmem_tEEUlT_E_NS1_11comp_targetILNS1_3genE10ELNS1_11target_archE1201ELNS1_3gpuE5ELNS1_3repE0EEENS1_30default_config_static_selectorELNS0_4arch9wavefront6targetE1EEEvSM_
                                        ; -- End function
	.section	.AMDGPU.csdata,"",@progbits
; Kernel info:
; codeLenInByte = 0
; NumSgprs: 4
; NumVgprs: 0
; NumAgprs: 0
; TotalNumVgprs: 0
; ScratchSize: 0
; MemoryBound: 0
; FloatMode: 240
; IeeeMode: 1
; LDSByteSize: 0 bytes/workgroup (compile time only)
; SGPRBlocks: 0
; VGPRBlocks: 0
; NumSGPRsForWavesPerEU: 4
; NumVGPRsForWavesPerEU: 1
; AccumOffset: 4
; Occupancy: 8
; WaveLimiterHint : 0
; COMPUTE_PGM_RSRC2:SCRATCH_EN: 0
; COMPUTE_PGM_RSRC2:USER_SGPR: 6
; COMPUTE_PGM_RSRC2:TRAP_HANDLER: 0
; COMPUTE_PGM_RSRC2:TGID_X_EN: 1
; COMPUTE_PGM_RSRC2:TGID_Y_EN: 0
; COMPUTE_PGM_RSRC2:TGID_Z_EN: 0
; COMPUTE_PGM_RSRC2:TIDIG_COMP_CNT: 0
; COMPUTE_PGM_RSRC3_GFX90A:ACCUM_OFFSET: 0
; COMPUTE_PGM_RSRC3_GFX90A:TG_SPLIT: 0
	.section	.text._ZN7rocprim17ROCPRIM_400000_NS6detail17trampoline_kernelINS0_14default_configENS1_37merge_sort_block_sort_config_selectorIlNS0_10empty_typeEEEZNS1_21merge_sort_block_sortIS3_PlS8_PS5_S9_ZN2at6native12_GLOBAL__N_124unique_dim_cuda_templateIjEESt5tupleIJNSA_6TensorESF_SF_EERKSF_lbbbEUlllE_EE10hipError_tT0_T1_T2_T3_mRjT4_P12ihipStream_tbNS1_7vsmem_tEEUlT_E_NS1_11comp_targetILNS1_3genE10ELNS1_11target_archE1200ELNS1_3gpuE4ELNS1_3repE0EEENS1_30default_config_static_selectorELNS0_4arch9wavefront6targetE1EEEvSM_,"axG",@progbits,_ZN7rocprim17ROCPRIM_400000_NS6detail17trampoline_kernelINS0_14default_configENS1_37merge_sort_block_sort_config_selectorIlNS0_10empty_typeEEEZNS1_21merge_sort_block_sortIS3_PlS8_PS5_S9_ZN2at6native12_GLOBAL__N_124unique_dim_cuda_templateIjEESt5tupleIJNSA_6TensorESF_SF_EERKSF_lbbbEUlllE_EE10hipError_tT0_T1_T2_T3_mRjT4_P12ihipStream_tbNS1_7vsmem_tEEUlT_E_NS1_11comp_targetILNS1_3genE10ELNS1_11target_archE1200ELNS1_3gpuE4ELNS1_3repE0EEENS1_30default_config_static_selectorELNS0_4arch9wavefront6targetE1EEEvSM_,comdat
	.globl	_ZN7rocprim17ROCPRIM_400000_NS6detail17trampoline_kernelINS0_14default_configENS1_37merge_sort_block_sort_config_selectorIlNS0_10empty_typeEEEZNS1_21merge_sort_block_sortIS3_PlS8_PS5_S9_ZN2at6native12_GLOBAL__N_124unique_dim_cuda_templateIjEESt5tupleIJNSA_6TensorESF_SF_EERKSF_lbbbEUlllE_EE10hipError_tT0_T1_T2_T3_mRjT4_P12ihipStream_tbNS1_7vsmem_tEEUlT_E_NS1_11comp_targetILNS1_3genE10ELNS1_11target_archE1200ELNS1_3gpuE4ELNS1_3repE0EEENS1_30default_config_static_selectorELNS0_4arch9wavefront6targetE1EEEvSM_ ; -- Begin function _ZN7rocprim17ROCPRIM_400000_NS6detail17trampoline_kernelINS0_14default_configENS1_37merge_sort_block_sort_config_selectorIlNS0_10empty_typeEEEZNS1_21merge_sort_block_sortIS3_PlS8_PS5_S9_ZN2at6native12_GLOBAL__N_124unique_dim_cuda_templateIjEESt5tupleIJNSA_6TensorESF_SF_EERKSF_lbbbEUlllE_EE10hipError_tT0_T1_T2_T3_mRjT4_P12ihipStream_tbNS1_7vsmem_tEEUlT_E_NS1_11comp_targetILNS1_3genE10ELNS1_11target_archE1200ELNS1_3gpuE4ELNS1_3repE0EEENS1_30default_config_static_selectorELNS0_4arch9wavefront6targetE1EEEvSM_
	.p2align	8
	.type	_ZN7rocprim17ROCPRIM_400000_NS6detail17trampoline_kernelINS0_14default_configENS1_37merge_sort_block_sort_config_selectorIlNS0_10empty_typeEEEZNS1_21merge_sort_block_sortIS3_PlS8_PS5_S9_ZN2at6native12_GLOBAL__N_124unique_dim_cuda_templateIjEESt5tupleIJNSA_6TensorESF_SF_EERKSF_lbbbEUlllE_EE10hipError_tT0_T1_T2_T3_mRjT4_P12ihipStream_tbNS1_7vsmem_tEEUlT_E_NS1_11comp_targetILNS1_3genE10ELNS1_11target_archE1200ELNS1_3gpuE4ELNS1_3repE0EEENS1_30default_config_static_selectorELNS0_4arch9wavefront6targetE1EEEvSM_,@function
_ZN7rocprim17ROCPRIM_400000_NS6detail17trampoline_kernelINS0_14default_configENS1_37merge_sort_block_sort_config_selectorIlNS0_10empty_typeEEEZNS1_21merge_sort_block_sortIS3_PlS8_PS5_S9_ZN2at6native12_GLOBAL__N_124unique_dim_cuda_templateIjEESt5tupleIJNSA_6TensorESF_SF_EERKSF_lbbbEUlllE_EE10hipError_tT0_T1_T2_T3_mRjT4_P12ihipStream_tbNS1_7vsmem_tEEUlT_E_NS1_11comp_targetILNS1_3genE10ELNS1_11target_archE1200ELNS1_3gpuE4ELNS1_3repE0EEENS1_30default_config_static_selectorELNS0_4arch9wavefront6targetE1EEEvSM_: ; @_ZN7rocprim17ROCPRIM_400000_NS6detail17trampoline_kernelINS0_14default_configENS1_37merge_sort_block_sort_config_selectorIlNS0_10empty_typeEEEZNS1_21merge_sort_block_sortIS3_PlS8_PS5_S9_ZN2at6native12_GLOBAL__N_124unique_dim_cuda_templateIjEESt5tupleIJNSA_6TensorESF_SF_EERKSF_lbbbEUlllE_EE10hipError_tT0_T1_T2_T3_mRjT4_P12ihipStream_tbNS1_7vsmem_tEEUlT_E_NS1_11comp_targetILNS1_3genE10ELNS1_11target_archE1200ELNS1_3gpuE4ELNS1_3repE0EEENS1_30default_config_static_selectorELNS0_4arch9wavefront6targetE1EEEvSM_
; %bb.0:
	.section	.rodata,"a",@progbits
	.p2align	6, 0x0
	.amdhsa_kernel _ZN7rocprim17ROCPRIM_400000_NS6detail17trampoline_kernelINS0_14default_configENS1_37merge_sort_block_sort_config_selectorIlNS0_10empty_typeEEEZNS1_21merge_sort_block_sortIS3_PlS8_PS5_S9_ZN2at6native12_GLOBAL__N_124unique_dim_cuda_templateIjEESt5tupleIJNSA_6TensorESF_SF_EERKSF_lbbbEUlllE_EE10hipError_tT0_T1_T2_T3_mRjT4_P12ihipStream_tbNS1_7vsmem_tEEUlT_E_NS1_11comp_targetILNS1_3genE10ELNS1_11target_archE1200ELNS1_3gpuE4ELNS1_3repE0EEENS1_30default_config_static_selectorELNS0_4arch9wavefront6targetE1EEEvSM_
		.amdhsa_group_segment_fixed_size 0
		.amdhsa_private_segment_fixed_size 0
		.amdhsa_kernarg_size 72
		.amdhsa_user_sgpr_count 6
		.amdhsa_user_sgpr_private_segment_buffer 1
		.amdhsa_user_sgpr_dispatch_ptr 0
		.amdhsa_user_sgpr_queue_ptr 0
		.amdhsa_user_sgpr_kernarg_segment_ptr 1
		.amdhsa_user_sgpr_dispatch_id 0
		.amdhsa_user_sgpr_flat_scratch_init 0
		.amdhsa_user_sgpr_kernarg_preload_length 0
		.amdhsa_user_sgpr_kernarg_preload_offset 0
		.amdhsa_user_sgpr_private_segment_size 0
		.amdhsa_uses_dynamic_stack 0
		.amdhsa_system_sgpr_private_segment_wavefront_offset 0
		.amdhsa_system_sgpr_workgroup_id_x 1
		.amdhsa_system_sgpr_workgroup_id_y 0
		.amdhsa_system_sgpr_workgroup_id_z 0
		.amdhsa_system_sgpr_workgroup_info 0
		.amdhsa_system_vgpr_workitem_id 0
		.amdhsa_next_free_vgpr 1
		.amdhsa_next_free_sgpr 0
		.amdhsa_accum_offset 4
		.amdhsa_reserve_vcc 0
		.amdhsa_reserve_flat_scratch 0
		.amdhsa_float_round_mode_32 0
		.amdhsa_float_round_mode_16_64 0
		.amdhsa_float_denorm_mode_32 3
		.amdhsa_float_denorm_mode_16_64 3
		.amdhsa_dx10_clamp 1
		.amdhsa_ieee_mode 1
		.amdhsa_fp16_overflow 0
		.amdhsa_tg_split 0
		.amdhsa_exception_fp_ieee_invalid_op 0
		.amdhsa_exception_fp_denorm_src 0
		.amdhsa_exception_fp_ieee_div_zero 0
		.amdhsa_exception_fp_ieee_overflow 0
		.amdhsa_exception_fp_ieee_underflow 0
		.amdhsa_exception_fp_ieee_inexact 0
		.amdhsa_exception_int_div_zero 0
	.end_amdhsa_kernel
	.section	.text._ZN7rocprim17ROCPRIM_400000_NS6detail17trampoline_kernelINS0_14default_configENS1_37merge_sort_block_sort_config_selectorIlNS0_10empty_typeEEEZNS1_21merge_sort_block_sortIS3_PlS8_PS5_S9_ZN2at6native12_GLOBAL__N_124unique_dim_cuda_templateIjEESt5tupleIJNSA_6TensorESF_SF_EERKSF_lbbbEUlllE_EE10hipError_tT0_T1_T2_T3_mRjT4_P12ihipStream_tbNS1_7vsmem_tEEUlT_E_NS1_11comp_targetILNS1_3genE10ELNS1_11target_archE1200ELNS1_3gpuE4ELNS1_3repE0EEENS1_30default_config_static_selectorELNS0_4arch9wavefront6targetE1EEEvSM_,"axG",@progbits,_ZN7rocprim17ROCPRIM_400000_NS6detail17trampoline_kernelINS0_14default_configENS1_37merge_sort_block_sort_config_selectorIlNS0_10empty_typeEEEZNS1_21merge_sort_block_sortIS3_PlS8_PS5_S9_ZN2at6native12_GLOBAL__N_124unique_dim_cuda_templateIjEESt5tupleIJNSA_6TensorESF_SF_EERKSF_lbbbEUlllE_EE10hipError_tT0_T1_T2_T3_mRjT4_P12ihipStream_tbNS1_7vsmem_tEEUlT_E_NS1_11comp_targetILNS1_3genE10ELNS1_11target_archE1200ELNS1_3gpuE4ELNS1_3repE0EEENS1_30default_config_static_selectorELNS0_4arch9wavefront6targetE1EEEvSM_,comdat
.Lfunc_end1487:
	.size	_ZN7rocprim17ROCPRIM_400000_NS6detail17trampoline_kernelINS0_14default_configENS1_37merge_sort_block_sort_config_selectorIlNS0_10empty_typeEEEZNS1_21merge_sort_block_sortIS3_PlS8_PS5_S9_ZN2at6native12_GLOBAL__N_124unique_dim_cuda_templateIjEESt5tupleIJNSA_6TensorESF_SF_EERKSF_lbbbEUlllE_EE10hipError_tT0_T1_T2_T3_mRjT4_P12ihipStream_tbNS1_7vsmem_tEEUlT_E_NS1_11comp_targetILNS1_3genE10ELNS1_11target_archE1200ELNS1_3gpuE4ELNS1_3repE0EEENS1_30default_config_static_selectorELNS0_4arch9wavefront6targetE1EEEvSM_, .Lfunc_end1487-_ZN7rocprim17ROCPRIM_400000_NS6detail17trampoline_kernelINS0_14default_configENS1_37merge_sort_block_sort_config_selectorIlNS0_10empty_typeEEEZNS1_21merge_sort_block_sortIS3_PlS8_PS5_S9_ZN2at6native12_GLOBAL__N_124unique_dim_cuda_templateIjEESt5tupleIJNSA_6TensorESF_SF_EERKSF_lbbbEUlllE_EE10hipError_tT0_T1_T2_T3_mRjT4_P12ihipStream_tbNS1_7vsmem_tEEUlT_E_NS1_11comp_targetILNS1_3genE10ELNS1_11target_archE1200ELNS1_3gpuE4ELNS1_3repE0EEENS1_30default_config_static_selectorELNS0_4arch9wavefront6targetE1EEEvSM_
                                        ; -- End function
	.section	.AMDGPU.csdata,"",@progbits
; Kernel info:
; codeLenInByte = 0
; NumSgprs: 4
; NumVgprs: 0
; NumAgprs: 0
; TotalNumVgprs: 0
; ScratchSize: 0
; MemoryBound: 0
; FloatMode: 240
; IeeeMode: 1
; LDSByteSize: 0 bytes/workgroup (compile time only)
; SGPRBlocks: 0
; VGPRBlocks: 0
; NumSGPRsForWavesPerEU: 4
; NumVGPRsForWavesPerEU: 1
; AccumOffset: 4
; Occupancy: 8
; WaveLimiterHint : 0
; COMPUTE_PGM_RSRC2:SCRATCH_EN: 0
; COMPUTE_PGM_RSRC2:USER_SGPR: 6
; COMPUTE_PGM_RSRC2:TRAP_HANDLER: 0
; COMPUTE_PGM_RSRC2:TGID_X_EN: 1
; COMPUTE_PGM_RSRC2:TGID_Y_EN: 0
; COMPUTE_PGM_RSRC2:TGID_Z_EN: 0
; COMPUTE_PGM_RSRC2:TIDIG_COMP_CNT: 0
; COMPUTE_PGM_RSRC3_GFX90A:ACCUM_OFFSET: 0
; COMPUTE_PGM_RSRC3_GFX90A:TG_SPLIT: 0
	.section	.text._ZN7rocprim17ROCPRIM_400000_NS6detail17trampoline_kernelINS0_14default_configENS1_37merge_sort_block_sort_config_selectorIlNS0_10empty_typeEEEZNS1_21merge_sort_block_sortIS3_PlS8_PS5_S9_ZN2at6native12_GLOBAL__N_124unique_dim_cuda_templateIjEESt5tupleIJNSA_6TensorESF_SF_EERKSF_lbbbEUlllE_EE10hipError_tT0_T1_T2_T3_mRjT4_P12ihipStream_tbNS1_7vsmem_tEEUlT_E_NS1_11comp_targetILNS1_3genE9ELNS1_11target_archE1100ELNS1_3gpuE3ELNS1_3repE0EEENS1_30default_config_static_selectorELNS0_4arch9wavefront6targetE1EEEvSM_,"axG",@progbits,_ZN7rocprim17ROCPRIM_400000_NS6detail17trampoline_kernelINS0_14default_configENS1_37merge_sort_block_sort_config_selectorIlNS0_10empty_typeEEEZNS1_21merge_sort_block_sortIS3_PlS8_PS5_S9_ZN2at6native12_GLOBAL__N_124unique_dim_cuda_templateIjEESt5tupleIJNSA_6TensorESF_SF_EERKSF_lbbbEUlllE_EE10hipError_tT0_T1_T2_T3_mRjT4_P12ihipStream_tbNS1_7vsmem_tEEUlT_E_NS1_11comp_targetILNS1_3genE9ELNS1_11target_archE1100ELNS1_3gpuE3ELNS1_3repE0EEENS1_30default_config_static_selectorELNS0_4arch9wavefront6targetE1EEEvSM_,comdat
	.globl	_ZN7rocprim17ROCPRIM_400000_NS6detail17trampoline_kernelINS0_14default_configENS1_37merge_sort_block_sort_config_selectorIlNS0_10empty_typeEEEZNS1_21merge_sort_block_sortIS3_PlS8_PS5_S9_ZN2at6native12_GLOBAL__N_124unique_dim_cuda_templateIjEESt5tupleIJNSA_6TensorESF_SF_EERKSF_lbbbEUlllE_EE10hipError_tT0_T1_T2_T3_mRjT4_P12ihipStream_tbNS1_7vsmem_tEEUlT_E_NS1_11comp_targetILNS1_3genE9ELNS1_11target_archE1100ELNS1_3gpuE3ELNS1_3repE0EEENS1_30default_config_static_selectorELNS0_4arch9wavefront6targetE1EEEvSM_ ; -- Begin function _ZN7rocprim17ROCPRIM_400000_NS6detail17trampoline_kernelINS0_14default_configENS1_37merge_sort_block_sort_config_selectorIlNS0_10empty_typeEEEZNS1_21merge_sort_block_sortIS3_PlS8_PS5_S9_ZN2at6native12_GLOBAL__N_124unique_dim_cuda_templateIjEESt5tupleIJNSA_6TensorESF_SF_EERKSF_lbbbEUlllE_EE10hipError_tT0_T1_T2_T3_mRjT4_P12ihipStream_tbNS1_7vsmem_tEEUlT_E_NS1_11comp_targetILNS1_3genE9ELNS1_11target_archE1100ELNS1_3gpuE3ELNS1_3repE0EEENS1_30default_config_static_selectorELNS0_4arch9wavefront6targetE1EEEvSM_
	.p2align	8
	.type	_ZN7rocprim17ROCPRIM_400000_NS6detail17trampoline_kernelINS0_14default_configENS1_37merge_sort_block_sort_config_selectorIlNS0_10empty_typeEEEZNS1_21merge_sort_block_sortIS3_PlS8_PS5_S9_ZN2at6native12_GLOBAL__N_124unique_dim_cuda_templateIjEESt5tupleIJNSA_6TensorESF_SF_EERKSF_lbbbEUlllE_EE10hipError_tT0_T1_T2_T3_mRjT4_P12ihipStream_tbNS1_7vsmem_tEEUlT_E_NS1_11comp_targetILNS1_3genE9ELNS1_11target_archE1100ELNS1_3gpuE3ELNS1_3repE0EEENS1_30default_config_static_selectorELNS0_4arch9wavefront6targetE1EEEvSM_,@function
_ZN7rocprim17ROCPRIM_400000_NS6detail17trampoline_kernelINS0_14default_configENS1_37merge_sort_block_sort_config_selectorIlNS0_10empty_typeEEEZNS1_21merge_sort_block_sortIS3_PlS8_PS5_S9_ZN2at6native12_GLOBAL__N_124unique_dim_cuda_templateIjEESt5tupleIJNSA_6TensorESF_SF_EERKSF_lbbbEUlllE_EE10hipError_tT0_T1_T2_T3_mRjT4_P12ihipStream_tbNS1_7vsmem_tEEUlT_E_NS1_11comp_targetILNS1_3genE9ELNS1_11target_archE1100ELNS1_3gpuE3ELNS1_3repE0EEENS1_30default_config_static_selectorELNS0_4arch9wavefront6targetE1EEEvSM_: ; @_ZN7rocprim17ROCPRIM_400000_NS6detail17trampoline_kernelINS0_14default_configENS1_37merge_sort_block_sort_config_selectorIlNS0_10empty_typeEEEZNS1_21merge_sort_block_sortIS3_PlS8_PS5_S9_ZN2at6native12_GLOBAL__N_124unique_dim_cuda_templateIjEESt5tupleIJNSA_6TensorESF_SF_EERKSF_lbbbEUlllE_EE10hipError_tT0_T1_T2_T3_mRjT4_P12ihipStream_tbNS1_7vsmem_tEEUlT_E_NS1_11comp_targetILNS1_3genE9ELNS1_11target_archE1100ELNS1_3gpuE3ELNS1_3repE0EEENS1_30default_config_static_selectorELNS0_4arch9wavefront6targetE1EEEvSM_
; %bb.0:
	.section	.rodata,"a",@progbits
	.p2align	6, 0x0
	.amdhsa_kernel _ZN7rocprim17ROCPRIM_400000_NS6detail17trampoline_kernelINS0_14default_configENS1_37merge_sort_block_sort_config_selectorIlNS0_10empty_typeEEEZNS1_21merge_sort_block_sortIS3_PlS8_PS5_S9_ZN2at6native12_GLOBAL__N_124unique_dim_cuda_templateIjEESt5tupleIJNSA_6TensorESF_SF_EERKSF_lbbbEUlllE_EE10hipError_tT0_T1_T2_T3_mRjT4_P12ihipStream_tbNS1_7vsmem_tEEUlT_E_NS1_11comp_targetILNS1_3genE9ELNS1_11target_archE1100ELNS1_3gpuE3ELNS1_3repE0EEENS1_30default_config_static_selectorELNS0_4arch9wavefront6targetE1EEEvSM_
		.amdhsa_group_segment_fixed_size 0
		.amdhsa_private_segment_fixed_size 0
		.amdhsa_kernarg_size 72
		.amdhsa_user_sgpr_count 6
		.amdhsa_user_sgpr_private_segment_buffer 1
		.amdhsa_user_sgpr_dispatch_ptr 0
		.amdhsa_user_sgpr_queue_ptr 0
		.amdhsa_user_sgpr_kernarg_segment_ptr 1
		.amdhsa_user_sgpr_dispatch_id 0
		.amdhsa_user_sgpr_flat_scratch_init 0
		.amdhsa_user_sgpr_kernarg_preload_length 0
		.amdhsa_user_sgpr_kernarg_preload_offset 0
		.amdhsa_user_sgpr_private_segment_size 0
		.amdhsa_uses_dynamic_stack 0
		.amdhsa_system_sgpr_private_segment_wavefront_offset 0
		.amdhsa_system_sgpr_workgroup_id_x 1
		.amdhsa_system_sgpr_workgroup_id_y 0
		.amdhsa_system_sgpr_workgroup_id_z 0
		.amdhsa_system_sgpr_workgroup_info 0
		.amdhsa_system_vgpr_workitem_id 0
		.amdhsa_next_free_vgpr 1
		.amdhsa_next_free_sgpr 0
		.amdhsa_accum_offset 4
		.amdhsa_reserve_vcc 0
		.amdhsa_reserve_flat_scratch 0
		.amdhsa_float_round_mode_32 0
		.amdhsa_float_round_mode_16_64 0
		.amdhsa_float_denorm_mode_32 3
		.amdhsa_float_denorm_mode_16_64 3
		.amdhsa_dx10_clamp 1
		.amdhsa_ieee_mode 1
		.amdhsa_fp16_overflow 0
		.amdhsa_tg_split 0
		.amdhsa_exception_fp_ieee_invalid_op 0
		.amdhsa_exception_fp_denorm_src 0
		.amdhsa_exception_fp_ieee_div_zero 0
		.amdhsa_exception_fp_ieee_overflow 0
		.amdhsa_exception_fp_ieee_underflow 0
		.amdhsa_exception_fp_ieee_inexact 0
		.amdhsa_exception_int_div_zero 0
	.end_amdhsa_kernel
	.section	.text._ZN7rocprim17ROCPRIM_400000_NS6detail17trampoline_kernelINS0_14default_configENS1_37merge_sort_block_sort_config_selectorIlNS0_10empty_typeEEEZNS1_21merge_sort_block_sortIS3_PlS8_PS5_S9_ZN2at6native12_GLOBAL__N_124unique_dim_cuda_templateIjEESt5tupleIJNSA_6TensorESF_SF_EERKSF_lbbbEUlllE_EE10hipError_tT0_T1_T2_T3_mRjT4_P12ihipStream_tbNS1_7vsmem_tEEUlT_E_NS1_11comp_targetILNS1_3genE9ELNS1_11target_archE1100ELNS1_3gpuE3ELNS1_3repE0EEENS1_30default_config_static_selectorELNS0_4arch9wavefront6targetE1EEEvSM_,"axG",@progbits,_ZN7rocprim17ROCPRIM_400000_NS6detail17trampoline_kernelINS0_14default_configENS1_37merge_sort_block_sort_config_selectorIlNS0_10empty_typeEEEZNS1_21merge_sort_block_sortIS3_PlS8_PS5_S9_ZN2at6native12_GLOBAL__N_124unique_dim_cuda_templateIjEESt5tupleIJNSA_6TensorESF_SF_EERKSF_lbbbEUlllE_EE10hipError_tT0_T1_T2_T3_mRjT4_P12ihipStream_tbNS1_7vsmem_tEEUlT_E_NS1_11comp_targetILNS1_3genE9ELNS1_11target_archE1100ELNS1_3gpuE3ELNS1_3repE0EEENS1_30default_config_static_selectorELNS0_4arch9wavefront6targetE1EEEvSM_,comdat
.Lfunc_end1488:
	.size	_ZN7rocprim17ROCPRIM_400000_NS6detail17trampoline_kernelINS0_14default_configENS1_37merge_sort_block_sort_config_selectorIlNS0_10empty_typeEEEZNS1_21merge_sort_block_sortIS3_PlS8_PS5_S9_ZN2at6native12_GLOBAL__N_124unique_dim_cuda_templateIjEESt5tupleIJNSA_6TensorESF_SF_EERKSF_lbbbEUlllE_EE10hipError_tT0_T1_T2_T3_mRjT4_P12ihipStream_tbNS1_7vsmem_tEEUlT_E_NS1_11comp_targetILNS1_3genE9ELNS1_11target_archE1100ELNS1_3gpuE3ELNS1_3repE0EEENS1_30default_config_static_selectorELNS0_4arch9wavefront6targetE1EEEvSM_, .Lfunc_end1488-_ZN7rocprim17ROCPRIM_400000_NS6detail17trampoline_kernelINS0_14default_configENS1_37merge_sort_block_sort_config_selectorIlNS0_10empty_typeEEEZNS1_21merge_sort_block_sortIS3_PlS8_PS5_S9_ZN2at6native12_GLOBAL__N_124unique_dim_cuda_templateIjEESt5tupleIJNSA_6TensorESF_SF_EERKSF_lbbbEUlllE_EE10hipError_tT0_T1_T2_T3_mRjT4_P12ihipStream_tbNS1_7vsmem_tEEUlT_E_NS1_11comp_targetILNS1_3genE9ELNS1_11target_archE1100ELNS1_3gpuE3ELNS1_3repE0EEENS1_30default_config_static_selectorELNS0_4arch9wavefront6targetE1EEEvSM_
                                        ; -- End function
	.section	.AMDGPU.csdata,"",@progbits
; Kernel info:
; codeLenInByte = 0
; NumSgprs: 4
; NumVgprs: 0
; NumAgprs: 0
; TotalNumVgprs: 0
; ScratchSize: 0
; MemoryBound: 0
; FloatMode: 240
; IeeeMode: 1
; LDSByteSize: 0 bytes/workgroup (compile time only)
; SGPRBlocks: 0
; VGPRBlocks: 0
; NumSGPRsForWavesPerEU: 4
; NumVGPRsForWavesPerEU: 1
; AccumOffset: 4
; Occupancy: 8
; WaveLimiterHint : 0
; COMPUTE_PGM_RSRC2:SCRATCH_EN: 0
; COMPUTE_PGM_RSRC2:USER_SGPR: 6
; COMPUTE_PGM_RSRC2:TRAP_HANDLER: 0
; COMPUTE_PGM_RSRC2:TGID_X_EN: 1
; COMPUTE_PGM_RSRC2:TGID_Y_EN: 0
; COMPUTE_PGM_RSRC2:TGID_Z_EN: 0
; COMPUTE_PGM_RSRC2:TIDIG_COMP_CNT: 0
; COMPUTE_PGM_RSRC3_GFX90A:ACCUM_OFFSET: 0
; COMPUTE_PGM_RSRC3_GFX90A:TG_SPLIT: 0
	.section	.text._ZN7rocprim17ROCPRIM_400000_NS6detail17trampoline_kernelINS0_14default_configENS1_37merge_sort_block_sort_config_selectorIlNS0_10empty_typeEEEZNS1_21merge_sort_block_sortIS3_PlS8_PS5_S9_ZN2at6native12_GLOBAL__N_124unique_dim_cuda_templateIjEESt5tupleIJNSA_6TensorESF_SF_EERKSF_lbbbEUlllE_EE10hipError_tT0_T1_T2_T3_mRjT4_P12ihipStream_tbNS1_7vsmem_tEEUlT_E_NS1_11comp_targetILNS1_3genE8ELNS1_11target_archE1030ELNS1_3gpuE2ELNS1_3repE0EEENS1_30default_config_static_selectorELNS0_4arch9wavefront6targetE1EEEvSM_,"axG",@progbits,_ZN7rocprim17ROCPRIM_400000_NS6detail17trampoline_kernelINS0_14default_configENS1_37merge_sort_block_sort_config_selectorIlNS0_10empty_typeEEEZNS1_21merge_sort_block_sortIS3_PlS8_PS5_S9_ZN2at6native12_GLOBAL__N_124unique_dim_cuda_templateIjEESt5tupleIJNSA_6TensorESF_SF_EERKSF_lbbbEUlllE_EE10hipError_tT0_T1_T2_T3_mRjT4_P12ihipStream_tbNS1_7vsmem_tEEUlT_E_NS1_11comp_targetILNS1_3genE8ELNS1_11target_archE1030ELNS1_3gpuE2ELNS1_3repE0EEENS1_30default_config_static_selectorELNS0_4arch9wavefront6targetE1EEEvSM_,comdat
	.globl	_ZN7rocprim17ROCPRIM_400000_NS6detail17trampoline_kernelINS0_14default_configENS1_37merge_sort_block_sort_config_selectorIlNS0_10empty_typeEEEZNS1_21merge_sort_block_sortIS3_PlS8_PS5_S9_ZN2at6native12_GLOBAL__N_124unique_dim_cuda_templateIjEESt5tupleIJNSA_6TensorESF_SF_EERKSF_lbbbEUlllE_EE10hipError_tT0_T1_T2_T3_mRjT4_P12ihipStream_tbNS1_7vsmem_tEEUlT_E_NS1_11comp_targetILNS1_3genE8ELNS1_11target_archE1030ELNS1_3gpuE2ELNS1_3repE0EEENS1_30default_config_static_selectorELNS0_4arch9wavefront6targetE1EEEvSM_ ; -- Begin function _ZN7rocprim17ROCPRIM_400000_NS6detail17trampoline_kernelINS0_14default_configENS1_37merge_sort_block_sort_config_selectorIlNS0_10empty_typeEEEZNS1_21merge_sort_block_sortIS3_PlS8_PS5_S9_ZN2at6native12_GLOBAL__N_124unique_dim_cuda_templateIjEESt5tupleIJNSA_6TensorESF_SF_EERKSF_lbbbEUlllE_EE10hipError_tT0_T1_T2_T3_mRjT4_P12ihipStream_tbNS1_7vsmem_tEEUlT_E_NS1_11comp_targetILNS1_3genE8ELNS1_11target_archE1030ELNS1_3gpuE2ELNS1_3repE0EEENS1_30default_config_static_selectorELNS0_4arch9wavefront6targetE1EEEvSM_
	.p2align	8
	.type	_ZN7rocprim17ROCPRIM_400000_NS6detail17trampoline_kernelINS0_14default_configENS1_37merge_sort_block_sort_config_selectorIlNS0_10empty_typeEEEZNS1_21merge_sort_block_sortIS3_PlS8_PS5_S9_ZN2at6native12_GLOBAL__N_124unique_dim_cuda_templateIjEESt5tupleIJNSA_6TensorESF_SF_EERKSF_lbbbEUlllE_EE10hipError_tT0_T1_T2_T3_mRjT4_P12ihipStream_tbNS1_7vsmem_tEEUlT_E_NS1_11comp_targetILNS1_3genE8ELNS1_11target_archE1030ELNS1_3gpuE2ELNS1_3repE0EEENS1_30default_config_static_selectorELNS0_4arch9wavefront6targetE1EEEvSM_,@function
_ZN7rocprim17ROCPRIM_400000_NS6detail17trampoline_kernelINS0_14default_configENS1_37merge_sort_block_sort_config_selectorIlNS0_10empty_typeEEEZNS1_21merge_sort_block_sortIS3_PlS8_PS5_S9_ZN2at6native12_GLOBAL__N_124unique_dim_cuda_templateIjEESt5tupleIJNSA_6TensorESF_SF_EERKSF_lbbbEUlllE_EE10hipError_tT0_T1_T2_T3_mRjT4_P12ihipStream_tbNS1_7vsmem_tEEUlT_E_NS1_11comp_targetILNS1_3genE8ELNS1_11target_archE1030ELNS1_3gpuE2ELNS1_3repE0EEENS1_30default_config_static_selectorELNS0_4arch9wavefront6targetE1EEEvSM_: ; @_ZN7rocprim17ROCPRIM_400000_NS6detail17trampoline_kernelINS0_14default_configENS1_37merge_sort_block_sort_config_selectorIlNS0_10empty_typeEEEZNS1_21merge_sort_block_sortIS3_PlS8_PS5_S9_ZN2at6native12_GLOBAL__N_124unique_dim_cuda_templateIjEESt5tupleIJNSA_6TensorESF_SF_EERKSF_lbbbEUlllE_EE10hipError_tT0_T1_T2_T3_mRjT4_P12ihipStream_tbNS1_7vsmem_tEEUlT_E_NS1_11comp_targetILNS1_3genE8ELNS1_11target_archE1030ELNS1_3gpuE2ELNS1_3repE0EEENS1_30default_config_static_selectorELNS0_4arch9wavefront6targetE1EEEvSM_
; %bb.0:
	.section	.rodata,"a",@progbits
	.p2align	6, 0x0
	.amdhsa_kernel _ZN7rocprim17ROCPRIM_400000_NS6detail17trampoline_kernelINS0_14default_configENS1_37merge_sort_block_sort_config_selectorIlNS0_10empty_typeEEEZNS1_21merge_sort_block_sortIS3_PlS8_PS5_S9_ZN2at6native12_GLOBAL__N_124unique_dim_cuda_templateIjEESt5tupleIJNSA_6TensorESF_SF_EERKSF_lbbbEUlllE_EE10hipError_tT0_T1_T2_T3_mRjT4_P12ihipStream_tbNS1_7vsmem_tEEUlT_E_NS1_11comp_targetILNS1_3genE8ELNS1_11target_archE1030ELNS1_3gpuE2ELNS1_3repE0EEENS1_30default_config_static_selectorELNS0_4arch9wavefront6targetE1EEEvSM_
		.amdhsa_group_segment_fixed_size 0
		.amdhsa_private_segment_fixed_size 0
		.amdhsa_kernarg_size 72
		.amdhsa_user_sgpr_count 6
		.amdhsa_user_sgpr_private_segment_buffer 1
		.amdhsa_user_sgpr_dispatch_ptr 0
		.amdhsa_user_sgpr_queue_ptr 0
		.amdhsa_user_sgpr_kernarg_segment_ptr 1
		.amdhsa_user_sgpr_dispatch_id 0
		.amdhsa_user_sgpr_flat_scratch_init 0
		.amdhsa_user_sgpr_kernarg_preload_length 0
		.amdhsa_user_sgpr_kernarg_preload_offset 0
		.amdhsa_user_sgpr_private_segment_size 0
		.amdhsa_uses_dynamic_stack 0
		.amdhsa_system_sgpr_private_segment_wavefront_offset 0
		.amdhsa_system_sgpr_workgroup_id_x 1
		.amdhsa_system_sgpr_workgroup_id_y 0
		.amdhsa_system_sgpr_workgroup_id_z 0
		.amdhsa_system_sgpr_workgroup_info 0
		.amdhsa_system_vgpr_workitem_id 0
		.amdhsa_next_free_vgpr 1
		.amdhsa_next_free_sgpr 0
		.amdhsa_accum_offset 4
		.amdhsa_reserve_vcc 0
		.amdhsa_reserve_flat_scratch 0
		.amdhsa_float_round_mode_32 0
		.amdhsa_float_round_mode_16_64 0
		.amdhsa_float_denorm_mode_32 3
		.amdhsa_float_denorm_mode_16_64 3
		.amdhsa_dx10_clamp 1
		.amdhsa_ieee_mode 1
		.amdhsa_fp16_overflow 0
		.amdhsa_tg_split 0
		.amdhsa_exception_fp_ieee_invalid_op 0
		.amdhsa_exception_fp_denorm_src 0
		.amdhsa_exception_fp_ieee_div_zero 0
		.amdhsa_exception_fp_ieee_overflow 0
		.amdhsa_exception_fp_ieee_underflow 0
		.amdhsa_exception_fp_ieee_inexact 0
		.amdhsa_exception_int_div_zero 0
	.end_amdhsa_kernel
	.section	.text._ZN7rocprim17ROCPRIM_400000_NS6detail17trampoline_kernelINS0_14default_configENS1_37merge_sort_block_sort_config_selectorIlNS0_10empty_typeEEEZNS1_21merge_sort_block_sortIS3_PlS8_PS5_S9_ZN2at6native12_GLOBAL__N_124unique_dim_cuda_templateIjEESt5tupleIJNSA_6TensorESF_SF_EERKSF_lbbbEUlllE_EE10hipError_tT0_T1_T2_T3_mRjT4_P12ihipStream_tbNS1_7vsmem_tEEUlT_E_NS1_11comp_targetILNS1_3genE8ELNS1_11target_archE1030ELNS1_3gpuE2ELNS1_3repE0EEENS1_30default_config_static_selectorELNS0_4arch9wavefront6targetE1EEEvSM_,"axG",@progbits,_ZN7rocprim17ROCPRIM_400000_NS6detail17trampoline_kernelINS0_14default_configENS1_37merge_sort_block_sort_config_selectorIlNS0_10empty_typeEEEZNS1_21merge_sort_block_sortIS3_PlS8_PS5_S9_ZN2at6native12_GLOBAL__N_124unique_dim_cuda_templateIjEESt5tupleIJNSA_6TensorESF_SF_EERKSF_lbbbEUlllE_EE10hipError_tT0_T1_T2_T3_mRjT4_P12ihipStream_tbNS1_7vsmem_tEEUlT_E_NS1_11comp_targetILNS1_3genE8ELNS1_11target_archE1030ELNS1_3gpuE2ELNS1_3repE0EEENS1_30default_config_static_selectorELNS0_4arch9wavefront6targetE1EEEvSM_,comdat
.Lfunc_end1489:
	.size	_ZN7rocprim17ROCPRIM_400000_NS6detail17trampoline_kernelINS0_14default_configENS1_37merge_sort_block_sort_config_selectorIlNS0_10empty_typeEEEZNS1_21merge_sort_block_sortIS3_PlS8_PS5_S9_ZN2at6native12_GLOBAL__N_124unique_dim_cuda_templateIjEESt5tupleIJNSA_6TensorESF_SF_EERKSF_lbbbEUlllE_EE10hipError_tT0_T1_T2_T3_mRjT4_P12ihipStream_tbNS1_7vsmem_tEEUlT_E_NS1_11comp_targetILNS1_3genE8ELNS1_11target_archE1030ELNS1_3gpuE2ELNS1_3repE0EEENS1_30default_config_static_selectorELNS0_4arch9wavefront6targetE1EEEvSM_, .Lfunc_end1489-_ZN7rocprim17ROCPRIM_400000_NS6detail17trampoline_kernelINS0_14default_configENS1_37merge_sort_block_sort_config_selectorIlNS0_10empty_typeEEEZNS1_21merge_sort_block_sortIS3_PlS8_PS5_S9_ZN2at6native12_GLOBAL__N_124unique_dim_cuda_templateIjEESt5tupleIJNSA_6TensorESF_SF_EERKSF_lbbbEUlllE_EE10hipError_tT0_T1_T2_T3_mRjT4_P12ihipStream_tbNS1_7vsmem_tEEUlT_E_NS1_11comp_targetILNS1_3genE8ELNS1_11target_archE1030ELNS1_3gpuE2ELNS1_3repE0EEENS1_30default_config_static_selectorELNS0_4arch9wavefront6targetE1EEEvSM_
                                        ; -- End function
	.section	.AMDGPU.csdata,"",@progbits
; Kernel info:
; codeLenInByte = 0
; NumSgprs: 4
; NumVgprs: 0
; NumAgprs: 0
; TotalNumVgprs: 0
; ScratchSize: 0
; MemoryBound: 0
; FloatMode: 240
; IeeeMode: 1
; LDSByteSize: 0 bytes/workgroup (compile time only)
; SGPRBlocks: 0
; VGPRBlocks: 0
; NumSGPRsForWavesPerEU: 4
; NumVGPRsForWavesPerEU: 1
; AccumOffset: 4
; Occupancy: 8
; WaveLimiterHint : 0
; COMPUTE_PGM_RSRC2:SCRATCH_EN: 0
; COMPUTE_PGM_RSRC2:USER_SGPR: 6
; COMPUTE_PGM_RSRC2:TRAP_HANDLER: 0
; COMPUTE_PGM_RSRC2:TGID_X_EN: 1
; COMPUTE_PGM_RSRC2:TGID_Y_EN: 0
; COMPUTE_PGM_RSRC2:TGID_Z_EN: 0
; COMPUTE_PGM_RSRC2:TIDIG_COMP_CNT: 0
; COMPUTE_PGM_RSRC3_GFX90A:ACCUM_OFFSET: 0
; COMPUTE_PGM_RSRC3_GFX90A:TG_SPLIT: 0
	.section	.text._ZN7rocprim17ROCPRIM_400000_NS6detail17trampoline_kernelINS0_14default_configENS1_38merge_sort_block_merge_config_selectorIlNS0_10empty_typeEEEZZNS1_27merge_sort_block_merge_implIS3_PlPS5_mZN2at6native12_GLOBAL__N_124unique_dim_cuda_templateIjEESt5tupleIJNSA_6TensorESF_SF_EERKSF_lbbbEUlllE_EE10hipError_tT0_T1_T2_jT3_P12ihipStream_tbPNSt15iterator_traitsISL_E10value_typeEPNSR_ISM_E10value_typeEPSN_NS1_7vsmem_tEENKUlT_SL_SM_SN_E_clIS8_S8_S9_S9_EESK_S10_SL_SM_SN_EUlS10_E_NS1_11comp_targetILNS1_3genE0ELNS1_11target_archE4294967295ELNS1_3gpuE0ELNS1_3repE0EEENS1_48merge_mergepath_partition_config_static_selectorELNS0_4arch9wavefront6targetE1EEEvSM_,"axG",@progbits,_ZN7rocprim17ROCPRIM_400000_NS6detail17trampoline_kernelINS0_14default_configENS1_38merge_sort_block_merge_config_selectorIlNS0_10empty_typeEEEZZNS1_27merge_sort_block_merge_implIS3_PlPS5_mZN2at6native12_GLOBAL__N_124unique_dim_cuda_templateIjEESt5tupleIJNSA_6TensorESF_SF_EERKSF_lbbbEUlllE_EE10hipError_tT0_T1_T2_jT3_P12ihipStream_tbPNSt15iterator_traitsISL_E10value_typeEPNSR_ISM_E10value_typeEPSN_NS1_7vsmem_tEENKUlT_SL_SM_SN_E_clIS8_S8_S9_S9_EESK_S10_SL_SM_SN_EUlS10_E_NS1_11comp_targetILNS1_3genE0ELNS1_11target_archE4294967295ELNS1_3gpuE0ELNS1_3repE0EEENS1_48merge_mergepath_partition_config_static_selectorELNS0_4arch9wavefront6targetE1EEEvSM_,comdat
	.globl	_ZN7rocprim17ROCPRIM_400000_NS6detail17trampoline_kernelINS0_14default_configENS1_38merge_sort_block_merge_config_selectorIlNS0_10empty_typeEEEZZNS1_27merge_sort_block_merge_implIS3_PlPS5_mZN2at6native12_GLOBAL__N_124unique_dim_cuda_templateIjEESt5tupleIJNSA_6TensorESF_SF_EERKSF_lbbbEUlllE_EE10hipError_tT0_T1_T2_jT3_P12ihipStream_tbPNSt15iterator_traitsISL_E10value_typeEPNSR_ISM_E10value_typeEPSN_NS1_7vsmem_tEENKUlT_SL_SM_SN_E_clIS8_S8_S9_S9_EESK_S10_SL_SM_SN_EUlS10_E_NS1_11comp_targetILNS1_3genE0ELNS1_11target_archE4294967295ELNS1_3gpuE0ELNS1_3repE0EEENS1_48merge_mergepath_partition_config_static_selectorELNS0_4arch9wavefront6targetE1EEEvSM_ ; -- Begin function _ZN7rocprim17ROCPRIM_400000_NS6detail17trampoline_kernelINS0_14default_configENS1_38merge_sort_block_merge_config_selectorIlNS0_10empty_typeEEEZZNS1_27merge_sort_block_merge_implIS3_PlPS5_mZN2at6native12_GLOBAL__N_124unique_dim_cuda_templateIjEESt5tupleIJNSA_6TensorESF_SF_EERKSF_lbbbEUlllE_EE10hipError_tT0_T1_T2_jT3_P12ihipStream_tbPNSt15iterator_traitsISL_E10value_typeEPNSR_ISM_E10value_typeEPSN_NS1_7vsmem_tEENKUlT_SL_SM_SN_E_clIS8_S8_S9_S9_EESK_S10_SL_SM_SN_EUlS10_E_NS1_11comp_targetILNS1_3genE0ELNS1_11target_archE4294967295ELNS1_3gpuE0ELNS1_3repE0EEENS1_48merge_mergepath_partition_config_static_selectorELNS0_4arch9wavefront6targetE1EEEvSM_
	.p2align	8
	.type	_ZN7rocprim17ROCPRIM_400000_NS6detail17trampoline_kernelINS0_14default_configENS1_38merge_sort_block_merge_config_selectorIlNS0_10empty_typeEEEZZNS1_27merge_sort_block_merge_implIS3_PlPS5_mZN2at6native12_GLOBAL__N_124unique_dim_cuda_templateIjEESt5tupleIJNSA_6TensorESF_SF_EERKSF_lbbbEUlllE_EE10hipError_tT0_T1_T2_jT3_P12ihipStream_tbPNSt15iterator_traitsISL_E10value_typeEPNSR_ISM_E10value_typeEPSN_NS1_7vsmem_tEENKUlT_SL_SM_SN_E_clIS8_S8_S9_S9_EESK_S10_SL_SM_SN_EUlS10_E_NS1_11comp_targetILNS1_3genE0ELNS1_11target_archE4294967295ELNS1_3gpuE0ELNS1_3repE0EEENS1_48merge_mergepath_partition_config_static_selectorELNS0_4arch9wavefront6targetE1EEEvSM_,@function
_ZN7rocprim17ROCPRIM_400000_NS6detail17trampoline_kernelINS0_14default_configENS1_38merge_sort_block_merge_config_selectorIlNS0_10empty_typeEEEZZNS1_27merge_sort_block_merge_implIS3_PlPS5_mZN2at6native12_GLOBAL__N_124unique_dim_cuda_templateIjEESt5tupleIJNSA_6TensorESF_SF_EERKSF_lbbbEUlllE_EE10hipError_tT0_T1_T2_jT3_P12ihipStream_tbPNSt15iterator_traitsISL_E10value_typeEPNSR_ISM_E10value_typeEPSN_NS1_7vsmem_tEENKUlT_SL_SM_SN_E_clIS8_S8_S9_S9_EESK_S10_SL_SM_SN_EUlS10_E_NS1_11comp_targetILNS1_3genE0ELNS1_11target_archE4294967295ELNS1_3gpuE0ELNS1_3repE0EEENS1_48merge_mergepath_partition_config_static_selectorELNS0_4arch9wavefront6targetE1EEEvSM_: ; @_ZN7rocprim17ROCPRIM_400000_NS6detail17trampoline_kernelINS0_14default_configENS1_38merge_sort_block_merge_config_selectorIlNS0_10empty_typeEEEZZNS1_27merge_sort_block_merge_implIS3_PlPS5_mZN2at6native12_GLOBAL__N_124unique_dim_cuda_templateIjEESt5tupleIJNSA_6TensorESF_SF_EERKSF_lbbbEUlllE_EE10hipError_tT0_T1_T2_jT3_P12ihipStream_tbPNSt15iterator_traitsISL_E10value_typeEPNSR_ISM_E10value_typeEPSN_NS1_7vsmem_tEENKUlT_SL_SM_SN_E_clIS8_S8_S9_S9_EESK_S10_SL_SM_SN_EUlS10_E_NS1_11comp_targetILNS1_3genE0ELNS1_11target_archE4294967295ELNS1_3gpuE0ELNS1_3repE0EEENS1_48merge_mergepath_partition_config_static_selectorELNS0_4arch9wavefront6targetE1EEEvSM_
; %bb.0:
	.section	.rodata,"a",@progbits
	.p2align	6, 0x0
	.amdhsa_kernel _ZN7rocprim17ROCPRIM_400000_NS6detail17trampoline_kernelINS0_14default_configENS1_38merge_sort_block_merge_config_selectorIlNS0_10empty_typeEEEZZNS1_27merge_sort_block_merge_implIS3_PlPS5_mZN2at6native12_GLOBAL__N_124unique_dim_cuda_templateIjEESt5tupleIJNSA_6TensorESF_SF_EERKSF_lbbbEUlllE_EE10hipError_tT0_T1_T2_jT3_P12ihipStream_tbPNSt15iterator_traitsISL_E10value_typeEPNSR_ISM_E10value_typeEPSN_NS1_7vsmem_tEENKUlT_SL_SM_SN_E_clIS8_S8_S9_S9_EESK_S10_SL_SM_SN_EUlS10_E_NS1_11comp_targetILNS1_3genE0ELNS1_11target_archE4294967295ELNS1_3gpuE0ELNS1_3repE0EEENS1_48merge_mergepath_partition_config_static_selectorELNS0_4arch9wavefront6targetE1EEEvSM_
		.amdhsa_group_segment_fixed_size 0
		.amdhsa_private_segment_fixed_size 0
		.amdhsa_kernarg_size 56
		.amdhsa_user_sgpr_count 6
		.amdhsa_user_sgpr_private_segment_buffer 1
		.amdhsa_user_sgpr_dispatch_ptr 0
		.amdhsa_user_sgpr_queue_ptr 0
		.amdhsa_user_sgpr_kernarg_segment_ptr 1
		.amdhsa_user_sgpr_dispatch_id 0
		.amdhsa_user_sgpr_flat_scratch_init 0
		.amdhsa_user_sgpr_kernarg_preload_length 0
		.amdhsa_user_sgpr_kernarg_preload_offset 0
		.amdhsa_user_sgpr_private_segment_size 0
		.amdhsa_uses_dynamic_stack 0
		.amdhsa_system_sgpr_private_segment_wavefront_offset 0
		.amdhsa_system_sgpr_workgroup_id_x 1
		.amdhsa_system_sgpr_workgroup_id_y 0
		.amdhsa_system_sgpr_workgroup_id_z 0
		.amdhsa_system_sgpr_workgroup_info 0
		.amdhsa_system_vgpr_workitem_id 0
		.amdhsa_next_free_vgpr 1
		.amdhsa_next_free_sgpr 0
		.amdhsa_accum_offset 4
		.amdhsa_reserve_vcc 0
		.amdhsa_reserve_flat_scratch 0
		.amdhsa_float_round_mode_32 0
		.amdhsa_float_round_mode_16_64 0
		.amdhsa_float_denorm_mode_32 3
		.amdhsa_float_denorm_mode_16_64 3
		.amdhsa_dx10_clamp 1
		.amdhsa_ieee_mode 1
		.amdhsa_fp16_overflow 0
		.amdhsa_tg_split 0
		.amdhsa_exception_fp_ieee_invalid_op 0
		.amdhsa_exception_fp_denorm_src 0
		.amdhsa_exception_fp_ieee_div_zero 0
		.amdhsa_exception_fp_ieee_overflow 0
		.amdhsa_exception_fp_ieee_underflow 0
		.amdhsa_exception_fp_ieee_inexact 0
		.amdhsa_exception_int_div_zero 0
	.end_amdhsa_kernel
	.section	.text._ZN7rocprim17ROCPRIM_400000_NS6detail17trampoline_kernelINS0_14default_configENS1_38merge_sort_block_merge_config_selectorIlNS0_10empty_typeEEEZZNS1_27merge_sort_block_merge_implIS3_PlPS5_mZN2at6native12_GLOBAL__N_124unique_dim_cuda_templateIjEESt5tupleIJNSA_6TensorESF_SF_EERKSF_lbbbEUlllE_EE10hipError_tT0_T1_T2_jT3_P12ihipStream_tbPNSt15iterator_traitsISL_E10value_typeEPNSR_ISM_E10value_typeEPSN_NS1_7vsmem_tEENKUlT_SL_SM_SN_E_clIS8_S8_S9_S9_EESK_S10_SL_SM_SN_EUlS10_E_NS1_11comp_targetILNS1_3genE0ELNS1_11target_archE4294967295ELNS1_3gpuE0ELNS1_3repE0EEENS1_48merge_mergepath_partition_config_static_selectorELNS0_4arch9wavefront6targetE1EEEvSM_,"axG",@progbits,_ZN7rocprim17ROCPRIM_400000_NS6detail17trampoline_kernelINS0_14default_configENS1_38merge_sort_block_merge_config_selectorIlNS0_10empty_typeEEEZZNS1_27merge_sort_block_merge_implIS3_PlPS5_mZN2at6native12_GLOBAL__N_124unique_dim_cuda_templateIjEESt5tupleIJNSA_6TensorESF_SF_EERKSF_lbbbEUlllE_EE10hipError_tT0_T1_T2_jT3_P12ihipStream_tbPNSt15iterator_traitsISL_E10value_typeEPNSR_ISM_E10value_typeEPSN_NS1_7vsmem_tEENKUlT_SL_SM_SN_E_clIS8_S8_S9_S9_EESK_S10_SL_SM_SN_EUlS10_E_NS1_11comp_targetILNS1_3genE0ELNS1_11target_archE4294967295ELNS1_3gpuE0ELNS1_3repE0EEENS1_48merge_mergepath_partition_config_static_selectorELNS0_4arch9wavefront6targetE1EEEvSM_,comdat
.Lfunc_end1490:
	.size	_ZN7rocprim17ROCPRIM_400000_NS6detail17trampoline_kernelINS0_14default_configENS1_38merge_sort_block_merge_config_selectorIlNS0_10empty_typeEEEZZNS1_27merge_sort_block_merge_implIS3_PlPS5_mZN2at6native12_GLOBAL__N_124unique_dim_cuda_templateIjEESt5tupleIJNSA_6TensorESF_SF_EERKSF_lbbbEUlllE_EE10hipError_tT0_T1_T2_jT3_P12ihipStream_tbPNSt15iterator_traitsISL_E10value_typeEPNSR_ISM_E10value_typeEPSN_NS1_7vsmem_tEENKUlT_SL_SM_SN_E_clIS8_S8_S9_S9_EESK_S10_SL_SM_SN_EUlS10_E_NS1_11comp_targetILNS1_3genE0ELNS1_11target_archE4294967295ELNS1_3gpuE0ELNS1_3repE0EEENS1_48merge_mergepath_partition_config_static_selectorELNS0_4arch9wavefront6targetE1EEEvSM_, .Lfunc_end1490-_ZN7rocprim17ROCPRIM_400000_NS6detail17trampoline_kernelINS0_14default_configENS1_38merge_sort_block_merge_config_selectorIlNS0_10empty_typeEEEZZNS1_27merge_sort_block_merge_implIS3_PlPS5_mZN2at6native12_GLOBAL__N_124unique_dim_cuda_templateIjEESt5tupleIJNSA_6TensorESF_SF_EERKSF_lbbbEUlllE_EE10hipError_tT0_T1_T2_jT3_P12ihipStream_tbPNSt15iterator_traitsISL_E10value_typeEPNSR_ISM_E10value_typeEPSN_NS1_7vsmem_tEENKUlT_SL_SM_SN_E_clIS8_S8_S9_S9_EESK_S10_SL_SM_SN_EUlS10_E_NS1_11comp_targetILNS1_3genE0ELNS1_11target_archE4294967295ELNS1_3gpuE0ELNS1_3repE0EEENS1_48merge_mergepath_partition_config_static_selectorELNS0_4arch9wavefront6targetE1EEEvSM_
                                        ; -- End function
	.section	.AMDGPU.csdata,"",@progbits
; Kernel info:
; codeLenInByte = 0
; NumSgprs: 4
; NumVgprs: 0
; NumAgprs: 0
; TotalNumVgprs: 0
; ScratchSize: 0
; MemoryBound: 0
; FloatMode: 240
; IeeeMode: 1
; LDSByteSize: 0 bytes/workgroup (compile time only)
; SGPRBlocks: 0
; VGPRBlocks: 0
; NumSGPRsForWavesPerEU: 4
; NumVGPRsForWavesPerEU: 1
; AccumOffset: 4
; Occupancy: 8
; WaveLimiterHint : 0
; COMPUTE_PGM_RSRC2:SCRATCH_EN: 0
; COMPUTE_PGM_RSRC2:USER_SGPR: 6
; COMPUTE_PGM_RSRC2:TRAP_HANDLER: 0
; COMPUTE_PGM_RSRC2:TGID_X_EN: 1
; COMPUTE_PGM_RSRC2:TGID_Y_EN: 0
; COMPUTE_PGM_RSRC2:TGID_Z_EN: 0
; COMPUTE_PGM_RSRC2:TIDIG_COMP_CNT: 0
; COMPUTE_PGM_RSRC3_GFX90A:ACCUM_OFFSET: 0
; COMPUTE_PGM_RSRC3_GFX90A:TG_SPLIT: 0
	.section	.text._ZN7rocprim17ROCPRIM_400000_NS6detail17trampoline_kernelINS0_14default_configENS1_38merge_sort_block_merge_config_selectorIlNS0_10empty_typeEEEZZNS1_27merge_sort_block_merge_implIS3_PlPS5_mZN2at6native12_GLOBAL__N_124unique_dim_cuda_templateIjEESt5tupleIJNSA_6TensorESF_SF_EERKSF_lbbbEUlllE_EE10hipError_tT0_T1_T2_jT3_P12ihipStream_tbPNSt15iterator_traitsISL_E10value_typeEPNSR_ISM_E10value_typeEPSN_NS1_7vsmem_tEENKUlT_SL_SM_SN_E_clIS8_S8_S9_S9_EESK_S10_SL_SM_SN_EUlS10_E_NS1_11comp_targetILNS1_3genE10ELNS1_11target_archE1201ELNS1_3gpuE5ELNS1_3repE0EEENS1_48merge_mergepath_partition_config_static_selectorELNS0_4arch9wavefront6targetE1EEEvSM_,"axG",@progbits,_ZN7rocprim17ROCPRIM_400000_NS6detail17trampoline_kernelINS0_14default_configENS1_38merge_sort_block_merge_config_selectorIlNS0_10empty_typeEEEZZNS1_27merge_sort_block_merge_implIS3_PlPS5_mZN2at6native12_GLOBAL__N_124unique_dim_cuda_templateIjEESt5tupleIJNSA_6TensorESF_SF_EERKSF_lbbbEUlllE_EE10hipError_tT0_T1_T2_jT3_P12ihipStream_tbPNSt15iterator_traitsISL_E10value_typeEPNSR_ISM_E10value_typeEPSN_NS1_7vsmem_tEENKUlT_SL_SM_SN_E_clIS8_S8_S9_S9_EESK_S10_SL_SM_SN_EUlS10_E_NS1_11comp_targetILNS1_3genE10ELNS1_11target_archE1201ELNS1_3gpuE5ELNS1_3repE0EEENS1_48merge_mergepath_partition_config_static_selectorELNS0_4arch9wavefront6targetE1EEEvSM_,comdat
	.globl	_ZN7rocprim17ROCPRIM_400000_NS6detail17trampoline_kernelINS0_14default_configENS1_38merge_sort_block_merge_config_selectorIlNS0_10empty_typeEEEZZNS1_27merge_sort_block_merge_implIS3_PlPS5_mZN2at6native12_GLOBAL__N_124unique_dim_cuda_templateIjEESt5tupleIJNSA_6TensorESF_SF_EERKSF_lbbbEUlllE_EE10hipError_tT0_T1_T2_jT3_P12ihipStream_tbPNSt15iterator_traitsISL_E10value_typeEPNSR_ISM_E10value_typeEPSN_NS1_7vsmem_tEENKUlT_SL_SM_SN_E_clIS8_S8_S9_S9_EESK_S10_SL_SM_SN_EUlS10_E_NS1_11comp_targetILNS1_3genE10ELNS1_11target_archE1201ELNS1_3gpuE5ELNS1_3repE0EEENS1_48merge_mergepath_partition_config_static_selectorELNS0_4arch9wavefront6targetE1EEEvSM_ ; -- Begin function _ZN7rocprim17ROCPRIM_400000_NS6detail17trampoline_kernelINS0_14default_configENS1_38merge_sort_block_merge_config_selectorIlNS0_10empty_typeEEEZZNS1_27merge_sort_block_merge_implIS3_PlPS5_mZN2at6native12_GLOBAL__N_124unique_dim_cuda_templateIjEESt5tupleIJNSA_6TensorESF_SF_EERKSF_lbbbEUlllE_EE10hipError_tT0_T1_T2_jT3_P12ihipStream_tbPNSt15iterator_traitsISL_E10value_typeEPNSR_ISM_E10value_typeEPSN_NS1_7vsmem_tEENKUlT_SL_SM_SN_E_clIS8_S8_S9_S9_EESK_S10_SL_SM_SN_EUlS10_E_NS1_11comp_targetILNS1_3genE10ELNS1_11target_archE1201ELNS1_3gpuE5ELNS1_3repE0EEENS1_48merge_mergepath_partition_config_static_selectorELNS0_4arch9wavefront6targetE1EEEvSM_
	.p2align	8
	.type	_ZN7rocprim17ROCPRIM_400000_NS6detail17trampoline_kernelINS0_14default_configENS1_38merge_sort_block_merge_config_selectorIlNS0_10empty_typeEEEZZNS1_27merge_sort_block_merge_implIS3_PlPS5_mZN2at6native12_GLOBAL__N_124unique_dim_cuda_templateIjEESt5tupleIJNSA_6TensorESF_SF_EERKSF_lbbbEUlllE_EE10hipError_tT0_T1_T2_jT3_P12ihipStream_tbPNSt15iterator_traitsISL_E10value_typeEPNSR_ISM_E10value_typeEPSN_NS1_7vsmem_tEENKUlT_SL_SM_SN_E_clIS8_S8_S9_S9_EESK_S10_SL_SM_SN_EUlS10_E_NS1_11comp_targetILNS1_3genE10ELNS1_11target_archE1201ELNS1_3gpuE5ELNS1_3repE0EEENS1_48merge_mergepath_partition_config_static_selectorELNS0_4arch9wavefront6targetE1EEEvSM_,@function
_ZN7rocprim17ROCPRIM_400000_NS6detail17trampoline_kernelINS0_14default_configENS1_38merge_sort_block_merge_config_selectorIlNS0_10empty_typeEEEZZNS1_27merge_sort_block_merge_implIS3_PlPS5_mZN2at6native12_GLOBAL__N_124unique_dim_cuda_templateIjEESt5tupleIJNSA_6TensorESF_SF_EERKSF_lbbbEUlllE_EE10hipError_tT0_T1_T2_jT3_P12ihipStream_tbPNSt15iterator_traitsISL_E10value_typeEPNSR_ISM_E10value_typeEPSN_NS1_7vsmem_tEENKUlT_SL_SM_SN_E_clIS8_S8_S9_S9_EESK_S10_SL_SM_SN_EUlS10_E_NS1_11comp_targetILNS1_3genE10ELNS1_11target_archE1201ELNS1_3gpuE5ELNS1_3repE0EEENS1_48merge_mergepath_partition_config_static_selectorELNS0_4arch9wavefront6targetE1EEEvSM_: ; @_ZN7rocprim17ROCPRIM_400000_NS6detail17trampoline_kernelINS0_14default_configENS1_38merge_sort_block_merge_config_selectorIlNS0_10empty_typeEEEZZNS1_27merge_sort_block_merge_implIS3_PlPS5_mZN2at6native12_GLOBAL__N_124unique_dim_cuda_templateIjEESt5tupleIJNSA_6TensorESF_SF_EERKSF_lbbbEUlllE_EE10hipError_tT0_T1_T2_jT3_P12ihipStream_tbPNSt15iterator_traitsISL_E10value_typeEPNSR_ISM_E10value_typeEPSN_NS1_7vsmem_tEENKUlT_SL_SM_SN_E_clIS8_S8_S9_S9_EESK_S10_SL_SM_SN_EUlS10_E_NS1_11comp_targetILNS1_3genE10ELNS1_11target_archE1201ELNS1_3gpuE5ELNS1_3repE0EEENS1_48merge_mergepath_partition_config_static_selectorELNS0_4arch9wavefront6targetE1EEEvSM_
; %bb.0:
	.section	.rodata,"a",@progbits
	.p2align	6, 0x0
	.amdhsa_kernel _ZN7rocprim17ROCPRIM_400000_NS6detail17trampoline_kernelINS0_14default_configENS1_38merge_sort_block_merge_config_selectorIlNS0_10empty_typeEEEZZNS1_27merge_sort_block_merge_implIS3_PlPS5_mZN2at6native12_GLOBAL__N_124unique_dim_cuda_templateIjEESt5tupleIJNSA_6TensorESF_SF_EERKSF_lbbbEUlllE_EE10hipError_tT0_T1_T2_jT3_P12ihipStream_tbPNSt15iterator_traitsISL_E10value_typeEPNSR_ISM_E10value_typeEPSN_NS1_7vsmem_tEENKUlT_SL_SM_SN_E_clIS8_S8_S9_S9_EESK_S10_SL_SM_SN_EUlS10_E_NS1_11comp_targetILNS1_3genE10ELNS1_11target_archE1201ELNS1_3gpuE5ELNS1_3repE0EEENS1_48merge_mergepath_partition_config_static_selectorELNS0_4arch9wavefront6targetE1EEEvSM_
		.amdhsa_group_segment_fixed_size 0
		.amdhsa_private_segment_fixed_size 0
		.amdhsa_kernarg_size 56
		.amdhsa_user_sgpr_count 6
		.amdhsa_user_sgpr_private_segment_buffer 1
		.amdhsa_user_sgpr_dispatch_ptr 0
		.amdhsa_user_sgpr_queue_ptr 0
		.amdhsa_user_sgpr_kernarg_segment_ptr 1
		.amdhsa_user_sgpr_dispatch_id 0
		.amdhsa_user_sgpr_flat_scratch_init 0
		.amdhsa_user_sgpr_kernarg_preload_length 0
		.amdhsa_user_sgpr_kernarg_preload_offset 0
		.amdhsa_user_sgpr_private_segment_size 0
		.amdhsa_uses_dynamic_stack 0
		.amdhsa_system_sgpr_private_segment_wavefront_offset 0
		.amdhsa_system_sgpr_workgroup_id_x 1
		.amdhsa_system_sgpr_workgroup_id_y 0
		.amdhsa_system_sgpr_workgroup_id_z 0
		.amdhsa_system_sgpr_workgroup_info 0
		.amdhsa_system_vgpr_workitem_id 0
		.amdhsa_next_free_vgpr 1
		.amdhsa_next_free_sgpr 0
		.amdhsa_accum_offset 4
		.amdhsa_reserve_vcc 0
		.amdhsa_reserve_flat_scratch 0
		.amdhsa_float_round_mode_32 0
		.amdhsa_float_round_mode_16_64 0
		.amdhsa_float_denorm_mode_32 3
		.amdhsa_float_denorm_mode_16_64 3
		.amdhsa_dx10_clamp 1
		.amdhsa_ieee_mode 1
		.amdhsa_fp16_overflow 0
		.amdhsa_tg_split 0
		.amdhsa_exception_fp_ieee_invalid_op 0
		.amdhsa_exception_fp_denorm_src 0
		.amdhsa_exception_fp_ieee_div_zero 0
		.amdhsa_exception_fp_ieee_overflow 0
		.amdhsa_exception_fp_ieee_underflow 0
		.amdhsa_exception_fp_ieee_inexact 0
		.amdhsa_exception_int_div_zero 0
	.end_amdhsa_kernel
	.section	.text._ZN7rocprim17ROCPRIM_400000_NS6detail17trampoline_kernelINS0_14default_configENS1_38merge_sort_block_merge_config_selectorIlNS0_10empty_typeEEEZZNS1_27merge_sort_block_merge_implIS3_PlPS5_mZN2at6native12_GLOBAL__N_124unique_dim_cuda_templateIjEESt5tupleIJNSA_6TensorESF_SF_EERKSF_lbbbEUlllE_EE10hipError_tT0_T1_T2_jT3_P12ihipStream_tbPNSt15iterator_traitsISL_E10value_typeEPNSR_ISM_E10value_typeEPSN_NS1_7vsmem_tEENKUlT_SL_SM_SN_E_clIS8_S8_S9_S9_EESK_S10_SL_SM_SN_EUlS10_E_NS1_11comp_targetILNS1_3genE10ELNS1_11target_archE1201ELNS1_3gpuE5ELNS1_3repE0EEENS1_48merge_mergepath_partition_config_static_selectorELNS0_4arch9wavefront6targetE1EEEvSM_,"axG",@progbits,_ZN7rocprim17ROCPRIM_400000_NS6detail17trampoline_kernelINS0_14default_configENS1_38merge_sort_block_merge_config_selectorIlNS0_10empty_typeEEEZZNS1_27merge_sort_block_merge_implIS3_PlPS5_mZN2at6native12_GLOBAL__N_124unique_dim_cuda_templateIjEESt5tupleIJNSA_6TensorESF_SF_EERKSF_lbbbEUlllE_EE10hipError_tT0_T1_T2_jT3_P12ihipStream_tbPNSt15iterator_traitsISL_E10value_typeEPNSR_ISM_E10value_typeEPSN_NS1_7vsmem_tEENKUlT_SL_SM_SN_E_clIS8_S8_S9_S9_EESK_S10_SL_SM_SN_EUlS10_E_NS1_11comp_targetILNS1_3genE10ELNS1_11target_archE1201ELNS1_3gpuE5ELNS1_3repE0EEENS1_48merge_mergepath_partition_config_static_selectorELNS0_4arch9wavefront6targetE1EEEvSM_,comdat
.Lfunc_end1491:
	.size	_ZN7rocprim17ROCPRIM_400000_NS6detail17trampoline_kernelINS0_14default_configENS1_38merge_sort_block_merge_config_selectorIlNS0_10empty_typeEEEZZNS1_27merge_sort_block_merge_implIS3_PlPS5_mZN2at6native12_GLOBAL__N_124unique_dim_cuda_templateIjEESt5tupleIJNSA_6TensorESF_SF_EERKSF_lbbbEUlllE_EE10hipError_tT0_T1_T2_jT3_P12ihipStream_tbPNSt15iterator_traitsISL_E10value_typeEPNSR_ISM_E10value_typeEPSN_NS1_7vsmem_tEENKUlT_SL_SM_SN_E_clIS8_S8_S9_S9_EESK_S10_SL_SM_SN_EUlS10_E_NS1_11comp_targetILNS1_3genE10ELNS1_11target_archE1201ELNS1_3gpuE5ELNS1_3repE0EEENS1_48merge_mergepath_partition_config_static_selectorELNS0_4arch9wavefront6targetE1EEEvSM_, .Lfunc_end1491-_ZN7rocprim17ROCPRIM_400000_NS6detail17trampoline_kernelINS0_14default_configENS1_38merge_sort_block_merge_config_selectorIlNS0_10empty_typeEEEZZNS1_27merge_sort_block_merge_implIS3_PlPS5_mZN2at6native12_GLOBAL__N_124unique_dim_cuda_templateIjEESt5tupleIJNSA_6TensorESF_SF_EERKSF_lbbbEUlllE_EE10hipError_tT0_T1_T2_jT3_P12ihipStream_tbPNSt15iterator_traitsISL_E10value_typeEPNSR_ISM_E10value_typeEPSN_NS1_7vsmem_tEENKUlT_SL_SM_SN_E_clIS8_S8_S9_S9_EESK_S10_SL_SM_SN_EUlS10_E_NS1_11comp_targetILNS1_3genE10ELNS1_11target_archE1201ELNS1_3gpuE5ELNS1_3repE0EEENS1_48merge_mergepath_partition_config_static_selectorELNS0_4arch9wavefront6targetE1EEEvSM_
                                        ; -- End function
	.section	.AMDGPU.csdata,"",@progbits
; Kernel info:
; codeLenInByte = 0
; NumSgprs: 4
; NumVgprs: 0
; NumAgprs: 0
; TotalNumVgprs: 0
; ScratchSize: 0
; MemoryBound: 0
; FloatMode: 240
; IeeeMode: 1
; LDSByteSize: 0 bytes/workgroup (compile time only)
; SGPRBlocks: 0
; VGPRBlocks: 0
; NumSGPRsForWavesPerEU: 4
; NumVGPRsForWavesPerEU: 1
; AccumOffset: 4
; Occupancy: 8
; WaveLimiterHint : 0
; COMPUTE_PGM_RSRC2:SCRATCH_EN: 0
; COMPUTE_PGM_RSRC2:USER_SGPR: 6
; COMPUTE_PGM_RSRC2:TRAP_HANDLER: 0
; COMPUTE_PGM_RSRC2:TGID_X_EN: 1
; COMPUTE_PGM_RSRC2:TGID_Y_EN: 0
; COMPUTE_PGM_RSRC2:TGID_Z_EN: 0
; COMPUTE_PGM_RSRC2:TIDIG_COMP_CNT: 0
; COMPUTE_PGM_RSRC3_GFX90A:ACCUM_OFFSET: 0
; COMPUTE_PGM_RSRC3_GFX90A:TG_SPLIT: 0
	.section	.text._ZN7rocprim17ROCPRIM_400000_NS6detail17trampoline_kernelINS0_14default_configENS1_38merge_sort_block_merge_config_selectorIlNS0_10empty_typeEEEZZNS1_27merge_sort_block_merge_implIS3_PlPS5_mZN2at6native12_GLOBAL__N_124unique_dim_cuda_templateIjEESt5tupleIJNSA_6TensorESF_SF_EERKSF_lbbbEUlllE_EE10hipError_tT0_T1_T2_jT3_P12ihipStream_tbPNSt15iterator_traitsISL_E10value_typeEPNSR_ISM_E10value_typeEPSN_NS1_7vsmem_tEENKUlT_SL_SM_SN_E_clIS8_S8_S9_S9_EESK_S10_SL_SM_SN_EUlS10_E_NS1_11comp_targetILNS1_3genE5ELNS1_11target_archE942ELNS1_3gpuE9ELNS1_3repE0EEENS1_48merge_mergepath_partition_config_static_selectorELNS0_4arch9wavefront6targetE1EEEvSM_,"axG",@progbits,_ZN7rocprim17ROCPRIM_400000_NS6detail17trampoline_kernelINS0_14default_configENS1_38merge_sort_block_merge_config_selectorIlNS0_10empty_typeEEEZZNS1_27merge_sort_block_merge_implIS3_PlPS5_mZN2at6native12_GLOBAL__N_124unique_dim_cuda_templateIjEESt5tupleIJNSA_6TensorESF_SF_EERKSF_lbbbEUlllE_EE10hipError_tT0_T1_T2_jT3_P12ihipStream_tbPNSt15iterator_traitsISL_E10value_typeEPNSR_ISM_E10value_typeEPSN_NS1_7vsmem_tEENKUlT_SL_SM_SN_E_clIS8_S8_S9_S9_EESK_S10_SL_SM_SN_EUlS10_E_NS1_11comp_targetILNS1_3genE5ELNS1_11target_archE942ELNS1_3gpuE9ELNS1_3repE0EEENS1_48merge_mergepath_partition_config_static_selectorELNS0_4arch9wavefront6targetE1EEEvSM_,comdat
	.globl	_ZN7rocprim17ROCPRIM_400000_NS6detail17trampoline_kernelINS0_14default_configENS1_38merge_sort_block_merge_config_selectorIlNS0_10empty_typeEEEZZNS1_27merge_sort_block_merge_implIS3_PlPS5_mZN2at6native12_GLOBAL__N_124unique_dim_cuda_templateIjEESt5tupleIJNSA_6TensorESF_SF_EERKSF_lbbbEUlllE_EE10hipError_tT0_T1_T2_jT3_P12ihipStream_tbPNSt15iterator_traitsISL_E10value_typeEPNSR_ISM_E10value_typeEPSN_NS1_7vsmem_tEENKUlT_SL_SM_SN_E_clIS8_S8_S9_S9_EESK_S10_SL_SM_SN_EUlS10_E_NS1_11comp_targetILNS1_3genE5ELNS1_11target_archE942ELNS1_3gpuE9ELNS1_3repE0EEENS1_48merge_mergepath_partition_config_static_selectorELNS0_4arch9wavefront6targetE1EEEvSM_ ; -- Begin function _ZN7rocprim17ROCPRIM_400000_NS6detail17trampoline_kernelINS0_14default_configENS1_38merge_sort_block_merge_config_selectorIlNS0_10empty_typeEEEZZNS1_27merge_sort_block_merge_implIS3_PlPS5_mZN2at6native12_GLOBAL__N_124unique_dim_cuda_templateIjEESt5tupleIJNSA_6TensorESF_SF_EERKSF_lbbbEUlllE_EE10hipError_tT0_T1_T2_jT3_P12ihipStream_tbPNSt15iterator_traitsISL_E10value_typeEPNSR_ISM_E10value_typeEPSN_NS1_7vsmem_tEENKUlT_SL_SM_SN_E_clIS8_S8_S9_S9_EESK_S10_SL_SM_SN_EUlS10_E_NS1_11comp_targetILNS1_3genE5ELNS1_11target_archE942ELNS1_3gpuE9ELNS1_3repE0EEENS1_48merge_mergepath_partition_config_static_selectorELNS0_4arch9wavefront6targetE1EEEvSM_
	.p2align	8
	.type	_ZN7rocprim17ROCPRIM_400000_NS6detail17trampoline_kernelINS0_14default_configENS1_38merge_sort_block_merge_config_selectorIlNS0_10empty_typeEEEZZNS1_27merge_sort_block_merge_implIS3_PlPS5_mZN2at6native12_GLOBAL__N_124unique_dim_cuda_templateIjEESt5tupleIJNSA_6TensorESF_SF_EERKSF_lbbbEUlllE_EE10hipError_tT0_T1_T2_jT3_P12ihipStream_tbPNSt15iterator_traitsISL_E10value_typeEPNSR_ISM_E10value_typeEPSN_NS1_7vsmem_tEENKUlT_SL_SM_SN_E_clIS8_S8_S9_S9_EESK_S10_SL_SM_SN_EUlS10_E_NS1_11comp_targetILNS1_3genE5ELNS1_11target_archE942ELNS1_3gpuE9ELNS1_3repE0EEENS1_48merge_mergepath_partition_config_static_selectorELNS0_4arch9wavefront6targetE1EEEvSM_,@function
_ZN7rocprim17ROCPRIM_400000_NS6detail17trampoline_kernelINS0_14default_configENS1_38merge_sort_block_merge_config_selectorIlNS0_10empty_typeEEEZZNS1_27merge_sort_block_merge_implIS3_PlPS5_mZN2at6native12_GLOBAL__N_124unique_dim_cuda_templateIjEESt5tupleIJNSA_6TensorESF_SF_EERKSF_lbbbEUlllE_EE10hipError_tT0_T1_T2_jT3_P12ihipStream_tbPNSt15iterator_traitsISL_E10value_typeEPNSR_ISM_E10value_typeEPSN_NS1_7vsmem_tEENKUlT_SL_SM_SN_E_clIS8_S8_S9_S9_EESK_S10_SL_SM_SN_EUlS10_E_NS1_11comp_targetILNS1_3genE5ELNS1_11target_archE942ELNS1_3gpuE9ELNS1_3repE0EEENS1_48merge_mergepath_partition_config_static_selectorELNS0_4arch9wavefront6targetE1EEEvSM_: ; @_ZN7rocprim17ROCPRIM_400000_NS6detail17trampoline_kernelINS0_14default_configENS1_38merge_sort_block_merge_config_selectorIlNS0_10empty_typeEEEZZNS1_27merge_sort_block_merge_implIS3_PlPS5_mZN2at6native12_GLOBAL__N_124unique_dim_cuda_templateIjEESt5tupleIJNSA_6TensorESF_SF_EERKSF_lbbbEUlllE_EE10hipError_tT0_T1_T2_jT3_P12ihipStream_tbPNSt15iterator_traitsISL_E10value_typeEPNSR_ISM_E10value_typeEPSN_NS1_7vsmem_tEENKUlT_SL_SM_SN_E_clIS8_S8_S9_S9_EESK_S10_SL_SM_SN_EUlS10_E_NS1_11comp_targetILNS1_3genE5ELNS1_11target_archE942ELNS1_3gpuE9ELNS1_3repE0EEENS1_48merge_mergepath_partition_config_static_selectorELNS0_4arch9wavefront6targetE1EEEvSM_
; %bb.0:
	.section	.rodata,"a",@progbits
	.p2align	6, 0x0
	.amdhsa_kernel _ZN7rocprim17ROCPRIM_400000_NS6detail17trampoline_kernelINS0_14default_configENS1_38merge_sort_block_merge_config_selectorIlNS0_10empty_typeEEEZZNS1_27merge_sort_block_merge_implIS3_PlPS5_mZN2at6native12_GLOBAL__N_124unique_dim_cuda_templateIjEESt5tupleIJNSA_6TensorESF_SF_EERKSF_lbbbEUlllE_EE10hipError_tT0_T1_T2_jT3_P12ihipStream_tbPNSt15iterator_traitsISL_E10value_typeEPNSR_ISM_E10value_typeEPSN_NS1_7vsmem_tEENKUlT_SL_SM_SN_E_clIS8_S8_S9_S9_EESK_S10_SL_SM_SN_EUlS10_E_NS1_11comp_targetILNS1_3genE5ELNS1_11target_archE942ELNS1_3gpuE9ELNS1_3repE0EEENS1_48merge_mergepath_partition_config_static_selectorELNS0_4arch9wavefront6targetE1EEEvSM_
		.amdhsa_group_segment_fixed_size 0
		.amdhsa_private_segment_fixed_size 0
		.amdhsa_kernarg_size 56
		.amdhsa_user_sgpr_count 6
		.amdhsa_user_sgpr_private_segment_buffer 1
		.amdhsa_user_sgpr_dispatch_ptr 0
		.amdhsa_user_sgpr_queue_ptr 0
		.amdhsa_user_sgpr_kernarg_segment_ptr 1
		.amdhsa_user_sgpr_dispatch_id 0
		.amdhsa_user_sgpr_flat_scratch_init 0
		.amdhsa_user_sgpr_kernarg_preload_length 0
		.amdhsa_user_sgpr_kernarg_preload_offset 0
		.amdhsa_user_sgpr_private_segment_size 0
		.amdhsa_uses_dynamic_stack 0
		.amdhsa_system_sgpr_private_segment_wavefront_offset 0
		.amdhsa_system_sgpr_workgroup_id_x 1
		.amdhsa_system_sgpr_workgroup_id_y 0
		.amdhsa_system_sgpr_workgroup_id_z 0
		.amdhsa_system_sgpr_workgroup_info 0
		.amdhsa_system_vgpr_workitem_id 0
		.amdhsa_next_free_vgpr 1
		.amdhsa_next_free_sgpr 0
		.amdhsa_accum_offset 4
		.amdhsa_reserve_vcc 0
		.amdhsa_reserve_flat_scratch 0
		.amdhsa_float_round_mode_32 0
		.amdhsa_float_round_mode_16_64 0
		.amdhsa_float_denorm_mode_32 3
		.amdhsa_float_denorm_mode_16_64 3
		.amdhsa_dx10_clamp 1
		.amdhsa_ieee_mode 1
		.amdhsa_fp16_overflow 0
		.amdhsa_tg_split 0
		.amdhsa_exception_fp_ieee_invalid_op 0
		.amdhsa_exception_fp_denorm_src 0
		.amdhsa_exception_fp_ieee_div_zero 0
		.amdhsa_exception_fp_ieee_overflow 0
		.amdhsa_exception_fp_ieee_underflow 0
		.amdhsa_exception_fp_ieee_inexact 0
		.amdhsa_exception_int_div_zero 0
	.end_amdhsa_kernel
	.section	.text._ZN7rocprim17ROCPRIM_400000_NS6detail17trampoline_kernelINS0_14default_configENS1_38merge_sort_block_merge_config_selectorIlNS0_10empty_typeEEEZZNS1_27merge_sort_block_merge_implIS3_PlPS5_mZN2at6native12_GLOBAL__N_124unique_dim_cuda_templateIjEESt5tupleIJNSA_6TensorESF_SF_EERKSF_lbbbEUlllE_EE10hipError_tT0_T1_T2_jT3_P12ihipStream_tbPNSt15iterator_traitsISL_E10value_typeEPNSR_ISM_E10value_typeEPSN_NS1_7vsmem_tEENKUlT_SL_SM_SN_E_clIS8_S8_S9_S9_EESK_S10_SL_SM_SN_EUlS10_E_NS1_11comp_targetILNS1_3genE5ELNS1_11target_archE942ELNS1_3gpuE9ELNS1_3repE0EEENS1_48merge_mergepath_partition_config_static_selectorELNS0_4arch9wavefront6targetE1EEEvSM_,"axG",@progbits,_ZN7rocprim17ROCPRIM_400000_NS6detail17trampoline_kernelINS0_14default_configENS1_38merge_sort_block_merge_config_selectorIlNS0_10empty_typeEEEZZNS1_27merge_sort_block_merge_implIS3_PlPS5_mZN2at6native12_GLOBAL__N_124unique_dim_cuda_templateIjEESt5tupleIJNSA_6TensorESF_SF_EERKSF_lbbbEUlllE_EE10hipError_tT0_T1_T2_jT3_P12ihipStream_tbPNSt15iterator_traitsISL_E10value_typeEPNSR_ISM_E10value_typeEPSN_NS1_7vsmem_tEENKUlT_SL_SM_SN_E_clIS8_S8_S9_S9_EESK_S10_SL_SM_SN_EUlS10_E_NS1_11comp_targetILNS1_3genE5ELNS1_11target_archE942ELNS1_3gpuE9ELNS1_3repE0EEENS1_48merge_mergepath_partition_config_static_selectorELNS0_4arch9wavefront6targetE1EEEvSM_,comdat
.Lfunc_end1492:
	.size	_ZN7rocprim17ROCPRIM_400000_NS6detail17trampoline_kernelINS0_14default_configENS1_38merge_sort_block_merge_config_selectorIlNS0_10empty_typeEEEZZNS1_27merge_sort_block_merge_implIS3_PlPS5_mZN2at6native12_GLOBAL__N_124unique_dim_cuda_templateIjEESt5tupleIJNSA_6TensorESF_SF_EERKSF_lbbbEUlllE_EE10hipError_tT0_T1_T2_jT3_P12ihipStream_tbPNSt15iterator_traitsISL_E10value_typeEPNSR_ISM_E10value_typeEPSN_NS1_7vsmem_tEENKUlT_SL_SM_SN_E_clIS8_S8_S9_S9_EESK_S10_SL_SM_SN_EUlS10_E_NS1_11comp_targetILNS1_3genE5ELNS1_11target_archE942ELNS1_3gpuE9ELNS1_3repE0EEENS1_48merge_mergepath_partition_config_static_selectorELNS0_4arch9wavefront6targetE1EEEvSM_, .Lfunc_end1492-_ZN7rocprim17ROCPRIM_400000_NS6detail17trampoline_kernelINS0_14default_configENS1_38merge_sort_block_merge_config_selectorIlNS0_10empty_typeEEEZZNS1_27merge_sort_block_merge_implIS3_PlPS5_mZN2at6native12_GLOBAL__N_124unique_dim_cuda_templateIjEESt5tupleIJNSA_6TensorESF_SF_EERKSF_lbbbEUlllE_EE10hipError_tT0_T1_T2_jT3_P12ihipStream_tbPNSt15iterator_traitsISL_E10value_typeEPNSR_ISM_E10value_typeEPSN_NS1_7vsmem_tEENKUlT_SL_SM_SN_E_clIS8_S8_S9_S9_EESK_S10_SL_SM_SN_EUlS10_E_NS1_11comp_targetILNS1_3genE5ELNS1_11target_archE942ELNS1_3gpuE9ELNS1_3repE0EEENS1_48merge_mergepath_partition_config_static_selectorELNS0_4arch9wavefront6targetE1EEEvSM_
                                        ; -- End function
	.section	.AMDGPU.csdata,"",@progbits
; Kernel info:
; codeLenInByte = 0
; NumSgprs: 4
; NumVgprs: 0
; NumAgprs: 0
; TotalNumVgprs: 0
; ScratchSize: 0
; MemoryBound: 0
; FloatMode: 240
; IeeeMode: 1
; LDSByteSize: 0 bytes/workgroup (compile time only)
; SGPRBlocks: 0
; VGPRBlocks: 0
; NumSGPRsForWavesPerEU: 4
; NumVGPRsForWavesPerEU: 1
; AccumOffset: 4
; Occupancy: 8
; WaveLimiterHint : 0
; COMPUTE_PGM_RSRC2:SCRATCH_EN: 0
; COMPUTE_PGM_RSRC2:USER_SGPR: 6
; COMPUTE_PGM_RSRC2:TRAP_HANDLER: 0
; COMPUTE_PGM_RSRC2:TGID_X_EN: 1
; COMPUTE_PGM_RSRC2:TGID_Y_EN: 0
; COMPUTE_PGM_RSRC2:TGID_Z_EN: 0
; COMPUTE_PGM_RSRC2:TIDIG_COMP_CNT: 0
; COMPUTE_PGM_RSRC3_GFX90A:ACCUM_OFFSET: 0
; COMPUTE_PGM_RSRC3_GFX90A:TG_SPLIT: 0
	.section	.text._ZN7rocprim17ROCPRIM_400000_NS6detail17trampoline_kernelINS0_14default_configENS1_38merge_sort_block_merge_config_selectorIlNS0_10empty_typeEEEZZNS1_27merge_sort_block_merge_implIS3_PlPS5_mZN2at6native12_GLOBAL__N_124unique_dim_cuda_templateIjEESt5tupleIJNSA_6TensorESF_SF_EERKSF_lbbbEUlllE_EE10hipError_tT0_T1_T2_jT3_P12ihipStream_tbPNSt15iterator_traitsISL_E10value_typeEPNSR_ISM_E10value_typeEPSN_NS1_7vsmem_tEENKUlT_SL_SM_SN_E_clIS8_S8_S9_S9_EESK_S10_SL_SM_SN_EUlS10_E_NS1_11comp_targetILNS1_3genE4ELNS1_11target_archE910ELNS1_3gpuE8ELNS1_3repE0EEENS1_48merge_mergepath_partition_config_static_selectorELNS0_4arch9wavefront6targetE1EEEvSM_,"axG",@progbits,_ZN7rocprim17ROCPRIM_400000_NS6detail17trampoline_kernelINS0_14default_configENS1_38merge_sort_block_merge_config_selectorIlNS0_10empty_typeEEEZZNS1_27merge_sort_block_merge_implIS3_PlPS5_mZN2at6native12_GLOBAL__N_124unique_dim_cuda_templateIjEESt5tupleIJNSA_6TensorESF_SF_EERKSF_lbbbEUlllE_EE10hipError_tT0_T1_T2_jT3_P12ihipStream_tbPNSt15iterator_traitsISL_E10value_typeEPNSR_ISM_E10value_typeEPSN_NS1_7vsmem_tEENKUlT_SL_SM_SN_E_clIS8_S8_S9_S9_EESK_S10_SL_SM_SN_EUlS10_E_NS1_11comp_targetILNS1_3genE4ELNS1_11target_archE910ELNS1_3gpuE8ELNS1_3repE0EEENS1_48merge_mergepath_partition_config_static_selectorELNS0_4arch9wavefront6targetE1EEEvSM_,comdat
	.globl	_ZN7rocprim17ROCPRIM_400000_NS6detail17trampoline_kernelINS0_14default_configENS1_38merge_sort_block_merge_config_selectorIlNS0_10empty_typeEEEZZNS1_27merge_sort_block_merge_implIS3_PlPS5_mZN2at6native12_GLOBAL__N_124unique_dim_cuda_templateIjEESt5tupleIJNSA_6TensorESF_SF_EERKSF_lbbbEUlllE_EE10hipError_tT0_T1_T2_jT3_P12ihipStream_tbPNSt15iterator_traitsISL_E10value_typeEPNSR_ISM_E10value_typeEPSN_NS1_7vsmem_tEENKUlT_SL_SM_SN_E_clIS8_S8_S9_S9_EESK_S10_SL_SM_SN_EUlS10_E_NS1_11comp_targetILNS1_3genE4ELNS1_11target_archE910ELNS1_3gpuE8ELNS1_3repE0EEENS1_48merge_mergepath_partition_config_static_selectorELNS0_4arch9wavefront6targetE1EEEvSM_ ; -- Begin function _ZN7rocprim17ROCPRIM_400000_NS6detail17trampoline_kernelINS0_14default_configENS1_38merge_sort_block_merge_config_selectorIlNS0_10empty_typeEEEZZNS1_27merge_sort_block_merge_implIS3_PlPS5_mZN2at6native12_GLOBAL__N_124unique_dim_cuda_templateIjEESt5tupleIJNSA_6TensorESF_SF_EERKSF_lbbbEUlllE_EE10hipError_tT0_T1_T2_jT3_P12ihipStream_tbPNSt15iterator_traitsISL_E10value_typeEPNSR_ISM_E10value_typeEPSN_NS1_7vsmem_tEENKUlT_SL_SM_SN_E_clIS8_S8_S9_S9_EESK_S10_SL_SM_SN_EUlS10_E_NS1_11comp_targetILNS1_3genE4ELNS1_11target_archE910ELNS1_3gpuE8ELNS1_3repE0EEENS1_48merge_mergepath_partition_config_static_selectorELNS0_4arch9wavefront6targetE1EEEvSM_
	.p2align	8
	.type	_ZN7rocprim17ROCPRIM_400000_NS6detail17trampoline_kernelINS0_14default_configENS1_38merge_sort_block_merge_config_selectorIlNS0_10empty_typeEEEZZNS1_27merge_sort_block_merge_implIS3_PlPS5_mZN2at6native12_GLOBAL__N_124unique_dim_cuda_templateIjEESt5tupleIJNSA_6TensorESF_SF_EERKSF_lbbbEUlllE_EE10hipError_tT0_T1_T2_jT3_P12ihipStream_tbPNSt15iterator_traitsISL_E10value_typeEPNSR_ISM_E10value_typeEPSN_NS1_7vsmem_tEENKUlT_SL_SM_SN_E_clIS8_S8_S9_S9_EESK_S10_SL_SM_SN_EUlS10_E_NS1_11comp_targetILNS1_3genE4ELNS1_11target_archE910ELNS1_3gpuE8ELNS1_3repE0EEENS1_48merge_mergepath_partition_config_static_selectorELNS0_4arch9wavefront6targetE1EEEvSM_,@function
_ZN7rocprim17ROCPRIM_400000_NS6detail17trampoline_kernelINS0_14default_configENS1_38merge_sort_block_merge_config_selectorIlNS0_10empty_typeEEEZZNS1_27merge_sort_block_merge_implIS3_PlPS5_mZN2at6native12_GLOBAL__N_124unique_dim_cuda_templateIjEESt5tupleIJNSA_6TensorESF_SF_EERKSF_lbbbEUlllE_EE10hipError_tT0_T1_T2_jT3_P12ihipStream_tbPNSt15iterator_traitsISL_E10value_typeEPNSR_ISM_E10value_typeEPSN_NS1_7vsmem_tEENKUlT_SL_SM_SN_E_clIS8_S8_S9_S9_EESK_S10_SL_SM_SN_EUlS10_E_NS1_11comp_targetILNS1_3genE4ELNS1_11target_archE910ELNS1_3gpuE8ELNS1_3repE0EEENS1_48merge_mergepath_partition_config_static_selectorELNS0_4arch9wavefront6targetE1EEEvSM_: ; @_ZN7rocprim17ROCPRIM_400000_NS6detail17trampoline_kernelINS0_14default_configENS1_38merge_sort_block_merge_config_selectorIlNS0_10empty_typeEEEZZNS1_27merge_sort_block_merge_implIS3_PlPS5_mZN2at6native12_GLOBAL__N_124unique_dim_cuda_templateIjEESt5tupleIJNSA_6TensorESF_SF_EERKSF_lbbbEUlllE_EE10hipError_tT0_T1_T2_jT3_P12ihipStream_tbPNSt15iterator_traitsISL_E10value_typeEPNSR_ISM_E10value_typeEPSN_NS1_7vsmem_tEENKUlT_SL_SM_SN_E_clIS8_S8_S9_S9_EESK_S10_SL_SM_SN_EUlS10_E_NS1_11comp_targetILNS1_3genE4ELNS1_11target_archE910ELNS1_3gpuE8ELNS1_3repE0EEENS1_48merge_mergepath_partition_config_static_selectorELNS0_4arch9wavefront6targetE1EEEvSM_
; %bb.0:
	s_load_dword s0, s[4:5], 0x0
	v_lshl_or_b32 v0, s6, 7, v0
	s_waitcnt lgkmcnt(0)
	v_cmp_gt_u32_e32 vcc, s0, v0
	s_and_saveexec_b64 s[0:1], vcc
	s_cbranch_execz .LBB1493_12
; %bb.1:
	s_load_dwordx4 s[0:3], s[4:5], 0x8
	s_load_dwordx8 s[8:15], s[4:5], 0x18
	v_mov_b32_e32 v5, 0
	s_waitcnt lgkmcnt(0)
	v_mov_b32_e32 v1, s0
	v_alignbit_b32 v1, s1, v1, 9
	v_and_b32_e32 v1, -2, v1
	v_add_u32_e32 v2, -1, v1
	v_sub_u32_e32 v1, 0, v1
	v_and_b32_e32 v4, v0, v1
	v_lshlrev_b64 v[8:9], 10, v[4:5]
	v_mov_b32_e32 v1, s3
	v_cmp_lt_u64_e32 vcc, s[2:3], v[8:9]
	v_mov_b32_e32 v4, s2
	v_and_b32_e32 v6, v2, v0
	v_cndmask_b32_e32 v3, v9, v1, vcc
	v_cndmask_b32_e32 v2, v8, v4, vcc
	v_mov_b32_e32 v7, s1
	v_add_co_u32_e32 v8, vcc, s0, v8
	v_addc_co_u32_e32 v9, vcc, v9, v7, vcc
	v_cmp_lt_u64_e32 vcc, s[2:3], v[8:9]
	v_cndmask_b32_e32 v8, v8, v4, vcc
	v_cndmask_b32_e32 v9, v9, v1, vcc
	v_add_co_u32_e32 v10, vcc, s0, v8
	v_addc_co_u32_e32 v11, vcc, v9, v7, vcc
	v_cmp_lt_u64_e32 vcc, s[2:3], v[10:11]
	v_cndmask_b32_e32 v12, v10, v4, vcc
	v_cndmask_b32_e32 v1, v11, v1, vcc
	v_sub_co_u32_e32 v10, vcc, v12, v2
	v_mov_b32_e32 v7, v5
	v_subb_co_u32_e32 v11, vcc, v1, v3, vcc
	v_lshlrev_b64 v[4:5], 10, v[6:7]
	v_cmp_lt_u64_e32 vcc, v[10:11], v[4:5]
	v_cndmask_b32_e32 v11, v5, v11, vcc
	v_cndmask_b32_e32 v10, v4, v10, vcc
	v_sub_co_u32_e32 v6, vcc, v8, v2
	v_subb_co_u32_e32 v7, vcc, v9, v3, vcc
	v_sub_co_u32_e32 v4, vcc, v8, v12
	v_subb_co_u32_e32 v1, vcc, v9, v1, vcc
	v_add_co_u32_e32 v4, vcc, v10, v4
	v_addc_co_u32_e32 v5, vcc, v11, v1, vcc
	v_cmp_gt_u64_e32 vcc, v[4:5], v[10:11]
	v_cndmask_b32_e64 v5, v5, 0, vcc
	v_cndmask_b32_e64 v4, v4, 0, vcc
	v_cmp_lt_u64_e32 vcc, v[10:11], v[6:7]
	v_cndmask_b32_e32 v7, v7, v11, vcc
	v_cndmask_b32_e32 v6, v6, v10, vcc
	v_cmp_lt_u64_e32 vcc, v[4:5], v[6:7]
	s_and_saveexec_b64 s[6:7], vcc
	s_cbranch_execz .LBB1493_11
; %bb.2:
	v_lshlrev_b64 v[12:13], 3, v[2:3]
	v_mov_b32_e32 v14, s9
	v_add_co_u32_e32 v1, vcc, s8, v12
	v_addc_co_u32_e32 v14, vcc, v14, v13, vcc
	v_lshlrev_b64 v[8:9], 3, v[8:9]
	v_mov_b32_e32 v12, s9
	v_add_co_u32_e32 v13, vcc, s8, v8
	v_addc_co_u32_e32 v12, vcc, v12, v9, vcc
	v_lshlrev_b64 v[8:9], 3, v[10:11]
	v_cmp_gt_i64_e64 s[0:1], s[10:11], 0
	v_add_co_u32_e32 v15, vcc, v13, v8
	v_cndmask_b32_e64 v8, 0, 1, s[0:1]
	v_addc_co_u32_e32 v16, vcc, v12, v9, vcc
	s_mov_b64 s[8:9], 0
	s_lshl_b64 s[16:17], s[10:11], 2
	v_cmp_ne_u32_e64 s[0:1], 1, v8
	s_branch .LBB1493_5
.LBB1493_3:                             ;   in Loop: Header=BB1493_5 Depth=1
	s_or_b64 exec, exec, s[20:21]
.LBB1493_4:                             ;   in Loop: Header=BB1493_5 Depth=1
	v_add_co_u32_e32 v10, vcc, 1, v8
	v_addc_co_u32_e32 v11, vcc, 0, v9, vcc
	v_cndmask_b32_e64 v7, v7, v9, s[18:19]
	v_cndmask_b32_e64 v6, v6, v8, s[18:19]
	;; [unrolled: 1-line block ×4, first 2 shown]
	v_cmp_ge_u64_e32 vcc, v[4:5], v[6:7]
	s_or_b64 s[8:9], vcc, s[8:9]
	s_andn2_b64 exec, exec, s[8:9]
	s_cbranch_execz .LBB1493_10
.LBB1493_5:                             ; =>This Loop Header: Depth=1
                                        ;     Child Loop BB1493_8 Depth 2
	v_add_co_u32_e32 v8, vcc, v6, v4
	v_addc_co_u32_e32 v9, vcc, v7, v5, vcc
	v_lshrrev_b64 v[8:9], 1, v[8:9]
	s_and_b64 vcc, exec, s[0:1]
	s_mov_b64 s[18:19], 0
	s_cbranch_vccnz .LBB1493_4
; %bb.6:                                ;   in Loop: Header=BB1493_5 Depth=1
	v_not_b32_e32 v11, v9
	v_not_b32_e32 v10, v8
	v_lshlrev_b64 v[10:11], 3, v[10:11]
	v_add_co_u32_e32 v10, vcc, v15, v10
	v_addc_co_u32_e32 v11, vcc, v16, v11, vcc
	v_lshlrev_b64 v[12:13], 3, v[8:9]
	v_add_co_u32_e32 v12, vcc, v1, v12
	v_addc_co_u32_e32 v13, vcc, v14, v13, vcc
	global_load_dwordx2 v[10:11], v[10:11], off
	v_pk_mov_b32 v[18:19], s[12:13], s[12:13] op_sel:[0,1]
	global_load_dwordx2 v[12:13], v[12:13], off
	s_mov_b64 s[20:21], 0
	s_mov_b64 s[26:27], s[10:11]
                                        ; implicit-def: $sgpr18_sgpr19
                                        ; implicit-def: $sgpr22_sgpr23
                                        ; implicit-def: $sgpr24_sgpr25
                                        ; implicit-def: $sgpr2_sgpr3
                                        ; implicit-def: $sgpr28_sgpr29
	s_waitcnt vmcnt(1)
	v_mul_lo_u32 v17, s16, v11
	v_mul_lo_u32 v20, s17, v10
	v_mad_u64_u32 v[10:11], s[4:5], s16, v10, v[18:19]
	s_waitcnt vmcnt(0)
	v_mul_lo_u32 v21, s16, v13
	v_mul_lo_u32 v22, s17, v12
	v_mad_u64_u32 v[12:13], s[4:5], s16, v12, v[18:19]
	v_add3_u32 v11, v20, v11, v17
	v_add3_u32 v13, v22, v13, v21
	s_branch .LBB1493_8
.LBB1493_7:                             ;   in Loop: Header=BB1493_8 Depth=2
	s_or_b64 exec, exec, s[30:31]
	s_and_b64 s[4:5], exec, s[22:23]
	s_or_b64 s[20:21], s[4:5], s[20:21]
	s_andn2_b64 s[4:5], s[28:29], exec
	s_and_b64 s[28:29], s[24:25], exec
	s_or_b64 s[28:29], s[4:5], s[28:29]
	s_andn2_b64 s[4:5], s[18:19], exec
	s_and_b64 s[18:19], s[2:3], exec
	s_or_b64 s[18:19], s[4:5], s[18:19]
	s_andn2_b64 exec, exec, s[20:21]
	s_cbranch_execz .LBB1493_3
.LBB1493_8:                             ;   Parent Loop BB1493_5 Depth=1
                                        ; =>  This Inner Loop Header: Depth=2
	global_load_dword v17, v[10:11], off
	global_load_dword v18, v[12:13], off
	s_andn2_b64 s[30:31], s[2:3], exec
	s_andn2_b64 s[24:25], s[24:25], exec
	s_or_b64 s[22:23], s[22:23], exec
	s_waitcnt vmcnt(0)
	v_cmp_le_u32_e64 s[2:3], v17, v18
	v_cmp_lt_u32_e32 vcc, v17, v18
	s_and_b64 s[2:3], s[2:3], s[28:29]
	s_or_b64 s[34:35], vcc, s[2:3]
	s_and_b64 s[2:3], s[34:35], exec
	v_cmp_eq_u32_e64 s[4:5], v17, v18
	s_or_b64 s[2:3], s[30:31], s[2:3]
	s_and_saveexec_b64 s[30:31], s[4:5]
	s_cbranch_execz .LBB1493_7
; %bb.9:                                ;   in Loop: Header=BB1493_8 Depth=2
	s_add_u32 s26, s26, -1
	s_addc_u32 s27, s27, -1
	v_add_co_u32_e32 v10, vcc, 4, v10
	s_cmp_eq_u64 s[26:27], 0
	v_addc_co_u32_e32 v11, vcc, 0, v11, vcc
	s_cselect_b64 s[4:5], -1, 0
	v_add_co_u32_e32 v12, vcc, 4, v12
	s_andn2_b64 s[24:25], s[24:25], exec
	s_and_b64 s[28:29], s[34:35], exec
	s_andn2_b64 s[22:23], s[22:23], exec
	s_and_b64 s[4:5], s[4:5], exec
	v_addc_co_u32_e32 v13, vcc, 0, v13, vcc
	s_andn2_b64 s[2:3], s[2:3], exec
	s_or_b64 s[24:25], s[24:25], s[28:29]
	s_or_b64 s[22:23], s[22:23], s[4:5]
                                        ; implicit-def: $sgpr28_sgpr29
	s_branch .LBB1493_7
.LBB1493_10:
	s_or_b64 exec, exec, s[8:9]
.LBB1493_11:
	s_or_b64 exec, exec, s[6:7]
	v_add_co_u32_e32 v2, vcc, v4, v2
	v_mov_b32_e32 v1, 0
	v_addc_co_u32_e32 v3, vcc, v5, v3, vcc
	v_lshlrev_b64 v[0:1], 3, v[0:1]
	v_mov_b32_e32 v4, s15
	v_add_co_u32_e32 v0, vcc, s14, v0
	v_addc_co_u32_e32 v1, vcc, v4, v1, vcc
	global_store_dwordx2 v[0:1], v[2:3], off
.LBB1493_12:
	s_endpgm
	.section	.rodata,"a",@progbits
	.p2align	6, 0x0
	.amdhsa_kernel _ZN7rocprim17ROCPRIM_400000_NS6detail17trampoline_kernelINS0_14default_configENS1_38merge_sort_block_merge_config_selectorIlNS0_10empty_typeEEEZZNS1_27merge_sort_block_merge_implIS3_PlPS5_mZN2at6native12_GLOBAL__N_124unique_dim_cuda_templateIjEESt5tupleIJNSA_6TensorESF_SF_EERKSF_lbbbEUlllE_EE10hipError_tT0_T1_T2_jT3_P12ihipStream_tbPNSt15iterator_traitsISL_E10value_typeEPNSR_ISM_E10value_typeEPSN_NS1_7vsmem_tEENKUlT_SL_SM_SN_E_clIS8_S8_S9_S9_EESK_S10_SL_SM_SN_EUlS10_E_NS1_11comp_targetILNS1_3genE4ELNS1_11target_archE910ELNS1_3gpuE8ELNS1_3repE0EEENS1_48merge_mergepath_partition_config_static_selectorELNS0_4arch9wavefront6targetE1EEEvSM_
		.amdhsa_group_segment_fixed_size 0
		.amdhsa_private_segment_fixed_size 0
		.amdhsa_kernarg_size 56
		.amdhsa_user_sgpr_count 6
		.amdhsa_user_sgpr_private_segment_buffer 1
		.amdhsa_user_sgpr_dispatch_ptr 0
		.amdhsa_user_sgpr_queue_ptr 0
		.amdhsa_user_sgpr_kernarg_segment_ptr 1
		.amdhsa_user_sgpr_dispatch_id 0
		.amdhsa_user_sgpr_flat_scratch_init 0
		.amdhsa_user_sgpr_kernarg_preload_length 0
		.amdhsa_user_sgpr_kernarg_preload_offset 0
		.amdhsa_user_sgpr_private_segment_size 0
		.amdhsa_uses_dynamic_stack 0
		.amdhsa_system_sgpr_private_segment_wavefront_offset 0
		.amdhsa_system_sgpr_workgroup_id_x 1
		.amdhsa_system_sgpr_workgroup_id_y 0
		.amdhsa_system_sgpr_workgroup_id_z 0
		.amdhsa_system_sgpr_workgroup_info 0
		.amdhsa_system_vgpr_workitem_id 0
		.amdhsa_next_free_vgpr 23
		.amdhsa_next_free_sgpr 36
		.amdhsa_accum_offset 24
		.amdhsa_reserve_vcc 1
		.amdhsa_reserve_flat_scratch 0
		.amdhsa_float_round_mode_32 0
		.amdhsa_float_round_mode_16_64 0
		.amdhsa_float_denorm_mode_32 3
		.amdhsa_float_denorm_mode_16_64 3
		.amdhsa_dx10_clamp 1
		.amdhsa_ieee_mode 1
		.amdhsa_fp16_overflow 0
		.amdhsa_tg_split 0
		.amdhsa_exception_fp_ieee_invalid_op 0
		.amdhsa_exception_fp_denorm_src 0
		.amdhsa_exception_fp_ieee_div_zero 0
		.amdhsa_exception_fp_ieee_overflow 0
		.amdhsa_exception_fp_ieee_underflow 0
		.amdhsa_exception_fp_ieee_inexact 0
		.amdhsa_exception_int_div_zero 0
	.end_amdhsa_kernel
	.section	.text._ZN7rocprim17ROCPRIM_400000_NS6detail17trampoline_kernelINS0_14default_configENS1_38merge_sort_block_merge_config_selectorIlNS0_10empty_typeEEEZZNS1_27merge_sort_block_merge_implIS3_PlPS5_mZN2at6native12_GLOBAL__N_124unique_dim_cuda_templateIjEESt5tupleIJNSA_6TensorESF_SF_EERKSF_lbbbEUlllE_EE10hipError_tT0_T1_T2_jT3_P12ihipStream_tbPNSt15iterator_traitsISL_E10value_typeEPNSR_ISM_E10value_typeEPSN_NS1_7vsmem_tEENKUlT_SL_SM_SN_E_clIS8_S8_S9_S9_EESK_S10_SL_SM_SN_EUlS10_E_NS1_11comp_targetILNS1_3genE4ELNS1_11target_archE910ELNS1_3gpuE8ELNS1_3repE0EEENS1_48merge_mergepath_partition_config_static_selectorELNS0_4arch9wavefront6targetE1EEEvSM_,"axG",@progbits,_ZN7rocprim17ROCPRIM_400000_NS6detail17trampoline_kernelINS0_14default_configENS1_38merge_sort_block_merge_config_selectorIlNS0_10empty_typeEEEZZNS1_27merge_sort_block_merge_implIS3_PlPS5_mZN2at6native12_GLOBAL__N_124unique_dim_cuda_templateIjEESt5tupleIJNSA_6TensorESF_SF_EERKSF_lbbbEUlllE_EE10hipError_tT0_T1_T2_jT3_P12ihipStream_tbPNSt15iterator_traitsISL_E10value_typeEPNSR_ISM_E10value_typeEPSN_NS1_7vsmem_tEENKUlT_SL_SM_SN_E_clIS8_S8_S9_S9_EESK_S10_SL_SM_SN_EUlS10_E_NS1_11comp_targetILNS1_3genE4ELNS1_11target_archE910ELNS1_3gpuE8ELNS1_3repE0EEENS1_48merge_mergepath_partition_config_static_selectorELNS0_4arch9wavefront6targetE1EEEvSM_,comdat
.Lfunc_end1493:
	.size	_ZN7rocprim17ROCPRIM_400000_NS6detail17trampoline_kernelINS0_14default_configENS1_38merge_sort_block_merge_config_selectorIlNS0_10empty_typeEEEZZNS1_27merge_sort_block_merge_implIS3_PlPS5_mZN2at6native12_GLOBAL__N_124unique_dim_cuda_templateIjEESt5tupleIJNSA_6TensorESF_SF_EERKSF_lbbbEUlllE_EE10hipError_tT0_T1_T2_jT3_P12ihipStream_tbPNSt15iterator_traitsISL_E10value_typeEPNSR_ISM_E10value_typeEPSN_NS1_7vsmem_tEENKUlT_SL_SM_SN_E_clIS8_S8_S9_S9_EESK_S10_SL_SM_SN_EUlS10_E_NS1_11comp_targetILNS1_3genE4ELNS1_11target_archE910ELNS1_3gpuE8ELNS1_3repE0EEENS1_48merge_mergepath_partition_config_static_selectorELNS0_4arch9wavefront6targetE1EEEvSM_, .Lfunc_end1493-_ZN7rocprim17ROCPRIM_400000_NS6detail17trampoline_kernelINS0_14default_configENS1_38merge_sort_block_merge_config_selectorIlNS0_10empty_typeEEEZZNS1_27merge_sort_block_merge_implIS3_PlPS5_mZN2at6native12_GLOBAL__N_124unique_dim_cuda_templateIjEESt5tupleIJNSA_6TensorESF_SF_EERKSF_lbbbEUlllE_EE10hipError_tT0_T1_T2_jT3_P12ihipStream_tbPNSt15iterator_traitsISL_E10value_typeEPNSR_ISM_E10value_typeEPSN_NS1_7vsmem_tEENKUlT_SL_SM_SN_E_clIS8_S8_S9_S9_EESK_S10_SL_SM_SN_EUlS10_E_NS1_11comp_targetILNS1_3genE4ELNS1_11target_archE910ELNS1_3gpuE8ELNS1_3repE0EEENS1_48merge_mergepath_partition_config_static_selectorELNS0_4arch9wavefront6targetE1EEEvSM_
                                        ; -- End function
	.section	.AMDGPU.csdata,"",@progbits
; Kernel info:
; codeLenInByte = 824
; NumSgprs: 40
; NumVgprs: 23
; NumAgprs: 0
; TotalNumVgprs: 23
; ScratchSize: 0
; MemoryBound: 0
; FloatMode: 240
; IeeeMode: 1
; LDSByteSize: 0 bytes/workgroup (compile time only)
; SGPRBlocks: 4
; VGPRBlocks: 2
; NumSGPRsForWavesPerEU: 40
; NumVGPRsForWavesPerEU: 23
; AccumOffset: 24
; Occupancy: 8
; WaveLimiterHint : 0
; COMPUTE_PGM_RSRC2:SCRATCH_EN: 0
; COMPUTE_PGM_RSRC2:USER_SGPR: 6
; COMPUTE_PGM_RSRC2:TRAP_HANDLER: 0
; COMPUTE_PGM_RSRC2:TGID_X_EN: 1
; COMPUTE_PGM_RSRC2:TGID_Y_EN: 0
; COMPUTE_PGM_RSRC2:TGID_Z_EN: 0
; COMPUTE_PGM_RSRC2:TIDIG_COMP_CNT: 0
; COMPUTE_PGM_RSRC3_GFX90A:ACCUM_OFFSET: 5
; COMPUTE_PGM_RSRC3_GFX90A:TG_SPLIT: 0
	.section	.text._ZN7rocprim17ROCPRIM_400000_NS6detail17trampoline_kernelINS0_14default_configENS1_38merge_sort_block_merge_config_selectorIlNS0_10empty_typeEEEZZNS1_27merge_sort_block_merge_implIS3_PlPS5_mZN2at6native12_GLOBAL__N_124unique_dim_cuda_templateIjEESt5tupleIJNSA_6TensorESF_SF_EERKSF_lbbbEUlllE_EE10hipError_tT0_T1_T2_jT3_P12ihipStream_tbPNSt15iterator_traitsISL_E10value_typeEPNSR_ISM_E10value_typeEPSN_NS1_7vsmem_tEENKUlT_SL_SM_SN_E_clIS8_S8_S9_S9_EESK_S10_SL_SM_SN_EUlS10_E_NS1_11comp_targetILNS1_3genE3ELNS1_11target_archE908ELNS1_3gpuE7ELNS1_3repE0EEENS1_48merge_mergepath_partition_config_static_selectorELNS0_4arch9wavefront6targetE1EEEvSM_,"axG",@progbits,_ZN7rocprim17ROCPRIM_400000_NS6detail17trampoline_kernelINS0_14default_configENS1_38merge_sort_block_merge_config_selectorIlNS0_10empty_typeEEEZZNS1_27merge_sort_block_merge_implIS3_PlPS5_mZN2at6native12_GLOBAL__N_124unique_dim_cuda_templateIjEESt5tupleIJNSA_6TensorESF_SF_EERKSF_lbbbEUlllE_EE10hipError_tT0_T1_T2_jT3_P12ihipStream_tbPNSt15iterator_traitsISL_E10value_typeEPNSR_ISM_E10value_typeEPSN_NS1_7vsmem_tEENKUlT_SL_SM_SN_E_clIS8_S8_S9_S9_EESK_S10_SL_SM_SN_EUlS10_E_NS1_11comp_targetILNS1_3genE3ELNS1_11target_archE908ELNS1_3gpuE7ELNS1_3repE0EEENS1_48merge_mergepath_partition_config_static_selectorELNS0_4arch9wavefront6targetE1EEEvSM_,comdat
	.globl	_ZN7rocprim17ROCPRIM_400000_NS6detail17trampoline_kernelINS0_14default_configENS1_38merge_sort_block_merge_config_selectorIlNS0_10empty_typeEEEZZNS1_27merge_sort_block_merge_implIS3_PlPS5_mZN2at6native12_GLOBAL__N_124unique_dim_cuda_templateIjEESt5tupleIJNSA_6TensorESF_SF_EERKSF_lbbbEUlllE_EE10hipError_tT0_T1_T2_jT3_P12ihipStream_tbPNSt15iterator_traitsISL_E10value_typeEPNSR_ISM_E10value_typeEPSN_NS1_7vsmem_tEENKUlT_SL_SM_SN_E_clIS8_S8_S9_S9_EESK_S10_SL_SM_SN_EUlS10_E_NS1_11comp_targetILNS1_3genE3ELNS1_11target_archE908ELNS1_3gpuE7ELNS1_3repE0EEENS1_48merge_mergepath_partition_config_static_selectorELNS0_4arch9wavefront6targetE1EEEvSM_ ; -- Begin function _ZN7rocprim17ROCPRIM_400000_NS6detail17trampoline_kernelINS0_14default_configENS1_38merge_sort_block_merge_config_selectorIlNS0_10empty_typeEEEZZNS1_27merge_sort_block_merge_implIS3_PlPS5_mZN2at6native12_GLOBAL__N_124unique_dim_cuda_templateIjEESt5tupleIJNSA_6TensorESF_SF_EERKSF_lbbbEUlllE_EE10hipError_tT0_T1_T2_jT3_P12ihipStream_tbPNSt15iterator_traitsISL_E10value_typeEPNSR_ISM_E10value_typeEPSN_NS1_7vsmem_tEENKUlT_SL_SM_SN_E_clIS8_S8_S9_S9_EESK_S10_SL_SM_SN_EUlS10_E_NS1_11comp_targetILNS1_3genE3ELNS1_11target_archE908ELNS1_3gpuE7ELNS1_3repE0EEENS1_48merge_mergepath_partition_config_static_selectorELNS0_4arch9wavefront6targetE1EEEvSM_
	.p2align	8
	.type	_ZN7rocprim17ROCPRIM_400000_NS6detail17trampoline_kernelINS0_14default_configENS1_38merge_sort_block_merge_config_selectorIlNS0_10empty_typeEEEZZNS1_27merge_sort_block_merge_implIS3_PlPS5_mZN2at6native12_GLOBAL__N_124unique_dim_cuda_templateIjEESt5tupleIJNSA_6TensorESF_SF_EERKSF_lbbbEUlllE_EE10hipError_tT0_T1_T2_jT3_P12ihipStream_tbPNSt15iterator_traitsISL_E10value_typeEPNSR_ISM_E10value_typeEPSN_NS1_7vsmem_tEENKUlT_SL_SM_SN_E_clIS8_S8_S9_S9_EESK_S10_SL_SM_SN_EUlS10_E_NS1_11comp_targetILNS1_3genE3ELNS1_11target_archE908ELNS1_3gpuE7ELNS1_3repE0EEENS1_48merge_mergepath_partition_config_static_selectorELNS0_4arch9wavefront6targetE1EEEvSM_,@function
_ZN7rocprim17ROCPRIM_400000_NS6detail17trampoline_kernelINS0_14default_configENS1_38merge_sort_block_merge_config_selectorIlNS0_10empty_typeEEEZZNS1_27merge_sort_block_merge_implIS3_PlPS5_mZN2at6native12_GLOBAL__N_124unique_dim_cuda_templateIjEESt5tupleIJNSA_6TensorESF_SF_EERKSF_lbbbEUlllE_EE10hipError_tT0_T1_T2_jT3_P12ihipStream_tbPNSt15iterator_traitsISL_E10value_typeEPNSR_ISM_E10value_typeEPSN_NS1_7vsmem_tEENKUlT_SL_SM_SN_E_clIS8_S8_S9_S9_EESK_S10_SL_SM_SN_EUlS10_E_NS1_11comp_targetILNS1_3genE3ELNS1_11target_archE908ELNS1_3gpuE7ELNS1_3repE0EEENS1_48merge_mergepath_partition_config_static_selectorELNS0_4arch9wavefront6targetE1EEEvSM_: ; @_ZN7rocprim17ROCPRIM_400000_NS6detail17trampoline_kernelINS0_14default_configENS1_38merge_sort_block_merge_config_selectorIlNS0_10empty_typeEEEZZNS1_27merge_sort_block_merge_implIS3_PlPS5_mZN2at6native12_GLOBAL__N_124unique_dim_cuda_templateIjEESt5tupleIJNSA_6TensorESF_SF_EERKSF_lbbbEUlllE_EE10hipError_tT0_T1_T2_jT3_P12ihipStream_tbPNSt15iterator_traitsISL_E10value_typeEPNSR_ISM_E10value_typeEPSN_NS1_7vsmem_tEENKUlT_SL_SM_SN_E_clIS8_S8_S9_S9_EESK_S10_SL_SM_SN_EUlS10_E_NS1_11comp_targetILNS1_3genE3ELNS1_11target_archE908ELNS1_3gpuE7ELNS1_3repE0EEENS1_48merge_mergepath_partition_config_static_selectorELNS0_4arch9wavefront6targetE1EEEvSM_
; %bb.0:
	.section	.rodata,"a",@progbits
	.p2align	6, 0x0
	.amdhsa_kernel _ZN7rocprim17ROCPRIM_400000_NS6detail17trampoline_kernelINS0_14default_configENS1_38merge_sort_block_merge_config_selectorIlNS0_10empty_typeEEEZZNS1_27merge_sort_block_merge_implIS3_PlPS5_mZN2at6native12_GLOBAL__N_124unique_dim_cuda_templateIjEESt5tupleIJNSA_6TensorESF_SF_EERKSF_lbbbEUlllE_EE10hipError_tT0_T1_T2_jT3_P12ihipStream_tbPNSt15iterator_traitsISL_E10value_typeEPNSR_ISM_E10value_typeEPSN_NS1_7vsmem_tEENKUlT_SL_SM_SN_E_clIS8_S8_S9_S9_EESK_S10_SL_SM_SN_EUlS10_E_NS1_11comp_targetILNS1_3genE3ELNS1_11target_archE908ELNS1_3gpuE7ELNS1_3repE0EEENS1_48merge_mergepath_partition_config_static_selectorELNS0_4arch9wavefront6targetE1EEEvSM_
		.amdhsa_group_segment_fixed_size 0
		.amdhsa_private_segment_fixed_size 0
		.amdhsa_kernarg_size 56
		.amdhsa_user_sgpr_count 6
		.amdhsa_user_sgpr_private_segment_buffer 1
		.amdhsa_user_sgpr_dispatch_ptr 0
		.amdhsa_user_sgpr_queue_ptr 0
		.amdhsa_user_sgpr_kernarg_segment_ptr 1
		.amdhsa_user_sgpr_dispatch_id 0
		.amdhsa_user_sgpr_flat_scratch_init 0
		.amdhsa_user_sgpr_kernarg_preload_length 0
		.amdhsa_user_sgpr_kernarg_preload_offset 0
		.amdhsa_user_sgpr_private_segment_size 0
		.amdhsa_uses_dynamic_stack 0
		.amdhsa_system_sgpr_private_segment_wavefront_offset 0
		.amdhsa_system_sgpr_workgroup_id_x 1
		.amdhsa_system_sgpr_workgroup_id_y 0
		.amdhsa_system_sgpr_workgroup_id_z 0
		.amdhsa_system_sgpr_workgroup_info 0
		.amdhsa_system_vgpr_workitem_id 0
		.amdhsa_next_free_vgpr 1
		.amdhsa_next_free_sgpr 0
		.amdhsa_accum_offset 4
		.amdhsa_reserve_vcc 0
		.amdhsa_reserve_flat_scratch 0
		.amdhsa_float_round_mode_32 0
		.amdhsa_float_round_mode_16_64 0
		.amdhsa_float_denorm_mode_32 3
		.amdhsa_float_denorm_mode_16_64 3
		.amdhsa_dx10_clamp 1
		.amdhsa_ieee_mode 1
		.amdhsa_fp16_overflow 0
		.amdhsa_tg_split 0
		.amdhsa_exception_fp_ieee_invalid_op 0
		.amdhsa_exception_fp_denorm_src 0
		.amdhsa_exception_fp_ieee_div_zero 0
		.amdhsa_exception_fp_ieee_overflow 0
		.amdhsa_exception_fp_ieee_underflow 0
		.amdhsa_exception_fp_ieee_inexact 0
		.amdhsa_exception_int_div_zero 0
	.end_amdhsa_kernel
	.section	.text._ZN7rocprim17ROCPRIM_400000_NS6detail17trampoline_kernelINS0_14default_configENS1_38merge_sort_block_merge_config_selectorIlNS0_10empty_typeEEEZZNS1_27merge_sort_block_merge_implIS3_PlPS5_mZN2at6native12_GLOBAL__N_124unique_dim_cuda_templateIjEESt5tupleIJNSA_6TensorESF_SF_EERKSF_lbbbEUlllE_EE10hipError_tT0_T1_T2_jT3_P12ihipStream_tbPNSt15iterator_traitsISL_E10value_typeEPNSR_ISM_E10value_typeEPSN_NS1_7vsmem_tEENKUlT_SL_SM_SN_E_clIS8_S8_S9_S9_EESK_S10_SL_SM_SN_EUlS10_E_NS1_11comp_targetILNS1_3genE3ELNS1_11target_archE908ELNS1_3gpuE7ELNS1_3repE0EEENS1_48merge_mergepath_partition_config_static_selectorELNS0_4arch9wavefront6targetE1EEEvSM_,"axG",@progbits,_ZN7rocprim17ROCPRIM_400000_NS6detail17trampoline_kernelINS0_14default_configENS1_38merge_sort_block_merge_config_selectorIlNS0_10empty_typeEEEZZNS1_27merge_sort_block_merge_implIS3_PlPS5_mZN2at6native12_GLOBAL__N_124unique_dim_cuda_templateIjEESt5tupleIJNSA_6TensorESF_SF_EERKSF_lbbbEUlllE_EE10hipError_tT0_T1_T2_jT3_P12ihipStream_tbPNSt15iterator_traitsISL_E10value_typeEPNSR_ISM_E10value_typeEPSN_NS1_7vsmem_tEENKUlT_SL_SM_SN_E_clIS8_S8_S9_S9_EESK_S10_SL_SM_SN_EUlS10_E_NS1_11comp_targetILNS1_3genE3ELNS1_11target_archE908ELNS1_3gpuE7ELNS1_3repE0EEENS1_48merge_mergepath_partition_config_static_selectorELNS0_4arch9wavefront6targetE1EEEvSM_,comdat
.Lfunc_end1494:
	.size	_ZN7rocprim17ROCPRIM_400000_NS6detail17trampoline_kernelINS0_14default_configENS1_38merge_sort_block_merge_config_selectorIlNS0_10empty_typeEEEZZNS1_27merge_sort_block_merge_implIS3_PlPS5_mZN2at6native12_GLOBAL__N_124unique_dim_cuda_templateIjEESt5tupleIJNSA_6TensorESF_SF_EERKSF_lbbbEUlllE_EE10hipError_tT0_T1_T2_jT3_P12ihipStream_tbPNSt15iterator_traitsISL_E10value_typeEPNSR_ISM_E10value_typeEPSN_NS1_7vsmem_tEENKUlT_SL_SM_SN_E_clIS8_S8_S9_S9_EESK_S10_SL_SM_SN_EUlS10_E_NS1_11comp_targetILNS1_3genE3ELNS1_11target_archE908ELNS1_3gpuE7ELNS1_3repE0EEENS1_48merge_mergepath_partition_config_static_selectorELNS0_4arch9wavefront6targetE1EEEvSM_, .Lfunc_end1494-_ZN7rocprim17ROCPRIM_400000_NS6detail17trampoline_kernelINS0_14default_configENS1_38merge_sort_block_merge_config_selectorIlNS0_10empty_typeEEEZZNS1_27merge_sort_block_merge_implIS3_PlPS5_mZN2at6native12_GLOBAL__N_124unique_dim_cuda_templateIjEESt5tupleIJNSA_6TensorESF_SF_EERKSF_lbbbEUlllE_EE10hipError_tT0_T1_T2_jT3_P12ihipStream_tbPNSt15iterator_traitsISL_E10value_typeEPNSR_ISM_E10value_typeEPSN_NS1_7vsmem_tEENKUlT_SL_SM_SN_E_clIS8_S8_S9_S9_EESK_S10_SL_SM_SN_EUlS10_E_NS1_11comp_targetILNS1_3genE3ELNS1_11target_archE908ELNS1_3gpuE7ELNS1_3repE0EEENS1_48merge_mergepath_partition_config_static_selectorELNS0_4arch9wavefront6targetE1EEEvSM_
                                        ; -- End function
	.section	.AMDGPU.csdata,"",@progbits
; Kernel info:
; codeLenInByte = 0
; NumSgprs: 4
; NumVgprs: 0
; NumAgprs: 0
; TotalNumVgprs: 0
; ScratchSize: 0
; MemoryBound: 0
; FloatMode: 240
; IeeeMode: 1
; LDSByteSize: 0 bytes/workgroup (compile time only)
; SGPRBlocks: 0
; VGPRBlocks: 0
; NumSGPRsForWavesPerEU: 4
; NumVGPRsForWavesPerEU: 1
; AccumOffset: 4
; Occupancy: 8
; WaveLimiterHint : 0
; COMPUTE_PGM_RSRC2:SCRATCH_EN: 0
; COMPUTE_PGM_RSRC2:USER_SGPR: 6
; COMPUTE_PGM_RSRC2:TRAP_HANDLER: 0
; COMPUTE_PGM_RSRC2:TGID_X_EN: 1
; COMPUTE_PGM_RSRC2:TGID_Y_EN: 0
; COMPUTE_PGM_RSRC2:TGID_Z_EN: 0
; COMPUTE_PGM_RSRC2:TIDIG_COMP_CNT: 0
; COMPUTE_PGM_RSRC3_GFX90A:ACCUM_OFFSET: 0
; COMPUTE_PGM_RSRC3_GFX90A:TG_SPLIT: 0
	.section	.text._ZN7rocprim17ROCPRIM_400000_NS6detail17trampoline_kernelINS0_14default_configENS1_38merge_sort_block_merge_config_selectorIlNS0_10empty_typeEEEZZNS1_27merge_sort_block_merge_implIS3_PlPS5_mZN2at6native12_GLOBAL__N_124unique_dim_cuda_templateIjEESt5tupleIJNSA_6TensorESF_SF_EERKSF_lbbbEUlllE_EE10hipError_tT0_T1_T2_jT3_P12ihipStream_tbPNSt15iterator_traitsISL_E10value_typeEPNSR_ISM_E10value_typeEPSN_NS1_7vsmem_tEENKUlT_SL_SM_SN_E_clIS8_S8_S9_S9_EESK_S10_SL_SM_SN_EUlS10_E_NS1_11comp_targetILNS1_3genE2ELNS1_11target_archE906ELNS1_3gpuE6ELNS1_3repE0EEENS1_48merge_mergepath_partition_config_static_selectorELNS0_4arch9wavefront6targetE1EEEvSM_,"axG",@progbits,_ZN7rocprim17ROCPRIM_400000_NS6detail17trampoline_kernelINS0_14default_configENS1_38merge_sort_block_merge_config_selectorIlNS0_10empty_typeEEEZZNS1_27merge_sort_block_merge_implIS3_PlPS5_mZN2at6native12_GLOBAL__N_124unique_dim_cuda_templateIjEESt5tupleIJNSA_6TensorESF_SF_EERKSF_lbbbEUlllE_EE10hipError_tT0_T1_T2_jT3_P12ihipStream_tbPNSt15iterator_traitsISL_E10value_typeEPNSR_ISM_E10value_typeEPSN_NS1_7vsmem_tEENKUlT_SL_SM_SN_E_clIS8_S8_S9_S9_EESK_S10_SL_SM_SN_EUlS10_E_NS1_11comp_targetILNS1_3genE2ELNS1_11target_archE906ELNS1_3gpuE6ELNS1_3repE0EEENS1_48merge_mergepath_partition_config_static_selectorELNS0_4arch9wavefront6targetE1EEEvSM_,comdat
	.globl	_ZN7rocprim17ROCPRIM_400000_NS6detail17trampoline_kernelINS0_14default_configENS1_38merge_sort_block_merge_config_selectorIlNS0_10empty_typeEEEZZNS1_27merge_sort_block_merge_implIS3_PlPS5_mZN2at6native12_GLOBAL__N_124unique_dim_cuda_templateIjEESt5tupleIJNSA_6TensorESF_SF_EERKSF_lbbbEUlllE_EE10hipError_tT0_T1_T2_jT3_P12ihipStream_tbPNSt15iterator_traitsISL_E10value_typeEPNSR_ISM_E10value_typeEPSN_NS1_7vsmem_tEENKUlT_SL_SM_SN_E_clIS8_S8_S9_S9_EESK_S10_SL_SM_SN_EUlS10_E_NS1_11comp_targetILNS1_3genE2ELNS1_11target_archE906ELNS1_3gpuE6ELNS1_3repE0EEENS1_48merge_mergepath_partition_config_static_selectorELNS0_4arch9wavefront6targetE1EEEvSM_ ; -- Begin function _ZN7rocprim17ROCPRIM_400000_NS6detail17trampoline_kernelINS0_14default_configENS1_38merge_sort_block_merge_config_selectorIlNS0_10empty_typeEEEZZNS1_27merge_sort_block_merge_implIS3_PlPS5_mZN2at6native12_GLOBAL__N_124unique_dim_cuda_templateIjEESt5tupleIJNSA_6TensorESF_SF_EERKSF_lbbbEUlllE_EE10hipError_tT0_T1_T2_jT3_P12ihipStream_tbPNSt15iterator_traitsISL_E10value_typeEPNSR_ISM_E10value_typeEPSN_NS1_7vsmem_tEENKUlT_SL_SM_SN_E_clIS8_S8_S9_S9_EESK_S10_SL_SM_SN_EUlS10_E_NS1_11comp_targetILNS1_3genE2ELNS1_11target_archE906ELNS1_3gpuE6ELNS1_3repE0EEENS1_48merge_mergepath_partition_config_static_selectorELNS0_4arch9wavefront6targetE1EEEvSM_
	.p2align	8
	.type	_ZN7rocprim17ROCPRIM_400000_NS6detail17trampoline_kernelINS0_14default_configENS1_38merge_sort_block_merge_config_selectorIlNS0_10empty_typeEEEZZNS1_27merge_sort_block_merge_implIS3_PlPS5_mZN2at6native12_GLOBAL__N_124unique_dim_cuda_templateIjEESt5tupleIJNSA_6TensorESF_SF_EERKSF_lbbbEUlllE_EE10hipError_tT0_T1_T2_jT3_P12ihipStream_tbPNSt15iterator_traitsISL_E10value_typeEPNSR_ISM_E10value_typeEPSN_NS1_7vsmem_tEENKUlT_SL_SM_SN_E_clIS8_S8_S9_S9_EESK_S10_SL_SM_SN_EUlS10_E_NS1_11comp_targetILNS1_3genE2ELNS1_11target_archE906ELNS1_3gpuE6ELNS1_3repE0EEENS1_48merge_mergepath_partition_config_static_selectorELNS0_4arch9wavefront6targetE1EEEvSM_,@function
_ZN7rocprim17ROCPRIM_400000_NS6detail17trampoline_kernelINS0_14default_configENS1_38merge_sort_block_merge_config_selectorIlNS0_10empty_typeEEEZZNS1_27merge_sort_block_merge_implIS3_PlPS5_mZN2at6native12_GLOBAL__N_124unique_dim_cuda_templateIjEESt5tupleIJNSA_6TensorESF_SF_EERKSF_lbbbEUlllE_EE10hipError_tT0_T1_T2_jT3_P12ihipStream_tbPNSt15iterator_traitsISL_E10value_typeEPNSR_ISM_E10value_typeEPSN_NS1_7vsmem_tEENKUlT_SL_SM_SN_E_clIS8_S8_S9_S9_EESK_S10_SL_SM_SN_EUlS10_E_NS1_11comp_targetILNS1_3genE2ELNS1_11target_archE906ELNS1_3gpuE6ELNS1_3repE0EEENS1_48merge_mergepath_partition_config_static_selectorELNS0_4arch9wavefront6targetE1EEEvSM_: ; @_ZN7rocprim17ROCPRIM_400000_NS6detail17trampoline_kernelINS0_14default_configENS1_38merge_sort_block_merge_config_selectorIlNS0_10empty_typeEEEZZNS1_27merge_sort_block_merge_implIS3_PlPS5_mZN2at6native12_GLOBAL__N_124unique_dim_cuda_templateIjEESt5tupleIJNSA_6TensorESF_SF_EERKSF_lbbbEUlllE_EE10hipError_tT0_T1_T2_jT3_P12ihipStream_tbPNSt15iterator_traitsISL_E10value_typeEPNSR_ISM_E10value_typeEPSN_NS1_7vsmem_tEENKUlT_SL_SM_SN_E_clIS8_S8_S9_S9_EESK_S10_SL_SM_SN_EUlS10_E_NS1_11comp_targetILNS1_3genE2ELNS1_11target_archE906ELNS1_3gpuE6ELNS1_3repE0EEENS1_48merge_mergepath_partition_config_static_selectorELNS0_4arch9wavefront6targetE1EEEvSM_
; %bb.0:
	.section	.rodata,"a",@progbits
	.p2align	6, 0x0
	.amdhsa_kernel _ZN7rocprim17ROCPRIM_400000_NS6detail17trampoline_kernelINS0_14default_configENS1_38merge_sort_block_merge_config_selectorIlNS0_10empty_typeEEEZZNS1_27merge_sort_block_merge_implIS3_PlPS5_mZN2at6native12_GLOBAL__N_124unique_dim_cuda_templateIjEESt5tupleIJNSA_6TensorESF_SF_EERKSF_lbbbEUlllE_EE10hipError_tT0_T1_T2_jT3_P12ihipStream_tbPNSt15iterator_traitsISL_E10value_typeEPNSR_ISM_E10value_typeEPSN_NS1_7vsmem_tEENKUlT_SL_SM_SN_E_clIS8_S8_S9_S9_EESK_S10_SL_SM_SN_EUlS10_E_NS1_11comp_targetILNS1_3genE2ELNS1_11target_archE906ELNS1_3gpuE6ELNS1_3repE0EEENS1_48merge_mergepath_partition_config_static_selectorELNS0_4arch9wavefront6targetE1EEEvSM_
		.amdhsa_group_segment_fixed_size 0
		.amdhsa_private_segment_fixed_size 0
		.amdhsa_kernarg_size 56
		.amdhsa_user_sgpr_count 6
		.amdhsa_user_sgpr_private_segment_buffer 1
		.amdhsa_user_sgpr_dispatch_ptr 0
		.amdhsa_user_sgpr_queue_ptr 0
		.amdhsa_user_sgpr_kernarg_segment_ptr 1
		.amdhsa_user_sgpr_dispatch_id 0
		.amdhsa_user_sgpr_flat_scratch_init 0
		.amdhsa_user_sgpr_kernarg_preload_length 0
		.amdhsa_user_sgpr_kernarg_preload_offset 0
		.amdhsa_user_sgpr_private_segment_size 0
		.amdhsa_uses_dynamic_stack 0
		.amdhsa_system_sgpr_private_segment_wavefront_offset 0
		.amdhsa_system_sgpr_workgroup_id_x 1
		.amdhsa_system_sgpr_workgroup_id_y 0
		.amdhsa_system_sgpr_workgroup_id_z 0
		.amdhsa_system_sgpr_workgroup_info 0
		.amdhsa_system_vgpr_workitem_id 0
		.amdhsa_next_free_vgpr 1
		.amdhsa_next_free_sgpr 0
		.amdhsa_accum_offset 4
		.amdhsa_reserve_vcc 0
		.amdhsa_reserve_flat_scratch 0
		.amdhsa_float_round_mode_32 0
		.amdhsa_float_round_mode_16_64 0
		.amdhsa_float_denorm_mode_32 3
		.amdhsa_float_denorm_mode_16_64 3
		.amdhsa_dx10_clamp 1
		.amdhsa_ieee_mode 1
		.amdhsa_fp16_overflow 0
		.amdhsa_tg_split 0
		.amdhsa_exception_fp_ieee_invalid_op 0
		.amdhsa_exception_fp_denorm_src 0
		.amdhsa_exception_fp_ieee_div_zero 0
		.amdhsa_exception_fp_ieee_overflow 0
		.amdhsa_exception_fp_ieee_underflow 0
		.amdhsa_exception_fp_ieee_inexact 0
		.amdhsa_exception_int_div_zero 0
	.end_amdhsa_kernel
	.section	.text._ZN7rocprim17ROCPRIM_400000_NS6detail17trampoline_kernelINS0_14default_configENS1_38merge_sort_block_merge_config_selectorIlNS0_10empty_typeEEEZZNS1_27merge_sort_block_merge_implIS3_PlPS5_mZN2at6native12_GLOBAL__N_124unique_dim_cuda_templateIjEESt5tupleIJNSA_6TensorESF_SF_EERKSF_lbbbEUlllE_EE10hipError_tT0_T1_T2_jT3_P12ihipStream_tbPNSt15iterator_traitsISL_E10value_typeEPNSR_ISM_E10value_typeEPSN_NS1_7vsmem_tEENKUlT_SL_SM_SN_E_clIS8_S8_S9_S9_EESK_S10_SL_SM_SN_EUlS10_E_NS1_11comp_targetILNS1_3genE2ELNS1_11target_archE906ELNS1_3gpuE6ELNS1_3repE0EEENS1_48merge_mergepath_partition_config_static_selectorELNS0_4arch9wavefront6targetE1EEEvSM_,"axG",@progbits,_ZN7rocprim17ROCPRIM_400000_NS6detail17trampoline_kernelINS0_14default_configENS1_38merge_sort_block_merge_config_selectorIlNS0_10empty_typeEEEZZNS1_27merge_sort_block_merge_implIS3_PlPS5_mZN2at6native12_GLOBAL__N_124unique_dim_cuda_templateIjEESt5tupleIJNSA_6TensorESF_SF_EERKSF_lbbbEUlllE_EE10hipError_tT0_T1_T2_jT3_P12ihipStream_tbPNSt15iterator_traitsISL_E10value_typeEPNSR_ISM_E10value_typeEPSN_NS1_7vsmem_tEENKUlT_SL_SM_SN_E_clIS8_S8_S9_S9_EESK_S10_SL_SM_SN_EUlS10_E_NS1_11comp_targetILNS1_3genE2ELNS1_11target_archE906ELNS1_3gpuE6ELNS1_3repE0EEENS1_48merge_mergepath_partition_config_static_selectorELNS0_4arch9wavefront6targetE1EEEvSM_,comdat
.Lfunc_end1495:
	.size	_ZN7rocprim17ROCPRIM_400000_NS6detail17trampoline_kernelINS0_14default_configENS1_38merge_sort_block_merge_config_selectorIlNS0_10empty_typeEEEZZNS1_27merge_sort_block_merge_implIS3_PlPS5_mZN2at6native12_GLOBAL__N_124unique_dim_cuda_templateIjEESt5tupleIJNSA_6TensorESF_SF_EERKSF_lbbbEUlllE_EE10hipError_tT0_T1_T2_jT3_P12ihipStream_tbPNSt15iterator_traitsISL_E10value_typeEPNSR_ISM_E10value_typeEPSN_NS1_7vsmem_tEENKUlT_SL_SM_SN_E_clIS8_S8_S9_S9_EESK_S10_SL_SM_SN_EUlS10_E_NS1_11comp_targetILNS1_3genE2ELNS1_11target_archE906ELNS1_3gpuE6ELNS1_3repE0EEENS1_48merge_mergepath_partition_config_static_selectorELNS0_4arch9wavefront6targetE1EEEvSM_, .Lfunc_end1495-_ZN7rocprim17ROCPRIM_400000_NS6detail17trampoline_kernelINS0_14default_configENS1_38merge_sort_block_merge_config_selectorIlNS0_10empty_typeEEEZZNS1_27merge_sort_block_merge_implIS3_PlPS5_mZN2at6native12_GLOBAL__N_124unique_dim_cuda_templateIjEESt5tupleIJNSA_6TensorESF_SF_EERKSF_lbbbEUlllE_EE10hipError_tT0_T1_T2_jT3_P12ihipStream_tbPNSt15iterator_traitsISL_E10value_typeEPNSR_ISM_E10value_typeEPSN_NS1_7vsmem_tEENKUlT_SL_SM_SN_E_clIS8_S8_S9_S9_EESK_S10_SL_SM_SN_EUlS10_E_NS1_11comp_targetILNS1_3genE2ELNS1_11target_archE906ELNS1_3gpuE6ELNS1_3repE0EEENS1_48merge_mergepath_partition_config_static_selectorELNS0_4arch9wavefront6targetE1EEEvSM_
                                        ; -- End function
	.section	.AMDGPU.csdata,"",@progbits
; Kernel info:
; codeLenInByte = 0
; NumSgprs: 4
; NumVgprs: 0
; NumAgprs: 0
; TotalNumVgprs: 0
; ScratchSize: 0
; MemoryBound: 0
; FloatMode: 240
; IeeeMode: 1
; LDSByteSize: 0 bytes/workgroup (compile time only)
; SGPRBlocks: 0
; VGPRBlocks: 0
; NumSGPRsForWavesPerEU: 4
; NumVGPRsForWavesPerEU: 1
; AccumOffset: 4
; Occupancy: 8
; WaveLimiterHint : 0
; COMPUTE_PGM_RSRC2:SCRATCH_EN: 0
; COMPUTE_PGM_RSRC2:USER_SGPR: 6
; COMPUTE_PGM_RSRC2:TRAP_HANDLER: 0
; COMPUTE_PGM_RSRC2:TGID_X_EN: 1
; COMPUTE_PGM_RSRC2:TGID_Y_EN: 0
; COMPUTE_PGM_RSRC2:TGID_Z_EN: 0
; COMPUTE_PGM_RSRC2:TIDIG_COMP_CNT: 0
; COMPUTE_PGM_RSRC3_GFX90A:ACCUM_OFFSET: 0
; COMPUTE_PGM_RSRC3_GFX90A:TG_SPLIT: 0
	.section	.text._ZN7rocprim17ROCPRIM_400000_NS6detail17trampoline_kernelINS0_14default_configENS1_38merge_sort_block_merge_config_selectorIlNS0_10empty_typeEEEZZNS1_27merge_sort_block_merge_implIS3_PlPS5_mZN2at6native12_GLOBAL__N_124unique_dim_cuda_templateIjEESt5tupleIJNSA_6TensorESF_SF_EERKSF_lbbbEUlllE_EE10hipError_tT0_T1_T2_jT3_P12ihipStream_tbPNSt15iterator_traitsISL_E10value_typeEPNSR_ISM_E10value_typeEPSN_NS1_7vsmem_tEENKUlT_SL_SM_SN_E_clIS8_S8_S9_S9_EESK_S10_SL_SM_SN_EUlS10_E_NS1_11comp_targetILNS1_3genE9ELNS1_11target_archE1100ELNS1_3gpuE3ELNS1_3repE0EEENS1_48merge_mergepath_partition_config_static_selectorELNS0_4arch9wavefront6targetE1EEEvSM_,"axG",@progbits,_ZN7rocprim17ROCPRIM_400000_NS6detail17trampoline_kernelINS0_14default_configENS1_38merge_sort_block_merge_config_selectorIlNS0_10empty_typeEEEZZNS1_27merge_sort_block_merge_implIS3_PlPS5_mZN2at6native12_GLOBAL__N_124unique_dim_cuda_templateIjEESt5tupleIJNSA_6TensorESF_SF_EERKSF_lbbbEUlllE_EE10hipError_tT0_T1_T2_jT3_P12ihipStream_tbPNSt15iterator_traitsISL_E10value_typeEPNSR_ISM_E10value_typeEPSN_NS1_7vsmem_tEENKUlT_SL_SM_SN_E_clIS8_S8_S9_S9_EESK_S10_SL_SM_SN_EUlS10_E_NS1_11comp_targetILNS1_3genE9ELNS1_11target_archE1100ELNS1_3gpuE3ELNS1_3repE0EEENS1_48merge_mergepath_partition_config_static_selectorELNS0_4arch9wavefront6targetE1EEEvSM_,comdat
	.globl	_ZN7rocprim17ROCPRIM_400000_NS6detail17trampoline_kernelINS0_14default_configENS1_38merge_sort_block_merge_config_selectorIlNS0_10empty_typeEEEZZNS1_27merge_sort_block_merge_implIS3_PlPS5_mZN2at6native12_GLOBAL__N_124unique_dim_cuda_templateIjEESt5tupleIJNSA_6TensorESF_SF_EERKSF_lbbbEUlllE_EE10hipError_tT0_T1_T2_jT3_P12ihipStream_tbPNSt15iterator_traitsISL_E10value_typeEPNSR_ISM_E10value_typeEPSN_NS1_7vsmem_tEENKUlT_SL_SM_SN_E_clIS8_S8_S9_S9_EESK_S10_SL_SM_SN_EUlS10_E_NS1_11comp_targetILNS1_3genE9ELNS1_11target_archE1100ELNS1_3gpuE3ELNS1_3repE0EEENS1_48merge_mergepath_partition_config_static_selectorELNS0_4arch9wavefront6targetE1EEEvSM_ ; -- Begin function _ZN7rocprim17ROCPRIM_400000_NS6detail17trampoline_kernelINS0_14default_configENS1_38merge_sort_block_merge_config_selectorIlNS0_10empty_typeEEEZZNS1_27merge_sort_block_merge_implIS3_PlPS5_mZN2at6native12_GLOBAL__N_124unique_dim_cuda_templateIjEESt5tupleIJNSA_6TensorESF_SF_EERKSF_lbbbEUlllE_EE10hipError_tT0_T1_T2_jT3_P12ihipStream_tbPNSt15iterator_traitsISL_E10value_typeEPNSR_ISM_E10value_typeEPSN_NS1_7vsmem_tEENKUlT_SL_SM_SN_E_clIS8_S8_S9_S9_EESK_S10_SL_SM_SN_EUlS10_E_NS1_11comp_targetILNS1_3genE9ELNS1_11target_archE1100ELNS1_3gpuE3ELNS1_3repE0EEENS1_48merge_mergepath_partition_config_static_selectorELNS0_4arch9wavefront6targetE1EEEvSM_
	.p2align	8
	.type	_ZN7rocprim17ROCPRIM_400000_NS6detail17trampoline_kernelINS0_14default_configENS1_38merge_sort_block_merge_config_selectorIlNS0_10empty_typeEEEZZNS1_27merge_sort_block_merge_implIS3_PlPS5_mZN2at6native12_GLOBAL__N_124unique_dim_cuda_templateIjEESt5tupleIJNSA_6TensorESF_SF_EERKSF_lbbbEUlllE_EE10hipError_tT0_T1_T2_jT3_P12ihipStream_tbPNSt15iterator_traitsISL_E10value_typeEPNSR_ISM_E10value_typeEPSN_NS1_7vsmem_tEENKUlT_SL_SM_SN_E_clIS8_S8_S9_S9_EESK_S10_SL_SM_SN_EUlS10_E_NS1_11comp_targetILNS1_3genE9ELNS1_11target_archE1100ELNS1_3gpuE3ELNS1_3repE0EEENS1_48merge_mergepath_partition_config_static_selectorELNS0_4arch9wavefront6targetE1EEEvSM_,@function
_ZN7rocprim17ROCPRIM_400000_NS6detail17trampoline_kernelINS0_14default_configENS1_38merge_sort_block_merge_config_selectorIlNS0_10empty_typeEEEZZNS1_27merge_sort_block_merge_implIS3_PlPS5_mZN2at6native12_GLOBAL__N_124unique_dim_cuda_templateIjEESt5tupleIJNSA_6TensorESF_SF_EERKSF_lbbbEUlllE_EE10hipError_tT0_T1_T2_jT3_P12ihipStream_tbPNSt15iterator_traitsISL_E10value_typeEPNSR_ISM_E10value_typeEPSN_NS1_7vsmem_tEENKUlT_SL_SM_SN_E_clIS8_S8_S9_S9_EESK_S10_SL_SM_SN_EUlS10_E_NS1_11comp_targetILNS1_3genE9ELNS1_11target_archE1100ELNS1_3gpuE3ELNS1_3repE0EEENS1_48merge_mergepath_partition_config_static_selectorELNS0_4arch9wavefront6targetE1EEEvSM_: ; @_ZN7rocprim17ROCPRIM_400000_NS6detail17trampoline_kernelINS0_14default_configENS1_38merge_sort_block_merge_config_selectorIlNS0_10empty_typeEEEZZNS1_27merge_sort_block_merge_implIS3_PlPS5_mZN2at6native12_GLOBAL__N_124unique_dim_cuda_templateIjEESt5tupleIJNSA_6TensorESF_SF_EERKSF_lbbbEUlllE_EE10hipError_tT0_T1_T2_jT3_P12ihipStream_tbPNSt15iterator_traitsISL_E10value_typeEPNSR_ISM_E10value_typeEPSN_NS1_7vsmem_tEENKUlT_SL_SM_SN_E_clIS8_S8_S9_S9_EESK_S10_SL_SM_SN_EUlS10_E_NS1_11comp_targetILNS1_3genE9ELNS1_11target_archE1100ELNS1_3gpuE3ELNS1_3repE0EEENS1_48merge_mergepath_partition_config_static_selectorELNS0_4arch9wavefront6targetE1EEEvSM_
; %bb.0:
	.section	.rodata,"a",@progbits
	.p2align	6, 0x0
	.amdhsa_kernel _ZN7rocprim17ROCPRIM_400000_NS6detail17trampoline_kernelINS0_14default_configENS1_38merge_sort_block_merge_config_selectorIlNS0_10empty_typeEEEZZNS1_27merge_sort_block_merge_implIS3_PlPS5_mZN2at6native12_GLOBAL__N_124unique_dim_cuda_templateIjEESt5tupleIJNSA_6TensorESF_SF_EERKSF_lbbbEUlllE_EE10hipError_tT0_T1_T2_jT3_P12ihipStream_tbPNSt15iterator_traitsISL_E10value_typeEPNSR_ISM_E10value_typeEPSN_NS1_7vsmem_tEENKUlT_SL_SM_SN_E_clIS8_S8_S9_S9_EESK_S10_SL_SM_SN_EUlS10_E_NS1_11comp_targetILNS1_3genE9ELNS1_11target_archE1100ELNS1_3gpuE3ELNS1_3repE0EEENS1_48merge_mergepath_partition_config_static_selectorELNS0_4arch9wavefront6targetE1EEEvSM_
		.amdhsa_group_segment_fixed_size 0
		.amdhsa_private_segment_fixed_size 0
		.amdhsa_kernarg_size 56
		.amdhsa_user_sgpr_count 6
		.amdhsa_user_sgpr_private_segment_buffer 1
		.amdhsa_user_sgpr_dispatch_ptr 0
		.amdhsa_user_sgpr_queue_ptr 0
		.amdhsa_user_sgpr_kernarg_segment_ptr 1
		.amdhsa_user_sgpr_dispatch_id 0
		.amdhsa_user_sgpr_flat_scratch_init 0
		.amdhsa_user_sgpr_kernarg_preload_length 0
		.amdhsa_user_sgpr_kernarg_preload_offset 0
		.amdhsa_user_sgpr_private_segment_size 0
		.amdhsa_uses_dynamic_stack 0
		.amdhsa_system_sgpr_private_segment_wavefront_offset 0
		.amdhsa_system_sgpr_workgroup_id_x 1
		.amdhsa_system_sgpr_workgroup_id_y 0
		.amdhsa_system_sgpr_workgroup_id_z 0
		.amdhsa_system_sgpr_workgroup_info 0
		.amdhsa_system_vgpr_workitem_id 0
		.amdhsa_next_free_vgpr 1
		.amdhsa_next_free_sgpr 0
		.amdhsa_accum_offset 4
		.amdhsa_reserve_vcc 0
		.amdhsa_reserve_flat_scratch 0
		.amdhsa_float_round_mode_32 0
		.amdhsa_float_round_mode_16_64 0
		.amdhsa_float_denorm_mode_32 3
		.amdhsa_float_denorm_mode_16_64 3
		.amdhsa_dx10_clamp 1
		.amdhsa_ieee_mode 1
		.amdhsa_fp16_overflow 0
		.amdhsa_tg_split 0
		.amdhsa_exception_fp_ieee_invalid_op 0
		.amdhsa_exception_fp_denorm_src 0
		.amdhsa_exception_fp_ieee_div_zero 0
		.amdhsa_exception_fp_ieee_overflow 0
		.amdhsa_exception_fp_ieee_underflow 0
		.amdhsa_exception_fp_ieee_inexact 0
		.amdhsa_exception_int_div_zero 0
	.end_amdhsa_kernel
	.section	.text._ZN7rocprim17ROCPRIM_400000_NS6detail17trampoline_kernelINS0_14default_configENS1_38merge_sort_block_merge_config_selectorIlNS0_10empty_typeEEEZZNS1_27merge_sort_block_merge_implIS3_PlPS5_mZN2at6native12_GLOBAL__N_124unique_dim_cuda_templateIjEESt5tupleIJNSA_6TensorESF_SF_EERKSF_lbbbEUlllE_EE10hipError_tT0_T1_T2_jT3_P12ihipStream_tbPNSt15iterator_traitsISL_E10value_typeEPNSR_ISM_E10value_typeEPSN_NS1_7vsmem_tEENKUlT_SL_SM_SN_E_clIS8_S8_S9_S9_EESK_S10_SL_SM_SN_EUlS10_E_NS1_11comp_targetILNS1_3genE9ELNS1_11target_archE1100ELNS1_3gpuE3ELNS1_3repE0EEENS1_48merge_mergepath_partition_config_static_selectorELNS0_4arch9wavefront6targetE1EEEvSM_,"axG",@progbits,_ZN7rocprim17ROCPRIM_400000_NS6detail17trampoline_kernelINS0_14default_configENS1_38merge_sort_block_merge_config_selectorIlNS0_10empty_typeEEEZZNS1_27merge_sort_block_merge_implIS3_PlPS5_mZN2at6native12_GLOBAL__N_124unique_dim_cuda_templateIjEESt5tupleIJNSA_6TensorESF_SF_EERKSF_lbbbEUlllE_EE10hipError_tT0_T1_T2_jT3_P12ihipStream_tbPNSt15iterator_traitsISL_E10value_typeEPNSR_ISM_E10value_typeEPSN_NS1_7vsmem_tEENKUlT_SL_SM_SN_E_clIS8_S8_S9_S9_EESK_S10_SL_SM_SN_EUlS10_E_NS1_11comp_targetILNS1_3genE9ELNS1_11target_archE1100ELNS1_3gpuE3ELNS1_3repE0EEENS1_48merge_mergepath_partition_config_static_selectorELNS0_4arch9wavefront6targetE1EEEvSM_,comdat
.Lfunc_end1496:
	.size	_ZN7rocprim17ROCPRIM_400000_NS6detail17trampoline_kernelINS0_14default_configENS1_38merge_sort_block_merge_config_selectorIlNS0_10empty_typeEEEZZNS1_27merge_sort_block_merge_implIS3_PlPS5_mZN2at6native12_GLOBAL__N_124unique_dim_cuda_templateIjEESt5tupleIJNSA_6TensorESF_SF_EERKSF_lbbbEUlllE_EE10hipError_tT0_T1_T2_jT3_P12ihipStream_tbPNSt15iterator_traitsISL_E10value_typeEPNSR_ISM_E10value_typeEPSN_NS1_7vsmem_tEENKUlT_SL_SM_SN_E_clIS8_S8_S9_S9_EESK_S10_SL_SM_SN_EUlS10_E_NS1_11comp_targetILNS1_3genE9ELNS1_11target_archE1100ELNS1_3gpuE3ELNS1_3repE0EEENS1_48merge_mergepath_partition_config_static_selectorELNS0_4arch9wavefront6targetE1EEEvSM_, .Lfunc_end1496-_ZN7rocprim17ROCPRIM_400000_NS6detail17trampoline_kernelINS0_14default_configENS1_38merge_sort_block_merge_config_selectorIlNS0_10empty_typeEEEZZNS1_27merge_sort_block_merge_implIS3_PlPS5_mZN2at6native12_GLOBAL__N_124unique_dim_cuda_templateIjEESt5tupleIJNSA_6TensorESF_SF_EERKSF_lbbbEUlllE_EE10hipError_tT0_T1_T2_jT3_P12ihipStream_tbPNSt15iterator_traitsISL_E10value_typeEPNSR_ISM_E10value_typeEPSN_NS1_7vsmem_tEENKUlT_SL_SM_SN_E_clIS8_S8_S9_S9_EESK_S10_SL_SM_SN_EUlS10_E_NS1_11comp_targetILNS1_3genE9ELNS1_11target_archE1100ELNS1_3gpuE3ELNS1_3repE0EEENS1_48merge_mergepath_partition_config_static_selectorELNS0_4arch9wavefront6targetE1EEEvSM_
                                        ; -- End function
	.section	.AMDGPU.csdata,"",@progbits
; Kernel info:
; codeLenInByte = 0
; NumSgprs: 4
; NumVgprs: 0
; NumAgprs: 0
; TotalNumVgprs: 0
; ScratchSize: 0
; MemoryBound: 0
; FloatMode: 240
; IeeeMode: 1
; LDSByteSize: 0 bytes/workgroup (compile time only)
; SGPRBlocks: 0
; VGPRBlocks: 0
; NumSGPRsForWavesPerEU: 4
; NumVGPRsForWavesPerEU: 1
; AccumOffset: 4
; Occupancy: 8
; WaveLimiterHint : 0
; COMPUTE_PGM_RSRC2:SCRATCH_EN: 0
; COMPUTE_PGM_RSRC2:USER_SGPR: 6
; COMPUTE_PGM_RSRC2:TRAP_HANDLER: 0
; COMPUTE_PGM_RSRC2:TGID_X_EN: 1
; COMPUTE_PGM_RSRC2:TGID_Y_EN: 0
; COMPUTE_PGM_RSRC2:TGID_Z_EN: 0
; COMPUTE_PGM_RSRC2:TIDIG_COMP_CNT: 0
; COMPUTE_PGM_RSRC3_GFX90A:ACCUM_OFFSET: 0
; COMPUTE_PGM_RSRC3_GFX90A:TG_SPLIT: 0
	.section	.text._ZN7rocprim17ROCPRIM_400000_NS6detail17trampoline_kernelINS0_14default_configENS1_38merge_sort_block_merge_config_selectorIlNS0_10empty_typeEEEZZNS1_27merge_sort_block_merge_implIS3_PlPS5_mZN2at6native12_GLOBAL__N_124unique_dim_cuda_templateIjEESt5tupleIJNSA_6TensorESF_SF_EERKSF_lbbbEUlllE_EE10hipError_tT0_T1_T2_jT3_P12ihipStream_tbPNSt15iterator_traitsISL_E10value_typeEPNSR_ISM_E10value_typeEPSN_NS1_7vsmem_tEENKUlT_SL_SM_SN_E_clIS8_S8_S9_S9_EESK_S10_SL_SM_SN_EUlS10_E_NS1_11comp_targetILNS1_3genE8ELNS1_11target_archE1030ELNS1_3gpuE2ELNS1_3repE0EEENS1_48merge_mergepath_partition_config_static_selectorELNS0_4arch9wavefront6targetE1EEEvSM_,"axG",@progbits,_ZN7rocprim17ROCPRIM_400000_NS6detail17trampoline_kernelINS0_14default_configENS1_38merge_sort_block_merge_config_selectorIlNS0_10empty_typeEEEZZNS1_27merge_sort_block_merge_implIS3_PlPS5_mZN2at6native12_GLOBAL__N_124unique_dim_cuda_templateIjEESt5tupleIJNSA_6TensorESF_SF_EERKSF_lbbbEUlllE_EE10hipError_tT0_T1_T2_jT3_P12ihipStream_tbPNSt15iterator_traitsISL_E10value_typeEPNSR_ISM_E10value_typeEPSN_NS1_7vsmem_tEENKUlT_SL_SM_SN_E_clIS8_S8_S9_S9_EESK_S10_SL_SM_SN_EUlS10_E_NS1_11comp_targetILNS1_3genE8ELNS1_11target_archE1030ELNS1_3gpuE2ELNS1_3repE0EEENS1_48merge_mergepath_partition_config_static_selectorELNS0_4arch9wavefront6targetE1EEEvSM_,comdat
	.globl	_ZN7rocprim17ROCPRIM_400000_NS6detail17trampoline_kernelINS0_14default_configENS1_38merge_sort_block_merge_config_selectorIlNS0_10empty_typeEEEZZNS1_27merge_sort_block_merge_implIS3_PlPS5_mZN2at6native12_GLOBAL__N_124unique_dim_cuda_templateIjEESt5tupleIJNSA_6TensorESF_SF_EERKSF_lbbbEUlllE_EE10hipError_tT0_T1_T2_jT3_P12ihipStream_tbPNSt15iterator_traitsISL_E10value_typeEPNSR_ISM_E10value_typeEPSN_NS1_7vsmem_tEENKUlT_SL_SM_SN_E_clIS8_S8_S9_S9_EESK_S10_SL_SM_SN_EUlS10_E_NS1_11comp_targetILNS1_3genE8ELNS1_11target_archE1030ELNS1_3gpuE2ELNS1_3repE0EEENS1_48merge_mergepath_partition_config_static_selectorELNS0_4arch9wavefront6targetE1EEEvSM_ ; -- Begin function _ZN7rocprim17ROCPRIM_400000_NS6detail17trampoline_kernelINS0_14default_configENS1_38merge_sort_block_merge_config_selectorIlNS0_10empty_typeEEEZZNS1_27merge_sort_block_merge_implIS3_PlPS5_mZN2at6native12_GLOBAL__N_124unique_dim_cuda_templateIjEESt5tupleIJNSA_6TensorESF_SF_EERKSF_lbbbEUlllE_EE10hipError_tT0_T1_T2_jT3_P12ihipStream_tbPNSt15iterator_traitsISL_E10value_typeEPNSR_ISM_E10value_typeEPSN_NS1_7vsmem_tEENKUlT_SL_SM_SN_E_clIS8_S8_S9_S9_EESK_S10_SL_SM_SN_EUlS10_E_NS1_11comp_targetILNS1_3genE8ELNS1_11target_archE1030ELNS1_3gpuE2ELNS1_3repE0EEENS1_48merge_mergepath_partition_config_static_selectorELNS0_4arch9wavefront6targetE1EEEvSM_
	.p2align	8
	.type	_ZN7rocprim17ROCPRIM_400000_NS6detail17trampoline_kernelINS0_14default_configENS1_38merge_sort_block_merge_config_selectorIlNS0_10empty_typeEEEZZNS1_27merge_sort_block_merge_implIS3_PlPS5_mZN2at6native12_GLOBAL__N_124unique_dim_cuda_templateIjEESt5tupleIJNSA_6TensorESF_SF_EERKSF_lbbbEUlllE_EE10hipError_tT0_T1_T2_jT3_P12ihipStream_tbPNSt15iterator_traitsISL_E10value_typeEPNSR_ISM_E10value_typeEPSN_NS1_7vsmem_tEENKUlT_SL_SM_SN_E_clIS8_S8_S9_S9_EESK_S10_SL_SM_SN_EUlS10_E_NS1_11comp_targetILNS1_3genE8ELNS1_11target_archE1030ELNS1_3gpuE2ELNS1_3repE0EEENS1_48merge_mergepath_partition_config_static_selectorELNS0_4arch9wavefront6targetE1EEEvSM_,@function
_ZN7rocprim17ROCPRIM_400000_NS6detail17trampoline_kernelINS0_14default_configENS1_38merge_sort_block_merge_config_selectorIlNS0_10empty_typeEEEZZNS1_27merge_sort_block_merge_implIS3_PlPS5_mZN2at6native12_GLOBAL__N_124unique_dim_cuda_templateIjEESt5tupleIJNSA_6TensorESF_SF_EERKSF_lbbbEUlllE_EE10hipError_tT0_T1_T2_jT3_P12ihipStream_tbPNSt15iterator_traitsISL_E10value_typeEPNSR_ISM_E10value_typeEPSN_NS1_7vsmem_tEENKUlT_SL_SM_SN_E_clIS8_S8_S9_S9_EESK_S10_SL_SM_SN_EUlS10_E_NS1_11comp_targetILNS1_3genE8ELNS1_11target_archE1030ELNS1_3gpuE2ELNS1_3repE0EEENS1_48merge_mergepath_partition_config_static_selectorELNS0_4arch9wavefront6targetE1EEEvSM_: ; @_ZN7rocprim17ROCPRIM_400000_NS6detail17trampoline_kernelINS0_14default_configENS1_38merge_sort_block_merge_config_selectorIlNS0_10empty_typeEEEZZNS1_27merge_sort_block_merge_implIS3_PlPS5_mZN2at6native12_GLOBAL__N_124unique_dim_cuda_templateIjEESt5tupleIJNSA_6TensorESF_SF_EERKSF_lbbbEUlllE_EE10hipError_tT0_T1_T2_jT3_P12ihipStream_tbPNSt15iterator_traitsISL_E10value_typeEPNSR_ISM_E10value_typeEPSN_NS1_7vsmem_tEENKUlT_SL_SM_SN_E_clIS8_S8_S9_S9_EESK_S10_SL_SM_SN_EUlS10_E_NS1_11comp_targetILNS1_3genE8ELNS1_11target_archE1030ELNS1_3gpuE2ELNS1_3repE0EEENS1_48merge_mergepath_partition_config_static_selectorELNS0_4arch9wavefront6targetE1EEEvSM_
; %bb.0:
	.section	.rodata,"a",@progbits
	.p2align	6, 0x0
	.amdhsa_kernel _ZN7rocprim17ROCPRIM_400000_NS6detail17trampoline_kernelINS0_14default_configENS1_38merge_sort_block_merge_config_selectorIlNS0_10empty_typeEEEZZNS1_27merge_sort_block_merge_implIS3_PlPS5_mZN2at6native12_GLOBAL__N_124unique_dim_cuda_templateIjEESt5tupleIJNSA_6TensorESF_SF_EERKSF_lbbbEUlllE_EE10hipError_tT0_T1_T2_jT3_P12ihipStream_tbPNSt15iterator_traitsISL_E10value_typeEPNSR_ISM_E10value_typeEPSN_NS1_7vsmem_tEENKUlT_SL_SM_SN_E_clIS8_S8_S9_S9_EESK_S10_SL_SM_SN_EUlS10_E_NS1_11comp_targetILNS1_3genE8ELNS1_11target_archE1030ELNS1_3gpuE2ELNS1_3repE0EEENS1_48merge_mergepath_partition_config_static_selectorELNS0_4arch9wavefront6targetE1EEEvSM_
		.amdhsa_group_segment_fixed_size 0
		.amdhsa_private_segment_fixed_size 0
		.amdhsa_kernarg_size 56
		.amdhsa_user_sgpr_count 6
		.amdhsa_user_sgpr_private_segment_buffer 1
		.amdhsa_user_sgpr_dispatch_ptr 0
		.amdhsa_user_sgpr_queue_ptr 0
		.amdhsa_user_sgpr_kernarg_segment_ptr 1
		.amdhsa_user_sgpr_dispatch_id 0
		.amdhsa_user_sgpr_flat_scratch_init 0
		.amdhsa_user_sgpr_kernarg_preload_length 0
		.amdhsa_user_sgpr_kernarg_preload_offset 0
		.amdhsa_user_sgpr_private_segment_size 0
		.amdhsa_uses_dynamic_stack 0
		.amdhsa_system_sgpr_private_segment_wavefront_offset 0
		.amdhsa_system_sgpr_workgroup_id_x 1
		.amdhsa_system_sgpr_workgroup_id_y 0
		.amdhsa_system_sgpr_workgroup_id_z 0
		.amdhsa_system_sgpr_workgroup_info 0
		.amdhsa_system_vgpr_workitem_id 0
		.amdhsa_next_free_vgpr 1
		.amdhsa_next_free_sgpr 0
		.amdhsa_accum_offset 4
		.amdhsa_reserve_vcc 0
		.amdhsa_reserve_flat_scratch 0
		.amdhsa_float_round_mode_32 0
		.amdhsa_float_round_mode_16_64 0
		.amdhsa_float_denorm_mode_32 3
		.amdhsa_float_denorm_mode_16_64 3
		.amdhsa_dx10_clamp 1
		.amdhsa_ieee_mode 1
		.amdhsa_fp16_overflow 0
		.amdhsa_tg_split 0
		.amdhsa_exception_fp_ieee_invalid_op 0
		.amdhsa_exception_fp_denorm_src 0
		.amdhsa_exception_fp_ieee_div_zero 0
		.amdhsa_exception_fp_ieee_overflow 0
		.amdhsa_exception_fp_ieee_underflow 0
		.amdhsa_exception_fp_ieee_inexact 0
		.amdhsa_exception_int_div_zero 0
	.end_amdhsa_kernel
	.section	.text._ZN7rocprim17ROCPRIM_400000_NS6detail17trampoline_kernelINS0_14default_configENS1_38merge_sort_block_merge_config_selectorIlNS0_10empty_typeEEEZZNS1_27merge_sort_block_merge_implIS3_PlPS5_mZN2at6native12_GLOBAL__N_124unique_dim_cuda_templateIjEESt5tupleIJNSA_6TensorESF_SF_EERKSF_lbbbEUlllE_EE10hipError_tT0_T1_T2_jT3_P12ihipStream_tbPNSt15iterator_traitsISL_E10value_typeEPNSR_ISM_E10value_typeEPSN_NS1_7vsmem_tEENKUlT_SL_SM_SN_E_clIS8_S8_S9_S9_EESK_S10_SL_SM_SN_EUlS10_E_NS1_11comp_targetILNS1_3genE8ELNS1_11target_archE1030ELNS1_3gpuE2ELNS1_3repE0EEENS1_48merge_mergepath_partition_config_static_selectorELNS0_4arch9wavefront6targetE1EEEvSM_,"axG",@progbits,_ZN7rocprim17ROCPRIM_400000_NS6detail17trampoline_kernelINS0_14default_configENS1_38merge_sort_block_merge_config_selectorIlNS0_10empty_typeEEEZZNS1_27merge_sort_block_merge_implIS3_PlPS5_mZN2at6native12_GLOBAL__N_124unique_dim_cuda_templateIjEESt5tupleIJNSA_6TensorESF_SF_EERKSF_lbbbEUlllE_EE10hipError_tT0_T1_T2_jT3_P12ihipStream_tbPNSt15iterator_traitsISL_E10value_typeEPNSR_ISM_E10value_typeEPSN_NS1_7vsmem_tEENKUlT_SL_SM_SN_E_clIS8_S8_S9_S9_EESK_S10_SL_SM_SN_EUlS10_E_NS1_11comp_targetILNS1_3genE8ELNS1_11target_archE1030ELNS1_3gpuE2ELNS1_3repE0EEENS1_48merge_mergepath_partition_config_static_selectorELNS0_4arch9wavefront6targetE1EEEvSM_,comdat
.Lfunc_end1497:
	.size	_ZN7rocprim17ROCPRIM_400000_NS6detail17trampoline_kernelINS0_14default_configENS1_38merge_sort_block_merge_config_selectorIlNS0_10empty_typeEEEZZNS1_27merge_sort_block_merge_implIS3_PlPS5_mZN2at6native12_GLOBAL__N_124unique_dim_cuda_templateIjEESt5tupleIJNSA_6TensorESF_SF_EERKSF_lbbbEUlllE_EE10hipError_tT0_T1_T2_jT3_P12ihipStream_tbPNSt15iterator_traitsISL_E10value_typeEPNSR_ISM_E10value_typeEPSN_NS1_7vsmem_tEENKUlT_SL_SM_SN_E_clIS8_S8_S9_S9_EESK_S10_SL_SM_SN_EUlS10_E_NS1_11comp_targetILNS1_3genE8ELNS1_11target_archE1030ELNS1_3gpuE2ELNS1_3repE0EEENS1_48merge_mergepath_partition_config_static_selectorELNS0_4arch9wavefront6targetE1EEEvSM_, .Lfunc_end1497-_ZN7rocprim17ROCPRIM_400000_NS6detail17trampoline_kernelINS0_14default_configENS1_38merge_sort_block_merge_config_selectorIlNS0_10empty_typeEEEZZNS1_27merge_sort_block_merge_implIS3_PlPS5_mZN2at6native12_GLOBAL__N_124unique_dim_cuda_templateIjEESt5tupleIJNSA_6TensorESF_SF_EERKSF_lbbbEUlllE_EE10hipError_tT0_T1_T2_jT3_P12ihipStream_tbPNSt15iterator_traitsISL_E10value_typeEPNSR_ISM_E10value_typeEPSN_NS1_7vsmem_tEENKUlT_SL_SM_SN_E_clIS8_S8_S9_S9_EESK_S10_SL_SM_SN_EUlS10_E_NS1_11comp_targetILNS1_3genE8ELNS1_11target_archE1030ELNS1_3gpuE2ELNS1_3repE0EEENS1_48merge_mergepath_partition_config_static_selectorELNS0_4arch9wavefront6targetE1EEEvSM_
                                        ; -- End function
	.section	.AMDGPU.csdata,"",@progbits
; Kernel info:
; codeLenInByte = 0
; NumSgprs: 4
; NumVgprs: 0
; NumAgprs: 0
; TotalNumVgprs: 0
; ScratchSize: 0
; MemoryBound: 0
; FloatMode: 240
; IeeeMode: 1
; LDSByteSize: 0 bytes/workgroup (compile time only)
; SGPRBlocks: 0
; VGPRBlocks: 0
; NumSGPRsForWavesPerEU: 4
; NumVGPRsForWavesPerEU: 1
; AccumOffset: 4
; Occupancy: 8
; WaveLimiterHint : 0
; COMPUTE_PGM_RSRC2:SCRATCH_EN: 0
; COMPUTE_PGM_RSRC2:USER_SGPR: 6
; COMPUTE_PGM_RSRC2:TRAP_HANDLER: 0
; COMPUTE_PGM_RSRC2:TGID_X_EN: 1
; COMPUTE_PGM_RSRC2:TGID_Y_EN: 0
; COMPUTE_PGM_RSRC2:TGID_Z_EN: 0
; COMPUTE_PGM_RSRC2:TIDIG_COMP_CNT: 0
; COMPUTE_PGM_RSRC3_GFX90A:ACCUM_OFFSET: 0
; COMPUTE_PGM_RSRC3_GFX90A:TG_SPLIT: 0
	.section	.text._ZN7rocprim17ROCPRIM_400000_NS6detail17trampoline_kernelINS0_14default_configENS1_38merge_sort_block_merge_config_selectorIlNS0_10empty_typeEEEZZNS1_27merge_sort_block_merge_implIS3_PlPS5_mZN2at6native12_GLOBAL__N_124unique_dim_cuda_templateIjEESt5tupleIJNSA_6TensorESF_SF_EERKSF_lbbbEUlllE_EE10hipError_tT0_T1_T2_jT3_P12ihipStream_tbPNSt15iterator_traitsISL_E10value_typeEPNSR_ISM_E10value_typeEPSN_NS1_7vsmem_tEENKUlT_SL_SM_SN_E_clIS8_S8_S9_S9_EESK_S10_SL_SM_SN_EUlS10_E0_NS1_11comp_targetILNS1_3genE0ELNS1_11target_archE4294967295ELNS1_3gpuE0ELNS1_3repE0EEENS1_38merge_mergepath_config_static_selectorELNS0_4arch9wavefront6targetE1EEEvSM_,"axG",@progbits,_ZN7rocprim17ROCPRIM_400000_NS6detail17trampoline_kernelINS0_14default_configENS1_38merge_sort_block_merge_config_selectorIlNS0_10empty_typeEEEZZNS1_27merge_sort_block_merge_implIS3_PlPS5_mZN2at6native12_GLOBAL__N_124unique_dim_cuda_templateIjEESt5tupleIJNSA_6TensorESF_SF_EERKSF_lbbbEUlllE_EE10hipError_tT0_T1_T2_jT3_P12ihipStream_tbPNSt15iterator_traitsISL_E10value_typeEPNSR_ISM_E10value_typeEPSN_NS1_7vsmem_tEENKUlT_SL_SM_SN_E_clIS8_S8_S9_S9_EESK_S10_SL_SM_SN_EUlS10_E0_NS1_11comp_targetILNS1_3genE0ELNS1_11target_archE4294967295ELNS1_3gpuE0ELNS1_3repE0EEENS1_38merge_mergepath_config_static_selectorELNS0_4arch9wavefront6targetE1EEEvSM_,comdat
	.globl	_ZN7rocprim17ROCPRIM_400000_NS6detail17trampoline_kernelINS0_14default_configENS1_38merge_sort_block_merge_config_selectorIlNS0_10empty_typeEEEZZNS1_27merge_sort_block_merge_implIS3_PlPS5_mZN2at6native12_GLOBAL__N_124unique_dim_cuda_templateIjEESt5tupleIJNSA_6TensorESF_SF_EERKSF_lbbbEUlllE_EE10hipError_tT0_T1_T2_jT3_P12ihipStream_tbPNSt15iterator_traitsISL_E10value_typeEPNSR_ISM_E10value_typeEPSN_NS1_7vsmem_tEENKUlT_SL_SM_SN_E_clIS8_S8_S9_S9_EESK_S10_SL_SM_SN_EUlS10_E0_NS1_11comp_targetILNS1_3genE0ELNS1_11target_archE4294967295ELNS1_3gpuE0ELNS1_3repE0EEENS1_38merge_mergepath_config_static_selectorELNS0_4arch9wavefront6targetE1EEEvSM_ ; -- Begin function _ZN7rocprim17ROCPRIM_400000_NS6detail17trampoline_kernelINS0_14default_configENS1_38merge_sort_block_merge_config_selectorIlNS0_10empty_typeEEEZZNS1_27merge_sort_block_merge_implIS3_PlPS5_mZN2at6native12_GLOBAL__N_124unique_dim_cuda_templateIjEESt5tupleIJNSA_6TensorESF_SF_EERKSF_lbbbEUlllE_EE10hipError_tT0_T1_T2_jT3_P12ihipStream_tbPNSt15iterator_traitsISL_E10value_typeEPNSR_ISM_E10value_typeEPSN_NS1_7vsmem_tEENKUlT_SL_SM_SN_E_clIS8_S8_S9_S9_EESK_S10_SL_SM_SN_EUlS10_E0_NS1_11comp_targetILNS1_3genE0ELNS1_11target_archE4294967295ELNS1_3gpuE0ELNS1_3repE0EEENS1_38merge_mergepath_config_static_selectorELNS0_4arch9wavefront6targetE1EEEvSM_
	.p2align	8
	.type	_ZN7rocprim17ROCPRIM_400000_NS6detail17trampoline_kernelINS0_14default_configENS1_38merge_sort_block_merge_config_selectorIlNS0_10empty_typeEEEZZNS1_27merge_sort_block_merge_implIS3_PlPS5_mZN2at6native12_GLOBAL__N_124unique_dim_cuda_templateIjEESt5tupleIJNSA_6TensorESF_SF_EERKSF_lbbbEUlllE_EE10hipError_tT0_T1_T2_jT3_P12ihipStream_tbPNSt15iterator_traitsISL_E10value_typeEPNSR_ISM_E10value_typeEPSN_NS1_7vsmem_tEENKUlT_SL_SM_SN_E_clIS8_S8_S9_S9_EESK_S10_SL_SM_SN_EUlS10_E0_NS1_11comp_targetILNS1_3genE0ELNS1_11target_archE4294967295ELNS1_3gpuE0ELNS1_3repE0EEENS1_38merge_mergepath_config_static_selectorELNS0_4arch9wavefront6targetE1EEEvSM_,@function
_ZN7rocprim17ROCPRIM_400000_NS6detail17trampoline_kernelINS0_14default_configENS1_38merge_sort_block_merge_config_selectorIlNS0_10empty_typeEEEZZNS1_27merge_sort_block_merge_implIS3_PlPS5_mZN2at6native12_GLOBAL__N_124unique_dim_cuda_templateIjEESt5tupleIJNSA_6TensorESF_SF_EERKSF_lbbbEUlllE_EE10hipError_tT0_T1_T2_jT3_P12ihipStream_tbPNSt15iterator_traitsISL_E10value_typeEPNSR_ISM_E10value_typeEPSN_NS1_7vsmem_tEENKUlT_SL_SM_SN_E_clIS8_S8_S9_S9_EESK_S10_SL_SM_SN_EUlS10_E0_NS1_11comp_targetILNS1_3genE0ELNS1_11target_archE4294967295ELNS1_3gpuE0ELNS1_3repE0EEENS1_38merge_mergepath_config_static_selectorELNS0_4arch9wavefront6targetE1EEEvSM_: ; @_ZN7rocprim17ROCPRIM_400000_NS6detail17trampoline_kernelINS0_14default_configENS1_38merge_sort_block_merge_config_selectorIlNS0_10empty_typeEEEZZNS1_27merge_sort_block_merge_implIS3_PlPS5_mZN2at6native12_GLOBAL__N_124unique_dim_cuda_templateIjEESt5tupleIJNSA_6TensorESF_SF_EERKSF_lbbbEUlllE_EE10hipError_tT0_T1_T2_jT3_P12ihipStream_tbPNSt15iterator_traitsISL_E10value_typeEPNSR_ISM_E10value_typeEPSN_NS1_7vsmem_tEENKUlT_SL_SM_SN_E_clIS8_S8_S9_S9_EESK_S10_SL_SM_SN_EUlS10_E0_NS1_11comp_targetILNS1_3genE0ELNS1_11target_archE4294967295ELNS1_3gpuE0ELNS1_3repE0EEENS1_38merge_mergepath_config_static_selectorELNS0_4arch9wavefront6targetE1EEEvSM_
; %bb.0:
	.section	.rodata,"a",@progbits
	.p2align	6, 0x0
	.amdhsa_kernel _ZN7rocprim17ROCPRIM_400000_NS6detail17trampoline_kernelINS0_14default_configENS1_38merge_sort_block_merge_config_selectorIlNS0_10empty_typeEEEZZNS1_27merge_sort_block_merge_implIS3_PlPS5_mZN2at6native12_GLOBAL__N_124unique_dim_cuda_templateIjEESt5tupleIJNSA_6TensorESF_SF_EERKSF_lbbbEUlllE_EE10hipError_tT0_T1_T2_jT3_P12ihipStream_tbPNSt15iterator_traitsISL_E10value_typeEPNSR_ISM_E10value_typeEPSN_NS1_7vsmem_tEENKUlT_SL_SM_SN_E_clIS8_S8_S9_S9_EESK_S10_SL_SM_SN_EUlS10_E0_NS1_11comp_targetILNS1_3genE0ELNS1_11target_archE4294967295ELNS1_3gpuE0ELNS1_3repE0EEENS1_38merge_mergepath_config_static_selectorELNS0_4arch9wavefront6targetE1EEEvSM_
		.amdhsa_group_segment_fixed_size 0
		.amdhsa_private_segment_fixed_size 0
		.amdhsa_kernarg_size 88
		.amdhsa_user_sgpr_count 6
		.amdhsa_user_sgpr_private_segment_buffer 1
		.amdhsa_user_sgpr_dispatch_ptr 0
		.amdhsa_user_sgpr_queue_ptr 0
		.amdhsa_user_sgpr_kernarg_segment_ptr 1
		.amdhsa_user_sgpr_dispatch_id 0
		.amdhsa_user_sgpr_flat_scratch_init 0
		.amdhsa_user_sgpr_kernarg_preload_length 0
		.amdhsa_user_sgpr_kernarg_preload_offset 0
		.amdhsa_user_sgpr_private_segment_size 0
		.amdhsa_uses_dynamic_stack 0
		.amdhsa_system_sgpr_private_segment_wavefront_offset 0
		.amdhsa_system_sgpr_workgroup_id_x 1
		.amdhsa_system_sgpr_workgroup_id_y 0
		.amdhsa_system_sgpr_workgroup_id_z 0
		.amdhsa_system_sgpr_workgroup_info 0
		.amdhsa_system_vgpr_workitem_id 0
		.amdhsa_next_free_vgpr 1
		.amdhsa_next_free_sgpr 0
		.amdhsa_accum_offset 4
		.amdhsa_reserve_vcc 0
		.amdhsa_reserve_flat_scratch 0
		.amdhsa_float_round_mode_32 0
		.amdhsa_float_round_mode_16_64 0
		.amdhsa_float_denorm_mode_32 3
		.amdhsa_float_denorm_mode_16_64 3
		.amdhsa_dx10_clamp 1
		.amdhsa_ieee_mode 1
		.amdhsa_fp16_overflow 0
		.amdhsa_tg_split 0
		.amdhsa_exception_fp_ieee_invalid_op 0
		.amdhsa_exception_fp_denorm_src 0
		.amdhsa_exception_fp_ieee_div_zero 0
		.amdhsa_exception_fp_ieee_overflow 0
		.amdhsa_exception_fp_ieee_underflow 0
		.amdhsa_exception_fp_ieee_inexact 0
		.amdhsa_exception_int_div_zero 0
	.end_amdhsa_kernel
	.section	.text._ZN7rocprim17ROCPRIM_400000_NS6detail17trampoline_kernelINS0_14default_configENS1_38merge_sort_block_merge_config_selectorIlNS0_10empty_typeEEEZZNS1_27merge_sort_block_merge_implIS3_PlPS5_mZN2at6native12_GLOBAL__N_124unique_dim_cuda_templateIjEESt5tupleIJNSA_6TensorESF_SF_EERKSF_lbbbEUlllE_EE10hipError_tT0_T1_T2_jT3_P12ihipStream_tbPNSt15iterator_traitsISL_E10value_typeEPNSR_ISM_E10value_typeEPSN_NS1_7vsmem_tEENKUlT_SL_SM_SN_E_clIS8_S8_S9_S9_EESK_S10_SL_SM_SN_EUlS10_E0_NS1_11comp_targetILNS1_3genE0ELNS1_11target_archE4294967295ELNS1_3gpuE0ELNS1_3repE0EEENS1_38merge_mergepath_config_static_selectorELNS0_4arch9wavefront6targetE1EEEvSM_,"axG",@progbits,_ZN7rocprim17ROCPRIM_400000_NS6detail17trampoline_kernelINS0_14default_configENS1_38merge_sort_block_merge_config_selectorIlNS0_10empty_typeEEEZZNS1_27merge_sort_block_merge_implIS3_PlPS5_mZN2at6native12_GLOBAL__N_124unique_dim_cuda_templateIjEESt5tupleIJNSA_6TensorESF_SF_EERKSF_lbbbEUlllE_EE10hipError_tT0_T1_T2_jT3_P12ihipStream_tbPNSt15iterator_traitsISL_E10value_typeEPNSR_ISM_E10value_typeEPSN_NS1_7vsmem_tEENKUlT_SL_SM_SN_E_clIS8_S8_S9_S9_EESK_S10_SL_SM_SN_EUlS10_E0_NS1_11comp_targetILNS1_3genE0ELNS1_11target_archE4294967295ELNS1_3gpuE0ELNS1_3repE0EEENS1_38merge_mergepath_config_static_selectorELNS0_4arch9wavefront6targetE1EEEvSM_,comdat
.Lfunc_end1498:
	.size	_ZN7rocprim17ROCPRIM_400000_NS6detail17trampoline_kernelINS0_14default_configENS1_38merge_sort_block_merge_config_selectorIlNS0_10empty_typeEEEZZNS1_27merge_sort_block_merge_implIS3_PlPS5_mZN2at6native12_GLOBAL__N_124unique_dim_cuda_templateIjEESt5tupleIJNSA_6TensorESF_SF_EERKSF_lbbbEUlllE_EE10hipError_tT0_T1_T2_jT3_P12ihipStream_tbPNSt15iterator_traitsISL_E10value_typeEPNSR_ISM_E10value_typeEPSN_NS1_7vsmem_tEENKUlT_SL_SM_SN_E_clIS8_S8_S9_S9_EESK_S10_SL_SM_SN_EUlS10_E0_NS1_11comp_targetILNS1_3genE0ELNS1_11target_archE4294967295ELNS1_3gpuE0ELNS1_3repE0EEENS1_38merge_mergepath_config_static_selectorELNS0_4arch9wavefront6targetE1EEEvSM_, .Lfunc_end1498-_ZN7rocprim17ROCPRIM_400000_NS6detail17trampoline_kernelINS0_14default_configENS1_38merge_sort_block_merge_config_selectorIlNS0_10empty_typeEEEZZNS1_27merge_sort_block_merge_implIS3_PlPS5_mZN2at6native12_GLOBAL__N_124unique_dim_cuda_templateIjEESt5tupleIJNSA_6TensorESF_SF_EERKSF_lbbbEUlllE_EE10hipError_tT0_T1_T2_jT3_P12ihipStream_tbPNSt15iterator_traitsISL_E10value_typeEPNSR_ISM_E10value_typeEPSN_NS1_7vsmem_tEENKUlT_SL_SM_SN_E_clIS8_S8_S9_S9_EESK_S10_SL_SM_SN_EUlS10_E0_NS1_11comp_targetILNS1_3genE0ELNS1_11target_archE4294967295ELNS1_3gpuE0ELNS1_3repE0EEENS1_38merge_mergepath_config_static_selectorELNS0_4arch9wavefront6targetE1EEEvSM_
                                        ; -- End function
	.section	.AMDGPU.csdata,"",@progbits
; Kernel info:
; codeLenInByte = 0
; NumSgprs: 4
; NumVgprs: 0
; NumAgprs: 0
; TotalNumVgprs: 0
; ScratchSize: 0
; MemoryBound: 0
; FloatMode: 240
; IeeeMode: 1
; LDSByteSize: 0 bytes/workgroup (compile time only)
; SGPRBlocks: 0
; VGPRBlocks: 0
; NumSGPRsForWavesPerEU: 4
; NumVGPRsForWavesPerEU: 1
; AccumOffset: 4
; Occupancy: 8
; WaveLimiterHint : 0
; COMPUTE_PGM_RSRC2:SCRATCH_EN: 0
; COMPUTE_PGM_RSRC2:USER_SGPR: 6
; COMPUTE_PGM_RSRC2:TRAP_HANDLER: 0
; COMPUTE_PGM_RSRC2:TGID_X_EN: 1
; COMPUTE_PGM_RSRC2:TGID_Y_EN: 0
; COMPUTE_PGM_RSRC2:TGID_Z_EN: 0
; COMPUTE_PGM_RSRC2:TIDIG_COMP_CNT: 0
; COMPUTE_PGM_RSRC3_GFX90A:ACCUM_OFFSET: 0
; COMPUTE_PGM_RSRC3_GFX90A:TG_SPLIT: 0
	.section	.text._ZN7rocprim17ROCPRIM_400000_NS6detail17trampoline_kernelINS0_14default_configENS1_38merge_sort_block_merge_config_selectorIlNS0_10empty_typeEEEZZNS1_27merge_sort_block_merge_implIS3_PlPS5_mZN2at6native12_GLOBAL__N_124unique_dim_cuda_templateIjEESt5tupleIJNSA_6TensorESF_SF_EERKSF_lbbbEUlllE_EE10hipError_tT0_T1_T2_jT3_P12ihipStream_tbPNSt15iterator_traitsISL_E10value_typeEPNSR_ISM_E10value_typeEPSN_NS1_7vsmem_tEENKUlT_SL_SM_SN_E_clIS8_S8_S9_S9_EESK_S10_SL_SM_SN_EUlS10_E0_NS1_11comp_targetILNS1_3genE10ELNS1_11target_archE1201ELNS1_3gpuE5ELNS1_3repE0EEENS1_38merge_mergepath_config_static_selectorELNS0_4arch9wavefront6targetE1EEEvSM_,"axG",@progbits,_ZN7rocprim17ROCPRIM_400000_NS6detail17trampoline_kernelINS0_14default_configENS1_38merge_sort_block_merge_config_selectorIlNS0_10empty_typeEEEZZNS1_27merge_sort_block_merge_implIS3_PlPS5_mZN2at6native12_GLOBAL__N_124unique_dim_cuda_templateIjEESt5tupleIJNSA_6TensorESF_SF_EERKSF_lbbbEUlllE_EE10hipError_tT0_T1_T2_jT3_P12ihipStream_tbPNSt15iterator_traitsISL_E10value_typeEPNSR_ISM_E10value_typeEPSN_NS1_7vsmem_tEENKUlT_SL_SM_SN_E_clIS8_S8_S9_S9_EESK_S10_SL_SM_SN_EUlS10_E0_NS1_11comp_targetILNS1_3genE10ELNS1_11target_archE1201ELNS1_3gpuE5ELNS1_3repE0EEENS1_38merge_mergepath_config_static_selectorELNS0_4arch9wavefront6targetE1EEEvSM_,comdat
	.globl	_ZN7rocprim17ROCPRIM_400000_NS6detail17trampoline_kernelINS0_14default_configENS1_38merge_sort_block_merge_config_selectorIlNS0_10empty_typeEEEZZNS1_27merge_sort_block_merge_implIS3_PlPS5_mZN2at6native12_GLOBAL__N_124unique_dim_cuda_templateIjEESt5tupleIJNSA_6TensorESF_SF_EERKSF_lbbbEUlllE_EE10hipError_tT0_T1_T2_jT3_P12ihipStream_tbPNSt15iterator_traitsISL_E10value_typeEPNSR_ISM_E10value_typeEPSN_NS1_7vsmem_tEENKUlT_SL_SM_SN_E_clIS8_S8_S9_S9_EESK_S10_SL_SM_SN_EUlS10_E0_NS1_11comp_targetILNS1_3genE10ELNS1_11target_archE1201ELNS1_3gpuE5ELNS1_3repE0EEENS1_38merge_mergepath_config_static_selectorELNS0_4arch9wavefront6targetE1EEEvSM_ ; -- Begin function _ZN7rocprim17ROCPRIM_400000_NS6detail17trampoline_kernelINS0_14default_configENS1_38merge_sort_block_merge_config_selectorIlNS0_10empty_typeEEEZZNS1_27merge_sort_block_merge_implIS3_PlPS5_mZN2at6native12_GLOBAL__N_124unique_dim_cuda_templateIjEESt5tupleIJNSA_6TensorESF_SF_EERKSF_lbbbEUlllE_EE10hipError_tT0_T1_T2_jT3_P12ihipStream_tbPNSt15iterator_traitsISL_E10value_typeEPNSR_ISM_E10value_typeEPSN_NS1_7vsmem_tEENKUlT_SL_SM_SN_E_clIS8_S8_S9_S9_EESK_S10_SL_SM_SN_EUlS10_E0_NS1_11comp_targetILNS1_3genE10ELNS1_11target_archE1201ELNS1_3gpuE5ELNS1_3repE0EEENS1_38merge_mergepath_config_static_selectorELNS0_4arch9wavefront6targetE1EEEvSM_
	.p2align	8
	.type	_ZN7rocprim17ROCPRIM_400000_NS6detail17trampoline_kernelINS0_14default_configENS1_38merge_sort_block_merge_config_selectorIlNS0_10empty_typeEEEZZNS1_27merge_sort_block_merge_implIS3_PlPS5_mZN2at6native12_GLOBAL__N_124unique_dim_cuda_templateIjEESt5tupleIJNSA_6TensorESF_SF_EERKSF_lbbbEUlllE_EE10hipError_tT0_T1_T2_jT3_P12ihipStream_tbPNSt15iterator_traitsISL_E10value_typeEPNSR_ISM_E10value_typeEPSN_NS1_7vsmem_tEENKUlT_SL_SM_SN_E_clIS8_S8_S9_S9_EESK_S10_SL_SM_SN_EUlS10_E0_NS1_11comp_targetILNS1_3genE10ELNS1_11target_archE1201ELNS1_3gpuE5ELNS1_3repE0EEENS1_38merge_mergepath_config_static_selectorELNS0_4arch9wavefront6targetE1EEEvSM_,@function
_ZN7rocprim17ROCPRIM_400000_NS6detail17trampoline_kernelINS0_14default_configENS1_38merge_sort_block_merge_config_selectorIlNS0_10empty_typeEEEZZNS1_27merge_sort_block_merge_implIS3_PlPS5_mZN2at6native12_GLOBAL__N_124unique_dim_cuda_templateIjEESt5tupleIJNSA_6TensorESF_SF_EERKSF_lbbbEUlllE_EE10hipError_tT0_T1_T2_jT3_P12ihipStream_tbPNSt15iterator_traitsISL_E10value_typeEPNSR_ISM_E10value_typeEPSN_NS1_7vsmem_tEENKUlT_SL_SM_SN_E_clIS8_S8_S9_S9_EESK_S10_SL_SM_SN_EUlS10_E0_NS1_11comp_targetILNS1_3genE10ELNS1_11target_archE1201ELNS1_3gpuE5ELNS1_3repE0EEENS1_38merge_mergepath_config_static_selectorELNS0_4arch9wavefront6targetE1EEEvSM_: ; @_ZN7rocprim17ROCPRIM_400000_NS6detail17trampoline_kernelINS0_14default_configENS1_38merge_sort_block_merge_config_selectorIlNS0_10empty_typeEEEZZNS1_27merge_sort_block_merge_implIS3_PlPS5_mZN2at6native12_GLOBAL__N_124unique_dim_cuda_templateIjEESt5tupleIJNSA_6TensorESF_SF_EERKSF_lbbbEUlllE_EE10hipError_tT0_T1_T2_jT3_P12ihipStream_tbPNSt15iterator_traitsISL_E10value_typeEPNSR_ISM_E10value_typeEPSN_NS1_7vsmem_tEENKUlT_SL_SM_SN_E_clIS8_S8_S9_S9_EESK_S10_SL_SM_SN_EUlS10_E0_NS1_11comp_targetILNS1_3genE10ELNS1_11target_archE1201ELNS1_3gpuE5ELNS1_3repE0EEENS1_38merge_mergepath_config_static_selectorELNS0_4arch9wavefront6targetE1EEEvSM_
; %bb.0:
	.section	.rodata,"a",@progbits
	.p2align	6, 0x0
	.amdhsa_kernel _ZN7rocprim17ROCPRIM_400000_NS6detail17trampoline_kernelINS0_14default_configENS1_38merge_sort_block_merge_config_selectorIlNS0_10empty_typeEEEZZNS1_27merge_sort_block_merge_implIS3_PlPS5_mZN2at6native12_GLOBAL__N_124unique_dim_cuda_templateIjEESt5tupleIJNSA_6TensorESF_SF_EERKSF_lbbbEUlllE_EE10hipError_tT0_T1_T2_jT3_P12ihipStream_tbPNSt15iterator_traitsISL_E10value_typeEPNSR_ISM_E10value_typeEPSN_NS1_7vsmem_tEENKUlT_SL_SM_SN_E_clIS8_S8_S9_S9_EESK_S10_SL_SM_SN_EUlS10_E0_NS1_11comp_targetILNS1_3genE10ELNS1_11target_archE1201ELNS1_3gpuE5ELNS1_3repE0EEENS1_38merge_mergepath_config_static_selectorELNS0_4arch9wavefront6targetE1EEEvSM_
		.amdhsa_group_segment_fixed_size 0
		.amdhsa_private_segment_fixed_size 0
		.amdhsa_kernarg_size 88
		.amdhsa_user_sgpr_count 6
		.amdhsa_user_sgpr_private_segment_buffer 1
		.amdhsa_user_sgpr_dispatch_ptr 0
		.amdhsa_user_sgpr_queue_ptr 0
		.amdhsa_user_sgpr_kernarg_segment_ptr 1
		.amdhsa_user_sgpr_dispatch_id 0
		.amdhsa_user_sgpr_flat_scratch_init 0
		.amdhsa_user_sgpr_kernarg_preload_length 0
		.amdhsa_user_sgpr_kernarg_preload_offset 0
		.amdhsa_user_sgpr_private_segment_size 0
		.amdhsa_uses_dynamic_stack 0
		.amdhsa_system_sgpr_private_segment_wavefront_offset 0
		.amdhsa_system_sgpr_workgroup_id_x 1
		.amdhsa_system_sgpr_workgroup_id_y 0
		.amdhsa_system_sgpr_workgroup_id_z 0
		.amdhsa_system_sgpr_workgroup_info 0
		.amdhsa_system_vgpr_workitem_id 0
		.amdhsa_next_free_vgpr 1
		.amdhsa_next_free_sgpr 0
		.amdhsa_accum_offset 4
		.amdhsa_reserve_vcc 0
		.amdhsa_reserve_flat_scratch 0
		.amdhsa_float_round_mode_32 0
		.amdhsa_float_round_mode_16_64 0
		.amdhsa_float_denorm_mode_32 3
		.amdhsa_float_denorm_mode_16_64 3
		.amdhsa_dx10_clamp 1
		.amdhsa_ieee_mode 1
		.amdhsa_fp16_overflow 0
		.amdhsa_tg_split 0
		.amdhsa_exception_fp_ieee_invalid_op 0
		.amdhsa_exception_fp_denorm_src 0
		.amdhsa_exception_fp_ieee_div_zero 0
		.amdhsa_exception_fp_ieee_overflow 0
		.amdhsa_exception_fp_ieee_underflow 0
		.amdhsa_exception_fp_ieee_inexact 0
		.amdhsa_exception_int_div_zero 0
	.end_amdhsa_kernel
	.section	.text._ZN7rocprim17ROCPRIM_400000_NS6detail17trampoline_kernelINS0_14default_configENS1_38merge_sort_block_merge_config_selectorIlNS0_10empty_typeEEEZZNS1_27merge_sort_block_merge_implIS3_PlPS5_mZN2at6native12_GLOBAL__N_124unique_dim_cuda_templateIjEESt5tupleIJNSA_6TensorESF_SF_EERKSF_lbbbEUlllE_EE10hipError_tT0_T1_T2_jT3_P12ihipStream_tbPNSt15iterator_traitsISL_E10value_typeEPNSR_ISM_E10value_typeEPSN_NS1_7vsmem_tEENKUlT_SL_SM_SN_E_clIS8_S8_S9_S9_EESK_S10_SL_SM_SN_EUlS10_E0_NS1_11comp_targetILNS1_3genE10ELNS1_11target_archE1201ELNS1_3gpuE5ELNS1_3repE0EEENS1_38merge_mergepath_config_static_selectorELNS0_4arch9wavefront6targetE1EEEvSM_,"axG",@progbits,_ZN7rocprim17ROCPRIM_400000_NS6detail17trampoline_kernelINS0_14default_configENS1_38merge_sort_block_merge_config_selectorIlNS0_10empty_typeEEEZZNS1_27merge_sort_block_merge_implIS3_PlPS5_mZN2at6native12_GLOBAL__N_124unique_dim_cuda_templateIjEESt5tupleIJNSA_6TensorESF_SF_EERKSF_lbbbEUlllE_EE10hipError_tT0_T1_T2_jT3_P12ihipStream_tbPNSt15iterator_traitsISL_E10value_typeEPNSR_ISM_E10value_typeEPSN_NS1_7vsmem_tEENKUlT_SL_SM_SN_E_clIS8_S8_S9_S9_EESK_S10_SL_SM_SN_EUlS10_E0_NS1_11comp_targetILNS1_3genE10ELNS1_11target_archE1201ELNS1_3gpuE5ELNS1_3repE0EEENS1_38merge_mergepath_config_static_selectorELNS0_4arch9wavefront6targetE1EEEvSM_,comdat
.Lfunc_end1499:
	.size	_ZN7rocprim17ROCPRIM_400000_NS6detail17trampoline_kernelINS0_14default_configENS1_38merge_sort_block_merge_config_selectorIlNS0_10empty_typeEEEZZNS1_27merge_sort_block_merge_implIS3_PlPS5_mZN2at6native12_GLOBAL__N_124unique_dim_cuda_templateIjEESt5tupleIJNSA_6TensorESF_SF_EERKSF_lbbbEUlllE_EE10hipError_tT0_T1_T2_jT3_P12ihipStream_tbPNSt15iterator_traitsISL_E10value_typeEPNSR_ISM_E10value_typeEPSN_NS1_7vsmem_tEENKUlT_SL_SM_SN_E_clIS8_S8_S9_S9_EESK_S10_SL_SM_SN_EUlS10_E0_NS1_11comp_targetILNS1_3genE10ELNS1_11target_archE1201ELNS1_3gpuE5ELNS1_3repE0EEENS1_38merge_mergepath_config_static_selectorELNS0_4arch9wavefront6targetE1EEEvSM_, .Lfunc_end1499-_ZN7rocprim17ROCPRIM_400000_NS6detail17trampoline_kernelINS0_14default_configENS1_38merge_sort_block_merge_config_selectorIlNS0_10empty_typeEEEZZNS1_27merge_sort_block_merge_implIS3_PlPS5_mZN2at6native12_GLOBAL__N_124unique_dim_cuda_templateIjEESt5tupleIJNSA_6TensorESF_SF_EERKSF_lbbbEUlllE_EE10hipError_tT0_T1_T2_jT3_P12ihipStream_tbPNSt15iterator_traitsISL_E10value_typeEPNSR_ISM_E10value_typeEPSN_NS1_7vsmem_tEENKUlT_SL_SM_SN_E_clIS8_S8_S9_S9_EESK_S10_SL_SM_SN_EUlS10_E0_NS1_11comp_targetILNS1_3genE10ELNS1_11target_archE1201ELNS1_3gpuE5ELNS1_3repE0EEENS1_38merge_mergepath_config_static_selectorELNS0_4arch9wavefront6targetE1EEEvSM_
                                        ; -- End function
	.section	.AMDGPU.csdata,"",@progbits
; Kernel info:
; codeLenInByte = 0
; NumSgprs: 4
; NumVgprs: 0
; NumAgprs: 0
; TotalNumVgprs: 0
; ScratchSize: 0
; MemoryBound: 0
; FloatMode: 240
; IeeeMode: 1
; LDSByteSize: 0 bytes/workgroup (compile time only)
; SGPRBlocks: 0
; VGPRBlocks: 0
; NumSGPRsForWavesPerEU: 4
; NumVGPRsForWavesPerEU: 1
; AccumOffset: 4
; Occupancy: 8
; WaveLimiterHint : 0
; COMPUTE_PGM_RSRC2:SCRATCH_EN: 0
; COMPUTE_PGM_RSRC2:USER_SGPR: 6
; COMPUTE_PGM_RSRC2:TRAP_HANDLER: 0
; COMPUTE_PGM_RSRC2:TGID_X_EN: 1
; COMPUTE_PGM_RSRC2:TGID_Y_EN: 0
; COMPUTE_PGM_RSRC2:TGID_Z_EN: 0
; COMPUTE_PGM_RSRC2:TIDIG_COMP_CNT: 0
; COMPUTE_PGM_RSRC3_GFX90A:ACCUM_OFFSET: 0
; COMPUTE_PGM_RSRC3_GFX90A:TG_SPLIT: 0
	.section	.text._ZN7rocprim17ROCPRIM_400000_NS6detail17trampoline_kernelINS0_14default_configENS1_38merge_sort_block_merge_config_selectorIlNS0_10empty_typeEEEZZNS1_27merge_sort_block_merge_implIS3_PlPS5_mZN2at6native12_GLOBAL__N_124unique_dim_cuda_templateIjEESt5tupleIJNSA_6TensorESF_SF_EERKSF_lbbbEUlllE_EE10hipError_tT0_T1_T2_jT3_P12ihipStream_tbPNSt15iterator_traitsISL_E10value_typeEPNSR_ISM_E10value_typeEPSN_NS1_7vsmem_tEENKUlT_SL_SM_SN_E_clIS8_S8_S9_S9_EESK_S10_SL_SM_SN_EUlS10_E0_NS1_11comp_targetILNS1_3genE5ELNS1_11target_archE942ELNS1_3gpuE9ELNS1_3repE0EEENS1_38merge_mergepath_config_static_selectorELNS0_4arch9wavefront6targetE1EEEvSM_,"axG",@progbits,_ZN7rocprim17ROCPRIM_400000_NS6detail17trampoline_kernelINS0_14default_configENS1_38merge_sort_block_merge_config_selectorIlNS0_10empty_typeEEEZZNS1_27merge_sort_block_merge_implIS3_PlPS5_mZN2at6native12_GLOBAL__N_124unique_dim_cuda_templateIjEESt5tupleIJNSA_6TensorESF_SF_EERKSF_lbbbEUlllE_EE10hipError_tT0_T1_T2_jT3_P12ihipStream_tbPNSt15iterator_traitsISL_E10value_typeEPNSR_ISM_E10value_typeEPSN_NS1_7vsmem_tEENKUlT_SL_SM_SN_E_clIS8_S8_S9_S9_EESK_S10_SL_SM_SN_EUlS10_E0_NS1_11comp_targetILNS1_3genE5ELNS1_11target_archE942ELNS1_3gpuE9ELNS1_3repE0EEENS1_38merge_mergepath_config_static_selectorELNS0_4arch9wavefront6targetE1EEEvSM_,comdat
	.globl	_ZN7rocprim17ROCPRIM_400000_NS6detail17trampoline_kernelINS0_14default_configENS1_38merge_sort_block_merge_config_selectorIlNS0_10empty_typeEEEZZNS1_27merge_sort_block_merge_implIS3_PlPS5_mZN2at6native12_GLOBAL__N_124unique_dim_cuda_templateIjEESt5tupleIJNSA_6TensorESF_SF_EERKSF_lbbbEUlllE_EE10hipError_tT0_T1_T2_jT3_P12ihipStream_tbPNSt15iterator_traitsISL_E10value_typeEPNSR_ISM_E10value_typeEPSN_NS1_7vsmem_tEENKUlT_SL_SM_SN_E_clIS8_S8_S9_S9_EESK_S10_SL_SM_SN_EUlS10_E0_NS1_11comp_targetILNS1_3genE5ELNS1_11target_archE942ELNS1_3gpuE9ELNS1_3repE0EEENS1_38merge_mergepath_config_static_selectorELNS0_4arch9wavefront6targetE1EEEvSM_ ; -- Begin function _ZN7rocprim17ROCPRIM_400000_NS6detail17trampoline_kernelINS0_14default_configENS1_38merge_sort_block_merge_config_selectorIlNS0_10empty_typeEEEZZNS1_27merge_sort_block_merge_implIS3_PlPS5_mZN2at6native12_GLOBAL__N_124unique_dim_cuda_templateIjEESt5tupleIJNSA_6TensorESF_SF_EERKSF_lbbbEUlllE_EE10hipError_tT0_T1_T2_jT3_P12ihipStream_tbPNSt15iterator_traitsISL_E10value_typeEPNSR_ISM_E10value_typeEPSN_NS1_7vsmem_tEENKUlT_SL_SM_SN_E_clIS8_S8_S9_S9_EESK_S10_SL_SM_SN_EUlS10_E0_NS1_11comp_targetILNS1_3genE5ELNS1_11target_archE942ELNS1_3gpuE9ELNS1_3repE0EEENS1_38merge_mergepath_config_static_selectorELNS0_4arch9wavefront6targetE1EEEvSM_
	.p2align	8
	.type	_ZN7rocprim17ROCPRIM_400000_NS6detail17trampoline_kernelINS0_14default_configENS1_38merge_sort_block_merge_config_selectorIlNS0_10empty_typeEEEZZNS1_27merge_sort_block_merge_implIS3_PlPS5_mZN2at6native12_GLOBAL__N_124unique_dim_cuda_templateIjEESt5tupleIJNSA_6TensorESF_SF_EERKSF_lbbbEUlllE_EE10hipError_tT0_T1_T2_jT3_P12ihipStream_tbPNSt15iterator_traitsISL_E10value_typeEPNSR_ISM_E10value_typeEPSN_NS1_7vsmem_tEENKUlT_SL_SM_SN_E_clIS8_S8_S9_S9_EESK_S10_SL_SM_SN_EUlS10_E0_NS1_11comp_targetILNS1_3genE5ELNS1_11target_archE942ELNS1_3gpuE9ELNS1_3repE0EEENS1_38merge_mergepath_config_static_selectorELNS0_4arch9wavefront6targetE1EEEvSM_,@function
_ZN7rocprim17ROCPRIM_400000_NS6detail17trampoline_kernelINS0_14default_configENS1_38merge_sort_block_merge_config_selectorIlNS0_10empty_typeEEEZZNS1_27merge_sort_block_merge_implIS3_PlPS5_mZN2at6native12_GLOBAL__N_124unique_dim_cuda_templateIjEESt5tupleIJNSA_6TensorESF_SF_EERKSF_lbbbEUlllE_EE10hipError_tT0_T1_T2_jT3_P12ihipStream_tbPNSt15iterator_traitsISL_E10value_typeEPNSR_ISM_E10value_typeEPSN_NS1_7vsmem_tEENKUlT_SL_SM_SN_E_clIS8_S8_S9_S9_EESK_S10_SL_SM_SN_EUlS10_E0_NS1_11comp_targetILNS1_3genE5ELNS1_11target_archE942ELNS1_3gpuE9ELNS1_3repE0EEENS1_38merge_mergepath_config_static_selectorELNS0_4arch9wavefront6targetE1EEEvSM_: ; @_ZN7rocprim17ROCPRIM_400000_NS6detail17trampoline_kernelINS0_14default_configENS1_38merge_sort_block_merge_config_selectorIlNS0_10empty_typeEEEZZNS1_27merge_sort_block_merge_implIS3_PlPS5_mZN2at6native12_GLOBAL__N_124unique_dim_cuda_templateIjEESt5tupleIJNSA_6TensorESF_SF_EERKSF_lbbbEUlllE_EE10hipError_tT0_T1_T2_jT3_P12ihipStream_tbPNSt15iterator_traitsISL_E10value_typeEPNSR_ISM_E10value_typeEPSN_NS1_7vsmem_tEENKUlT_SL_SM_SN_E_clIS8_S8_S9_S9_EESK_S10_SL_SM_SN_EUlS10_E0_NS1_11comp_targetILNS1_3genE5ELNS1_11target_archE942ELNS1_3gpuE9ELNS1_3repE0EEENS1_38merge_mergepath_config_static_selectorELNS0_4arch9wavefront6targetE1EEEvSM_
; %bb.0:
	.section	.rodata,"a",@progbits
	.p2align	6, 0x0
	.amdhsa_kernel _ZN7rocprim17ROCPRIM_400000_NS6detail17trampoline_kernelINS0_14default_configENS1_38merge_sort_block_merge_config_selectorIlNS0_10empty_typeEEEZZNS1_27merge_sort_block_merge_implIS3_PlPS5_mZN2at6native12_GLOBAL__N_124unique_dim_cuda_templateIjEESt5tupleIJNSA_6TensorESF_SF_EERKSF_lbbbEUlllE_EE10hipError_tT0_T1_T2_jT3_P12ihipStream_tbPNSt15iterator_traitsISL_E10value_typeEPNSR_ISM_E10value_typeEPSN_NS1_7vsmem_tEENKUlT_SL_SM_SN_E_clIS8_S8_S9_S9_EESK_S10_SL_SM_SN_EUlS10_E0_NS1_11comp_targetILNS1_3genE5ELNS1_11target_archE942ELNS1_3gpuE9ELNS1_3repE0EEENS1_38merge_mergepath_config_static_selectorELNS0_4arch9wavefront6targetE1EEEvSM_
		.amdhsa_group_segment_fixed_size 0
		.amdhsa_private_segment_fixed_size 0
		.amdhsa_kernarg_size 88
		.amdhsa_user_sgpr_count 6
		.amdhsa_user_sgpr_private_segment_buffer 1
		.amdhsa_user_sgpr_dispatch_ptr 0
		.amdhsa_user_sgpr_queue_ptr 0
		.amdhsa_user_sgpr_kernarg_segment_ptr 1
		.amdhsa_user_sgpr_dispatch_id 0
		.amdhsa_user_sgpr_flat_scratch_init 0
		.amdhsa_user_sgpr_kernarg_preload_length 0
		.amdhsa_user_sgpr_kernarg_preload_offset 0
		.amdhsa_user_sgpr_private_segment_size 0
		.amdhsa_uses_dynamic_stack 0
		.amdhsa_system_sgpr_private_segment_wavefront_offset 0
		.amdhsa_system_sgpr_workgroup_id_x 1
		.amdhsa_system_sgpr_workgroup_id_y 0
		.amdhsa_system_sgpr_workgroup_id_z 0
		.amdhsa_system_sgpr_workgroup_info 0
		.amdhsa_system_vgpr_workitem_id 0
		.amdhsa_next_free_vgpr 1
		.amdhsa_next_free_sgpr 0
		.amdhsa_accum_offset 4
		.amdhsa_reserve_vcc 0
		.amdhsa_reserve_flat_scratch 0
		.amdhsa_float_round_mode_32 0
		.amdhsa_float_round_mode_16_64 0
		.amdhsa_float_denorm_mode_32 3
		.amdhsa_float_denorm_mode_16_64 3
		.amdhsa_dx10_clamp 1
		.amdhsa_ieee_mode 1
		.amdhsa_fp16_overflow 0
		.amdhsa_tg_split 0
		.amdhsa_exception_fp_ieee_invalid_op 0
		.amdhsa_exception_fp_denorm_src 0
		.amdhsa_exception_fp_ieee_div_zero 0
		.amdhsa_exception_fp_ieee_overflow 0
		.amdhsa_exception_fp_ieee_underflow 0
		.amdhsa_exception_fp_ieee_inexact 0
		.amdhsa_exception_int_div_zero 0
	.end_amdhsa_kernel
	.section	.text._ZN7rocprim17ROCPRIM_400000_NS6detail17trampoline_kernelINS0_14default_configENS1_38merge_sort_block_merge_config_selectorIlNS0_10empty_typeEEEZZNS1_27merge_sort_block_merge_implIS3_PlPS5_mZN2at6native12_GLOBAL__N_124unique_dim_cuda_templateIjEESt5tupleIJNSA_6TensorESF_SF_EERKSF_lbbbEUlllE_EE10hipError_tT0_T1_T2_jT3_P12ihipStream_tbPNSt15iterator_traitsISL_E10value_typeEPNSR_ISM_E10value_typeEPSN_NS1_7vsmem_tEENKUlT_SL_SM_SN_E_clIS8_S8_S9_S9_EESK_S10_SL_SM_SN_EUlS10_E0_NS1_11comp_targetILNS1_3genE5ELNS1_11target_archE942ELNS1_3gpuE9ELNS1_3repE0EEENS1_38merge_mergepath_config_static_selectorELNS0_4arch9wavefront6targetE1EEEvSM_,"axG",@progbits,_ZN7rocprim17ROCPRIM_400000_NS6detail17trampoline_kernelINS0_14default_configENS1_38merge_sort_block_merge_config_selectorIlNS0_10empty_typeEEEZZNS1_27merge_sort_block_merge_implIS3_PlPS5_mZN2at6native12_GLOBAL__N_124unique_dim_cuda_templateIjEESt5tupleIJNSA_6TensorESF_SF_EERKSF_lbbbEUlllE_EE10hipError_tT0_T1_T2_jT3_P12ihipStream_tbPNSt15iterator_traitsISL_E10value_typeEPNSR_ISM_E10value_typeEPSN_NS1_7vsmem_tEENKUlT_SL_SM_SN_E_clIS8_S8_S9_S9_EESK_S10_SL_SM_SN_EUlS10_E0_NS1_11comp_targetILNS1_3genE5ELNS1_11target_archE942ELNS1_3gpuE9ELNS1_3repE0EEENS1_38merge_mergepath_config_static_selectorELNS0_4arch9wavefront6targetE1EEEvSM_,comdat
.Lfunc_end1500:
	.size	_ZN7rocprim17ROCPRIM_400000_NS6detail17trampoline_kernelINS0_14default_configENS1_38merge_sort_block_merge_config_selectorIlNS0_10empty_typeEEEZZNS1_27merge_sort_block_merge_implIS3_PlPS5_mZN2at6native12_GLOBAL__N_124unique_dim_cuda_templateIjEESt5tupleIJNSA_6TensorESF_SF_EERKSF_lbbbEUlllE_EE10hipError_tT0_T1_T2_jT3_P12ihipStream_tbPNSt15iterator_traitsISL_E10value_typeEPNSR_ISM_E10value_typeEPSN_NS1_7vsmem_tEENKUlT_SL_SM_SN_E_clIS8_S8_S9_S9_EESK_S10_SL_SM_SN_EUlS10_E0_NS1_11comp_targetILNS1_3genE5ELNS1_11target_archE942ELNS1_3gpuE9ELNS1_3repE0EEENS1_38merge_mergepath_config_static_selectorELNS0_4arch9wavefront6targetE1EEEvSM_, .Lfunc_end1500-_ZN7rocprim17ROCPRIM_400000_NS6detail17trampoline_kernelINS0_14default_configENS1_38merge_sort_block_merge_config_selectorIlNS0_10empty_typeEEEZZNS1_27merge_sort_block_merge_implIS3_PlPS5_mZN2at6native12_GLOBAL__N_124unique_dim_cuda_templateIjEESt5tupleIJNSA_6TensorESF_SF_EERKSF_lbbbEUlllE_EE10hipError_tT0_T1_T2_jT3_P12ihipStream_tbPNSt15iterator_traitsISL_E10value_typeEPNSR_ISM_E10value_typeEPSN_NS1_7vsmem_tEENKUlT_SL_SM_SN_E_clIS8_S8_S9_S9_EESK_S10_SL_SM_SN_EUlS10_E0_NS1_11comp_targetILNS1_3genE5ELNS1_11target_archE942ELNS1_3gpuE9ELNS1_3repE0EEENS1_38merge_mergepath_config_static_selectorELNS0_4arch9wavefront6targetE1EEEvSM_
                                        ; -- End function
	.section	.AMDGPU.csdata,"",@progbits
; Kernel info:
; codeLenInByte = 0
; NumSgprs: 4
; NumVgprs: 0
; NumAgprs: 0
; TotalNumVgprs: 0
; ScratchSize: 0
; MemoryBound: 0
; FloatMode: 240
; IeeeMode: 1
; LDSByteSize: 0 bytes/workgroup (compile time only)
; SGPRBlocks: 0
; VGPRBlocks: 0
; NumSGPRsForWavesPerEU: 4
; NumVGPRsForWavesPerEU: 1
; AccumOffset: 4
; Occupancy: 8
; WaveLimiterHint : 0
; COMPUTE_PGM_RSRC2:SCRATCH_EN: 0
; COMPUTE_PGM_RSRC2:USER_SGPR: 6
; COMPUTE_PGM_RSRC2:TRAP_HANDLER: 0
; COMPUTE_PGM_RSRC2:TGID_X_EN: 1
; COMPUTE_PGM_RSRC2:TGID_Y_EN: 0
; COMPUTE_PGM_RSRC2:TGID_Z_EN: 0
; COMPUTE_PGM_RSRC2:TIDIG_COMP_CNT: 0
; COMPUTE_PGM_RSRC3_GFX90A:ACCUM_OFFSET: 0
; COMPUTE_PGM_RSRC3_GFX90A:TG_SPLIT: 0
	.section	.text._ZN7rocprim17ROCPRIM_400000_NS6detail17trampoline_kernelINS0_14default_configENS1_38merge_sort_block_merge_config_selectorIlNS0_10empty_typeEEEZZNS1_27merge_sort_block_merge_implIS3_PlPS5_mZN2at6native12_GLOBAL__N_124unique_dim_cuda_templateIjEESt5tupleIJNSA_6TensorESF_SF_EERKSF_lbbbEUlllE_EE10hipError_tT0_T1_T2_jT3_P12ihipStream_tbPNSt15iterator_traitsISL_E10value_typeEPNSR_ISM_E10value_typeEPSN_NS1_7vsmem_tEENKUlT_SL_SM_SN_E_clIS8_S8_S9_S9_EESK_S10_SL_SM_SN_EUlS10_E0_NS1_11comp_targetILNS1_3genE4ELNS1_11target_archE910ELNS1_3gpuE8ELNS1_3repE0EEENS1_38merge_mergepath_config_static_selectorELNS0_4arch9wavefront6targetE1EEEvSM_,"axG",@progbits,_ZN7rocprim17ROCPRIM_400000_NS6detail17trampoline_kernelINS0_14default_configENS1_38merge_sort_block_merge_config_selectorIlNS0_10empty_typeEEEZZNS1_27merge_sort_block_merge_implIS3_PlPS5_mZN2at6native12_GLOBAL__N_124unique_dim_cuda_templateIjEESt5tupleIJNSA_6TensorESF_SF_EERKSF_lbbbEUlllE_EE10hipError_tT0_T1_T2_jT3_P12ihipStream_tbPNSt15iterator_traitsISL_E10value_typeEPNSR_ISM_E10value_typeEPSN_NS1_7vsmem_tEENKUlT_SL_SM_SN_E_clIS8_S8_S9_S9_EESK_S10_SL_SM_SN_EUlS10_E0_NS1_11comp_targetILNS1_3genE4ELNS1_11target_archE910ELNS1_3gpuE8ELNS1_3repE0EEENS1_38merge_mergepath_config_static_selectorELNS0_4arch9wavefront6targetE1EEEvSM_,comdat
	.globl	_ZN7rocprim17ROCPRIM_400000_NS6detail17trampoline_kernelINS0_14default_configENS1_38merge_sort_block_merge_config_selectorIlNS0_10empty_typeEEEZZNS1_27merge_sort_block_merge_implIS3_PlPS5_mZN2at6native12_GLOBAL__N_124unique_dim_cuda_templateIjEESt5tupleIJNSA_6TensorESF_SF_EERKSF_lbbbEUlllE_EE10hipError_tT0_T1_T2_jT3_P12ihipStream_tbPNSt15iterator_traitsISL_E10value_typeEPNSR_ISM_E10value_typeEPSN_NS1_7vsmem_tEENKUlT_SL_SM_SN_E_clIS8_S8_S9_S9_EESK_S10_SL_SM_SN_EUlS10_E0_NS1_11comp_targetILNS1_3genE4ELNS1_11target_archE910ELNS1_3gpuE8ELNS1_3repE0EEENS1_38merge_mergepath_config_static_selectorELNS0_4arch9wavefront6targetE1EEEvSM_ ; -- Begin function _ZN7rocprim17ROCPRIM_400000_NS6detail17trampoline_kernelINS0_14default_configENS1_38merge_sort_block_merge_config_selectorIlNS0_10empty_typeEEEZZNS1_27merge_sort_block_merge_implIS3_PlPS5_mZN2at6native12_GLOBAL__N_124unique_dim_cuda_templateIjEESt5tupleIJNSA_6TensorESF_SF_EERKSF_lbbbEUlllE_EE10hipError_tT0_T1_T2_jT3_P12ihipStream_tbPNSt15iterator_traitsISL_E10value_typeEPNSR_ISM_E10value_typeEPSN_NS1_7vsmem_tEENKUlT_SL_SM_SN_E_clIS8_S8_S9_S9_EESK_S10_SL_SM_SN_EUlS10_E0_NS1_11comp_targetILNS1_3genE4ELNS1_11target_archE910ELNS1_3gpuE8ELNS1_3repE0EEENS1_38merge_mergepath_config_static_selectorELNS0_4arch9wavefront6targetE1EEEvSM_
	.p2align	8
	.type	_ZN7rocprim17ROCPRIM_400000_NS6detail17trampoline_kernelINS0_14default_configENS1_38merge_sort_block_merge_config_selectorIlNS0_10empty_typeEEEZZNS1_27merge_sort_block_merge_implIS3_PlPS5_mZN2at6native12_GLOBAL__N_124unique_dim_cuda_templateIjEESt5tupleIJNSA_6TensorESF_SF_EERKSF_lbbbEUlllE_EE10hipError_tT0_T1_T2_jT3_P12ihipStream_tbPNSt15iterator_traitsISL_E10value_typeEPNSR_ISM_E10value_typeEPSN_NS1_7vsmem_tEENKUlT_SL_SM_SN_E_clIS8_S8_S9_S9_EESK_S10_SL_SM_SN_EUlS10_E0_NS1_11comp_targetILNS1_3genE4ELNS1_11target_archE910ELNS1_3gpuE8ELNS1_3repE0EEENS1_38merge_mergepath_config_static_selectorELNS0_4arch9wavefront6targetE1EEEvSM_,@function
_ZN7rocprim17ROCPRIM_400000_NS6detail17trampoline_kernelINS0_14default_configENS1_38merge_sort_block_merge_config_selectorIlNS0_10empty_typeEEEZZNS1_27merge_sort_block_merge_implIS3_PlPS5_mZN2at6native12_GLOBAL__N_124unique_dim_cuda_templateIjEESt5tupleIJNSA_6TensorESF_SF_EERKSF_lbbbEUlllE_EE10hipError_tT0_T1_T2_jT3_P12ihipStream_tbPNSt15iterator_traitsISL_E10value_typeEPNSR_ISM_E10value_typeEPSN_NS1_7vsmem_tEENKUlT_SL_SM_SN_E_clIS8_S8_S9_S9_EESK_S10_SL_SM_SN_EUlS10_E0_NS1_11comp_targetILNS1_3genE4ELNS1_11target_archE910ELNS1_3gpuE8ELNS1_3repE0EEENS1_38merge_mergepath_config_static_selectorELNS0_4arch9wavefront6targetE1EEEvSM_: ; @_ZN7rocprim17ROCPRIM_400000_NS6detail17trampoline_kernelINS0_14default_configENS1_38merge_sort_block_merge_config_selectorIlNS0_10empty_typeEEEZZNS1_27merge_sort_block_merge_implIS3_PlPS5_mZN2at6native12_GLOBAL__N_124unique_dim_cuda_templateIjEESt5tupleIJNSA_6TensorESF_SF_EERKSF_lbbbEUlllE_EE10hipError_tT0_T1_T2_jT3_P12ihipStream_tbPNSt15iterator_traitsISL_E10value_typeEPNSR_ISM_E10value_typeEPSN_NS1_7vsmem_tEENKUlT_SL_SM_SN_E_clIS8_S8_S9_S9_EESK_S10_SL_SM_SN_EUlS10_E0_NS1_11comp_targetILNS1_3genE4ELNS1_11target_archE910ELNS1_3gpuE8ELNS1_3repE0EEENS1_38merge_mergepath_config_static_selectorELNS0_4arch9wavefront6targetE1EEEvSM_
; %bb.0:
	s_load_dwordx2 s[22:23], s[4:5], 0x58
	s_load_dword s0, s[4:5], 0x38
	s_add_u32 s16, s4, 0x58
	s_addc_u32 s17, s5, 0
	s_waitcnt lgkmcnt(0)
	s_mul_i32 s1, s23, s8
	s_add_i32 s1, s1, s7
	s_mul_i32 s1, s1, s22
	s_add_i32 s18, s1, s6
	s_cmp_ge_u32 s18, s0
	s_cbranch_scc1 .LBB1501_82
; %bb.1:
	s_load_dwordx2 s[0:1], s[4:5], 0x50
	s_load_dwordx4 s[12:15], s[4:5], 0x8
	s_load_dwordx4 s[8:11], s[4:5], 0x28
	s_mov_b32 s19, 0
	s_lshl_b64 s[2:3], s[18:19], 3
	s_waitcnt lgkmcnt(0)
	s_add_u32 s0, s0, s2
	s_addc_u32 s1, s1, s3
	v_mov_b32_e32 v1, s10
	v_alignbit_b32 v1, s11, v1, 9
	v_readfirstlane_b32 s7, v1
	s_and_b32 s7, s7, -2
	s_sub_i32 s33, 0, s7
	s_and_b32 s26, s18, s33
	s_mov_b32 s27, s19
	s_lshl_b64 s[24:25], s[26:27], 10
	s_lshl_b64 s[20:21], s[18:19], 10
	s_sub_u32 s7, s20, s24
	s_load_dwordx4 s[0:3], s[0:1], 0x0
	s_subb_u32 s23, s21, s25
	s_lshl_b64 s[26:27], s[26:27], 11
	s_add_u32 s26, s26, s10
	s_addc_u32 s27, s27, s11
	s_add_u32 s7, s26, s7
	s_addc_u32 s23, s27, s23
	s_waitcnt lgkmcnt(0)
	s_sub_u32 s28, s7, s2
	s_subb_u32 s3, s23, s3
	s_add_u32 s28, s28, 0x400
	s_addc_u32 s29, s3, 0
	v_pk_mov_b32 v[2:3], s[28:29], s[28:29] op_sel:[0,1]
	v_cmp_lt_u64_e32 vcc, s[8:9], v[2:3]
	s_and_b64 s[30:31], vcc, exec
	s_cselect_b32 s3, s8, s28
	s_or_b32 s28, s18, s33
	s_cmp_lg_u32 s28, -1
	s_cbranch_scc1 .LBB1501_3
; %bb.2:
	s_sub_u32 s24, s26, s24
	s_subb_u32 s25, s27, s25
	v_pk_mov_b32 v[2:3], s[24:25], s[24:25] op_sel:[0,1]
	v_cmp_lt_u64_e32 vcc, s[8:9], v[2:3]
	s_and_b64 s[2:3], vcc, exec
	s_cselect_b32 s2, s8, s24
	s_add_u32 s10, s24, s10
	s_addc_u32 s11, s25, s11
	v_pk_mov_b32 v[2:3], s[10:11], s[10:11] op_sel:[0,1]
	v_cmp_lt_u64_e32 vcc, s[8:9], v[2:3]
	s_and_b64 s[24:25], vcc, exec
	s_cselect_b32 s3, s8, s10
.LBB1501_3:
	s_lshr_b64 s[26:27], s[8:9], 10
	s_cmp_lg_u64 s[26:27], s[18:19]
	s_cselect_b64 s[10:11], -1, 0
	s_sub_u32 s24, s7, s0
	s_subb_u32 s25, s23, s1
	v_pk_mov_b32 v[2:3], s[24:25], s[24:25] op_sel:[0,1]
	v_cmp_lt_u64_e32 vcc, s[8:9], v[2:3]
	s_and_b64 s[28:29], vcc, exec
	s_cselect_b32 s28, s8, s24
	s_cselect_b32 s29, s9, s25
	s_sub_i32 s9, s2, s0
	s_sub_i32 s7, s3, s28
	s_lshl_b64 s[0:1], s[0:1], 3
	s_add_u32 s23, s12, s0
	s_addc_u32 s24, s13, s1
	s_lshl_b64 s[0:1], s[28:29], 3
	s_add_u32 s12, s12, s0
	s_addc_u32 s13, s13, s1
	s_cmp_lt_u32 s6, s22
	v_mov_b32_e32 v9, 0
	s_cselect_b32 s0, 12, 18
	global_load_dword v1, v9, s[16:17] offset:14
	s_add_u32 s0, s16, s0
	s_addc_u32 s1, s17, 0
	global_load_ushort v2, v9, s[0:1]
	s_cmp_eq_u64 s[26:27], s[18:19]
	s_waitcnt vmcnt(1)
	v_lshrrev_b32_e32 v3, 16, v1
	v_and_b32_e32 v1, 0xffff, v1
	v_mul_lo_u32 v1, v1, v3
	s_waitcnt vmcnt(0)
	v_mul_lo_u32 v12, v1, v2
	v_lshlrev_b32_e32 v1, 3, v0
	s_cbranch_scc1 .LBB1501_5
; %bb.4:
	v_mov_b32_e32 v2, s24
	v_add_co_u32_e32 v4, vcc, s23, v1
	v_subrev_u32_e32 v8, s9, v0
	v_addc_co_u32_e32 v5, vcc, 0, v2, vcc
	v_lshlrev_b64 v[2:3], 3, v[8:9]
	v_mov_b32_e32 v6, s13
	v_add_co_u32_e32 v2, vcc, s12, v2
	v_addc_co_u32_e32 v3, vcc, v6, v3, vcc
	v_cmp_gt_u32_e32 vcc, s9, v0
	v_add_u32_e32 v8, v12, v0
	v_cndmask_b32_e32 v3, v3, v5, vcc
	v_cndmask_b32_e32 v2, v2, v4, vcc
	v_lshlrev_b64 v[4:5], 3, v[8:9]
	v_mov_b32_e32 v6, s24
	v_add_co_u32_e32 v7, vcc, s23, v4
	v_addc_co_u32_e32 v6, vcc, v6, v5, vcc
	v_subrev_u32_e32 v4, s9, v8
	v_mov_b32_e32 v5, v9
	v_lshlrev_b64 v[4:5], 3, v[4:5]
	v_mov_b32_e32 v10, s13
	v_add_co_u32_e32 v4, vcc, s12, v4
	v_addc_co_u32_e32 v5, vcc, v10, v5, vcc
	v_cmp_gt_u32_e32 vcc, s9, v8
	v_add_u32_e32 v8, v8, v12
	v_cndmask_b32_e32 v5, v5, v6, vcc
	v_cndmask_b32_e32 v4, v4, v7, vcc
	v_lshlrev_b64 v[6:7], 3, v[8:9]
	v_mov_b32_e32 v10, s24
	v_add_co_u32_e32 v11, vcc, s23, v6
	v_addc_co_u32_e32 v10, vcc, v10, v7, vcc
	v_subrev_u32_e32 v6, s9, v8
	v_mov_b32_e32 v7, v9
	v_lshlrev_b64 v[6:7], 3, v[6:7]
	v_mov_b32_e32 v13, s13
	v_add_co_u32_e32 v6, vcc, s12, v6
	v_addc_co_u32_e32 v7, vcc, v13, v7, vcc
	v_cmp_gt_u32_e32 vcc, s9, v8
	v_add_u32_e32 v8, v8, v12
	v_cndmask_b32_e32 v7, v7, v10, vcc
	v_cndmask_b32_e32 v6, v6, v11, vcc
	v_lshlrev_b64 v[10:11], 3, v[8:9]
	v_mov_b32_e32 v13, s24
	v_add_co_u32_e32 v10, vcc, s23, v10
	v_addc_co_u32_e32 v11, vcc, v13, v11, vcc
	v_cmp_gt_u32_e32 vcc, s9, v8
	v_subrev_u32_e32 v8, s9, v8
	v_lshlrev_b64 v[8:9], 3, v[8:9]
	v_mov_b32_e32 v13, s13
	v_add_co_u32_e64 v8, s[0:1], s12, v8
	v_addc_co_u32_e64 v9, s[0:1], v13, v9, s[0:1]
	v_cndmask_b32_e32 v9, v9, v11, vcc
	v_cndmask_b32_e32 v8, v8, v10, vcc
	global_load_dwordx2 v[2:3], v[2:3], off
	s_add_i32 s33, s9, s7
	global_load_dwordx2 v[4:5], v[4:5], off
	s_nop 0
	global_load_dwordx2 v[6:7], v[6:7], off
	s_nop 0
	global_load_dwordx2 v[8:9], v[8:9], off
	s_cbranch_execz .LBB1501_6
	s_branch .LBB1501_15
.LBB1501_5:
                                        ; implicit-def: $vgpr2_vgpr3_vgpr4_vgpr5_vgpr6_vgpr7_vgpr8_vgpr9
                                        ; implicit-def: $sgpr33
.LBB1501_6:
	s_add_i32 s33, s9, s7
	v_cmp_gt_u32_e32 vcc, s33, v0
                                        ; implicit-def: $vgpr2_vgpr3_vgpr4_vgpr5_vgpr6_vgpr7_vgpr8_vgpr9
	s_and_saveexec_b64 s[0:1], vcc
	s_cbranch_execz .LBB1501_8
; %bb.7:
	s_waitcnt vmcnt(3)
	v_mov_b32_e32 v2, s24
	s_waitcnt vmcnt(2)
	v_add_co_u32_e32 v4, vcc, s23, v1
	v_mov_b32_e32 v3, 0
	v_addc_co_u32_e32 v5, vcc, 0, v2, vcc
	v_subrev_u32_e32 v2, s9, v0
	v_lshlrev_b64 v[2:3], 3, v[2:3]
	s_waitcnt vmcnt(1)
	v_mov_b32_e32 v6, s13
	v_add_co_u32_e32 v2, vcc, s12, v2
	v_addc_co_u32_e32 v3, vcc, v6, v3, vcc
	v_cmp_gt_u32_e32 vcc, s9, v0
	v_cndmask_b32_e32 v3, v3, v5, vcc
	v_cndmask_b32_e32 v2, v2, v4, vcc
	global_load_dwordx2 v[2:3], v[2:3], off
.LBB1501_8:
	s_or_b64 exec, exec, s[0:1]
	v_add_u32_e32 v10, v12, v0
	v_cmp_gt_u32_e32 vcc, s33, v10
	s_and_saveexec_b64 s[0:1], vcc
	s_cbranch_execz .LBB1501_10
; %bb.9:
	v_mov_b32_e32 v11, 0
	s_waitcnt vmcnt(2)
	v_lshlrev_b64 v[4:5], 3, v[10:11]
	v_mov_b32_e32 v13, s24
	v_add_co_u32_e32 v14, vcc, s23, v4
	v_addc_co_u32_e32 v13, vcc, v13, v5, vcc
	v_subrev_u32_e32 v4, s9, v10
	v_mov_b32_e32 v5, v11
	v_lshlrev_b64 v[4:5], 3, v[4:5]
	v_mov_b32_e32 v11, s13
	v_add_co_u32_e32 v4, vcc, s12, v4
	v_addc_co_u32_e32 v5, vcc, v11, v5, vcc
	v_cmp_gt_u32_e32 vcc, s9, v10
	v_cndmask_b32_e32 v5, v5, v13, vcc
	v_cndmask_b32_e32 v4, v4, v14, vcc
	global_load_dwordx2 v[4:5], v[4:5], off
.LBB1501_10:
	s_or_b64 exec, exec, s[0:1]
	v_add_u32_e32 v10, v10, v12
	v_cmp_gt_u32_e32 vcc, s33, v10
	s_and_saveexec_b64 s[0:1], vcc
	s_cbranch_execz .LBB1501_12
; %bb.11:
	v_mov_b32_e32 v11, 0
	s_waitcnt vmcnt(1)
	v_lshlrev_b64 v[6:7], 3, v[10:11]
	v_mov_b32_e32 v13, s24
	v_add_co_u32_e32 v14, vcc, s23, v6
	v_addc_co_u32_e32 v13, vcc, v13, v7, vcc
	v_subrev_u32_e32 v6, s9, v10
	v_mov_b32_e32 v7, v11
	v_lshlrev_b64 v[6:7], 3, v[6:7]
	v_mov_b32_e32 v11, s13
	v_add_co_u32_e32 v6, vcc, s12, v6
	v_addc_co_u32_e32 v7, vcc, v11, v7, vcc
	v_cmp_gt_u32_e32 vcc, s9, v10
	v_cndmask_b32_e32 v7, v7, v13, vcc
	v_cndmask_b32_e32 v6, v6, v14, vcc
	global_load_dwordx2 v[6:7], v[6:7], off
.LBB1501_12:
	s_or_b64 exec, exec, s[0:1]
	v_add_u32_e32 v10, v10, v12
	v_cmp_gt_u32_e32 vcc, s33, v10
	s_and_saveexec_b64 s[2:3], vcc
	s_cbranch_execz .LBB1501_14
; %bb.13:
	v_mov_b32_e32 v11, 0
	s_waitcnt vmcnt(0)
	v_lshlrev_b64 v[8:9], 3, v[10:11]
	v_mov_b32_e32 v12, s24
	v_add_co_u32_e32 v13, vcc, s23, v8
	v_addc_co_u32_e32 v12, vcc, v12, v9, vcc
	v_cmp_gt_u32_e32 vcc, s9, v10
	v_subrev_u32_e32 v10, s9, v10
	v_lshlrev_b64 v[8:9], 3, v[10:11]
	v_mov_b32_e32 v10, s13
	v_add_co_u32_e64 v8, s[0:1], s12, v8
	v_addc_co_u32_e64 v9, s[0:1], v10, v9, s[0:1]
	v_cndmask_b32_e32 v9, v9, v12, vcc
	v_cndmask_b32_e32 v8, v8, v13, vcc
	global_load_dwordx2 v[8:9], v[8:9], off
.LBB1501_14:
	s_or_b64 exec, exec, s[2:3]
.LBB1501_15:
	s_load_dwordx4 s[16:19], s[4:5], 0x40
	v_lshlrev_b32_e32 v16, 2, v0
	v_min_u32_e32 v15, s33, v16
	v_sub_u32_e64 v14, v15, s7 clamp
	v_min_u32_e32 v17, s9, v15
	v_cmp_lt_u32_e32 vcc, v14, v17
	s_waitcnt vmcnt(0)
	ds_write2st64_b64 v1, v[2:3], v[4:5] offset1:4
	ds_write2st64_b64 v1, v[6:7], v[8:9] offset0:8 offset1:12
	s_waitcnt lgkmcnt(0)
	s_barrier
	s_and_saveexec_b64 s[6:7], vcc
	s_cbranch_execz .LBB1501_25
; %bb.16:
	v_lshlrev_b32_e32 v10, 3, v15
	v_cmp_gt_i64_e64 s[0:1], s[16:17], 0
	v_lshl_add_u32 v18, s9, 3, v10
	v_cndmask_b32_e64 v10, 0, 1, s[0:1]
	s_mov_b64 s[12:13], 0
	s_lshl_b64 s[22:23], s[16:17], 2
	v_cmp_ne_u32_e64 s[0:1], 1, v10
	s_branch .LBB1501_19
.LBB1501_17:                            ;   in Loop: Header=BB1501_19 Depth=1
	s_or_b64 exec, exec, s[26:27]
.LBB1501_18:                            ;   in Loop: Header=BB1501_19 Depth=1
	v_add_u32_e32 v10, 1, v19
	v_cndmask_b32_e64 v17, v17, v19, s[24:25]
	v_cndmask_b32_e64 v14, v10, v14, s[24:25]
	v_cmp_ge_u32_e32 vcc, v14, v17
	s_or_b64 s[12:13], vcc, s[12:13]
	s_andn2_b64 exec, exec, s[12:13]
	s_cbranch_execz .LBB1501_24
.LBB1501_19:                            ; =>This Loop Header: Depth=1
                                        ;     Child Loop BB1501_22 Depth 2
	v_add_u32_e32 v10, v17, v14
	v_lshrrev_b32_e32 v19, 1, v10
	s_and_b64 vcc, exec, s[0:1]
	s_mov_b64 s[24:25], 0
	s_cbranch_vccnz .LBB1501_18
; %bb.20:                               ;   in Loop: Header=BB1501_19 Depth=1
	v_not_b32_e32 v10, v19
	v_lshl_add_u32 v10, v10, 3, v18
	ds_read_b64 v[10:11], v10
	v_lshlrev_b32_e32 v20, 3, v19
	ds_read_b64 v[20:21], v20
	v_pk_mov_b32 v[12:13], s[18:19], s[18:19] op_sel:[0,1]
	s_mov_b64 s[26:27], 0
	s_waitcnt lgkmcnt(1)
	v_mul_lo_u32 v22, s22, v11
	v_mul_lo_u32 v23, s23, v10
	v_mad_u64_u32 v[10:11], s[2:3], s22, v10, v[12:13]
	v_add3_u32 v11, v23, v11, v22
	s_waitcnt lgkmcnt(0)
	v_mul_lo_u32 v21, s22, v21
	v_mul_lo_u32 v22, s23, v20
	v_mad_u64_u32 v[12:13], s[2:3], s22, v20, v[12:13]
	v_add3_u32 v13, v22, v13, v21
	s_mov_b64 s[34:35], s[16:17]
                                        ; implicit-def: $sgpr24_sgpr25
                                        ; implicit-def: $sgpr28_sgpr29
                                        ; implicit-def: $sgpr30_sgpr31
                                        ; implicit-def: $sgpr2_sgpr3
                                        ; implicit-def: $sgpr36_sgpr37
	s_branch .LBB1501_22
.LBB1501_21:                            ;   in Loop: Header=BB1501_22 Depth=2
	s_or_b64 exec, exec, s[38:39]
	s_and_b64 s[4:5], exec, s[28:29]
	s_or_b64 s[26:27], s[4:5], s[26:27]
	s_andn2_b64 s[4:5], s[36:37], exec
	s_and_b64 s[36:37], s[30:31], exec
	s_or_b64 s[36:37], s[4:5], s[36:37]
	s_andn2_b64 s[4:5], s[24:25], exec
	s_and_b64 s[24:25], s[2:3], exec
	s_or_b64 s[24:25], s[4:5], s[24:25]
	s_andn2_b64 exec, exec, s[26:27]
	s_cbranch_execz .LBB1501_17
.LBB1501_22:                            ;   Parent Loop BB1501_19 Depth=1
                                        ; =>  This Inner Loop Header: Depth=2
	global_load_dword v20, v[10:11], off
	global_load_dword v21, v[12:13], off
	s_andn2_b64 s[38:39], s[2:3], exec
	s_andn2_b64 s[30:31], s[30:31], exec
	s_or_b64 s[28:29], s[28:29], exec
	s_waitcnt vmcnt(0)
	v_cmp_le_u32_e64 s[2:3], v20, v21
	v_cmp_lt_u32_e32 vcc, v20, v21
	s_and_b64 s[2:3], s[2:3], s[36:37]
	s_or_b64 s[40:41], vcc, s[2:3]
	s_and_b64 s[2:3], s[40:41], exec
	v_cmp_eq_u32_e64 s[4:5], v20, v21
	s_or_b64 s[2:3], s[38:39], s[2:3]
	s_and_saveexec_b64 s[38:39], s[4:5]
	s_cbranch_execz .LBB1501_21
; %bb.23:                               ;   in Loop: Header=BB1501_22 Depth=2
	s_add_u32 s34, s34, -1
	s_addc_u32 s35, s35, -1
	v_add_co_u32_e32 v10, vcc, 4, v10
	s_cmp_eq_u64 s[34:35], 0
	v_addc_co_u32_e32 v11, vcc, 0, v11, vcc
	s_cselect_b64 s[4:5], -1, 0
	v_add_co_u32_e32 v12, vcc, 4, v12
	s_andn2_b64 s[30:31], s[30:31], exec
	s_and_b64 s[36:37], s[40:41], exec
	s_andn2_b64 s[28:29], s[28:29], exec
	s_and_b64 s[4:5], s[4:5], exec
	v_addc_co_u32_e32 v13, vcc, 0, v13, vcc
	s_andn2_b64 s[2:3], s[2:3], exec
	s_or_b64 s[30:31], s[30:31], s[36:37]
	s_or_b64 s[28:29], s[28:29], s[4:5]
                                        ; implicit-def: $sgpr36_sgpr37
	s_branch .LBB1501_21
.LBB1501_24:
	s_or_b64 exec, exec, s[12:13]
.LBB1501_25:
	s_or_b64 exec, exec, s[6:7]
	v_sub_u32_e32 v10, v15, v14
	v_add_u32_e32 v15, s9, v10
	v_cmp_ge_u32_e32 vcc, s9, v14
	v_cmp_ge_u32_e64 s[0:1], s33, v15
	s_or_b64 s[0:1], vcc, s[0:1]
	s_and_saveexec_b64 s[4:5], s[0:1]
	s_cbranch_execz .LBB1501_72
; %bb.26:
	v_cmp_le_u32_e32 vcc, s9, v14
	v_cmp_gt_u32_e64 s[0:1], s9, v14
                                        ; implicit-def: $vgpr2_vgpr3
	s_and_saveexec_b64 s[2:3], s[0:1]
	s_cbranch_execz .LBB1501_28
; %bb.27:
	v_lshlrev_b32_e32 v2, 3, v14
	ds_read_b64 v[2:3], v2
.LBB1501_28:
	s_or_b64 exec, exec, s[2:3]
	v_cmp_le_u32_e64 s[12:13], s33, v15
	v_cmp_gt_u32_e64 s[0:1], s33, v15
                                        ; implicit-def: $vgpr6_vgpr7
	s_and_saveexec_b64 s[2:3], s[0:1]
	s_cbranch_execz .LBB1501_30
; %bb.29:
	v_lshlrev_b32_e32 v4, 3, v15
	ds_read_b64 v[6:7], v4
.LBB1501_30:
	s_or_b64 exec, exec, s[2:3]
	s_or_b64 s[0:1], vcc, s[12:13]
	v_cmp_gt_i64_e64 s[6:7], s[16:17], 0
	s_mov_b64 s[22:23], -1
	s_xor_b64 s[0:1], s[0:1], -1
	s_and_saveexec_b64 s[24:25], s[0:1]
	s_cbranch_execz .LBB1501_39
; %bb.31:
	s_andn2_b64 vcc, exec, s[6:7]
	s_cbranch_vccnz .LBB1501_37
; %bb.32:
	s_waitcnt lgkmcnt(0)
	v_mul_lo_u32 v8, v7, s16
	v_mul_lo_u32 v9, v6, s17
	v_mad_u64_u32 v[4:5], s[0:1], v6, s16, 0
	v_add3_u32 v5, v5, v9, v8
	v_lshlrev_b64 v[4:5], 2, v[4:5]
	v_mov_b32_e32 v8, s19
	v_add_co_u32_e32 v4, vcc, s18, v4
	v_addc_co_u32_e32 v5, vcc, v8, v5, vcc
	v_mul_lo_u32 v10, v3, s16
	v_mul_lo_u32 v11, v2, s17
	v_mad_u64_u32 v[8:9], s[0:1], v2, s16, 0
	v_add3_u32 v9, v9, v11, v10
	v_lshlrev_b64 v[8:9], 2, v[8:9]
	v_mov_b32_e32 v10, s19
	v_add_co_u32_e32 v8, vcc, s18, v8
	v_addc_co_u32_e32 v9, vcc, v10, v9, vcc
	s_mov_b64 s[26:27], 0
	s_mov_b64 s[36:37], s[16:17]
                                        ; implicit-def: $sgpr28_sgpr29
                                        ; implicit-def: $sgpr30_sgpr31
                                        ; implicit-def: $sgpr0_sgpr1
                                        ; implicit-def: $sgpr34_sgpr35
                                        ; implicit-def: $sgpr38_sgpr39
	s_branch .LBB1501_34
.LBB1501_33:                            ;   in Loop: Header=BB1501_34 Depth=1
	s_or_b64 exec, exec, s[40:41]
	s_and_b64 s[2:3], exec, s[30:31]
	s_or_b64 s[26:27], s[2:3], s[26:27]
	s_andn2_b64 s[2:3], s[38:39], exec
	s_and_b64 s[38:39], s[34:35], exec
	s_or_b64 s[38:39], s[2:3], s[38:39]
	s_andn2_b64 s[2:3], s[28:29], exec
	s_and_b64 s[28:29], s[0:1], exec
	s_or_b64 s[28:29], s[2:3], s[28:29]
	s_andn2_b64 exec, exec, s[26:27]
	s_cbranch_execz .LBB1501_36
.LBB1501_34:                            ; =>This Inner Loop Header: Depth=1
	global_load_dword v10, v[4:5], off
	global_load_dword v11, v[8:9], off
	s_andn2_b64 s[40:41], s[0:1], exec
	s_andn2_b64 s[34:35], s[34:35], exec
	s_or_b64 s[30:31], s[30:31], exec
	s_waitcnt vmcnt(0)
	v_cmp_le_u32_e64 s[0:1], v10, v11
	v_cmp_lt_u32_e32 vcc, v10, v11
	s_and_b64 s[0:1], s[0:1], s[38:39]
	s_or_b64 s[42:43], vcc, s[0:1]
	s_and_b64 s[0:1], s[42:43], exec
	v_cmp_eq_u32_e64 s[2:3], v10, v11
	s_or_b64 s[0:1], s[40:41], s[0:1]
	s_and_saveexec_b64 s[40:41], s[2:3]
	s_cbranch_execz .LBB1501_33
; %bb.35:                               ;   in Loop: Header=BB1501_34 Depth=1
	s_add_u32 s36, s36, -1
	s_addc_u32 s37, s37, -1
	v_add_co_u32_e32 v4, vcc, 4, v4
	s_cmp_eq_u64 s[36:37], 0
	v_addc_co_u32_e32 v5, vcc, 0, v5, vcc
	s_cselect_b64 s[2:3], -1, 0
	v_add_co_u32_e32 v8, vcc, 4, v8
	s_andn2_b64 s[34:35], s[34:35], exec
	s_and_b64 s[38:39], s[42:43], exec
	s_andn2_b64 s[30:31], s[30:31], exec
	s_and_b64 s[2:3], s[2:3], exec
	v_addc_co_u32_e32 v9, vcc, 0, v9, vcc
	s_or_b64 s[34:35], s[34:35], s[38:39]
	s_andn2_b64 s[0:1], s[0:1], exec
	s_or_b64 s[30:31], s[30:31], s[2:3]
                                        ; implicit-def: $sgpr38_sgpr39
	s_branch .LBB1501_33
.LBB1501_36:
	s_or_b64 exec, exec, s[26:27]
	s_xor_b64 s[0:1], s[28:29], -1
	s_branch .LBB1501_38
.LBB1501_37:
	s_mov_b64 s[0:1], -1
.LBB1501_38:
	s_andn2_b64 s[2:3], s[12:13], exec
	s_and_b64 s[0:1], s[0:1], exec
	s_or_b64 s[12:13], s[2:3], s[0:1]
.LBB1501_39:
	s_or_b64 exec, exec, s[24:25]
	v_mov_b32_e32 v5, s33
	v_mov_b32_e32 v8, s9
	v_cndmask_b32_e64 v4, v15, v14, s[12:13]
	v_cndmask_b32_e64 v5, v5, v8, s[12:13]
	v_add_u32_e32 v8, 1, v4
	v_add_u32_e32 v4, -1, v5
	v_min_u32_e32 v4, v8, v4
	v_lshlrev_b32_e32 v4, 3, v4
	ds_read_b64 v[4:5], v4
	v_cndmask_b32_e64 v17, v8, v15, s[12:13]
	v_cndmask_b32_e64 v21, v14, v8, s[12:13]
	v_cmp_gt_u32_e32 vcc, s33, v17
	s_waitcnt lgkmcnt(0)
	v_cndmask_b32_e64 v10, v5, v7, s[12:13]
	v_cndmask_b32_e64 v11, v4, v6, s[12:13]
	;; [unrolled: 1-line block ×4, first 2 shown]
	s_and_saveexec_b64 s[24:25], vcc
	s_cbranch_execz .LBB1501_50
; %bb.40:
	v_cmp_gt_u32_e32 vcc, s9, v21
	s_mov_b64 s[0:1], 0
	s_and_saveexec_b64 s[22:23], vcc
	s_cbranch_execz .LBB1501_49
; %bb.41:
	s_andn2_b64 vcc, exec, s[6:7]
	s_cbranch_vccnz .LBB1501_47
; %bb.42:
	v_mul_lo_u32 v8, v10, s16
	v_mul_lo_u32 v9, v11, s17
	v_mad_u64_u32 v[4:5], s[0:1], v11, s16, 0
	v_add3_u32 v5, v5, v9, v8
	v_lshlrev_b64 v[4:5], 2, v[4:5]
	v_mov_b32_e32 v8, s19
	v_add_co_u32_e32 v4, vcc, s18, v4
	v_addc_co_u32_e32 v5, vcc, v8, v5, vcc
	v_mul_lo_u32 v14, v12, s16
	v_mul_lo_u32 v15, v13, s17
	v_mad_u64_u32 v[8:9], s[0:1], v13, s16, 0
	v_add3_u32 v9, v9, v15, v14
	v_lshlrev_b64 v[8:9], 2, v[8:9]
	v_mov_b32_e32 v14, s19
	v_add_co_u32_e32 v8, vcc, s18, v8
	v_addc_co_u32_e32 v9, vcc, v14, v9, vcc
	s_mov_b64 s[26:27], 0
	s_mov_b64 s[36:37], s[16:17]
                                        ; implicit-def: $sgpr28_sgpr29
                                        ; implicit-def: $sgpr30_sgpr31
                                        ; implicit-def: $sgpr0_sgpr1
                                        ; implicit-def: $sgpr34_sgpr35
                                        ; implicit-def: $sgpr38_sgpr39
	s_branch .LBB1501_44
.LBB1501_43:                            ;   in Loop: Header=BB1501_44 Depth=1
	s_or_b64 exec, exec, s[40:41]
	s_and_b64 s[2:3], exec, s[30:31]
	s_or_b64 s[26:27], s[2:3], s[26:27]
	s_andn2_b64 s[2:3], s[38:39], exec
	s_and_b64 s[38:39], s[34:35], exec
	s_or_b64 s[38:39], s[2:3], s[38:39]
	s_andn2_b64 s[2:3], s[28:29], exec
	s_and_b64 s[28:29], s[0:1], exec
	s_or_b64 s[28:29], s[2:3], s[28:29]
	s_andn2_b64 exec, exec, s[26:27]
	s_cbranch_execz .LBB1501_46
.LBB1501_44:                            ; =>This Inner Loop Header: Depth=1
	global_load_dword v14, v[4:5], off
	global_load_dword v15, v[8:9], off
	s_andn2_b64 s[40:41], s[0:1], exec
	s_andn2_b64 s[34:35], s[34:35], exec
	s_or_b64 s[30:31], s[30:31], exec
	s_waitcnt vmcnt(0)
	v_cmp_le_u32_e64 s[0:1], v14, v15
	v_cmp_lt_u32_e32 vcc, v14, v15
	s_and_b64 s[0:1], s[0:1], s[38:39]
	s_or_b64 s[42:43], vcc, s[0:1]
	s_and_b64 s[0:1], s[42:43], exec
	v_cmp_eq_u32_e64 s[2:3], v14, v15
	s_or_b64 s[0:1], s[40:41], s[0:1]
	s_and_saveexec_b64 s[40:41], s[2:3]
	s_cbranch_execz .LBB1501_43
; %bb.45:                               ;   in Loop: Header=BB1501_44 Depth=1
	s_add_u32 s36, s36, -1
	s_addc_u32 s37, s37, -1
	v_add_co_u32_e32 v4, vcc, 4, v4
	s_cmp_eq_u64 s[36:37], 0
	v_addc_co_u32_e32 v5, vcc, 0, v5, vcc
	s_cselect_b64 s[2:3], -1, 0
	v_add_co_u32_e32 v8, vcc, 4, v8
	s_andn2_b64 s[34:35], s[34:35], exec
	s_and_b64 s[38:39], s[42:43], exec
	s_andn2_b64 s[30:31], s[30:31], exec
	s_and_b64 s[2:3], s[2:3], exec
	v_addc_co_u32_e32 v9, vcc, 0, v9, vcc
	s_or_b64 s[34:35], s[34:35], s[38:39]
	s_andn2_b64 s[0:1], s[0:1], exec
	s_or_b64 s[30:31], s[30:31], s[2:3]
                                        ; implicit-def: $sgpr38_sgpr39
	s_branch .LBB1501_43
.LBB1501_46:
	s_or_b64 exec, exec, s[26:27]
	s_xor_b64 s[0:1], s[28:29], -1
	s_branch .LBB1501_48
.LBB1501_47:
	s_mov_b64 s[0:1], -1
.LBB1501_48:
	s_and_b64 s[0:1], s[0:1], exec
.LBB1501_49:
	s_or_b64 exec, exec, s[22:23]
	s_orn2_b64 s[22:23], s[0:1], exec
.LBB1501_50:
	s_or_b64 exec, exec, s[24:25]
	v_mov_b32_e32 v5, s33
	v_mov_b32_e32 v8, s9
	v_cndmask_b32_e64 v4, v17, v21, s[22:23]
	v_cndmask_b32_e64 v5, v5, v8, s[22:23]
	v_add_u32_e32 v8, 1, v4
	v_add_u32_e32 v4, -1, v5
	v_min_u32_e32 v4, v8, v4
	v_lshlrev_b32_e32 v4, 3, v4
	ds_read_b64 v[4:5], v4
	v_cndmask_b32_e64 v18, v8, v17, s[22:23]
	v_cndmask_b32_e64 v17, v21, v8, s[22:23]
	v_cmp_gt_u32_e32 vcc, s33, v18
	s_mov_b64 s[0:1], -1
	s_waitcnt lgkmcnt(0)
	v_cndmask_b32_e64 v14, v5, v10, s[22:23]
	v_cndmask_b32_e64 v15, v4, v11, s[22:23]
	;; [unrolled: 1-line block ×4, first 2 shown]
	s_and_saveexec_b64 s[24:25], vcc
	s_cbranch_execz .LBB1501_61
; %bb.51:
	v_cmp_gt_u32_e32 vcc, s9, v17
	s_mov_b64 s[0:1], 0
	s_and_saveexec_b64 s[26:27], vcc
	s_cbranch_execz .LBB1501_60
; %bb.52:
	s_andn2_b64 vcc, exec, s[6:7]
	s_cbranch_vccnz .LBB1501_58
; %bb.53:
	v_mul_lo_u32 v8, v14, s16
	v_mul_lo_u32 v9, v15, s17
	v_mad_u64_u32 v[4:5], s[0:1], v15, s16, 0
	v_add3_u32 v5, v5, v9, v8
	v_lshlrev_b64 v[4:5], 2, v[4:5]
	v_mov_b32_e32 v8, s19
	v_add_co_u32_e32 v4, vcc, s18, v4
	v_addc_co_u32_e32 v5, vcc, v8, v5, vcc
	v_mul_lo_u32 v21, v19, s16
	v_mul_lo_u32 v22, v20, s17
	v_mad_u64_u32 v[8:9], s[0:1], v20, s16, 0
	v_add3_u32 v9, v9, v22, v21
	v_lshlrev_b64 v[8:9], 2, v[8:9]
	v_mov_b32_e32 v21, s19
	v_add_co_u32_e32 v8, vcc, s18, v8
	v_addc_co_u32_e32 v9, vcc, v21, v9, vcc
	s_mov_b64 s[28:29], 0
	s_mov_b64 s[38:39], s[16:17]
                                        ; implicit-def: $sgpr30_sgpr31
                                        ; implicit-def: $sgpr34_sgpr35
                                        ; implicit-def: $sgpr0_sgpr1
                                        ; implicit-def: $sgpr36_sgpr37
                                        ; implicit-def: $sgpr40_sgpr41
	s_branch .LBB1501_55
.LBB1501_54:                            ;   in Loop: Header=BB1501_55 Depth=1
	s_or_b64 exec, exec, s[42:43]
	s_and_b64 s[2:3], exec, s[34:35]
	s_or_b64 s[28:29], s[2:3], s[28:29]
	s_andn2_b64 s[2:3], s[40:41], exec
	s_and_b64 s[40:41], s[36:37], exec
	s_or_b64 s[40:41], s[2:3], s[40:41]
	s_andn2_b64 s[2:3], s[30:31], exec
	s_and_b64 s[30:31], s[0:1], exec
	s_or_b64 s[30:31], s[2:3], s[30:31]
	s_andn2_b64 exec, exec, s[28:29]
	s_cbranch_execz .LBB1501_57
.LBB1501_55:                            ; =>This Inner Loop Header: Depth=1
	global_load_dword v21, v[4:5], off
	global_load_dword v22, v[8:9], off
	s_andn2_b64 s[42:43], s[0:1], exec
	s_andn2_b64 s[36:37], s[36:37], exec
	s_or_b64 s[34:35], s[34:35], exec
	s_waitcnt vmcnt(0)
	v_cmp_le_u32_e64 s[0:1], v21, v22
	v_cmp_lt_u32_e32 vcc, v21, v22
	s_and_b64 s[0:1], s[0:1], s[40:41]
	s_or_b64 s[44:45], vcc, s[0:1]
	s_and_b64 s[0:1], s[44:45], exec
	v_cmp_eq_u32_e64 s[2:3], v21, v22
	s_or_b64 s[0:1], s[42:43], s[0:1]
	s_and_saveexec_b64 s[42:43], s[2:3]
	s_cbranch_execz .LBB1501_54
; %bb.56:                               ;   in Loop: Header=BB1501_55 Depth=1
	s_add_u32 s38, s38, -1
	s_addc_u32 s39, s39, -1
	v_add_co_u32_e32 v4, vcc, 4, v4
	s_cmp_eq_u64 s[38:39], 0
	v_addc_co_u32_e32 v5, vcc, 0, v5, vcc
	s_cselect_b64 s[2:3], -1, 0
	v_add_co_u32_e32 v8, vcc, 4, v8
	s_andn2_b64 s[36:37], s[36:37], exec
	s_and_b64 s[40:41], s[44:45], exec
	s_andn2_b64 s[34:35], s[34:35], exec
	s_and_b64 s[2:3], s[2:3], exec
	v_addc_co_u32_e32 v9, vcc, 0, v9, vcc
	s_or_b64 s[36:37], s[36:37], s[40:41]
	s_andn2_b64 s[0:1], s[0:1], exec
	s_or_b64 s[34:35], s[34:35], s[2:3]
                                        ; implicit-def: $sgpr40_sgpr41
	s_branch .LBB1501_54
.LBB1501_57:
	s_or_b64 exec, exec, s[28:29]
	s_xor_b64 s[0:1], s[30:31], -1
	s_branch .LBB1501_59
.LBB1501_58:
	s_mov_b64 s[0:1], -1
.LBB1501_59:
	s_and_b64 s[0:1], s[0:1], exec
.LBB1501_60:
	s_or_b64 exec, exec, s[26:27]
	s_orn2_b64 s[0:1], s[0:1], exec
.LBB1501_61:
	s_or_b64 exec, exec, s[24:25]
	v_cndmask_b32_e64 v5, v10, v12, s[22:23]
	v_mov_b32_e32 v9, s33
	v_mov_b32_e32 v10, s9
	v_cndmask_b32_e64 v8, v18, v17, s[0:1]
	v_cndmask_b32_e64 v9, v9, v10, s[0:1]
	v_add_u32_e32 v12, 1, v8
	v_add_u32_e32 v8, -1, v9
	v_min_u32_e32 v8, v12, v8
	v_lshlrev_b32_e32 v8, 3, v8
	v_cndmask_b32_e64 v4, v11, v13, s[22:23]
	ds_read_b64 v[10:11], v8
	v_cndmask_b32_e64 v13, v12, v18, s[0:1]
	v_cndmask_b32_e64 v3, v7, v3, s[12:13]
	;; [unrolled: 1-line block ×5, first 2 shown]
	s_waitcnt lgkmcnt(0)
	v_cndmask_b32_e64 v9, v19, v11, s[0:1]
	v_cndmask_b32_e64 v8, v20, v10, s[0:1]
	v_cmp_gt_u32_e32 vcc, s33, v13
	s_and_saveexec_b64 s[12:13], vcc
	s_cbranch_execz .LBB1501_71
; %bb.62:
	v_cndmask_b32_e64 v12, v17, v12, s[0:1]
	v_cndmask_b32_e64 v11, v11, v14, s[0:1]
	;; [unrolled: 1-line block ×3, first 2 shown]
	v_cmp_gt_u32_e32 vcc, s9, v12
	s_and_saveexec_b64 s[22:23], vcc
	s_cbranch_execz .LBB1501_70
; %bb.63:
	s_andn2_b64 vcc, exec, s[6:7]
	s_cbranch_vccnz .LBB1501_69
; %bb.64:
	v_mul_lo_u32 v14, v11, s16
	v_mul_lo_u32 v15, v10, s17
	v_mad_u64_u32 v[12:13], s[0:1], v10, s16, 0
	v_add3_u32 v13, v13, v15, v14
	v_lshlrev_b64 v[12:13], 2, v[12:13]
	v_mov_b32_e32 v14, s19
	v_add_co_u32_e32 v12, vcc, s18, v12
	v_addc_co_u32_e32 v13, vcc, v14, v13, vcc
	v_mul_lo_u32 v17, v9, s16
	v_mul_lo_u32 v18, v8, s17
	v_mad_u64_u32 v[14:15], s[0:1], v8, s16, 0
	v_add3_u32 v15, v15, v18, v17
	v_lshlrev_b64 v[14:15], 2, v[14:15]
	v_mov_b32_e32 v17, s19
	v_add_co_u32_e32 v14, vcc, s18, v14
	v_addc_co_u32_e32 v15, vcc, v17, v15, vcc
	s_mov_b64 s[6:7], 0
                                        ; implicit-def: $sgpr18_sgpr19
                                        ; implicit-def: $sgpr24_sgpr25
                                        ; implicit-def: $sgpr0_sgpr1
                                        ; implicit-def: $sgpr26_sgpr27
                                        ; implicit-def: $sgpr28_sgpr29
	s_branch .LBB1501_66
.LBB1501_65:                            ;   in Loop: Header=BB1501_66 Depth=1
	s_or_b64 exec, exec, s[30:31]
	s_and_b64 s[2:3], exec, s[24:25]
	s_or_b64 s[6:7], s[2:3], s[6:7]
	s_andn2_b64 s[2:3], s[28:29], exec
	s_and_b64 s[28:29], s[26:27], exec
	s_or_b64 s[28:29], s[2:3], s[28:29]
	s_andn2_b64 s[2:3], s[18:19], exec
	s_and_b64 s[18:19], s[0:1], exec
	s_or_b64 s[18:19], s[2:3], s[18:19]
	s_andn2_b64 exec, exec, s[6:7]
	s_cbranch_execz .LBB1501_68
.LBB1501_66:                            ; =>This Inner Loop Header: Depth=1
	global_load_dword v17, v[12:13], off
	global_load_dword v18, v[14:15], off
	s_andn2_b64 s[30:31], s[0:1], exec
	s_andn2_b64 s[26:27], s[26:27], exec
	s_or_b64 s[24:25], s[24:25], exec
	s_waitcnt vmcnt(0)
	v_cmp_le_u32_e64 s[0:1], v17, v18
	v_cmp_lt_u32_e32 vcc, v17, v18
	s_and_b64 s[0:1], s[0:1], s[28:29]
	s_or_b64 s[34:35], vcc, s[0:1]
	s_and_b64 s[0:1], s[34:35], exec
	v_cmp_eq_u32_e64 s[2:3], v17, v18
	s_or_b64 s[0:1], s[30:31], s[0:1]
	s_and_saveexec_b64 s[30:31], s[2:3]
	s_cbranch_execz .LBB1501_65
; %bb.67:                               ;   in Loop: Header=BB1501_66 Depth=1
	s_add_u32 s16, s16, -1
	s_addc_u32 s17, s17, -1
	v_add_co_u32_e32 v12, vcc, 4, v12
	s_cmp_eq_u64 s[16:17], 0
	v_addc_co_u32_e32 v13, vcc, 0, v13, vcc
	s_cselect_b64 s[2:3], -1, 0
	v_add_co_u32_e32 v14, vcc, 4, v14
	s_andn2_b64 s[26:27], s[26:27], exec
	s_and_b64 s[28:29], s[34:35], exec
	s_andn2_b64 s[24:25], s[24:25], exec
	s_and_b64 s[2:3], s[2:3], exec
	v_addc_co_u32_e32 v15, vcc, 0, v15, vcc
	s_or_b64 s[26:27], s[26:27], s[28:29]
	s_andn2_b64 s[0:1], s[0:1], exec
	s_or_b64 s[24:25], s[24:25], s[2:3]
                                        ; implicit-def: $sgpr28_sgpr29
	s_branch .LBB1501_65
.LBB1501_68:
	s_or_b64 exec, exec, s[6:7]
	v_cndmask_b32_e64 v9, v9, v11, s[18:19]
	v_cndmask_b32_e64 v8, v8, v10, s[18:19]
.LBB1501_69:
	v_pk_mov_b32 v[10:11], v[8:9], v[8:9] op_sel:[0,1]
.LBB1501_70:
	s_or_b64 exec, exec, s[22:23]
	v_pk_mov_b32 v[8:9], v[10:11], v[10:11] op_sel:[0,1]
.LBB1501_71:
	s_or_b64 exec, exec, s[12:13]
.LBB1501_72:
	s_or_b64 exec, exec, s[4:5]
	v_and_b32_e32 v10, 0xf8, v0
	v_lshl_add_u32 v10, v16, 3, v10
	s_barrier
	s_barrier
	ds_write2_b64 v10, v[2:3], v[4:5] offset1:1
	ds_write2_b64 v10, v[6:7], v[8:9] offset0:2 offset1:3
	v_lshrrev_b32_e32 v2, 2, v0
	v_and_b32_e32 v2, 56, v2
	v_or_b32_e32 v12, 0x100, v0
	v_add_u32_e32 v13, v1, v2
	v_lshrrev_b32_e32 v2, 2, v12
	v_and_b32_e32 v2, 0x78, v2
	v_or_b32_e32 v11, 0x200, v0
	v_add_u32_e32 v6, v1, v2
	v_lshrrev_b32_e32 v2, 2, v11
	s_lshl_b64 s[0:1], s[20:21], 3
	v_and_b32_e32 v2, 0xb8, v2
	v_or_b32_e32 v10, 0x300, v0
	s_add_u32 s0, s14, s0
	v_add_u32_e32 v7, v1, v2
	v_lshrrev_b32_e32 v2, 2, v10
	s_addc_u32 s1, s15, s1
	v_and_b32_e32 v2, 0xf8, v2
	v_add_u32_e32 v14, v1, v2
	v_mov_b32_e32 v3, s1
	v_add_co_u32_e32 v2, vcc, s0, v1
	v_addc_co_u32_e32 v3, vcc, 0, v3, vcc
	s_and_b64 vcc, exec, s[10:11]
	s_waitcnt lgkmcnt(0)
	s_cbranch_vccz .LBB1501_74
; %bb.73:
	s_barrier
	ds_read_b64 v[8:9], v13
	ds_read_b64 v[16:17], v6 offset:2048
	ds_read_b64 v[18:19], v7 offset:4096
	ds_read_b64 v[4:5], v14 offset:6144
	s_waitcnt lgkmcnt(3)
	global_store_dwordx2 v[2:3], v[8:9], off
	s_waitcnt lgkmcnt(2)
	global_store_dwordx2 v[2:3], v[16:17], off offset:2048
	v_add_co_u32_e32 v8, vcc, 0x1000, v2
	v_addc_co_u32_e32 v9, vcc, 0, v3, vcc
	s_waitcnt lgkmcnt(1)
	global_store_dwordx2 v[8:9], v[18:19], off
	s_mov_b64 s[0:1], -1
	s_cbranch_execz .LBB1501_75
	s_branch .LBB1501_80
.LBB1501_74:
	s_mov_b64 s[0:1], 0
                                        ; implicit-def: $vgpr4_vgpr5
.LBB1501_75:
	s_barrier
	s_waitcnt lgkmcnt(0)
	ds_read_b64 v[8:9], v6 offset:2048
	ds_read_b64 v[6:7], v7 offset:4096
	;; [unrolled: 1-line block ×3, first 2 shown]
	s_sub_i32 s2, s8, s20
	v_cmp_gt_u32_e32 vcc, s2, v0
	s_and_saveexec_b64 s[0:1], vcc
	s_cbranch_execnz .LBB1501_83
; %bb.76:
	s_or_b64 exec, exec, s[0:1]
	v_cmp_gt_u32_e32 vcc, s2, v12
	s_and_saveexec_b64 s[0:1], vcc
	s_cbranch_execnz .LBB1501_84
.LBB1501_77:
	s_or_b64 exec, exec, s[0:1]
	v_cmp_gt_u32_e32 vcc, s2, v11
	s_and_saveexec_b64 s[0:1], vcc
	s_cbranch_execz .LBB1501_79
.LBB1501_78:
	v_add_co_u32_e32 v0, vcc, 0x1000, v2
	v_addc_co_u32_e32 v1, vcc, 0, v3, vcc
	s_waitcnt lgkmcnt(1)
	global_store_dwordx2 v[0:1], v[6:7], off
.LBB1501_79:
	s_or_b64 exec, exec, s[0:1]
	v_cmp_gt_u32_e64 s[0:1], s2, v10
.LBB1501_80:
	s_and_saveexec_b64 s[2:3], s[0:1]
	s_cbranch_execz .LBB1501_82
; %bb.81:
	v_add_co_u32_e32 v0, vcc, 0x1000, v2
	v_addc_co_u32_e32 v1, vcc, 0, v3, vcc
	s_waitcnt lgkmcnt(0)
	global_store_dwordx2 v[0:1], v[4:5], off offset:2048
.LBB1501_82:
	s_endpgm
.LBB1501_83:
	ds_read_b64 v[0:1], v13
	s_waitcnt lgkmcnt(0)
	global_store_dwordx2 v[2:3], v[0:1], off
	s_or_b64 exec, exec, s[0:1]
	v_cmp_gt_u32_e32 vcc, s2, v12
	s_and_saveexec_b64 s[0:1], vcc
	s_cbranch_execz .LBB1501_77
.LBB1501_84:
	s_waitcnt lgkmcnt(2)
	global_store_dwordx2 v[2:3], v[8:9], off offset:2048
	s_or_b64 exec, exec, s[0:1]
	v_cmp_gt_u32_e32 vcc, s2, v11
	s_and_saveexec_b64 s[0:1], vcc
	s_cbranch_execnz .LBB1501_78
	s_branch .LBB1501_79
	.section	.rodata,"a",@progbits
	.p2align	6, 0x0
	.amdhsa_kernel _ZN7rocprim17ROCPRIM_400000_NS6detail17trampoline_kernelINS0_14default_configENS1_38merge_sort_block_merge_config_selectorIlNS0_10empty_typeEEEZZNS1_27merge_sort_block_merge_implIS3_PlPS5_mZN2at6native12_GLOBAL__N_124unique_dim_cuda_templateIjEESt5tupleIJNSA_6TensorESF_SF_EERKSF_lbbbEUlllE_EE10hipError_tT0_T1_T2_jT3_P12ihipStream_tbPNSt15iterator_traitsISL_E10value_typeEPNSR_ISM_E10value_typeEPSN_NS1_7vsmem_tEENKUlT_SL_SM_SN_E_clIS8_S8_S9_S9_EESK_S10_SL_SM_SN_EUlS10_E0_NS1_11comp_targetILNS1_3genE4ELNS1_11target_archE910ELNS1_3gpuE8ELNS1_3repE0EEENS1_38merge_mergepath_config_static_selectorELNS0_4arch9wavefront6targetE1EEEvSM_
		.amdhsa_group_segment_fixed_size 8448
		.amdhsa_private_segment_fixed_size 0
		.amdhsa_kernarg_size 344
		.amdhsa_user_sgpr_count 6
		.amdhsa_user_sgpr_private_segment_buffer 1
		.amdhsa_user_sgpr_dispatch_ptr 0
		.amdhsa_user_sgpr_queue_ptr 0
		.amdhsa_user_sgpr_kernarg_segment_ptr 1
		.amdhsa_user_sgpr_dispatch_id 0
		.amdhsa_user_sgpr_flat_scratch_init 0
		.amdhsa_user_sgpr_kernarg_preload_length 0
		.amdhsa_user_sgpr_kernarg_preload_offset 0
		.amdhsa_user_sgpr_private_segment_size 0
		.amdhsa_uses_dynamic_stack 0
		.amdhsa_system_sgpr_private_segment_wavefront_offset 0
		.amdhsa_system_sgpr_workgroup_id_x 1
		.amdhsa_system_sgpr_workgroup_id_y 1
		.amdhsa_system_sgpr_workgroup_id_z 1
		.amdhsa_system_sgpr_workgroup_info 0
		.amdhsa_system_vgpr_workitem_id 0
		.amdhsa_next_free_vgpr 24
		.amdhsa_next_free_sgpr 46
		.amdhsa_accum_offset 24
		.amdhsa_reserve_vcc 1
		.amdhsa_reserve_flat_scratch 0
		.amdhsa_float_round_mode_32 0
		.amdhsa_float_round_mode_16_64 0
		.amdhsa_float_denorm_mode_32 3
		.amdhsa_float_denorm_mode_16_64 3
		.amdhsa_dx10_clamp 1
		.amdhsa_ieee_mode 1
		.amdhsa_fp16_overflow 0
		.amdhsa_tg_split 0
		.amdhsa_exception_fp_ieee_invalid_op 0
		.amdhsa_exception_fp_denorm_src 0
		.amdhsa_exception_fp_ieee_div_zero 0
		.amdhsa_exception_fp_ieee_overflow 0
		.amdhsa_exception_fp_ieee_underflow 0
		.amdhsa_exception_fp_ieee_inexact 0
		.amdhsa_exception_int_div_zero 0
	.end_amdhsa_kernel
	.section	.text._ZN7rocprim17ROCPRIM_400000_NS6detail17trampoline_kernelINS0_14default_configENS1_38merge_sort_block_merge_config_selectorIlNS0_10empty_typeEEEZZNS1_27merge_sort_block_merge_implIS3_PlPS5_mZN2at6native12_GLOBAL__N_124unique_dim_cuda_templateIjEESt5tupleIJNSA_6TensorESF_SF_EERKSF_lbbbEUlllE_EE10hipError_tT0_T1_T2_jT3_P12ihipStream_tbPNSt15iterator_traitsISL_E10value_typeEPNSR_ISM_E10value_typeEPSN_NS1_7vsmem_tEENKUlT_SL_SM_SN_E_clIS8_S8_S9_S9_EESK_S10_SL_SM_SN_EUlS10_E0_NS1_11comp_targetILNS1_3genE4ELNS1_11target_archE910ELNS1_3gpuE8ELNS1_3repE0EEENS1_38merge_mergepath_config_static_selectorELNS0_4arch9wavefront6targetE1EEEvSM_,"axG",@progbits,_ZN7rocprim17ROCPRIM_400000_NS6detail17trampoline_kernelINS0_14default_configENS1_38merge_sort_block_merge_config_selectorIlNS0_10empty_typeEEEZZNS1_27merge_sort_block_merge_implIS3_PlPS5_mZN2at6native12_GLOBAL__N_124unique_dim_cuda_templateIjEESt5tupleIJNSA_6TensorESF_SF_EERKSF_lbbbEUlllE_EE10hipError_tT0_T1_T2_jT3_P12ihipStream_tbPNSt15iterator_traitsISL_E10value_typeEPNSR_ISM_E10value_typeEPSN_NS1_7vsmem_tEENKUlT_SL_SM_SN_E_clIS8_S8_S9_S9_EESK_S10_SL_SM_SN_EUlS10_E0_NS1_11comp_targetILNS1_3genE4ELNS1_11target_archE910ELNS1_3gpuE8ELNS1_3repE0EEENS1_38merge_mergepath_config_static_selectorELNS0_4arch9wavefront6targetE1EEEvSM_,comdat
.Lfunc_end1501:
	.size	_ZN7rocprim17ROCPRIM_400000_NS6detail17trampoline_kernelINS0_14default_configENS1_38merge_sort_block_merge_config_selectorIlNS0_10empty_typeEEEZZNS1_27merge_sort_block_merge_implIS3_PlPS5_mZN2at6native12_GLOBAL__N_124unique_dim_cuda_templateIjEESt5tupleIJNSA_6TensorESF_SF_EERKSF_lbbbEUlllE_EE10hipError_tT0_T1_T2_jT3_P12ihipStream_tbPNSt15iterator_traitsISL_E10value_typeEPNSR_ISM_E10value_typeEPSN_NS1_7vsmem_tEENKUlT_SL_SM_SN_E_clIS8_S8_S9_S9_EESK_S10_SL_SM_SN_EUlS10_E0_NS1_11comp_targetILNS1_3genE4ELNS1_11target_archE910ELNS1_3gpuE8ELNS1_3repE0EEENS1_38merge_mergepath_config_static_selectorELNS0_4arch9wavefront6targetE1EEEvSM_, .Lfunc_end1501-_ZN7rocprim17ROCPRIM_400000_NS6detail17trampoline_kernelINS0_14default_configENS1_38merge_sort_block_merge_config_selectorIlNS0_10empty_typeEEEZZNS1_27merge_sort_block_merge_implIS3_PlPS5_mZN2at6native12_GLOBAL__N_124unique_dim_cuda_templateIjEESt5tupleIJNSA_6TensorESF_SF_EERKSF_lbbbEUlllE_EE10hipError_tT0_T1_T2_jT3_P12ihipStream_tbPNSt15iterator_traitsISL_E10value_typeEPNSR_ISM_E10value_typeEPSN_NS1_7vsmem_tEENKUlT_SL_SM_SN_E_clIS8_S8_S9_S9_EESK_S10_SL_SM_SN_EUlS10_E0_NS1_11comp_targetILNS1_3genE4ELNS1_11target_archE910ELNS1_3gpuE8ELNS1_3repE0EEENS1_38merge_mergepath_config_static_selectorELNS0_4arch9wavefront6targetE1EEEvSM_
                                        ; -- End function
	.section	.AMDGPU.csdata,"",@progbits
; Kernel info:
; codeLenInByte = 4044
; NumSgprs: 50
; NumVgprs: 24
; NumAgprs: 0
; TotalNumVgprs: 24
; ScratchSize: 0
; MemoryBound: 0
; FloatMode: 240
; IeeeMode: 1
; LDSByteSize: 8448 bytes/workgroup (compile time only)
; SGPRBlocks: 6
; VGPRBlocks: 2
; NumSGPRsForWavesPerEU: 50
; NumVGPRsForWavesPerEU: 24
; AccumOffset: 24
; Occupancy: 7
; WaveLimiterHint : 1
; COMPUTE_PGM_RSRC2:SCRATCH_EN: 0
; COMPUTE_PGM_RSRC2:USER_SGPR: 6
; COMPUTE_PGM_RSRC2:TRAP_HANDLER: 0
; COMPUTE_PGM_RSRC2:TGID_X_EN: 1
; COMPUTE_PGM_RSRC2:TGID_Y_EN: 1
; COMPUTE_PGM_RSRC2:TGID_Z_EN: 1
; COMPUTE_PGM_RSRC2:TIDIG_COMP_CNT: 0
; COMPUTE_PGM_RSRC3_GFX90A:ACCUM_OFFSET: 5
; COMPUTE_PGM_RSRC3_GFX90A:TG_SPLIT: 0
	.section	.text._ZN7rocprim17ROCPRIM_400000_NS6detail17trampoline_kernelINS0_14default_configENS1_38merge_sort_block_merge_config_selectorIlNS0_10empty_typeEEEZZNS1_27merge_sort_block_merge_implIS3_PlPS5_mZN2at6native12_GLOBAL__N_124unique_dim_cuda_templateIjEESt5tupleIJNSA_6TensorESF_SF_EERKSF_lbbbEUlllE_EE10hipError_tT0_T1_T2_jT3_P12ihipStream_tbPNSt15iterator_traitsISL_E10value_typeEPNSR_ISM_E10value_typeEPSN_NS1_7vsmem_tEENKUlT_SL_SM_SN_E_clIS8_S8_S9_S9_EESK_S10_SL_SM_SN_EUlS10_E0_NS1_11comp_targetILNS1_3genE3ELNS1_11target_archE908ELNS1_3gpuE7ELNS1_3repE0EEENS1_38merge_mergepath_config_static_selectorELNS0_4arch9wavefront6targetE1EEEvSM_,"axG",@progbits,_ZN7rocprim17ROCPRIM_400000_NS6detail17trampoline_kernelINS0_14default_configENS1_38merge_sort_block_merge_config_selectorIlNS0_10empty_typeEEEZZNS1_27merge_sort_block_merge_implIS3_PlPS5_mZN2at6native12_GLOBAL__N_124unique_dim_cuda_templateIjEESt5tupleIJNSA_6TensorESF_SF_EERKSF_lbbbEUlllE_EE10hipError_tT0_T1_T2_jT3_P12ihipStream_tbPNSt15iterator_traitsISL_E10value_typeEPNSR_ISM_E10value_typeEPSN_NS1_7vsmem_tEENKUlT_SL_SM_SN_E_clIS8_S8_S9_S9_EESK_S10_SL_SM_SN_EUlS10_E0_NS1_11comp_targetILNS1_3genE3ELNS1_11target_archE908ELNS1_3gpuE7ELNS1_3repE0EEENS1_38merge_mergepath_config_static_selectorELNS0_4arch9wavefront6targetE1EEEvSM_,comdat
	.globl	_ZN7rocprim17ROCPRIM_400000_NS6detail17trampoline_kernelINS0_14default_configENS1_38merge_sort_block_merge_config_selectorIlNS0_10empty_typeEEEZZNS1_27merge_sort_block_merge_implIS3_PlPS5_mZN2at6native12_GLOBAL__N_124unique_dim_cuda_templateIjEESt5tupleIJNSA_6TensorESF_SF_EERKSF_lbbbEUlllE_EE10hipError_tT0_T1_T2_jT3_P12ihipStream_tbPNSt15iterator_traitsISL_E10value_typeEPNSR_ISM_E10value_typeEPSN_NS1_7vsmem_tEENKUlT_SL_SM_SN_E_clIS8_S8_S9_S9_EESK_S10_SL_SM_SN_EUlS10_E0_NS1_11comp_targetILNS1_3genE3ELNS1_11target_archE908ELNS1_3gpuE7ELNS1_3repE0EEENS1_38merge_mergepath_config_static_selectorELNS0_4arch9wavefront6targetE1EEEvSM_ ; -- Begin function _ZN7rocprim17ROCPRIM_400000_NS6detail17trampoline_kernelINS0_14default_configENS1_38merge_sort_block_merge_config_selectorIlNS0_10empty_typeEEEZZNS1_27merge_sort_block_merge_implIS3_PlPS5_mZN2at6native12_GLOBAL__N_124unique_dim_cuda_templateIjEESt5tupleIJNSA_6TensorESF_SF_EERKSF_lbbbEUlllE_EE10hipError_tT0_T1_T2_jT3_P12ihipStream_tbPNSt15iterator_traitsISL_E10value_typeEPNSR_ISM_E10value_typeEPSN_NS1_7vsmem_tEENKUlT_SL_SM_SN_E_clIS8_S8_S9_S9_EESK_S10_SL_SM_SN_EUlS10_E0_NS1_11comp_targetILNS1_3genE3ELNS1_11target_archE908ELNS1_3gpuE7ELNS1_3repE0EEENS1_38merge_mergepath_config_static_selectorELNS0_4arch9wavefront6targetE1EEEvSM_
	.p2align	8
	.type	_ZN7rocprim17ROCPRIM_400000_NS6detail17trampoline_kernelINS0_14default_configENS1_38merge_sort_block_merge_config_selectorIlNS0_10empty_typeEEEZZNS1_27merge_sort_block_merge_implIS3_PlPS5_mZN2at6native12_GLOBAL__N_124unique_dim_cuda_templateIjEESt5tupleIJNSA_6TensorESF_SF_EERKSF_lbbbEUlllE_EE10hipError_tT0_T1_T2_jT3_P12ihipStream_tbPNSt15iterator_traitsISL_E10value_typeEPNSR_ISM_E10value_typeEPSN_NS1_7vsmem_tEENKUlT_SL_SM_SN_E_clIS8_S8_S9_S9_EESK_S10_SL_SM_SN_EUlS10_E0_NS1_11comp_targetILNS1_3genE3ELNS1_11target_archE908ELNS1_3gpuE7ELNS1_3repE0EEENS1_38merge_mergepath_config_static_selectorELNS0_4arch9wavefront6targetE1EEEvSM_,@function
_ZN7rocprim17ROCPRIM_400000_NS6detail17trampoline_kernelINS0_14default_configENS1_38merge_sort_block_merge_config_selectorIlNS0_10empty_typeEEEZZNS1_27merge_sort_block_merge_implIS3_PlPS5_mZN2at6native12_GLOBAL__N_124unique_dim_cuda_templateIjEESt5tupleIJNSA_6TensorESF_SF_EERKSF_lbbbEUlllE_EE10hipError_tT0_T1_T2_jT3_P12ihipStream_tbPNSt15iterator_traitsISL_E10value_typeEPNSR_ISM_E10value_typeEPSN_NS1_7vsmem_tEENKUlT_SL_SM_SN_E_clIS8_S8_S9_S9_EESK_S10_SL_SM_SN_EUlS10_E0_NS1_11comp_targetILNS1_3genE3ELNS1_11target_archE908ELNS1_3gpuE7ELNS1_3repE0EEENS1_38merge_mergepath_config_static_selectorELNS0_4arch9wavefront6targetE1EEEvSM_: ; @_ZN7rocprim17ROCPRIM_400000_NS6detail17trampoline_kernelINS0_14default_configENS1_38merge_sort_block_merge_config_selectorIlNS0_10empty_typeEEEZZNS1_27merge_sort_block_merge_implIS3_PlPS5_mZN2at6native12_GLOBAL__N_124unique_dim_cuda_templateIjEESt5tupleIJNSA_6TensorESF_SF_EERKSF_lbbbEUlllE_EE10hipError_tT0_T1_T2_jT3_P12ihipStream_tbPNSt15iterator_traitsISL_E10value_typeEPNSR_ISM_E10value_typeEPSN_NS1_7vsmem_tEENKUlT_SL_SM_SN_E_clIS8_S8_S9_S9_EESK_S10_SL_SM_SN_EUlS10_E0_NS1_11comp_targetILNS1_3genE3ELNS1_11target_archE908ELNS1_3gpuE7ELNS1_3repE0EEENS1_38merge_mergepath_config_static_selectorELNS0_4arch9wavefront6targetE1EEEvSM_
; %bb.0:
	.section	.rodata,"a",@progbits
	.p2align	6, 0x0
	.amdhsa_kernel _ZN7rocprim17ROCPRIM_400000_NS6detail17trampoline_kernelINS0_14default_configENS1_38merge_sort_block_merge_config_selectorIlNS0_10empty_typeEEEZZNS1_27merge_sort_block_merge_implIS3_PlPS5_mZN2at6native12_GLOBAL__N_124unique_dim_cuda_templateIjEESt5tupleIJNSA_6TensorESF_SF_EERKSF_lbbbEUlllE_EE10hipError_tT0_T1_T2_jT3_P12ihipStream_tbPNSt15iterator_traitsISL_E10value_typeEPNSR_ISM_E10value_typeEPSN_NS1_7vsmem_tEENKUlT_SL_SM_SN_E_clIS8_S8_S9_S9_EESK_S10_SL_SM_SN_EUlS10_E0_NS1_11comp_targetILNS1_3genE3ELNS1_11target_archE908ELNS1_3gpuE7ELNS1_3repE0EEENS1_38merge_mergepath_config_static_selectorELNS0_4arch9wavefront6targetE1EEEvSM_
		.amdhsa_group_segment_fixed_size 0
		.amdhsa_private_segment_fixed_size 0
		.amdhsa_kernarg_size 88
		.amdhsa_user_sgpr_count 6
		.amdhsa_user_sgpr_private_segment_buffer 1
		.amdhsa_user_sgpr_dispatch_ptr 0
		.amdhsa_user_sgpr_queue_ptr 0
		.amdhsa_user_sgpr_kernarg_segment_ptr 1
		.amdhsa_user_sgpr_dispatch_id 0
		.amdhsa_user_sgpr_flat_scratch_init 0
		.amdhsa_user_sgpr_kernarg_preload_length 0
		.amdhsa_user_sgpr_kernarg_preload_offset 0
		.amdhsa_user_sgpr_private_segment_size 0
		.amdhsa_uses_dynamic_stack 0
		.amdhsa_system_sgpr_private_segment_wavefront_offset 0
		.amdhsa_system_sgpr_workgroup_id_x 1
		.amdhsa_system_sgpr_workgroup_id_y 0
		.amdhsa_system_sgpr_workgroup_id_z 0
		.amdhsa_system_sgpr_workgroup_info 0
		.amdhsa_system_vgpr_workitem_id 0
		.amdhsa_next_free_vgpr 1
		.amdhsa_next_free_sgpr 0
		.amdhsa_accum_offset 4
		.amdhsa_reserve_vcc 0
		.amdhsa_reserve_flat_scratch 0
		.amdhsa_float_round_mode_32 0
		.amdhsa_float_round_mode_16_64 0
		.amdhsa_float_denorm_mode_32 3
		.amdhsa_float_denorm_mode_16_64 3
		.amdhsa_dx10_clamp 1
		.amdhsa_ieee_mode 1
		.amdhsa_fp16_overflow 0
		.amdhsa_tg_split 0
		.amdhsa_exception_fp_ieee_invalid_op 0
		.amdhsa_exception_fp_denorm_src 0
		.amdhsa_exception_fp_ieee_div_zero 0
		.amdhsa_exception_fp_ieee_overflow 0
		.amdhsa_exception_fp_ieee_underflow 0
		.amdhsa_exception_fp_ieee_inexact 0
		.amdhsa_exception_int_div_zero 0
	.end_amdhsa_kernel
	.section	.text._ZN7rocprim17ROCPRIM_400000_NS6detail17trampoline_kernelINS0_14default_configENS1_38merge_sort_block_merge_config_selectorIlNS0_10empty_typeEEEZZNS1_27merge_sort_block_merge_implIS3_PlPS5_mZN2at6native12_GLOBAL__N_124unique_dim_cuda_templateIjEESt5tupleIJNSA_6TensorESF_SF_EERKSF_lbbbEUlllE_EE10hipError_tT0_T1_T2_jT3_P12ihipStream_tbPNSt15iterator_traitsISL_E10value_typeEPNSR_ISM_E10value_typeEPSN_NS1_7vsmem_tEENKUlT_SL_SM_SN_E_clIS8_S8_S9_S9_EESK_S10_SL_SM_SN_EUlS10_E0_NS1_11comp_targetILNS1_3genE3ELNS1_11target_archE908ELNS1_3gpuE7ELNS1_3repE0EEENS1_38merge_mergepath_config_static_selectorELNS0_4arch9wavefront6targetE1EEEvSM_,"axG",@progbits,_ZN7rocprim17ROCPRIM_400000_NS6detail17trampoline_kernelINS0_14default_configENS1_38merge_sort_block_merge_config_selectorIlNS0_10empty_typeEEEZZNS1_27merge_sort_block_merge_implIS3_PlPS5_mZN2at6native12_GLOBAL__N_124unique_dim_cuda_templateIjEESt5tupleIJNSA_6TensorESF_SF_EERKSF_lbbbEUlllE_EE10hipError_tT0_T1_T2_jT3_P12ihipStream_tbPNSt15iterator_traitsISL_E10value_typeEPNSR_ISM_E10value_typeEPSN_NS1_7vsmem_tEENKUlT_SL_SM_SN_E_clIS8_S8_S9_S9_EESK_S10_SL_SM_SN_EUlS10_E0_NS1_11comp_targetILNS1_3genE3ELNS1_11target_archE908ELNS1_3gpuE7ELNS1_3repE0EEENS1_38merge_mergepath_config_static_selectorELNS0_4arch9wavefront6targetE1EEEvSM_,comdat
.Lfunc_end1502:
	.size	_ZN7rocprim17ROCPRIM_400000_NS6detail17trampoline_kernelINS0_14default_configENS1_38merge_sort_block_merge_config_selectorIlNS0_10empty_typeEEEZZNS1_27merge_sort_block_merge_implIS3_PlPS5_mZN2at6native12_GLOBAL__N_124unique_dim_cuda_templateIjEESt5tupleIJNSA_6TensorESF_SF_EERKSF_lbbbEUlllE_EE10hipError_tT0_T1_T2_jT3_P12ihipStream_tbPNSt15iterator_traitsISL_E10value_typeEPNSR_ISM_E10value_typeEPSN_NS1_7vsmem_tEENKUlT_SL_SM_SN_E_clIS8_S8_S9_S9_EESK_S10_SL_SM_SN_EUlS10_E0_NS1_11comp_targetILNS1_3genE3ELNS1_11target_archE908ELNS1_3gpuE7ELNS1_3repE0EEENS1_38merge_mergepath_config_static_selectorELNS0_4arch9wavefront6targetE1EEEvSM_, .Lfunc_end1502-_ZN7rocprim17ROCPRIM_400000_NS6detail17trampoline_kernelINS0_14default_configENS1_38merge_sort_block_merge_config_selectorIlNS0_10empty_typeEEEZZNS1_27merge_sort_block_merge_implIS3_PlPS5_mZN2at6native12_GLOBAL__N_124unique_dim_cuda_templateIjEESt5tupleIJNSA_6TensorESF_SF_EERKSF_lbbbEUlllE_EE10hipError_tT0_T1_T2_jT3_P12ihipStream_tbPNSt15iterator_traitsISL_E10value_typeEPNSR_ISM_E10value_typeEPSN_NS1_7vsmem_tEENKUlT_SL_SM_SN_E_clIS8_S8_S9_S9_EESK_S10_SL_SM_SN_EUlS10_E0_NS1_11comp_targetILNS1_3genE3ELNS1_11target_archE908ELNS1_3gpuE7ELNS1_3repE0EEENS1_38merge_mergepath_config_static_selectorELNS0_4arch9wavefront6targetE1EEEvSM_
                                        ; -- End function
	.section	.AMDGPU.csdata,"",@progbits
; Kernel info:
; codeLenInByte = 0
; NumSgprs: 4
; NumVgprs: 0
; NumAgprs: 0
; TotalNumVgprs: 0
; ScratchSize: 0
; MemoryBound: 0
; FloatMode: 240
; IeeeMode: 1
; LDSByteSize: 0 bytes/workgroup (compile time only)
; SGPRBlocks: 0
; VGPRBlocks: 0
; NumSGPRsForWavesPerEU: 4
; NumVGPRsForWavesPerEU: 1
; AccumOffset: 4
; Occupancy: 8
; WaveLimiterHint : 0
; COMPUTE_PGM_RSRC2:SCRATCH_EN: 0
; COMPUTE_PGM_RSRC2:USER_SGPR: 6
; COMPUTE_PGM_RSRC2:TRAP_HANDLER: 0
; COMPUTE_PGM_RSRC2:TGID_X_EN: 1
; COMPUTE_PGM_RSRC2:TGID_Y_EN: 0
; COMPUTE_PGM_RSRC2:TGID_Z_EN: 0
; COMPUTE_PGM_RSRC2:TIDIG_COMP_CNT: 0
; COMPUTE_PGM_RSRC3_GFX90A:ACCUM_OFFSET: 0
; COMPUTE_PGM_RSRC3_GFX90A:TG_SPLIT: 0
	.section	.text._ZN7rocprim17ROCPRIM_400000_NS6detail17trampoline_kernelINS0_14default_configENS1_38merge_sort_block_merge_config_selectorIlNS0_10empty_typeEEEZZNS1_27merge_sort_block_merge_implIS3_PlPS5_mZN2at6native12_GLOBAL__N_124unique_dim_cuda_templateIjEESt5tupleIJNSA_6TensorESF_SF_EERKSF_lbbbEUlllE_EE10hipError_tT0_T1_T2_jT3_P12ihipStream_tbPNSt15iterator_traitsISL_E10value_typeEPNSR_ISM_E10value_typeEPSN_NS1_7vsmem_tEENKUlT_SL_SM_SN_E_clIS8_S8_S9_S9_EESK_S10_SL_SM_SN_EUlS10_E0_NS1_11comp_targetILNS1_3genE2ELNS1_11target_archE906ELNS1_3gpuE6ELNS1_3repE0EEENS1_38merge_mergepath_config_static_selectorELNS0_4arch9wavefront6targetE1EEEvSM_,"axG",@progbits,_ZN7rocprim17ROCPRIM_400000_NS6detail17trampoline_kernelINS0_14default_configENS1_38merge_sort_block_merge_config_selectorIlNS0_10empty_typeEEEZZNS1_27merge_sort_block_merge_implIS3_PlPS5_mZN2at6native12_GLOBAL__N_124unique_dim_cuda_templateIjEESt5tupleIJNSA_6TensorESF_SF_EERKSF_lbbbEUlllE_EE10hipError_tT0_T1_T2_jT3_P12ihipStream_tbPNSt15iterator_traitsISL_E10value_typeEPNSR_ISM_E10value_typeEPSN_NS1_7vsmem_tEENKUlT_SL_SM_SN_E_clIS8_S8_S9_S9_EESK_S10_SL_SM_SN_EUlS10_E0_NS1_11comp_targetILNS1_3genE2ELNS1_11target_archE906ELNS1_3gpuE6ELNS1_3repE0EEENS1_38merge_mergepath_config_static_selectorELNS0_4arch9wavefront6targetE1EEEvSM_,comdat
	.globl	_ZN7rocprim17ROCPRIM_400000_NS6detail17trampoline_kernelINS0_14default_configENS1_38merge_sort_block_merge_config_selectorIlNS0_10empty_typeEEEZZNS1_27merge_sort_block_merge_implIS3_PlPS5_mZN2at6native12_GLOBAL__N_124unique_dim_cuda_templateIjEESt5tupleIJNSA_6TensorESF_SF_EERKSF_lbbbEUlllE_EE10hipError_tT0_T1_T2_jT3_P12ihipStream_tbPNSt15iterator_traitsISL_E10value_typeEPNSR_ISM_E10value_typeEPSN_NS1_7vsmem_tEENKUlT_SL_SM_SN_E_clIS8_S8_S9_S9_EESK_S10_SL_SM_SN_EUlS10_E0_NS1_11comp_targetILNS1_3genE2ELNS1_11target_archE906ELNS1_3gpuE6ELNS1_3repE0EEENS1_38merge_mergepath_config_static_selectorELNS0_4arch9wavefront6targetE1EEEvSM_ ; -- Begin function _ZN7rocprim17ROCPRIM_400000_NS6detail17trampoline_kernelINS0_14default_configENS1_38merge_sort_block_merge_config_selectorIlNS0_10empty_typeEEEZZNS1_27merge_sort_block_merge_implIS3_PlPS5_mZN2at6native12_GLOBAL__N_124unique_dim_cuda_templateIjEESt5tupleIJNSA_6TensorESF_SF_EERKSF_lbbbEUlllE_EE10hipError_tT0_T1_T2_jT3_P12ihipStream_tbPNSt15iterator_traitsISL_E10value_typeEPNSR_ISM_E10value_typeEPSN_NS1_7vsmem_tEENKUlT_SL_SM_SN_E_clIS8_S8_S9_S9_EESK_S10_SL_SM_SN_EUlS10_E0_NS1_11comp_targetILNS1_3genE2ELNS1_11target_archE906ELNS1_3gpuE6ELNS1_3repE0EEENS1_38merge_mergepath_config_static_selectorELNS0_4arch9wavefront6targetE1EEEvSM_
	.p2align	8
	.type	_ZN7rocprim17ROCPRIM_400000_NS6detail17trampoline_kernelINS0_14default_configENS1_38merge_sort_block_merge_config_selectorIlNS0_10empty_typeEEEZZNS1_27merge_sort_block_merge_implIS3_PlPS5_mZN2at6native12_GLOBAL__N_124unique_dim_cuda_templateIjEESt5tupleIJNSA_6TensorESF_SF_EERKSF_lbbbEUlllE_EE10hipError_tT0_T1_T2_jT3_P12ihipStream_tbPNSt15iterator_traitsISL_E10value_typeEPNSR_ISM_E10value_typeEPSN_NS1_7vsmem_tEENKUlT_SL_SM_SN_E_clIS8_S8_S9_S9_EESK_S10_SL_SM_SN_EUlS10_E0_NS1_11comp_targetILNS1_3genE2ELNS1_11target_archE906ELNS1_3gpuE6ELNS1_3repE0EEENS1_38merge_mergepath_config_static_selectorELNS0_4arch9wavefront6targetE1EEEvSM_,@function
_ZN7rocprim17ROCPRIM_400000_NS6detail17trampoline_kernelINS0_14default_configENS1_38merge_sort_block_merge_config_selectorIlNS0_10empty_typeEEEZZNS1_27merge_sort_block_merge_implIS3_PlPS5_mZN2at6native12_GLOBAL__N_124unique_dim_cuda_templateIjEESt5tupleIJNSA_6TensorESF_SF_EERKSF_lbbbEUlllE_EE10hipError_tT0_T1_T2_jT3_P12ihipStream_tbPNSt15iterator_traitsISL_E10value_typeEPNSR_ISM_E10value_typeEPSN_NS1_7vsmem_tEENKUlT_SL_SM_SN_E_clIS8_S8_S9_S9_EESK_S10_SL_SM_SN_EUlS10_E0_NS1_11comp_targetILNS1_3genE2ELNS1_11target_archE906ELNS1_3gpuE6ELNS1_3repE0EEENS1_38merge_mergepath_config_static_selectorELNS0_4arch9wavefront6targetE1EEEvSM_: ; @_ZN7rocprim17ROCPRIM_400000_NS6detail17trampoline_kernelINS0_14default_configENS1_38merge_sort_block_merge_config_selectorIlNS0_10empty_typeEEEZZNS1_27merge_sort_block_merge_implIS3_PlPS5_mZN2at6native12_GLOBAL__N_124unique_dim_cuda_templateIjEESt5tupleIJNSA_6TensorESF_SF_EERKSF_lbbbEUlllE_EE10hipError_tT0_T1_T2_jT3_P12ihipStream_tbPNSt15iterator_traitsISL_E10value_typeEPNSR_ISM_E10value_typeEPSN_NS1_7vsmem_tEENKUlT_SL_SM_SN_E_clIS8_S8_S9_S9_EESK_S10_SL_SM_SN_EUlS10_E0_NS1_11comp_targetILNS1_3genE2ELNS1_11target_archE906ELNS1_3gpuE6ELNS1_3repE0EEENS1_38merge_mergepath_config_static_selectorELNS0_4arch9wavefront6targetE1EEEvSM_
; %bb.0:
	.section	.rodata,"a",@progbits
	.p2align	6, 0x0
	.amdhsa_kernel _ZN7rocprim17ROCPRIM_400000_NS6detail17trampoline_kernelINS0_14default_configENS1_38merge_sort_block_merge_config_selectorIlNS0_10empty_typeEEEZZNS1_27merge_sort_block_merge_implIS3_PlPS5_mZN2at6native12_GLOBAL__N_124unique_dim_cuda_templateIjEESt5tupleIJNSA_6TensorESF_SF_EERKSF_lbbbEUlllE_EE10hipError_tT0_T1_T2_jT3_P12ihipStream_tbPNSt15iterator_traitsISL_E10value_typeEPNSR_ISM_E10value_typeEPSN_NS1_7vsmem_tEENKUlT_SL_SM_SN_E_clIS8_S8_S9_S9_EESK_S10_SL_SM_SN_EUlS10_E0_NS1_11comp_targetILNS1_3genE2ELNS1_11target_archE906ELNS1_3gpuE6ELNS1_3repE0EEENS1_38merge_mergepath_config_static_selectorELNS0_4arch9wavefront6targetE1EEEvSM_
		.amdhsa_group_segment_fixed_size 0
		.amdhsa_private_segment_fixed_size 0
		.amdhsa_kernarg_size 88
		.amdhsa_user_sgpr_count 6
		.amdhsa_user_sgpr_private_segment_buffer 1
		.amdhsa_user_sgpr_dispatch_ptr 0
		.amdhsa_user_sgpr_queue_ptr 0
		.amdhsa_user_sgpr_kernarg_segment_ptr 1
		.amdhsa_user_sgpr_dispatch_id 0
		.amdhsa_user_sgpr_flat_scratch_init 0
		.amdhsa_user_sgpr_kernarg_preload_length 0
		.amdhsa_user_sgpr_kernarg_preload_offset 0
		.amdhsa_user_sgpr_private_segment_size 0
		.amdhsa_uses_dynamic_stack 0
		.amdhsa_system_sgpr_private_segment_wavefront_offset 0
		.amdhsa_system_sgpr_workgroup_id_x 1
		.amdhsa_system_sgpr_workgroup_id_y 0
		.amdhsa_system_sgpr_workgroup_id_z 0
		.amdhsa_system_sgpr_workgroup_info 0
		.amdhsa_system_vgpr_workitem_id 0
		.amdhsa_next_free_vgpr 1
		.amdhsa_next_free_sgpr 0
		.amdhsa_accum_offset 4
		.amdhsa_reserve_vcc 0
		.amdhsa_reserve_flat_scratch 0
		.amdhsa_float_round_mode_32 0
		.amdhsa_float_round_mode_16_64 0
		.amdhsa_float_denorm_mode_32 3
		.amdhsa_float_denorm_mode_16_64 3
		.amdhsa_dx10_clamp 1
		.amdhsa_ieee_mode 1
		.amdhsa_fp16_overflow 0
		.amdhsa_tg_split 0
		.amdhsa_exception_fp_ieee_invalid_op 0
		.amdhsa_exception_fp_denorm_src 0
		.amdhsa_exception_fp_ieee_div_zero 0
		.amdhsa_exception_fp_ieee_overflow 0
		.amdhsa_exception_fp_ieee_underflow 0
		.amdhsa_exception_fp_ieee_inexact 0
		.amdhsa_exception_int_div_zero 0
	.end_amdhsa_kernel
	.section	.text._ZN7rocprim17ROCPRIM_400000_NS6detail17trampoline_kernelINS0_14default_configENS1_38merge_sort_block_merge_config_selectorIlNS0_10empty_typeEEEZZNS1_27merge_sort_block_merge_implIS3_PlPS5_mZN2at6native12_GLOBAL__N_124unique_dim_cuda_templateIjEESt5tupleIJNSA_6TensorESF_SF_EERKSF_lbbbEUlllE_EE10hipError_tT0_T1_T2_jT3_P12ihipStream_tbPNSt15iterator_traitsISL_E10value_typeEPNSR_ISM_E10value_typeEPSN_NS1_7vsmem_tEENKUlT_SL_SM_SN_E_clIS8_S8_S9_S9_EESK_S10_SL_SM_SN_EUlS10_E0_NS1_11comp_targetILNS1_3genE2ELNS1_11target_archE906ELNS1_3gpuE6ELNS1_3repE0EEENS1_38merge_mergepath_config_static_selectorELNS0_4arch9wavefront6targetE1EEEvSM_,"axG",@progbits,_ZN7rocprim17ROCPRIM_400000_NS6detail17trampoline_kernelINS0_14default_configENS1_38merge_sort_block_merge_config_selectorIlNS0_10empty_typeEEEZZNS1_27merge_sort_block_merge_implIS3_PlPS5_mZN2at6native12_GLOBAL__N_124unique_dim_cuda_templateIjEESt5tupleIJNSA_6TensorESF_SF_EERKSF_lbbbEUlllE_EE10hipError_tT0_T1_T2_jT3_P12ihipStream_tbPNSt15iterator_traitsISL_E10value_typeEPNSR_ISM_E10value_typeEPSN_NS1_7vsmem_tEENKUlT_SL_SM_SN_E_clIS8_S8_S9_S9_EESK_S10_SL_SM_SN_EUlS10_E0_NS1_11comp_targetILNS1_3genE2ELNS1_11target_archE906ELNS1_3gpuE6ELNS1_3repE0EEENS1_38merge_mergepath_config_static_selectorELNS0_4arch9wavefront6targetE1EEEvSM_,comdat
.Lfunc_end1503:
	.size	_ZN7rocprim17ROCPRIM_400000_NS6detail17trampoline_kernelINS0_14default_configENS1_38merge_sort_block_merge_config_selectorIlNS0_10empty_typeEEEZZNS1_27merge_sort_block_merge_implIS3_PlPS5_mZN2at6native12_GLOBAL__N_124unique_dim_cuda_templateIjEESt5tupleIJNSA_6TensorESF_SF_EERKSF_lbbbEUlllE_EE10hipError_tT0_T1_T2_jT3_P12ihipStream_tbPNSt15iterator_traitsISL_E10value_typeEPNSR_ISM_E10value_typeEPSN_NS1_7vsmem_tEENKUlT_SL_SM_SN_E_clIS8_S8_S9_S9_EESK_S10_SL_SM_SN_EUlS10_E0_NS1_11comp_targetILNS1_3genE2ELNS1_11target_archE906ELNS1_3gpuE6ELNS1_3repE0EEENS1_38merge_mergepath_config_static_selectorELNS0_4arch9wavefront6targetE1EEEvSM_, .Lfunc_end1503-_ZN7rocprim17ROCPRIM_400000_NS6detail17trampoline_kernelINS0_14default_configENS1_38merge_sort_block_merge_config_selectorIlNS0_10empty_typeEEEZZNS1_27merge_sort_block_merge_implIS3_PlPS5_mZN2at6native12_GLOBAL__N_124unique_dim_cuda_templateIjEESt5tupleIJNSA_6TensorESF_SF_EERKSF_lbbbEUlllE_EE10hipError_tT0_T1_T2_jT3_P12ihipStream_tbPNSt15iterator_traitsISL_E10value_typeEPNSR_ISM_E10value_typeEPSN_NS1_7vsmem_tEENKUlT_SL_SM_SN_E_clIS8_S8_S9_S9_EESK_S10_SL_SM_SN_EUlS10_E0_NS1_11comp_targetILNS1_3genE2ELNS1_11target_archE906ELNS1_3gpuE6ELNS1_3repE0EEENS1_38merge_mergepath_config_static_selectorELNS0_4arch9wavefront6targetE1EEEvSM_
                                        ; -- End function
	.section	.AMDGPU.csdata,"",@progbits
; Kernel info:
; codeLenInByte = 0
; NumSgprs: 4
; NumVgprs: 0
; NumAgprs: 0
; TotalNumVgprs: 0
; ScratchSize: 0
; MemoryBound: 0
; FloatMode: 240
; IeeeMode: 1
; LDSByteSize: 0 bytes/workgroup (compile time only)
; SGPRBlocks: 0
; VGPRBlocks: 0
; NumSGPRsForWavesPerEU: 4
; NumVGPRsForWavesPerEU: 1
; AccumOffset: 4
; Occupancy: 8
; WaveLimiterHint : 0
; COMPUTE_PGM_RSRC2:SCRATCH_EN: 0
; COMPUTE_PGM_RSRC2:USER_SGPR: 6
; COMPUTE_PGM_RSRC2:TRAP_HANDLER: 0
; COMPUTE_PGM_RSRC2:TGID_X_EN: 1
; COMPUTE_PGM_RSRC2:TGID_Y_EN: 0
; COMPUTE_PGM_RSRC2:TGID_Z_EN: 0
; COMPUTE_PGM_RSRC2:TIDIG_COMP_CNT: 0
; COMPUTE_PGM_RSRC3_GFX90A:ACCUM_OFFSET: 0
; COMPUTE_PGM_RSRC3_GFX90A:TG_SPLIT: 0
	.section	.text._ZN7rocprim17ROCPRIM_400000_NS6detail17trampoline_kernelINS0_14default_configENS1_38merge_sort_block_merge_config_selectorIlNS0_10empty_typeEEEZZNS1_27merge_sort_block_merge_implIS3_PlPS5_mZN2at6native12_GLOBAL__N_124unique_dim_cuda_templateIjEESt5tupleIJNSA_6TensorESF_SF_EERKSF_lbbbEUlllE_EE10hipError_tT0_T1_T2_jT3_P12ihipStream_tbPNSt15iterator_traitsISL_E10value_typeEPNSR_ISM_E10value_typeEPSN_NS1_7vsmem_tEENKUlT_SL_SM_SN_E_clIS8_S8_S9_S9_EESK_S10_SL_SM_SN_EUlS10_E0_NS1_11comp_targetILNS1_3genE9ELNS1_11target_archE1100ELNS1_3gpuE3ELNS1_3repE0EEENS1_38merge_mergepath_config_static_selectorELNS0_4arch9wavefront6targetE1EEEvSM_,"axG",@progbits,_ZN7rocprim17ROCPRIM_400000_NS6detail17trampoline_kernelINS0_14default_configENS1_38merge_sort_block_merge_config_selectorIlNS0_10empty_typeEEEZZNS1_27merge_sort_block_merge_implIS3_PlPS5_mZN2at6native12_GLOBAL__N_124unique_dim_cuda_templateIjEESt5tupleIJNSA_6TensorESF_SF_EERKSF_lbbbEUlllE_EE10hipError_tT0_T1_T2_jT3_P12ihipStream_tbPNSt15iterator_traitsISL_E10value_typeEPNSR_ISM_E10value_typeEPSN_NS1_7vsmem_tEENKUlT_SL_SM_SN_E_clIS8_S8_S9_S9_EESK_S10_SL_SM_SN_EUlS10_E0_NS1_11comp_targetILNS1_3genE9ELNS1_11target_archE1100ELNS1_3gpuE3ELNS1_3repE0EEENS1_38merge_mergepath_config_static_selectorELNS0_4arch9wavefront6targetE1EEEvSM_,comdat
	.globl	_ZN7rocprim17ROCPRIM_400000_NS6detail17trampoline_kernelINS0_14default_configENS1_38merge_sort_block_merge_config_selectorIlNS0_10empty_typeEEEZZNS1_27merge_sort_block_merge_implIS3_PlPS5_mZN2at6native12_GLOBAL__N_124unique_dim_cuda_templateIjEESt5tupleIJNSA_6TensorESF_SF_EERKSF_lbbbEUlllE_EE10hipError_tT0_T1_T2_jT3_P12ihipStream_tbPNSt15iterator_traitsISL_E10value_typeEPNSR_ISM_E10value_typeEPSN_NS1_7vsmem_tEENKUlT_SL_SM_SN_E_clIS8_S8_S9_S9_EESK_S10_SL_SM_SN_EUlS10_E0_NS1_11comp_targetILNS1_3genE9ELNS1_11target_archE1100ELNS1_3gpuE3ELNS1_3repE0EEENS1_38merge_mergepath_config_static_selectorELNS0_4arch9wavefront6targetE1EEEvSM_ ; -- Begin function _ZN7rocprim17ROCPRIM_400000_NS6detail17trampoline_kernelINS0_14default_configENS1_38merge_sort_block_merge_config_selectorIlNS0_10empty_typeEEEZZNS1_27merge_sort_block_merge_implIS3_PlPS5_mZN2at6native12_GLOBAL__N_124unique_dim_cuda_templateIjEESt5tupleIJNSA_6TensorESF_SF_EERKSF_lbbbEUlllE_EE10hipError_tT0_T1_T2_jT3_P12ihipStream_tbPNSt15iterator_traitsISL_E10value_typeEPNSR_ISM_E10value_typeEPSN_NS1_7vsmem_tEENKUlT_SL_SM_SN_E_clIS8_S8_S9_S9_EESK_S10_SL_SM_SN_EUlS10_E0_NS1_11comp_targetILNS1_3genE9ELNS1_11target_archE1100ELNS1_3gpuE3ELNS1_3repE0EEENS1_38merge_mergepath_config_static_selectorELNS0_4arch9wavefront6targetE1EEEvSM_
	.p2align	8
	.type	_ZN7rocprim17ROCPRIM_400000_NS6detail17trampoline_kernelINS0_14default_configENS1_38merge_sort_block_merge_config_selectorIlNS0_10empty_typeEEEZZNS1_27merge_sort_block_merge_implIS3_PlPS5_mZN2at6native12_GLOBAL__N_124unique_dim_cuda_templateIjEESt5tupleIJNSA_6TensorESF_SF_EERKSF_lbbbEUlllE_EE10hipError_tT0_T1_T2_jT3_P12ihipStream_tbPNSt15iterator_traitsISL_E10value_typeEPNSR_ISM_E10value_typeEPSN_NS1_7vsmem_tEENKUlT_SL_SM_SN_E_clIS8_S8_S9_S9_EESK_S10_SL_SM_SN_EUlS10_E0_NS1_11comp_targetILNS1_3genE9ELNS1_11target_archE1100ELNS1_3gpuE3ELNS1_3repE0EEENS1_38merge_mergepath_config_static_selectorELNS0_4arch9wavefront6targetE1EEEvSM_,@function
_ZN7rocprim17ROCPRIM_400000_NS6detail17trampoline_kernelINS0_14default_configENS1_38merge_sort_block_merge_config_selectorIlNS0_10empty_typeEEEZZNS1_27merge_sort_block_merge_implIS3_PlPS5_mZN2at6native12_GLOBAL__N_124unique_dim_cuda_templateIjEESt5tupleIJNSA_6TensorESF_SF_EERKSF_lbbbEUlllE_EE10hipError_tT0_T1_T2_jT3_P12ihipStream_tbPNSt15iterator_traitsISL_E10value_typeEPNSR_ISM_E10value_typeEPSN_NS1_7vsmem_tEENKUlT_SL_SM_SN_E_clIS8_S8_S9_S9_EESK_S10_SL_SM_SN_EUlS10_E0_NS1_11comp_targetILNS1_3genE9ELNS1_11target_archE1100ELNS1_3gpuE3ELNS1_3repE0EEENS1_38merge_mergepath_config_static_selectorELNS0_4arch9wavefront6targetE1EEEvSM_: ; @_ZN7rocprim17ROCPRIM_400000_NS6detail17trampoline_kernelINS0_14default_configENS1_38merge_sort_block_merge_config_selectorIlNS0_10empty_typeEEEZZNS1_27merge_sort_block_merge_implIS3_PlPS5_mZN2at6native12_GLOBAL__N_124unique_dim_cuda_templateIjEESt5tupleIJNSA_6TensorESF_SF_EERKSF_lbbbEUlllE_EE10hipError_tT0_T1_T2_jT3_P12ihipStream_tbPNSt15iterator_traitsISL_E10value_typeEPNSR_ISM_E10value_typeEPSN_NS1_7vsmem_tEENKUlT_SL_SM_SN_E_clIS8_S8_S9_S9_EESK_S10_SL_SM_SN_EUlS10_E0_NS1_11comp_targetILNS1_3genE9ELNS1_11target_archE1100ELNS1_3gpuE3ELNS1_3repE0EEENS1_38merge_mergepath_config_static_selectorELNS0_4arch9wavefront6targetE1EEEvSM_
; %bb.0:
	.section	.rodata,"a",@progbits
	.p2align	6, 0x0
	.amdhsa_kernel _ZN7rocprim17ROCPRIM_400000_NS6detail17trampoline_kernelINS0_14default_configENS1_38merge_sort_block_merge_config_selectorIlNS0_10empty_typeEEEZZNS1_27merge_sort_block_merge_implIS3_PlPS5_mZN2at6native12_GLOBAL__N_124unique_dim_cuda_templateIjEESt5tupleIJNSA_6TensorESF_SF_EERKSF_lbbbEUlllE_EE10hipError_tT0_T1_T2_jT3_P12ihipStream_tbPNSt15iterator_traitsISL_E10value_typeEPNSR_ISM_E10value_typeEPSN_NS1_7vsmem_tEENKUlT_SL_SM_SN_E_clIS8_S8_S9_S9_EESK_S10_SL_SM_SN_EUlS10_E0_NS1_11comp_targetILNS1_3genE9ELNS1_11target_archE1100ELNS1_3gpuE3ELNS1_3repE0EEENS1_38merge_mergepath_config_static_selectorELNS0_4arch9wavefront6targetE1EEEvSM_
		.amdhsa_group_segment_fixed_size 0
		.amdhsa_private_segment_fixed_size 0
		.amdhsa_kernarg_size 88
		.amdhsa_user_sgpr_count 6
		.amdhsa_user_sgpr_private_segment_buffer 1
		.amdhsa_user_sgpr_dispatch_ptr 0
		.amdhsa_user_sgpr_queue_ptr 0
		.amdhsa_user_sgpr_kernarg_segment_ptr 1
		.amdhsa_user_sgpr_dispatch_id 0
		.amdhsa_user_sgpr_flat_scratch_init 0
		.amdhsa_user_sgpr_kernarg_preload_length 0
		.amdhsa_user_sgpr_kernarg_preload_offset 0
		.amdhsa_user_sgpr_private_segment_size 0
		.amdhsa_uses_dynamic_stack 0
		.amdhsa_system_sgpr_private_segment_wavefront_offset 0
		.amdhsa_system_sgpr_workgroup_id_x 1
		.amdhsa_system_sgpr_workgroup_id_y 0
		.amdhsa_system_sgpr_workgroup_id_z 0
		.amdhsa_system_sgpr_workgroup_info 0
		.amdhsa_system_vgpr_workitem_id 0
		.amdhsa_next_free_vgpr 1
		.amdhsa_next_free_sgpr 0
		.amdhsa_accum_offset 4
		.amdhsa_reserve_vcc 0
		.amdhsa_reserve_flat_scratch 0
		.amdhsa_float_round_mode_32 0
		.amdhsa_float_round_mode_16_64 0
		.amdhsa_float_denorm_mode_32 3
		.amdhsa_float_denorm_mode_16_64 3
		.amdhsa_dx10_clamp 1
		.amdhsa_ieee_mode 1
		.amdhsa_fp16_overflow 0
		.amdhsa_tg_split 0
		.amdhsa_exception_fp_ieee_invalid_op 0
		.amdhsa_exception_fp_denorm_src 0
		.amdhsa_exception_fp_ieee_div_zero 0
		.amdhsa_exception_fp_ieee_overflow 0
		.amdhsa_exception_fp_ieee_underflow 0
		.amdhsa_exception_fp_ieee_inexact 0
		.amdhsa_exception_int_div_zero 0
	.end_amdhsa_kernel
	.section	.text._ZN7rocprim17ROCPRIM_400000_NS6detail17trampoline_kernelINS0_14default_configENS1_38merge_sort_block_merge_config_selectorIlNS0_10empty_typeEEEZZNS1_27merge_sort_block_merge_implIS3_PlPS5_mZN2at6native12_GLOBAL__N_124unique_dim_cuda_templateIjEESt5tupleIJNSA_6TensorESF_SF_EERKSF_lbbbEUlllE_EE10hipError_tT0_T1_T2_jT3_P12ihipStream_tbPNSt15iterator_traitsISL_E10value_typeEPNSR_ISM_E10value_typeEPSN_NS1_7vsmem_tEENKUlT_SL_SM_SN_E_clIS8_S8_S9_S9_EESK_S10_SL_SM_SN_EUlS10_E0_NS1_11comp_targetILNS1_3genE9ELNS1_11target_archE1100ELNS1_3gpuE3ELNS1_3repE0EEENS1_38merge_mergepath_config_static_selectorELNS0_4arch9wavefront6targetE1EEEvSM_,"axG",@progbits,_ZN7rocprim17ROCPRIM_400000_NS6detail17trampoline_kernelINS0_14default_configENS1_38merge_sort_block_merge_config_selectorIlNS0_10empty_typeEEEZZNS1_27merge_sort_block_merge_implIS3_PlPS5_mZN2at6native12_GLOBAL__N_124unique_dim_cuda_templateIjEESt5tupleIJNSA_6TensorESF_SF_EERKSF_lbbbEUlllE_EE10hipError_tT0_T1_T2_jT3_P12ihipStream_tbPNSt15iterator_traitsISL_E10value_typeEPNSR_ISM_E10value_typeEPSN_NS1_7vsmem_tEENKUlT_SL_SM_SN_E_clIS8_S8_S9_S9_EESK_S10_SL_SM_SN_EUlS10_E0_NS1_11comp_targetILNS1_3genE9ELNS1_11target_archE1100ELNS1_3gpuE3ELNS1_3repE0EEENS1_38merge_mergepath_config_static_selectorELNS0_4arch9wavefront6targetE1EEEvSM_,comdat
.Lfunc_end1504:
	.size	_ZN7rocprim17ROCPRIM_400000_NS6detail17trampoline_kernelINS0_14default_configENS1_38merge_sort_block_merge_config_selectorIlNS0_10empty_typeEEEZZNS1_27merge_sort_block_merge_implIS3_PlPS5_mZN2at6native12_GLOBAL__N_124unique_dim_cuda_templateIjEESt5tupleIJNSA_6TensorESF_SF_EERKSF_lbbbEUlllE_EE10hipError_tT0_T1_T2_jT3_P12ihipStream_tbPNSt15iterator_traitsISL_E10value_typeEPNSR_ISM_E10value_typeEPSN_NS1_7vsmem_tEENKUlT_SL_SM_SN_E_clIS8_S8_S9_S9_EESK_S10_SL_SM_SN_EUlS10_E0_NS1_11comp_targetILNS1_3genE9ELNS1_11target_archE1100ELNS1_3gpuE3ELNS1_3repE0EEENS1_38merge_mergepath_config_static_selectorELNS0_4arch9wavefront6targetE1EEEvSM_, .Lfunc_end1504-_ZN7rocprim17ROCPRIM_400000_NS6detail17trampoline_kernelINS0_14default_configENS1_38merge_sort_block_merge_config_selectorIlNS0_10empty_typeEEEZZNS1_27merge_sort_block_merge_implIS3_PlPS5_mZN2at6native12_GLOBAL__N_124unique_dim_cuda_templateIjEESt5tupleIJNSA_6TensorESF_SF_EERKSF_lbbbEUlllE_EE10hipError_tT0_T1_T2_jT3_P12ihipStream_tbPNSt15iterator_traitsISL_E10value_typeEPNSR_ISM_E10value_typeEPSN_NS1_7vsmem_tEENKUlT_SL_SM_SN_E_clIS8_S8_S9_S9_EESK_S10_SL_SM_SN_EUlS10_E0_NS1_11comp_targetILNS1_3genE9ELNS1_11target_archE1100ELNS1_3gpuE3ELNS1_3repE0EEENS1_38merge_mergepath_config_static_selectorELNS0_4arch9wavefront6targetE1EEEvSM_
                                        ; -- End function
	.section	.AMDGPU.csdata,"",@progbits
; Kernel info:
; codeLenInByte = 0
; NumSgprs: 4
; NumVgprs: 0
; NumAgprs: 0
; TotalNumVgprs: 0
; ScratchSize: 0
; MemoryBound: 0
; FloatMode: 240
; IeeeMode: 1
; LDSByteSize: 0 bytes/workgroup (compile time only)
; SGPRBlocks: 0
; VGPRBlocks: 0
; NumSGPRsForWavesPerEU: 4
; NumVGPRsForWavesPerEU: 1
; AccumOffset: 4
; Occupancy: 8
; WaveLimiterHint : 0
; COMPUTE_PGM_RSRC2:SCRATCH_EN: 0
; COMPUTE_PGM_RSRC2:USER_SGPR: 6
; COMPUTE_PGM_RSRC2:TRAP_HANDLER: 0
; COMPUTE_PGM_RSRC2:TGID_X_EN: 1
; COMPUTE_PGM_RSRC2:TGID_Y_EN: 0
; COMPUTE_PGM_RSRC2:TGID_Z_EN: 0
; COMPUTE_PGM_RSRC2:TIDIG_COMP_CNT: 0
; COMPUTE_PGM_RSRC3_GFX90A:ACCUM_OFFSET: 0
; COMPUTE_PGM_RSRC3_GFX90A:TG_SPLIT: 0
	.section	.text._ZN7rocprim17ROCPRIM_400000_NS6detail17trampoline_kernelINS0_14default_configENS1_38merge_sort_block_merge_config_selectorIlNS0_10empty_typeEEEZZNS1_27merge_sort_block_merge_implIS3_PlPS5_mZN2at6native12_GLOBAL__N_124unique_dim_cuda_templateIjEESt5tupleIJNSA_6TensorESF_SF_EERKSF_lbbbEUlllE_EE10hipError_tT0_T1_T2_jT3_P12ihipStream_tbPNSt15iterator_traitsISL_E10value_typeEPNSR_ISM_E10value_typeEPSN_NS1_7vsmem_tEENKUlT_SL_SM_SN_E_clIS8_S8_S9_S9_EESK_S10_SL_SM_SN_EUlS10_E0_NS1_11comp_targetILNS1_3genE8ELNS1_11target_archE1030ELNS1_3gpuE2ELNS1_3repE0EEENS1_38merge_mergepath_config_static_selectorELNS0_4arch9wavefront6targetE1EEEvSM_,"axG",@progbits,_ZN7rocprim17ROCPRIM_400000_NS6detail17trampoline_kernelINS0_14default_configENS1_38merge_sort_block_merge_config_selectorIlNS0_10empty_typeEEEZZNS1_27merge_sort_block_merge_implIS3_PlPS5_mZN2at6native12_GLOBAL__N_124unique_dim_cuda_templateIjEESt5tupleIJNSA_6TensorESF_SF_EERKSF_lbbbEUlllE_EE10hipError_tT0_T1_T2_jT3_P12ihipStream_tbPNSt15iterator_traitsISL_E10value_typeEPNSR_ISM_E10value_typeEPSN_NS1_7vsmem_tEENKUlT_SL_SM_SN_E_clIS8_S8_S9_S9_EESK_S10_SL_SM_SN_EUlS10_E0_NS1_11comp_targetILNS1_3genE8ELNS1_11target_archE1030ELNS1_3gpuE2ELNS1_3repE0EEENS1_38merge_mergepath_config_static_selectorELNS0_4arch9wavefront6targetE1EEEvSM_,comdat
	.globl	_ZN7rocprim17ROCPRIM_400000_NS6detail17trampoline_kernelINS0_14default_configENS1_38merge_sort_block_merge_config_selectorIlNS0_10empty_typeEEEZZNS1_27merge_sort_block_merge_implIS3_PlPS5_mZN2at6native12_GLOBAL__N_124unique_dim_cuda_templateIjEESt5tupleIJNSA_6TensorESF_SF_EERKSF_lbbbEUlllE_EE10hipError_tT0_T1_T2_jT3_P12ihipStream_tbPNSt15iterator_traitsISL_E10value_typeEPNSR_ISM_E10value_typeEPSN_NS1_7vsmem_tEENKUlT_SL_SM_SN_E_clIS8_S8_S9_S9_EESK_S10_SL_SM_SN_EUlS10_E0_NS1_11comp_targetILNS1_3genE8ELNS1_11target_archE1030ELNS1_3gpuE2ELNS1_3repE0EEENS1_38merge_mergepath_config_static_selectorELNS0_4arch9wavefront6targetE1EEEvSM_ ; -- Begin function _ZN7rocprim17ROCPRIM_400000_NS6detail17trampoline_kernelINS0_14default_configENS1_38merge_sort_block_merge_config_selectorIlNS0_10empty_typeEEEZZNS1_27merge_sort_block_merge_implIS3_PlPS5_mZN2at6native12_GLOBAL__N_124unique_dim_cuda_templateIjEESt5tupleIJNSA_6TensorESF_SF_EERKSF_lbbbEUlllE_EE10hipError_tT0_T1_T2_jT3_P12ihipStream_tbPNSt15iterator_traitsISL_E10value_typeEPNSR_ISM_E10value_typeEPSN_NS1_7vsmem_tEENKUlT_SL_SM_SN_E_clIS8_S8_S9_S9_EESK_S10_SL_SM_SN_EUlS10_E0_NS1_11comp_targetILNS1_3genE8ELNS1_11target_archE1030ELNS1_3gpuE2ELNS1_3repE0EEENS1_38merge_mergepath_config_static_selectorELNS0_4arch9wavefront6targetE1EEEvSM_
	.p2align	8
	.type	_ZN7rocprim17ROCPRIM_400000_NS6detail17trampoline_kernelINS0_14default_configENS1_38merge_sort_block_merge_config_selectorIlNS0_10empty_typeEEEZZNS1_27merge_sort_block_merge_implIS3_PlPS5_mZN2at6native12_GLOBAL__N_124unique_dim_cuda_templateIjEESt5tupleIJNSA_6TensorESF_SF_EERKSF_lbbbEUlllE_EE10hipError_tT0_T1_T2_jT3_P12ihipStream_tbPNSt15iterator_traitsISL_E10value_typeEPNSR_ISM_E10value_typeEPSN_NS1_7vsmem_tEENKUlT_SL_SM_SN_E_clIS8_S8_S9_S9_EESK_S10_SL_SM_SN_EUlS10_E0_NS1_11comp_targetILNS1_3genE8ELNS1_11target_archE1030ELNS1_3gpuE2ELNS1_3repE0EEENS1_38merge_mergepath_config_static_selectorELNS0_4arch9wavefront6targetE1EEEvSM_,@function
_ZN7rocprim17ROCPRIM_400000_NS6detail17trampoline_kernelINS0_14default_configENS1_38merge_sort_block_merge_config_selectorIlNS0_10empty_typeEEEZZNS1_27merge_sort_block_merge_implIS3_PlPS5_mZN2at6native12_GLOBAL__N_124unique_dim_cuda_templateIjEESt5tupleIJNSA_6TensorESF_SF_EERKSF_lbbbEUlllE_EE10hipError_tT0_T1_T2_jT3_P12ihipStream_tbPNSt15iterator_traitsISL_E10value_typeEPNSR_ISM_E10value_typeEPSN_NS1_7vsmem_tEENKUlT_SL_SM_SN_E_clIS8_S8_S9_S9_EESK_S10_SL_SM_SN_EUlS10_E0_NS1_11comp_targetILNS1_3genE8ELNS1_11target_archE1030ELNS1_3gpuE2ELNS1_3repE0EEENS1_38merge_mergepath_config_static_selectorELNS0_4arch9wavefront6targetE1EEEvSM_: ; @_ZN7rocprim17ROCPRIM_400000_NS6detail17trampoline_kernelINS0_14default_configENS1_38merge_sort_block_merge_config_selectorIlNS0_10empty_typeEEEZZNS1_27merge_sort_block_merge_implIS3_PlPS5_mZN2at6native12_GLOBAL__N_124unique_dim_cuda_templateIjEESt5tupleIJNSA_6TensorESF_SF_EERKSF_lbbbEUlllE_EE10hipError_tT0_T1_T2_jT3_P12ihipStream_tbPNSt15iterator_traitsISL_E10value_typeEPNSR_ISM_E10value_typeEPSN_NS1_7vsmem_tEENKUlT_SL_SM_SN_E_clIS8_S8_S9_S9_EESK_S10_SL_SM_SN_EUlS10_E0_NS1_11comp_targetILNS1_3genE8ELNS1_11target_archE1030ELNS1_3gpuE2ELNS1_3repE0EEENS1_38merge_mergepath_config_static_selectorELNS0_4arch9wavefront6targetE1EEEvSM_
; %bb.0:
	.section	.rodata,"a",@progbits
	.p2align	6, 0x0
	.amdhsa_kernel _ZN7rocprim17ROCPRIM_400000_NS6detail17trampoline_kernelINS0_14default_configENS1_38merge_sort_block_merge_config_selectorIlNS0_10empty_typeEEEZZNS1_27merge_sort_block_merge_implIS3_PlPS5_mZN2at6native12_GLOBAL__N_124unique_dim_cuda_templateIjEESt5tupleIJNSA_6TensorESF_SF_EERKSF_lbbbEUlllE_EE10hipError_tT0_T1_T2_jT3_P12ihipStream_tbPNSt15iterator_traitsISL_E10value_typeEPNSR_ISM_E10value_typeEPSN_NS1_7vsmem_tEENKUlT_SL_SM_SN_E_clIS8_S8_S9_S9_EESK_S10_SL_SM_SN_EUlS10_E0_NS1_11comp_targetILNS1_3genE8ELNS1_11target_archE1030ELNS1_3gpuE2ELNS1_3repE0EEENS1_38merge_mergepath_config_static_selectorELNS0_4arch9wavefront6targetE1EEEvSM_
		.amdhsa_group_segment_fixed_size 0
		.amdhsa_private_segment_fixed_size 0
		.amdhsa_kernarg_size 88
		.amdhsa_user_sgpr_count 6
		.amdhsa_user_sgpr_private_segment_buffer 1
		.amdhsa_user_sgpr_dispatch_ptr 0
		.amdhsa_user_sgpr_queue_ptr 0
		.amdhsa_user_sgpr_kernarg_segment_ptr 1
		.amdhsa_user_sgpr_dispatch_id 0
		.amdhsa_user_sgpr_flat_scratch_init 0
		.amdhsa_user_sgpr_kernarg_preload_length 0
		.amdhsa_user_sgpr_kernarg_preload_offset 0
		.amdhsa_user_sgpr_private_segment_size 0
		.amdhsa_uses_dynamic_stack 0
		.amdhsa_system_sgpr_private_segment_wavefront_offset 0
		.amdhsa_system_sgpr_workgroup_id_x 1
		.amdhsa_system_sgpr_workgroup_id_y 0
		.amdhsa_system_sgpr_workgroup_id_z 0
		.amdhsa_system_sgpr_workgroup_info 0
		.amdhsa_system_vgpr_workitem_id 0
		.amdhsa_next_free_vgpr 1
		.amdhsa_next_free_sgpr 0
		.amdhsa_accum_offset 4
		.amdhsa_reserve_vcc 0
		.amdhsa_reserve_flat_scratch 0
		.amdhsa_float_round_mode_32 0
		.amdhsa_float_round_mode_16_64 0
		.amdhsa_float_denorm_mode_32 3
		.amdhsa_float_denorm_mode_16_64 3
		.amdhsa_dx10_clamp 1
		.amdhsa_ieee_mode 1
		.amdhsa_fp16_overflow 0
		.amdhsa_tg_split 0
		.amdhsa_exception_fp_ieee_invalid_op 0
		.amdhsa_exception_fp_denorm_src 0
		.amdhsa_exception_fp_ieee_div_zero 0
		.amdhsa_exception_fp_ieee_overflow 0
		.amdhsa_exception_fp_ieee_underflow 0
		.amdhsa_exception_fp_ieee_inexact 0
		.amdhsa_exception_int_div_zero 0
	.end_amdhsa_kernel
	.section	.text._ZN7rocprim17ROCPRIM_400000_NS6detail17trampoline_kernelINS0_14default_configENS1_38merge_sort_block_merge_config_selectorIlNS0_10empty_typeEEEZZNS1_27merge_sort_block_merge_implIS3_PlPS5_mZN2at6native12_GLOBAL__N_124unique_dim_cuda_templateIjEESt5tupleIJNSA_6TensorESF_SF_EERKSF_lbbbEUlllE_EE10hipError_tT0_T1_T2_jT3_P12ihipStream_tbPNSt15iterator_traitsISL_E10value_typeEPNSR_ISM_E10value_typeEPSN_NS1_7vsmem_tEENKUlT_SL_SM_SN_E_clIS8_S8_S9_S9_EESK_S10_SL_SM_SN_EUlS10_E0_NS1_11comp_targetILNS1_3genE8ELNS1_11target_archE1030ELNS1_3gpuE2ELNS1_3repE0EEENS1_38merge_mergepath_config_static_selectorELNS0_4arch9wavefront6targetE1EEEvSM_,"axG",@progbits,_ZN7rocprim17ROCPRIM_400000_NS6detail17trampoline_kernelINS0_14default_configENS1_38merge_sort_block_merge_config_selectorIlNS0_10empty_typeEEEZZNS1_27merge_sort_block_merge_implIS3_PlPS5_mZN2at6native12_GLOBAL__N_124unique_dim_cuda_templateIjEESt5tupleIJNSA_6TensorESF_SF_EERKSF_lbbbEUlllE_EE10hipError_tT0_T1_T2_jT3_P12ihipStream_tbPNSt15iterator_traitsISL_E10value_typeEPNSR_ISM_E10value_typeEPSN_NS1_7vsmem_tEENKUlT_SL_SM_SN_E_clIS8_S8_S9_S9_EESK_S10_SL_SM_SN_EUlS10_E0_NS1_11comp_targetILNS1_3genE8ELNS1_11target_archE1030ELNS1_3gpuE2ELNS1_3repE0EEENS1_38merge_mergepath_config_static_selectorELNS0_4arch9wavefront6targetE1EEEvSM_,comdat
.Lfunc_end1505:
	.size	_ZN7rocprim17ROCPRIM_400000_NS6detail17trampoline_kernelINS0_14default_configENS1_38merge_sort_block_merge_config_selectorIlNS0_10empty_typeEEEZZNS1_27merge_sort_block_merge_implIS3_PlPS5_mZN2at6native12_GLOBAL__N_124unique_dim_cuda_templateIjEESt5tupleIJNSA_6TensorESF_SF_EERKSF_lbbbEUlllE_EE10hipError_tT0_T1_T2_jT3_P12ihipStream_tbPNSt15iterator_traitsISL_E10value_typeEPNSR_ISM_E10value_typeEPSN_NS1_7vsmem_tEENKUlT_SL_SM_SN_E_clIS8_S8_S9_S9_EESK_S10_SL_SM_SN_EUlS10_E0_NS1_11comp_targetILNS1_3genE8ELNS1_11target_archE1030ELNS1_3gpuE2ELNS1_3repE0EEENS1_38merge_mergepath_config_static_selectorELNS0_4arch9wavefront6targetE1EEEvSM_, .Lfunc_end1505-_ZN7rocprim17ROCPRIM_400000_NS6detail17trampoline_kernelINS0_14default_configENS1_38merge_sort_block_merge_config_selectorIlNS0_10empty_typeEEEZZNS1_27merge_sort_block_merge_implIS3_PlPS5_mZN2at6native12_GLOBAL__N_124unique_dim_cuda_templateIjEESt5tupleIJNSA_6TensorESF_SF_EERKSF_lbbbEUlllE_EE10hipError_tT0_T1_T2_jT3_P12ihipStream_tbPNSt15iterator_traitsISL_E10value_typeEPNSR_ISM_E10value_typeEPSN_NS1_7vsmem_tEENKUlT_SL_SM_SN_E_clIS8_S8_S9_S9_EESK_S10_SL_SM_SN_EUlS10_E0_NS1_11comp_targetILNS1_3genE8ELNS1_11target_archE1030ELNS1_3gpuE2ELNS1_3repE0EEENS1_38merge_mergepath_config_static_selectorELNS0_4arch9wavefront6targetE1EEEvSM_
                                        ; -- End function
	.section	.AMDGPU.csdata,"",@progbits
; Kernel info:
; codeLenInByte = 0
; NumSgprs: 4
; NumVgprs: 0
; NumAgprs: 0
; TotalNumVgprs: 0
; ScratchSize: 0
; MemoryBound: 0
; FloatMode: 240
; IeeeMode: 1
; LDSByteSize: 0 bytes/workgroup (compile time only)
; SGPRBlocks: 0
; VGPRBlocks: 0
; NumSGPRsForWavesPerEU: 4
; NumVGPRsForWavesPerEU: 1
; AccumOffset: 4
; Occupancy: 8
; WaveLimiterHint : 0
; COMPUTE_PGM_RSRC2:SCRATCH_EN: 0
; COMPUTE_PGM_RSRC2:USER_SGPR: 6
; COMPUTE_PGM_RSRC2:TRAP_HANDLER: 0
; COMPUTE_PGM_RSRC2:TGID_X_EN: 1
; COMPUTE_PGM_RSRC2:TGID_Y_EN: 0
; COMPUTE_PGM_RSRC2:TGID_Z_EN: 0
; COMPUTE_PGM_RSRC2:TIDIG_COMP_CNT: 0
; COMPUTE_PGM_RSRC3_GFX90A:ACCUM_OFFSET: 0
; COMPUTE_PGM_RSRC3_GFX90A:TG_SPLIT: 0
	.section	.text._ZN7rocprim17ROCPRIM_400000_NS6detail17trampoline_kernelINS0_14default_configENS1_38merge_sort_block_merge_config_selectorIlNS0_10empty_typeEEEZZNS1_27merge_sort_block_merge_implIS3_PlPS5_mZN2at6native12_GLOBAL__N_124unique_dim_cuda_templateIjEESt5tupleIJNSA_6TensorESF_SF_EERKSF_lbbbEUlllE_EE10hipError_tT0_T1_T2_jT3_P12ihipStream_tbPNSt15iterator_traitsISL_E10value_typeEPNSR_ISM_E10value_typeEPSN_NS1_7vsmem_tEENKUlT_SL_SM_SN_E_clIS8_S8_S9_S9_EESK_S10_SL_SM_SN_EUlS10_E1_NS1_11comp_targetILNS1_3genE0ELNS1_11target_archE4294967295ELNS1_3gpuE0ELNS1_3repE0EEENS1_36merge_oddeven_config_static_selectorELNS0_4arch9wavefront6targetE1EEEvSM_,"axG",@progbits,_ZN7rocprim17ROCPRIM_400000_NS6detail17trampoline_kernelINS0_14default_configENS1_38merge_sort_block_merge_config_selectorIlNS0_10empty_typeEEEZZNS1_27merge_sort_block_merge_implIS3_PlPS5_mZN2at6native12_GLOBAL__N_124unique_dim_cuda_templateIjEESt5tupleIJNSA_6TensorESF_SF_EERKSF_lbbbEUlllE_EE10hipError_tT0_T1_T2_jT3_P12ihipStream_tbPNSt15iterator_traitsISL_E10value_typeEPNSR_ISM_E10value_typeEPSN_NS1_7vsmem_tEENKUlT_SL_SM_SN_E_clIS8_S8_S9_S9_EESK_S10_SL_SM_SN_EUlS10_E1_NS1_11comp_targetILNS1_3genE0ELNS1_11target_archE4294967295ELNS1_3gpuE0ELNS1_3repE0EEENS1_36merge_oddeven_config_static_selectorELNS0_4arch9wavefront6targetE1EEEvSM_,comdat
	.globl	_ZN7rocprim17ROCPRIM_400000_NS6detail17trampoline_kernelINS0_14default_configENS1_38merge_sort_block_merge_config_selectorIlNS0_10empty_typeEEEZZNS1_27merge_sort_block_merge_implIS3_PlPS5_mZN2at6native12_GLOBAL__N_124unique_dim_cuda_templateIjEESt5tupleIJNSA_6TensorESF_SF_EERKSF_lbbbEUlllE_EE10hipError_tT0_T1_T2_jT3_P12ihipStream_tbPNSt15iterator_traitsISL_E10value_typeEPNSR_ISM_E10value_typeEPSN_NS1_7vsmem_tEENKUlT_SL_SM_SN_E_clIS8_S8_S9_S9_EESK_S10_SL_SM_SN_EUlS10_E1_NS1_11comp_targetILNS1_3genE0ELNS1_11target_archE4294967295ELNS1_3gpuE0ELNS1_3repE0EEENS1_36merge_oddeven_config_static_selectorELNS0_4arch9wavefront6targetE1EEEvSM_ ; -- Begin function _ZN7rocprim17ROCPRIM_400000_NS6detail17trampoline_kernelINS0_14default_configENS1_38merge_sort_block_merge_config_selectorIlNS0_10empty_typeEEEZZNS1_27merge_sort_block_merge_implIS3_PlPS5_mZN2at6native12_GLOBAL__N_124unique_dim_cuda_templateIjEESt5tupleIJNSA_6TensorESF_SF_EERKSF_lbbbEUlllE_EE10hipError_tT0_T1_T2_jT3_P12ihipStream_tbPNSt15iterator_traitsISL_E10value_typeEPNSR_ISM_E10value_typeEPSN_NS1_7vsmem_tEENKUlT_SL_SM_SN_E_clIS8_S8_S9_S9_EESK_S10_SL_SM_SN_EUlS10_E1_NS1_11comp_targetILNS1_3genE0ELNS1_11target_archE4294967295ELNS1_3gpuE0ELNS1_3repE0EEENS1_36merge_oddeven_config_static_selectorELNS0_4arch9wavefront6targetE1EEEvSM_
	.p2align	8
	.type	_ZN7rocprim17ROCPRIM_400000_NS6detail17trampoline_kernelINS0_14default_configENS1_38merge_sort_block_merge_config_selectorIlNS0_10empty_typeEEEZZNS1_27merge_sort_block_merge_implIS3_PlPS5_mZN2at6native12_GLOBAL__N_124unique_dim_cuda_templateIjEESt5tupleIJNSA_6TensorESF_SF_EERKSF_lbbbEUlllE_EE10hipError_tT0_T1_T2_jT3_P12ihipStream_tbPNSt15iterator_traitsISL_E10value_typeEPNSR_ISM_E10value_typeEPSN_NS1_7vsmem_tEENKUlT_SL_SM_SN_E_clIS8_S8_S9_S9_EESK_S10_SL_SM_SN_EUlS10_E1_NS1_11comp_targetILNS1_3genE0ELNS1_11target_archE4294967295ELNS1_3gpuE0ELNS1_3repE0EEENS1_36merge_oddeven_config_static_selectorELNS0_4arch9wavefront6targetE1EEEvSM_,@function
_ZN7rocprim17ROCPRIM_400000_NS6detail17trampoline_kernelINS0_14default_configENS1_38merge_sort_block_merge_config_selectorIlNS0_10empty_typeEEEZZNS1_27merge_sort_block_merge_implIS3_PlPS5_mZN2at6native12_GLOBAL__N_124unique_dim_cuda_templateIjEESt5tupleIJNSA_6TensorESF_SF_EERKSF_lbbbEUlllE_EE10hipError_tT0_T1_T2_jT3_P12ihipStream_tbPNSt15iterator_traitsISL_E10value_typeEPNSR_ISM_E10value_typeEPSN_NS1_7vsmem_tEENKUlT_SL_SM_SN_E_clIS8_S8_S9_S9_EESK_S10_SL_SM_SN_EUlS10_E1_NS1_11comp_targetILNS1_3genE0ELNS1_11target_archE4294967295ELNS1_3gpuE0ELNS1_3repE0EEENS1_36merge_oddeven_config_static_selectorELNS0_4arch9wavefront6targetE1EEEvSM_: ; @_ZN7rocprim17ROCPRIM_400000_NS6detail17trampoline_kernelINS0_14default_configENS1_38merge_sort_block_merge_config_selectorIlNS0_10empty_typeEEEZZNS1_27merge_sort_block_merge_implIS3_PlPS5_mZN2at6native12_GLOBAL__N_124unique_dim_cuda_templateIjEESt5tupleIJNSA_6TensorESF_SF_EERKSF_lbbbEUlllE_EE10hipError_tT0_T1_T2_jT3_P12ihipStream_tbPNSt15iterator_traitsISL_E10value_typeEPNSR_ISM_E10value_typeEPSN_NS1_7vsmem_tEENKUlT_SL_SM_SN_E_clIS8_S8_S9_S9_EESK_S10_SL_SM_SN_EUlS10_E1_NS1_11comp_targetILNS1_3genE0ELNS1_11target_archE4294967295ELNS1_3gpuE0ELNS1_3repE0EEENS1_36merge_oddeven_config_static_selectorELNS0_4arch9wavefront6targetE1EEEvSM_
; %bb.0:
	.section	.rodata,"a",@progbits
	.p2align	6, 0x0
	.amdhsa_kernel _ZN7rocprim17ROCPRIM_400000_NS6detail17trampoline_kernelINS0_14default_configENS1_38merge_sort_block_merge_config_selectorIlNS0_10empty_typeEEEZZNS1_27merge_sort_block_merge_implIS3_PlPS5_mZN2at6native12_GLOBAL__N_124unique_dim_cuda_templateIjEESt5tupleIJNSA_6TensorESF_SF_EERKSF_lbbbEUlllE_EE10hipError_tT0_T1_T2_jT3_P12ihipStream_tbPNSt15iterator_traitsISL_E10value_typeEPNSR_ISM_E10value_typeEPSN_NS1_7vsmem_tEENKUlT_SL_SM_SN_E_clIS8_S8_S9_S9_EESK_S10_SL_SM_SN_EUlS10_E1_NS1_11comp_targetILNS1_3genE0ELNS1_11target_archE4294967295ELNS1_3gpuE0ELNS1_3repE0EEENS1_36merge_oddeven_config_static_selectorELNS0_4arch9wavefront6targetE1EEEvSM_
		.amdhsa_group_segment_fixed_size 0
		.amdhsa_private_segment_fixed_size 0
		.amdhsa_kernarg_size 64
		.amdhsa_user_sgpr_count 6
		.amdhsa_user_sgpr_private_segment_buffer 1
		.amdhsa_user_sgpr_dispatch_ptr 0
		.amdhsa_user_sgpr_queue_ptr 0
		.amdhsa_user_sgpr_kernarg_segment_ptr 1
		.amdhsa_user_sgpr_dispatch_id 0
		.amdhsa_user_sgpr_flat_scratch_init 0
		.amdhsa_user_sgpr_kernarg_preload_length 0
		.amdhsa_user_sgpr_kernarg_preload_offset 0
		.amdhsa_user_sgpr_private_segment_size 0
		.amdhsa_uses_dynamic_stack 0
		.amdhsa_system_sgpr_private_segment_wavefront_offset 0
		.amdhsa_system_sgpr_workgroup_id_x 1
		.amdhsa_system_sgpr_workgroup_id_y 0
		.amdhsa_system_sgpr_workgroup_id_z 0
		.amdhsa_system_sgpr_workgroup_info 0
		.amdhsa_system_vgpr_workitem_id 0
		.amdhsa_next_free_vgpr 1
		.amdhsa_next_free_sgpr 0
		.amdhsa_accum_offset 4
		.amdhsa_reserve_vcc 0
		.amdhsa_reserve_flat_scratch 0
		.amdhsa_float_round_mode_32 0
		.amdhsa_float_round_mode_16_64 0
		.amdhsa_float_denorm_mode_32 3
		.amdhsa_float_denorm_mode_16_64 3
		.amdhsa_dx10_clamp 1
		.amdhsa_ieee_mode 1
		.amdhsa_fp16_overflow 0
		.amdhsa_tg_split 0
		.amdhsa_exception_fp_ieee_invalid_op 0
		.amdhsa_exception_fp_denorm_src 0
		.amdhsa_exception_fp_ieee_div_zero 0
		.amdhsa_exception_fp_ieee_overflow 0
		.amdhsa_exception_fp_ieee_underflow 0
		.amdhsa_exception_fp_ieee_inexact 0
		.amdhsa_exception_int_div_zero 0
	.end_amdhsa_kernel
	.section	.text._ZN7rocprim17ROCPRIM_400000_NS6detail17trampoline_kernelINS0_14default_configENS1_38merge_sort_block_merge_config_selectorIlNS0_10empty_typeEEEZZNS1_27merge_sort_block_merge_implIS3_PlPS5_mZN2at6native12_GLOBAL__N_124unique_dim_cuda_templateIjEESt5tupleIJNSA_6TensorESF_SF_EERKSF_lbbbEUlllE_EE10hipError_tT0_T1_T2_jT3_P12ihipStream_tbPNSt15iterator_traitsISL_E10value_typeEPNSR_ISM_E10value_typeEPSN_NS1_7vsmem_tEENKUlT_SL_SM_SN_E_clIS8_S8_S9_S9_EESK_S10_SL_SM_SN_EUlS10_E1_NS1_11comp_targetILNS1_3genE0ELNS1_11target_archE4294967295ELNS1_3gpuE0ELNS1_3repE0EEENS1_36merge_oddeven_config_static_selectorELNS0_4arch9wavefront6targetE1EEEvSM_,"axG",@progbits,_ZN7rocprim17ROCPRIM_400000_NS6detail17trampoline_kernelINS0_14default_configENS1_38merge_sort_block_merge_config_selectorIlNS0_10empty_typeEEEZZNS1_27merge_sort_block_merge_implIS3_PlPS5_mZN2at6native12_GLOBAL__N_124unique_dim_cuda_templateIjEESt5tupleIJNSA_6TensorESF_SF_EERKSF_lbbbEUlllE_EE10hipError_tT0_T1_T2_jT3_P12ihipStream_tbPNSt15iterator_traitsISL_E10value_typeEPNSR_ISM_E10value_typeEPSN_NS1_7vsmem_tEENKUlT_SL_SM_SN_E_clIS8_S8_S9_S9_EESK_S10_SL_SM_SN_EUlS10_E1_NS1_11comp_targetILNS1_3genE0ELNS1_11target_archE4294967295ELNS1_3gpuE0ELNS1_3repE0EEENS1_36merge_oddeven_config_static_selectorELNS0_4arch9wavefront6targetE1EEEvSM_,comdat
.Lfunc_end1506:
	.size	_ZN7rocprim17ROCPRIM_400000_NS6detail17trampoline_kernelINS0_14default_configENS1_38merge_sort_block_merge_config_selectorIlNS0_10empty_typeEEEZZNS1_27merge_sort_block_merge_implIS3_PlPS5_mZN2at6native12_GLOBAL__N_124unique_dim_cuda_templateIjEESt5tupleIJNSA_6TensorESF_SF_EERKSF_lbbbEUlllE_EE10hipError_tT0_T1_T2_jT3_P12ihipStream_tbPNSt15iterator_traitsISL_E10value_typeEPNSR_ISM_E10value_typeEPSN_NS1_7vsmem_tEENKUlT_SL_SM_SN_E_clIS8_S8_S9_S9_EESK_S10_SL_SM_SN_EUlS10_E1_NS1_11comp_targetILNS1_3genE0ELNS1_11target_archE4294967295ELNS1_3gpuE0ELNS1_3repE0EEENS1_36merge_oddeven_config_static_selectorELNS0_4arch9wavefront6targetE1EEEvSM_, .Lfunc_end1506-_ZN7rocprim17ROCPRIM_400000_NS6detail17trampoline_kernelINS0_14default_configENS1_38merge_sort_block_merge_config_selectorIlNS0_10empty_typeEEEZZNS1_27merge_sort_block_merge_implIS3_PlPS5_mZN2at6native12_GLOBAL__N_124unique_dim_cuda_templateIjEESt5tupleIJNSA_6TensorESF_SF_EERKSF_lbbbEUlllE_EE10hipError_tT0_T1_T2_jT3_P12ihipStream_tbPNSt15iterator_traitsISL_E10value_typeEPNSR_ISM_E10value_typeEPSN_NS1_7vsmem_tEENKUlT_SL_SM_SN_E_clIS8_S8_S9_S9_EESK_S10_SL_SM_SN_EUlS10_E1_NS1_11comp_targetILNS1_3genE0ELNS1_11target_archE4294967295ELNS1_3gpuE0ELNS1_3repE0EEENS1_36merge_oddeven_config_static_selectorELNS0_4arch9wavefront6targetE1EEEvSM_
                                        ; -- End function
	.section	.AMDGPU.csdata,"",@progbits
; Kernel info:
; codeLenInByte = 0
; NumSgprs: 4
; NumVgprs: 0
; NumAgprs: 0
; TotalNumVgprs: 0
; ScratchSize: 0
; MemoryBound: 0
; FloatMode: 240
; IeeeMode: 1
; LDSByteSize: 0 bytes/workgroup (compile time only)
; SGPRBlocks: 0
; VGPRBlocks: 0
; NumSGPRsForWavesPerEU: 4
; NumVGPRsForWavesPerEU: 1
; AccumOffset: 4
; Occupancy: 8
; WaveLimiterHint : 0
; COMPUTE_PGM_RSRC2:SCRATCH_EN: 0
; COMPUTE_PGM_RSRC2:USER_SGPR: 6
; COMPUTE_PGM_RSRC2:TRAP_HANDLER: 0
; COMPUTE_PGM_RSRC2:TGID_X_EN: 1
; COMPUTE_PGM_RSRC2:TGID_Y_EN: 0
; COMPUTE_PGM_RSRC2:TGID_Z_EN: 0
; COMPUTE_PGM_RSRC2:TIDIG_COMP_CNT: 0
; COMPUTE_PGM_RSRC3_GFX90A:ACCUM_OFFSET: 0
; COMPUTE_PGM_RSRC3_GFX90A:TG_SPLIT: 0
	.section	.text._ZN7rocprim17ROCPRIM_400000_NS6detail17trampoline_kernelINS0_14default_configENS1_38merge_sort_block_merge_config_selectorIlNS0_10empty_typeEEEZZNS1_27merge_sort_block_merge_implIS3_PlPS5_mZN2at6native12_GLOBAL__N_124unique_dim_cuda_templateIjEESt5tupleIJNSA_6TensorESF_SF_EERKSF_lbbbEUlllE_EE10hipError_tT0_T1_T2_jT3_P12ihipStream_tbPNSt15iterator_traitsISL_E10value_typeEPNSR_ISM_E10value_typeEPSN_NS1_7vsmem_tEENKUlT_SL_SM_SN_E_clIS8_S8_S9_S9_EESK_S10_SL_SM_SN_EUlS10_E1_NS1_11comp_targetILNS1_3genE10ELNS1_11target_archE1201ELNS1_3gpuE5ELNS1_3repE0EEENS1_36merge_oddeven_config_static_selectorELNS0_4arch9wavefront6targetE1EEEvSM_,"axG",@progbits,_ZN7rocprim17ROCPRIM_400000_NS6detail17trampoline_kernelINS0_14default_configENS1_38merge_sort_block_merge_config_selectorIlNS0_10empty_typeEEEZZNS1_27merge_sort_block_merge_implIS3_PlPS5_mZN2at6native12_GLOBAL__N_124unique_dim_cuda_templateIjEESt5tupleIJNSA_6TensorESF_SF_EERKSF_lbbbEUlllE_EE10hipError_tT0_T1_T2_jT3_P12ihipStream_tbPNSt15iterator_traitsISL_E10value_typeEPNSR_ISM_E10value_typeEPSN_NS1_7vsmem_tEENKUlT_SL_SM_SN_E_clIS8_S8_S9_S9_EESK_S10_SL_SM_SN_EUlS10_E1_NS1_11comp_targetILNS1_3genE10ELNS1_11target_archE1201ELNS1_3gpuE5ELNS1_3repE0EEENS1_36merge_oddeven_config_static_selectorELNS0_4arch9wavefront6targetE1EEEvSM_,comdat
	.globl	_ZN7rocprim17ROCPRIM_400000_NS6detail17trampoline_kernelINS0_14default_configENS1_38merge_sort_block_merge_config_selectorIlNS0_10empty_typeEEEZZNS1_27merge_sort_block_merge_implIS3_PlPS5_mZN2at6native12_GLOBAL__N_124unique_dim_cuda_templateIjEESt5tupleIJNSA_6TensorESF_SF_EERKSF_lbbbEUlllE_EE10hipError_tT0_T1_T2_jT3_P12ihipStream_tbPNSt15iterator_traitsISL_E10value_typeEPNSR_ISM_E10value_typeEPSN_NS1_7vsmem_tEENKUlT_SL_SM_SN_E_clIS8_S8_S9_S9_EESK_S10_SL_SM_SN_EUlS10_E1_NS1_11comp_targetILNS1_3genE10ELNS1_11target_archE1201ELNS1_3gpuE5ELNS1_3repE0EEENS1_36merge_oddeven_config_static_selectorELNS0_4arch9wavefront6targetE1EEEvSM_ ; -- Begin function _ZN7rocprim17ROCPRIM_400000_NS6detail17trampoline_kernelINS0_14default_configENS1_38merge_sort_block_merge_config_selectorIlNS0_10empty_typeEEEZZNS1_27merge_sort_block_merge_implIS3_PlPS5_mZN2at6native12_GLOBAL__N_124unique_dim_cuda_templateIjEESt5tupleIJNSA_6TensorESF_SF_EERKSF_lbbbEUlllE_EE10hipError_tT0_T1_T2_jT3_P12ihipStream_tbPNSt15iterator_traitsISL_E10value_typeEPNSR_ISM_E10value_typeEPSN_NS1_7vsmem_tEENKUlT_SL_SM_SN_E_clIS8_S8_S9_S9_EESK_S10_SL_SM_SN_EUlS10_E1_NS1_11comp_targetILNS1_3genE10ELNS1_11target_archE1201ELNS1_3gpuE5ELNS1_3repE0EEENS1_36merge_oddeven_config_static_selectorELNS0_4arch9wavefront6targetE1EEEvSM_
	.p2align	8
	.type	_ZN7rocprim17ROCPRIM_400000_NS6detail17trampoline_kernelINS0_14default_configENS1_38merge_sort_block_merge_config_selectorIlNS0_10empty_typeEEEZZNS1_27merge_sort_block_merge_implIS3_PlPS5_mZN2at6native12_GLOBAL__N_124unique_dim_cuda_templateIjEESt5tupleIJNSA_6TensorESF_SF_EERKSF_lbbbEUlllE_EE10hipError_tT0_T1_T2_jT3_P12ihipStream_tbPNSt15iterator_traitsISL_E10value_typeEPNSR_ISM_E10value_typeEPSN_NS1_7vsmem_tEENKUlT_SL_SM_SN_E_clIS8_S8_S9_S9_EESK_S10_SL_SM_SN_EUlS10_E1_NS1_11comp_targetILNS1_3genE10ELNS1_11target_archE1201ELNS1_3gpuE5ELNS1_3repE0EEENS1_36merge_oddeven_config_static_selectorELNS0_4arch9wavefront6targetE1EEEvSM_,@function
_ZN7rocprim17ROCPRIM_400000_NS6detail17trampoline_kernelINS0_14default_configENS1_38merge_sort_block_merge_config_selectorIlNS0_10empty_typeEEEZZNS1_27merge_sort_block_merge_implIS3_PlPS5_mZN2at6native12_GLOBAL__N_124unique_dim_cuda_templateIjEESt5tupleIJNSA_6TensorESF_SF_EERKSF_lbbbEUlllE_EE10hipError_tT0_T1_T2_jT3_P12ihipStream_tbPNSt15iterator_traitsISL_E10value_typeEPNSR_ISM_E10value_typeEPSN_NS1_7vsmem_tEENKUlT_SL_SM_SN_E_clIS8_S8_S9_S9_EESK_S10_SL_SM_SN_EUlS10_E1_NS1_11comp_targetILNS1_3genE10ELNS1_11target_archE1201ELNS1_3gpuE5ELNS1_3repE0EEENS1_36merge_oddeven_config_static_selectorELNS0_4arch9wavefront6targetE1EEEvSM_: ; @_ZN7rocprim17ROCPRIM_400000_NS6detail17trampoline_kernelINS0_14default_configENS1_38merge_sort_block_merge_config_selectorIlNS0_10empty_typeEEEZZNS1_27merge_sort_block_merge_implIS3_PlPS5_mZN2at6native12_GLOBAL__N_124unique_dim_cuda_templateIjEESt5tupleIJNSA_6TensorESF_SF_EERKSF_lbbbEUlllE_EE10hipError_tT0_T1_T2_jT3_P12ihipStream_tbPNSt15iterator_traitsISL_E10value_typeEPNSR_ISM_E10value_typeEPSN_NS1_7vsmem_tEENKUlT_SL_SM_SN_E_clIS8_S8_S9_S9_EESK_S10_SL_SM_SN_EUlS10_E1_NS1_11comp_targetILNS1_3genE10ELNS1_11target_archE1201ELNS1_3gpuE5ELNS1_3repE0EEENS1_36merge_oddeven_config_static_selectorELNS0_4arch9wavefront6targetE1EEEvSM_
; %bb.0:
	.section	.rodata,"a",@progbits
	.p2align	6, 0x0
	.amdhsa_kernel _ZN7rocprim17ROCPRIM_400000_NS6detail17trampoline_kernelINS0_14default_configENS1_38merge_sort_block_merge_config_selectorIlNS0_10empty_typeEEEZZNS1_27merge_sort_block_merge_implIS3_PlPS5_mZN2at6native12_GLOBAL__N_124unique_dim_cuda_templateIjEESt5tupleIJNSA_6TensorESF_SF_EERKSF_lbbbEUlllE_EE10hipError_tT0_T1_T2_jT3_P12ihipStream_tbPNSt15iterator_traitsISL_E10value_typeEPNSR_ISM_E10value_typeEPSN_NS1_7vsmem_tEENKUlT_SL_SM_SN_E_clIS8_S8_S9_S9_EESK_S10_SL_SM_SN_EUlS10_E1_NS1_11comp_targetILNS1_3genE10ELNS1_11target_archE1201ELNS1_3gpuE5ELNS1_3repE0EEENS1_36merge_oddeven_config_static_selectorELNS0_4arch9wavefront6targetE1EEEvSM_
		.amdhsa_group_segment_fixed_size 0
		.amdhsa_private_segment_fixed_size 0
		.amdhsa_kernarg_size 64
		.amdhsa_user_sgpr_count 6
		.amdhsa_user_sgpr_private_segment_buffer 1
		.amdhsa_user_sgpr_dispatch_ptr 0
		.amdhsa_user_sgpr_queue_ptr 0
		.amdhsa_user_sgpr_kernarg_segment_ptr 1
		.amdhsa_user_sgpr_dispatch_id 0
		.amdhsa_user_sgpr_flat_scratch_init 0
		.amdhsa_user_sgpr_kernarg_preload_length 0
		.amdhsa_user_sgpr_kernarg_preload_offset 0
		.amdhsa_user_sgpr_private_segment_size 0
		.amdhsa_uses_dynamic_stack 0
		.amdhsa_system_sgpr_private_segment_wavefront_offset 0
		.amdhsa_system_sgpr_workgroup_id_x 1
		.amdhsa_system_sgpr_workgroup_id_y 0
		.amdhsa_system_sgpr_workgroup_id_z 0
		.amdhsa_system_sgpr_workgroup_info 0
		.amdhsa_system_vgpr_workitem_id 0
		.amdhsa_next_free_vgpr 1
		.amdhsa_next_free_sgpr 0
		.amdhsa_accum_offset 4
		.amdhsa_reserve_vcc 0
		.amdhsa_reserve_flat_scratch 0
		.amdhsa_float_round_mode_32 0
		.amdhsa_float_round_mode_16_64 0
		.amdhsa_float_denorm_mode_32 3
		.amdhsa_float_denorm_mode_16_64 3
		.amdhsa_dx10_clamp 1
		.amdhsa_ieee_mode 1
		.amdhsa_fp16_overflow 0
		.amdhsa_tg_split 0
		.amdhsa_exception_fp_ieee_invalid_op 0
		.amdhsa_exception_fp_denorm_src 0
		.amdhsa_exception_fp_ieee_div_zero 0
		.amdhsa_exception_fp_ieee_overflow 0
		.amdhsa_exception_fp_ieee_underflow 0
		.amdhsa_exception_fp_ieee_inexact 0
		.amdhsa_exception_int_div_zero 0
	.end_amdhsa_kernel
	.section	.text._ZN7rocprim17ROCPRIM_400000_NS6detail17trampoline_kernelINS0_14default_configENS1_38merge_sort_block_merge_config_selectorIlNS0_10empty_typeEEEZZNS1_27merge_sort_block_merge_implIS3_PlPS5_mZN2at6native12_GLOBAL__N_124unique_dim_cuda_templateIjEESt5tupleIJNSA_6TensorESF_SF_EERKSF_lbbbEUlllE_EE10hipError_tT0_T1_T2_jT3_P12ihipStream_tbPNSt15iterator_traitsISL_E10value_typeEPNSR_ISM_E10value_typeEPSN_NS1_7vsmem_tEENKUlT_SL_SM_SN_E_clIS8_S8_S9_S9_EESK_S10_SL_SM_SN_EUlS10_E1_NS1_11comp_targetILNS1_3genE10ELNS1_11target_archE1201ELNS1_3gpuE5ELNS1_3repE0EEENS1_36merge_oddeven_config_static_selectorELNS0_4arch9wavefront6targetE1EEEvSM_,"axG",@progbits,_ZN7rocprim17ROCPRIM_400000_NS6detail17trampoline_kernelINS0_14default_configENS1_38merge_sort_block_merge_config_selectorIlNS0_10empty_typeEEEZZNS1_27merge_sort_block_merge_implIS3_PlPS5_mZN2at6native12_GLOBAL__N_124unique_dim_cuda_templateIjEESt5tupleIJNSA_6TensorESF_SF_EERKSF_lbbbEUlllE_EE10hipError_tT0_T1_T2_jT3_P12ihipStream_tbPNSt15iterator_traitsISL_E10value_typeEPNSR_ISM_E10value_typeEPSN_NS1_7vsmem_tEENKUlT_SL_SM_SN_E_clIS8_S8_S9_S9_EESK_S10_SL_SM_SN_EUlS10_E1_NS1_11comp_targetILNS1_3genE10ELNS1_11target_archE1201ELNS1_3gpuE5ELNS1_3repE0EEENS1_36merge_oddeven_config_static_selectorELNS0_4arch9wavefront6targetE1EEEvSM_,comdat
.Lfunc_end1507:
	.size	_ZN7rocprim17ROCPRIM_400000_NS6detail17trampoline_kernelINS0_14default_configENS1_38merge_sort_block_merge_config_selectorIlNS0_10empty_typeEEEZZNS1_27merge_sort_block_merge_implIS3_PlPS5_mZN2at6native12_GLOBAL__N_124unique_dim_cuda_templateIjEESt5tupleIJNSA_6TensorESF_SF_EERKSF_lbbbEUlllE_EE10hipError_tT0_T1_T2_jT3_P12ihipStream_tbPNSt15iterator_traitsISL_E10value_typeEPNSR_ISM_E10value_typeEPSN_NS1_7vsmem_tEENKUlT_SL_SM_SN_E_clIS8_S8_S9_S9_EESK_S10_SL_SM_SN_EUlS10_E1_NS1_11comp_targetILNS1_3genE10ELNS1_11target_archE1201ELNS1_3gpuE5ELNS1_3repE0EEENS1_36merge_oddeven_config_static_selectorELNS0_4arch9wavefront6targetE1EEEvSM_, .Lfunc_end1507-_ZN7rocprim17ROCPRIM_400000_NS6detail17trampoline_kernelINS0_14default_configENS1_38merge_sort_block_merge_config_selectorIlNS0_10empty_typeEEEZZNS1_27merge_sort_block_merge_implIS3_PlPS5_mZN2at6native12_GLOBAL__N_124unique_dim_cuda_templateIjEESt5tupleIJNSA_6TensorESF_SF_EERKSF_lbbbEUlllE_EE10hipError_tT0_T1_T2_jT3_P12ihipStream_tbPNSt15iterator_traitsISL_E10value_typeEPNSR_ISM_E10value_typeEPSN_NS1_7vsmem_tEENKUlT_SL_SM_SN_E_clIS8_S8_S9_S9_EESK_S10_SL_SM_SN_EUlS10_E1_NS1_11comp_targetILNS1_3genE10ELNS1_11target_archE1201ELNS1_3gpuE5ELNS1_3repE0EEENS1_36merge_oddeven_config_static_selectorELNS0_4arch9wavefront6targetE1EEEvSM_
                                        ; -- End function
	.section	.AMDGPU.csdata,"",@progbits
; Kernel info:
; codeLenInByte = 0
; NumSgprs: 4
; NumVgprs: 0
; NumAgprs: 0
; TotalNumVgprs: 0
; ScratchSize: 0
; MemoryBound: 0
; FloatMode: 240
; IeeeMode: 1
; LDSByteSize: 0 bytes/workgroup (compile time only)
; SGPRBlocks: 0
; VGPRBlocks: 0
; NumSGPRsForWavesPerEU: 4
; NumVGPRsForWavesPerEU: 1
; AccumOffset: 4
; Occupancy: 8
; WaveLimiterHint : 0
; COMPUTE_PGM_RSRC2:SCRATCH_EN: 0
; COMPUTE_PGM_RSRC2:USER_SGPR: 6
; COMPUTE_PGM_RSRC2:TRAP_HANDLER: 0
; COMPUTE_PGM_RSRC2:TGID_X_EN: 1
; COMPUTE_PGM_RSRC2:TGID_Y_EN: 0
; COMPUTE_PGM_RSRC2:TGID_Z_EN: 0
; COMPUTE_PGM_RSRC2:TIDIG_COMP_CNT: 0
; COMPUTE_PGM_RSRC3_GFX90A:ACCUM_OFFSET: 0
; COMPUTE_PGM_RSRC3_GFX90A:TG_SPLIT: 0
	.section	.text._ZN7rocprim17ROCPRIM_400000_NS6detail17trampoline_kernelINS0_14default_configENS1_38merge_sort_block_merge_config_selectorIlNS0_10empty_typeEEEZZNS1_27merge_sort_block_merge_implIS3_PlPS5_mZN2at6native12_GLOBAL__N_124unique_dim_cuda_templateIjEESt5tupleIJNSA_6TensorESF_SF_EERKSF_lbbbEUlllE_EE10hipError_tT0_T1_T2_jT3_P12ihipStream_tbPNSt15iterator_traitsISL_E10value_typeEPNSR_ISM_E10value_typeEPSN_NS1_7vsmem_tEENKUlT_SL_SM_SN_E_clIS8_S8_S9_S9_EESK_S10_SL_SM_SN_EUlS10_E1_NS1_11comp_targetILNS1_3genE5ELNS1_11target_archE942ELNS1_3gpuE9ELNS1_3repE0EEENS1_36merge_oddeven_config_static_selectorELNS0_4arch9wavefront6targetE1EEEvSM_,"axG",@progbits,_ZN7rocprim17ROCPRIM_400000_NS6detail17trampoline_kernelINS0_14default_configENS1_38merge_sort_block_merge_config_selectorIlNS0_10empty_typeEEEZZNS1_27merge_sort_block_merge_implIS3_PlPS5_mZN2at6native12_GLOBAL__N_124unique_dim_cuda_templateIjEESt5tupleIJNSA_6TensorESF_SF_EERKSF_lbbbEUlllE_EE10hipError_tT0_T1_T2_jT3_P12ihipStream_tbPNSt15iterator_traitsISL_E10value_typeEPNSR_ISM_E10value_typeEPSN_NS1_7vsmem_tEENKUlT_SL_SM_SN_E_clIS8_S8_S9_S9_EESK_S10_SL_SM_SN_EUlS10_E1_NS1_11comp_targetILNS1_3genE5ELNS1_11target_archE942ELNS1_3gpuE9ELNS1_3repE0EEENS1_36merge_oddeven_config_static_selectorELNS0_4arch9wavefront6targetE1EEEvSM_,comdat
	.globl	_ZN7rocprim17ROCPRIM_400000_NS6detail17trampoline_kernelINS0_14default_configENS1_38merge_sort_block_merge_config_selectorIlNS0_10empty_typeEEEZZNS1_27merge_sort_block_merge_implIS3_PlPS5_mZN2at6native12_GLOBAL__N_124unique_dim_cuda_templateIjEESt5tupleIJNSA_6TensorESF_SF_EERKSF_lbbbEUlllE_EE10hipError_tT0_T1_T2_jT3_P12ihipStream_tbPNSt15iterator_traitsISL_E10value_typeEPNSR_ISM_E10value_typeEPSN_NS1_7vsmem_tEENKUlT_SL_SM_SN_E_clIS8_S8_S9_S9_EESK_S10_SL_SM_SN_EUlS10_E1_NS1_11comp_targetILNS1_3genE5ELNS1_11target_archE942ELNS1_3gpuE9ELNS1_3repE0EEENS1_36merge_oddeven_config_static_selectorELNS0_4arch9wavefront6targetE1EEEvSM_ ; -- Begin function _ZN7rocprim17ROCPRIM_400000_NS6detail17trampoline_kernelINS0_14default_configENS1_38merge_sort_block_merge_config_selectorIlNS0_10empty_typeEEEZZNS1_27merge_sort_block_merge_implIS3_PlPS5_mZN2at6native12_GLOBAL__N_124unique_dim_cuda_templateIjEESt5tupleIJNSA_6TensorESF_SF_EERKSF_lbbbEUlllE_EE10hipError_tT0_T1_T2_jT3_P12ihipStream_tbPNSt15iterator_traitsISL_E10value_typeEPNSR_ISM_E10value_typeEPSN_NS1_7vsmem_tEENKUlT_SL_SM_SN_E_clIS8_S8_S9_S9_EESK_S10_SL_SM_SN_EUlS10_E1_NS1_11comp_targetILNS1_3genE5ELNS1_11target_archE942ELNS1_3gpuE9ELNS1_3repE0EEENS1_36merge_oddeven_config_static_selectorELNS0_4arch9wavefront6targetE1EEEvSM_
	.p2align	8
	.type	_ZN7rocprim17ROCPRIM_400000_NS6detail17trampoline_kernelINS0_14default_configENS1_38merge_sort_block_merge_config_selectorIlNS0_10empty_typeEEEZZNS1_27merge_sort_block_merge_implIS3_PlPS5_mZN2at6native12_GLOBAL__N_124unique_dim_cuda_templateIjEESt5tupleIJNSA_6TensorESF_SF_EERKSF_lbbbEUlllE_EE10hipError_tT0_T1_T2_jT3_P12ihipStream_tbPNSt15iterator_traitsISL_E10value_typeEPNSR_ISM_E10value_typeEPSN_NS1_7vsmem_tEENKUlT_SL_SM_SN_E_clIS8_S8_S9_S9_EESK_S10_SL_SM_SN_EUlS10_E1_NS1_11comp_targetILNS1_3genE5ELNS1_11target_archE942ELNS1_3gpuE9ELNS1_3repE0EEENS1_36merge_oddeven_config_static_selectorELNS0_4arch9wavefront6targetE1EEEvSM_,@function
_ZN7rocprim17ROCPRIM_400000_NS6detail17trampoline_kernelINS0_14default_configENS1_38merge_sort_block_merge_config_selectorIlNS0_10empty_typeEEEZZNS1_27merge_sort_block_merge_implIS3_PlPS5_mZN2at6native12_GLOBAL__N_124unique_dim_cuda_templateIjEESt5tupleIJNSA_6TensorESF_SF_EERKSF_lbbbEUlllE_EE10hipError_tT0_T1_T2_jT3_P12ihipStream_tbPNSt15iterator_traitsISL_E10value_typeEPNSR_ISM_E10value_typeEPSN_NS1_7vsmem_tEENKUlT_SL_SM_SN_E_clIS8_S8_S9_S9_EESK_S10_SL_SM_SN_EUlS10_E1_NS1_11comp_targetILNS1_3genE5ELNS1_11target_archE942ELNS1_3gpuE9ELNS1_3repE0EEENS1_36merge_oddeven_config_static_selectorELNS0_4arch9wavefront6targetE1EEEvSM_: ; @_ZN7rocprim17ROCPRIM_400000_NS6detail17trampoline_kernelINS0_14default_configENS1_38merge_sort_block_merge_config_selectorIlNS0_10empty_typeEEEZZNS1_27merge_sort_block_merge_implIS3_PlPS5_mZN2at6native12_GLOBAL__N_124unique_dim_cuda_templateIjEESt5tupleIJNSA_6TensorESF_SF_EERKSF_lbbbEUlllE_EE10hipError_tT0_T1_T2_jT3_P12ihipStream_tbPNSt15iterator_traitsISL_E10value_typeEPNSR_ISM_E10value_typeEPSN_NS1_7vsmem_tEENKUlT_SL_SM_SN_E_clIS8_S8_S9_S9_EESK_S10_SL_SM_SN_EUlS10_E1_NS1_11comp_targetILNS1_3genE5ELNS1_11target_archE942ELNS1_3gpuE9ELNS1_3repE0EEENS1_36merge_oddeven_config_static_selectorELNS0_4arch9wavefront6targetE1EEEvSM_
; %bb.0:
	.section	.rodata,"a",@progbits
	.p2align	6, 0x0
	.amdhsa_kernel _ZN7rocprim17ROCPRIM_400000_NS6detail17trampoline_kernelINS0_14default_configENS1_38merge_sort_block_merge_config_selectorIlNS0_10empty_typeEEEZZNS1_27merge_sort_block_merge_implIS3_PlPS5_mZN2at6native12_GLOBAL__N_124unique_dim_cuda_templateIjEESt5tupleIJNSA_6TensorESF_SF_EERKSF_lbbbEUlllE_EE10hipError_tT0_T1_T2_jT3_P12ihipStream_tbPNSt15iterator_traitsISL_E10value_typeEPNSR_ISM_E10value_typeEPSN_NS1_7vsmem_tEENKUlT_SL_SM_SN_E_clIS8_S8_S9_S9_EESK_S10_SL_SM_SN_EUlS10_E1_NS1_11comp_targetILNS1_3genE5ELNS1_11target_archE942ELNS1_3gpuE9ELNS1_3repE0EEENS1_36merge_oddeven_config_static_selectorELNS0_4arch9wavefront6targetE1EEEvSM_
		.amdhsa_group_segment_fixed_size 0
		.amdhsa_private_segment_fixed_size 0
		.amdhsa_kernarg_size 64
		.amdhsa_user_sgpr_count 6
		.amdhsa_user_sgpr_private_segment_buffer 1
		.amdhsa_user_sgpr_dispatch_ptr 0
		.amdhsa_user_sgpr_queue_ptr 0
		.amdhsa_user_sgpr_kernarg_segment_ptr 1
		.amdhsa_user_sgpr_dispatch_id 0
		.amdhsa_user_sgpr_flat_scratch_init 0
		.amdhsa_user_sgpr_kernarg_preload_length 0
		.amdhsa_user_sgpr_kernarg_preload_offset 0
		.amdhsa_user_sgpr_private_segment_size 0
		.amdhsa_uses_dynamic_stack 0
		.amdhsa_system_sgpr_private_segment_wavefront_offset 0
		.amdhsa_system_sgpr_workgroup_id_x 1
		.amdhsa_system_sgpr_workgroup_id_y 0
		.amdhsa_system_sgpr_workgroup_id_z 0
		.amdhsa_system_sgpr_workgroup_info 0
		.amdhsa_system_vgpr_workitem_id 0
		.amdhsa_next_free_vgpr 1
		.amdhsa_next_free_sgpr 0
		.amdhsa_accum_offset 4
		.amdhsa_reserve_vcc 0
		.amdhsa_reserve_flat_scratch 0
		.amdhsa_float_round_mode_32 0
		.amdhsa_float_round_mode_16_64 0
		.amdhsa_float_denorm_mode_32 3
		.amdhsa_float_denorm_mode_16_64 3
		.amdhsa_dx10_clamp 1
		.amdhsa_ieee_mode 1
		.amdhsa_fp16_overflow 0
		.amdhsa_tg_split 0
		.amdhsa_exception_fp_ieee_invalid_op 0
		.amdhsa_exception_fp_denorm_src 0
		.amdhsa_exception_fp_ieee_div_zero 0
		.amdhsa_exception_fp_ieee_overflow 0
		.amdhsa_exception_fp_ieee_underflow 0
		.amdhsa_exception_fp_ieee_inexact 0
		.amdhsa_exception_int_div_zero 0
	.end_amdhsa_kernel
	.section	.text._ZN7rocprim17ROCPRIM_400000_NS6detail17trampoline_kernelINS0_14default_configENS1_38merge_sort_block_merge_config_selectorIlNS0_10empty_typeEEEZZNS1_27merge_sort_block_merge_implIS3_PlPS5_mZN2at6native12_GLOBAL__N_124unique_dim_cuda_templateIjEESt5tupleIJNSA_6TensorESF_SF_EERKSF_lbbbEUlllE_EE10hipError_tT0_T1_T2_jT3_P12ihipStream_tbPNSt15iterator_traitsISL_E10value_typeEPNSR_ISM_E10value_typeEPSN_NS1_7vsmem_tEENKUlT_SL_SM_SN_E_clIS8_S8_S9_S9_EESK_S10_SL_SM_SN_EUlS10_E1_NS1_11comp_targetILNS1_3genE5ELNS1_11target_archE942ELNS1_3gpuE9ELNS1_3repE0EEENS1_36merge_oddeven_config_static_selectorELNS0_4arch9wavefront6targetE1EEEvSM_,"axG",@progbits,_ZN7rocprim17ROCPRIM_400000_NS6detail17trampoline_kernelINS0_14default_configENS1_38merge_sort_block_merge_config_selectorIlNS0_10empty_typeEEEZZNS1_27merge_sort_block_merge_implIS3_PlPS5_mZN2at6native12_GLOBAL__N_124unique_dim_cuda_templateIjEESt5tupleIJNSA_6TensorESF_SF_EERKSF_lbbbEUlllE_EE10hipError_tT0_T1_T2_jT3_P12ihipStream_tbPNSt15iterator_traitsISL_E10value_typeEPNSR_ISM_E10value_typeEPSN_NS1_7vsmem_tEENKUlT_SL_SM_SN_E_clIS8_S8_S9_S9_EESK_S10_SL_SM_SN_EUlS10_E1_NS1_11comp_targetILNS1_3genE5ELNS1_11target_archE942ELNS1_3gpuE9ELNS1_3repE0EEENS1_36merge_oddeven_config_static_selectorELNS0_4arch9wavefront6targetE1EEEvSM_,comdat
.Lfunc_end1508:
	.size	_ZN7rocprim17ROCPRIM_400000_NS6detail17trampoline_kernelINS0_14default_configENS1_38merge_sort_block_merge_config_selectorIlNS0_10empty_typeEEEZZNS1_27merge_sort_block_merge_implIS3_PlPS5_mZN2at6native12_GLOBAL__N_124unique_dim_cuda_templateIjEESt5tupleIJNSA_6TensorESF_SF_EERKSF_lbbbEUlllE_EE10hipError_tT0_T1_T2_jT3_P12ihipStream_tbPNSt15iterator_traitsISL_E10value_typeEPNSR_ISM_E10value_typeEPSN_NS1_7vsmem_tEENKUlT_SL_SM_SN_E_clIS8_S8_S9_S9_EESK_S10_SL_SM_SN_EUlS10_E1_NS1_11comp_targetILNS1_3genE5ELNS1_11target_archE942ELNS1_3gpuE9ELNS1_3repE0EEENS1_36merge_oddeven_config_static_selectorELNS0_4arch9wavefront6targetE1EEEvSM_, .Lfunc_end1508-_ZN7rocprim17ROCPRIM_400000_NS6detail17trampoline_kernelINS0_14default_configENS1_38merge_sort_block_merge_config_selectorIlNS0_10empty_typeEEEZZNS1_27merge_sort_block_merge_implIS3_PlPS5_mZN2at6native12_GLOBAL__N_124unique_dim_cuda_templateIjEESt5tupleIJNSA_6TensorESF_SF_EERKSF_lbbbEUlllE_EE10hipError_tT0_T1_T2_jT3_P12ihipStream_tbPNSt15iterator_traitsISL_E10value_typeEPNSR_ISM_E10value_typeEPSN_NS1_7vsmem_tEENKUlT_SL_SM_SN_E_clIS8_S8_S9_S9_EESK_S10_SL_SM_SN_EUlS10_E1_NS1_11comp_targetILNS1_3genE5ELNS1_11target_archE942ELNS1_3gpuE9ELNS1_3repE0EEENS1_36merge_oddeven_config_static_selectorELNS0_4arch9wavefront6targetE1EEEvSM_
                                        ; -- End function
	.section	.AMDGPU.csdata,"",@progbits
; Kernel info:
; codeLenInByte = 0
; NumSgprs: 4
; NumVgprs: 0
; NumAgprs: 0
; TotalNumVgprs: 0
; ScratchSize: 0
; MemoryBound: 0
; FloatMode: 240
; IeeeMode: 1
; LDSByteSize: 0 bytes/workgroup (compile time only)
; SGPRBlocks: 0
; VGPRBlocks: 0
; NumSGPRsForWavesPerEU: 4
; NumVGPRsForWavesPerEU: 1
; AccumOffset: 4
; Occupancy: 8
; WaveLimiterHint : 0
; COMPUTE_PGM_RSRC2:SCRATCH_EN: 0
; COMPUTE_PGM_RSRC2:USER_SGPR: 6
; COMPUTE_PGM_RSRC2:TRAP_HANDLER: 0
; COMPUTE_PGM_RSRC2:TGID_X_EN: 1
; COMPUTE_PGM_RSRC2:TGID_Y_EN: 0
; COMPUTE_PGM_RSRC2:TGID_Z_EN: 0
; COMPUTE_PGM_RSRC2:TIDIG_COMP_CNT: 0
; COMPUTE_PGM_RSRC3_GFX90A:ACCUM_OFFSET: 0
; COMPUTE_PGM_RSRC3_GFX90A:TG_SPLIT: 0
	.section	.text._ZN7rocprim17ROCPRIM_400000_NS6detail17trampoline_kernelINS0_14default_configENS1_38merge_sort_block_merge_config_selectorIlNS0_10empty_typeEEEZZNS1_27merge_sort_block_merge_implIS3_PlPS5_mZN2at6native12_GLOBAL__N_124unique_dim_cuda_templateIjEESt5tupleIJNSA_6TensorESF_SF_EERKSF_lbbbEUlllE_EE10hipError_tT0_T1_T2_jT3_P12ihipStream_tbPNSt15iterator_traitsISL_E10value_typeEPNSR_ISM_E10value_typeEPSN_NS1_7vsmem_tEENKUlT_SL_SM_SN_E_clIS8_S8_S9_S9_EESK_S10_SL_SM_SN_EUlS10_E1_NS1_11comp_targetILNS1_3genE4ELNS1_11target_archE910ELNS1_3gpuE8ELNS1_3repE0EEENS1_36merge_oddeven_config_static_selectorELNS0_4arch9wavefront6targetE1EEEvSM_,"axG",@progbits,_ZN7rocprim17ROCPRIM_400000_NS6detail17trampoline_kernelINS0_14default_configENS1_38merge_sort_block_merge_config_selectorIlNS0_10empty_typeEEEZZNS1_27merge_sort_block_merge_implIS3_PlPS5_mZN2at6native12_GLOBAL__N_124unique_dim_cuda_templateIjEESt5tupleIJNSA_6TensorESF_SF_EERKSF_lbbbEUlllE_EE10hipError_tT0_T1_T2_jT3_P12ihipStream_tbPNSt15iterator_traitsISL_E10value_typeEPNSR_ISM_E10value_typeEPSN_NS1_7vsmem_tEENKUlT_SL_SM_SN_E_clIS8_S8_S9_S9_EESK_S10_SL_SM_SN_EUlS10_E1_NS1_11comp_targetILNS1_3genE4ELNS1_11target_archE910ELNS1_3gpuE8ELNS1_3repE0EEENS1_36merge_oddeven_config_static_selectorELNS0_4arch9wavefront6targetE1EEEvSM_,comdat
	.globl	_ZN7rocprim17ROCPRIM_400000_NS6detail17trampoline_kernelINS0_14default_configENS1_38merge_sort_block_merge_config_selectorIlNS0_10empty_typeEEEZZNS1_27merge_sort_block_merge_implIS3_PlPS5_mZN2at6native12_GLOBAL__N_124unique_dim_cuda_templateIjEESt5tupleIJNSA_6TensorESF_SF_EERKSF_lbbbEUlllE_EE10hipError_tT0_T1_T2_jT3_P12ihipStream_tbPNSt15iterator_traitsISL_E10value_typeEPNSR_ISM_E10value_typeEPSN_NS1_7vsmem_tEENKUlT_SL_SM_SN_E_clIS8_S8_S9_S9_EESK_S10_SL_SM_SN_EUlS10_E1_NS1_11comp_targetILNS1_3genE4ELNS1_11target_archE910ELNS1_3gpuE8ELNS1_3repE0EEENS1_36merge_oddeven_config_static_selectorELNS0_4arch9wavefront6targetE1EEEvSM_ ; -- Begin function _ZN7rocprim17ROCPRIM_400000_NS6detail17trampoline_kernelINS0_14default_configENS1_38merge_sort_block_merge_config_selectorIlNS0_10empty_typeEEEZZNS1_27merge_sort_block_merge_implIS3_PlPS5_mZN2at6native12_GLOBAL__N_124unique_dim_cuda_templateIjEESt5tupleIJNSA_6TensorESF_SF_EERKSF_lbbbEUlllE_EE10hipError_tT0_T1_T2_jT3_P12ihipStream_tbPNSt15iterator_traitsISL_E10value_typeEPNSR_ISM_E10value_typeEPSN_NS1_7vsmem_tEENKUlT_SL_SM_SN_E_clIS8_S8_S9_S9_EESK_S10_SL_SM_SN_EUlS10_E1_NS1_11comp_targetILNS1_3genE4ELNS1_11target_archE910ELNS1_3gpuE8ELNS1_3repE0EEENS1_36merge_oddeven_config_static_selectorELNS0_4arch9wavefront6targetE1EEEvSM_
	.p2align	8
	.type	_ZN7rocprim17ROCPRIM_400000_NS6detail17trampoline_kernelINS0_14default_configENS1_38merge_sort_block_merge_config_selectorIlNS0_10empty_typeEEEZZNS1_27merge_sort_block_merge_implIS3_PlPS5_mZN2at6native12_GLOBAL__N_124unique_dim_cuda_templateIjEESt5tupleIJNSA_6TensorESF_SF_EERKSF_lbbbEUlllE_EE10hipError_tT0_T1_T2_jT3_P12ihipStream_tbPNSt15iterator_traitsISL_E10value_typeEPNSR_ISM_E10value_typeEPSN_NS1_7vsmem_tEENKUlT_SL_SM_SN_E_clIS8_S8_S9_S9_EESK_S10_SL_SM_SN_EUlS10_E1_NS1_11comp_targetILNS1_3genE4ELNS1_11target_archE910ELNS1_3gpuE8ELNS1_3repE0EEENS1_36merge_oddeven_config_static_selectorELNS0_4arch9wavefront6targetE1EEEvSM_,@function
_ZN7rocprim17ROCPRIM_400000_NS6detail17trampoline_kernelINS0_14default_configENS1_38merge_sort_block_merge_config_selectorIlNS0_10empty_typeEEEZZNS1_27merge_sort_block_merge_implIS3_PlPS5_mZN2at6native12_GLOBAL__N_124unique_dim_cuda_templateIjEESt5tupleIJNSA_6TensorESF_SF_EERKSF_lbbbEUlllE_EE10hipError_tT0_T1_T2_jT3_P12ihipStream_tbPNSt15iterator_traitsISL_E10value_typeEPNSR_ISM_E10value_typeEPSN_NS1_7vsmem_tEENKUlT_SL_SM_SN_E_clIS8_S8_S9_S9_EESK_S10_SL_SM_SN_EUlS10_E1_NS1_11comp_targetILNS1_3genE4ELNS1_11target_archE910ELNS1_3gpuE8ELNS1_3repE0EEENS1_36merge_oddeven_config_static_selectorELNS0_4arch9wavefront6targetE1EEEvSM_: ; @_ZN7rocprim17ROCPRIM_400000_NS6detail17trampoline_kernelINS0_14default_configENS1_38merge_sort_block_merge_config_selectorIlNS0_10empty_typeEEEZZNS1_27merge_sort_block_merge_implIS3_PlPS5_mZN2at6native12_GLOBAL__N_124unique_dim_cuda_templateIjEESt5tupleIJNSA_6TensorESF_SF_EERKSF_lbbbEUlllE_EE10hipError_tT0_T1_T2_jT3_P12ihipStream_tbPNSt15iterator_traitsISL_E10value_typeEPNSR_ISM_E10value_typeEPSN_NS1_7vsmem_tEENKUlT_SL_SM_SN_E_clIS8_S8_S9_S9_EESK_S10_SL_SM_SN_EUlS10_E1_NS1_11comp_targetILNS1_3genE4ELNS1_11target_archE910ELNS1_3gpuE8ELNS1_3repE0EEENS1_36merge_oddeven_config_static_selectorELNS0_4arch9wavefront6targetE1EEEvSM_
; %bb.0:
	s_load_dword s22, s[4:5], 0x20
	s_waitcnt lgkmcnt(0)
	s_lshr_b32 s0, s22, 8
	s_cmp_lg_u32 s6, s0
	s_cselect_b64 s[12:13], -1, 0
	s_cmp_eq_u32 s6, s0
	s_cselect_b64 s[2:3], -1, 0
	s_lshl_b32 s20, s6, 8
	s_sub_i32 s0, s22, s20
	v_cmp_gt_u32_e64 s[0:1], s0, v0
	s_or_b64 s[8:9], s[12:13], s[0:1]
	s_and_saveexec_b64 s[10:11], s[8:9]
	s_cbranch_execz .LBB1509_54
; %bb.1:
	s_load_dwordx4 s[8:11], s[4:5], 0x0
	s_load_dword s23, s[4:5], 0x28
	s_mov_b32 s21, 0
	s_lshl_b64 s[14:15], s[20:21], 3
	v_lshlrev_b32_e32 v1, 3, v0
	s_waitcnt lgkmcnt(0)
	s_add_u32 s14, s8, s14
	s_addc_u32 s15, s9, s15
	global_load_dwordx2 v[2:3], v1, s[14:15]
	s_lshr_b32 s7, s23, 8
	s_sub_i32 s14, 0, s7
	s_and_b32 s6, s6, s14
	s_and_b32 s7, s6, s7
	s_cmp_lg_u32 s7, 0
	s_cselect_b64 s[16:17], -1, 0
	s_lshl_b32 s21, s6, 8
	s_sub_i32 s6, 0, s23
	s_cmp_eq_u32 s7, 0
	s_cselect_b32 s33, s23, s6
	s_add_i32 s33, s33, s21
	s_cmp_lt_u32 s33, s22
	s_cbranch_scc1 .LBB1509_3
; %bb.2:
	v_add_u32_e32 v4, s20, v0
	v_cmp_gt_u32_e32 vcc, s22, v4
	s_or_b64 s[12:13], vcc, s[12:13]
	s_and_b64 s[18:19], s[12:13], exec
	s_cbranch_execz .LBB1509_4
	s_branch .LBB1509_52
.LBB1509_3:
	s_mov_b64 s[18:19], 0
                                        ; implicit-def: $vgpr4
.LBB1509_4:
	s_load_dwordx4 s[12:15], s[4:5], 0x30
	s_min_u32 s44, s33, s22
	s_add_i32 s4, s44, s23
	s_min_u32 s45, s4, s22
	s_min_u32 s4, s21, s44
	v_add_u32_e32 v0, s20, v0
	s_add_i32 s21, s21, s44
	v_subrev_u32_e32 v0, s21, v0
	v_add_u32_e32 v12, s4, v0
	s_and_b64 vcc, exec, s[2:3]
	s_cbranch_vccz .LBB1509_26
; %bb.5:
                                        ; implicit-def: $vgpr4
	s_and_saveexec_b64 s[20:21], s[0:1]
	s_cbranch_execz .LBB1509_29
; %bb.6:
	s_cmp_ge_u32 s33, s45
	v_mov_b32_e32 v13, s44
	s_cbranch_scc1 .LBB1509_28
; %bb.7:
	s_waitcnt vmcnt(0) lgkmcnt(0)
	v_mul_lo_u32 v4, v3, s12
	v_mul_lo_u32 v5, v2, s13
	v_mad_u64_u32 v[0:1], s[0:1], v2, s12, 0
	v_add3_u32 v1, v1, v5, v4
	v_lshlrev_b64 v[0:1], 2, v[0:1]
	v_mov_b32_e32 v4, s15
	v_add_co_u32_e32 v0, vcc, s14, v0
	v_addc_co_u32_e32 v1, vcc, v4, v1, vcc
	v_cndmask_b32_e64 v4, 0, 1, s[16:17]
	v_cmp_gt_i64_e64 s[2:3], s[12:13], 0
	v_cmp_ne_u32_e64 s[0:1], 1, v4
	v_cndmask_b32_e64 v4, 0, 1, s[2:3]
	s_mov_b64 s[22:23], 0
	s_lshl_b64 s[24:25], s[12:13], 2
	v_mov_b32_e32 v14, s45
	v_mov_b32_e32 v13, s44
	;; [unrolled: 1-line block ×4, first 2 shown]
	v_cmp_ne_u32_e64 s[2:3], 1, v4
	s_branch .LBB1509_10
.LBB1509_8:                             ;   in Loop: Header=BB1509_10 Depth=1
	s_or_b64 exec, exec, s[28:29]
.LBB1509_9:                             ;   in Loop: Header=BB1509_10 Depth=1
	s_waitcnt vmcnt(0)
	v_add_u32_e32 v6, 1, v4
	v_cndmask_b32_e64 v14, v4, v14, s[26:27]
	v_cndmask_b32_e64 v13, v13, v6, s[26:27]
	v_cmp_ge_u32_e32 vcc, v13, v14
	s_or_b64 s[22:23], vcc, s[22:23]
	s_andn2_b64 exec, exec, s[22:23]
	s_cbranch_execz .LBB1509_27
.LBB1509_10:                            ; =>This Loop Header: Depth=1
                                        ;     Child Loop BB1509_14 Depth 2
                                        ;     Child Loop BB1509_23 Depth 2
	v_add_u32_e32 v4, v13, v14
	v_lshrrev_b32_e32 v4, 1, v4
	v_lshlrev_b64 v[6:7], 3, v[4:5]
	v_add_co_u32_e32 v6, vcc, s8, v6
	v_addc_co_u32_e32 v7, vcc, v15, v7, vcc
	global_load_dwordx2 v[6:7], v[6:7], off
	s_and_b64 vcc, exec, s[0:1]
	s_mov_b64 s[4:5], -1
                                        ; implicit-def: $sgpr26_sgpr27
	s_cbranch_vccnz .LBB1509_19
; %bb.11:                               ;   in Loop: Header=BB1509_10 Depth=1
	s_and_b64 vcc, exec, s[2:3]
	s_cbranch_vccnz .LBB1509_17
; %bb.12:                               ;   in Loop: Header=BB1509_10 Depth=1
	v_pk_mov_b32 v[8:9], s[14:15], s[14:15] op_sel:[0,1]
	s_waitcnt vmcnt(0)
	v_mad_u64_u32 v[8:9], s[4:5], s24, v6, v[8:9]
	v_mul_lo_u32 v10, s24, v7
	v_mul_lo_u32 v11, s25, v6
	v_add3_u32 v9, v11, v9, v10
	s_mov_b64 s[28:29], 0
	s_mov_b64 s[36:37], s[12:13]
	v_pk_mov_b32 v[10:11], v[0:1], v[0:1] op_sel:[0,1]
                                        ; implicit-def: $sgpr26_sgpr27
                                        ; implicit-def: $sgpr30_sgpr31
                                        ; implicit-def: $sgpr34_sgpr35
                                        ; implicit-def: $sgpr4_sgpr5
                                        ; implicit-def: $sgpr38_sgpr39
	s_branch .LBB1509_14
.LBB1509_13:                            ;   in Loop: Header=BB1509_14 Depth=2
	s_or_b64 exec, exec, s[40:41]
	s_and_b64 s[6:7], exec, s[30:31]
	s_or_b64 s[28:29], s[6:7], s[28:29]
	s_andn2_b64 s[6:7], s[38:39], exec
	s_and_b64 s[38:39], s[34:35], exec
	s_or_b64 s[38:39], s[6:7], s[38:39]
	s_andn2_b64 s[6:7], s[26:27], exec
	s_and_b64 s[26:27], s[4:5], exec
	s_or_b64 s[26:27], s[6:7], s[26:27]
	s_andn2_b64 exec, exec, s[28:29]
	s_cbranch_execz .LBB1509_16
.LBB1509_14:                            ;   Parent Loop BB1509_10 Depth=1
                                        ; =>  This Inner Loop Header: Depth=2
	global_load_dword v16, v[10:11], off
	global_load_dword v17, v[8:9], off
	s_andn2_b64 s[40:41], s[4:5], exec
	s_andn2_b64 s[34:35], s[34:35], exec
	s_or_b64 s[30:31], s[30:31], exec
	s_waitcnt vmcnt(0)
	v_cmp_le_u32_e64 s[4:5], v16, v17
	v_cmp_lt_u32_e32 vcc, v16, v17
	s_and_b64 s[4:5], s[4:5], s[38:39]
	s_or_b64 s[42:43], vcc, s[4:5]
	s_and_b64 s[4:5], s[42:43], exec
	v_cmp_eq_u32_e64 s[6:7], v16, v17
	s_or_b64 s[4:5], s[40:41], s[4:5]
	s_and_saveexec_b64 s[40:41], s[6:7]
	s_cbranch_execz .LBB1509_13
; %bb.15:                               ;   in Loop: Header=BB1509_14 Depth=2
	s_add_u32 s36, s36, -1
	s_addc_u32 s37, s37, -1
	v_add_co_u32_e32 v10, vcc, 4, v10
	s_cmp_eq_u64 s[36:37], 0
	v_addc_co_u32_e32 v11, vcc, 0, v11, vcc
	s_cselect_b64 s[6:7], -1, 0
	v_add_co_u32_e32 v8, vcc, 4, v8
	s_andn2_b64 s[34:35], s[34:35], exec
	s_and_b64 s[38:39], s[42:43], exec
	s_andn2_b64 s[30:31], s[30:31], exec
	s_and_b64 s[6:7], s[6:7], exec
	v_addc_co_u32_e32 v9, vcc, 0, v9, vcc
	s_andn2_b64 s[4:5], s[4:5], exec
	s_or_b64 s[34:35], s[34:35], s[38:39]
	s_or_b64 s[30:31], s[30:31], s[6:7]
                                        ; implicit-def: $sgpr38_sgpr39
	s_branch .LBB1509_13
.LBB1509_16:                            ;   in Loop: Header=BB1509_10 Depth=1
	s_or_b64 exec, exec, s[28:29]
	s_branch .LBB1509_18
.LBB1509_17:                            ;   in Loop: Header=BB1509_10 Depth=1
	s_mov_b64 s[26:27], 0
.LBB1509_18:                            ;   in Loop: Header=BB1509_10 Depth=1
	s_xor_b64 s[26:27], s[26:27], -1
	s_mov_b64 s[4:5], 0
.LBB1509_19:                            ;   in Loop: Header=BB1509_10 Depth=1
	s_and_b64 vcc, exec, s[4:5]
	s_cbranch_vccz .LBB1509_9
; %bb.20:                               ;   in Loop: Header=BB1509_10 Depth=1
	s_and_b64 vcc, exec, s[2:3]
	s_cbranch_vccnz .LBB1509_25
; %bb.21:                               ;   in Loop: Header=BB1509_10 Depth=1
	v_pk_mov_b32 v[8:9], s[14:15], s[14:15] op_sel:[0,1]
	s_waitcnt vmcnt(0)
	v_mad_u64_u32 v[8:9], s[4:5], s24, v6, v[8:9]
	v_mul_lo_u32 v7, s24, v7
	v_mul_lo_u32 v6, s25, v6
	v_add3_u32 v9, v6, v9, v7
	s_mov_b64 s[28:29], 0
	s_mov_b64 s[36:37], s[12:13]
	v_pk_mov_b32 v[6:7], v[0:1], v[0:1] op_sel:[0,1]
                                        ; implicit-def: $sgpr26_sgpr27
                                        ; implicit-def: $sgpr30_sgpr31
                                        ; implicit-def: $sgpr34_sgpr35
                                        ; implicit-def: $sgpr4_sgpr5
                                        ; implicit-def: $sgpr38_sgpr39
	s_branch .LBB1509_23
.LBB1509_22:                            ;   in Loop: Header=BB1509_23 Depth=2
	s_or_b64 exec, exec, s[40:41]
	s_and_b64 s[6:7], exec, s[30:31]
	s_or_b64 s[28:29], s[6:7], s[28:29]
	s_andn2_b64 s[6:7], s[38:39], exec
	s_and_b64 s[38:39], s[34:35], exec
	s_or_b64 s[38:39], s[6:7], s[38:39]
	s_andn2_b64 s[6:7], s[26:27], exec
	s_and_b64 s[26:27], s[4:5], exec
	s_or_b64 s[26:27], s[6:7], s[26:27]
	s_andn2_b64 exec, exec, s[28:29]
	s_cbranch_execz .LBB1509_8
.LBB1509_23:                            ;   Parent Loop BB1509_10 Depth=1
                                        ; =>  This Inner Loop Header: Depth=2
	global_load_dword v10, v[8:9], off
	global_load_dword v11, v[6:7], off
	s_andn2_b64 s[40:41], s[4:5], exec
	s_andn2_b64 s[34:35], s[34:35], exec
	s_or_b64 s[30:31], s[30:31], exec
	s_waitcnt vmcnt(0)
	v_cmp_le_u32_e64 s[4:5], v10, v11
	v_cmp_lt_u32_e32 vcc, v10, v11
	s_and_b64 s[4:5], s[4:5], s[38:39]
	s_or_b64 s[42:43], vcc, s[4:5]
	s_and_b64 s[4:5], s[42:43], exec
	v_cmp_eq_u32_e64 s[6:7], v10, v11
	s_or_b64 s[4:5], s[40:41], s[4:5]
	s_and_saveexec_b64 s[40:41], s[6:7]
	s_cbranch_execz .LBB1509_22
; %bb.24:                               ;   in Loop: Header=BB1509_23 Depth=2
	s_add_u32 s36, s36, -1
	s_addc_u32 s37, s37, -1
	v_add_co_u32_e32 v8, vcc, 4, v8
	s_cmp_eq_u64 s[36:37], 0
	v_addc_co_u32_e32 v9, vcc, 0, v9, vcc
	s_cselect_b64 s[6:7], -1, 0
	v_add_co_u32_e32 v6, vcc, 4, v6
	s_andn2_b64 s[34:35], s[34:35], exec
	s_and_b64 s[38:39], s[42:43], exec
	s_andn2_b64 s[30:31], s[30:31], exec
	s_and_b64 s[6:7], s[6:7], exec
	v_addc_co_u32_e32 v7, vcc, 0, v7, vcc
	s_andn2_b64 s[4:5], s[4:5], exec
	s_or_b64 s[34:35], s[34:35], s[38:39]
	s_or_b64 s[30:31], s[30:31], s[6:7]
                                        ; implicit-def: $sgpr38_sgpr39
	s_branch .LBB1509_22
.LBB1509_25:                            ;   in Loop: Header=BB1509_10 Depth=1
	s_mov_b64 s[26:27], 0
	s_branch .LBB1509_9
.LBB1509_26:
                                        ; implicit-def: $vgpr4
	s_cbranch_execnz .LBB1509_30
	s_branch .LBB1509_52
.LBB1509_27:
	s_or_b64 exec, exec, s[22:23]
.LBB1509_28:
	v_add_u32_e32 v4, v13, v12
	s_or_b64 s[18:19], s[18:19], exec
.LBB1509_29:
	s_or_b64 exec, exec, s[20:21]
	s_branch .LBB1509_52
.LBB1509_30:
	s_cmp_ge_u32 s33, s45
	v_mov_b32_e32 v13, s44
	s_cbranch_scc1 .LBB1509_51
; %bb.31:
	s_waitcnt vmcnt(0) lgkmcnt(0)
	v_mul_lo_u32 v4, v3, s12
	v_mul_lo_u32 v5, v2, s13
	v_mad_u64_u32 v[0:1], s[0:1], v2, s12, 0
	v_add3_u32 v1, v1, v5, v4
	v_lshlrev_b64 v[0:1], 2, v[0:1]
	v_mov_b32_e32 v4, s15
	v_add_co_u32_e32 v0, vcc, s14, v0
	v_addc_co_u32_e32 v1, vcc, v4, v1, vcc
	v_cndmask_b32_e64 v4, 0, 1, s[16:17]
	v_cmp_gt_i64_e64 s[2:3], s[12:13], 0
	v_cmp_ne_u32_e64 s[0:1], 1, v4
	v_cndmask_b32_e64 v4, 0, 1, s[2:3]
	s_mov_b64 s[18:19], 0
	s_lshl_b64 s[20:21], s[12:13], 2
	v_mov_b32_e32 v14, s45
	v_mov_b32_e32 v13, s44
	v_mov_b32_e32 v5, 0
	v_mov_b32_e32 v15, s9
	v_cmp_ne_u32_e64 s[2:3], 1, v4
	s_branch .LBB1509_34
.LBB1509_32:                            ;   in Loop: Header=BB1509_34 Depth=1
	s_or_b64 exec, exec, s[22:23]
.LBB1509_33:                            ;   in Loop: Header=BB1509_34 Depth=1
	s_waitcnt vmcnt(0)
	v_add_u32_e32 v6, 1, v4
	v_cndmask_b32_e64 v14, v4, v14, s[16:17]
	v_cndmask_b32_e64 v13, v13, v6, s[16:17]
	v_cmp_ge_u32_e32 vcc, v13, v14
	s_or_b64 s[18:19], vcc, s[18:19]
	s_andn2_b64 exec, exec, s[18:19]
	s_cbranch_execz .LBB1509_50
.LBB1509_34:                            ; =>This Loop Header: Depth=1
                                        ;     Child Loop BB1509_38 Depth 2
                                        ;     Child Loop BB1509_47 Depth 2
	v_add_u32_e32 v4, v13, v14
	v_lshrrev_b32_e32 v4, 1, v4
	v_lshlrev_b64 v[6:7], 3, v[4:5]
	v_add_co_u32_e32 v6, vcc, s8, v6
	v_addc_co_u32_e32 v7, vcc, v15, v7, vcc
	global_load_dwordx2 v[6:7], v[6:7], off
	s_and_b64 vcc, exec, s[0:1]
	s_mov_b64 s[4:5], -1
                                        ; implicit-def: $sgpr16_sgpr17
	s_cbranch_vccnz .LBB1509_43
; %bb.35:                               ;   in Loop: Header=BB1509_34 Depth=1
	s_and_b64 vcc, exec, s[2:3]
	s_cbranch_vccnz .LBB1509_41
; %bb.36:                               ;   in Loop: Header=BB1509_34 Depth=1
	v_pk_mov_b32 v[8:9], s[14:15], s[14:15] op_sel:[0,1]
	s_waitcnt vmcnt(0)
	v_mad_u64_u32 v[8:9], s[4:5], s20, v6, v[8:9]
	v_mul_lo_u32 v10, s20, v7
	v_mul_lo_u32 v11, s21, v6
	v_add3_u32 v9, v11, v9, v10
	s_mov_b64 s[22:23], 0
	s_mov_b64 s[28:29], s[12:13]
	v_pk_mov_b32 v[10:11], v[0:1], v[0:1] op_sel:[0,1]
                                        ; implicit-def: $sgpr16_sgpr17
                                        ; implicit-def: $sgpr24_sgpr25
                                        ; implicit-def: $sgpr26_sgpr27
                                        ; implicit-def: $sgpr4_sgpr5
                                        ; implicit-def: $sgpr30_sgpr31
	s_branch .LBB1509_38
.LBB1509_37:                            ;   in Loop: Header=BB1509_38 Depth=2
	s_or_b64 exec, exec, s[34:35]
	s_and_b64 s[6:7], exec, s[24:25]
	s_or_b64 s[22:23], s[6:7], s[22:23]
	s_andn2_b64 s[6:7], s[30:31], exec
	s_and_b64 s[30:31], s[26:27], exec
	s_or_b64 s[30:31], s[6:7], s[30:31]
	s_andn2_b64 s[6:7], s[16:17], exec
	s_and_b64 s[16:17], s[4:5], exec
	s_or_b64 s[16:17], s[6:7], s[16:17]
	s_andn2_b64 exec, exec, s[22:23]
	s_cbranch_execz .LBB1509_40
.LBB1509_38:                            ;   Parent Loop BB1509_34 Depth=1
                                        ; =>  This Inner Loop Header: Depth=2
	global_load_dword v16, v[10:11], off
	global_load_dword v17, v[8:9], off
	s_andn2_b64 s[34:35], s[4:5], exec
	s_andn2_b64 s[26:27], s[26:27], exec
	s_or_b64 s[24:25], s[24:25], exec
	s_waitcnt vmcnt(0)
	v_cmp_le_u32_e64 s[4:5], v16, v17
	v_cmp_lt_u32_e32 vcc, v16, v17
	s_and_b64 s[4:5], s[4:5], s[30:31]
	s_or_b64 s[36:37], vcc, s[4:5]
	s_and_b64 s[4:5], s[36:37], exec
	v_cmp_eq_u32_e64 s[6:7], v16, v17
	s_or_b64 s[4:5], s[34:35], s[4:5]
	s_and_saveexec_b64 s[34:35], s[6:7]
	s_cbranch_execz .LBB1509_37
; %bb.39:                               ;   in Loop: Header=BB1509_38 Depth=2
	s_add_u32 s28, s28, -1
	s_addc_u32 s29, s29, -1
	v_add_co_u32_e32 v10, vcc, 4, v10
	s_cmp_eq_u64 s[28:29], 0
	v_addc_co_u32_e32 v11, vcc, 0, v11, vcc
	s_cselect_b64 s[6:7], -1, 0
	v_add_co_u32_e32 v8, vcc, 4, v8
	s_andn2_b64 s[26:27], s[26:27], exec
	s_and_b64 s[30:31], s[36:37], exec
	s_andn2_b64 s[24:25], s[24:25], exec
	s_and_b64 s[6:7], s[6:7], exec
	v_addc_co_u32_e32 v9, vcc, 0, v9, vcc
	s_andn2_b64 s[4:5], s[4:5], exec
	s_or_b64 s[26:27], s[26:27], s[30:31]
	s_or_b64 s[24:25], s[24:25], s[6:7]
                                        ; implicit-def: $sgpr30_sgpr31
	s_branch .LBB1509_37
.LBB1509_40:                            ;   in Loop: Header=BB1509_34 Depth=1
	s_or_b64 exec, exec, s[22:23]
	s_branch .LBB1509_42
.LBB1509_41:                            ;   in Loop: Header=BB1509_34 Depth=1
	s_mov_b64 s[16:17], 0
.LBB1509_42:                            ;   in Loop: Header=BB1509_34 Depth=1
	s_xor_b64 s[16:17], s[16:17], -1
	s_mov_b64 s[4:5], 0
.LBB1509_43:                            ;   in Loop: Header=BB1509_34 Depth=1
	s_and_b64 vcc, exec, s[4:5]
	s_cbranch_vccz .LBB1509_33
; %bb.44:                               ;   in Loop: Header=BB1509_34 Depth=1
	s_and_b64 vcc, exec, s[2:3]
	s_cbranch_vccnz .LBB1509_49
; %bb.45:                               ;   in Loop: Header=BB1509_34 Depth=1
	v_pk_mov_b32 v[8:9], s[14:15], s[14:15] op_sel:[0,1]
	s_waitcnt vmcnt(0)
	v_mad_u64_u32 v[8:9], s[4:5], s20, v6, v[8:9]
	v_mul_lo_u32 v7, s20, v7
	v_mul_lo_u32 v6, s21, v6
	v_add3_u32 v9, v6, v9, v7
	s_mov_b64 s[22:23], 0
	s_mov_b64 s[28:29], s[12:13]
	v_pk_mov_b32 v[6:7], v[0:1], v[0:1] op_sel:[0,1]
                                        ; implicit-def: $sgpr16_sgpr17
                                        ; implicit-def: $sgpr24_sgpr25
                                        ; implicit-def: $sgpr26_sgpr27
                                        ; implicit-def: $sgpr4_sgpr5
                                        ; implicit-def: $sgpr30_sgpr31
	s_branch .LBB1509_47
.LBB1509_46:                            ;   in Loop: Header=BB1509_47 Depth=2
	s_or_b64 exec, exec, s[34:35]
	s_and_b64 s[6:7], exec, s[24:25]
	s_or_b64 s[22:23], s[6:7], s[22:23]
	s_andn2_b64 s[6:7], s[30:31], exec
	s_and_b64 s[30:31], s[26:27], exec
	s_or_b64 s[30:31], s[6:7], s[30:31]
	s_andn2_b64 s[6:7], s[16:17], exec
	s_and_b64 s[16:17], s[4:5], exec
	s_or_b64 s[16:17], s[6:7], s[16:17]
	s_andn2_b64 exec, exec, s[22:23]
	s_cbranch_execz .LBB1509_32
.LBB1509_47:                            ;   Parent Loop BB1509_34 Depth=1
                                        ; =>  This Inner Loop Header: Depth=2
	global_load_dword v10, v[8:9], off
	global_load_dword v11, v[6:7], off
	s_andn2_b64 s[34:35], s[4:5], exec
	s_andn2_b64 s[26:27], s[26:27], exec
	s_or_b64 s[24:25], s[24:25], exec
	s_waitcnt vmcnt(0)
	v_cmp_le_u32_e64 s[4:5], v10, v11
	v_cmp_lt_u32_e32 vcc, v10, v11
	s_and_b64 s[4:5], s[4:5], s[30:31]
	s_or_b64 s[36:37], vcc, s[4:5]
	s_and_b64 s[4:5], s[36:37], exec
	v_cmp_eq_u32_e64 s[6:7], v10, v11
	s_or_b64 s[4:5], s[34:35], s[4:5]
	s_and_saveexec_b64 s[34:35], s[6:7]
	s_cbranch_execz .LBB1509_46
; %bb.48:                               ;   in Loop: Header=BB1509_47 Depth=2
	s_add_u32 s28, s28, -1
	s_addc_u32 s29, s29, -1
	v_add_co_u32_e32 v8, vcc, 4, v8
	s_cmp_eq_u64 s[28:29], 0
	v_addc_co_u32_e32 v9, vcc, 0, v9, vcc
	s_cselect_b64 s[6:7], -1, 0
	v_add_co_u32_e32 v6, vcc, 4, v6
	s_andn2_b64 s[26:27], s[26:27], exec
	s_and_b64 s[30:31], s[36:37], exec
	s_andn2_b64 s[24:25], s[24:25], exec
	s_and_b64 s[6:7], s[6:7], exec
	v_addc_co_u32_e32 v7, vcc, 0, v7, vcc
	s_andn2_b64 s[4:5], s[4:5], exec
	s_or_b64 s[26:27], s[26:27], s[30:31]
	s_or_b64 s[24:25], s[24:25], s[6:7]
                                        ; implicit-def: $sgpr30_sgpr31
	s_branch .LBB1509_46
.LBB1509_49:                            ;   in Loop: Header=BB1509_34 Depth=1
	s_mov_b64 s[16:17], 0
	s_branch .LBB1509_33
.LBB1509_50:
	s_or_b64 exec, exec, s[18:19]
.LBB1509_51:
	v_add_u32_e32 v4, v13, v12
	s_mov_b64 s[18:19], -1
.LBB1509_52:
	s_and_b64 exec, exec, s[18:19]
	s_cbranch_execz .LBB1509_54
; %bb.53:
	v_mov_b32_e32 v5, 0
	v_lshlrev_b64 v[0:1], 3, v[4:5]
	v_mov_b32_e32 v4, s11
	v_add_co_u32_e32 v0, vcc, s10, v0
	v_addc_co_u32_e32 v1, vcc, v4, v1, vcc
	s_waitcnt vmcnt(0)
	global_store_dwordx2 v[0:1], v[2:3], off
.LBB1509_54:
	s_endpgm
	.section	.rodata,"a",@progbits
	.p2align	6, 0x0
	.amdhsa_kernel _ZN7rocprim17ROCPRIM_400000_NS6detail17trampoline_kernelINS0_14default_configENS1_38merge_sort_block_merge_config_selectorIlNS0_10empty_typeEEEZZNS1_27merge_sort_block_merge_implIS3_PlPS5_mZN2at6native12_GLOBAL__N_124unique_dim_cuda_templateIjEESt5tupleIJNSA_6TensorESF_SF_EERKSF_lbbbEUlllE_EE10hipError_tT0_T1_T2_jT3_P12ihipStream_tbPNSt15iterator_traitsISL_E10value_typeEPNSR_ISM_E10value_typeEPSN_NS1_7vsmem_tEENKUlT_SL_SM_SN_E_clIS8_S8_S9_S9_EESK_S10_SL_SM_SN_EUlS10_E1_NS1_11comp_targetILNS1_3genE4ELNS1_11target_archE910ELNS1_3gpuE8ELNS1_3repE0EEENS1_36merge_oddeven_config_static_selectorELNS0_4arch9wavefront6targetE1EEEvSM_
		.amdhsa_group_segment_fixed_size 0
		.amdhsa_private_segment_fixed_size 0
		.amdhsa_kernarg_size 64
		.amdhsa_user_sgpr_count 6
		.amdhsa_user_sgpr_private_segment_buffer 1
		.amdhsa_user_sgpr_dispatch_ptr 0
		.amdhsa_user_sgpr_queue_ptr 0
		.amdhsa_user_sgpr_kernarg_segment_ptr 1
		.amdhsa_user_sgpr_dispatch_id 0
		.amdhsa_user_sgpr_flat_scratch_init 0
		.amdhsa_user_sgpr_kernarg_preload_length 0
		.amdhsa_user_sgpr_kernarg_preload_offset 0
		.amdhsa_user_sgpr_private_segment_size 0
		.amdhsa_uses_dynamic_stack 0
		.amdhsa_system_sgpr_private_segment_wavefront_offset 0
		.amdhsa_system_sgpr_workgroup_id_x 1
		.amdhsa_system_sgpr_workgroup_id_y 0
		.amdhsa_system_sgpr_workgroup_id_z 0
		.amdhsa_system_sgpr_workgroup_info 0
		.amdhsa_system_vgpr_workitem_id 0
		.amdhsa_next_free_vgpr 18
		.amdhsa_next_free_sgpr 46
		.amdhsa_accum_offset 20
		.amdhsa_reserve_vcc 1
		.amdhsa_reserve_flat_scratch 0
		.amdhsa_float_round_mode_32 0
		.amdhsa_float_round_mode_16_64 0
		.amdhsa_float_denorm_mode_32 3
		.amdhsa_float_denorm_mode_16_64 3
		.amdhsa_dx10_clamp 1
		.amdhsa_ieee_mode 1
		.amdhsa_fp16_overflow 0
		.amdhsa_tg_split 0
		.amdhsa_exception_fp_ieee_invalid_op 0
		.amdhsa_exception_fp_denorm_src 0
		.amdhsa_exception_fp_ieee_div_zero 0
		.amdhsa_exception_fp_ieee_overflow 0
		.amdhsa_exception_fp_ieee_underflow 0
		.amdhsa_exception_fp_ieee_inexact 0
		.amdhsa_exception_int_div_zero 0
	.end_amdhsa_kernel
	.section	.text._ZN7rocprim17ROCPRIM_400000_NS6detail17trampoline_kernelINS0_14default_configENS1_38merge_sort_block_merge_config_selectorIlNS0_10empty_typeEEEZZNS1_27merge_sort_block_merge_implIS3_PlPS5_mZN2at6native12_GLOBAL__N_124unique_dim_cuda_templateIjEESt5tupleIJNSA_6TensorESF_SF_EERKSF_lbbbEUlllE_EE10hipError_tT0_T1_T2_jT3_P12ihipStream_tbPNSt15iterator_traitsISL_E10value_typeEPNSR_ISM_E10value_typeEPSN_NS1_7vsmem_tEENKUlT_SL_SM_SN_E_clIS8_S8_S9_S9_EESK_S10_SL_SM_SN_EUlS10_E1_NS1_11comp_targetILNS1_3genE4ELNS1_11target_archE910ELNS1_3gpuE8ELNS1_3repE0EEENS1_36merge_oddeven_config_static_selectorELNS0_4arch9wavefront6targetE1EEEvSM_,"axG",@progbits,_ZN7rocprim17ROCPRIM_400000_NS6detail17trampoline_kernelINS0_14default_configENS1_38merge_sort_block_merge_config_selectorIlNS0_10empty_typeEEEZZNS1_27merge_sort_block_merge_implIS3_PlPS5_mZN2at6native12_GLOBAL__N_124unique_dim_cuda_templateIjEESt5tupleIJNSA_6TensorESF_SF_EERKSF_lbbbEUlllE_EE10hipError_tT0_T1_T2_jT3_P12ihipStream_tbPNSt15iterator_traitsISL_E10value_typeEPNSR_ISM_E10value_typeEPSN_NS1_7vsmem_tEENKUlT_SL_SM_SN_E_clIS8_S8_S9_S9_EESK_S10_SL_SM_SN_EUlS10_E1_NS1_11comp_targetILNS1_3genE4ELNS1_11target_archE910ELNS1_3gpuE8ELNS1_3repE0EEENS1_36merge_oddeven_config_static_selectorELNS0_4arch9wavefront6targetE1EEEvSM_,comdat
.Lfunc_end1509:
	.size	_ZN7rocprim17ROCPRIM_400000_NS6detail17trampoline_kernelINS0_14default_configENS1_38merge_sort_block_merge_config_selectorIlNS0_10empty_typeEEEZZNS1_27merge_sort_block_merge_implIS3_PlPS5_mZN2at6native12_GLOBAL__N_124unique_dim_cuda_templateIjEESt5tupleIJNSA_6TensorESF_SF_EERKSF_lbbbEUlllE_EE10hipError_tT0_T1_T2_jT3_P12ihipStream_tbPNSt15iterator_traitsISL_E10value_typeEPNSR_ISM_E10value_typeEPSN_NS1_7vsmem_tEENKUlT_SL_SM_SN_E_clIS8_S8_S9_S9_EESK_S10_SL_SM_SN_EUlS10_E1_NS1_11comp_targetILNS1_3genE4ELNS1_11target_archE910ELNS1_3gpuE8ELNS1_3repE0EEENS1_36merge_oddeven_config_static_selectorELNS0_4arch9wavefront6targetE1EEEvSM_, .Lfunc_end1509-_ZN7rocprim17ROCPRIM_400000_NS6detail17trampoline_kernelINS0_14default_configENS1_38merge_sort_block_merge_config_selectorIlNS0_10empty_typeEEEZZNS1_27merge_sort_block_merge_implIS3_PlPS5_mZN2at6native12_GLOBAL__N_124unique_dim_cuda_templateIjEESt5tupleIJNSA_6TensorESF_SF_EERKSF_lbbbEUlllE_EE10hipError_tT0_T1_T2_jT3_P12ihipStream_tbPNSt15iterator_traitsISL_E10value_typeEPNSR_ISM_E10value_typeEPSN_NS1_7vsmem_tEENKUlT_SL_SM_SN_E_clIS8_S8_S9_S9_EESK_S10_SL_SM_SN_EUlS10_E1_NS1_11comp_targetILNS1_3genE4ELNS1_11target_archE910ELNS1_3gpuE8ELNS1_3repE0EEENS1_36merge_oddeven_config_static_selectorELNS0_4arch9wavefront6targetE1EEEvSM_
                                        ; -- End function
	.section	.AMDGPU.csdata,"",@progbits
; Kernel info:
; codeLenInByte = 1876
; NumSgprs: 50
; NumVgprs: 18
; NumAgprs: 0
; TotalNumVgprs: 18
; ScratchSize: 0
; MemoryBound: 0
; FloatMode: 240
; IeeeMode: 1
; LDSByteSize: 0 bytes/workgroup (compile time only)
; SGPRBlocks: 6
; VGPRBlocks: 2
; NumSGPRsForWavesPerEU: 50
; NumVGPRsForWavesPerEU: 18
; AccumOffset: 20
; Occupancy: 8
; WaveLimiterHint : 0
; COMPUTE_PGM_RSRC2:SCRATCH_EN: 0
; COMPUTE_PGM_RSRC2:USER_SGPR: 6
; COMPUTE_PGM_RSRC2:TRAP_HANDLER: 0
; COMPUTE_PGM_RSRC2:TGID_X_EN: 1
; COMPUTE_PGM_RSRC2:TGID_Y_EN: 0
; COMPUTE_PGM_RSRC2:TGID_Z_EN: 0
; COMPUTE_PGM_RSRC2:TIDIG_COMP_CNT: 0
; COMPUTE_PGM_RSRC3_GFX90A:ACCUM_OFFSET: 4
; COMPUTE_PGM_RSRC3_GFX90A:TG_SPLIT: 0
	.section	.text._ZN7rocprim17ROCPRIM_400000_NS6detail17trampoline_kernelINS0_14default_configENS1_38merge_sort_block_merge_config_selectorIlNS0_10empty_typeEEEZZNS1_27merge_sort_block_merge_implIS3_PlPS5_mZN2at6native12_GLOBAL__N_124unique_dim_cuda_templateIjEESt5tupleIJNSA_6TensorESF_SF_EERKSF_lbbbEUlllE_EE10hipError_tT0_T1_T2_jT3_P12ihipStream_tbPNSt15iterator_traitsISL_E10value_typeEPNSR_ISM_E10value_typeEPSN_NS1_7vsmem_tEENKUlT_SL_SM_SN_E_clIS8_S8_S9_S9_EESK_S10_SL_SM_SN_EUlS10_E1_NS1_11comp_targetILNS1_3genE3ELNS1_11target_archE908ELNS1_3gpuE7ELNS1_3repE0EEENS1_36merge_oddeven_config_static_selectorELNS0_4arch9wavefront6targetE1EEEvSM_,"axG",@progbits,_ZN7rocprim17ROCPRIM_400000_NS6detail17trampoline_kernelINS0_14default_configENS1_38merge_sort_block_merge_config_selectorIlNS0_10empty_typeEEEZZNS1_27merge_sort_block_merge_implIS3_PlPS5_mZN2at6native12_GLOBAL__N_124unique_dim_cuda_templateIjEESt5tupleIJNSA_6TensorESF_SF_EERKSF_lbbbEUlllE_EE10hipError_tT0_T1_T2_jT3_P12ihipStream_tbPNSt15iterator_traitsISL_E10value_typeEPNSR_ISM_E10value_typeEPSN_NS1_7vsmem_tEENKUlT_SL_SM_SN_E_clIS8_S8_S9_S9_EESK_S10_SL_SM_SN_EUlS10_E1_NS1_11comp_targetILNS1_3genE3ELNS1_11target_archE908ELNS1_3gpuE7ELNS1_3repE0EEENS1_36merge_oddeven_config_static_selectorELNS0_4arch9wavefront6targetE1EEEvSM_,comdat
	.globl	_ZN7rocprim17ROCPRIM_400000_NS6detail17trampoline_kernelINS0_14default_configENS1_38merge_sort_block_merge_config_selectorIlNS0_10empty_typeEEEZZNS1_27merge_sort_block_merge_implIS3_PlPS5_mZN2at6native12_GLOBAL__N_124unique_dim_cuda_templateIjEESt5tupleIJNSA_6TensorESF_SF_EERKSF_lbbbEUlllE_EE10hipError_tT0_T1_T2_jT3_P12ihipStream_tbPNSt15iterator_traitsISL_E10value_typeEPNSR_ISM_E10value_typeEPSN_NS1_7vsmem_tEENKUlT_SL_SM_SN_E_clIS8_S8_S9_S9_EESK_S10_SL_SM_SN_EUlS10_E1_NS1_11comp_targetILNS1_3genE3ELNS1_11target_archE908ELNS1_3gpuE7ELNS1_3repE0EEENS1_36merge_oddeven_config_static_selectorELNS0_4arch9wavefront6targetE1EEEvSM_ ; -- Begin function _ZN7rocprim17ROCPRIM_400000_NS6detail17trampoline_kernelINS0_14default_configENS1_38merge_sort_block_merge_config_selectorIlNS0_10empty_typeEEEZZNS1_27merge_sort_block_merge_implIS3_PlPS5_mZN2at6native12_GLOBAL__N_124unique_dim_cuda_templateIjEESt5tupleIJNSA_6TensorESF_SF_EERKSF_lbbbEUlllE_EE10hipError_tT0_T1_T2_jT3_P12ihipStream_tbPNSt15iterator_traitsISL_E10value_typeEPNSR_ISM_E10value_typeEPSN_NS1_7vsmem_tEENKUlT_SL_SM_SN_E_clIS8_S8_S9_S9_EESK_S10_SL_SM_SN_EUlS10_E1_NS1_11comp_targetILNS1_3genE3ELNS1_11target_archE908ELNS1_3gpuE7ELNS1_3repE0EEENS1_36merge_oddeven_config_static_selectorELNS0_4arch9wavefront6targetE1EEEvSM_
	.p2align	8
	.type	_ZN7rocprim17ROCPRIM_400000_NS6detail17trampoline_kernelINS0_14default_configENS1_38merge_sort_block_merge_config_selectorIlNS0_10empty_typeEEEZZNS1_27merge_sort_block_merge_implIS3_PlPS5_mZN2at6native12_GLOBAL__N_124unique_dim_cuda_templateIjEESt5tupleIJNSA_6TensorESF_SF_EERKSF_lbbbEUlllE_EE10hipError_tT0_T1_T2_jT3_P12ihipStream_tbPNSt15iterator_traitsISL_E10value_typeEPNSR_ISM_E10value_typeEPSN_NS1_7vsmem_tEENKUlT_SL_SM_SN_E_clIS8_S8_S9_S9_EESK_S10_SL_SM_SN_EUlS10_E1_NS1_11comp_targetILNS1_3genE3ELNS1_11target_archE908ELNS1_3gpuE7ELNS1_3repE0EEENS1_36merge_oddeven_config_static_selectorELNS0_4arch9wavefront6targetE1EEEvSM_,@function
_ZN7rocprim17ROCPRIM_400000_NS6detail17trampoline_kernelINS0_14default_configENS1_38merge_sort_block_merge_config_selectorIlNS0_10empty_typeEEEZZNS1_27merge_sort_block_merge_implIS3_PlPS5_mZN2at6native12_GLOBAL__N_124unique_dim_cuda_templateIjEESt5tupleIJNSA_6TensorESF_SF_EERKSF_lbbbEUlllE_EE10hipError_tT0_T1_T2_jT3_P12ihipStream_tbPNSt15iterator_traitsISL_E10value_typeEPNSR_ISM_E10value_typeEPSN_NS1_7vsmem_tEENKUlT_SL_SM_SN_E_clIS8_S8_S9_S9_EESK_S10_SL_SM_SN_EUlS10_E1_NS1_11comp_targetILNS1_3genE3ELNS1_11target_archE908ELNS1_3gpuE7ELNS1_3repE0EEENS1_36merge_oddeven_config_static_selectorELNS0_4arch9wavefront6targetE1EEEvSM_: ; @_ZN7rocprim17ROCPRIM_400000_NS6detail17trampoline_kernelINS0_14default_configENS1_38merge_sort_block_merge_config_selectorIlNS0_10empty_typeEEEZZNS1_27merge_sort_block_merge_implIS3_PlPS5_mZN2at6native12_GLOBAL__N_124unique_dim_cuda_templateIjEESt5tupleIJNSA_6TensorESF_SF_EERKSF_lbbbEUlllE_EE10hipError_tT0_T1_T2_jT3_P12ihipStream_tbPNSt15iterator_traitsISL_E10value_typeEPNSR_ISM_E10value_typeEPSN_NS1_7vsmem_tEENKUlT_SL_SM_SN_E_clIS8_S8_S9_S9_EESK_S10_SL_SM_SN_EUlS10_E1_NS1_11comp_targetILNS1_3genE3ELNS1_11target_archE908ELNS1_3gpuE7ELNS1_3repE0EEENS1_36merge_oddeven_config_static_selectorELNS0_4arch9wavefront6targetE1EEEvSM_
; %bb.0:
	.section	.rodata,"a",@progbits
	.p2align	6, 0x0
	.amdhsa_kernel _ZN7rocprim17ROCPRIM_400000_NS6detail17trampoline_kernelINS0_14default_configENS1_38merge_sort_block_merge_config_selectorIlNS0_10empty_typeEEEZZNS1_27merge_sort_block_merge_implIS3_PlPS5_mZN2at6native12_GLOBAL__N_124unique_dim_cuda_templateIjEESt5tupleIJNSA_6TensorESF_SF_EERKSF_lbbbEUlllE_EE10hipError_tT0_T1_T2_jT3_P12ihipStream_tbPNSt15iterator_traitsISL_E10value_typeEPNSR_ISM_E10value_typeEPSN_NS1_7vsmem_tEENKUlT_SL_SM_SN_E_clIS8_S8_S9_S9_EESK_S10_SL_SM_SN_EUlS10_E1_NS1_11comp_targetILNS1_3genE3ELNS1_11target_archE908ELNS1_3gpuE7ELNS1_3repE0EEENS1_36merge_oddeven_config_static_selectorELNS0_4arch9wavefront6targetE1EEEvSM_
		.amdhsa_group_segment_fixed_size 0
		.amdhsa_private_segment_fixed_size 0
		.amdhsa_kernarg_size 64
		.amdhsa_user_sgpr_count 6
		.amdhsa_user_sgpr_private_segment_buffer 1
		.amdhsa_user_sgpr_dispatch_ptr 0
		.amdhsa_user_sgpr_queue_ptr 0
		.amdhsa_user_sgpr_kernarg_segment_ptr 1
		.amdhsa_user_sgpr_dispatch_id 0
		.amdhsa_user_sgpr_flat_scratch_init 0
		.amdhsa_user_sgpr_kernarg_preload_length 0
		.amdhsa_user_sgpr_kernarg_preload_offset 0
		.amdhsa_user_sgpr_private_segment_size 0
		.amdhsa_uses_dynamic_stack 0
		.amdhsa_system_sgpr_private_segment_wavefront_offset 0
		.amdhsa_system_sgpr_workgroup_id_x 1
		.amdhsa_system_sgpr_workgroup_id_y 0
		.amdhsa_system_sgpr_workgroup_id_z 0
		.amdhsa_system_sgpr_workgroup_info 0
		.amdhsa_system_vgpr_workitem_id 0
		.amdhsa_next_free_vgpr 1
		.amdhsa_next_free_sgpr 0
		.amdhsa_accum_offset 4
		.amdhsa_reserve_vcc 0
		.amdhsa_reserve_flat_scratch 0
		.amdhsa_float_round_mode_32 0
		.amdhsa_float_round_mode_16_64 0
		.amdhsa_float_denorm_mode_32 3
		.amdhsa_float_denorm_mode_16_64 3
		.amdhsa_dx10_clamp 1
		.amdhsa_ieee_mode 1
		.amdhsa_fp16_overflow 0
		.amdhsa_tg_split 0
		.amdhsa_exception_fp_ieee_invalid_op 0
		.amdhsa_exception_fp_denorm_src 0
		.amdhsa_exception_fp_ieee_div_zero 0
		.amdhsa_exception_fp_ieee_overflow 0
		.amdhsa_exception_fp_ieee_underflow 0
		.amdhsa_exception_fp_ieee_inexact 0
		.amdhsa_exception_int_div_zero 0
	.end_amdhsa_kernel
	.section	.text._ZN7rocprim17ROCPRIM_400000_NS6detail17trampoline_kernelINS0_14default_configENS1_38merge_sort_block_merge_config_selectorIlNS0_10empty_typeEEEZZNS1_27merge_sort_block_merge_implIS3_PlPS5_mZN2at6native12_GLOBAL__N_124unique_dim_cuda_templateIjEESt5tupleIJNSA_6TensorESF_SF_EERKSF_lbbbEUlllE_EE10hipError_tT0_T1_T2_jT3_P12ihipStream_tbPNSt15iterator_traitsISL_E10value_typeEPNSR_ISM_E10value_typeEPSN_NS1_7vsmem_tEENKUlT_SL_SM_SN_E_clIS8_S8_S9_S9_EESK_S10_SL_SM_SN_EUlS10_E1_NS1_11comp_targetILNS1_3genE3ELNS1_11target_archE908ELNS1_3gpuE7ELNS1_3repE0EEENS1_36merge_oddeven_config_static_selectorELNS0_4arch9wavefront6targetE1EEEvSM_,"axG",@progbits,_ZN7rocprim17ROCPRIM_400000_NS6detail17trampoline_kernelINS0_14default_configENS1_38merge_sort_block_merge_config_selectorIlNS0_10empty_typeEEEZZNS1_27merge_sort_block_merge_implIS3_PlPS5_mZN2at6native12_GLOBAL__N_124unique_dim_cuda_templateIjEESt5tupleIJNSA_6TensorESF_SF_EERKSF_lbbbEUlllE_EE10hipError_tT0_T1_T2_jT3_P12ihipStream_tbPNSt15iterator_traitsISL_E10value_typeEPNSR_ISM_E10value_typeEPSN_NS1_7vsmem_tEENKUlT_SL_SM_SN_E_clIS8_S8_S9_S9_EESK_S10_SL_SM_SN_EUlS10_E1_NS1_11comp_targetILNS1_3genE3ELNS1_11target_archE908ELNS1_3gpuE7ELNS1_3repE0EEENS1_36merge_oddeven_config_static_selectorELNS0_4arch9wavefront6targetE1EEEvSM_,comdat
.Lfunc_end1510:
	.size	_ZN7rocprim17ROCPRIM_400000_NS6detail17trampoline_kernelINS0_14default_configENS1_38merge_sort_block_merge_config_selectorIlNS0_10empty_typeEEEZZNS1_27merge_sort_block_merge_implIS3_PlPS5_mZN2at6native12_GLOBAL__N_124unique_dim_cuda_templateIjEESt5tupleIJNSA_6TensorESF_SF_EERKSF_lbbbEUlllE_EE10hipError_tT0_T1_T2_jT3_P12ihipStream_tbPNSt15iterator_traitsISL_E10value_typeEPNSR_ISM_E10value_typeEPSN_NS1_7vsmem_tEENKUlT_SL_SM_SN_E_clIS8_S8_S9_S9_EESK_S10_SL_SM_SN_EUlS10_E1_NS1_11comp_targetILNS1_3genE3ELNS1_11target_archE908ELNS1_3gpuE7ELNS1_3repE0EEENS1_36merge_oddeven_config_static_selectorELNS0_4arch9wavefront6targetE1EEEvSM_, .Lfunc_end1510-_ZN7rocprim17ROCPRIM_400000_NS6detail17trampoline_kernelINS0_14default_configENS1_38merge_sort_block_merge_config_selectorIlNS0_10empty_typeEEEZZNS1_27merge_sort_block_merge_implIS3_PlPS5_mZN2at6native12_GLOBAL__N_124unique_dim_cuda_templateIjEESt5tupleIJNSA_6TensorESF_SF_EERKSF_lbbbEUlllE_EE10hipError_tT0_T1_T2_jT3_P12ihipStream_tbPNSt15iterator_traitsISL_E10value_typeEPNSR_ISM_E10value_typeEPSN_NS1_7vsmem_tEENKUlT_SL_SM_SN_E_clIS8_S8_S9_S9_EESK_S10_SL_SM_SN_EUlS10_E1_NS1_11comp_targetILNS1_3genE3ELNS1_11target_archE908ELNS1_3gpuE7ELNS1_3repE0EEENS1_36merge_oddeven_config_static_selectorELNS0_4arch9wavefront6targetE1EEEvSM_
                                        ; -- End function
	.section	.AMDGPU.csdata,"",@progbits
; Kernel info:
; codeLenInByte = 0
; NumSgprs: 4
; NumVgprs: 0
; NumAgprs: 0
; TotalNumVgprs: 0
; ScratchSize: 0
; MemoryBound: 0
; FloatMode: 240
; IeeeMode: 1
; LDSByteSize: 0 bytes/workgroup (compile time only)
; SGPRBlocks: 0
; VGPRBlocks: 0
; NumSGPRsForWavesPerEU: 4
; NumVGPRsForWavesPerEU: 1
; AccumOffset: 4
; Occupancy: 8
; WaveLimiterHint : 0
; COMPUTE_PGM_RSRC2:SCRATCH_EN: 0
; COMPUTE_PGM_RSRC2:USER_SGPR: 6
; COMPUTE_PGM_RSRC2:TRAP_HANDLER: 0
; COMPUTE_PGM_RSRC2:TGID_X_EN: 1
; COMPUTE_PGM_RSRC2:TGID_Y_EN: 0
; COMPUTE_PGM_RSRC2:TGID_Z_EN: 0
; COMPUTE_PGM_RSRC2:TIDIG_COMP_CNT: 0
; COMPUTE_PGM_RSRC3_GFX90A:ACCUM_OFFSET: 0
; COMPUTE_PGM_RSRC3_GFX90A:TG_SPLIT: 0
	.section	.text._ZN7rocprim17ROCPRIM_400000_NS6detail17trampoline_kernelINS0_14default_configENS1_38merge_sort_block_merge_config_selectorIlNS0_10empty_typeEEEZZNS1_27merge_sort_block_merge_implIS3_PlPS5_mZN2at6native12_GLOBAL__N_124unique_dim_cuda_templateIjEESt5tupleIJNSA_6TensorESF_SF_EERKSF_lbbbEUlllE_EE10hipError_tT0_T1_T2_jT3_P12ihipStream_tbPNSt15iterator_traitsISL_E10value_typeEPNSR_ISM_E10value_typeEPSN_NS1_7vsmem_tEENKUlT_SL_SM_SN_E_clIS8_S8_S9_S9_EESK_S10_SL_SM_SN_EUlS10_E1_NS1_11comp_targetILNS1_3genE2ELNS1_11target_archE906ELNS1_3gpuE6ELNS1_3repE0EEENS1_36merge_oddeven_config_static_selectorELNS0_4arch9wavefront6targetE1EEEvSM_,"axG",@progbits,_ZN7rocprim17ROCPRIM_400000_NS6detail17trampoline_kernelINS0_14default_configENS1_38merge_sort_block_merge_config_selectorIlNS0_10empty_typeEEEZZNS1_27merge_sort_block_merge_implIS3_PlPS5_mZN2at6native12_GLOBAL__N_124unique_dim_cuda_templateIjEESt5tupleIJNSA_6TensorESF_SF_EERKSF_lbbbEUlllE_EE10hipError_tT0_T1_T2_jT3_P12ihipStream_tbPNSt15iterator_traitsISL_E10value_typeEPNSR_ISM_E10value_typeEPSN_NS1_7vsmem_tEENKUlT_SL_SM_SN_E_clIS8_S8_S9_S9_EESK_S10_SL_SM_SN_EUlS10_E1_NS1_11comp_targetILNS1_3genE2ELNS1_11target_archE906ELNS1_3gpuE6ELNS1_3repE0EEENS1_36merge_oddeven_config_static_selectorELNS0_4arch9wavefront6targetE1EEEvSM_,comdat
	.globl	_ZN7rocprim17ROCPRIM_400000_NS6detail17trampoline_kernelINS0_14default_configENS1_38merge_sort_block_merge_config_selectorIlNS0_10empty_typeEEEZZNS1_27merge_sort_block_merge_implIS3_PlPS5_mZN2at6native12_GLOBAL__N_124unique_dim_cuda_templateIjEESt5tupleIJNSA_6TensorESF_SF_EERKSF_lbbbEUlllE_EE10hipError_tT0_T1_T2_jT3_P12ihipStream_tbPNSt15iterator_traitsISL_E10value_typeEPNSR_ISM_E10value_typeEPSN_NS1_7vsmem_tEENKUlT_SL_SM_SN_E_clIS8_S8_S9_S9_EESK_S10_SL_SM_SN_EUlS10_E1_NS1_11comp_targetILNS1_3genE2ELNS1_11target_archE906ELNS1_3gpuE6ELNS1_3repE0EEENS1_36merge_oddeven_config_static_selectorELNS0_4arch9wavefront6targetE1EEEvSM_ ; -- Begin function _ZN7rocprim17ROCPRIM_400000_NS6detail17trampoline_kernelINS0_14default_configENS1_38merge_sort_block_merge_config_selectorIlNS0_10empty_typeEEEZZNS1_27merge_sort_block_merge_implIS3_PlPS5_mZN2at6native12_GLOBAL__N_124unique_dim_cuda_templateIjEESt5tupleIJNSA_6TensorESF_SF_EERKSF_lbbbEUlllE_EE10hipError_tT0_T1_T2_jT3_P12ihipStream_tbPNSt15iterator_traitsISL_E10value_typeEPNSR_ISM_E10value_typeEPSN_NS1_7vsmem_tEENKUlT_SL_SM_SN_E_clIS8_S8_S9_S9_EESK_S10_SL_SM_SN_EUlS10_E1_NS1_11comp_targetILNS1_3genE2ELNS1_11target_archE906ELNS1_3gpuE6ELNS1_3repE0EEENS1_36merge_oddeven_config_static_selectorELNS0_4arch9wavefront6targetE1EEEvSM_
	.p2align	8
	.type	_ZN7rocprim17ROCPRIM_400000_NS6detail17trampoline_kernelINS0_14default_configENS1_38merge_sort_block_merge_config_selectorIlNS0_10empty_typeEEEZZNS1_27merge_sort_block_merge_implIS3_PlPS5_mZN2at6native12_GLOBAL__N_124unique_dim_cuda_templateIjEESt5tupleIJNSA_6TensorESF_SF_EERKSF_lbbbEUlllE_EE10hipError_tT0_T1_T2_jT3_P12ihipStream_tbPNSt15iterator_traitsISL_E10value_typeEPNSR_ISM_E10value_typeEPSN_NS1_7vsmem_tEENKUlT_SL_SM_SN_E_clIS8_S8_S9_S9_EESK_S10_SL_SM_SN_EUlS10_E1_NS1_11comp_targetILNS1_3genE2ELNS1_11target_archE906ELNS1_3gpuE6ELNS1_3repE0EEENS1_36merge_oddeven_config_static_selectorELNS0_4arch9wavefront6targetE1EEEvSM_,@function
_ZN7rocprim17ROCPRIM_400000_NS6detail17trampoline_kernelINS0_14default_configENS1_38merge_sort_block_merge_config_selectorIlNS0_10empty_typeEEEZZNS1_27merge_sort_block_merge_implIS3_PlPS5_mZN2at6native12_GLOBAL__N_124unique_dim_cuda_templateIjEESt5tupleIJNSA_6TensorESF_SF_EERKSF_lbbbEUlllE_EE10hipError_tT0_T1_T2_jT3_P12ihipStream_tbPNSt15iterator_traitsISL_E10value_typeEPNSR_ISM_E10value_typeEPSN_NS1_7vsmem_tEENKUlT_SL_SM_SN_E_clIS8_S8_S9_S9_EESK_S10_SL_SM_SN_EUlS10_E1_NS1_11comp_targetILNS1_3genE2ELNS1_11target_archE906ELNS1_3gpuE6ELNS1_3repE0EEENS1_36merge_oddeven_config_static_selectorELNS0_4arch9wavefront6targetE1EEEvSM_: ; @_ZN7rocprim17ROCPRIM_400000_NS6detail17trampoline_kernelINS0_14default_configENS1_38merge_sort_block_merge_config_selectorIlNS0_10empty_typeEEEZZNS1_27merge_sort_block_merge_implIS3_PlPS5_mZN2at6native12_GLOBAL__N_124unique_dim_cuda_templateIjEESt5tupleIJNSA_6TensorESF_SF_EERKSF_lbbbEUlllE_EE10hipError_tT0_T1_T2_jT3_P12ihipStream_tbPNSt15iterator_traitsISL_E10value_typeEPNSR_ISM_E10value_typeEPSN_NS1_7vsmem_tEENKUlT_SL_SM_SN_E_clIS8_S8_S9_S9_EESK_S10_SL_SM_SN_EUlS10_E1_NS1_11comp_targetILNS1_3genE2ELNS1_11target_archE906ELNS1_3gpuE6ELNS1_3repE0EEENS1_36merge_oddeven_config_static_selectorELNS0_4arch9wavefront6targetE1EEEvSM_
; %bb.0:
	.section	.rodata,"a",@progbits
	.p2align	6, 0x0
	.amdhsa_kernel _ZN7rocprim17ROCPRIM_400000_NS6detail17trampoline_kernelINS0_14default_configENS1_38merge_sort_block_merge_config_selectorIlNS0_10empty_typeEEEZZNS1_27merge_sort_block_merge_implIS3_PlPS5_mZN2at6native12_GLOBAL__N_124unique_dim_cuda_templateIjEESt5tupleIJNSA_6TensorESF_SF_EERKSF_lbbbEUlllE_EE10hipError_tT0_T1_T2_jT3_P12ihipStream_tbPNSt15iterator_traitsISL_E10value_typeEPNSR_ISM_E10value_typeEPSN_NS1_7vsmem_tEENKUlT_SL_SM_SN_E_clIS8_S8_S9_S9_EESK_S10_SL_SM_SN_EUlS10_E1_NS1_11comp_targetILNS1_3genE2ELNS1_11target_archE906ELNS1_3gpuE6ELNS1_3repE0EEENS1_36merge_oddeven_config_static_selectorELNS0_4arch9wavefront6targetE1EEEvSM_
		.amdhsa_group_segment_fixed_size 0
		.amdhsa_private_segment_fixed_size 0
		.amdhsa_kernarg_size 64
		.amdhsa_user_sgpr_count 6
		.amdhsa_user_sgpr_private_segment_buffer 1
		.amdhsa_user_sgpr_dispatch_ptr 0
		.amdhsa_user_sgpr_queue_ptr 0
		.amdhsa_user_sgpr_kernarg_segment_ptr 1
		.amdhsa_user_sgpr_dispatch_id 0
		.amdhsa_user_sgpr_flat_scratch_init 0
		.amdhsa_user_sgpr_kernarg_preload_length 0
		.amdhsa_user_sgpr_kernarg_preload_offset 0
		.amdhsa_user_sgpr_private_segment_size 0
		.amdhsa_uses_dynamic_stack 0
		.amdhsa_system_sgpr_private_segment_wavefront_offset 0
		.amdhsa_system_sgpr_workgroup_id_x 1
		.amdhsa_system_sgpr_workgroup_id_y 0
		.amdhsa_system_sgpr_workgroup_id_z 0
		.amdhsa_system_sgpr_workgroup_info 0
		.amdhsa_system_vgpr_workitem_id 0
		.amdhsa_next_free_vgpr 1
		.amdhsa_next_free_sgpr 0
		.amdhsa_accum_offset 4
		.amdhsa_reserve_vcc 0
		.amdhsa_reserve_flat_scratch 0
		.amdhsa_float_round_mode_32 0
		.amdhsa_float_round_mode_16_64 0
		.amdhsa_float_denorm_mode_32 3
		.amdhsa_float_denorm_mode_16_64 3
		.amdhsa_dx10_clamp 1
		.amdhsa_ieee_mode 1
		.amdhsa_fp16_overflow 0
		.amdhsa_tg_split 0
		.amdhsa_exception_fp_ieee_invalid_op 0
		.amdhsa_exception_fp_denorm_src 0
		.amdhsa_exception_fp_ieee_div_zero 0
		.amdhsa_exception_fp_ieee_overflow 0
		.amdhsa_exception_fp_ieee_underflow 0
		.amdhsa_exception_fp_ieee_inexact 0
		.amdhsa_exception_int_div_zero 0
	.end_amdhsa_kernel
	.section	.text._ZN7rocprim17ROCPRIM_400000_NS6detail17trampoline_kernelINS0_14default_configENS1_38merge_sort_block_merge_config_selectorIlNS0_10empty_typeEEEZZNS1_27merge_sort_block_merge_implIS3_PlPS5_mZN2at6native12_GLOBAL__N_124unique_dim_cuda_templateIjEESt5tupleIJNSA_6TensorESF_SF_EERKSF_lbbbEUlllE_EE10hipError_tT0_T1_T2_jT3_P12ihipStream_tbPNSt15iterator_traitsISL_E10value_typeEPNSR_ISM_E10value_typeEPSN_NS1_7vsmem_tEENKUlT_SL_SM_SN_E_clIS8_S8_S9_S9_EESK_S10_SL_SM_SN_EUlS10_E1_NS1_11comp_targetILNS1_3genE2ELNS1_11target_archE906ELNS1_3gpuE6ELNS1_3repE0EEENS1_36merge_oddeven_config_static_selectorELNS0_4arch9wavefront6targetE1EEEvSM_,"axG",@progbits,_ZN7rocprim17ROCPRIM_400000_NS6detail17trampoline_kernelINS0_14default_configENS1_38merge_sort_block_merge_config_selectorIlNS0_10empty_typeEEEZZNS1_27merge_sort_block_merge_implIS3_PlPS5_mZN2at6native12_GLOBAL__N_124unique_dim_cuda_templateIjEESt5tupleIJNSA_6TensorESF_SF_EERKSF_lbbbEUlllE_EE10hipError_tT0_T1_T2_jT3_P12ihipStream_tbPNSt15iterator_traitsISL_E10value_typeEPNSR_ISM_E10value_typeEPSN_NS1_7vsmem_tEENKUlT_SL_SM_SN_E_clIS8_S8_S9_S9_EESK_S10_SL_SM_SN_EUlS10_E1_NS1_11comp_targetILNS1_3genE2ELNS1_11target_archE906ELNS1_3gpuE6ELNS1_3repE0EEENS1_36merge_oddeven_config_static_selectorELNS0_4arch9wavefront6targetE1EEEvSM_,comdat
.Lfunc_end1511:
	.size	_ZN7rocprim17ROCPRIM_400000_NS6detail17trampoline_kernelINS0_14default_configENS1_38merge_sort_block_merge_config_selectorIlNS0_10empty_typeEEEZZNS1_27merge_sort_block_merge_implIS3_PlPS5_mZN2at6native12_GLOBAL__N_124unique_dim_cuda_templateIjEESt5tupleIJNSA_6TensorESF_SF_EERKSF_lbbbEUlllE_EE10hipError_tT0_T1_T2_jT3_P12ihipStream_tbPNSt15iterator_traitsISL_E10value_typeEPNSR_ISM_E10value_typeEPSN_NS1_7vsmem_tEENKUlT_SL_SM_SN_E_clIS8_S8_S9_S9_EESK_S10_SL_SM_SN_EUlS10_E1_NS1_11comp_targetILNS1_3genE2ELNS1_11target_archE906ELNS1_3gpuE6ELNS1_3repE0EEENS1_36merge_oddeven_config_static_selectorELNS0_4arch9wavefront6targetE1EEEvSM_, .Lfunc_end1511-_ZN7rocprim17ROCPRIM_400000_NS6detail17trampoline_kernelINS0_14default_configENS1_38merge_sort_block_merge_config_selectorIlNS0_10empty_typeEEEZZNS1_27merge_sort_block_merge_implIS3_PlPS5_mZN2at6native12_GLOBAL__N_124unique_dim_cuda_templateIjEESt5tupleIJNSA_6TensorESF_SF_EERKSF_lbbbEUlllE_EE10hipError_tT0_T1_T2_jT3_P12ihipStream_tbPNSt15iterator_traitsISL_E10value_typeEPNSR_ISM_E10value_typeEPSN_NS1_7vsmem_tEENKUlT_SL_SM_SN_E_clIS8_S8_S9_S9_EESK_S10_SL_SM_SN_EUlS10_E1_NS1_11comp_targetILNS1_3genE2ELNS1_11target_archE906ELNS1_3gpuE6ELNS1_3repE0EEENS1_36merge_oddeven_config_static_selectorELNS0_4arch9wavefront6targetE1EEEvSM_
                                        ; -- End function
	.section	.AMDGPU.csdata,"",@progbits
; Kernel info:
; codeLenInByte = 0
; NumSgprs: 4
; NumVgprs: 0
; NumAgprs: 0
; TotalNumVgprs: 0
; ScratchSize: 0
; MemoryBound: 0
; FloatMode: 240
; IeeeMode: 1
; LDSByteSize: 0 bytes/workgroup (compile time only)
; SGPRBlocks: 0
; VGPRBlocks: 0
; NumSGPRsForWavesPerEU: 4
; NumVGPRsForWavesPerEU: 1
; AccumOffset: 4
; Occupancy: 8
; WaveLimiterHint : 0
; COMPUTE_PGM_RSRC2:SCRATCH_EN: 0
; COMPUTE_PGM_RSRC2:USER_SGPR: 6
; COMPUTE_PGM_RSRC2:TRAP_HANDLER: 0
; COMPUTE_PGM_RSRC2:TGID_X_EN: 1
; COMPUTE_PGM_RSRC2:TGID_Y_EN: 0
; COMPUTE_PGM_RSRC2:TGID_Z_EN: 0
; COMPUTE_PGM_RSRC2:TIDIG_COMP_CNT: 0
; COMPUTE_PGM_RSRC3_GFX90A:ACCUM_OFFSET: 0
; COMPUTE_PGM_RSRC3_GFX90A:TG_SPLIT: 0
	.section	.text._ZN7rocprim17ROCPRIM_400000_NS6detail17trampoline_kernelINS0_14default_configENS1_38merge_sort_block_merge_config_selectorIlNS0_10empty_typeEEEZZNS1_27merge_sort_block_merge_implIS3_PlPS5_mZN2at6native12_GLOBAL__N_124unique_dim_cuda_templateIjEESt5tupleIJNSA_6TensorESF_SF_EERKSF_lbbbEUlllE_EE10hipError_tT0_T1_T2_jT3_P12ihipStream_tbPNSt15iterator_traitsISL_E10value_typeEPNSR_ISM_E10value_typeEPSN_NS1_7vsmem_tEENKUlT_SL_SM_SN_E_clIS8_S8_S9_S9_EESK_S10_SL_SM_SN_EUlS10_E1_NS1_11comp_targetILNS1_3genE9ELNS1_11target_archE1100ELNS1_3gpuE3ELNS1_3repE0EEENS1_36merge_oddeven_config_static_selectorELNS0_4arch9wavefront6targetE1EEEvSM_,"axG",@progbits,_ZN7rocprim17ROCPRIM_400000_NS6detail17trampoline_kernelINS0_14default_configENS1_38merge_sort_block_merge_config_selectorIlNS0_10empty_typeEEEZZNS1_27merge_sort_block_merge_implIS3_PlPS5_mZN2at6native12_GLOBAL__N_124unique_dim_cuda_templateIjEESt5tupleIJNSA_6TensorESF_SF_EERKSF_lbbbEUlllE_EE10hipError_tT0_T1_T2_jT3_P12ihipStream_tbPNSt15iterator_traitsISL_E10value_typeEPNSR_ISM_E10value_typeEPSN_NS1_7vsmem_tEENKUlT_SL_SM_SN_E_clIS8_S8_S9_S9_EESK_S10_SL_SM_SN_EUlS10_E1_NS1_11comp_targetILNS1_3genE9ELNS1_11target_archE1100ELNS1_3gpuE3ELNS1_3repE0EEENS1_36merge_oddeven_config_static_selectorELNS0_4arch9wavefront6targetE1EEEvSM_,comdat
	.globl	_ZN7rocprim17ROCPRIM_400000_NS6detail17trampoline_kernelINS0_14default_configENS1_38merge_sort_block_merge_config_selectorIlNS0_10empty_typeEEEZZNS1_27merge_sort_block_merge_implIS3_PlPS5_mZN2at6native12_GLOBAL__N_124unique_dim_cuda_templateIjEESt5tupleIJNSA_6TensorESF_SF_EERKSF_lbbbEUlllE_EE10hipError_tT0_T1_T2_jT3_P12ihipStream_tbPNSt15iterator_traitsISL_E10value_typeEPNSR_ISM_E10value_typeEPSN_NS1_7vsmem_tEENKUlT_SL_SM_SN_E_clIS8_S8_S9_S9_EESK_S10_SL_SM_SN_EUlS10_E1_NS1_11comp_targetILNS1_3genE9ELNS1_11target_archE1100ELNS1_3gpuE3ELNS1_3repE0EEENS1_36merge_oddeven_config_static_selectorELNS0_4arch9wavefront6targetE1EEEvSM_ ; -- Begin function _ZN7rocprim17ROCPRIM_400000_NS6detail17trampoline_kernelINS0_14default_configENS1_38merge_sort_block_merge_config_selectorIlNS0_10empty_typeEEEZZNS1_27merge_sort_block_merge_implIS3_PlPS5_mZN2at6native12_GLOBAL__N_124unique_dim_cuda_templateIjEESt5tupleIJNSA_6TensorESF_SF_EERKSF_lbbbEUlllE_EE10hipError_tT0_T1_T2_jT3_P12ihipStream_tbPNSt15iterator_traitsISL_E10value_typeEPNSR_ISM_E10value_typeEPSN_NS1_7vsmem_tEENKUlT_SL_SM_SN_E_clIS8_S8_S9_S9_EESK_S10_SL_SM_SN_EUlS10_E1_NS1_11comp_targetILNS1_3genE9ELNS1_11target_archE1100ELNS1_3gpuE3ELNS1_3repE0EEENS1_36merge_oddeven_config_static_selectorELNS0_4arch9wavefront6targetE1EEEvSM_
	.p2align	8
	.type	_ZN7rocprim17ROCPRIM_400000_NS6detail17trampoline_kernelINS0_14default_configENS1_38merge_sort_block_merge_config_selectorIlNS0_10empty_typeEEEZZNS1_27merge_sort_block_merge_implIS3_PlPS5_mZN2at6native12_GLOBAL__N_124unique_dim_cuda_templateIjEESt5tupleIJNSA_6TensorESF_SF_EERKSF_lbbbEUlllE_EE10hipError_tT0_T1_T2_jT3_P12ihipStream_tbPNSt15iterator_traitsISL_E10value_typeEPNSR_ISM_E10value_typeEPSN_NS1_7vsmem_tEENKUlT_SL_SM_SN_E_clIS8_S8_S9_S9_EESK_S10_SL_SM_SN_EUlS10_E1_NS1_11comp_targetILNS1_3genE9ELNS1_11target_archE1100ELNS1_3gpuE3ELNS1_3repE0EEENS1_36merge_oddeven_config_static_selectorELNS0_4arch9wavefront6targetE1EEEvSM_,@function
_ZN7rocprim17ROCPRIM_400000_NS6detail17trampoline_kernelINS0_14default_configENS1_38merge_sort_block_merge_config_selectorIlNS0_10empty_typeEEEZZNS1_27merge_sort_block_merge_implIS3_PlPS5_mZN2at6native12_GLOBAL__N_124unique_dim_cuda_templateIjEESt5tupleIJNSA_6TensorESF_SF_EERKSF_lbbbEUlllE_EE10hipError_tT0_T1_T2_jT3_P12ihipStream_tbPNSt15iterator_traitsISL_E10value_typeEPNSR_ISM_E10value_typeEPSN_NS1_7vsmem_tEENKUlT_SL_SM_SN_E_clIS8_S8_S9_S9_EESK_S10_SL_SM_SN_EUlS10_E1_NS1_11comp_targetILNS1_3genE9ELNS1_11target_archE1100ELNS1_3gpuE3ELNS1_3repE0EEENS1_36merge_oddeven_config_static_selectorELNS0_4arch9wavefront6targetE1EEEvSM_: ; @_ZN7rocprim17ROCPRIM_400000_NS6detail17trampoline_kernelINS0_14default_configENS1_38merge_sort_block_merge_config_selectorIlNS0_10empty_typeEEEZZNS1_27merge_sort_block_merge_implIS3_PlPS5_mZN2at6native12_GLOBAL__N_124unique_dim_cuda_templateIjEESt5tupleIJNSA_6TensorESF_SF_EERKSF_lbbbEUlllE_EE10hipError_tT0_T1_T2_jT3_P12ihipStream_tbPNSt15iterator_traitsISL_E10value_typeEPNSR_ISM_E10value_typeEPSN_NS1_7vsmem_tEENKUlT_SL_SM_SN_E_clIS8_S8_S9_S9_EESK_S10_SL_SM_SN_EUlS10_E1_NS1_11comp_targetILNS1_3genE9ELNS1_11target_archE1100ELNS1_3gpuE3ELNS1_3repE0EEENS1_36merge_oddeven_config_static_selectorELNS0_4arch9wavefront6targetE1EEEvSM_
; %bb.0:
	.section	.rodata,"a",@progbits
	.p2align	6, 0x0
	.amdhsa_kernel _ZN7rocprim17ROCPRIM_400000_NS6detail17trampoline_kernelINS0_14default_configENS1_38merge_sort_block_merge_config_selectorIlNS0_10empty_typeEEEZZNS1_27merge_sort_block_merge_implIS3_PlPS5_mZN2at6native12_GLOBAL__N_124unique_dim_cuda_templateIjEESt5tupleIJNSA_6TensorESF_SF_EERKSF_lbbbEUlllE_EE10hipError_tT0_T1_T2_jT3_P12ihipStream_tbPNSt15iterator_traitsISL_E10value_typeEPNSR_ISM_E10value_typeEPSN_NS1_7vsmem_tEENKUlT_SL_SM_SN_E_clIS8_S8_S9_S9_EESK_S10_SL_SM_SN_EUlS10_E1_NS1_11comp_targetILNS1_3genE9ELNS1_11target_archE1100ELNS1_3gpuE3ELNS1_3repE0EEENS1_36merge_oddeven_config_static_selectorELNS0_4arch9wavefront6targetE1EEEvSM_
		.amdhsa_group_segment_fixed_size 0
		.amdhsa_private_segment_fixed_size 0
		.amdhsa_kernarg_size 64
		.amdhsa_user_sgpr_count 6
		.amdhsa_user_sgpr_private_segment_buffer 1
		.amdhsa_user_sgpr_dispatch_ptr 0
		.amdhsa_user_sgpr_queue_ptr 0
		.amdhsa_user_sgpr_kernarg_segment_ptr 1
		.amdhsa_user_sgpr_dispatch_id 0
		.amdhsa_user_sgpr_flat_scratch_init 0
		.amdhsa_user_sgpr_kernarg_preload_length 0
		.amdhsa_user_sgpr_kernarg_preload_offset 0
		.amdhsa_user_sgpr_private_segment_size 0
		.amdhsa_uses_dynamic_stack 0
		.amdhsa_system_sgpr_private_segment_wavefront_offset 0
		.amdhsa_system_sgpr_workgroup_id_x 1
		.amdhsa_system_sgpr_workgroup_id_y 0
		.amdhsa_system_sgpr_workgroup_id_z 0
		.amdhsa_system_sgpr_workgroup_info 0
		.amdhsa_system_vgpr_workitem_id 0
		.amdhsa_next_free_vgpr 1
		.amdhsa_next_free_sgpr 0
		.amdhsa_accum_offset 4
		.amdhsa_reserve_vcc 0
		.amdhsa_reserve_flat_scratch 0
		.amdhsa_float_round_mode_32 0
		.amdhsa_float_round_mode_16_64 0
		.amdhsa_float_denorm_mode_32 3
		.amdhsa_float_denorm_mode_16_64 3
		.amdhsa_dx10_clamp 1
		.amdhsa_ieee_mode 1
		.amdhsa_fp16_overflow 0
		.amdhsa_tg_split 0
		.amdhsa_exception_fp_ieee_invalid_op 0
		.amdhsa_exception_fp_denorm_src 0
		.amdhsa_exception_fp_ieee_div_zero 0
		.amdhsa_exception_fp_ieee_overflow 0
		.amdhsa_exception_fp_ieee_underflow 0
		.amdhsa_exception_fp_ieee_inexact 0
		.amdhsa_exception_int_div_zero 0
	.end_amdhsa_kernel
	.section	.text._ZN7rocprim17ROCPRIM_400000_NS6detail17trampoline_kernelINS0_14default_configENS1_38merge_sort_block_merge_config_selectorIlNS0_10empty_typeEEEZZNS1_27merge_sort_block_merge_implIS3_PlPS5_mZN2at6native12_GLOBAL__N_124unique_dim_cuda_templateIjEESt5tupleIJNSA_6TensorESF_SF_EERKSF_lbbbEUlllE_EE10hipError_tT0_T1_T2_jT3_P12ihipStream_tbPNSt15iterator_traitsISL_E10value_typeEPNSR_ISM_E10value_typeEPSN_NS1_7vsmem_tEENKUlT_SL_SM_SN_E_clIS8_S8_S9_S9_EESK_S10_SL_SM_SN_EUlS10_E1_NS1_11comp_targetILNS1_3genE9ELNS1_11target_archE1100ELNS1_3gpuE3ELNS1_3repE0EEENS1_36merge_oddeven_config_static_selectorELNS0_4arch9wavefront6targetE1EEEvSM_,"axG",@progbits,_ZN7rocprim17ROCPRIM_400000_NS6detail17trampoline_kernelINS0_14default_configENS1_38merge_sort_block_merge_config_selectorIlNS0_10empty_typeEEEZZNS1_27merge_sort_block_merge_implIS3_PlPS5_mZN2at6native12_GLOBAL__N_124unique_dim_cuda_templateIjEESt5tupleIJNSA_6TensorESF_SF_EERKSF_lbbbEUlllE_EE10hipError_tT0_T1_T2_jT3_P12ihipStream_tbPNSt15iterator_traitsISL_E10value_typeEPNSR_ISM_E10value_typeEPSN_NS1_7vsmem_tEENKUlT_SL_SM_SN_E_clIS8_S8_S9_S9_EESK_S10_SL_SM_SN_EUlS10_E1_NS1_11comp_targetILNS1_3genE9ELNS1_11target_archE1100ELNS1_3gpuE3ELNS1_3repE0EEENS1_36merge_oddeven_config_static_selectorELNS0_4arch9wavefront6targetE1EEEvSM_,comdat
.Lfunc_end1512:
	.size	_ZN7rocprim17ROCPRIM_400000_NS6detail17trampoline_kernelINS0_14default_configENS1_38merge_sort_block_merge_config_selectorIlNS0_10empty_typeEEEZZNS1_27merge_sort_block_merge_implIS3_PlPS5_mZN2at6native12_GLOBAL__N_124unique_dim_cuda_templateIjEESt5tupleIJNSA_6TensorESF_SF_EERKSF_lbbbEUlllE_EE10hipError_tT0_T1_T2_jT3_P12ihipStream_tbPNSt15iterator_traitsISL_E10value_typeEPNSR_ISM_E10value_typeEPSN_NS1_7vsmem_tEENKUlT_SL_SM_SN_E_clIS8_S8_S9_S9_EESK_S10_SL_SM_SN_EUlS10_E1_NS1_11comp_targetILNS1_3genE9ELNS1_11target_archE1100ELNS1_3gpuE3ELNS1_3repE0EEENS1_36merge_oddeven_config_static_selectorELNS0_4arch9wavefront6targetE1EEEvSM_, .Lfunc_end1512-_ZN7rocprim17ROCPRIM_400000_NS6detail17trampoline_kernelINS0_14default_configENS1_38merge_sort_block_merge_config_selectorIlNS0_10empty_typeEEEZZNS1_27merge_sort_block_merge_implIS3_PlPS5_mZN2at6native12_GLOBAL__N_124unique_dim_cuda_templateIjEESt5tupleIJNSA_6TensorESF_SF_EERKSF_lbbbEUlllE_EE10hipError_tT0_T1_T2_jT3_P12ihipStream_tbPNSt15iterator_traitsISL_E10value_typeEPNSR_ISM_E10value_typeEPSN_NS1_7vsmem_tEENKUlT_SL_SM_SN_E_clIS8_S8_S9_S9_EESK_S10_SL_SM_SN_EUlS10_E1_NS1_11comp_targetILNS1_3genE9ELNS1_11target_archE1100ELNS1_3gpuE3ELNS1_3repE0EEENS1_36merge_oddeven_config_static_selectorELNS0_4arch9wavefront6targetE1EEEvSM_
                                        ; -- End function
	.section	.AMDGPU.csdata,"",@progbits
; Kernel info:
; codeLenInByte = 0
; NumSgprs: 4
; NumVgprs: 0
; NumAgprs: 0
; TotalNumVgprs: 0
; ScratchSize: 0
; MemoryBound: 0
; FloatMode: 240
; IeeeMode: 1
; LDSByteSize: 0 bytes/workgroup (compile time only)
; SGPRBlocks: 0
; VGPRBlocks: 0
; NumSGPRsForWavesPerEU: 4
; NumVGPRsForWavesPerEU: 1
; AccumOffset: 4
; Occupancy: 8
; WaveLimiterHint : 0
; COMPUTE_PGM_RSRC2:SCRATCH_EN: 0
; COMPUTE_PGM_RSRC2:USER_SGPR: 6
; COMPUTE_PGM_RSRC2:TRAP_HANDLER: 0
; COMPUTE_PGM_RSRC2:TGID_X_EN: 1
; COMPUTE_PGM_RSRC2:TGID_Y_EN: 0
; COMPUTE_PGM_RSRC2:TGID_Z_EN: 0
; COMPUTE_PGM_RSRC2:TIDIG_COMP_CNT: 0
; COMPUTE_PGM_RSRC3_GFX90A:ACCUM_OFFSET: 0
; COMPUTE_PGM_RSRC3_GFX90A:TG_SPLIT: 0
	.section	.text._ZN7rocprim17ROCPRIM_400000_NS6detail17trampoline_kernelINS0_14default_configENS1_38merge_sort_block_merge_config_selectorIlNS0_10empty_typeEEEZZNS1_27merge_sort_block_merge_implIS3_PlPS5_mZN2at6native12_GLOBAL__N_124unique_dim_cuda_templateIjEESt5tupleIJNSA_6TensorESF_SF_EERKSF_lbbbEUlllE_EE10hipError_tT0_T1_T2_jT3_P12ihipStream_tbPNSt15iterator_traitsISL_E10value_typeEPNSR_ISM_E10value_typeEPSN_NS1_7vsmem_tEENKUlT_SL_SM_SN_E_clIS8_S8_S9_S9_EESK_S10_SL_SM_SN_EUlS10_E1_NS1_11comp_targetILNS1_3genE8ELNS1_11target_archE1030ELNS1_3gpuE2ELNS1_3repE0EEENS1_36merge_oddeven_config_static_selectorELNS0_4arch9wavefront6targetE1EEEvSM_,"axG",@progbits,_ZN7rocprim17ROCPRIM_400000_NS6detail17trampoline_kernelINS0_14default_configENS1_38merge_sort_block_merge_config_selectorIlNS0_10empty_typeEEEZZNS1_27merge_sort_block_merge_implIS3_PlPS5_mZN2at6native12_GLOBAL__N_124unique_dim_cuda_templateIjEESt5tupleIJNSA_6TensorESF_SF_EERKSF_lbbbEUlllE_EE10hipError_tT0_T1_T2_jT3_P12ihipStream_tbPNSt15iterator_traitsISL_E10value_typeEPNSR_ISM_E10value_typeEPSN_NS1_7vsmem_tEENKUlT_SL_SM_SN_E_clIS8_S8_S9_S9_EESK_S10_SL_SM_SN_EUlS10_E1_NS1_11comp_targetILNS1_3genE8ELNS1_11target_archE1030ELNS1_3gpuE2ELNS1_3repE0EEENS1_36merge_oddeven_config_static_selectorELNS0_4arch9wavefront6targetE1EEEvSM_,comdat
	.globl	_ZN7rocprim17ROCPRIM_400000_NS6detail17trampoline_kernelINS0_14default_configENS1_38merge_sort_block_merge_config_selectorIlNS0_10empty_typeEEEZZNS1_27merge_sort_block_merge_implIS3_PlPS5_mZN2at6native12_GLOBAL__N_124unique_dim_cuda_templateIjEESt5tupleIJNSA_6TensorESF_SF_EERKSF_lbbbEUlllE_EE10hipError_tT0_T1_T2_jT3_P12ihipStream_tbPNSt15iterator_traitsISL_E10value_typeEPNSR_ISM_E10value_typeEPSN_NS1_7vsmem_tEENKUlT_SL_SM_SN_E_clIS8_S8_S9_S9_EESK_S10_SL_SM_SN_EUlS10_E1_NS1_11comp_targetILNS1_3genE8ELNS1_11target_archE1030ELNS1_3gpuE2ELNS1_3repE0EEENS1_36merge_oddeven_config_static_selectorELNS0_4arch9wavefront6targetE1EEEvSM_ ; -- Begin function _ZN7rocprim17ROCPRIM_400000_NS6detail17trampoline_kernelINS0_14default_configENS1_38merge_sort_block_merge_config_selectorIlNS0_10empty_typeEEEZZNS1_27merge_sort_block_merge_implIS3_PlPS5_mZN2at6native12_GLOBAL__N_124unique_dim_cuda_templateIjEESt5tupleIJNSA_6TensorESF_SF_EERKSF_lbbbEUlllE_EE10hipError_tT0_T1_T2_jT3_P12ihipStream_tbPNSt15iterator_traitsISL_E10value_typeEPNSR_ISM_E10value_typeEPSN_NS1_7vsmem_tEENKUlT_SL_SM_SN_E_clIS8_S8_S9_S9_EESK_S10_SL_SM_SN_EUlS10_E1_NS1_11comp_targetILNS1_3genE8ELNS1_11target_archE1030ELNS1_3gpuE2ELNS1_3repE0EEENS1_36merge_oddeven_config_static_selectorELNS0_4arch9wavefront6targetE1EEEvSM_
	.p2align	8
	.type	_ZN7rocprim17ROCPRIM_400000_NS6detail17trampoline_kernelINS0_14default_configENS1_38merge_sort_block_merge_config_selectorIlNS0_10empty_typeEEEZZNS1_27merge_sort_block_merge_implIS3_PlPS5_mZN2at6native12_GLOBAL__N_124unique_dim_cuda_templateIjEESt5tupleIJNSA_6TensorESF_SF_EERKSF_lbbbEUlllE_EE10hipError_tT0_T1_T2_jT3_P12ihipStream_tbPNSt15iterator_traitsISL_E10value_typeEPNSR_ISM_E10value_typeEPSN_NS1_7vsmem_tEENKUlT_SL_SM_SN_E_clIS8_S8_S9_S9_EESK_S10_SL_SM_SN_EUlS10_E1_NS1_11comp_targetILNS1_3genE8ELNS1_11target_archE1030ELNS1_3gpuE2ELNS1_3repE0EEENS1_36merge_oddeven_config_static_selectorELNS0_4arch9wavefront6targetE1EEEvSM_,@function
_ZN7rocprim17ROCPRIM_400000_NS6detail17trampoline_kernelINS0_14default_configENS1_38merge_sort_block_merge_config_selectorIlNS0_10empty_typeEEEZZNS1_27merge_sort_block_merge_implIS3_PlPS5_mZN2at6native12_GLOBAL__N_124unique_dim_cuda_templateIjEESt5tupleIJNSA_6TensorESF_SF_EERKSF_lbbbEUlllE_EE10hipError_tT0_T1_T2_jT3_P12ihipStream_tbPNSt15iterator_traitsISL_E10value_typeEPNSR_ISM_E10value_typeEPSN_NS1_7vsmem_tEENKUlT_SL_SM_SN_E_clIS8_S8_S9_S9_EESK_S10_SL_SM_SN_EUlS10_E1_NS1_11comp_targetILNS1_3genE8ELNS1_11target_archE1030ELNS1_3gpuE2ELNS1_3repE0EEENS1_36merge_oddeven_config_static_selectorELNS0_4arch9wavefront6targetE1EEEvSM_: ; @_ZN7rocprim17ROCPRIM_400000_NS6detail17trampoline_kernelINS0_14default_configENS1_38merge_sort_block_merge_config_selectorIlNS0_10empty_typeEEEZZNS1_27merge_sort_block_merge_implIS3_PlPS5_mZN2at6native12_GLOBAL__N_124unique_dim_cuda_templateIjEESt5tupleIJNSA_6TensorESF_SF_EERKSF_lbbbEUlllE_EE10hipError_tT0_T1_T2_jT3_P12ihipStream_tbPNSt15iterator_traitsISL_E10value_typeEPNSR_ISM_E10value_typeEPSN_NS1_7vsmem_tEENKUlT_SL_SM_SN_E_clIS8_S8_S9_S9_EESK_S10_SL_SM_SN_EUlS10_E1_NS1_11comp_targetILNS1_3genE8ELNS1_11target_archE1030ELNS1_3gpuE2ELNS1_3repE0EEENS1_36merge_oddeven_config_static_selectorELNS0_4arch9wavefront6targetE1EEEvSM_
; %bb.0:
	.section	.rodata,"a",@progbits
	.p2align	6, 0x0
	.amdhsa_kernel _ZN7rocprim17ROCPRIM_400000_NS6detail17trampoline_kernelINS0_14default_configENS1_38merge_sort_block_merge_config_selectorIlNS0_10empty_typeEEEZZNS1_27merge_sort_block_merge_implIS3_PlPS5_mZN2at6native12_GLOBAL__N_124unique_dim_cuda_templateIjEESt5tupleIJNSA_6TensorESF_SF_EERKSF_lbbbEUlllE_EE10hipError_tT0_T1_T2_jT3_P12ihipStream_tbPNSt15iterator_traitsISL_E10value_typeEPNSR_ISM_E10value_typeEPSN_NS1_7vsmem_tEENKUlT_SL_SM_SN_E_clIS8_S8_S9_S9_EESK_S10_SL_SM_SN_EUlS10_E1_NS1_11comp_targetILNS1_3genE8ELNS1_11target_archE1030ELNS1_3gpuE2ELNS1_3repE0EEENS1_36merge_oddeven_config_static_selectorELNS0_4arch9wavefront6targetE1EEEvSM_
		.amdhsa_group_segment_fixed_size 0
		.amdhsa_private_segment_fixed_size 0
		.amdhsa_kernarg_size 64
		.amdhsa_user_sgpr_count 6
		.amdhsa_user_sgpr_private_segment_buffer 1
		.amdhsa_user_sgpr_dispatch_ptr 0
		.amdhsa_user_sgpr_queue_ptr 0
		.amdhsa_user_sgpr_kernarg_segment_ptr 1
		.amdhsa_user_sgpr_dispatch_id 0
		.amdhsa_user_sgpr_flat_scratch_init 0
		.amdhsa_user_sgpr_kernarg_preload_length 0
		.amdhsa_user_sgpr_kernarg_preload_offset 0
		.amdhsa_user_sgpr_private_segment_size 0
		.amdhsa_uses_dynamic_stack 0
		.amdhsa_system_sgpr_private_segment_wavefront_offset 0
		.amdhsa_system_sgpr_workgroup_id_x 1
		.amdhsa_system_sgpr_workgroup_id_y 0
		.amdhsa_system_sgpr_workgroup_id_z 0
		.amdhsa_system_sgpr_workgroup_info 0
		.amdhsa_system_vgpr_workitem_id 0
		.amdhsa_next_free_vgpr 1
		.amdhsa_next_free_sgpr 0
		.amdhsa_accum_offset 4
		.amdhsa_reserve_vcc 0
		.amdhsa_reserve_flat_scratch 0
		.amdhsa_float_round_mode_32 0
		.amdhsa_float_round_mode_16_64 0
		.amdhsa_float_denorm_mode_32 3
		.amdhsa_float_denorm_mode_16_64 3
		.amdhsa_dx10_clamp 1
		.amdhsa_ieee_mode 1
		.amdhsa_fp16_overflow 0
		.amdhsa_tg_split 0
		.amdhsa_exception_fp_ieee_invalid_op 0
		.amdhsa_exception_fp_denorm_src 0
		.amdhsa_exception_fp_ieee_div_zero 0
		.amdhsa_exception_fp_ieee_overflow 0
		.amdhsa_exception_fp_ieee_underflow 0
		.amdhsa_exception_fp_ieee_inexact 0
		.amdhsa_exception_int_div_zero 0
	.end_amdhsa_kernel
	.section	.text._ZN7rocprim17ROCPRIM_400000_NS6detail17trampoline_kernelINS0_14default_configENS1_38merge_sort_block_merge_config_selectorIlNS0_10empty_typeEEEZZNS1_27merge_sort_block_merge_implIS3_PlPS5_mZN2at6native12_GLOBAL__N_124unique_dim_cuda_templateIjEESt5tupleIJNSA_6TensorESF_SF_EERKSF_lbbbEUlllE_EE10hipError_tT0_T1_T2_jT3_P12ihipStream_tbPNSt15iterator_traitsISL_E10value_typeEPNSR_ISM_E10value_typeEPSN_NS1_7vsmem_tEENKUlT_SL_SM_SN_E_clIS8_S8_S9_S9_EESK_S10_SL_SM_SN_EUlS10_E1_NS1_11comp_targetILNS1_3genE8ELNS1_11target_archE1030ELNS1_3gpuE2ELNS1_3repE0EEENS1_36merge_oddeven_config_static_selectorELNS0_4arch9wavefront6targetE1EEEvSM_,"axG",@progbits,_ZN7rocprim17ROCPRIM_400000_NS6detail17trampoline_kernelINS0_14default_configENS1_38merge_sort_block_merge_config_selectorIlNS0_10empty_typeEEEZZNS1_27merge_sort_block_merge_implIS3_PlPS5_mZN2at6native12_GLOBAL__N_124unique_dim_cuda_templateIjEESt5tupleIJNSA_6TensorESF_SF_EERKSF_lbbbEUlllE_EE10hipError_tT0_T1_T2_jT3_P12ihipStream_tbPNSt15iterator_traitsISL_E10value_typeEPNSR_ISM_E10value_typeEPSN_NS1_7vsmem_tEENKUlT_SL_SM_SN_E_clIS8_S8_S9_S9_EESK_S10_SL_SM_SN_EUlS10_E1_NS1_11comp_targetILNS1_3genE8ELNS1_11target_archE1030ELNS1_3gpuE2ELNS1_3repE0EEENS1_36merge_oddeven_config_static_selectorELNS0_4arch9wavefront6targetE1EEEvSM_,comdat
.Lfunc_end1513:
	.size	_ZN7rocprim17ROCPRIM_400000_NS6detail17trampoline_kernelINS0_14default_configENS1_38merge_sort_block_merge_config_selectorIlNS0_10empty_typeEEEZZNS1_27merge_sort_block_merge_implIS3_PlPS5_mZN2at6native12_GLOBAL__N_124unique_dim_cuda_templateIjEESt5tupleIJNSA_6TensorESF_SF_EERKSF_lbbbEUlllE_EE10hipError_tT0_T1_T2_jT3_P12ihipStream_tbPNSt15iterator_traitsISL_E10value_typeEPNSR_ISM_E10value_typeEPSN_NS1_7vsmem_tEENKUlT_SL_SM_SN_E_clIS8_S8_S9_S9_EESK_S10_SL_SM_SN_EUlS10_E1_NS1_11comp_targetILNS1_3genE8ELNS1_11target_archE1030ELNS1_3gpuE2ELNS1_3repE0EEENS1_36merge_oddeven_config_static_selectorELNS0_4arch9wavefront6targetE1EEEvSM_, .Lfunc_end1513-_ZN7rocprim17ROCPRIM_400000_NS6detail17trampoline_kernelINS0_14default_configENS1_38merge_sort_block_merge_config_selectorIlNS0_10empty_typeEEEZZNS1_27merge_sort_block_merge_implIS3_PlPS5_mZN2at6native12_GLOBAL__N_124unique_dim_cuda_templateIjEESt5tupleIJNSA_6TensorESF_SF_EERKSF_lbbbEUlllE_EE10hipError_tT0_T1_T2_jT3_P12ihipStream_tbPNSt15iterator_traitsISL_E10value_typeEPNSR_ISM_E10value_typeEPSN_NS1_7vsmem_tEENKUlT_SL_SM_SN_E_clIS8_S8_S9_S9_EESK_S10_SL_SM_SN_EUlS10_E1_NS1_11comp_targetILNS1_3genE8ELNS1_11target_archE1030ELNS1_3gpuE2ELNS1_3repE0EEENS1_36merge_oddeven_config_static_selectorELNS0_4arch9wavefront6targetE1EEEvSM_
                                        ; -- End function
	.section	.AMDGPU.csdata,"",@progbits
; Kernel info:
; codeLenInByte = 0
; NumSgprs: 4
; NumVgprs: 0
; NumAgprs: 0
; TotalNumVgprs: 0
; ScratchSize: 0
; MemoryBound: 0
; FloatMode: 240
; IeeeMode: 1
; LDSByteSize: 0 bytes/workgroup (compile time only)
; SGPRBlocks: 0
; VGPRBlocks: 0
; NumSGPRsForWavesPerEU: 4
; NumVGPRsForWavesPerEU: 1
; AccumOffset: 4
; Occupancy: 8
; WaveLimiterHint : 0
; COMPUTE_PGM_RSRC2:SCRATCH_EN: 0
; COMPUTE_PGM_RSRC2:USER_SGPR: 6
; COMPUTE_PGM_RSRC2:TRAP_HANDLER: 0
; COMPUTE_PGM_RSRC2:TGID_X_EN: 1
; COMPUTE_PGM_RSRC2:TGID_Y_EN: 0
; COMPUTE_PGM_RSRC2:TGID_Z_EN: 0
; COMPUTE_PGM_RSRC2:TIDIG_COMP_CNT: 0
; COMPUTE_PGM_RSRC3_GFX90A:ACCUM_OFFSET: 0
; COMPUTE_PGM_RSRC3_GFX90A:TG_SPLIT: 0
	.section	.text._ZN7rocprim17ROCPRIM_400000_NS6detail17trampoline_kernelINS0_14default_configENS1_35adjacent_difference_config_selectorILb0ElEEZNS1_24adjacent_difference_implIS3_Lb0ELb0EPlS7_ZN2at6native12_GLOBAL__N_124unique_dim_cuda_templateIjEESt5tupleIJNS8_6TensorESD_SD_EERKSD_lbbbEUlllE1_EE10hipError_tPvRmT2_T3_mT4_P12ihipStream_tbEUlT_E_NS1_11comp_targetILNS1_3genE0ELNS1_11target_archE4294967295ELNS1_3gpuE0ELNS1_3repE0EEENS1_30default_config_static_selectorELNS0_4arch9wavefront6targetE1EEEvT1_,"axG",@progbits,_ZN7rocprim17ROCPRIM_400000_NS6detail17trampoline_kernelINS0_14default_configENS1_35adjacent_difference_config_selectorILb0ElEEZNS1_24adjacent_difference_implIS3_Lb0ELb0EPlS7_ZN2at6native12_GLOBAL__N_124unique_dim_cuda_templateIjEESt5tupleIJNS8_6TensorESD_SD_EERKSD_lbbbEUlllE1_EE10hipError_tPvRmT2_T3_mT4_P12ihipStream_tbEUlT_E_NS1_11comp_targetILNS1_3genE0ELNS1_11target_archE4294967295ELNS1_3gpuE0ELNS1_3repE0EEENS1_30default_config_static_selectorELNS0_4arch9wavefront6targetE1EEEvT1_,comdat
	.globl	_ZN7rocprim17ROCPRIM_400000_NS6detail17trampoline_kernelINS0_14default_configENS1_35adjacent_difference_config_selectorILb0ElEEZNS1_24adjacent_difference_implIS3_Lb0ELb0EPlS7_ZN2at6native12_GLOBAL__N_124unique_dim_cuda_templateIjEESt5tupleIJNS8_6TensorESD_SD_EERKSD_lbbbEUlllE1_EE10hipError_tPvRmT2_T3_mT4_P12ihipStream_tbEUlT_E_NS1_11comp_targetILNS1_3genE0ELNS1_11target_archE4294967295ELNS1_3gpuE0ELNS1_3repE0EEENS1_30default_config_static_selectorELNS0_4arch9wavefront6targetE1EEEvT1_ ; -- Begin function _ZN7rocprim17ROCPRIM_400000_NS6detail17trampoline_kernelINS0_14default_configENS1_35adjacent_difference_config_selectorILb0ElEEZNS1_24adjacent_difference_implIS3_Lb0ELb0EPlS7_ZN2at6native12_GLOBAL__N_124unique_dim_cuda_templateIjEESt5tupleIJNS8_6TensorESD_SD_EERKSD_lbbbEUlllE1_EE10hipError_tPvRmT2_T3_mT4_P12ihipStream_tbEUlT_E_NS1_11comp_targetILNS1_3genE0ELNS1_11target_archE4294967295ELNS1_3gpuE0ELNS1_3repE0EEENS1_30default_config_static_selectorELNS0_4arch9wavefront6targetE1EEEvT1_
	.p2align	8
	.type	_ZN7rocprim17ROCPRIM_400000_NS6detail17trampoline_kernelINS0_14default_configENS1_35adjacent_difference_config_selectorILb0ElEEZNS1_24adjacent_difference_implIS3_Lb0ELb0EPlS7_ZN2at6native12_GLOBAL__N_124unique_dim_cuda_templateIjEESt5tupleIJNS8_6TensorESD_SD_EERKSD_lbbbEUlllE1_EE10hipError_tPvRmT2_T3_mT4_P12ihipStream_tbEUlT_E_NS1_11comp_targetILNS1_3genE0ELNS1_11target_archE4294967295ELNS1_3gpuE0ELNS1_3repE0EEENS1_30default_config_static_selectorELNS0_4arch9wavefront6targetE1EEEvT1_,@function
_ZN7rocprim17ROCPRIM_400000_NS6detail17trampoline_kernelINS0_14default_configENS1_35adjacent_difference_config_selectorILb0ElEEZNS1_24adjacent_difference_implIS3_Lb0ELb0EPlS7_ZN2at6native12_GLOBAL__N_124unique_dim_cuda_templateIjEESt5tupleIJNS8_6TensorESD_SD_EERKSD_lbbbEUlllE1_EE10hipError_tPvRmT2_T3_mT4_P12ihipStream_tbEUlT_E_NS1_11comp_targetILNS1_3genE0ELNS1_11target_archE4294967295ELNS1_3gpuE0ELNS1_3repE0EEENS1_30default_config_static_selectorELNS0_4arch9wavefront6targetE1EEEvT1_: ; @_ZN7rocprim17ROCPRIM_400000_NS6detail17trampoline_kernelINS0_14default_configENS1_35adjacent_difference_config_selectorILb0ElEEZNS1_24adjacent_difference_implIS3_Lb0ELb0EPlS7_ZN2at6native12_GLOBAL__N_124unique_dim_cuda_templateIjEESt5tupleIJNS8_6TensorESD_SD_EERKSD_lbbbEUlllE1_EE10hipError_tPvRmT2_T3_mT4_P12ihipStream_tbEUlT_E_NS1_11comp_targetILNS1_3genE0ELNS1_11target_archE4294967295ELNS1_3gpuE0ELNS1_3repE0EEENS1_30default_config_static_selectorELNS0_4arch9wavefront6targetE1EEEvT1_
; %bb.0:
	.section	.rodata,"a",@progbits
	.p2align	6, 0x0
	.amdhsa_kernel _ZN7rocprim17ROCPRIM_400000_NS6detail17trampoline_kernelINS0_14default_configENS1_35adjacent_difference_config_selectorILb0ElEEZNS1_24adjacent_difference_implIS3_Lb0ELb0EPlS7_ZN2at6native12_GLOBAL__N_124unique_dim_cuda_templateIjEESt5tupleIJNS8_6TensorESD_SD_EERKSD_lbbbEUlllE1_EE10hipError_tPvRmT2_T3_mT4_P12ihipStream_tbEUlT_E_NS1_11comp_targetILNS1_3genE0ELNS1_11target_archE4294967295ELNS1_3gpuE0ELNS1_3repE0EEENS1_30default_config_static_selectorELNS0_4arch9wavefront6targetE1EEEvT1_
		.amdhsa_group_segment_fixed_size 0
		.amdhsa_private_segment_fixed_size 0
		.amdhsa_kernarg_size 64
		.amdhsa_user_sgpr_count 6
		.amdhsa_user_sgpr_private_segment_buffer 1
		.amdhsa_user_sgpr_dispatch_ptr 0
		.amdhsa_user_sgpr_queue_ptr 0
		.amdhsa_user_sgpr_kernarg_segment_ptr 1
		.amdhsa_user_sgpr_dispatch_id 0
		.amdhsa_user_sgpr_flat_scratch_init 0
		.amdhsa_user_sgpr_kernarg_preload_length 0
		.amdhsa_user_sgpr_kernarg_preload_offset 0
		.amdhsa_user_sgpr_private_segment_size 0
		.amdhsa_uses_dynamic_stack 0
		.amdhsa_system_sgpr_private_segment_wavefront_offset 0
		.amdhsa_system_sgpr_workgroup_id_x 1
		.amdhsa_system_sgpr_workgroup_id_y 0
		.amdhsa_system_sgpr_workgroup_id_z 0
		.amdhsa_system_sgpr_workgroup_info 0
		.amdhsa_system_vgpr_workitem_id 0
		.amdhsa_next_free_vgpr 1
		.amdhsa_next_free_sgpr 0
		.amdhsa_accum_offset 4
		.amdhsa_reserve_vcc 0
		.amdhsa_reserve_flat_scratch 0
		.amdhsa_float_round_mode_32 0
		.amdhsa_float_round_mode_16_64 0
		.amdhsa_float_denorm_mode_32 3
		.amdhsa_float_denorm_mode_16_64 3
		.amdhsa_dx10_clamp 1
		.amdhsa_ieee_mode 1
		.amdhsa_fp16_overflow 0
		.amdhsa_tg_split 0
		.amdhsa_exception_fp_ieee_invalid_op 0
		.amdhsa_exception_fp_denorm_src 0
		.amdhsa_exception_fp_ieee_div_zero 0
		.amdhsa_exception_fp_ieee_overflow 0
		.amdhsa_exception_fp_ieee_underflow 0
		.amdhsa_exception_fp_ieee_inexact 0
		.amdhsa_exception_int_div_zero 0
	.end_amdhsa_kernel
	.section	.text._ZN7rocprim17ROCPRIM_400000_NS6detail17trampoline_kernelINS0_14default_configENS1_35adjacent_difference_config_selectorILb0ElEEZNS1_24adjacent_difference_implIS3_Lb0ELb0EPlS7_ZN2at6native12_GLOBAL__N_124unique_dim_cuda_templateIjEESt5tupleIJNS8_6TensorESD_SD_EERKSD_lbbbEUlllE1_EE10hipError_tPvRmT2_T3_mT4_P12ihipStream_tbEUlT_E_NS1_11comp_targetILNS1_3genE0ELNS1_11target_archE4294967295ELNS1_3gpuE0ELNS1_3repE0EEENS1_30default_config_static_selectorELNS0_4arch9wavefront6targetE1EEEvT1_,"axG",@progbits,_ZN7rocprim17ROCPRIM_400000_NS6detail17trampoline_kernelINS0_14default_configENS1_35adjacent_difference_config_selectorILb0ElEEZNS1_24adjacent_difference_implIS3_Lb0ELb0EPlS7_ZN2at6native12_GLOBAL__N_124unique_dim_cuda_templateIjEESt5tupleIJNS8_6TensorESD_SD_EERKSD_lbbbEUlllE1_EE10hipError_tPvRmT2_T3_mT4_P12ihipStream_tbEUlT_E_NS1_11comp_targetILNS1_3genE0ELNS1_11target_archE4294967295ELNS1_3gpuE0ELNS1_3repE0EEENS1_30default_config_static_selectorELNS0_4arch9wavefront6targetE1EEEvT1_,comdat
.Lfunc_end1514:
	.size	_ZN7rocprim17ROCPRIM_400000_NS6detail17trampoline_kernelINS0_14default_configENS1_35adjacent_difference_config_selectorILb0ElEEZNS1_24adjacent_difference_implIS3_Lb0ELb0EPlS7_ZN2at6native12_GLOBAL__N_124unique_dim_cuda_templateIjEESt5tupleIJNS8_6TensorESD_SD_EERKSD_lbbbEUlllE1_EE10hipError_tPvRmT2_T3_mT4_P12ihipStream_tbEUlT_E_NS1_11comp_targetILNS1_3genE0ELNS1_11target_archE4294967295ELNS1_3gpuE0ELNS1_3repE0EEENS1_30default_config_static_selectorELNS0_4arch9wavefront6targetE1EEEvT1_, .Lfunc_end1514-_ZN7rocprim17ROCPRIM_400000_NS6detail17trampoline_kernelINS0_14default_configENS1_35adjacent_difference_config_selectorILb0ElEEZNS1_24adjacent_difference_implIS3_Lb0ELb0EPlS7_ZN2at6native12_GLOBAL__N_124unique_dim_cuda_templateIjEESt5tupleIJNS8_6TensorESD_SD_EERKSD_lbbbEUlllE1_EE10hipError_tPvRmT2_T3_mT4_P12ihipStream_tbEUlT_E_NS1_11comp_targetILNS1_3genE0ELNS1_11target_archE4294967295ELNS1_3gpuE0ELNS1_3repE0EEENS1_30default_config_static_selectorELNS0_4arch9wavefront6targetE1EEEvT1_
                                        ; -- End function
	.section	.AMDGPU.csdata,"",@progbits
; Kernel info:
; codeLenInByte = 0
; NumSgprs: 4
; NumVgprs: 0
; NumAgprs: 0
; TotalNumVgprs: 0
; ScratchSize: 0
; MemoryBound: 0
; FloatMode: 240
; IeeeMode: 1
; LDSByteSize: 0 bytes/workgroup (compile time only)
; SGPRBlocks: 0
; VGPRBlocks: 0
; NumSGPRsForWavesPerEU: 4
; NumVGPRsForWavesPerEU: 1
; AccumOffset: 4
; Occupancy: 8
; WaveLimiterHint : 0
; COMPUTE_PGM_RSRC2:SCRATCH_EN: 0
; COMPUTE_PGM_RSRC2:USER_SGPR: 6
; COMPUTE_PGM_RSRC2:TRAP_HANDLER: 0
; COMPUTE_PGM_RSRC2:TGID_X_EN: 1
; COMPUTE_PGM_RSRC2:TGID_Y_EN: 0
; COMPUTE_PGM_RSRC2:TGID_Z_EN: 0
; COMPUTE_PGM_RSRC2:TIDIG_COMP_CNT: 0
; COMPUTE_PGM_RSRC3_GFX90A:ACCUM_OFFSET: 0
; COMPUTE_PGM_RSRC3_GFX90A:TG_SPLIT: 0
	.section	.text._ZN7rocprim17ROCPRIM_400000_NS6detail17trampoline_kernelINS0_14default_configENS1_35adjacent_difference_config_selectorILb0ElEEZNS1_24adjacent_difference_implIS3_Lb0ELb0EPlS7_ZN2at6native12_GLOBAL__N_124unique_dim_cuda_templateIjEESt5tupleIJNS8_6TensorESD_SD_EERKSD_lbbbEUlllE1_EE10hipError_tPvRmT2_T3_mT4_P12ihipStream_tbEUlT_E_NS1_11comp_targetILNS1_3genE10ELNS1_11target_archE1201ELNS1_3gpuE5ELNS1_3repE0EEENS1_30default_config_static_selectorELNS0_4arch9wavefront6targetE1EEEvT1_,"axG",@progbits,_ZN7rocprim17ROCPRIM_400000_NS6detail17trampoline_kernelINS0_14default_configENS1_35adjacent_difference_config_selectorILb0ElEEZNS1_24adjacent_difference_implIS3_Lb0ELb0EPlS7_ZN2at6native12_GLOBAL__N_124unique_dim_cuda_templateIjEESt5tupleIJNS8_6TensorESD_SD_EERKSD_lbbbEUlllE1_EE10hipError_tPvRmT2_T3_mT4_P12ihipStream_tbEUlT_E_NS1_11comp_targetILNS1_3genE10ELNS1_11target_archE1201ELNS1_3gpuE5ELNS1_3repE0EEENS1_30default_config_static_selectorELNS0_4arch9wavefront6targetE1EEEvT1_,comdat
	.globl	_ZN7rocprim17ROCPRIM_400000_NS6detail17trampoline_kernelINS0_14default_configENS1_35adjacent_difference_config_selectorILb0ElEEZNS1_24adjacent_difference_implIS3_Lb0ELb0EPlS7_ZN2at6native12_GLOBAL__N_124unique_dim_cuda_templateIjEESt5tupleIJNS8_6TensorESD_SD_EERKSD_lbbbEUlllE1_EE10hipError_tPvRmT2_T3_mT4_P12ihipStream_tbEUlT_E_NS1_11comp_targetILNS1_3genE10ELNS1_11target_archE1201ELNS1_3gpuE5ELNS1_3repE0EEENS1_30default_config_static_selectorELNS0_4arch9wavefront6targetE1EEEvT1_ ; -- Begin function _ZN7rocprim17ROCPRIM_400000_NS6detail17trampoline_kernelINS0_14default_configENS1_35adjacent_difference_config_selectorILb0ElEEZNS1_24adjacent_difference_implIS3_Lb0ELb0EPlS7_ZN2at6native12_GLOBAL__N_124unique_dim_cuda_templateIjEESt5tupleIJNS8_6TensorESD_SD_EERKSD_lbbbEUlllE1_EE10hipError_tPvRmT2_T3_mT4_P12ihipStream_tbEUlT_E_NS1_11comp_targetILNS1_3genE10ELNS1_11target_archE1201ELNS1_3gpuE5ELNS1_3repE0EEENS1_30default_config_static_selectorELNS0_4arch9wavefront6targetE1EEEvT1_
	.p2align	8
	.type	_ZN7rocprim17ROCPRIM_400000_NS6detail17trampoline_kernelINS0_14default_configENS1_35adjacent_difference_config_selectorILb0ElEEZNS1_24adjacent_difference_implIS3_Lb0ELb0EPlS7_ZN2at6native12_GLOBAL__N_124unique_dim_cuda_templateIjEESt5tupleIJNS8_6TensorESD_SD_EERKSD_lbbbEUlllE1_EE10hipError_tPvRmT2_T3_mT4_P12ihipStream_tbEUlT_E_NS1_11comp_targetILNS1_3genE10ELNS1_11target_archE1201ELNS1_3gpuE5ELNS1_3repE0EEENS1_30default_config_static_selectorELNS0_4arch9wavefront6targetE1EEEvT1_,@function
_ZN7rocprim17ROCPRIM_400000_NS6detail17trampoline_kernelINS0_14default_configENS1_35adjacent_difference_config_selectorILb0ElEEZNS1_24adjacent_difference_implIS3_Lb0ELb0EPlS7_ZN2at6native12_GLOBAL__N_124unique_dim_cuda_templateIjEESt5tupleIJNS8_6TensorESD_SD_EERKSD_lbbbEUlllE1_EE10hipError_tPvRmT2_T3_mT4_P12ihipStream_tbEUlT_E_NS1_11comp_targetILNS1_3genE10ELNS1_11target_archE1201ELNS1_3gpuE5ELNS1_3repE0EEENS1_30default_config_static_selectorELNS0_4arch9wavefront6targetE1EEEvT1_: ; @_ZN7rocprim17ROCPRIM_400000_NS6detail17trampoline_kernelINS0_14default_configENS1_35adjacent_difference_config_selectorILb0ElEEZNS1_24adjacent_difference_implIS3_Lb0ELb0EPlS7_ZN2at6native12_GLOBAL__N_124unique_dim_cuda_templateIjEESt5tupleIJNS8_6TensorESD_SD_EERKSD_lbbbEUlllE1_EE10hipError_tPvRmT2_T3_mT4_P12ihipStream_tbEUlT_E_NS1_11comp_targetILNS1_3genE10ELNS1_11target_archE1201ELNS1_3gpuE5ELNS1_3repE0EEENS1_30default_config_static_selectorELNS0_4arch9wavefront6targetE1EEEvT1_
; %bb.0:
	.section	.rodata,"a",@progbits
	.p2align	6, 0x0
	.amdhsa_kernel _ZN7rocprim17ROCPRIM_400000_NS6detail17trampoline_kernelINS0_14default_configENS1_35adjacent_difference_config_selectorILb0ElEEZNS1_24adjacent_difference_implIS3_Lb0ELb0EPlS7_ZN2at6native12_GLOBAL__N_124unique_dim_cuda_templateIjEESt5tupleIJNS8_6TensorESD_SD_EERKSD_lbbbEUlllE1_EE10hipError_tPvRmT2_T3_mT4_P12ihipStream_tbEUlT_E_NS1_11comp_targetILNS1_3genE10ELNS1_11target_archE1201ELNS1_3gpuE5ELNS1_3repE0EEENS1_30default_config_static_selectorELNS0_4arch9wavefront6targetE1EEEvT1_
		.amdhsa_group_segment_fixed_size 0
		.amdhsa_private_segment_fixed_size 0
		.amdhsa_kernarg_size 64
		.amdhsa_user_sgpr_count 6
		.amdhsa_user_sgpr_private_segment_buffer 1
		.amdhsa_user_sgpr_dispatch_ptr 0
		.amdhsa_user_sgpr_queue_ptr 0
		.amdhsa_user_sgpr_kernarg_segment_ptr 1
		.amdhsa_user_sgpr_dispatch_id 0
		.amdhsa_user_sgpr_flat_scratch_init 0
		.amdhsa_user_sgpr_kernarg_preload_length 0
		.amdhsa_user_sgpr_kernarg_preload_offset 0
		.amdhsa_user_sgpr_private_segment_size 0
		.amdhsa_uses_dynamic_stack 0
		.amdhsa_system_sgpr_private_segment_wavefront_offset 0
		.amdhsa_system_sgpr_workgroup_id_x 1
		.amdhsa_system_sgpr_workgroup_id_y 0
		.amdhsa_system_sgpr_workgroup_id_z 0
		.amdhsa_system_sgpr_workgroup_info 0
		.amdhsa_system_vgpr_workitem_id 0
		.amdhsa_next_free_vgpr 1
		.amdhsa_next_free_sgpr 0
		.amdhsa_accum_offset 4
		.amdhsa_reserve_vcc 0
		.amdhsa_reserve_flat_scratch 0
		.amdhsa_float_round_mode_32 0
		.amdhsa_float_round_mode_16_64 0
		.amdhsa_float_denorm_mode_32 3
		.amdhsa_float_denorm_mode_16_64 3
		.amdhsa_dx10_clamp 1
		.amdhsa_ieee_mode 1
		.amdhsa_fp16_overflow 0
		.amdhsa_tg_split 0
		.amdhsa_exception_fp_ieee_invalid_op 0
		.amdhsa_exception_fp_denorm_src 0
		.amdhsa_exception_fp_ieee_div_zero 0
		.amdhsa_exception_fp_ieee_overflow 0
		.amdhsa_exception_fp_ieee_underflow 0
		.amdhsa_exception_fp_ieee_inexact 0
		.amdhsa_exception_int_div_zero 0
	.end_amdhsa_kernel
	.section	.text._ZN7rocprim17ROCPRIM_400000_NS6detail17trampoline_kernelINS0_14default_configENS1_35adjacent_difference_config_selectorILb0ElEEZNS1_24adjacent_difference_implIS3_Lb0ELb0EPlS7_ZN2at6native12_GLOBAL__N_124unique_dim_cuda_templateIjEESt5tupleIJNS8_6TensorESD_SD_EERKSD_lbbbEUlllE1_EE10hipError_tPvRmT2_T3_mT4_P12ihipStream_tbEUlT_E_NS1_11comp_targetILNS1_3genE10ELNS1_11target_archE1201ELNS1_3gpuE5ELNS1_3repE0EEENS1_30default_config_static_selectorELNS0_4arch9wavefront6targetE1EEEvT1_,"axG",@progbits,_ZN7rocprim17ROCPRIM_400000_NS6detail17trampoline_kernelINS0_14default_configENS1_35adjacent_difference_config_selectorILb0ElEEZNS1_24adjacent_difference_implIS3_Lb0ELb0EPlS7_ZN2at6native12_GLOBAL__N_124unique_dim_cuda_templateIjEESt5tupleIJNS8_6TensorESD_SD_EERKSD_lbbbEUlllE1_EE10hipError_tPvRmT2_T3_mT4_P12ihipStream_tbEUlT_E_NS1_11comp_targetILNS1_3genE10ELNS1_11target_archE1201ELNS1_3gpuE5ELNS1_3repE0EEENS1_30default_config_static_selectorELNS0_4arch9wavefront6targetE1EEEvT1_,comdat
.Lfunc_end1515:
	.size	_ZN7rocprim17ROCPRIM_400000_NS6detail17trampoline_kernelINS0_14default_configENS1_35adjacent_difference_config_selectorILb0ElEEZNS1_24adjacent_difference_implIS3_Lb0ELb0EPlS7_ZN2at6native12_GLOBAL__N_124unique_dim_cuda_templateIjEESt5tupleIJNS8_6TensorESD_SD_EERKSD_lbbbEUlllE1_EE10hipError_tPvRmT2_T3_mT4_P12ihipStream_tbEUlT_E_NS1_11comp_targetILNS1_3genE10ELNS1_11target_archE1201ELNS1_3gpuE5ELNS1_3repE0EEENS1_30default_config_static_selectorELNS0_4arch9wavefront6targetE1EEEvT1_, .Lfunc_end1515-_ZN7rocprim17ROCPRIM_400000_NS6detail17trampoline_kernelINS0_14default_configENS1_35adjacent_difference_config_selectorILb0ElEEZNS1_24adjacent_difference_implIS3_Lb0ELb0EPlS7_ZN2at6native12_GLOBAL__N_124unique_dim_cuda_templateIjEESt5tupleIJNS8_6TensorESD_SD_EERKSD_lbbbEUlllE1_EE10hipError_tPvRmT2_T3_mT4_P12ihipStream_tbEUlT_E_NS1_11comp_targetILNS1_3genE10ELNS1_11target_archE1201ELNS1_3gpuE5ELNS1_3repE0EEENS1_30default_config_static_selectorELNS0_4arch9wavefront6targetE1EEEvT1_
                                        ; -- End function
	.section	.AMDGPU.csdata,"",@progbits
; Kernel info:
; codeLenInByte = 0
; NumSgprs: 4
; NumVgprs: 0
; NumAgprs: 0
; TotalNumVgprs: 0
; ScratchSize: 0
; MemoryBound: 0
; FloatMode: 240
; IeeeMode: 1
; LDSByteSize: 0 bytes/workgroup (compile time only)
; SGPRBlocks: 0
; VGPRBlocks: 0
; NumSGPRsForWavesPerEU: 4
; NumVGPRsForWavesPerEU: 1
; AccumOffset: 4
; Occupancy: 8
; WaveLimiterHint : 0
; COMPUTE_PGM_RSRC2:SCRATCH_EN: 0
; COMPUTE_PGM_RSRC2:USER_SGPR: 6
; COMPUTE_PGM_RSRC2:TRAP_HANDLER: 0
; COMPUTE_PGM_RSRC2:TGID_X_EN: 1
; COMPUTE_PGM_RSRC2:TGID_Y_EN: 0
; COMPUTE_PGM_RSRC2:TGID_Z_EN: 0
; COMPUTE_PGM_RSRC2:TIDIG_COMP_CNT: 0
; COMPUTE_PGM_RSRC3_GFX90A:ACCUM_OFFSET: 0
; COMPUTE_PGM_RSRC3_GFX90A:TG_SPLIT: 0
	.section	.text._ZN7rocprim17ROCPRIM_400000_NS6detail17trampoline_kernelINS0_14default_configENS1_35adjacent_difference_config_selectorILb0ElEEZNS1_24adjacent_difference_implIS3_Lb0ELb0EPlS7_ZN2at6native12_GLOBAL__N_124unique_dim_cuda_templateIjEESt5tupleIJNS8_6TensorESD_SD_EERKSD_lbbbEUlllE1_EE10hipError_tPvRmT2_T3_mT4_P12ihipStream_tbEUlT_E_NS1_11comp_targetILNS1_3genE5ELNS1_11target_archE942ELNS1_3gpuE9ELNS1_3repE0EEENS1_30default_config_static_selectorELNS0_4arch9wavefront6targetE1EEEvT1_,"axG",@progbits,_ZN7rocprim17ROCPRIM_400000_NS6detail17trampoline_kernelINS0_14default_configENS1_35adjacent_difference_config_selectorILb0ElEEZNS1_24adjacent_difference_implIS3_Lb0ELb0EPlS7_ZN2at6native12_GLOBAL__N_124unique_dim_cuda_templateIjEESt5tupleIJNS8_6TensorESD_SD_EERKSD_lbbbEUlllE1_EE10hipError_tPvRmT2_T3_mT4_P12ihipStream_tbEUlT_E_NS1_11comp_targetILNS1_3genE5ELNS1_11target_archE942ELNS1_3gpuE9ELNS1_3repE0EEENS1_30default_config_static_selectorELNS0_4arch9wavefront6targetE1EEEvT1_,comdat
	.globl	_ZN7rocprim17ROCPRIM_400000_NS6detail17trampoline_kernelINS0_14default_configENS1_35adjacent_difference_config_selectorILb0ElEEZNS1_24adjacent_difference_implIS3_Lb0ELb0EPlS7_ZN2at6native12_GLOBAL__N_124unique_dim_cuda_templateIjEESt5tupleIJNS8_6TensorESD_SD_EERKSD_lbbbEUlllE1_EE10hipError_tPvRmT2_T3_mT4_P12ihipStream_tbEUlT_E_NS1_11comp_targetILNS1_3genE5ELNS1_11target_archE942ELNS1_3gpuE9ELNS1_3repE0EEENS1_30default_config_static_selectorELNS0_4arch9wavefront6targetE1EEEvT1_ ; -- Begin function _ZN7rocprim17ROCPRIM_400000_NS6detail17trampoline_kernelINS0_14default_configENS1_35adjacent_difference_config_selectorILb0ElEEZNS1_24adjacent_difference_implIS3_Lb0ELb0EPlS7_ZN2at6native12_GLOBAL__N_124unique_dim_cuda_templateIjEESt5tupleIJNS8_6TensorESD_SD_EERKSD_lbbbEUlllE1_EE10hipError_tPvRmT2_T3_mT4_P12ihipStream_tbEUlT_E_NS1_11comp_targetILNS1_3genE5ELNS1_11target_archE942ELNS1_3gpuE9ELNS1_3repE0EEENS1_30default_config_static_selectorELNS0_4arch9wavefront6targetE1EEEvT1_
	.p2align	8
	.type	_ZN7rocprim17ROCPRIM_400000_NS6detail17trampoline_kernelINS0_14default_configENS1_35adjacent_difference_config_selectorILb0ElEEZNS1_24adjacent_difference_implIS3_Lb0ELb0EPlS7_ZN2at6native12_GLOBAL__N_124unique_dim_cuda_templateIjEESt5tupleIJNS8_6TensorESD_SD_EERKSD_lbbbEUlllE1_EE10hipError_tPvRmT2_T3_mT4_P12ihipStream_tbEUlT_E_NS1_11comp_targetILNS1_3genE5ELNS1_11target_archE942ELNS1_3gpuE9ELNS1_3repE0EEENS1_30default_config_static_selectorELNS0_4arch9wavefront6targetE1EEEvT1_,@function
_ZN7rocprim17ROCPRIM_400000_NS6detail17trampoline_kernelINS0_14default_configENS1_35adjacent_difference_config_selectorILb0ElEEZNS1_24adjacent_difference_implIS3_Lb0ELb0EPlS7_ZN2at6native12_GLOBAL__N_124unique_dim_cuda_templateIjEESt5tupleIJNS8_6TensorESD_SD_EERKSD_lbbbEUlllE1_EE10hipError_tPvRmT2_T3_mT4_P12ihipStream_tbEUlT_E_NS1_11comp_targetILNS1_3genE5ELNS1_11target_archE942ELNS1_3gpuE9ELNS1_3repE0EEENS1_30default_config_static_selectorELNS0_4arch9wavefront6targetE1EEEvT1_: ; @_ZN7rocprim17ROCPRIM_400000_NS6detail17trampoline_kernelINS0_14default_configENS1_35adjacent_difference_config_selectorILb0ElEEZNS1_24adjacent_difference_implIS3_Lb0ELb0EPlS7_ZN2at6native12_GLOBAL__N_124unique_dim_cuda_templateIjEESt5tupleIJNS8_6TensorESD_SD_EERKSD_lbbbEUlllE1_EE10hipError_tPvRmT2_T3_mT4_P12ihipStream_tbEUlT_E_NS1_11comp_targetILNS1_3genE5ELNS1_11target_archE942ELNS1_3gpuE9ELNS1_3repE0EEENS1_30default_config_static_selectorELNS0_4arch9wavefront6targetE1EEEvT1_
; %bb.0:
	.section	.rodata,"a",@progbits
	.p2align	6, 0x0
	.amdhsa_kernel _ZN7rocprim17ROCPRIM_400000_NS6detail17trampoline_kernelINS0_14default_configENS1_35adjacent_difference_config_selectorILb0ElEEZNS1_24adjacent_difference_implIS3_Lb0ELb0EPlS7_ZN2at6native12_GLOBAL__N_124unique_dim_cuda_templateIjEESt5tupleIJNS8_6TensorESD_SD_EERKSD_lbbbEUlllE1_EE10hipError_tPvRmT2_T3_mT4_P12ihipStream_tbEUlT_E_NS1_11comp_targetILNS1_3genE5ELNS1_11target_archE942ELNS1_3gpuE9ELNS1_3repE0EEENS1_30default_config_static_selectorELNS0_4arch9wavefront6targetE1EEEvT1_
		.amdhsa_group_segment_fixed_size 0
		.amdhsa_private_segment_fixed_size 0
		.amdhsa_kernarg_size 64
		.amdhsa_user_sgpr_count 6
		.amdhsa_user_sgpr_private_segment_buffer 1
		.amdhsa_user_sgpr_dispatch_ptr 0
		.amdhsa_user_sgpr_queue_ptr 0
		.amdhsa_user_sgpr_kernarg_segment_ptr 1
		.amdhsa_user_sgpr_dispatch_id 0
		.amdhsa_user_sgpr_flat_scratch_init 0
		.amdhsa_user_sgpr_kernarg_preload_length 0
		.amdhsa_user_sgpr_kernarg_preload_offset 0
		.amdhsa_user_sgpr_private_segment_size 0
		.amdhsa_uses_dynamic_stack 0
		.amdhsa_system_sgpr_private_segment_wavefront_offset 0
		.amdhsa_system_sgpr_workgroup_id_x 1
		.amdhsa_system_sgpr_workgroup_id_y 0
		.amdhsa_system_sgpr_workgroup_id_z 0
		.amdhsa_system_sgpr_workgroup_info 0
		.amdhsa_system_vgpr_workitem_id 0
		.amdhsa_next_free_vgpr 1
		.amdhsa_next_free_sgpr 0
		.amdhsa_accum_offset 4
		.amdhsa_reserve_vcc 0
		.amdhsa_reserve_flat_scratch 0
		.amdhsa_float_round_mode_32 0
		.amdhsa_float_round_mode_16_64 0
		.amdhsa_float_denorm_mode_32 3
		.amdhsa_float_denorm_mode_16_64 3
		.amdhsa_dx10_clamp 1
		.amdhsa_ieee_mode 1
		.amdhsa_fp16_overflow 0
		.amdhsa_tg_split 0
		.amdhsa_exception_fp_ieee_invalid_op 0
		.amdhsa_exception_fp_denorm_src 0
		.amdhsa_exception_fp_ieee_div_zero 0
		.amdhsa_exception_fp_ieee_overflow 0
		.amdhsa_exception_fp_ieee_underflow 0
		.amdhsa_exception_fp_ieee_inexact 0
		.amdhsa_exception_int_div_zero 0
	.end_amdhsa_kernel
	.section	.text._ZN7rocprim17ROCPRIM_400000_NS6detail17trampoline_kernelINS0_14default_configENS1_35adjacent_difference_config_selectorILb0ElEEZNS1_24adjacent_difference_implIS3_Lb0ELb0EPlS7_ZN2at6native12_GLOBAL__N_124unique_dim_cuda_templateIjEESt5tupleIJNS8_6TensorESD_SD_EERKSD_lbbbEUlllE1_EE10hipError_tPvRmT2_T3_mT4_P12ihipStream_tbEUlT_E_NS1_11comp_targetILNS1_3genE5ELNS1_11target_archE942ELNS1_3gpuE9ELNS1_3repE0EEENS1_30default_config_static_selectorELNS0_4arch9wavefront6targetE1EEEvT1_,"axG",@progbits,_ZN7rocprim17ROCPRIM_400000_NS6detail17trampoline_kernelINS0_14default_configENS1_35adjacent_difference_config_selectorILb0ElEEZNS1_24adjacent_difference_implIS3_Lb0ELb0EPlS7_ZN2at6native12_GLOBAL__N_124unique_dim_cuda_templateIjEESt5tupleIJNS8_6TensorESD_SD_EERKSD_lbbbEUlllE1_EE10hipError_tPvRmT2_T3_mT4_P12ihipStream_tbEUlT_E_NS1_11comp_targetILNS1_3genE5ELNS1_11target_archE942ELNS1_3gpuE9ELNS1_3repE0EEENS1_30default_config_static_selectorELNS0_4arch9wavefront6targetE1EEEvT1_,comdat
.Lfunc_end1516:
	.size	_ZN7rocprim17ROCPRIM_400000_NS6detail17trampoline_kernelINS0_14default_configENS1_35adjacent_difference_config_selectorILb0ElEEZNS1_24adjacent_difference_implIS3_Lb0ELb0EPlS7_ZN2at6native12_GLOBAL__N_124unique_dim_cuda_templateIjEESt5tupleIJNS8_6TensorESD_SD_EERKSD_lbbbEUlllE1_EE10hipError_tPvRmT2_T3_mT4_P12ihipStream_tbEUlT_E_NS1_11comp_targetILNS1_3genE5ELNS1_11target_archE942ELNS1_3gpuE9ELNS1_3repE0EEENS1_30default_config_static_selectorELNS0_4arch9wavefront6targetE1EEEvT1_, .Lfunc_end1516-_ZN7rocprim17ROCPRIM_400000_NS6detail17trampoline_kernelINS0_14default_configENS1_35adjacent_difference_config_selectorILb0ElEEZNS1_24adjacent_difference_implIS3_Lb0ELb0EPlS7_ZN2at6native12_GLOBAL__N_124unique_dim_cuda_templateIjEESt5tupleIJNS8_6TensorESD_SD_EERKSD_lbbbEUlllE1_EE10hipError_tPvRmT2_T3_mT4_P12ihipStream_tbEUlT_E_NS1_11comp_targetILNS1_3genE5ELNS1_11target_archE942ELNS1_3gpuE9ELNS1_3repE0EEENS1_30default_config_static_selectorELNS0_4arch9wavefront6targetE1EEEvT1_
                                        ; -- End function
	.section	.AMDGPU.csdata,"",@progbits
; Kernel info:
; codeLenInByte = 0
; NumSgprs: 4
; NumVgprs: 0
; NumAgprs: 0
; TotalNumVgprs: 0
; ScratchSize: 0
; MemoryBound: 0
; FloatMode: 240
; IeeeMode: 1
; LDSByteSize: 0 bytes/workgroup (compile time only)
; SGPRBlocks: 0
; VGPRBlocks: 0
; NumSGPRsForWavesPerEU: 4
; NumVGPRsForWavesPerEU: 1
; AccumOffset: 4
; Occupancy: 8
; WaveLimiterHint : 0
; COMPUTE_PGM_RSRC2:SCRATCH_EN: 0
; COMPUTE_PGM_RSRC2:USER_SGPR: 6
; COMPUTE_PGM_RSRC2:TRAP_HANDLER: 0
; COMPUTE_PGM_RSRC2:TGID_X_EN: 1
; COMPUTE_PGM_RSRC2:TGID_Y_EN: 0
; COMPUTE_PGM_RSRC2:TGID_Z_EN: 0
; COMPUTE_PGM_RSRC2:TIDIG_COMP_CNT: 0
; COMPUTE_PGM_RSRC3_GFX90A:ACCUM_OFFSET: 0
; COMPUTE_PGM_RSRC3_GFX90A:TG_SPLIT: 0
	.section	.text._ZN7rocprim17ROCPRIM_400000_NS6detail17trampoline_kernelINS0_14default_configENS1_35adjacent_difference_config_selectorILb0ElEEZNS1_24adjacent_difference_implIS3_Lb0ELb0EPlS7_ZN2at6native12_GLOBAL__N_124unique_dim_cuda_templateIjEESt5tupleIJNS8_6TensorESD_SD_EERKSD_lbbbEUlllE1_EE10hipError_tPvRmT2_T3_mT4_P12ihipStream_tbEUlT_E_NS1_11comp_targetILNS1_3genE4ELNS1_11target_archE910ELNS1_3gpuE8ELNS1_3repE0EEENS1_30default_config_static_selectorELNS0_4arch9wavefront6targetE1EEEvT1_,"axG",@progbits,_ZN7rocprim17ROCPRIM_400000_NS6detail17trampoline_kernelINS0_14default_configENS1_35adjacent_difference_config_selectorILb0ElEEZNS1_24adjacent_difference_implIS3_Lb0ELb0EPlS7_ZN2at6native12_GLOBAL__N_124unique_dim_cuda_templateIjEESt5tupleIJNS8_6TensorESD_SD_EERKSD_lbbbEUlllE1_EE10hipError_tPvRmT2_T3_mT4_P12ihipStream_tbEUlT_E_NS1_11comp_targetILNS1_3genE4ELNS1_11target_archE910ELNS1_3gpuE8ELNS1_3repE0EEENS1_30default_config_static_selectorELNS0_4arch9wavefront6targetE1EEEvT1_,comdat
	.globl	_ZN7rocprim17ROCPRIM_400000_NS6detail17trampoline_kernelINS0_14default_configENS1_35adjacent_difference_config_selectorILb0ElEEZNS1_24adjacent_difference_implIS3_Lb0ELb0EPlS7_ZN2at6native12_GLOBAL__N_124unique_dim_cuda_templateIjEESt5tupleIJNS8_6TensorESD_SD_EERKSD_lbbbEUlllE1_EE10hipError_tPvRmT2_T3_mT4_P12ihipStream_tbEUlT_E_NS1_11comp_targetILNS1_3genE4ELNS1_11target_archE910ELNS1_3gpuE8ELNS1_3repE0EEENS1_30default_config_static_selectorELNS0_4arch9wavefront6targetE1EEEvT1_ ; -- Begin function _ZN7rocprim17ROCPRIM_400000_NS6detail17trampoline_kernelINS0_14default_configENS1_35adjacent_difference_config_selectorILb0ElEEZNS1_24adjacent_difference_implIS3_Lb0ELb0EPlS7_ZN2at6native12_GLOBAL__N_124unique_dim_cuda_templateIjEESt5tupleIJNS8_6TensorESD_SD_EERKSD_lbbbEUlllE1_EE10hipError_tPvRmT2_T3_mT4_P12ihipStream_tbEUlT_E_NS1_11comp_targetILNS1_3genE4ELNS1_11target_archE910ELNS1_3gpuE8ELNS1_3repE0EEENS1_30default_config_static_selectorELNS0_4arch9wavefront6targetE1EEEvT1_
	.p2align	8
	.type	_ZN7rocprim17ROCPRIM_400000_NS6detail17trampoline_kernelINS0_14default_configENS1_35adjacent_difference_config_selectorILb0ElEEZNS1_24adjacent_difference_implIS3_Lb0ELb0EPlS7_ZN2at6native12_GLOBAL__N_124unique_dim_cuda_templateIjEESt5tupleIJNS8_6TensorESD_SD_EERKSD_lbbbEUlllE1_EE10hipError_tPvRmT2_T3_mT4_P12ihipStream_tbEUlT_E_NS1_11comp_targetILNS1_3genE4ELNS1_11target_archE910ELNS1_3gpuE8ELNS1_3repE0EEENS1_30default_config_static_selectorELNS0_4arch9wavefront6targetE1EEEvT1_,@function
_ZN7rocprim17ROCPRIM_400000_NS6detail17trampoline_kernelINS0_14default_configENS1_35adjacent_difference_config_selectorILb0ElEEZNS1_24adjacent_difference_implIS3_Lb0ELb0EPlS7_ZN2at6native12_GLOBAL__N_124unique_dim_cuda_templateIjEESt5tupleIJNS8_6TensorESD_SD_EERKSD_lbbbEUlllE1_EE10hipError_tPvRmT2_T3_mT4_P12ihipStream_tbEUlT_E_NS1_11comp_targetILNS1_3genE4ELNS1_11target_archE910ELNS1_3gpuE8ELNS1_3repE0EEENS1_30default_config_static_selectorELNS0_4arch9wavefront6targetE1EEEvT1_: ; @_ZN7rocprim17ROCPRIM_400000_NS6detail17trampoline_kernelINS0_14default_configENS1_35adjacent_difference_config_selectorILb0ElEEZNS1_24adjacent_difference_implIS3_Lb0ELb0EPlS7_ZN2at6native12_GLOBAL__N_124unique_dim_cuda_templateIjEESt5tupleIJNS8_6TensorESD_SD_EERKSD_lbbbEUlllE1_EE10hipError_tPvRmT2_T3_mT4_P12ihipStream_tbEUlT_E_NS1_11comp_targetILNS1_3genE4ELNS1_11target_archE910ELNS1_3gpuE8ELNS1_3repE0EEENS1_30default_config_static_selectorELNS0_4arch9wavefront6targetE1EEEvT1_
; %bb.0:
	s_load_dwordx8 s[8:15], s[4:5], 0x0
	s_load_dwordx4 s[16:19], s[4:5], 0x20
	s_load_dwordx2 s[0:1], s[4:5], 0x38
	s_waitcnt lgkmcnt(0)
	s_lshl_b64 s[10:11], s[10:11], 3
	s_add_u32 s24, s8, s10
	s_addc_u32 s25, s9, s11
	s_mov_b32 s9, 0
	s_lshl_b32 s8, s6, 9
	s_lshr_b64 s[2:3], s[14:15], 9
	s_and_b32 s4, s14, 0x1ff
	s_mov_b32 s5, s9
	s_cmp_lg_u64 s[4:5], 0
	s_cselect_b64 s[4:5], -1, 0
	v_cndmask_b32_e64 v1, 0, 1, s[4:5]
	v_readfirstlane_b32 s4, v1
	s_add_u32 s22, s2, s4
	s_addc_u32 s23, s3, 0
	s_add_u32 s26, s0, s6
	s_addc_u32 s27, s1, 0
	s_add_u32 s6, s22, -1
	s_addc_u32 s7, s23, -1
	v_pk_mov_b32 v[2:3], s[6:7], s[6:7] op_sel:[0,1]
	v_cmp_ge_u64_e64 s[0:1], s[26:27], v[2:3]
	s_mov_b64 s[2:3], -1
	s_and_b64 vcc, exec, s[0:1]
	s_cbranch_vccz .LBB1517_6
; %bb.1:
	s_lshl_b32 s2, s6, 9
	s_sub_i32 s15, s14, s2
	s_lshl_b64 s[2:3], s[8:9], 3
	s_add_u32 s2, s24, s2
	s_addc_u32 s3, s25, s3
	v_cmp_gt_u32_e32 vcc, s15, v0
                                        ; implicit-def: $vgpr2_vgpr3_vgpr4_vgpr5
	s_and_saveexec_b64 s[4:5], vcc
	s_cbranch_execz .LBB1517_3
; %bb.2:
	v_lshlrev_b32_e32 v1, 3, v0
	global_load_dwordx2 v[2:3], v1, s[2:3]
.LBB1517_3:
	s_or_b64 exec, exec, s[4:5]
	v_or_b32_e32 v1, 0x100, v0
	v_cmp_gt_u32_e32 vcc, s15, v1
	s_and_saveexec_b64 s[4:5], vcc
	s_cbranch_execz .LBB1517_5
; %bb.4:
	v_lshlrev_b32_e32 v4, 3, v0
	global_load_dwordx2 v[4:5], v4, s[2:3] offset:2048
.LBB1517_5:
	s_or_b64 exec, exec, s[4:5]
	v_lshrrev_b32_e32 v6, 2, v0
	v_lshrrev_b32_e32 v1, 2, v1
	v_and_b32_e32 v6, 56, v6
	v_lshlrev_b32_e32 v7, 3, v0
	v_and_b32_e32 v1, 0x78, v1
	v_add_u32_e32 v6, v6, v7
	v_add_u32_e32 v1, v1, v7
	s_mov_b64 s[2:3], 0
	s_waitcnt vmcnt(0)
	ds_write_b64 v6, v[2:3]
	ds_write_b64 v1, v[4:5] offset:2048
	s_waitcnt lgkmcnt(0)
	s_barrier
.LBB1517_6:
	s_and_b64 vcc, exec, s[2:3]
	v_lshlrev_b32_e32 v1, 3, v0
	s_cbranch_vccz .LBB1517_8
; %bb.7:
	s_lshl_b64 s[2:3], s[8:9], 3
	s_add_u32 s2, s24, s2
	s_addc_u32 s3, s25, s3
	global_load_dwordx2 v[2:3], v1, s[2:3]
	global_load_dwordx2 v[4:5], v1, s[2:3] offset:2048
	v_lshrrev_b32_e32 v6, 2, v0
	v_or_b32_e32 v7, 0x100, v0
	v_and_b32_e32 v6, 56, v6
	v_lshrrev_b32_e32 v7, 2, v7
	v_add_u32_e32 v6, v6, v1
	v_and_b32_e32 v7, 0x78, v7
	v_add_u32_e32 v7, v7, v1
	s_waitcnt vmcnt(1)
	ds_write_b64 v6, v[2:3]
	s_waitcnt vmcnt(0)
	ds_write_b64 v7, v[4:5] offset:2048
	s_waitcnt lgkmcnt(0)
	s_barrier
.LBB1517_8:
	v_lshlrev_b32_e32 v2, 1, v0
	v_lshrrev_b32_e32 v3, 4, v0
	v_add_lshl_u32 v2, v3, v2, 3
	ds_read2_b64 v[2:5], v2 offset1:1
	s_cmp_eq_u64 s[26:27], 0
	s_mov_b64 s[20:21], 0
	s_waitcnt lgkmcnt(0)
	s_barrier
	s_cbranch_scc1 .LBB1517_17
; %bb.9:
	s_lshl_b64 s[2:3], s[8:9], 3
	s_add_u32 s2, s24, s2
	s_addc_u32 s3, s25, s3
	s_add_u32 s2, s2, -8
	s_addc_u32 s3, s3, -1
	s_load_dwordx2 s[24:25], s[2:3], 0x0
	s_cmp_lg_u64 s[26:27], s[6:7]
	s_cbranch_scc0 .LBB1517_18
; %bb.10:
	v_cmp_lt_i64_e64 s[2:3], s[16:17], 1
	v_pk_mov_b32 v[8:9], 0, 0
	v_cmp_gt_i64_e64 s[20:21], s[16:17], 0
	s_and_b64 vcc, exec, s[2:3]
	ds_write_b64 v1, v[4:5]
	s_cbranch_vccnz .LBB1517_21
; %bb.11:
	v_mul_lo_u32 v8, v5, s16
	v_mul_lo_u32 v9, v4, s17
	v_mad_u64_u32 v[6:7], s[2:3], v4, s16, 0
	v_add3_u32 v7, v7, v9, v8
	v_mul_lo_u32 v10, v3, s16
	v_mul_lo_u32 v11, v2, s17
	v_mad_u64_u32 v[8:9], s[2:3], v2, s16, 0
	v_add3_u32 v9, v9, v11, v10
	v_lshlrev_b64 v[10:11], 2, v[6:7]
	v_mov_b32_e32 v6, s19
	v_add_co_u32_e32 v12, vcc, s18, v10
	v_addc_co_u32_e64 v13, s[2:3], v6, v11, vcc
	v_lshlrev_b64 v[6:7], 2, v[8:9]
	v_mov_b32_e32 v8, s19
	v_add_co_u32_e64 v14, s[2:3], s18, v6
	v_addc_co_u32_e64 v15, s[4:5], v8, v7, s[2:3]
	global_load_dword v6, v[12:13], off
	global_load_dword v8, v[14:15], off
	s_waitcnt vmcnt(0)
	v_cmp_eq_u32_e64 s[4:5], v6, v8
	v_mov_b32_e32 v8, 1
	v_mov_b32_e32 v9, 0
	s_and_saveexec_b64 s[28:29], s[4:5]
	s_cbranch_execz .LBB1517_20
; %bb.12:
	v_mov_b32_e32 v6, s19
	v_addc_co_u32_e64 v7, s[2:3], v7, v6, s[2:3]
	v_add_co_u32_e64 v6, s[2:3], 4, v14
	v_mov_b32_e32 v8, s19
	v_addc_co_u32_e64 v7, s[2:3], 0, v7, s[2:3]
	v_addc_co_u32_e32 v9, vcc, v11, v8, vcc
	v_add_co_u32_e32 v8, vcc, 4, v12
	s_add_u32 s2, s16, -1
	v_addc_co_u32_e32 v9, vcc, 0, v9, vcc
	s_addc_u32 s3, s17, -1
	s_mov_b64 s[4:5], 0
	s_mov_b64 s[34:35], 0
                                        ; implicit-def: $sgpr30_sgpr31
	s_branch .LBB1517_15
.LBB1517_13:                            ;   in Loop: Header=BB1517_15 Depth=1
	global_load_dword v10, v[8:9], off
	global_load_dword v11, v[6:7], off
	v_add_co_u32_e32 v6, vcc, 4, v6
	v_addc_co_u32_e32 v7, vcc, 0, v7, vcc
	v_add_co_u32_e32 v8, vcc, 4, v8
	v_addc_co_u32_e32 v9, vcc, 0, v9, vcc
	s_add_u32 s34, s34, 1
	s_addc_u32 s35, s35, 0
	s_andn2_b64 s[30:31], s[30:31], exec
	s_waitcnt vmcnt(0)
	v_cmp_ne_u32_e32 vcc, v10, v11
	s_and_b64 s[36:37], vcc, exec
	s_or_b64 s[30:31], s[30:31], s[36:37]
.LBB1517_14:                            ;   in Loop: Header=BB1517_15 Depth=1
	s_and_b64 s[36:37], exec, s[30:31]
	s_or_b64 s[4:5], s[36:37], s[4:5]
	v_pk_mov_b32 v[10:11], s[34:35], s[34:35] op_sel:[0,1]
	s_andn2_b64 exec, exec, s[4:5]
	s_cbranch_execz .LBB1517_19
.LBB1517_15:                            ; =>This Inner Loop Header: Depth=1
	s_or_b64 s[30:31], s[30:31], exec
	s_cmp_eq_u64 s[2:3], s[34:35]
	s_cbranch_scc0 .LBB1517_13
; %bb.16:                               ;   in Loop: Header=BB1517_15 Depth=1
                                        ; implicit-def: $vgpr6_vgpr7
                                        ; implicit-def: $vgpr8_vgpr9
	s_mov_b64 s[34:35], s[16:17]
	s_branch .LBB1517_14
.LBB1517_17:
                                        ; implicit-def: $sgpr28_sgpr29
                                        ; implicit-def: $vgpr8_vgpr9
	s_cbranch_execnz .LBB1517_60
	s_branch .LBB1517_108
.LBB1517_18:
                                        ; implicit-def: $sgpr28_sgpr29
                                        ; implicit-def: $vgpr8_vgpr9
	s_cbranch_execnz .LBB1517_33
	s_branch .LBB1517_59
.LBB1517_19:
	s_or_b64 exec, exec, s[4:5]
	v_cmp_gt_i64_e32 vcc, s[16:17], v[10:11]
	s_mov_b32 s2, 0
	v_cndmask_b32_e64 v8, 0, 1, vcc
	v_mov_b32_e32 v9, s2
.LBB1517_20:
	s_or_b64 exec, exec, s[28:29]
.LBB1517_21:
	v_cmp_ne_u32_e32 vcc, 0, v0
	s_waitcnt lgkmcnt(0)
	v_pk_mov_b32 v[6:7], s[24:25], s[24:25] op_sel:[0,1]
	s_barrier
	s_and_saveexec_b64 s[2:3], vcc
	s_cbranch_execz .LBB1517_23
; %bb.22:
	v_add_u32_e32 v6, -8, v1
	ds_read_b64 v[6:7], v6
.LBB1517_23:
	s_or_b64 exec, exec, s[2:3]
	s_mov_b64 s[30:31], 0
	s_andn2_b64 vcc, exec, s[20:21]
	s_mov_b64 s[28:29], 0
	s_cbranch_vccnz .LBB1517_32
; %bb.24:
	v_mul_lo_u32 v12, v3, s16
	v_mul_lo_u32 v13, v2, s17
	v_mad_u64_u32 v[10:11], s[2:3], v2, s16, 0
	v_add3_u32 v11, v11, v13, v12
	s_waitcnt lgkmcnt(0)
	v_mul_lo_u32 v12, v7, s16
	v_mul_lo_u32 v13, v6, s17
	v_mad_u64_u32 v[6:7], s[2:3], v6, s16, 0
	v_lshlrev_b64 v[10:11], 2, v[10:11]
	v_add3_u32 v7, v7, v13, v12
	v_mov_b32_e32 v13, s19
	v_add_co_u32_e32 v12, vcc, s18, v10
	v_addc_co_u32_e64 v13, s[2:3], v13, v11, vcc
	v_lshlrev_b64 v[6:7], 2, v[6:7]
	v_mov_b32_e32 v10, s19
	v_add_co_u32_e64 v14, s[2:3], s18, v6
	v_addc_co_u32_e64 v15, s[4:5], v10, v7, s[2:3]
	global_load_dword v6, v[12:13], off
	global_load_dword v10, v[14:15], off
	s_mov_b64 s[28:29], -1
	s_waitcnt vmcnt(0)
	v_cmp_eq_u32_e64 s[4:5], v6, v10
	s_and_saveexec_b64 s[20:21], s[4:5]
	s_cbranch_execz .LBB1517_31
; %bb.25:
	v_mov_b32_e32 v6, s19
	v_addc_co_u32_e64 v7, s[2:3], v7, v6, s[2:3]
	v_add_co_u32_e64 v6, s[2:3], 4, v14
	v_mov_b32_e32 v10, s19
	v_addc_co_u32_e64 v7, s[2:3], 0, v7, s[2:3]
	v_addc_co_u32_e32 v11, vcc, v11, v10, vcc
	v_add_co_u32_e32 v10, vcc, 4, v12
	s_add_u32 s2, s16, -1
	v_addc_co_u32_e32 v11, vcc, 0, v11, vcc
	s_addc_u32 s3, s17, -1
	s_mov_b64 s[4:5], 0
	s_mov_b64 s[34:35], 0
                                        ; implicit-def: $sgpr28_sgpr29
	s_branch .LBB1517_28
.LBB1517_26:                            ;   in Loop: Header=BB1517_28 Depth=1
	global_load_dword v12, v[10:11], off
	global_load_dword v13, v[6:7], off
	v_add_co_u32_e32 v6, vcc, 4, v6
	v_addc_co_u32_e32 v7, vcc, 0, v7, vcc
	v_add_co_u32_e32 v10, vcc, 4, v10
	v_addc_co_u32_e32 v11, vcc, 0, v11, vcc
	s_add_u32 s34, s34, 1
	s_addc_u32 s35, s35, 0
	s_andn2_b64 s[28:29], s[28:29], exec
	s_waitcnt vmcnt(0)
	v_cmp_ne_u32_e32 vcc, v12, v13
	s_and_b64 s[36:37], vcc, exec
	s_or_b64 s[28:29], s[28:29], s[36:37]
.LBB1517_27:                            ;   in Loop: Header=BB1517_28 Depth=1
	s_and_b64 s[36:37], exec, s[28:29]
	s_or_b64 s[4:5], s[36:37], s[4:5]
	v_pk_mov_b32 v[12:13], s[34:35], s[34:35] op_sel:[0,1]
	s_andn2_b64 exec, exec, s[4:5]
	s_cbranch_execz .LBB1517_30
.LBB1517_28:                            ; =>This Inner Loop Header: Depth=1
	s_or_b64 s[28:29], s[28:29], exec
	s_cmp_eq_u64 s[2:3], s[34:35]
	s_cbranch_scc0 .LBB1517_26
; %bb.29:                               ;   in Loop: Header=BB1517_28 Depth=1
                                        ; implicit-def: $vgpr6_vgpr7
                                        ; implicit-def: $vgpr10_vgpr11
	s_mov_b64 s[34:35], s[16:17]
	s_branch .LBB1517_27
.LBB1517_30:
	s_or_b64 exec, exec, s[4:5]
	v_cmp_gt_i64_e32 vcc, s[16:17], v[12:13]
	s_orn2_b64 s[28:29], vcc, exec
.LBB1517_31:
	s_or_b64 exec, exec, s[20:21]
.LBB1517_32:
	s_mov_b64 s[20:21], -1
	s_and_b64 vcc, exec, s[30:31]
	s_cbranch_vccz .LBB1517_59
.LBB1517_33:
	s_lshl_b32 s2, s26, 9
	v_lshlrev_b32_e32 v16, 1, v0
	s_sub_i32 s7, s14, s2
	s_waitcnt lgkmcnt(0)
	v_or_b32_e32 v6, 1, v16
	v_cmp_gt_u32_e32 vcc, s7, v6
	v_pk_mov_b32 v[8:9], v[4:5], v[4:5] op_sel:[0,1]
	ds_write_b64 v1, v[4:5]
	v_pk_mov_b32 v[6:7], v[2:3], v[2:3] op_sel:[0,1]
	s_and_saveexec_b64 s[26:27], vcc
	s_cbranch_execz .LBB1517_44
; %bb.34:
	v_cmp_lt_i64_e64 s[2:3], s[16:17], 1
	s_and_b64 vcc, exec, s[2:3]
	s_cbranch_vccnz .LBB1517_41
; %bb.35:
	v_mul_lo_u32 v8, v5, s16
	v_mul_lo_u32 v9, v4, s17
	v_mad_u64_u32 v[6:7], s[2:3], v4, s16, 0
	v_add3_u32 v7, v7, v9, v8
	v_mul_lo_u32 v10, v3, s16
	v_mul_lo_u32 v11, v2, s17
	v_mad_u64_u32 v[8:9], s[2:3], v2, s16, 0
	v_add3_u32 v9, v9, v11, v10
	v_lshlrev_b64 v[10:11], 2, v[6:7]
	v_mov_b32_e32 v6, s19
	v_add_co_u32_e32 v12, vcc, s18, v10
	v_addc_co_u32_e64 v13, s[2:3], v6, v11, vcc
	v_lshlrev_b64 v[6:7], 2, v[8:9]
	v_mov_b32_e32 v8, s19
	v_add_co_u32_e64 v14, s[2:3], s18, v6
	v_addc_co_u32_e64 v15, s[4:5], v8, v7, s[2:3]
	global_load_dword v6, v[12:13], off
	global_load_dword v8, v[14:15], off
	s_waitcnt vmcnt(0)
	v_cmp_eq_u32_e64 s[4:5], v6, v8
	v_mov_b32_e32 v8, 1
	v_mov_b32_e32 v9, 0
	s_and_saveexec_b64 s[28:29], s[4:5]
	s_cbranch_execz .LBB1517_43
; %bb.36:
	v_mov_b32_e32 v6, s19
	v_addc_co_u32_e64 v7, s[2:3], v7, v6, s[2:3]
	v_add_co_u32_e64 v6, s[2:3], 4, v14
	v_mov_b32_e32 v8, s19
	v_addc_co_u32_e64 v7, s[2:3], 0, v7, s[2:3]
	v_addc_co_u32_e32 v9, vcc, v11, v8, vcc
	v_add_co_u32_e32 v8, vcc, 4, v12
	s_add_u32 s2, s16, -1
	v_addc_co_u32_e32 v9, vcc, 0, v9, vcc
	s_addc_u32 s3, s17, -1
	s_mov_b64 s[4:5], 0
	s_mov_b64 s[34:35], 0
                                        ; implicit-def: $sgpr30_sgpr31
	s_branch .LBB1517_39
.LBB1517_37:                            ;   in Loop: Header=BB1517_39 Depth=1
	global_load_dword v10, v[8:9], off
	global_load_dword v11, v[6:7], off
	v_add_co_u32_e32 v6, vcc, 4, v6
	v_addc_co_u32_e32 v7, vcc, 0, v7, vcc
	v_add_co_u32_e32 v8, vcc, 4, v8
	v_addc_co_u32_e32 v9, vcc, 0, v9, vcc
	s_add_u32 s34, s34, 1
	s_addc_u32 s35, s35, 0
	s_andn2_b64 s[30:31], s[30:31], exec
	s_waitcnt vmcnt(0)
	v_cmp_ne_u32_e32 vcc, v10, v11
	s_and_b64 s[36:37], vcc, exec
	s_or_b64 s[30:31], s[30:31], s[36:37]
.LBB1517_38:                            ;   in Loop: Header=BB1517_39 Depth=1
	s_and_b64 s[36:37], exec, s[30:31]
	s_or_b64 s[4:5], s[36:37], s[4:5]
	v_pk_mov_b32 v[10:11], s[34:35], s[34:35] op_sel:[0,1]
	s_andn2_b64 exec, exec, s[4:5]
	s_cbranch_execz .LBB1517_42
.LBB1517_39:                            ; =>This Inner Loop Header: Depth=1
	s_or_b64 s[30:31], s[30:31], exec
	s_cmp_eq_u64 s[2:3], s[34:35]
	s_cbranch_scc0 .LBB1517_37
; %bb.40:                               ;   in Loop: Header=BB1517_39 Depth=1
                                        ; implicit-def: $vgpr6_vgpr7
                                        ; implicit-def: $vgpr8_vgpr9
	s_mov_b64 s[34:35], s[16:17]
	s_branch .LBB1517_38
.LBB1517_41:
	v_pk_mov_b32 v[8:9], 0, 0
	s_branch .LBB1517_44
.LBB1517_42:
	s_or_b64 exec, exec, s[4:5]
	v_cmp_gt_i64_e32 vcc, s[16:17], v[10:11]
	s_mov_b32 s2, 0
	v_cndmask_b32_e64 v8, 0, 1, vcc
	v_mov_b32_e32 v9, s2
.LBB1517_43:
	s_or_b64 exec, exec, s[28:29]
.LBB1517_44:
	s_or_b64 exec, exec, s[26:27]
	v_cmp_ne_u32_e32 vcc, 0, v0
	v_pk_mov_b32 v[6:7], s[24:25], s[24:25] op_sel:[0,1]
	s_waitcnt lgkmcnt(0)
	s_barrier
	s_and_saveexec_b64 s[2:3], vcc
	s_cbranch_execz .LBB1517_46
; %bb.45:
	v_add_u32_e32 v6, -8, v1
	ds_read_b64 v[6:7], v6
.LBB1517_46:
	s_or_b64 exec, exec, s[2:3]
	v_cmp_gt_u32_e32 vcc, s7, v16
                                        ; implicit-def: $sgpr28_sgpr29
	s_and_saveexec_b64 s[24:25], vcc
	s_cbranch_execz .LBB1517_58
; %bb.47:
	v_cmp_lt_i64_e64 s[2:3], s[16:17], 1
	s_and_b64 vcc, exec, s[2:3]
	s_cbranch_vccnz .LBB1517_54
; %bb.48:
	v_mul_lo_u32 v12, v3, s16
	v_mul_lo_u32 v13, v2, s17
	v_mad_u64_u32 v[10:11], s[2:3], v2, s16, 0
	v_add3_u32 v11, v11, v13, v12
	s_waitcnt lgkmcnt(0)
	v_mul_lo_u32 v12, v7, s16
	v_mul_lo_u32 v13, v6, s17
	v_mad_u64_u32 v[6:7], s[2:3], v6, s16, 0
	v_lshlrev_b64 v[10:11], 2, v[10:11]
	v_add3_u32 v7, v7, v13, v12
	v_mov_b32_e32 v13, s19
	v_add_co_u32_e32 v12, vcc, s18, v10
	v_addc_co_u32_e64 v13, s[2:3], v13, v11, vcc
	v_lshlrev_b64 v[6:7], 2, v[6:7]
	v_mov_b32_e32 v10, s19
	v_add_co_u32_e64 v14, s[2:3], s18, v6
	v_addc_co_u32_e64 v15, s[4:5], v10, v7, s[2:3]
	global_load_dword v6, v[12:13], off
	global_load_dword v10, v[14:15], off
	s_mov_b64 s[28:29], -1
	s_waitcnt vmcnt(0)
	v_cmp_eq_u32_e64 s[4:5], v6, v10
	s_and_saveexec_b64 s[26:27], s[4:5]
	s_cbranch_execz .LBB1517_56
; %bb.49:
	v_mov_b32_e32 v6, s19
	v_addc_co_u32_e64 v7, s[2:3], v7, v6, s[2:3]
	v_add_co_u32_e64 v6, s[2:3], 4, v14
	v_mov_b32_e32 v10, s19
	v_addc_co_u32_e64 v7, s[2:3], 0, v7, s[2:3]
	v_addc_co_u32_e32 v11, vcc, v11, v10, vcc
	v_add_co_u32_e32 v10, vcc, 4, v12
	s_add_u32 s2, s16, -1
	v_addc_co_u32_e32 v11, vcc, 0, v11, vcc
	s_addc_u32 s3, s17, -1
	s_mov_b64 s[4:5], 0
	s_mov_b64 s[30:31], 0
                                        ; implicit-def: $sgpr28_sgpr29
	s_branch .LBB1517_52
.LBB1517_50:                            ;   in Loop: Header=BB1517_52 Depth=1
	global_load_dword v12, v[10:11], off
	global_load_dword v13, v[6:7], off
	v_add_co_u32_e32 v6, vcc, 4, v6
	v_addc_co_u32_e32 v7, vcc, 0, v7, vcc
	v_add_co_u32_e32 v10, vcc, 4, v10
	v_addc_co_u32_e32 v11, vcc, 0, v11, vcc
	s_add_u32 s30, s30, 1
	s_addc_u32 s31, s31, 0
	s_andn2_b64 s[28:29], s[28:29], exec
	s_waitcnt vmcnt(0)
	v_cmp_ne_u32_e32 vcc, v12, v13
	s_and_b64 s[34:35], vcc, exec
	s_or_b64 s[28:29], s[28:29], s[34:35]
.LBB1517_51:                            ;   in Loop: Header=BB1517_52 Depth=1
	s_and_b64 s[34:35], exec, s[28:29]
	s_or_b64 s[4:5], s[34:35], s[4:5]
	v_pk_mov_b32 v[12:13], s[30:31], s[30:31] op_sel:[0,1]
	s_andn2_b64 exec, exec, s[4:5]
	s_cbranch_execz .LBB1517_55
.LBB1517_52:                            ; =>This Inner Loop Header: Depth=1
	s_or_b64 s[28:29], s[28:29], exec
	s_cmp_eq_u64 s[2:3], s[30:31]
	s_cbranch_scc0 .LBB1517_50
; %bb.53:                               ;   in Loop: Header=BB1517_52 Depth=1
                                        ; implicit-def: $vgpr6_vgpr7
                                        ; implicit-def: $vgpr10_vgpr11
	s_mov_b64 s[30:31], s[16:17]
	s_branch .LBB1517_51
.LBB1517_54:
	s_mov_b64 s[28:29], 0
	s_branch .LBB1517_57
.LBB1517_55:
	s_or_b64 exec, exec, s[4:5]
	v_cmp_gt_i64_e32 vcc, s[16:17], v[12:13]
	s_orn2_b64 s[28:29], vcc, exec
.LBB1517_56:
	s_or_b64 exec, exec, s[26:27]
.LBB1517_57:
	s_and_b64 s[28:29], s[28:29], exec
	s_or_b64 s[20:21], s[20:21], exec
.LBB1517_58:
	s_or_b64 exec, exec, s[24:25]
.LBB1517_59:
	s_branch .LBB1517_108
.LBB1517_60:
	s_cmp_lg_u64 s[22:23], 1
	s_cbranch_scc0 .LBB1517_68
; %bb.61:
	v_cmp_lt_i64_e64 s[2:3], s[16:17], 1
	v_pk_mov_b32 v[8:9], 0, 0
	s_waitcnt lgkmcnt(0)
	v_cmp_gt_i64_e64 s[24:25], s[16:17], 0
	s_and_b64 vcc, exec, s[2:3]
	ds_write_b64 v1, v[4:5]
	s_cbranch_vccnz .LBB1517_71
; %bb.62:
	v_mul_lo_u32 v8, v5, s16
	v_mul_lo_u32 v9, v4, s17
	v_mad_u64_u32 v[6:7], s[2:3], v4, s16, 0
	v_add3_u32 v7, v7, v9, v8
	v_mul_lo_u32 v10, v3, s16
	v_mul_lo_u32 v11, v2, s17
	v_mad_u64_u32 v[8:9], s[2:3], v2, s16, 0
	v_add3_u32 v9, v9, v11, v10
	v_lshlrev_b64 v[10:11], 2, v[6:7]
	v_mov_b32_e32 v6, s19
	v_add_co_u32_e32 v12, vcc, s18, v10
	v_addc_co_u32_e64 v13, s[2:3], v6, v11, vcc
	v_lshlrev_b64 v[6:7], 2, v[8:9]
	v_mov_b32_e32 v8, s19
	v_add_co_u32_e64 v14, s[2:3], s18, v6
	v_addc_co_u32_e64 v15, s[4:5], v8, v7, s[2:3]
	global_load_dword v6, v[12:13], off
	global_load_dword v8, v[14:15], off
	s_waitcnt vmcnt(0)
	v_cmp_eq_u32_e64 s[4:5], v6, v8
	v_mov_b32_e32 v8, 1
	v_mov_b32_e32 v9, 0
	s_and_saveexec_b64 s[22:23], s[4:5]
	s_cbranch_execz .LBB1517_70
; %bb.63:
	v_mov_b32_e32 v6, s19
	v_addc_co_u32_e64 v7, s[2:3], v7, v6, s[2:3]
	v_add_co_u32_e64 v6, s[2:3], 4, v14
	v_mov_b32_e32 v8, s19
	v_addc_co_u32_e64 v7, s[2:3], 0, v7, s[2:3]
	v_addc_co_u32_e32 v9, vcc, v11, v8, vcc
	v_add_co_u32_e32 v8, vcc, 4, v12
	s_add_u32 s2, s16, -1
	v_addc_co_u32_e32 v9, vcc, 0, v9, vcc
	s_addc_u32 s3, s17, -1
	s_mov_b64 s[4:5], 0
	s_mov_b64 s[28:29], 0
                                        ; implicit-def: $sgpr26_sgpr27
	s_branch .LBB1517_66
.LBB1517_64:                            ;   in Loop: Header=BB1517_66 Depth=1
	global_load_dword v10, v[8:9], off
	global_load_dword v11, v[6:7], off
	v_add_co_u32_e32 v6, vcc, 4, v6
	v_addc_co_u32_e32 v7, vcc, 0, v7, vcc
	v_add_co_u32_e32 v8, vcc, 4, v8
	v_addc_co_u32_e32 v9, vcc, 0, v9, vcc
	s_add_u32 s28, s28, 1
	s_addc_u32 s29, s29, 0
	s_andn2_b64 s[26:27], s[26:27], exec
	s_waitcnt vmcnt(0)
	v_cmp_ne_u32_e32 vcc, v10, v11
	s_and_b64 s[30:31], vcc, exec
	s_or_b64 s[26:27], s[26:27], s[30:31]
.LBB1517_65:                            ;   in Loop: Header=BB1517_66 Depth=1
	s_and_b64 s[30:31], exec, s[26:27]
	s_or_b64 s[4:5], s[30:31], s[4:5]
	v_pk_mov_b32 v[10:11], s[28:29], s[28:29] op_sel:[0,1]
	s_andn2_b64 exec, exec, s[4:5]
	s_cbranch_execz .LBB1517_69
.LBB1517_66:                            ; =>This Inner Loop Header: Depth=1
	s_or_b64 s[26:27], s[26:27], exec
	s_cmp_eq_u64 s[2:3], s[28:29]
	s_cbranch_scc0 .LBB1517_64
; %bb.67:                               ;   in Loop: Header=BB1517_66 Depth=1
                                        ; implicit-def: $vgpr6_vgpr7
                                        ; implicit-def: $vgpr8_vgpr9
	s_mov_b64 s[28:29], s[16:17]
	s_branch .LBB1517_65
.LBB1517_68:
                                        ; implicit-def: $sgpr28_sgpr29
                                        ; implicit-def: $vgpr8_vgpr9
	s_cbranch_execnz .LBB1517_84
	s_branch .LBB1517_108
.LBB1517_69:
	s_or_b64 exec, exec, s[4:5]
	v_cmp_gt_i64_e32 vcc, s[16:17], v[10:11]
	s_mov_b32 s2, 0
	v_cndmask_b32_e64 v8, 0, 1, vcc
	v_mov_b32_e32 v9, s2
.LBB1517_70:
	s_or_b64 exec, exec, s[22:23]
.LBB1517_71:
	v_cmp_ne_u32_e32 vcc, 0, v0
	s_waitcnt lgkmcnt(0)
	s_barrier
	s_waitcnt lgkmcnt(0)
                                        ; implicit-def: $sgpr28_sgpr29
	s_and_saveexec_b64 s[22:23], vcc
	s_cbranch_execz .LBB1517_83
; %bb.72:
	s_andn2_b64 vcc, exec, s[24:25]
	s_cbranch_vccnz .LBB1517_79
; %bb.73:
	v_add_u32_e32 v6, -8, v1
	ds_read_b64 v[6:7], v6
	v_mul_lo_u32 v12, v3, s16
	v_mul_lo_u32 v13, v2, s17
	v_mad_u64_u32 v[10:11], s[2:3], v2, s16, 0
	v_add3_u32 v11, v11, v13, v12
	s_waitcnt lgkmcnt(0)
	v_mul_lo_u32 v12, v7, s16
	v_mul_lo_u32 v13, v6, s17
	v_mad_u64_u32 v[6:7], s[2:3], v6, s16, 0
	v_lshlrev_b64 v[10:11], 2, v[10:11]
	v_add3_u32 v7, v7, v13, v12
	v_mov_b32_e32 v13, s19
	v_add_co_u32_e32 v12, vcc, s18, v10
	v_addc_co_u32_e64 v13, s[2:3], v13, v11, vcc
	v_lshlrev_b64 v[6:7], 2, v[6:7]
	v_mov_b32_e32 v10, s19
	v_add_co_u32_e64 v14, s[2:3], s18, v6
	v_addc_co_u32_e64 v15, s[4:5], v10, v7, s[2:3]
	global_load_dword v6, v[12:13], off
	global_load_dword v10, v[14:15], off
	s_mov_b64 s[26:27], -1
	s_waitcnt vmcnt(0)
	v_cmp_eq_u32_e64 s[4:5], v6, v10
	s_and_saveexec_b64 s[24:25], s[4:5]
	s_cbranch_execz .LBB1517_81
; %bb.74:
	v_mov_b32_e32 v6, s19
	v_addc_co_u32_e64 v7, s[2:3], v7, v6, s[2:3]
	v_add_co_u32_e64 v6, s[2:3], 4, v14
	v_mov_b32_e32 v10, s19
	v_addc_co_u32_e64 v7, s[2:3], 0, v7, s[2:3]
	v_addc_co_u32_e32 v11, vcc, v11, v10, vcc
	v_add_co_u32_e32 v10, vcc, 4, v12
	s_add_u32 s2, s16, -1
	v_addc_co_u32_e32 v11, vcc, 0, v11, vcc
	s_addc_u32 s3, s17, -1
	s_mov_b64 s[4:5], 0
	s_mov_b64 s[28:29], 0
                                        ; implicit-def: $sgpr26_sgpr27
	s_branch .LBB1517_77
.LBB1517_75:                            ;   in Loop: Header=BB1517_77 Depth=1
	global_load_dword v12, v[10:11], off
	global_load_dword v13, v[6:7], off
	v_add_co_u32_e32 v6, vcc, 4, v6
	v_addc_co_u32_e32 v7, vcc, 0, v7, vcc
	v_add_co_u32_e32 v10, vcc, 4, v10
	v_addc_co_u32_e32 v11, vcc, 0, v11, vcc
	s_add_u32 s28, s28, 1
	s_addc_u32 s29, s29, 0
	s_andn2_b64 s[26:27], s[26:27], exec
	s_waitcnt vmcnt(0)
	v_cmp_ne_u32_e32 vcc, v12, v13
	s_and_b64 s[30:31], vcc, exec
	s_or_b64 s[26:27], s[26:27], s[30:31]
.LBB1517_76:                            ;   in Loop: Header=BB1517_77 Depth=1
	s_and_b64 s[30:31], exec, s[26:27]
	s_or_b64 s[4:5], s[30:31], s[4:5]
	v_pk_mov_b32 v[12:13], s[28:29], s[28:29] op_sel:[0,1]
	s_andn2_b64 exec, exec, s[4:5]
	s_cbranch_execz .LBB1517_80
.LBB1517_77:                            ; =>This Inner Loop Header: Depth=1
	s_or_b64 s[26:27], s[26:27], exec
	s_cmp_eq_u64 s[2:3], s[28:29]
	s_cbranch_scc0 .LBB1517_75
; %bb.78:                               ;   in Loop: Header=BB1517_77 Depth=1
                                        ; implicit-def: $vgpr6_vgpr7
                                        ; implicit-def: $vgpr10_vgpr11
	s_mov_b64 s[28:29], s[16:17]
	s_branch .LBB1517_76
.LBB1517_79:
	s_mov_b64 s[26:27], 0
	s_branch .LBB1517_82
.LBB1517_80:
	s_or_b64 exec, exec, s[4:5]
	v_cmp_gt_i64_e32 vcc, s[16:17], v[12:13]
	s_orn2_b64 s[26:27], vcc, exec
.LBB1517_81:
	s_or_b64 exec, exec, s[24:25]
.LBB1517_82:
	s_and_b64 s[28:29], s[26:27], exec
	s_or_b64 s[20:21], s[20:21], exec
.LBB1517_83:
	s_or_b64 exec, exec, s[22:23]
	s_branch .LBB1517_108
.LBB1517_84:
	v_lshlrev_b32_e32 v14, 1, v0
	s_waitcnt lgkmcnt(0)
	v_or_b32_e32 v6, 1, v14
	v_cmp_gt_u32_e32 vcc, s14, v6
	v_cmp_lt_i64_e64 s[22:23], s[16:17], 1
	v_pk_mov_b32 v[8:9], v[4:5], v[4:5] op_sel:[0,1]
	ds_write_b64 v1, v[4:5]
	v_pk_mov_b32 v[6:7], v[2:3], v[2:3] op_sel:[0,1]
	s_and_saveexec_b64 s[24:25], vcc
	s_cbranch_execz .LBB1517_95
; %bb.85:
	s_and_b64 vcc, exec, s[22:23]
	s_cbranch_vccnz .LBB1517_92
; %bb.86:
	v_mul_lo_u32 v6, v5, s16
	v_mul_lo_u32 v7, v4, s17
	v_mad_u64_u32 v[4:5], s[2:3], v4, s16, 0
	v_add3_u32 v5, v5, v7, v6
	v_mul_lo_u32 v6, v3, s16
	v_mul_lo_u32 v7, v2, s17
	v_mad_u64_u32 v[8:9], s[2:3], v2, s16, 0
	v_add3_u32 v9, v9, v7, v6
	v_lshlrev_b64 v[6:7], 2, v[4:5]
	v_mov_b32_e32 v4, s19
	v_add_co_u32_e32 v10, vcc, s18, v6
	v_addc_co_u32_e64 v11, s[2:3], v4, v7, vcc
	v_lshlrev_b64 v[4:5], 2, v[8:9]
	v_mov_b32_e32 v6, s19
	v_add_co_u32_e64 v12, s[2:3], s18, v4
	v_addc_co_u32_e64 v13, s[4:5], v6, v5, s[2:3]
	global_load_dword v4, v[10:11], off
	global_load_dword v6, v[12:13], off
	v_mov_b32_e32 v8, 1
	v_mov_b32_e32 v9, 0
	s_waitcnt vmcnt(0)
	v_cmp_eq_u32_e64 s[4:5], v4, v6
	s_and_saveexec_b64 s[26:27], s[4:5]
	s_cbranch_execz .LBB1517_94
; %bb.87:
	v_mov_b32_e32 v4, s19
	v_addc_co_u32_e64 v5, s[2:3], v5, v4, s[2:3]
	v_add_co_u32_e64 v4, s[2:3], 4, v12
	v_mov_b32_e32 v6, s19
	v_addc_co_u32_e64 v5, s[2:3], 0, v5, s[2:3]
	v_addc_co_u32_e32 v7, vcc, v7, v6, vcc
	v_add_co_u32_e32 v6, vcc, 4, v10
	s_add_u32 s2, s16, -1
	v_addc_co_u32_e32 v7, vcc, 0, v7, vcc
	s_addc_u32 s3, s17, -1
	s_mov_b64 s[4:5], 0
	s_mov_b64 s[30:31], 0
                                        ; implicit-def: $sgpr28_sgpr29
	s_branch .LBB1517_90
.LBB1517_88:                            ;   in Loop: Header=BB1517_90 Depth=1
	global_load_dword v8, v[6:7], off
	global_load_dword v9, v[4:5], off
	v_add_co_u32_e32 v4, vcc, 4, v4
	v_addc_co_u32_e32 v5, vcc, 0, v5, vcc
	v_add_co_u32_e32 v6, vcc, 4, v6
	v_addc_co_u32_e32 v7, vcc, 0, v7, vcc
	s_add_u32 s30, s30, 1
	s_addc_u32 s31, s31, 0
	s_andn2_b64 s[28:29], s[28:29], exec
	s_waitcnt vmcnt(0)
	v_cmp_ne_u32_e32 vcc, v8, v9
	s_and_b64 s[34:35], vcc, exec
	s_or_b64 s[28:29], s[28:29], s[34:35]
.LBB1517_89:                            ;   in Loop: Header=BB1517_90 Depth=1
	s_and_b64 s[34:35], exec, s[28:29]
	s_or_b64 s[4:5], s[34:35], s[4:5]
	v_pk_mov_b32 v[8:9], s[30:31], s[30:31] op_sel:[0,1]
	s_andn2_b64 exec, exec, s[4:5]
	s_cbranch_execz .LBB1517_93
.LBB1517_90:                            ; =>This Inner Loop Header: Depth=1
	s_or_b64 s[28:29], s[28:29], exec
	s_cmp_eq_u64 s[2:3], s[30:31]
	s_cbranch_scc0 .LBB1517_88
; %bb.91:                               ;   in Loop: Header=BB1517_90 Depth=1
                                        ; implicit-def: $vgpr4_vgpr5
                                        ; implicit-def: $vgpr6_vgpr7
	s_mov_b64 s[30:31], s[16:17]
	s_branch .LBB1517_89
.LBB1517_92:
	v_pk_mov_b32 v[8:9], 0, 0
	s_branch .LBB1517_95
.LBB1517_93:
	s_or_b64 exec, exec, s[4:5]
	v_cmp_gt_i64_e32 vcc, s[16:17], v[8:9]
	s_mov_b32 s2, 0
	v_cndmask_b32_e64 v8, 0, 1, vcc
	v_mov_b32_e32 v9, s2
.LBB1517_94:
	s_or_b64 exec, exec, s[26:27]
.LBB1517_95:
	s_or_b64 exec, exec, s[24:25]
	v_cmp_ne_u32_e32 vcc, 0, v0
	v_cmp_gt_u32_e64 s[2:3], s14, v14
	s_and_b64 s[2:3], vcc, s[2:3]
	s_waitcnt lgkmcnt(0)
	s_barrier
	s_waitcnt lgkmcnt(0)
                                        ; implicit-def: $sgpr28_sgpr29
	s_and_saveexec_b64 s[24:25], s[2:3]
	s_cbranch_execz .LBB1517_107
; %bb.96:
	s_and_b64 vcc, exec, s[22:23]
	s_cbranch_vccnz .LBB1517_103
; %bb.97:
	v_mul_lo_u32 v6, v3, s16
	v_add_u32_e32 v3, -8, v1
	ds_read_b64 v[4:5], v3
	v_mul_lo_u32 v7, v2, s17
	v_mad_u64_u32 v[2:3], s[2:3], v2, s16, 0
	v_add3_u32 v3, v3, v7, v6
	s_waitcnt lgkmcnt(0)
	v_mul_lo_u32 v5, v5, s16
	v_mul_lo_u32 v6, v4, s17
	v_mad_u64_u32 v[10:11], s[2:3], v4, s16, 0
	v_add3_u32 v11, v11, v6, v5
	v_lshlrev_b64 v[4:5], 2, v[2:3]
	v_mov_b32_e32 v2, s19
	v_add_co_u32_e32 v6, vcc, s18, v4
	v_addc_co_u32_e64 v7, s[2:3], v2, v5, vcc
	v_lshlrev_b64 v[2:3], 2, v[10:11]
	v_mov_b32_e32 v4, s19
	v_add_co_u32_e64 v10, s[2:3], s18, v2
	v_addc_co_u32_e64 v11, s[4:5], v4, v3, s[2:3]
	global_load_dword v2, v[6:7], off
	global_load_dword v4, v[10:11], off
	s_mov_b64 s[26:27], -1
	s_waitcnt vmcnt(0)
	v_cmp_eq_u32_e64 s[4:5], v2, v4
	s_and_saveexec_b64 s[22:23], s[4:5]
	s_cbranch_execz .LBB1517_105
; %bb.98:
	v_mov_b32_e32 v2, s19
	v_addc_co_u32_e64 v3, s[2:3], v3, v2, s[2:3]
	v_add_co_u32_e64 v2, s[2:3], 4, v10
	v_mov_b32_e32 v4, s19
	v_addc_co_u32_e64 v3, s[2:3], 0, v3, s[2:3]
	v_addc_co_u32_e32 v5, vcc, v5, v4, vcc
	v_add_co_u32_e32 v4, vcc, 4, v6
	s_add_u32 s2, s16, -1
	v_addc_co_u32_e32 v5, vcc, 0, v5, vcc
	s_addc_u32 s3, s17, -1
	s_mov_b64 s[4:5], 0
	s_mov_b64 s[26:27], 0
                                        ; implicit-def: $sgpr18_sgpr19
	s_branch .LBB1517_101
.LBB1517_99:                            ;   in Loop: Header=BB1517_101 Depth=1
	global_load_dword v6, v[4:5], off
	global_load_dword v7, v[2:3], off
	v_add_co_u32_e32 v2, vcc, 4, v2
	v_addc_co_u32_e32 v3, vcc, 0, v3, vcc
	v_add_co_u32_e32 v4, vcc, 4, v4
	v_addc_co_u32_e32 v5, vcc, 0, v5, vcc
	s_add_u32 s26, s26, 1
	s_addc_u32 s27, s27, 0
	s_andn2_b64 s[18:19], s[18:19], exec
	s_waitcnt vmcnt(0)
	v_cmp_ne_u32_e32 vcc, v6, v7
	s_and_b64 s[28:29], vcc, exec
	s_or_b64 s[18:19], s[18:19], s[28:29]
.LBB1517_100:                           ;   in Loop: Header=BB1517_101 Depth=1
	s_and_b64 s[28:29], exec, s[18:19]
	s_or_b64 s[4:5], s[28:29], s[4:5]
	v_pk_mov_b32 v[6:7], s[26:27], s[26:27] op_sel:[0,1]
	s_andn2_b64 exec, exec, s[4:5]
	s_cbranch_execz .LBB1517_104
.LBB1517_101:                           ; =>This Inner Loop Header: Depth=1
	s_or_b64 s[18:19], s[18:19], exec
	s_cmp_eq_u64 s[2:3], s[26:27]
	s_cbranch_scc0 .LBB1517_99
; %bb.102:                              ;   in Loop: Header=BB1517_101 Depth=1
                                        ; implicit-def: $vgpr2_vgpr3
                                        ; implicit-def: $vgpr4_vgpr5
	s_mov_b64 s[26:27], s[16:17]
	s_branch .LBB1517_100
.LBB1517_103:
	s_mov_b64 s[26:27], 0
	s_branch .LBB1517_106
.LBB1517_104:
	s_or_b64 exec, exec, s[4:5]
	v_cmp_gt_i64_e32 vcc, s[16:17], v[6:7]
	s_orn2_b64 s[26:27], vcc, exec
.LBB1517_105:
	s_or_b64 exec, exec, s[22:23]
.LBB1517_106:
	s_and_b64 s[28:29], s[26:27], exec
	s_or_b64 s[20:21], s[20:21], exec
                                        ; implicit-def: $vgpr2_vgpr3
.LBB1517_107:
	s_or_b64 exec, exec, s[24:25]
.LBB1517_108:
	s_and_saveexec_b64 s[2:3], s[20:21]
; %bb.109:
	s_mov_b32 s4, 0
	v_cndmask_b32_e64 v2, 0, 1, s[28:29]
	v_mov_b32_e32 v3, s4
; %bb.110:
	s_or_b64 exec, exec, s[2:3]
	s_add_u32 s4, s12, s10
	s_addc_u32 s5, s13, s11
	s_and_b64 vcc, exec, s[0:1]
	v_lshrrev_b32_e32 v10, 1, v0
	s_waitcnt lgkmcnt(0)
	s_barrier
	s_cbranch_vccz .LBB1517_114
; %bb.111:
	v_and_b32_e32 v4, 0x78, v10
	v_lshl_add_u32 v6, v0, 4, v4
	v_mov_b32_e32 v4, v8
	v_mov_b32_e32 v5, v9
	v_or_b32_e32 v11, 0x100, v0
	s_lshl_b32 s0, s6, 9
	s_mov_b32 s9, 0
	ds_write2_b64 v6, v[2:3], v[4:5] offset1:1
	v_lshrrev_b32_e32 v4, 5, v11
	s_sub_i32 s2, s14, s0
	s_lshl_b64 s[0:1], s[8:9], 3
	v_add_lshl_u32 v4, v4, v0, 3
	s_add_u32 s0, s4, s0
	s_waitcnt lgkmcnt(0)
	s_barrier
	ds_read_b64 v[4:5], v4 offset:2048
	s_addc_u32 s1, s5, s1
	v_mov_b32_e32 v7, s1
	v_add_co_u32_e32 v6, vcc, s0, v1
	v_addc_co_u32_e32 v7, vcc, 0, v7, vcc
	v_cmp_gt_u32_e32 vcc, s2, v0
	s_and_saveexec_b64 s[0:1], vcc
	s_cbranch_execz .LBB1517_113
; %bb.112:
	v_lshrrev_b32_e32 v12, 5, v0
	v_add_lshl_u32 v12, v12, v0, 3
	ds_read_b64 v[12:13], v12
	s_waitcnt lgkmcnt(0)
	global_store_dwordx2 v[6:7], v[12:13], off
.LBB1517_113:
	s_or_b64 exec, exec, s[0:1]
	v_cmp_gt_u32_e64 s[0:1], s2, v11
	s_branch .LBB1517_116
.LBB1517_114:
	s_mov_b64 s[0:1], 0
                                        ; implicit-def: $vgpr4_vgpr5
                                        ; implicit-def: $vgpr6_vgpr7
	s_cbranch_execz .LBB1517_116
; %bb.115:
	s_waitcnt lgkmcnt(0)
	v_and_b32_e32 v4, 0x78, v10
	v_lshl_add_u32 v6, v0, 4, v4
	v_mov_b32_e32 v4, v8
	v_mov_b32_e32 v5, v9
	s_mov_b32 s9, 0
	ds_write2_b64 v6, v[2:3], v[4:5] offset1:1
	v_lshrrev_b32_e32 v2, 5, v0
	v_or_b32_e32 v3, 0x100, v0
	s_lshl_b64 s[2:3], s[8:9], 3
	v_add_lshl_u32 v2, v2, v0, 3
	v_lshrrev_b32_e32 v3, 5, v3
	s_add_u32 s2, s4, s2
	s_waitcnt lgkmcnt(0)
	s_barrier
	v_add_lshl_u32 v0, v3, v0, 3
	ds_read_b64 v[2:3], v2
	ds_read_b64 v[4:5], v0 offset:2048
	s_addc_u32 s3, s5, s3
	v_mov_b32_e32 v0, s3
	v_add_co_u32_e32 v6, vcc, s2, v1
	v_addc_co_u32_e32 v7, vcc, 0, v0, vcc
	s_or_b64 s[0:1], s[0:1], exec
	s_waitcnt lgkmcnt(1)
	global_store_dwordx2 v1, v[2:3], s[2:3]
.LBB1517_116:
	s_and_saveexec_b64 s[2:3], s[0:1]
	s_cbranch_execnz .LBB1517_118
; %bb.117:
	s_endpgm
.LBB1517_118:
	s_waitcnt lgkmcnt(0)
	global_store_dwordx2 v[6:7], v[4:5], off offset:2048
	s_endpgm
	.section	.rodata,"a",@progbits
	.p2align	6, 0x0
	.amdhsa_kernel _ZN7rocprim17ROCPRIM_400000_NS6detail17trampoline_kernelINS0_14default_configENS1_35adjacent_difference_config_selectorILb0ElEEZNS1_24adjacent_difference_implIS3_Lb0ELb0EPlS7_ZN2at6native12_GLOBAL__N_124unique_dim_cuda_templateIjEESt5tupleIJNS8_6TensorESD_SD_EERKSD_lbbbEUlllE1_EE10hipError_tPvRmT2_T3_mT4_P12ihipStream_tbEUlT_E_NS1_11comp_targetILNS1_3genE4ELNS1_11target_archE910ELNS1_3gpuE8ELNS1_3repE0EEENS1_30default_config_static_selectorELNS0_4arch9wavefront6targetE1EEEvT1_
		.amdhsa_group_segment_fixed_size 4224
		.amdhsa_private_segment_fixed_size 0
		.amdhsa_kernarg_size 64
		.amdhsa_user_sgpr_count 6
		.amdhsa_user_sgpr_private_segment_buffer 1
		.amdhsa_user_sgpr_dispatch_ptr 0
		.amdhsa_user_sgpr_queue_ptr 0
		.amdhsa_user_sgpr_kernarg_segment_ptr 1
		.amdhsa_user_sgpr_dispatch_id 0
		.amdhsa_user_sgpr_flat_scratch_init 0
		.amdhsa_user_sgpr_kernarg_preload_length 0
		.amdhsa_user_sgpr_kernarg_preload_offset 0
		.amdhsa_user_sgpr_private_segment_size 0
		.amdhsa_uses_dynamic_stack 0
		.amdhsa_system_sgpr_private_segment_wavefront_offset 0
		.amdhsa_system_sgpr_workgroup_id_x 1
		.amdhsa_system_sgpr_workgroup_id_y 0
		.amdhsa_system_sgpr_workgroup_id_z 0
		.amdhsa_system_sgpr_workgroup_info 0
		.amdhsa_system_vgpr_workitem_id 0
		.amdhsa_next_free_vgpr 17
		.amdhsa_next_free_sgpr 38
		.amdhsa_accum_offset 20
		.amdhsa_reserve_vcc 1
		.amdhsa_reserve_flat_scratch 0
		.amdhsa_float_round_mode_32 0
		.amdhsa_float_round_mode_16_64 0
		.amdhsa_float_denorm_mode_32 3
		.amdhsa_float_denorm_mode_16_64 3
		.amdhsa_dx10_clamp 1
		.amdhsa_ieee_mode 1
		.amdhsa_fp16_overflow 0
		.amdhsa_tg_split 0
		.amdhsa_exception_fp_ieee_invalid_op 0
		.amdhsa_exception_fp_denorm_src 0
		.amdhsa_exception_fp_ieee_div_zero 0
		.amdhsa_exception_fp_ieee_overflow 0
		.amdhsa_exception_fp_ieee_underflow 0
		.amdhsa_exception_fp_ieee_inexact 0
		.amdhsa_exception_int_div_zero 0
	.end_amdhsa_kernel
	.section	.text._ZN7rocprim17ROCPRIM_400000_NS6detail17trampoline_kernelINS0_14default_configENS1_35adjacent_difference_config_selectorILb0ElEEZNS1_24adjacent_difference_implIS3_Lb0ELb0EPlS7_ZN2at6native12_GLOBAL__N_124unique_dim_cuda_templateIjEESt5tupleIJNS8_6TensorESD_SD_EERKSD_lbbbEUlllE1_EE10hipError_tPvRmT2_T3_mT4_P12ihipStream_tbEUlT_E_NS1_11comp_targetILNS1_3genE4ELNS1_11target_archE910ELNS1_3gpuE8ELNS1_3repE0EEENS1_30default_config_static_selectorELNS0_4arch9wavefront6targetE1EEEvT1_,"axG",@progbits,_ZN7rocprim17ROCPRIM_400000_NS6detail17trampoline_kernelINS0_14default_configENS1_35adjacent_difference_config_selectorILb0ElEEZNS1_24adjacent_difference_implIS3_Lb0ELb0EPlS7_ZN2at6native12_GLOBAL__N_124unique_dim_cuda_templateIjEESt5tupleIJNS8_6TensorESD_SD_EERKSD_lbbbEUlllE1_EE10hipError_tPvRmT2_T3_mT4_P12ihipStream_tbEUlT_E_NS1_11comp_targetILNS1_3genE4ELNS1_11target_archE910ELNS1_3gpuE8ELNS1_3repE0EEENS1_30default_config_static_selectorELNS0_4arch9wavefront6targetE1EEEvT1_,comdat
.Lfunc_end1517:
	.size	_ZN7rocprim17ROCPRIM_400000_NS6detail17trampoline_kernelINS0_14default_configENS1_35adjacent_difference_config_selectorILb0ElEEZNS1_24adjacent_difference_implIS3_Lb0ELb0EPlS7_ZN2at6native12_GLOBAL__N_124unique_dim_cuda_templateIjEESt5tupleIJNS8_6TensorESD_SD_EERKSD_lbbbEUlllE1_EE10hipError_tPvRmT2_T3_mT4_P12ihipStream_tbEUlT_E_NS1_11comp_targetILNS1_3genE4ELNS1_11target_archE910ELNS1_3gpuE8ELNS1_3repE0EEENS1_30default_config_static_selectorELNS0_4arch9wavefront6targetE1EEEvT1_, .Lfunc_end1517-_ZN7rocprim17ROCPRIM_400000_NS6detail17trampoline_kernelINS0_14default_configENS1_35adjacent_difference_config_selectorILb0ElEEZNS1_24adjacent_difference_implIS3_Lb0ELb0EPlS7_ZN2at6native12_GLOBAL__N_124unique_dim_cuda_templateIjEESt5tupleIJNS8_6TensorESD_SD_EERKSD_lbbbEUlllE1_EE10hipError_tPvRmT2_T3_mT4_P12ihipStream_tbEUlT_E_NS1_11comp_targetILNS1_3genE4ELNS1_11target_archE910ELNS1_3gpuE8ELNS1_3repE0EEENS1_30default_config_static_selectorELNS0_4arch9wavefront6targetE1EEEvT1_
                                        ; -- End function
	.section	.AMDGPU.csdata,"",@progbits
; Kernel info:
; codeLenInByte = 4256
; NumSgprs: 42
; NumVgprs: 17
; NumAgprs: 0
; TotalNumVgprs: 17
; ScratchSize: 0
; MemoryBound: 0
; FloatMode: 240
; IeeeMode: 1
; LDSByteSize: 4224 bytes/workgroup (compile time only)
; SGPRBlocks: 5
; VGPRBlocks: 2
; NumSGPRsForWavesPerEU: 42
; NumVGPRsForWavesPerEU: 17
; AccumOffset: 20
; Occupancy: 8
; WaveLimiterHint : 1
; COMPUTE_PGM_RSRC2:SCRATCH_EN: 0
; COMPUTE_PGM_RSRC2:USER_SGPR: 6
; COMPUTE_PGM_RSRC2:TRAP_HANDLER: 0
; COMPUTE_PGM_RSRC2:TGID_X_EN: 1
; COMPUTE_PGM_RSRC2:TGID_Y_EN: 0
; COMPUTE_PGM_RSRC2:TGID_Z_EN: 0
; COMPUTE_PGM_RSRC2:TIDIG_COMP_CNT: 0
; COMPUTE_PGM_RSRC3_GFX90A:ACCUM_OFFSET: 4
; COMPUTE_PGM_RSRC3_GFX90A:TG_SPLIT: 0
	.section	.text._ZN7rocprim17ROCPRIM_400000_NS6detail17trampoline_kernelINS0_14default_configENS1_35adjacent_difference_config_selectorILb0ElEEZNS1_24adjacent_difference_implIS3_Lb0ELb0EPlS7_ZN2at6native12_GLOBAL__N_124unique_dim_cuda_templateIjEESt5tupleIJNS8_6TensorESD_SD_EERKSD_lbbbEUlllE1_EE10hipError_tPvRmT2_T3_mT4_P12ihipStream_tbEUlT_E_NS1_11comp_targetILNS1_3genE3ELNS1_11target_archE908ELNS1_3gpuE7ELNS1_3repE0EEENS1_30default_config_static_selectorELNS0_4arch9wavefront6targetE1EEEvT1_,"axG",@progbits,_ZN7rocprim17ROCPRIM_400000_NS6detail17trampoline_kernelINS0_14default_configENS1_35adjacent_difference_config_selectorILb0ElEEZNS1_24adjacent_difference_implIS3_Lb0ELb0EPlS7_ZN2at6native12_GLOBAL__N_124unique_dim_cuda_templateIjEESt5tupleIJNS8_6TensorESD_SD_EERKSD_lbbbEUlllE1_EE10hipError_tPvRmT2_T3_mT4_P12ihipStream_tbEUlT_E_NS1_11comp_targetILNS1_3genE3ELNS1_11target_archE908ELNS1_3gpuE7ELNS1_3repE0EEENS1_30default_config_static_selectorELNS0_4arch9wavefront6targetE1EEEvT1_,comdat
	.globl	_ZN7rocprim17ROCPRIM_400000_NS6detail17trampoline_kernelINS0_14default_configENS1_35adjacent_difference_config_selectorILb0ElEEZNS1_24adjacent_difference_implIS3_Lb0ELb0EPlS7_ZN2at6native12_GLOBAL__N_124unique_dim_cuda_templateIjEESt5tupleIJNS8_6TensorESD_SD_EERKSD_lbbbEUlllE1_EE10hipError_tPvRmT2_T3_mT4_P12ihipStream_tbEUlT_E_NS1_11comp_targetILNS1_3genE3ELNS1_11target_archE908ELNS1_3gpuE7ELNS1_3repE0EEENS1_30default_config_static_selectorELNS0_4arch9wavefront6targetE1EEEvT1_ ; -- Begin function _ZN7rocprim17ROCPRIM_400000_NS6detail17trampoline_kernelINS0_14default_configENS1_35adjacent_difference_config_selectorILb0ElEEZNS1_24adjacent_difference_implIS3_Lb0ELb0EPlS7_ZN2at6native12_GLOBAL__N_124unique_dim_cuda_templateIjEESt5tupleIJNS8_6TensorESD_SD_EERKSD_lbbbEUlllE1_EE10hipError_tPvRmT2_T3_mT4_P12ihipStream_tbEUlT_E_NS1_11comp_targetILNS1_3genE3ELNS1_11target_archE908ELNS1_3gpuE7ELNS1_3repE0EEENS1_30default_config_static_selectorELNS0_4arch9wavefront6targetE1EEEvT1_
	.p2align	8
	.type	_ZN7rocprim17ROCPRIM_400000_NS6detail17trampoline_kernelINS0_14default_configENS1_35adjacent_difference_config_selectorILb0ElEEZNS1_24adjacent_difference_implIS3_Lb0ELb0EPlS7_ZN2at6native12_GLOBAL__N_124unique_dim_cuda_templateIjEESt5tupleIJNS8_6TensorESD_SD_EERKSD_lbbbEUlllE1_EE10hipError_tPvRmT2_T3_mT4_P12ihipStream_tbEUlT_E_NS1_11comp_targetILNS1_3genE3ELNS1_11target_archE908ELNS1_3gpuE7ELNS1_3repE0EEENS1_30default_config_static_selectorELNS0_4arch9wavefront6targetE1EEEvT1_,@function
_ZN7rocprim17ROCPRIM_400000_NS6detail17trampoline_kernelINS0_14default_configENS1_35adjacent_difference_config_selectorILb0ElEEZNS1_24adjacent_difference_implIS3_Lb0ELb0EPlS7_ZN2at6native12_GLOBAL__N_124unique_dim_cuda_templateIjEESt5tupleIJNS8_6TensorESD_SD_EERKSD_lbbbEUlllE1_EE10hipError_tPvRmT2_T3_mT4_P12ihipStream_tbEUlT_E_NS1_11comp_targetILNS1_3genE3ELNS1_11target_archE908ELNS1_3gpuE7ELNS1_3repE0EEENS1_30default_config_static_selectorELNS0_4arch9wavefront6targetE1EEEvT1_: ; @_ZN7rocprim17ROCPRIM_400000_NS6detail17trampoline_kernelINS0_14default_configENS1_35adjacent_difference_config_selectorILb0ElEEZNS1_24adjacent_difference_implIS3_Lb0ELb0EPlS7_ZN2at6native12_GLOBAL__N_124unique_dim_cuda_templateIjEESt5tupleIJNS8_6TensorESD_SD_EERKSD_lbbbEUlllE1_EE10hipError_tPvRmT2_T3_mT4_P12ihipStream_tbEUlT_E_NS1_11comp_targetILNS1_3genE3ELNS1_11target_archE908ELNS1_3gpuE7ELNS1_3repE0EEENS1_30default_config_static_selectorELNS0_4arch9wavefront6targetE1EEEvT1_
; %bb.0:
	.section	.rodata,"a",@progbits
	.p2align	6, 0x0
	.amdhsa_kernel _ZN7rocprim17ROCPRIM_400000_NS6detail17trampoline_kernelINS0_14default_configENS1_35adjacent_difference_config_selectorILb0ElEEZNS1_24adjacent_difference_implIS3_Lb0ELb0EPlS7_ZN2at6native12_GLOBAL__N_124unique_dim_cuda_templateIjEESt5tupleIJNS8_6TensorESD_SD_EERKSD_lbbbEUlllE1_EE10hipError_tPvRmT2_T3_mT4_P12ihipStream_tbEUlT_E_NS1_11comp_targetILNS1_3genE3ELNS1_11target_archE908ELNS1_3gpuE7ELNS1_3repE0EEENS1_30default_config_static_selectorELNS0_4arch9wavefront6targetE1EEEvT1_
		.amdhsa_group_segment_fixed_size 0
		.amdhsa_private_segment_fixed_size 0
		.amdhsa_kernarg_size 64
		.amdhsa_user_sgpr_count 6
		.amdhsa_user_sgpr_private_segment_buffer 1
		.amdhsa_user_sgpr_dispatch_ptr 0
		.amdhsa_user_sgpr_queue_ptr 0
		.amdhsa_user_sgpr_kernarg_segment_ptr 1
		.amdhsa_user_sgpr_dispatch_id 0
		.amdhsa_user_sgpr_flat_scratch_init 0
		.amdhsa_user_sgpr_kernarg_preload_length 0
		.amdhsa_user_sgpr_kernarg_preload_offset 0
		.amdhsa_user_sgpr_private_segment_size 0
		.amdhsa_uses_dynamic_stack 0
		.amdhsa_system_sgpr_private_segment_wavefront_offset 0
		.amdhsa_system_sgpr_workgroup_id_x 1
		.amdhsa_system_sgpr_workgroup_id_y 0
		.amdhsa_system_sgpr_workgroup_id_z 0
		.amdhsa_system_sgpr_workgroup_info 0
		.amdhsa_system_vgpr_workitem_id 0
		.amdhsa_next_free_vgpr 1
		.amdhsa_next_free_sgpr 0
		.amdhsa_accum_offset 4
		.amdhsa_reserve_vcc 0
		.amdhsa_reserve_flat_scratch 0
		.amdhsa_float_round_mode_32 0
		.amdhsa_float_round_mode_16_64 0
		.amdhsa_float_denorm_mode_32 3
		.amdhsa_float_denorm_mode_16_64 3
		.amdhsa_dx10_clamp 1
		.amdhsa_ieee_mode 1
		.amdhsa_fp16_overflow 0
		.amdhsa_tg_split 0
		.amdhsa_exception_fp_ieee_invalid_op 0
		.amdhsa_exception_fp_denorm_src 0
		.amdhsa_exception_fp_ieee_div_zero 0
		.amdhsa_exception_fp_ieee_overflow 0
		.amdhsa_exception_fp_ieee_underflow 0
		.amdhsa_exception_fp_ieee_inexact 0
		.amdhsa_exception_int_div_zero 0
	.end_amdhsa_kernel
	.section	.text._ZN7rocprim17ROCPRIM_400000_NS6detail17trampoline_kernelINS0_14default_configENS1_35adjacent_difference_config_selectorILb0ElEEZNS1_24adjacent_difference_implIS3_Lb0ELb0EPlS7_ZN2at6native12_GLOBAL__N_124unique_dim_cuda_templateIjEESt5tupleIJNS8_6TensorESD_SD_EERKSD_lbbbEUlllE1_EE10hipError_tPvRmT2_T3_mT4_P12ihipStream_tbEUlT_E_NS1_11comp_targetILNS1_3genE3ELNS1_11target_archE908ELNS1_3gpuE7ELNS1_3repE0EEENS1_30default_config_static_selectorELNS0_4arch9wavefront6targetE1EEEvT1_,"axG",@progbits,_ZN7rocprim17ROCPRIM_400000_NS6detail17trampoline_kernelINS0_14default_configENS1_35adjacent_difference_config_selectorILb0ElEEZNS1_24adjacent_difference_implIS3_Lb0ELb0EPlS7_ZN2at6native12_GLOBAL__N_124unique_dim_cuda_templateIjEESt5tupleIJNS8_6TensorESD_SD_EERKSD_lbbbEUlllE1_EE10hipError_tPvRmT2_T3_mT4_P12ihipStream_tbEUlT_E_NS1_11comp_targetILNS1_3genE3ELNS1_11target_archE908ELNS1_3gpuE7ELNS1_3repE0EEENS1_30default_config_static_selectorELNS0_4arch9wavefront6targetE1EEEvT1_,comdat
.Lfunc_end1518:
	.size	_ZN7rocprim17ROCPRIM_400000_NS6detail17trampoline_kernelINS0_14default_configENS1_35adjacent_difference_config_selectorILb0ElEEZNS1_24adjacent_difference_implIS3_Lb0ELb0EPlS7_ZN2at6native12_GLOBAL__N_124unique_dim_cuda_templateIjEESt5tupleIJNS8_6TensorESD_SD_EERKSD_lbbbEUlllE1_EE10hipError_tPvRmT2_T3_mT4_P12ihipStream_tbEUlT_E_NS1_11comp_targetILNS1_3genE3ELNS1_11target_archE908ELNS1_3gpuE7ELNS1_3repE0EEENS1_30default_config_static_selectorELNS0_4arch9wavefront6targetE1EEEvT1_, .Lfunc_end1518-_ZN7rocprim17ROCPRIM_400000_NS6detail17trampoline_kernelINS0_14default_configENS1_35adjacent_difference_config_selectorILb0ElEEZNS1_24adjacent_difference_implIS3_Lb0ELb0EPlS7_ZN2at6native12_GLOBAL__N_124unique_dim_cuda_templateIjEESt5tupleIJNS8_6TensorESD_SD_EERKSD_lbbbEUlllE1_EE10hipError_tPvRmT2_T3_mT4_P12ihipStream_tbEUlT_E_NS1_11comp_targetILNS1_3genE3ELNS1_11target_archE908ELNS1_3gpuE7ELNS1_3repE0EEENS1_30default_config_static_selectorELNS0_4arch9wavefront6targetE1EEEvT1_
                                        ; -- End function
	.section	.AMDGPU.csdata,"",@progbits
; Kernel info:
; codeLenInByte = 0
; NumSgprs: 4
; NumVgprs: 0
; NumAgprs: 0
; TotalNumVgprs: 0
; ScratchSize: 0
; MemoryBound: 0
; FloatMode: 240
; IeeeMode: 1
; LDSByteSize: 0 bytes/workgroup (compile time only)
; SGPRBlocks: 0
; VGPRBlocks: 0
; NumSGPRsForWavesPerEU: 4
; NumVGPRsForWavesPerEU: 1
; AccumOffset: 4
; Occupancy: 8
; WaveLimiterHint : 0
; COMPUTE_PGM_RSRC2:SCRATCH_EN: 0
; COMPUTE_PGM_RSRC2:USER_SGPR: 6
; COMPUTE_PGM_RSRC2:TRAP_HANDLER: 0
; COMPUTE_PGM_RSRC2:TGID_X_EN: 1
; COMPUTE_PGM_RSRC2:TGID_Y_EN: 0
; COMPUTE_PGM_RSRC2:TGID_Z_EN: 0
; COMPUTE_PGM_RSRC2:TIDIG_COMP_CNT: 0
; COMPUTE_PGM_RSRC3_GFX90A:ACCUM_OFFSET: 0
; COMPUTE_PGM_RSRC3_GFX90A:TG_SPLIT: 0
	.section	.text._ZN7rocprim17ROCPRIM_400000_NS6detail17trampoline_kernelINS0_14default_configENS1_35adjacent_difference_config_selectorILb0ElEEZNS1_24adjacent_difference_implIS3_Lb0ELb0EPlS7_ZN2at6native12_GLOBAL__N_124unique_dim_cuda_templateIjEESt5tupleIJNS8_6TensorESD_SD_EERKSD_lbbbEUlllE1_EE10hipError_tPvRmT2_T3_mT4_P12ihipStream_tbEUlT_E_NS1_11comp_targetILNS1_3genE2ELNS1_11target_archE906ELNS1_3gpuE6ELNS1_3repE0EEENS1_30default_config_static_selectorELNS0_4arch9wavefront6targetE1EEEvT1_,"axG",@progbits,_ZN7rocprim17ROCPRIM_400000_NS6detail17trampoline_kernelINS0_14default_configENS1_35adjacent_difference_config_selectorILb0ElEEZNS1_24adjacent_difference_implIS3_Lb0ELb0EPlS7_ZN2at6native12_GLOBAL__N_124unique_dim_cuda_templateIjEESt5tupleIJNS8_6TensorESD_SD_EERKSD_lbbbEUlllE1_EE10hipError_tPvRmT2_T3_mT4_P12ihipStream_tbEUlT_E_NS1_11comp_targetILNS1_3genE2ELNS1_11target_archE906ELNS1_3gpuE6ELNS1_3repE0EEENS1_30default_config_static_selectorELNS0_4arch9wavefront6targetE1EEEvT1_,comdat
	.globl	_ZN7rocprim17ROCPRIM_400000_NS6detail17trampoline_kernelINS0_14default_configENS1_35adjacent_difference_config_selectorILb0ElEEZNS1_24adjacent_difference_implIS3_Lb0ELb0EPlS7_ZN2at6native12_GLOBAL__N_124unique_dim_cuda_templateIjEESt5tupleIJNS8_6TensorESD_SD_EERKSD_lbbbEUlllE1_EE10hipError_tPvRmT2_T3_mT4_P12ihipStream_tbEUlT_E_NS1_11comp_targetILNS1_3genE2ELNS1_11target_archE906ELNS1_3gpuE6ELNS1_3repE0EEENS1_30default_config_static_selectorELNS0_4arch9wavefront6targetE1EEEvT1_ ; -- Begin function _ZN7rocprim17ROCPRIM_400000_NS6detail17trampoline_kernelINS0_14default_configENS1_35adjacent_difference_config_selectorILb0ElEEZNS1_24adjacent_difference_implIS3_Lb0ELb0EPlS7_ZN2at6native12_GLOBAL__N_124unique_dim_cuda_templateIjEESt5tupleIJNS8_6TensorESD_SD_EERKSD_lbbbEUlllE1_EE10hipError_tPvRmT2_T3_mT4_P12ihipStream_tbEUlT_E_NS1_11comp_targetILNS1_3genE2ELNS1_11target_archE906ELNS1_3gpuE6ELNS1_3repE0EEENS1_30default_config_static_selectorELNS0_4arch9wavefront6targetE1EEEvT1_
	.p2align	8
	.type	_ZN7rocprim17ROCPRIM_400000_NS6detail17trampoline_kernelINS0_14default_configENS1_35adjacent_difference_config_selectorILb0ElEEZNS1_24adjacent_difference_implIS3_Lb0ELb0EPlS7_ZN2at6native12_GLOBAL__N_124unique_dim_cuda_templateIjEESt5tupleIJNS8_6TensorESD_SD_EERKSD_lbbbEUlllE1_EE10hipError_tPvRmT2_T3_mT4_P12ihipStream_tbEUlT_E_NS1_11comp_targetILNS1_3genE2ELNS1_11target_archE906ELNS1_3gpuE6ELNS1_3repE0EEENS1_30default_config_static_selectorELNS0_4arch9wavefront6targetE1EEEvT1_,@function
_ZN7rocprim17ROCPRIM_400000_NS6detail17trampoline_kernelINS0_14default_configENS1_35adjacent_difference_config_selectorILb0ElEEZNS1_24adjacent_difference_implIS3_Lb0ELb0EPlS7_ZN2at6native12_GLOBAL__N_124unique_dim_cuda_templateIjEESt5tupleIJNS8_6TensorESD_SD_EERKSD_lbbbEUlllE1_EE10hipError_tPvRmT2_T3_mT4_P12ihipStream_tbEUlT_E_NS1_11comp_targetILNS1_3genE2ELNS1_11target_archE906ELNS1_3gpuE6ELNS1_3repE0EEENS1_30default_config_static_selectorELNS0_4arch9wavefront6targetE1EEEvT1_: ; @_ZN7rocprim17ROCPRIM_400000_NS6detail17trampoline_kernelINS0_14default_configENS1_35adjacent_difference_config_selectorILb0ElEEZNS1_24adjacent_difference_implIS3_Lb0ELb0EPlS7_ZN2at6native12_GLOBAL__N_124unique_dim_cuda_templateIjEESt5tupleIJNS8_6TensorESD_SD_EERKSD_lbbbEUlllE1_EE10hipError_tPvRmT2_T3_mT4_P12ihipStream_tbEUlT_E_NS1_11comp_targetILNS1_3genE2ELNS1_11target_archE906ELNS1_3gpuE6ELNS1_3repE0EEENS1_30default_config_static_selectorELNS0_4arch9wavefront6targetE1EEEvT1_
; %bb.0:
	.section	.rodata,"a",@progbits
	.p2align	6, 0x0
	.amdhsa_kernel _ZN7rocprim17ROCPRIM_400000_NS6detail17trampoline_kernelINS0_14default_configENS1_35adjacent_difference_config_selectorILb0ElEEZNS1_24adjacent_difference_implIS3_Lb0ELb0EPlS7_ZN2at6native12_GLOBAL__N_124unique_dim_cuda_templateIjEESt5tupleIJNS8_6TensorESD_SD_EERKSD_lbbbEUlllE1_EE10hipError_tPvRmT2_T3_mT4_P12ihipStream_tbEUlT_E_NS1_11comp_targetILNS1_3genE2ELNS1_11target_archE906ELNS1_3gpuE6ELNS1_3repE0EEENS1_30default_config_static_selectorELNS0_4arch9wavefront6targetE1EEEvT1_
		.amdhsa_group_segment_fixed_size 0
		.amdhsa_private_segment_fixed_size 0
		.amdhsa_kernarg_size 64
		.amdhsa_user_sgpr_count 6
		.amdhsa_user_sgpr_private_segment_buffer 1
		.amdhsa_user_sgpr_dispatch_ptr 0
		.amdhsa_user_sgpr_queue_ptr 0
		.amdhsa_user_sgpr_kernarg_segment_ptr 1
		.amdhsa_user_sgpr_dispatch_id 0
		.amdhsa_user_sgpr_flat_scratch_init 0
		.amdhsa_user_sgpr_kernarg_preload_length 0
		.amdhsa_user_sgpr_kernarg_preload_offset 0
		.amdhsa_user_sgpr_private_segment_size 0
		.amdhsa_uses_dynamic_stack 0
		.amdhsa_system_sgpr_private_segment_wavefront_offset 0
		.amdhsa_system_sgpr_workgroup_id_x 1
		.amdhsa_system_sgpr_workgroup_id_y 0
		.amdhsa_system_sgpr_workgroup_id_z 0
		.amdhsa_system_sgpr_workgroup_info 0
		.amdhsa_system_vgpr_workitem_id 0
		.amdhsa_next_free_vgpr 1
		.amdhsa_next_free_sgpr 0
		.amdhsa_accum_offset 4
		.amdhsa_reserve_vcc 0
		.amdhsa_reserve_flat_scratch 0
		.amdhsa_float_round_mode_32 0
		.amdhsa_float_round_mode_16_64 0
		.amdhsa_float_denorm_mode_32 3
		.amdhsa_float_denorm_mode_16_64 3
		.amdhsa_dx10_clamp 1
		.amdhsa_ieee_mode 1
		.amdhsa_fp16_overflow 0
		.amdhsa_tg_split 0
		.amdhsa_exception_fp_ieee_invalid_op 0
		.amdhsa_exception_fp_denorm_src 0
		.amdhsa_exception_fp_ieee_div_zero 0
		.amdhsa_exception_fp_ieee_overflow 0
		.amdhsa_exception_fp_ieee_underflow 0
		.amdhsa_exception_fp_ieee_inexact 0
		.amdhsa_exception_int_div_zero 0
	.end_amdhsa_kernel
	.section	.text._ZN7rocprim17ROCPRIM_400000_NS6detail17trampoline_kernelINS0_14default_configENS1_35adjacent_difference_config_selectorILb0ElEEZNS1_24adjacent_difference_implIS3_Lb0ELb0EPlS7_ZN2at6native12_GLOBAL__N_124unique_dim_cuda_templateIjEESt5tupleIJNS8_6TensorESD_SD_EERKSD_lbbbEUlllE1_EE10hipError_tPvRmT2_T3_mT4_P12ihipStream_tbEUlT_E_NS1_11comp_targetILNS1_3genE2ELNS1_11target_archE906ELNS1_3gpuE6ELNS1_3repE0EEENS1_30default_config_static_selectorELNS0_4arch9wavefront6targetE1EEEvT1_,"axG",@progbits,_ZN7rocprim17ROCPRIM_400000_NS6detail17trampoline_kernelINS0_14default_configENS1_35adjacent_difference_config_selectorILb0ElEEZNS1_24adjacent_difference_implIS3_Lb0ELb0EPlS7_ZN2at6native12_GLOBAL__N_124unique_dim_cuda_templateIjEESt5tupleIJNS8_6TensorESD_SD_EERKSD_lbbbEUlllE1_EE10hipError_tPvRmT2_T3_mT4_P12ihipStream_tbEUlT_E_NS1_11comp_targetILNS1_3genE2ELNS1_11target_archE906ELNS1_3gpuE6ELNS1_3repE0EEENS1_30default_config_static_selectorELNS0_4arch9wavefront6targetE1EEEvT1_,comdat
.Lfunc_end1519:
	.size	_ZN7rocprim17ROCPRIM_400000_NS6detail17trampoline_kernelINS0_14default_configENS1_35adjacent_difference_config_selectorILb0ElEEZNS1_24adjacent_difference_implIS3_Lb0ELb0EPlS7_ZN2at6native12_GLOBAL__N_124unique_dim_cuda_templateIjEESt5tupleIJNS8_6TensorESD_SD_EERKSD_lbbbEUlllE1_EE10hipError_tPvRmT2_T3_mT4_P12ihipStream_tbEUlT_E_NS1_11comp_targetILNS1_3genE2ELNS1_11target_archE906ELNS1_3gpuE6ELNS1_3repE0EEENS1_30default_config_static_selectorELNS0_4arch9wavefront6targetE1EEEvT1_, .Lfunc_end1519-_ZN7rocprim17ROCPRIM_400000_NS6detail17trampoline_kernelINS0_14default_configENS1_35adjacent_difference_config_selectorILb0ElEEZNS1_24adjacent_difference_implIS3_Lb0ELb0EPlS7_ZN2at6native12_GLOBAL__N_124unique_dim_cuda_templateIjEESt5tupleIJNS8_6TensorESD_SD_EERKSD_lbbbEUlllE1_EE10hipError_tPvRmT2_T3_mT4_P12ihipStream_tbEUlT_E_NS1_11comp_targetILNS1_3genE2ELNS1_11target_archE906ELNS1_3gpuE6ELNS1_3repE0EEENS1_30default_config_static_selectorELNS0_4arch9wavefront6targetE1EEEvT1_
                                        ; -- End function
	.section	.AMDGPU.csdata,"",@progbits
; Kernel info:
; codeLenInByte = 0
; NumSgprs: 4
; NumVgprs: 0
; NumAgprs: 0
; TotalNumVgprs: 0
; ScratchSize: 0
; MemoryBound: 0
; FloatMode: 240
; IeeeMode: 1
; LDSByteSize: 0 bytes/workgroup (compile time only)
; SGPRBlocks: 0
; VGPRBlocks: 0
; NumSGPRsForWavesPerEU: 4
; NumVGPRsForWavesPerEU: 1
; AccumOffset: 4
; Occupancy: 8
; WaveLimiterHint : 0
; COMPUTE_PGM_RSRC2:SCRATCH_EN: 0
; COMPUTE_PGM_RSRC2:USER_SGPR: 6
; COMPUTE_PGM_RSRC2:TRAP_HANDLER: 0
; COMPUTE_PGM_RSRC2:TGID_X_EN: 1
; COMPUTE_PGM_RSRC2:TGID_Y_EN: 0
; COMPUTE_PGM_RSRC2:TGID_Z_EN: 0
; COMPUTE_PGM_RSRC2:TIDIG_COMP_CNT: 0
; COMPUTE_PGM_RSRC3_GFX90A:ACCUM_OFFSET: 0
; COMPUTE_PGM_RSRC3_GFX90A:TG_SPLIT: 0
	.section	.text._ZN7rocprim17ROCPRIM_400000_NS6detail17trampoline_kernelINS0_14default_configENS1_35adjacent_difference_config_selectorILb0ElEEZNS1_24adjacent_difference_implIS3_Lb0ELb0EPlS7_ZN2at6native12_GLOBAL__N_124unique_dim_cuda_templateIjEESt5tupleIJNS8_6TensorESD_SD_EERKSD_lbbbEUlllE1_EE10hipError_tPvRmT2_T3_mT4_P12ihipStream_tbEUlT_E_NS1_11comp_targetILNS1_3genE9ELNS1_11target_archE1100ELNS1_3gpuE3ELNS1_3repE0EEENS1_30default_config_static_selectorELNS0_4arch9wavefront6targetE1EEEvT1_,"axG",@progbits,_ZN7rocprim17ROCPRIM_400000_NS6detail17trampoline_kernelINS0_14default_configENS1_35adjacent_difference_config_selectorILb0ElEEZNS1_24adjacent_difference_implIS3_Lb0ELb0EPlS7_ZN2at6native12_GLOBAL__N_124unique_dim_cuda_templateIjEESt5tupleIJNS8_6TensorESD_SD_EERKSD_lbbbEUlllE1_EE10hipError_tPvRmT2_T3_mT4_P12ihipStream_tbEUlT_E_NS1_11comp_targetILNS1_3genE9ELNS1_11target_archE1100ELNS1_3gpuE3ELNS1_3repE0EEENS1_30default_config_static_selectorELNS0_4arch9wavefront6targetE1EEEvT1_,comdat
	.globl	_ZN7rocprim17ROCPRIM_400000_NS6detail17trampoline_kernelINS0_14default_configENS1_35adjacent_difference_config_selectorILb0ElEEZNS1_24adjacent_difference_implIS3_Lb0ELb0EPlS7_ZN2at6native12_GLOBAL__N_124unique_dim_cuda_templateIjEESt5tupleIJNS8_6TensorESD_SD_EERKSD_lbbbEUlllE1_EE10hipError_tPvRmT2_T3_mT4_P12ihipStream_tbEUlT_E_NS1_11comp_targetILNS1_3genE9ELNS1_11target_archE1100ELNS1_3gpuE3ELNS1_3repE0EEENS1_30default_config_static_selectorELNS0_4arch9wavefront6targetE1EEEvT1_ ; -- Begin function _ZN7rocprim17ROCPRIM_400000_NS6detail17trampoline_kernelINS0_14default_configENS1_35adjacent_difference_config_selectorILb0ElEEZNS1_24adjacent_difference_implIS3_Lb0ELb0EPlS7_ZN2at6native12_GLOBAL__N_124unique_dim_cuda_templateIjEESt5tupleIJNS8_6TensorESD_SD_EERKSD_lbbbEUlllE1_EE10hipError_tPvRmT2_T3_mT4_P12ihipStream_tbEUlT_E_NS1_11comp_targetILNS1_3genE9ELNS1_11target_archE1100ELNS1_3gpuE3ELNS1_3repE0EEENS1_30default_config_static_selectorELNS0_4arch9wavefront6targetE1EEEvT1_
	.p2align	8
	.type	_ZN7rocprim17ROCPRIM_400000_NS6detail17trampoline_kernelINS0_14default_configENS1_35adjacent_difference_config_selectorILb0ElEEZNS1_24adjacent_difference_implIS3_Lb0ELb0EPlS7_ZN2at6native12_GLOBAL__N_124unique_dim_cuda_templateIjEESt5tupleIJNS8_6TensorESD_SD_EERKSD_lbbbEUlllE1_EE10hipError_tPvRmT2_T3_mT4_P12ihipStream_tbEUlT_E_NS1_11comp_targetILNS1_3genE9ELNS1_11target_archE1100ELNS1_3gpuE3ELNS1_3repE0EEENS1_30default_config_static_selectorELNS0_4arch9wavefront6targetE1EEEvT1_,@function
_ZN7rocprim17ROCPRIM_400000_NS6detail17trampoline_kernelINS0_14default_configENS1_35adjacent_difference_config_selectorILb0ElEEZNS1_24adjacent_difference_implIS3_Lb0ELb0EPlS7_ZN2at6native12_GLOBAL__N_124unique_dim_cuda_templateIjEESt5tupleIJNS8_6TensorESD_SD_EERKSD_lbbbEUlllE1_EE10hipError_tPvRmT2_T3_mT4_P12ihipStream_tbEUlT_E_NS1_11comp_targetILNS1_3genE9ELNS1_11target_archE1100ELNS1_3gpuE3ELNS1_3repE0EEENS1_30default_config_static_selectorELNS0_4arch9wavefront6targetE1EEEvT1_: ; @_ZN7rocprim17ROCPRIM_400000_NS6detail17trampoline_kernelINS0_14default_configENS1_35adjacent_difference_config_selectorILb0ElEEZNS1_24adjacent_difference_implIS3_Lb0ELb0EPlS7_ZN2at6native12_GLOBAL__N_124unique_dim_cuda_templateIjEESt5tupleIJNS8_6TensorESD_SD_EERKSD_lbbbEUlllE1_EE10hipError_tPvRmT2_T3_mT4_P12ihipStream_tbEUlT_E_NS1_11comp_targetILNS1_3genE9ELNS1_11target_archE1100ELNS1_3gpuE3ELNS1_3repE0EEENS1_30default_config_static_selectorELNS0_4arch9wavefront6targetE1EEEvT1_
; %bb.0:
	.section	.rodata,"a",@progbits
	.p2align	6, 0x0
	.amdhsa_kernel _ZN7rocprim17ROCPRIM_400000_NS6detail17trampoline_kernelINS0_14default_configENS1_35adjacent_difference_config_selectorILb0ElEEZNS1_24adjacent_difference_implIS3_Lb0ELb0EPlS7_ZN2at6native12_GLOBAL__N_124unique_dim_cuda_templateIjEESt5tupleIJNS8_6TensorESD_SD_EERKSD_lbbbEUlllE1_EE10hipError_tPvRmT2_T3_mT4_P12ihipStream_tbEUlT_E_NS1_11comp_targetILNS1_3genE9ELNS1_11target_archE1100ELNS1_3gpuE3ELNS1_3repE0EEENS1_30default_config_static_selectorELNS0_4arch9wavefront6targetE1EEEvT1_
		.amdhsa_group_segment_fixed_size 0
		.amdhsa_private_segment_fixed_size 0
		.amdhsa_kernarg_size 64
		.amdhsa_user_sgpr_count 6
		.amdhsa_user_sgpr_private_segment_buffer 1
		.amdhsa_user_sgpr_dispatch_ptr 0
		.amdhsa_user_sgpr_queue_ptr 0
		.amdhsa_user_sgpr_kernarg_segment_ptr 1
		.amdhsa_user_sgpr_dispatch_id 0
		.amdhsa_user_sgpr_flat_scratch_init 0
		.amdhsa_user_sgpr_kernarg_preload_length 0
		.amdhsa_user_sgpr_kernarg_preload_offset 0
		.amdhsa_user_sgpr_private_segment_size 0
		.amdhsa_uses_dynamic_stack 0
		.amdhsa_system_sgpr_private_segment_wavefront_offset 0
		.amdhsa_system_sgpr_workgroup_id_x 1
		.amdhsa_system_sgpr_workgroup_id_y 0
		.amdhsa_system_sgpr_workgroup_id_z 0
		.amdhsa_system_sgpr_workgroup_info 0
		.amdhsa_system_vgpr_workitem_id 0
		.amdhsa_next_free_vgpr 1
		.amdhsa_next_free_sgpr 0
		.amdhsa_accum_offset 4
		.amdhsa_reserve_vcc 0
		.amdhsa_reserve_flat_scratch 0
		.amdhsa_float_round_mode_32 0
		.amdhsa_float_round_mode_16_64 0
		.amdhsa_float_denorm_mode_32 3
		.amdhsa_float_denorm_mode_16_64 3
		.amdhsa_dx10_clamp 1
		.amdhsa_ieee_mode 1
		.amdhsa_fp16_overflow 0
		.amdhsa_tg_split 0
		.amdhsa_exception_fp_ieee_invalid_op 0
		.amdhsa_exception_fp_denorm_src 0
		.amdhsa_exception_fp_ieee_div_zero 0
		.amdhsa_exception_fp_ieee_overflow 0
		.amdhsa_exception_fp_ieee_underflow 0
		.amdhsa_exception_fp_ieee_inexact 0
		.amdhsa_exception_int_div_zero 0
	.end_amdhsa_kernel
	.section	.text._ZN7rocprim17ROCPRIM_400000_NS6detail17trampoline_kernelINS0_14default_configENS1_35adjacent_difference_config_selectorILb0ElEEZNS1_24adjacent_difference_implIS3_Lb0ELb0EPlS7_ZN2at6native12_GLOBAL__N_124unique_dim_cuda_templateIjEESt5tupleIJNS8_6TensorESD_SD_EERKSD_lbbbEUlllE1_EE10hipError_tPvRmT2_T3_mT4_P12ihipStream_tbEUlT_E_NS1_11comp_targetILNS1_3genE9ELNS1_11target_archE1100ELNS1_3gpuE3ELNS1_3repE0EEENS1_30default_config_static_selectorELNS0_4arch9wavefront6targetE1EEEvT1_,"axG",@progbits,_ZN7rocprim17ROCPRIM_400000_NS6detail17trampoline_kernelINS0_14default_configENS1_35adjacent_difference_config_selectorILb0ElEEZNS1_24adjacent_difference_implIS3_Lb0ELb0EPlS7_ZN2at6native12_GLOBAL__N_124unique_dim_cuda_templateIjEESt5tupleIJNS8_6TensorESD_SD_EERKSD_lbbbEUlllE1_EE10hipError_tPvRmT2_T3_mT4_P12ihipStream_tbEUlT_E_NS1_11comp_targetILNS1_3genE9ELNS1_11target_archE1100ELNS1_3gpuE3ELNS1_3repE0EEENS1_30default_config_static_selectorELNS0_4arch9wavefront6targetE1EEEvT1_,comdat
.Lfunc_end1520:
	.size	_ZN7rocprim17ROCPRIM_400000_NS6detail17trampoline_kernelINS0_14default_configENS1_35adjacent_difference_config_selectorILb0ElEEZNS1_24adjacent_difference_implIS3_Lb0ELb0EPlS7_ZN2at6native12_GLOBAL__N_124unique_dim_cuda_templateIjEESt5tupleIJNS8_6TensorESD_SD_EERKSD_lbbbEUlllE1_EE10hipError_tPvRmT2_T3_mT4_P12ihipStream_tbEUlT_E_NS1_11comp_targetILNS1_3genE9ELNS1_11target_archE1100ELNS1_3gpuE3ELNS1_3repE0EEENS1_30default_config_static_selectorELNS0_4arch9wavefront6targetE1EEEvT1_, .Lfunc_end1520-_ZN7rocprim17ROCPRIM_400000_NS6detail17trampoline_kernelINS0_14default_configENS1_35adjacent_difference_config_selectorILb0ElEEZNS1_24adjacent_difference_implIS3_Lb0ELb0EPlS7_ZN2at6native12_GLOBAL__N_124unique_dim_cuda_templateIjEESt5tupleIJNS8_6TensorESD_SD_EERKSD_lbbbEUlllE1_EE10hipError_tPvRmT2_T3_mT4_P12ihipStream_tbEUlT_E_NS1_11comp_targetILNS1_3genE9ELNS1_11target_archE1100ELNS1_3gpuE3ELNS1_3repE0EEENS1_30default_config_static_selectorELNS0_4arch9wavefront6targetE1EEEvT1_
                                        ; -- End function
	.section	.AMDGPU.csdata,"",@progbits
; Kernel info:
; codeLenInByte = 0
; NumSgprs: 4
; NumVgprs: 0
; NumAgprs: 0
; TotalNumVgprs: 0
; ScratchSize: 0
; MemoryBound: 0
; FloatMode: 240
; IeeeMode: 1
; LDSByteSize: 0 bytes/workgroup (compile time only)
; SGPRBlocks: 0
; VGPRBlocks: 0
; NumSGPRsForWavesPerEU: 4
; NumVGPRsForWavesPerEU: 1
; AccumOffset: 4
; Occupancy: 8
; WaveLimiterHint : 0
; COMPUTE_PGM_RSRC2:SCRATCH_EN: 0
; COMPUTE_PGM_RSRC2:USER_SGPR: 6
; COMPUTE_PGM_RSRC2:TRAP_HANDLER: 0
; COMPUTE_PGM_RSRC2:TGID_X_EN: 1
; COMPUTE_PGM_RSRC2:TGID_Y_EN: 0
; COMPUTE_PGM_RSRC2:TGID_Z_EN: 0
; COMPUTE_PGM_RSRC2:TIDIG_COMP_CNT: 0
; COMPUTE_PGM_RSRC3_GFX90A:ACCUM_OFFSET: 0
; COMPUTE_PGM_RSRC3_GFX90A:TG_SPLIT: 0
	.section	.text._ZN7rocprim17ROCPRIM_400000_NS6detail17trampoline_kernelINS0_14default_configENS1_35adjacent_difference_config_selectorILb0ElEEZNS1_24adjacent_difference_implIS3_Lb0ELb0EPlS7_ZN2at6native12_GLOBAL__N_124unique_dim_cuda_templateIjEESt5tupleIJNS8_6TensorESD_SD_EERKSD_lbbbEUlllE1_EE10hipError_tPvRmT2_T3_mT4_P12ihipStream_tbEUlT_E_NS1_11comp_targetILNS1_3genE8ELNS1_11target_archE1030ELNS1_3gpuE2ELNS1_3repE0EEENS1_30default_config_static_selectorELNS0_4arch9wavefront6targetE1EEEvT1_,"axG",@progbits,_ZN7rocprim17ROCPRIM_400000_NS6detail17trampoline_kernelINS0_14default_configENS1_35adjacent_difference_config_selectorILb0ElEEZNS1_24adjacent_difference_implIS3_Lb0ELb0EPlS7_ZN2at6native12_GLOBAL__N_124unique_dim_cuda_templateIjEESt5tupleIJNS8_6TensorESD_SD_EERKSD_lbbbEUlllE1_EE10hipError_tPvRmT2_T3_mT4_P12ihipStream_tbEUlT_E_NS1_11comp_targetILNS1_3genE8ELNS1_11target_archE1030ELNS1_3gpuE2ELNS1_3repE0EEENS1_30default_config_static_selectorELNS0_4arch9wavefront6targetE1EEEvT1_,comdat
	.globl	_ZN7rocprim17ROCPRIM_400000_NS6detail17trampoline_kernelINS0_14default_configENS1_35adjacent_difference_config_selectorILb0ElEEZNS1_24adjacent_difference_implIS3_Lb0ELb0EPlS7_ZN2at6native12_GLOBAL__N_124unique_dim_cuda_templateIjEESt5tupleIJNS8_6TensorESD_SD_EERKSD_lbbbEUlllE1_EE10hipError_tPvRmT2_T3_mT4_P12ihipStream_tbEUlT_E_NS1_11comp_targetILNS1_3genE8ELNS1_11target_archE1030ELNS1_3gpuE2ELNS1_3repE0EEENS1_30default_config_static_selectorELNS0_4arch9wavefront6targetE1EEEvT1_ ; -- Begin function _ZN7rocprim17ROCPRIM_400000_NS6detail17trampoline_kernelINS0_14default_configENS1_35adjacent_difference_config_selectorILb0ElEEZNS1_24adjacent_difference_implIS3_Lb0ELb0EPlS7_ZN2at6native12_GLOBAL__N_124unique_dim_cuda_templateIjEESt5tupleIJNS8_6TensorESD_SD_EERKSD_lbbbEUlllE1_EE10hipError_tPvRmT2_T3_mT4_P12ihipStream_tbEUlT_E_NS1_11comp_targetILNS1_3genE8ELNS1_11target_archE1030ELNS1_3gpuE2ELNS1_3repE0EEENS1_30default_config_static_selectorELNS0_4arch9wavefront6targetE1EEEvT1_
	.p2align	8
	.type	_ZN7rocprim17ROCPRIM_400000_NS6detail17trampoline_kernelINS0_14default_configENS1_35adjacent_difference_config_selectorILb0ElEEZNS1_24adjacent_difference_implIS3_Lb0ELb0EPlS7_ZN2at6native12_GLOBAL__N_124unique_dim_cuda_templateIjEESt5tupleIJNS8_6TensorESD_SD_EERKSD_lbbbEUlllE1_EE10hipError_tPvRmT2_T3_mT4_P12ihipStream_tbEUlT_E_NS1_11comp_targetILNS1_3genE8ELNS1_11target_archE1030ELNS1_3gpuE2ELNS1_3repE0EEENS1_30default_config_static_selectorELNS0_4arch9wavefront6targetE1EEEvT1_,@function
_ZN7rocprim17ROCPRIM_400000_NS6detail17trampoline_kernelINS0_14default_configENS1_35adjacent_difference_config_selectorILb0ElEEZNS1_24adjacent_difference_implIS3_Lb0ELb0EPlS7_ZN2at6native12_GLOBAL__N_124unique_dim_cuda_templateIjEESt5tupleIJNS8_6TensorESD_SD_EERKSD_lbbbEUlllE1_EE10hipError_tPvRmT2_T3_mT4_P12ihipStream_tbEUlT_E_NS1_11comp_targetILNS1_3genE8ELNS1_11target_archE1030ELNS1_3gpuE2ELNS1_3repE0EEENS1_30default_config_static_selectorELNS0_4arch9wavefront6targetE1EEEvT1_: ; @_ZN7rocprim17ROCPRIM_400000_NS6detail17trampoline_kernelINS0_14default_configENS1_35adjacent_difference_config_selectorILb0ElEEZNS1_24adjacent_difference_implIS3_Lb0ELb0EPlS7_ZN2at6native12_GLOBAL__N_124unique_dim_cuda_templateIjEESt5tupleIJNS8_6TensorESD_SD_EERKSD_lbbbEUlllE1_EE10hipError_tPvRmT2_T3_mT4_P12ihipStream_tbEUlT_E_NS1_11comp_targetILNS1_3genE8ELNS1_11target_archE1030ELNS1_3gpuE2ELNS1_3repE0EEENS1_30default_config_static_selectorELNS0_4arch9wavefront6targetE1EEEvT1_
; %bb.0:
	.section	.rodata,"a",@progbits
	.p2align	6, 0x0
	.amdhsa_kernel _ZN7rocprim17ROCPRIM_400000_NS6detail17trampoline_kernelINS0_14default_configENS1_35adjacent_difference_config_selectorILb0ElEEZNS1_24adjacent_difference_implIS3_Lb0ELb0EPlS7_ZN2at6native12_GLOBAL__N_124unique_dim_cuda_templateIjEESt5tupleIJNS8_6TensorESD_SD_EERKSD_lbbbEUlllE1_EE10hipError_tPvRmT2_T3_mT4_P12ihipStream_tbEUlT_E_NS1_11comp_targetILNS1_3genE8ELNS1_11target_archE1030ELNS1_3gpuE2ELNS1_3repE0EEENS1_30default_config_static_selectorELNS0_4arch9wavefront6targetE1EEEvT1_
		.amdhsa_group_segment_fixed_size 0
		.amdhsa_private_segment_fixed_size 0
		.amdhsa_kernarg_size 64
		.amdhsa_user_sgpr_count 6
		.amdhsa_user_sgpr_private_segment_buffer 1
		.amdhsa_user_sgpr_dispatch_ptr 0
		.amdhsa_user_sgpr_queue_ptr 0
		.amdhsa_user_sgpr_kernarg_segment_ptr 1
		.amdhsa_user_sgpr_dispatch_id 0
		.amdhsa_user_sgpr_flat_scratch_init 0
		.amdhsa_user_sgpr_kernarg_preload_length 0
		.amdhsa_user_sgpr_kernarg_preload_offset 0
		.amdhsa_user_sgpr_private_segment_size 0
		.amdhsa_uses_dynamic_stack 0
		.amdhsa_system_sgpr_private_segment_wavefront_offset 0
		.amdhsa_system_sgpr_workgroup_id_x 1
		.amdhsa_system_sgpr_workgroup_id_y 0
		.amdhsa_system_sgpr_workgroup_id_z 0
		.amdhsa_system_sgpr_workgroup_info 0
		.amdhsa_system_vgpr_workitem_id 0
		.amdhsa_next_free_vgpr 1
		.amdhsa_next_free_sgpr 0
		.amdhsa_accum_offset 4
		.amdhsa_reserve_vcc 0
		.amdhsa_reserve_flat_scratch 0
		.amdhsa_float_round_mode_32 0
		.amdhsa_float_round_mode_16_64 0
		.amdhsa_float_denorm_mode_32 3
		.amdhsa_float_denorm_mode_16_64 3
		.amdhsa_dx10_clamp 1
		.amdhsa_ieee_mode 1
		.amdhsa_fp16_overflow 0
		.amdhsa_tg_split 0
		.amdhsa_exception_fp_ieee_invalid_op 0
		.amdhsa_exception_fp_denorm_src 0
		.amdhsa_exception_fp_ieee_div_zero 0
		.amdhsa_exception_fp_ieee_overflow 0
		.amdhsa_exception_fp_ieee_underflow 0
		.amdhsa_exception_fp_ieee_inexact 0
		.amdhsa_exception_int_div_zero 0
	.end_amdhsa_kernel
	.section	.text._ZN7rocprim17ROCPRIM_400000_NS6detail17trampoline_kernelINS0_14default_configENS1_35adjacent_difference_config_selectorILb0ElEEZNS1_24adjacent_difference_implIS3_Lb0ELb0EPlS7_ZN2at6native12_GLOBAL__N_124unique_dim_cuda_templateIjEESt5tupleIJNS8_6TensorESD_SD_EERKSD_lbbbEUlllE1_EE10hipError_tPvRmT2_T3_mT4_P12ihipStream_tbEUlT_E_NS1_11comp_targetILNS1_3genE8ELNS1_11target_archE1030ELNS1_3gpuE2ELNS1_3repE0EEENS1_30default_config_static_selectorELNS0_4arch9wavefront6targetE1EEEvT1_,"axG",@progbits,_ZN7rocprim17ROCPRIM_400000_NS6detail17trampoline_kernelINS0_14default_configENS1_35adjacent_difference_config_selectorILb0ElEEZNS1_24adjacent_difference_implIS3_Lb0ELb0EPlS7_ZN2at6native12_GLOBAL__N_124unique_dim_cuda_templateIjEESt5tupleIJNS8_6TensorESD_SD_EERKSD_lbbbEUlllE1_EE10hipError_tPvRmT2_T3_mT4_P12ihipStream_tbEUlT_E_NS1_11comp_targetILNS1_3genE8ELNS1_11target_archE1030ELNS1_3gpuE2ELNS1_3repE0EEENS1_30default_config_static_selectorELNS0_4arch9wavefront6targetE1EEEvT1_,comdat
.Lfunc_end1521:
	.size	_ZN7rocprim17ROCPRIM_400000_NS6detail17trampoline_kernelINS0_14default_configENS1_35adjacent_difference_config_selectorILb0ElEEZNS1_24adjacent_difference_implIS3_Lb0ELb0EPlS7_ZN2at6native12_GLOBAL__N_124unique_dim_cuda_templateIjEESt5tupleIJNS8_6TensorESD_SD_EERKSD_lbbbEUlllE1_EE10hipError_tPvRmT2_T3_mT4_P12ihipStream_tbEUlT_E_NS1_11comp_targetILNS1_3genE8ELNS1_11target_archE1030ELNS1_3gpuE2ELNS1_3repE0EEENS1_30default_config_static_selectorELNS0_4arch9wavefront6targetE1EEEvT1_, .Lfunc_end1521-_ZN7rocprim17ROCPRIM_400000_NS6detail17trampoline_kernelINS0_14default_configENS1_35adjacent_difference_config_selectorILb0ElEEZNS1_24adjacent_difference_implIS3_Lb0ELb0EPlS7_ZN2at6native12_GLOBAL__N_124unique_dim_cuda_templateIjEESt5tupleIJNS8_6TensorESD_SD_EERKSD_lbbbEUlllE1_EE10hipError_tPvRmT2_T3_mT4_P12ihipStream_tbEUlT_E_NS1_11comp_targetILNS1_3genE8ELNS1_11target_archE1030ELNS1_3gpuE2ELNS1_3repE0EEENS1_30default_config_static_selectorELNS0_4arch9wavefront6targetE1EEEvT1_
                                        ; -- End function
	.section	.AMDGPU.csdata,"",@progbits
; Kernel info:
; codeLenInByte = 0
; NumSgprs: 4
; NumVgprs: 0
; NumAgprs: 0
; TotalNumVgprs: 0
; ScratchSize: 0
; MemoryBound: 0
; FloatMode: 240
; IeeeMode: 1
; LDSByteSize: 0 bytes/workgroup (compile time only)
; SGPRBlocks: 0
; VGPRBlocks: 0
; NumSGPRsForWavesPerEU: 4
; NumVGPRsForWavesPerEU: 1
; AccumOffset: 4
; Occupancy: 8
; WaveLimiterHint : 0
; COMPUTE_PGM_RSRC2:SCRATCH_EN: 0
; COMPUTE_PGM_RSRC2:USER_SGPR: 6
; COMPUTE_PGM_RSRC2:TRAP_HANDLER: 0
; COMPUTE_PGM_RSRC2:TGID_X_EN: 1
; COMPUTE_PGM_RSRC2:TGID_Y_EN: 0
; COMPUTE_PGM_RSRC2:TGID_Z_EN: 0
; COMPUTE_PGM_RSRC2:TIDIG_COMP_CNT: 0
; COMPUTE_PGM_RSRC3_GFX90A:ACCUM_OFFSET: 0
; COMPUTE_PGM_RSRC3_GFX90A:TG_SPLIT: 0
	.section	.text._ZN7rocprim17ROCPRIM_400000_NS6detail17trampoline_kernelINS0_14default_configENS1_25transform_config_selectorIlLb0EEEZNS1_14transform_implILb0ES3_S5_NS0_18transform_iteratorINS0_17counting_iteratorImlEEZNS1_24adjacent_difference_implIS3_Lb1ELb0EPlSB_ZN2at6native12_GLOBAL__N_124unique_dim_cuda_templateIjEESt5tupleIJNSC_6TensorESH_SH_EERKSH_lbbbEUlllE1_EE10hipError_tPvRmT2_T3_mT4_P12ihipStream_tbEUlmE_lEESB_NS0_8identityIvEEEESM_SP_SQ_mSR_ST_bEUlT_E_NS1_11comp_targetILNS1_3genE0ELNS1_11target_archE4294967295ELNS1_3gpuE0ELNS1_3repE0EEENS1_30default_config_static_selectorELNS0_4arch9wavefront6targetE1EEEvT1_,"axG",@progbits,_ZN7rocprim17ROCPRIM_400000_NS6detail17trampoline_kernelINS0_14default_configENS1_25transform_config_selectorIlLb0EEEZNS1_14transform_implILb0ES3_S5_NS0_18transform_iteratorINS0_17counting_iteratorImlEEZNS1_24adjacent_difference_implIS3_Lb1ELb0EPlSB_ZN2at6native12_GLOBAL__N_124unique_dim_cuda_templateIjEESt5tupleIJNSC_6TensorESH_SH_EERKSH_lbbbEUlllE1_EE10hipError_tPvRmT2_T3_mT4_P12ihipStream_tbEUlmE_lEESB_NS0_8identityIvEEEESM_SP_SQ_mSR_ST_bEUlT_E_NS1_11comp_targetILNS1_3genE0ELNS1_11target_archE4294967295ELNS1_3gpuE0ELNS1_3repE0EEENS1_30default_config_static_selectorELNS0_4arch9wavefront6targetE1EEEvT1_,comdat
	.globl	_ZN7rocprim17ROCPRIM_400000_NS6detail17trampoline_kernelINS0_14default_configENS1_25transform_config_selectorIlLb0EEEZNS1_14transform_implILb0ES3_S5_NS0_18transform_iteratorINS0_17counting_iteratorImlEEZNS1_24adjacent_difference_implIS3_Lb1ELb0EPlSB_ZN2at6native12_GLOBAL__N_124unique_dim_cuda_templateIjEESt5tupleIJNSC_6TensorESH_SH_EERKSH_lbbbEUlllE1_EE10hipError_tPvRmT2_T3_mT4_P12ihipStream_tbEUlmE_lEESB_NS0_8identityIvEEEESM_SP_SQ_mSR_ST_bEUlT_E_NS1_11comp_targetILNS1_3genE0ELNS1_11target_archE4294967295ELNS1_3gpuE0ELNS1_3repE0EEENS1_30default_config_static_selectorELNS0_4arch9wavefront6targetE1EEEvT1_ ; -- Begin function _ZN7rocprim17ROCPRIM_400000_NS6detail17trampoline_kernelINS0_14default_configENS1_25transform_config_selectorIlLb0EEEZNS1_14transform_implILb0ES3_S5_NS0_18transform_iteratorINS0_17counting_iteratorImlEEZNS1_24adjacent_difference_implIS3_Lb1ELb0EPlSB_ZN2at6native12_GLOBAL__N_124unique_dim_cuda_templateIjEESt5tupleIJNSC_6TensorESH_SH_EERKSH_lbbbEUlllE1_EE10hipError_tPvRmT2_T3_mT4_P12ihipStream_tbEUlmE_lEESB_NS0_8identityIvEEEESM_SP_SQ_mSR_ST_bEUlT_E_NS1_11comp_targetILNS1_3genE0ELNS1_11target_archE4294967295ELNS1_3gpuE0ELNS1_3repE0EEENS1_30default_config_static_selectorELNS0_4arch9wavefront6targetE1EEEvT1_
	.p2align	8
	.type	_ZN7rocprim17ROCPRIM_400000_NS6detail17trampoline_kernelINS0_14default_configENS1_25transform_config_selectorIlLb0EEEZNS1_14transform_implILb0ES3_S5_NS0_18transform_iteratorINS0_17counting_iteratorImlEEZNS1_24adjacent_difference_implIS3_Lb1ELb0EPlSB_ZN2at6native12_GLOBAL__N_124unique_dim_cuda_templateIjEESt5tupleIJNSC_6TensorESH_SH_EERKSH_lbbbEUlllE1_EE10hipError_tPvRmT2_T3_mT4_P12ihipStream_tbEUlmE_lEESB_NS0_8identityIvEEEESM_SP_SQ_mSR_ST_bEUlT_E_NS1_11comp_targetILNS1_3genE0ELNS1_11target_archE4294967295ELNS1_3gpuE0ELNS1_3repE0EEENS1_30default_config_static_selectorELNS0_4arch9wavefront6targetE1EEEvT1_,@function
_ZN7rocprim17ROCPRIM_400000_NS6detail17trampoline_kernelINS0_14default_configENS1_25transform_config_selectorIlLb0EEEZNS1_14transform_implILb0ES3_S5_NS0_18transform_iteratorINS0_17counting_iteratorImlEEZNS1_24adjacent_difference_implIS3_Lb1ELb0EPlSB_ZN2at6native12_GLOBAL__N_124unique_dim_cuda_templateIjEESt5tupleIJNSC_6TensorESH_SH_EERKSH_lbbbEUlllE1_EE10hipError_tPvRmT2_T3_mT4_P12ihipStream_tbEUlmE_lEESB_NS0_8identityIvEEEESM_SP_SQ_mSR_ST_bEUlT_E_NS1_11comp_targetILNS1_3genE0ELNS1_11target_archE4294967295ELNS1_3gpuE0ELNS1_3repE0EEENS1_30default_config_static_selectorELNS0_4arch9wavefront6targetE1EEEvT1_: ; @_ZN7rocprim17ROCPRIM_400000_NS6detail17trampoline_kernelINS0_14default_configENS1_25transform_config_selectorIlLb0EEEZNS1_14transform_implILb0ES3_S5_NS0_18transform_iteratorINS0_17counting_iteratorImlEEZNS1_24adjacent_difference_implIS3_Lb1ELb0EPlSB_ZN2at6native12_GLOBAL__N_124unique_dim_cuda_templateIjEESt5tupleIJNSC_6TensorESH_SH_EERKSH_lbbbEUlllE1_EE10hipError_tPvRmT2_T3_mT4_P12ihipStream_tbEUlmE_lEESB_NS0_8identityIvEEEESM_SP_SQ_mSR_ST_bEUlT_E_NS1_11comp_targetILNS1_3genE0ELNS1_11target_archE4294967295ELNS1_3gpuE0ELNS1_3repE0EEENS1_30default_config_static_selectorELNS0_4arch9wavefront6targetE1EEEvT1_
; %bb.0:
	.section	.rodata,"a",@progbits
	.p2align	6, 0x0
	.amdhsa_kernel _ZN7rocprim17ROCPRIM_400000_NS6detail17trampoline_kernelINS0_14default_configENS1_25transform_config_selectorIlLb0EEEZNS1_14transform_implILb0ES3_S5_NS0_18transform_iteratorINS0_17counting_iteratorImlEEZNS1_24adjacent_difference_implIS3_Lb1ELb0EPlSB_ZN2at6native12_GLOBAL__N_124unique_dim_cuda_templateIjEESt5tupleIJNSC_6TensorESH_SH_EERKSH_lbbbEUlllE1_EE10hipError_tPvRmT2_T3_mT4_P12ihipStream_tbEUlmE_lEESB_NS0_8identityIvEEEESM_SP_SQ_mSR_ST_bEUlT_E_NS1_11comp_targetILNS1_3genE0ELNS1_11target_archE4294967295ELNS1_3gpuE0ELNS1_3repE0EEENS1_30default_config_static_selectorELNS0_4arch9wavefront6targetE1EEEvT1_
		.amdhsa_group_segment_fixed_size 0
		.amdhsa_private_segment_fixed_size 0
		.amdhsa_kernarg_size 56
		.amdhsa_user_sgpr_count 6
		.amdhsa_user_sgpr_private_segment_buffer 1
		.amdhsa_user_sgpr_dispatch_ptr 0
		.amdhsa_user_sgpr_queue_ptr 0
		.amdhsa_user_sgpr_kernarg_segment_ptr 1
		.amdhsa_user_sgpr_dispatch_id 0
		.amdhsa_user_sgpr_flat_scratch_init 0
		.amdhsa_user_sgpr_kernarg_preload_length 0
		.amdhsa_user_sgpr_kernarg_preload_offset 0
		.amdhsa_user_sgpr_private_segment_size 0
		.amdhsa_uses_dynamic_stack 0
		.amdhsa_system_sgpr_private_segment_wavefront_offset 0
		.amdhsa_system_sgpr_workgroup_id_x 1
		.amdhsa_system_sgpr_workgroup_id_y 0
		.amdhsa_system_sgpr_workgroup_id_z 0
		.amdhsa_system_sgpr_workgroup_info 0
		.amdhsa_system_vgpr_workitem_id 0
		.amdhsa_next_free_vgpr 1
		.amdhsa_next_free_sgpr 0
		.amdhsa_accum_offset 4
		.amdhsa_reserve_vcc 0
		.amdhsa_reserve_flat_scratch 0
		.amdhsa_float_round_mode_32 0
		.amdhsa_float_round_mode_16_64 0
		.amdhsa_float_denorm_mode_32 3
		.amdhsa_float_denorm_mode_16_64 3
		.amdhsa_dx10_clamp 1
		.amdhsa_ieee_mode 1
		.amdhsa_fp16_overflow 0
		.amdhsa_tg_split 0
		.amdhsa_exception_fp_ieee_invalid_op 0
		.amdhsa_exception_fp_denorm_src 0
		.amdhsa_exception_fp_ieee_div_zero 0
		.amdhsa_exception_fp_ieee_overflow 0
		.amdhsa_exception_fp_ieee_underflow 0
		.amdhsa_exception_fp_ieee_inexact 0
		.amdhsa_exception_int_div_zero 0
	.end_amdhsa_kernel
	.section	.text._ZN7rocprim17ROCPRIM_400000_NS6detail17trampoline_kernelINS0_14default_configENS1_25transform_config_selectorIlLb0EEEZNS1_14transform_implILb0ES3_S5_NS0_18transform_iteratorINS0_17counting_iteratorImlEEZNS1_24adjacent_difference_implIS3_Lb1ELb0EPlSB_ZN2at6native12_GLOBAL__N_124unique_dim_cuda_templateIjEESt5tupleIJNSC_6TensorESH_SH_EERKSH_lbbbEUlllE1_EE10hipError_tPvRmT2_T3_mT4_P12ihipStream_tbEUlmE_lEESB_NS0_8identityIvEEEESM_SP_SQ_mSR_ST_bEUlT_E_NS1_11comp_targetILNS1_3genE0ELNS1_11target_archE4294967295ELNS1_3gpuE0ELNS1_3repE0EEENS1_30default_config_static_selectorELNS0_4arch9wavefront6targetE1EEEvT1_,"axG",@progbits,_ZN7rocprim17ROCPRIM_400000_NS6detail17trampoline_kernelINS0_14default_configENS1_25transform_config_selectorIlLb0EEEZNS1_14transform_implILb0ES3_S5_NS0_18transform_iteratorINS0_17counting_iteratorImlEEZNS1_24adjacent_difference_implIS3_Lb1ELb0EPlSB_ZN2at6native12_GLOBAL__N_124unique_dim_cuda_templateIjEESt5tupleIJNSC_6TensorESH_SH_EERKSH_lbbbEUlllE1_EE10hipError_tPvRmT2_T3_mT4_P12ihipStream_tbEUlmE_lEESB_NS0_8identityIvEEEESM_SP_SQ_mSR_ST_bEUlT_E_NS1_11comp_targetILNS1_3genE0ELNS1_11target_archE4294967295ELNS1_3gpuE0ELNS1_3repE0EEENS1_30default_config_static_selectorELNS0_4arch9wavefront6targetE1EEEvT1_,comdat
.Lfunc_end1522:
	.size	_ZN7rocprim17ROCPRIM_400000_NS6detail17trampoline_kernelINS0_14default_configENS1_25transform_config_selectorIlLb0EEEZNS1_14transform_implILb0ES3_S5_NS0_18transform_iteratorINS0_17counting_iteratorImlEEZNS1_24adjacent_difference_implIS3_Lb1ELb0EPlSB_ZN2at6native12_GLOBAL__N_124unique_dim_cuda_templateIjEESt5tupleIJNSC_6TensorESH_SH_EERKSH_lbbbEUlllE1_EE10hipError_tPvRmT2_T3_mT4_P12ihipStream_tbEUlmE_lEESB_NS0_8identityIvEEEESM_SP_SQ_mSR_ST_bEUlT_E_NS1_11comp_targetILNS1_3genE0ELNS1_11target_archE4294967295ELNS1_3gpuE0ELNS1_3repE0EEENS1_30default_config_static_selectorELNS0_4arch9wavefront6targetE1EEEvT1_, .Lfunc_end1522-_ZN7rocprim17ROCPRIM_400000_NS6detail17trampoline_kernelINS0_14default_configENS1_25transform_config_selectorIlLb0EEEZNS1_14transform_implILb0ES3_S5_NS0_18transform_iteratorINS0_17counting_iteratorImlEEZNS1_24adjacent_difference_implIS3_Lb1ELb0EPlSB_ZN2at6native12_GLOBAL__N_124unique_dim_cuda_templateIjEESt5tupleIJNSC_6TensorESH_SH_EERKSH_lbbbEUlllE1_EE10hipError_tPvRmT2_T3_mT4_P12ihipStream_tbEUlmE_lEESB_NS0_8identityIvEEEESM_SP_SQ_mSR_ST_bEUlT_E_NS1_11comp_targetILNS1_3genE0ELNS1_11target_archE4294967295ELNS1_3gpuE0ELNS1_3repE0EEENS1_30default_config_static_selectorELNS0_4arch9wavefront6targetE1EEEvT1_
                                        ; -- End function
	.section	.AMDGPU.csdata,"",@progbits
; Kernel info:
; codeLenInByte = 0
; NumSgprs: 4
; NumVgprs: 0
; NumAgprs: 0
; TotalNumVgprs: 0
; ScratchSize: 0
; MemoryBound: 0
; FloatMode: 240
; IeeeMode: 1
; LDSByteSize: 0 bytes/workgroup (compile time only)
; SGPRBlocks: 0
; VGPRBlocks: 0
; NumSGPRsForWavesPerEU: 4
; NumVGPRsForWavesPerEU: 1
; AccumOffset: 4
; Occupancy: 8
; WaveLimiterHint : 0
; COMPUTE_PGM_RSRC2:SCRATCH_EN: 0
; COMPUTE_PGM_RSRC2:USER_SGPR: 6
; COMPUTE_PGM_RSRC2:TRAP_HANDLER: 0
; COMPUTE_PGM_RSRC2:TGID_X_EN: 1
; COMPUTE_PGM_RSRC2:TGID_Y_EN: 0
; COMPUTE_PGM_RSRC2:TGID_Z_EN: 0
; COMPUTE_PGM_RSRC2:TIDIG_COMP_CNT: 0
; COMPUTE_PGM_RSRC3_GFX90A:ACCUM_OFFSET: 0
; COMPUTE_PGM_RSRC3_GFX90A:TG_SPLIT: 0
	.section	.text._ZN7rocprim17ROCPRIM_400000_NS6detail17trampoline_kernelINS0_14default_configENS1_25transform_config_selectorIlLb0EEEZNS1_14transform_implILb0ES3_S5_NS0_18transform_iteratorINS0_17counting_iteratorImlEEZNS1_24adjacent_difference_implIS3_Lb1ELb0EPlSB_ZN2at6native12_GLOBAL__N_124unique_dim_cuda_templateIjEESt5tupleIJNSC_6TensorESH_SH_EERKSH_lbbbEUlllE1_EE10hipError_tPvRmT2_T3_mT4_P12ihipStream_tbEUlmE_lEESB_NS0_8identityIvEEEESM_SP_SQ_mSR_ST_bEUlT_E_NS1_11comp_targetILNS1_3genE5ELNS1_11target_archE942ELNS1_3gpuE9ELNS1_3repE0EEENS1_30default_config_static_selectorELNS0_4arch9wavefront6targetE1EEEvT1_,"axG",@progbits,_ZN7rocprim17ROCPRIM_400000_NS6detail17trampoline_kernelINS0_14default_configENS1_25transform_config_selectorIlLb0EEEZNS1_14transform_implILb0ES3_S5_NS0_18transform_iteratorINS0_17counting_iteratorImlEEZNS1_24adjacent_difference_implIS3_Lb1ELb0EPlSB_ZN2at6native12_GLOBAL__N_124unique_dim_cuda_templateIjEESt5tupleIJNSC_6TensorESH_SH_EERKSH_lbbbEUlllE1_EE10hipError_tPvRmT2_T3_mT4_P12ihipStream_tbEUlmE_lEESB_NS0_8identityIvEEEESM_SP_SQ_mSR_ST_bEUlT_E_NS1_11comp_targetILNS1_3genE5ELNS1_11target_archE942ELNS1_3gpuE9ELNS1_3repE0EEENS1_30default_config_static_selectorELNS0_4arch9wavefront6targetE1EEEvT1_,comdat
	.globl	_ZN7rocprim17ROCPRIM_400000_NS6detail17trampoline_kernelINS0_14default_configENS1_25transform_config_selectorIlLb0EEEZNS1_14transform_implILb0ES3_S5_NS0_18transform_iteratorINS0_17counting_iteratorImlEEZNS1_24adjacent_difference_implIS3_Lb1ELb0EPlSB_ZN2at6native12_GLOBAL__N_124unique_dim_cuda_templateIjEESt5tupleIJNSC_6TensorESH_SH_EERKSH_lbbbEUlllE1_EE10hipError_tPvRmT2_T3_mT4_P12ihipStream_tbEUlmE_lEESB_NS0_8identityIvEEEESM_SP_SQ_mSR_ST_bEUlT_E_NS1_11comp_targetILNS1_3genE5ELNS1_11target_archE942ELNS1_3gpuE9ELNS1_3repE0EEENS1_30default_config_static_selectorELNS0_4arch9wavefront6targetE1EEEvT1_ ; -- Begin function _ZN7rocprim17ROCPRIM_400000_NS6detail17trampoline_kernelINS0_14default_configENS1_25transform_config_selectorIlLb0EEEZNS1_14transform_implILb0ES3_S5_NS0_18transform_iteratorINS0_17counting_iteratorImlEEZNS1_24adjacent_difference_implIS3_Lb1ELb0EPlSB_ZN2at6native12_GLOBAL__N_124unique_dim_cuda_templateIjEESt5tupleIJNSC_6TensorESH_SH_EERKSH_lbbbEUlllE1_EE10hipError_tPvRmT2_T3_mT4_P12ihipStream_tbEUlmE_lEESB_NS0_8identityIvEEEESM_SP_SQ_mSR_ST_bEUlT_E_NS1_11comp_targetILNS1_3genE5ELNS1_11target_archE942ELNS1_3gpuE9ELNS1_3repE0EEENS1_30default_config_static_selectorELNS0_4arch9wavefront6targetE1EEEvT1_
	.p2align	8
	.type	_ZN7rocprim17ROCPRIM_400000_NS6detail17trampoline_kernelINS0_14default_configENS1_25transform_config_selectorIlLb0EEEZNS1_14transform_implILb0ES3_S5_NS0_18transform_iteratorINS0_17counting_iteratorImlEEZNS1_24adjacent_difference_implIS3_Lb1ELb0EPlSB_ZN2at6native12_GLOBAL__N_124unique_dim_cuda_templateIjEESt5tupleIJNSC_6TensorESH_SH_EERKSH_lbbbEUlllE1_EE10hipError_tPvRmT2_T3_mT4_P12ihipStream_tbEUlmE_lEESB_NS0_8identityIvEEEESM_SP_SQ_mSR_ST_bEUlT_E_NS1_11comp_targetILNS1_3genE5ELNS1_11target_archE942ELNS1_3gpuE9ELNS1_3repE0EEENS1_30default_config_static_selectorELNS0_4arch9wavefront6targetE1EEEvT1_,@function
_ZN7rocprim17ROCPRIM_400000_NS6detail17trampoline_kernelINS0_14default_configENS1_25transform_config_selectorIlLb0EEEZNS1_14transform_implILb0ES3_S5_NS0_18transform_iteratorINS0_17counting_iteratorImlEEZNS1_24adjacent_difference_implIS3_Lb1ELb0EPlSB_ZN2at6native12_GLOBAL__N_124unique_dim_cuda_templateIjEESt5tupleIJNSC_6TensorESH_SH_EERKSH_lbbbEUlllE1_EE10hipError_tPvRmT2_T3_mT4_P12ihipStream_tbEUlmE_lEESB_NS0_8identityIvEEEESM_SP_SQ_mSR_ST_bEUlT_E_NS1_11comp_targetILNS1_3genE5ELNS1_11target_archE942ELNS1_3gpuE9ELNS1_3repE0EEENS1_30default_config_static_selectorELNS0_4arch9wavefront6targetE1EEEvT1_: ; @_ZN7rocprim17ROCPRIM_400000_NS6detail17trampoline_kernelINS0_14default_configENS1_25transform_config_selectorIlLb0EEEZNS1_14transform_implILb0ES3_S5_NS0_18transform_iteratorINS0_17counting_iteratorImlEEZNS1_24adjacent_difference_implIS3_Lb1ELb0EPlSB_ZN2at6native12_GLOBAL__N_124unique_dim_cuda_templateIjEESt5tupleIJNSC_6TensorESH_SH_EERKSH_lbbbEUlllE1_EE10hipError_tPvRmT2_T3_mT4_P12ihipStream_tbEUlmE_lEESB_NS0_8identityIvEEEESM_SP_SQ_mSR_ST_bEUlT_E_NS1_11comp_targetILNS1_3genE5ELNS1_11target_archE942ELNS1_3gpuE9ELNS1_3repE0EEENS1_30default_config_static_selectorELNS0_4arch9wavefront6targetE1EEEvT1_
; %bb.0:
	.section	.rodata,"a",@progbits
	.p2align	6, 0x0
	.amdhsa_kernel _ZN7rocprim17ROCPRIM_400000_NS6detail17trampoline_kernelINS0_14default_configENS1_25transform_config_selectorIlLb0EEEZNS1_14transform_implILb0ES3_S5_NS0_18transform_iteratorINS0_17counting_iteratorImlEEZNS1_24adjacent_difference_implIS3_Lb1ELb0EPlSB_ZN2at6native12_GLOBAL__N_124unique_dim_cuda_templateIjEESt5tupleIJNSC_6TensorESH_SH_EERKSH_lbbbEUlllE1_EE10hipError_tPvRmT2_T3_mT4_P12ihipStream_tbEUlmE_lEESB_NS0_8identityIvEEEESM_SP_SQ_mSR_ST_bEUlT_E_NS1_11comp_targetILNS1_3genE5ELNS1_11target_archE942ELNS1_3gpuE9ELNS1_3repE0EEENS1_30default_config_static_selectorELNS0_4arch9wavefront6targetE1EEEvT1_
		.amdhsa_group_segment_fixed_size 0
		.amdhsa_private_segment_fixed_size 0
		.amdhsa_kernarg_size 56
		.amdhsa_user_sgpr_count 6
		.amdhsa_user_sgpr_private_segment_buffer 1
		.amdhsa_user_sgpr_dispatch_ptr 0
		.amdhsa_user_sgpr_queue_ptr 0
		.amdhsa_user_sgpr_kernarg_segment_ptr 1
		.amdhsa_user_sgpr_dispatch_id 0
		.amdhsa_user_sgpr_flat_scratch_init 0
		.amdhsa_user_sgpr_kernarg_preload_length 0
		.amdhsa_user_sgpr_kernarg_preload_offset 0
		.amdhsa_user_sgpr_private_segment_size 0
		.amdhsa_uses_dynamic_stack 0
		.amdhsa_system_sgpr_private_segment_wavefront_offset 0
		.amdhsa_system_sgpr_workgroup_id_x 1
		.amdhsa_system_sgpr_workgroup_id_y 0
		.amdhsa_system_sgpr_workgroup_id_z 0
		.amdhsa_system_sgpr_workgroup_info 0
		.amdhsa_system_vgpr_workitem_id 0
		.amdhsa_next_free_vgpr 1
		.amdhsa_next_free_sgpr 0
		.amdhsa_accum_offset 4
		.amdhsa_reserve_vcc 0
		.amdhsa_reserve_flat_scratch 0
		.amdhsa_float_round_mode_32 0
		.amdhsa_float_round_mode_16_64 0
		.amdhsa_float_denorm_mode_32 3
		.amdhsa_float_denorm_mode_16_64 3
		.amdhsa_dx10_clamp 1
		.amdhsa_ieee_mode 1
		.amdhsa_fp16_overflow 0
		.amdhsa_tg_split 0
		.amdhsa_exception_fp_ieee_invalid_op 0
		.amdhsa_exception_fp_denorm_src 0
		.amdhsa_exception_fp_ieee_div_zero 0
		.amdhsa_exception_fp_ieee_overflow 0
		.amdhsa_exception_fp_ieee_underflow 0
		.amdhsa_exception_fp_ieee_inexact 0
		.amdhsa_exception_int_div_zero 0
	.end_amdhsa_kernel
	.section	.text._ZN7rocprim17ROCPRIM_400000_NS6detail17trampoline_kernelINS0_14default_configENS1_25transform_config_selectorIlLb0EEEZNS1_14transform_implILb0ES3_S5_NS0_18transform_iteratorINS0_17counting_iteratorImlEEZNS1_24adjacent_difference_implIS3_Lb1ELb0EPlSB_ZN2at6native12_GLOBAL__N_124unique_dim_cuda_templateIjEESt5tupleIJNSC_6TensorESH_SH_EERKSH_lbbbEUlllE1_EE10hipError_tPvRmT2_T3_mT4_P12ihipStream_tbEUlmE_lEESB_NS0_8identityIvEEEESM_SP_SQ_mSR_ST_bEUlT_E_NS1_11comp_targetILNS1_3genE5ELNS1_11target_archE942ELNS1_3gpuE9ELNS1_3repE0EEENS1_30default_config_static_selectorELNS0_4arch9wavefront6targetE1EEEvT1_,"axG",@progbits,_ZN7rocprim17ROCPRIM_400000_NS6detail17trampoline_kernelINS0_14default_configENS1_25transform_config_selectorIlLb0EEEZNS1_14transform_implILb0ES3_S5_NS0_18transform_iteratorINS0_17counting_iteratorImlEEZNS1_24adjacent_difference_implIS3_Lb1ELb0EPlSB_ZN2at6native12_GLOBAL__N_124unique_dim_cuda_templateIjEESt5tupleIJNSC_6TensorESH_SH_EERKSH_lbbbEUlllE1_EE10hipError_tPvRmT2_T3_mT4_P12ihipStream_tbEUlmE_lEESB_NS0_8identityIvEEEESM_SP_SQ_mSR_ST_bEUlT_E_NS1_11comp_targetILNS1_3genE5ELNS1_11target_archE942ELNS1_3gpuE9ELNS1_3repE0EEENS1_30default_config_static_selectorELNS0_4arch9wavefront6targetE1EEEvT1_,comdat
.Lfunc_end1523:
	.size	_ZN7rocprim17ROCPRIM_400000_NS6detail17trampoline_kernelINS0_14default_configENS1_25transform_config_selectorIlLb0EEEZNS1_14transform_implILb0ES3_S5_NS0_18transform_iteratorINS0_17counting_iteratorImlEEZNS1_24adjacent_difference_implIS3_Lb1ELb0EPlSB_ZN2at6native12_GLOBAL__N_124unique_dim_cuda_templateIjEESt5tupleIJNSC_6TensorESH_SH_EERKSH_lbbbEUlllE1_EE10hipError_tPvRmT2_T3_mT4_P12ihipStream_tbEUlmE_lEESB_NS0_8identityIvEEEESM_SP_SQ_mSR_ST_bEUlT_E_NS1_11comp_targetILNS1_3genE5ELNS1_11target_archE942ELNS1_3gpuE9ELNS1_3repE0EEENS1_30default_config_static_selectorELNS0_4arch9wavefront6targetE1EEEvT1_, .Lfunc_end1523-_ZN7rocprim17ROCPRIM_400000_NS6detail17trampoline_kernelINS0_14default_configENS1_25transform_config_selectorIlLb0EEEZNS1_14transform_implILb0ES3_S5_NS0_18transform_iteratorINS0_17counting_iteratorImlEEZNS1_24adjacent_difference_implIS3_Lb1ELb0EPlSB_ZN2at6native12_GLOBAL__N_124unique_dim_cuda_templateIjEESt5tupleIJNSC_6TensorESH_SH_EERKSH_lbbbEUlllE1_EE10hipError_tPvRmT2_T3_mT4_P12ihipStream_tbEUlmE_lEESB_NS0_8identityIvEEEESM_SP_SQ_mSR_ST_bEUlT_E_NS1_11comp_targetILNS1_3genE5ELNS1_11target_archE942ELNS1_3gpuE9ELNS1_3repE0EEENS1_30default_config_static_selectorELNS0_4arch9wavefront6targetE1EEEvT1_
                                        ; -- End function
	.section	.AMDGPU.csdata,"",@progbits
; Kernel info:
; codeLenInByte = 0
; NumSgprs: 4
; NumVgprs: 0
; NumAgprs: 0
; TotalNumVgprs: 0
; ScratchSize: 0
; MemoryBound: 0
; FloatMode: 240
; IeeeMode: 1
; LDSByteSize: 0 bytes/workgroup (compile time only)
; SGPRBlocks: 0
; VGPRBlocks: 0
; NumSGPRsForWavesPerEU: 4
; NumVGPRsForWavesPerEU: 1
; AccumOffset: 4
; Occupancy: 8
; WaveLimiterHint : 0
; COMPUTE_PGM_RSRC2:SCRATCH_EN: 0
; COMPUTE_PGM_RSRC2:USER_SGPR: 6
; COMPUTE_PGM_RSRC2:TRAP_HANDLER: 0
; COMPUTE_PGM_RSRC2:TGID_X_EN: 1
; COMPUTE_PGM_RSRC2:TGID_Y_EN: 0
; COMPUTE_PGM_RSRC2:TGID_Z_EN: 0
; COMPUTE_PGM_RSRC2:TIDIG_COMP_CNT: 0
; COMPUTE_PGM_RSRC3_GFX90A:ACCUM_OFFSET: 0
; COMPUTE_PGM_RSRC3_GFX90A:TG_SPLIT: 0
	.section	.text._ZN7rocprim17ROCPRIM_400000_NS6detail17trampoline_kernelINS0_14default_configENS1_25transform_config_selectorIlLb0EEEZNS1_14transform_implILb0ES3_S5_NS0_18transform_iteratorINS0_17counting_iteratorImlEEZNS1_24adjacent_difference_implIS3_Lb1ELb0EPlSB_ZN2at6native12_GLOBAL__N_124unique_dim_cuda_templateIjEESt5tupleIJNSC_6TensorESH_SH_EERKSH_lbbbEUlllE1_EE10hipError_tPvRmT2_T3_mT4_P12ihipStream_tbEUlmE_lEESB_NS0_8identityIvEEEESM_SP_SQ_mSR_ST_bEUlT_E_NS1_11comp_targetILNS1_3genE4ELNS1_11target_archE910ELNS1_3gpuE8ELNS1_3repE0EEENS1_30default_config_static_selectorELNS0_4arch9wavefront6targetE1EEEvT1_,"axG",@progbits,_ZN7rocprim17ROCPRIM_400000_NS6detail17trampoline_kernelINS0_14default_configENS1_25transform_config_selectorIlLb0EEEZNS1_14transform_implILb0ES3_S5_NS0_18transform_iteratorINS0_17counting_iteratorImlEEZNS1_24adjacent_difference_implIS3_Lb1ELb0EPlSB_ZN2at6native12_GLOBAL__N_124unique_dim_cuda_templateIjEESt5tupleIJNSC_6TensorESH_SH_EERKSH_lbbbEUlllE1_EE10hipError_tPvRmT2_T3_mT4_P12ihipStream_tbEUlmE_lEESB_NS0_8identityIvEEEESM_SP_SQ_mSR_ST_bEUlT_E_NS1_11comp_targetILNS1_3genE4ELNS1_11target_archE910ELNS1_3gpuE8ELNS1_3repE0EEENS1_30default_config_static_selectorELNS0_4arch9wavefront6targetE1EEEvT1_,comdat
	.globl	_ZN7rocprim17ROCPRIM_400000_NS6detail17trampoline_kernelINS0_14default_configENS1_25transform_config_selectorIlLb0EEEZNS1_14transform_implILb0ES3_S5_NS0_18transform_iteratorINS0_17counting_iteratorImlEEZNS1_24adjacent_difference_implIS3_Lb1ELb0EPlSB_ZN2at6native12_GLOBAL__N_124unique_dim_cuda_templateIjEESt5tupleIJNSC_6TensorESH_SH_EERKSH_lbbbEUlllE1_EE10hipError_tPvRmT2_T3_mT4_P12ihipStream_tbEUlmE_lEESB_NS0_8identityIvEEEESM_SP_SQ_mSR_ST_bEUlT_E_NS1_11comp_targetILNS1_3genE4ELNS1_11target_archE910ELNS1_3gpuE8ELNS1_3repE0EEENS1_30default_config_static_selectorELNS0_4arch9wavefront6targetE1EEEvT1_ ; -- Begin function _ZN7rocprim17ROCPRIM_400000_NS6detail17trampoline_kernelINS0_14default_configENS1_25transform_config_selectorIlLb0EEEZNS1_14transform_implILb0ES3_S5_NS0_18transform_iteratorINS0_17counting_iteratorImlEEZNS1_24adjacent_difference_implIS3_Lb1ELb0EPlSB_ZN2at6native12_GLOBAL__N_124unique_dim_cuda_templateIjEESt5tupleIJNSC_6TensorESH_SH_EERKSH_lbbbEUlllE1_EE10hipError_tPvRmT2_T3_mT4_P12ihipStream_tbEUlmE_lEESB_NS0_8identityIvEEEESM_SP_SQ_mSR_ST_bEUlT_E_NS1_11comp_targetILNS1_3genE4ELNS1_11target_archE910ELNS1_3gpuE8ELNS1_3repE0EEENS1_30default_config_static_selectorELNS0_4arch9wavefront6targetE1EEEvT1_
	.p2align	8
	.type	_ZN7rocprim17ROCPRIM_400000_NS6detail17trampoline_kernelINS0_14default_configENS1_25transform_config_selectorIlLb0EEEZNS1_14transform_implILb0ES3_S5_NS0_18transform_iteratorINS0_17counting_iteratorImlEEZNS1_24adjacent_difference_implIS3_Lb1ELb0EPlSB_ZN2at6native12_GLOBAL__N_124unique_dim_cuda_templateIjEESt5tupleIJNSC_6TensorESH_SH_EERKSH_lbbbEUlllE1_EE10hipError_tPvRmT2_T3_mT4_P12ihipStream_tbEUlmE_lEESB_NS0_8identityIvEEEESM_SP_SQ_mSR_ST_bEUlT_E_NS1_11comp_targetILNS1_3genE4ELNS1_11target_archE910ELNS1_3gpuE8ELNS1_3repE0EEENS1_30default_config_static_selectorELNS0_4arch9wavefront6targetE1EEEvT1_,@function
_ZN7rocprim17ROCPRIM_400000_NS6detail17trampoline_kernelINS0_14default_configENS1_25transform_config_selectorIlLb0EEEZNS1_14transform_implILb0ES3_S5_NS0_18transform_iteratorINS0_17counting_iteratorImlEEZNS1_24adjacent_difference_implIS3_Lb1ELb0EPlSB_ZN2at6native12_GLOBAL__N_124unique_dim_cuda_templateIjEESt5tupleIJNSC_6TensorESH_SH_EERKSH_lbbbEUlllE1_EE10hipError_tPvRmT2_T3_mT4_P12ihipStream_tbEUlmE_lEESB_NS0_8identityIvEEEESM_SP_SQ_mSR_ST_bEUlT_E_NS1_11comp_targetILNS1_3genE4ELNS1_11target_archE910ELNS1_3gpuE8ELNS1_3repE0EEENS1_30default_config_static_selectorELNS0_4arch9wavefront6targetE1EEEvT1_: ; @_ZN7rocprim17ROCPRIM_400000_NS6detail17trampoline_kernelINS0_14default_configENS1_25transform_config_selectorIlLb0EEEZNS1_14transform_implILb0ES3_S5_NS0_18transform_iteratorINS0_17counting_iteratorImlEEZNS1_24adjacent_difference_implIS3_Lb1ELb0EPlSB_ZN2at6native12_GLOBAL__N_124unique_dim_cuda_templateIjEESt5tupleIJNSC_6TensorESH_SH_EERKSH_lbbbEUlllE1_EE10hipError_tPvRmT2_T3_mT4_P12ihipStream_tbEUlmE_lEESB_NS0_8identityIvEEEESM_SP_SQ_mSR_ST_bEUlT_E_NS1_11comp_targetILNS1_3genE4ELNS1_11target_archE910ELNS1_3gpuE8ELNS1_3repE0EEENS1_30default_config_static_selectorELNS0_4arch9wavefront6targetE1EEEvT1_
; %bb.0:
	s_load_dwordx4 s[0:3], s[4:5], 0x18
	s_load_dwordx2 s[14:15], s[4:5], 0x28
	s_load_dwordx4 s[8:11], s[4:5], 0x0
	s_load_dword s12, s[4:5], 0x10
	s_waitcnt lgkmcnt(0)
	s_load_dword s3, s[4:5], 0x38
                                        ; kill: killed $sgpr4_sgpr5
	s_lshl_b64 s[4:5], s[0:1], 3
	s_add_u32 s14, s14, s4
	s_addc_u32 s15, s15, s5
	s_lshl_b32 s4, s6, 9
	s_waitcnt lgkmcnt(0)
	s_add_i32 s3, s3, -1
	s_add_u32 s7, s8, s4
	s_addc_u32 s8, s9, 0
	s_add_u32 s16, s7, s0
	s_addc_u32 s17, s8, s1
	s_mov_b32 s5, 0
	s_cmp_lg_u32 s6, s3
	v_lshlrev_b32_e32 v1, 3, v0
	s_cbranch_scc0 .LBB1524_2
; %bb.1:
	v_mov_b32_e32 v2, s17
	v_add_co_u32_e32 v3, vcc, s16, v0
	v_addc_co_u32_e32 v5, vcc, 0, v2, vcc
	v_mad_u64_u32 v[2:3], s[0:1], v3, s12, 0
	v_mov_b32_e32 v4, v3
	v_mad_u64_u32 v[4:5], s[0:1], v5, s12, v[4:5]
	v_mov_b32_e32 v3, v4
	v_lshlrev_b64 v[2:3], 3, v[2:3]
	s_mov_b32 s13, s5
	v_mov_b32_e32 v4, s11
	v_add_co_u32_e32 v2, vcc, s10, v2
	v_addc_co_u32_e32 v3, vcc, v4, v3, vcc
	s_lshl_b64 s[0:1], s[12:13], 11
	global_load_dwordx2 v[8:9], v[2:3], off
	v_mov_b32_e32 v4, s1
	v_add_co_u32_e32 v2, vcc, s0, v2
	v_addc_co_u32_e32 v3, vcc, v3, v4, vcc
	global_load_dwordx2 v[4:5], v[2:3], off
	s_lshl_b64 s[6:7], s[4:5], 3
	s_add_u32 s6, s14, s6
	s_addc_u32 s7, s15, s7
	v_mov_b32_e32 v2, s7
	v_add_co_u32_e32 v6, vcc, s6, v1
	v_addc_co_u32_e32 v7, vcc, 0, v2, vcc
	s_waitcnt vmcnt(1)
	global_store_dwordx2 v1, v[8:9], s[6:7]
	s_mov_b64 s[6:7], -1
	s_cbranch_execz .LBB1524_3
	s_branch .LBB1524_12
.LBB1524_2:
	s_mov_b64 s[6:7], 0
                                        ; implicit-def: $vgpr4_vgpr5
                                        ; implicit-def: $vgpr6_vgpr7
.LBB1524_3:
	s_sub_i32 s8, s2, s4
	v_cmp_gt_u32_e32 vcc, s8, v0
                                        ; implicit-def: $vgpr2_vgpr3_vgpr4_vgpr5
	s_and_saveexec_b64 s[2:3], vcc
	s_cbranch_execz .LBB1524_5
; %bb.4:
	v_mov_b32_e32 v2, s17
	v_add_co_u32_e64 v3, s[0:1], s16, v0
	s_waitcnt vmcnt(1)
	v_addc_co_u32_e64 v5, s[0:1], 0, v2, s[0:1]
	v_mad_u64_u32 v[2:3], s[0:1], v3, s12, 0
	v_mov_b32_e32 v4, v3
	v_mad_u64_u32 v[4:5], s[0:1], v5, s12, v[4:5]
	v_mov_b32_e32 v3, v4
	v_lshlrev_b64 v[2:3], 3, v[2:3]
	v_mov_b32_e32 v4, s11
	v_add_co_u32_e64 v2, s[0:1], s10, v2
	v_addc_co_u32_e64 v3, s[0:1], v4, v3, s[0:1]
	global_load_dwordx2 v[2:3], v[2:3], off
.LBB1524_5:
	s_or_b64 exec, exec, s[2:3]
	v_or_b32_e32 v0, 0x100, v0
	v_cmp_gt_u32_e64 s[0:1], s8, v0
	s_and_saveexec_b64 s[8:9], s[0:1]
	s_cbranch_execz .LBB1524_7
; %bb.6:
	s_waitcnt vmcnt(1)
	v_mov_b32_e32 v4, s17
	v_add_co_u32_e64 v0, s[2:3], s16, v0
	v_addc_co_u32_e64 v6, s[2:3], 0, v4, s[2:3]
	v_mad_u64_u32 v[4:5], s[2:3], v0, s12, 0
	v_mov_b32_e32 v0, v5
	v_mad_u64_u32 v[6:7], s[2:3], v6, s12, v[0:1]
	v_mov_b32_e32 v5, v6
	v_lshlrev_b64 v[4:5], 3, v[4:5]
	v_mov_b32_e32 v0, s11
	v_add_co_u32_e64 v4, s[2:3], s10, v4
	v_addc_co_u32_e64 v5, s[2:3], v0, v5, s[2:3]
	global_load_dwordx2 v[4:5], v[4:5], off
.LBB1524_7:
	s_or_b64 exec, exec, s[8:9]
	s_lshl_b64 s[2:3], s[4:5], 3
	s_add_u32 s2, s14, s2
	s_addc_u32 s3, s15, s3
	v_mov_b32_e32 v0, s3
	v_add_co_u32_e64 v6, s[2:3], s2, v1
	v_addc_co_u32_e64 v7, s[2:3], 0, v0, s[2:3]
	s_and_saveexec_b64 s[2:3], vcc
	s_cbranch_execz .LBB1524_9
; %bb.8:
	s_waitcnt vmcnt(0)
	global_store_dwordx2 v[6:7], v[2:3], off
.LBB1524_9:
	s_or_b64 exec, exec, s[2:3]
	s_and_saveexec_b64 s[2:3], s[0:1]
; %bb.10:
	s_or_b64 s[6:7], s[6:7], exec
; %bb.11:
	s_or_b64 exec, exec, s[2:3]
.LBB1524_12:
	s_and_saveexec_b64 s[0:1], s[6:7]
	s_cbranch_execnz .LBB1524_14
; %bb.13:
	s_endpgm
.LBB1524_14:
	s_waitcnt vmcnt(0)
	global_store_dwordx2 v[6:7], v[4:5], off offset:2048
	s_endpgm
	.section	.rodata,"a",@progbits
	.p2align	6, 0x0
	.amdhsa_kernel _ZN7rocprim17ROCPRIM_400000_NS6detail17trampoline_kernelINS0_14default_configENS1_25transform_config_selectorIlLb0EEEZNS1_14transform_implILb0ES3_S5_NS0_18transform_iteratorINS0_17counting_iteratorImlEEZNS1_24adjacent_difference_implIS3_Lb1ELb0EPlSB_ZN2at6native12_GLOBAL__N_124unique_dim_cuda_templateIjEESt5tupleIJNSC_6TensorESH_SH_EERKSH_lbbbEUlllE1_EE10hipError_tPvRmT2_T3_mT4_P12ihipStream_tbEUlmE_lEESB_NS0_8identityIvEEEESM_SP_SQ_mSR_ST_bEUlT_E_NS1_11comp_targetILNS1_3genE4ELNS1_11target_archE910ELNS1_3gpuE8ELNS1_3repE0EEENS1_30default_config_static_selectorELNS0_4arch9wavefront6targetE1EEEvT1_
		.amdhsa_group_segment_fixed_size 0
		.amdhsa_private_segment_fixed_size 0
		.amdhsa_kernarg_size 312
		.amdhsa_user_sgpr_count 6
		.amdhsa_user_sgpr_private_segment_buffer 1
		.amdhsa_user_sgpr_dispatch_ptr 0
		.amdhsa_user_sgpr_queue_ptr 0
		.amdhsa_user_sgpr_kernarg_segment_ptr 1
		.amdhsa_user_sgpr_dispatch_id 0
		.amdhsa_user_sgpr_flat_scratch_init 0
		.amdhsa_user_sgpr_kernarg_preload_length 0
		.amdhsa_user_sgpr_kernarg_preload_offset 0
		.amdhsa_user_sgpr_private_segment_size 0
		.amdhsa_uses_dynamic_stack 0
		.amdhsa_system_sgpr_private_segment_wavefront_offset 0
		.amdhsa_system_sgpr_workgroup_id_x 1
		.amdhsa_system_sgpr_workgroup_id_y 0
		.amdhsa_system_sgpr_workgroup_id_z 0
		.amdhsa_system_sgpr_workgroup_info 0
		.amdhsa_system_vgpr_workitem_id 0
		.amdhsa_next_free_vgpr 10
		.amdhsa_next_free_sgpr 18
		.amdhsa_accum_offset 12
		.amdhsa_reserve_vcc 1
		.amdhsa_reserve_flat_scratch 0
		.amdhsa_float_round_mode_32 0
		.amdhsa_float_round_mode_16_64 0
		.amdhsa_float_denorm_mode_32 3
		.amdhsa_float_denorm_mode_16_64 3
		.amdhsa_dx10_clamp 1
		.amdhsa_ieee_mode 1
		.amdhsa_fp16_overflow 0
		.amdhsa_tg_split 0
		.amdhsa_exception_fp_ieee_invalid_op 0
		.amdhsa_exception_fp_denorm_src 0
		.amdhsa_exception_fp_ieee_div_zero 0
		.amdhsa_exception_fp_ieee_overflow 0
		.amdhsa_exception_fp_ieee_underflow 0
		.amdhsa_exception_fp_ieee_inexact 0
		.amdhsa_exception_int_div_zero 0
	.end_amdhsa_kernel
	.section	.text._ZN7rocprim17ROCPRIM_400000_NS6detail17trampoline_kernelINS0_14default_configENS1_25transform_config_selectorIlLb0EEEZNS1_14transform_implILb0ES3_S5_NS0_18transform_iteratorINS0_17counting_iteratorImlEEZNS1_24adjacent_difference_implIS3_Lb1ELb0EPlSB_ZN2at6native12_GLOBAL__N_124unique_dim_cuda_templateIjEESt5tupleIJNSC_6TensorESH_SH_EERKSH_lbbbEUlllE1_EE10hipError_tPvRmT2_T3_mT4_P12ihipStream_tbEUlmE_lEESB_NS0_8identityIvEEEESM_SP_SQ_mSR_ST_bEUlT_E_NS1_11comp_targetILNS1_3genE4ELNS1_11target_archE910ELNS1_3gpuE8ELNS1_3repE0EEENS1_30default_config_static_selectorELNS0_4arch9wavefront6targetE1EEEvT1_,"axG",@progbits,_ZN7rocprim17ROCPRIM_400000_NS6detail17trampoline_kernelINS0_14default_configENS1_25transform_config_selectorIlLb0EEEZNS1_14transform_implILb0ES3_S5_NS0_18transform_iteratorINS0_17counting_iteratorImlEEZNS1_24adjacent_difference_implIS3_Lb1ELb0EPlSB_ZN2at6native12_GLOBAL__N_124unique_dim_cuda_templateIjEESt5tupleIJNSC_6TensorESH_SH_EERKSH_lbbbEUlllE1_EE10hipError_tPvRmT2_T3_mT4_P12ihipStream_tbEUlmE_lEESB_NS0_8identityIvEEEESM_SP_SQ_mSR_ST_bEUlT_E_NS1_11comp_targetILNS1_3genE4ELNS1_11target_archE910ELNS1_3gpuE8ELNS1_3repE0EEENS1_30default_config_static_selectorELNS0_4arch9wavefront6targetE1EEEvT1_,comdat
.Lfunc_end1524:
	.size	_ZN7rocprim17ROCPRIM_400000_NS6detail17trampoline_kernelINS0_14default_configENS1_25transform_config_selectorIlLb0EEEZNS1_14transform_implILb0ES3_S5_NS0_18transform_iteratorINS0_17counting_iteratorImlEEZNS1_24adjacent_difference_implIS3_Lb1ELb0EPlSB_ZN2at6native12_GLOBAL__N_124unique_dim_cuda_templateIjEESt5tupleIJNSC_6TensorESH_SH_EERKSH_lbbbEUlllE1_EE10hipError_tPvRmT2_T3_mT4_P12ihipStream_tbEUlmE_lEESB_NS0_8identityIvEEEESM_SP_SQ_mSR_ST_bEUlT_E_NS1_11comp_targetILNS1_3genE4ELNS1_11target_archE910ELNS1_3gpuE8ELNS1_3repE0EEENS1_30default_config_static_selectorELNS0_4arch9wavefront6targetE1EEEvT1_, .Lfunc_end1524-_ZN7rocprim17ROCPRIM_400000_NS6detail17trampoline_kernelINS0_14default_configENS1_25transform_config_selectorIlLb0EEEZNS1_14transform_implILb0ES3_S5_NS0_18transform_iteratorINS0_17counting_iteratorImlEEZNS1_24adjacent_difference_implIS3_Lb1ELb0EPlSB_ZN2at6native12_GLOBAL__N_124unique_dim_cuda_templateIjEESt5tupleIJNSC_6TensorESH_SH_EERKSH_lbbbEUlllE1_EE10hipError_tPvRmT2_T3_mT4_P12ihipStream_tbEUlmE_lEESB_NS0_8identityIvEEEESM_SP_SQ_mSR_ST_bEUlT_E_NS1_11comp_targetILNS1_3genE4ELNS1_11target_archE910ELNS1_3gpuE8ELNS1_3repE0EEENS1_30default_config_static_selectorELNS0_4arch9wavefront6targetE1EEEvT1_
                                        ; -- End function
	.section	.AMDGPU.csdata,"",@progbits
; Kernel info:
; codeLenInByte = 556
; NumSgprs: 22
; NumVgprs: 10
; NumAgprs: 0
; TotalNumVgprs: 10
; ScratchSize: 0
; MemoryBound: 0
; FloatMode: 240
; IeeeMode: 1
; LDSByteSize: 0 bytes/workgroup (compile time only)
; SGPRBlocks: 2
; VGPRBlocks: 1
; NumSGPRsForWavesPerEU: 22
; NumVGPRsForWavesPerEU: 10
; AccumOffset: 12
; Occupancy: 8
; WaveLimiterHint : 0
; COMPUTE_PGM_RSRC2:SCRATCH_EN: 0
; COMPUTE_PGM_RSRC2:USER_SGPR: 6
; COMPUTE_PGM_RSRC2:TRAP_HANDLER: 0
; COMPUTE_PGM_RSRC2:TGID_X_EN: 1
; COMPUTE_PGM_RSRC2:TGID_Y_EN: 0
; COMPUTE_PGM_RSRC2:TGID_Z_EN: 0
; COMPUTE_PGM_RSRC2:TIDIG_COMP_CNT: 0
; COMPUTE_PGM_RSRC3_GFX90A:ACCUM_OFFSET: 2
; COMPUTE_PGM_RSRC3_GFX90A:TG_SPLIT: 0
	.section	.text._ZN7rocprim17ROCPRIM_400000_NS6detail17trampoline_kernelINS0_14default_configENS1_25transform_config_selectorIlLb0EEEZNS1_14transform_implILb0ES3_S5_NS0_18transform_iteratorINS0_17counting_iteratorImlEEZNS1_24adjacent_difference_implIS3_Lb1ELb0EPlSB_ZN2at6native12_GLOBAL__N_124unique_dim_cuda_templateIjEESt5tupleIJNSC_6TensorESH_SH_EERKSH_lbbbEUlllE1_EE10hipError_tPvRmT2_T3_mT4_P12ihipStream_tbEUlmE_lEESB_NS0_8identityIvEEEESM_SP_SQ_mSR_ST_bEUlT_E_NS1_11comp_targetILNS1_3genE3ELNS1_11target_archE908ELNS1_3gpuE7ELNS1_3repE0EEENS1_30default_config_static_selectorELNS0_4arch9wavefront6targetE1EEEvT1_,"axG",@progbits,_ZN7rocprim17ROCPRIM_400000_NS6detail17trampoline_kernelINS0_14default_configENS1_25transform_config_selectorIlLb0EEEZNS1_14transform_implILb0ES3_S5_NS0_18transform_iteratorINS0_17counting_iteratorImlEEZNS1_24adjacent_difference_implIS3_Lb1ELb0EPlSB_ZN2at6native12_GLOBAL__N_124unique_dim_cuda_templateIjEESt5tupleIJNSC_6TensorESH_SH_EERKSH_lbbbEUlllE1_EE10hipError_tPvRmT2_T3_mT4_P12ihipStream_tbEUlmE_lEESB_NS0_8identityIvEEEESM_SP_SQ_mSR_ST_bEUlT_E_NS1_11comp_targetILNS1_3genE3ELNS1_11target_archE908ELNS1_3gpuE7ELNS1_3repE0EEENS1_30default_config_static_selectorELNS0_4arch9wavefront6targetE1EEEvT1_,comdat
	.globl	_ZN7rocprim17ROCPRIM_400000_NS6detail17trampoline_kernelINS0_14default_configENS1_25transform_config_selectorIlLb0EEEZNS1_14transform_implILb0ES3_S5_NS0_18transform_iteratorINS0_17counting_iteratorImlEEZNS1_24adjacent_difference_implIS3_Lb1ELb0EPlSB_ZN2at6native12_GLOBAL__N_124unique_dim_cuda_templateIjEESt5tupleIJNSC_6TensorESH_SH_EERKSH_lbbbEUlllE1_EE10hipError_tPvRmT2_T3_mT4_P12ihipStream_tbEUlmE_lEESB_NS0_8identityIvEEEESM_SP_SQ_mSR_ST_bEUlT_E_NS1_11comp_targetILNS1_3genE3ELNS1_11target_archE908ELNS1_3gpuE7ELNS1_3repE0EEENS1_30default_config_static_selectorELNS0_4arch9wavefront6targetE1EEEvT1_ ; -- Begin function _ZN7rocprim17ROCPRIM_400000_NS6detail17trampoline_kernelINS0_14default_configENS1_25transform_config_selectorIlLb0EEEZNS1_14transform_implILb0ES3_S5_NS0_18transform_iteratorINS0_17counting_iteratorImlEEZNS1_24adjacent_difference_implIS3_Lb1ELb0EPlSB_ZN2at6native12_GLOBAL__N_124unique_dim_cuda_templateIjEESt5tupleIJNSC_6TensorESH_SH_EERKSH_lbbbEUlllE1_EE10hipError_tPvRmT2_T3_mT4_P12ihipStream_tbEUlmE_lEESB_NS0_8identityIvEEEESM_SP_SQ_mSR_ST_bEUlT_E_NS1_11comp_targetILNS1_3genE3ELNS1_11target_archE908ELNS1_3gpuE7ELNS1_3repE0EEENS1_30default_config_static_selectorELNS0_4arch9wavefront6targetE1EEEvT1_
	.p2align	8
	.type	_ZN7rocprim17ROCPRIM_400000_NS6detail17trampoline_kernelINS0_14default_configENS1_25transform_config_selectorIlLb0EEEZNS1_14transform_implILb0ES3_S5_NS0_18transform_iteratorINS0_17counting_iteratorImlEEZNS1_24adjacent_difference_implIS3_Lb1ELb0EPlSB_ZN2at6native12_GLOBAL__N_124unique_dim_cuda_templateIjEESt5tupleIJNSC_6TensorESH_SH_EERKSH_lbbbEUlllE1_EE10hipError_tPvRmT2_T3_mT4_P12ihipStream_tbEUlmE_lEESB_NS0_8identityIvEEEESM_SP_SQ_mSR_ST_bEUlT_E_NS1_11comp_targetILNS1_3genE3ELNS1_11target_archE908ELNS1_3gpuE7ELNS1_3repE0EEENS1_30default_config_static_selectorELNS0_4arch9wavefront6targetE1EEEvT1_,@function
_ZN7rocprim17ROCPRIM_400000_NS6detail17trampoline_kernelINS0_14default_configENS1_25transform_config_selectorIlLb0EEEZNS1_14transform_implILb0ES3_S5_NS0_18transform_iteratorINS0_17counting_iteratorImlEEZNS1_24adjacent_difference_implIS3_Lb1ELb0EPlSB_ZN2at6native12_GLOBAL__N_124unique_dim_cuda_templateIjEESt5tupleIJNSC_6TensorESH_SH_EERKSH_lbbbEUlllE1_EE10hipError_tPvRmT2_T3_mT4_P12ihipStream_tbEUlmE_lEESB_NS0_8identityIvEEEESM_SP_SQ_mSR_ST_bEUlT_E_NS1_11comp_targetILNS1_3genE3ELNS1_11target_archE908ELNS1_3gpuE7ELNS1_3repE0EEENS1_30default_config_static_selectorELNS0_4arch9wavefront6targetE1EEEvT1_: ; @_ZN7rocprim17ROCPRIM_400000_NS6detail17trampoline_kernelINS0_14default_configENS1_25transform_config_selectorIlLb0EEEZNS1_14transform_implILb0ES3_S5_NS0_18transform_iteratorINS0_17counting_iteratorImlEEZNS1_24adjacent_difference_implIS3_Lb1ELb0EPlSB_ZN2at6native12_GLOBAL__N_124unique_dim_cuda_templateIjEESt5tupleIJNSC_6TensorESH_SH_EERKSH_lbbbEUlllE1_EE10hipError_tPvRmT2_T3_mT4_P12ihipStream_tbEUlmE_lEESB_NS0_8identityIvEEEESM_SP_SQ_mSR_ST_bEUlT_E_NS1_11comp_targetILNS1_3genE3ELNS1_11target_archE908ELNS1_3gpuE7ELNS1_3repE0EEENS1_30default_config_static_selectorELNS0_4arch9wavefront6targetE1EEEvT1_
; %bb.0:
	.section	.rodata,"a",@progbits
	.p2align	6, 0x0
	.amdhsa_kernel _ZN7rocprim17ROCPRIM_400000_NS6detail17trampoline_kernelINS0_14default_configENS1_25transform_config_selectorIlLb0EEEZNS1_14transform_implILb0ES3_S5_NS0_18transform_iteratorINS0_17counting_iteratorImlEEZNS1_24adjacent_difference_implIS3_Lb1ELb0EPlSB_ZN2at6native12_GLOBAL__N_124unique_dim_cuda_templateIjEESt5tupleIJNSC_6TensorESH_SH_EERKSH_lbbbEUlllE1_EE10hipError_tPvRmT2_T3_mT4_P12ihipStream_tbEUlmE_lEESB_NS0_8identityIvEEEESM_SP_SQ_mSR_ST_bEUlT_E_NS1_11comp_targetILNS1_3genE3ELNS1_11target_archE908ELNS1_3gpuE7ELNS1_3repE0EEENS1_30default_config_static_selectorELNS0_4arch9wavefront6targetE1EEEvT1_
		.amdhsa_group_segment_fixed_size 0
		.amdhsa_private_segment_fixed_size 0
		.amdhsa_kernarg_size 56
		.amdhsa_user_sgpr_count 6
		.amdhsa_user_sgpr_private_segment_buffer 1
		.amdhsa_user_sgpr_dispatch_ptr 0
		.amdhsa_user_sgpr_queue_ptr 0
		.amdhsa_user_sgpr_kernarg_segment_ptr 1
		.amdhsa_user_sgpr_dispatch_id 0
		.amdhsa_user_sgpr_flat_scratch_init 0
		.amdhsa_user_sgpr_kernarg_preload_length 0
		.amdhsa_user_sgpr_kernarg_preload_offset 0
		.amdhsa_user_sgpr_private_segment_size 0
		.amdhsa_uses_dynamic_stack 0
		.amdhsa_system_sgpr_private_segment_wavefront_offset 0
		.amdhsa_system_sgpr_workgroup_id_x 1
		.amdhsa_system_sgpr_workgroup_id_y 0
		.amdhsa_system_sgpr_workgroup_id_z 0
		.amdhsa_system_sgpr_workgroup_info 0
		.amdhsa_system_vgpr_workitem_id 0
		.amdhsa_next_free_vgpr 1
		.amdhsa_next_free_sgpr 0
		.amdhsa_accum_offset 4
		.amdhsa_reserve_vcc 0
		.amdhsa_reserve_flat_scratch 0
		.amdhsa_float_round_mode_32 0
		.amdhsa_float_round_mode_16_64 0
		.amdhsa_float_denorm_mode_32 3
		.amdhsa_float_denorm_mode_16_64 3
		.amdhsa_dx10_clamp 1
		.amdhsa_ieee_mode 1
		.amdhsa_fp16_overflow 0
		.amdhsa_tg_split 0
		.amdhsa_exception_fp_ieee_invalid_op 0
		.amdhsa_exception_fp_denorm_src 0
		.amdhsa_exception_fp_ieee_div_zero 0
		.amdhsa_exception_fp_ieee_overflow 0
		.amdhsa_exception_fp_ieee_underflow 0
		.amdhsa_exception_fp_ieee_inexact 0
		.amdhsa_exception_int_div_zero 0
	.end_amdhsa_kernel
	.section	.text._ZN7rocprim17ROCPRIM_400000_NS6detail17trampoline_kernelINS0_14default_configENS1_25transform_config_selectorIlLb0EEEZNS1_14transform_implILb0ES3_S5_NS0_18transform_iteratorINS0_17counting_iteratorImlEEZNS1_24adjacent_difference_implIS3_Lb1ELb0EPlSB_ZN2at6native12_GLOBAL__N_124unique_dim_cuda_templateIjEESt5tupleIJNSC_6TensorESH_SH_EERKSH_lbbbEUlllE1_EE10hipError_tPvRmT2_T3_mT4_P12ihipStream_tbEUlmE_lEESB_NS0_8identityIvEEEESM_SP_SQ_mSR_ST_bEUlT_E_NS1_11comp_targetILNS1_3genE3ELNS1_11target_archE908ELNS1_3gpuE7ELNS1_3repE0EEENS1_30default_config_static_selectorELNS0_4arch9wavefront6targetE1EEEvT1_,"axG",@progbits,_ZN7rocprim17ROCPRIM_400000_NS6detail17trampoline_kernelINS0_14default_configENS1_25transform_config_selectorIlLb0EEEZNS1_14transform_implILb0ES3_S5_NS0_18transform_iteratorINS0_17counting_iteratorImlEEZNS1_24adjacent_difference_implIS3_Lb1ELb0EPlSB_ZN2at6native12_GLOBAL__N_124unique_dim_cuda_templateIjEESt5tupleIJNSC_6TensorESH_SH_EERKSH_lbbbEUlllE1_EE10hipError_tPvRmT2_T3_mT4_P12ihipStream_tbEUlmE_lEESB_NS0_8identityIvEEEESM_SP_SQ_mSR_ST_bEUlT_E_NS1_11comp_targetILNS1_3genE3ELNS1_11target_archE908ELNS1_3gpuE7ELNS1_3repE0EEENS1_30default_config_static_selectorELNS0_4arch9wavefront6targetE1EEEvT1_,comdat
.Lfunc_end1525:
	.size	_ZN7rocprim17ROCPRIM_400000_NS6detail17trampoline_kernelINS0_14default_configENS1_25transform_config_selectorIlLb0EEEZNS1_14transform_implILb0ES3_S5_NS0_18transform_iteratorINS0_17counting_iteratorImlEEZNS1_24adjacent_difference_implIS3_Lb1ELb0EPlSB_ZN2at6native12_GLOBAL__N_124unique_dim_cuda_templateIjEESt5tupleIJNSC_6TensorESH_SH_EERKSH_lbbbEUlllE1_EE10hipError_tPvRmT2_T3_mT4_P12ihipStream_tbEUlmE_lEESB_NS0_8identityIvEEEESM_SP_SQ_mSR_ST_bEUlT_E_NS1_11comp_targetILNS1_3genE3ELNS1_11target_archE908ELNS1_3gpuE7ELNS1_3repE0EEENS1_30default_config_static_selectorELNS0_4arch9wavefront6targetE1EEEvT1_, .Lfunc_end1525-_ZN7rocprim17ROCPRIM_400000_NS6detail17trampoline_kernelINS0_14default_configENS1_25transform_config_selectorIlLb0EEEZNS1_14transform_implILb0ES3_S5_NS0_18transform_iteratorINS0_17counting_iteratorImlEEZNS1_24adjacent_difference_implIS3_Lb1ELb0EPlSB_ZN2at6native12_GLOBAL__N_124unique_dim_cuda_templateIjEESt5tupleIJNSC_6TensorESH_SH_EERKSH_lbbbEUlllE1_EE10hipError_tPvRmT2_T3_mT4_P12ihipStream_tbEUlmE_lEESB_NS0_8identityIvEEEESM_SP_SQ_mSR_ST_bEUlT_E_NS1_11comp_targetILNS1_3genE3ELNS1_11target_archE908ELNS1_3gpuE7ELNS1_3repE0EEENS1_30default_config_static_selectorELNS0_4arch9wavefront6targetE1EEEvT1_
                                        ; -- End function
	.section	.AMDGPU.csdata,"",@progbits
; Kernel info:
; codeLenInByte = 0
; NumSgprs: 4
; NumVgprs: 0
; NumAgprs: 0
; TotalNumVgprs: 0
; ScratchSize: 0
; MemoryBound: 0
; FloatMode: 240
; IeeeMode: 1
; LDSByteSize: 0 bytes/workgroup (compile time only)
; SGPRBlocks: 0
; VGPRBlocks: 0
; NumSGPRsForWavesPerEU: 4
; NumVGPRsForWavesPerEU: 1
; AccumOffset: 4
; Occupancy: 8
; WaveLimiterHint : 0
; COMPUTE_PGM_RSRC2:SCRATCH_EN: 0
; COMPUTE_PGM_RSRC2:USER_SGPR: 6
; COMPUTE_PGM_RSRC2:TRAP_HANDLER: 0
; COMPUTE_PGM_RSRC2:TGID_X_EN: 1
; COMPUTE_PGM_RSRC2:TGID_Y_EN: 0
; COMPUTE_PGM_RSRC2:TGID_Z_EN: 0
; COMPUTE_PGM_RSRC2:TIDIG_COMP_CNT: 0
; COMPUTE_PGM_RSRC3_GFX90A:ACCUM_OFFSET: 0
; COMPUTE_PGM_RSRC3_GFX90A:TG_SPLIT: 0
	.section	.text._ZN7rocprim17ROCPRIM_400000_NS6detail17trampoline_kernelINS0_14default_configENS1_25transform_config_selectorIlLb0EEEZNS1_14transform_implILb0ES3_S5_NS0_18transform_iteratorINS0_17counting_iteratorImlEEZNS1_24adjacent_difference_implIS3_Lb1ELb0EPlSB_ZN2at6native12_GLOBAL__N_124unique_dim_cuda_templateIjEESt5tupleIJNSC_6TensorESH_SH_EERKSH_lbbbEUlllE1_EE10hipError_tPvRmT2_T3_mT4_P12ihipStream_tbEUlmE_lEESB_NS0_8identityIvEEEESM_SP_SQ_mSR_ST_bEUlT_E_NS1_11comp_targetILNS1_3genE2ELNS1_11target_archE906ELNS1_3gpuE6ELNS1_3repE0EEENS1_30default_config_static_selectorELNS0_4arch9wavefront6targetE1EEEvT1_,"axG",@progbits,_ZN7rocprim17ROCPRIM_400000_NS6detail17trampoline_kernelINS0_14default_configENS1_25transform_config_selectorIlLb0EEEZNS1_14transform_implILb0ES3_S5_NS0_18transform_iteratorINS0_17counting_iteratorImlEEZNS1_24adjacent_difference_implIS3_Lb1ELb0EPlSB_ZN2at6native12_GLOBAL__N_124unique_dim_cuda_templateIjEESt5tupleIJNSC_6TensorESH_SH_EERKSH_lbbbEUlllE1_EE10hipError_tPvRmT2_T3_mT4_P12ihipStream_tbEUlmE_lEESB_NS0_8identityIvEEEESM_SP_SQ_mSR_ST_bEUlT_E_NS1_11comp_targetILNS1_3genE2ELNS1_11target_archE906ELNS1_3gpuE6ELNS1_3repE0EEENS1_30default_config_static_selectorELNS0_4arch9wavefront6targetE1EEEvT1_,comdat
	.globl	_ZN7rocprim17ROCPRIM_400000_NS6detail17trampoline_kernelINS0_14default_configENS1_25transform_config_selectorIlLb0EEEZNS1_14transform_implILb0ES3_S5_NS0_18transform_iteratorINS0_17counting_iteratorImlEEZNS1_24adjacent_difference_implIS3_Lb1ELb0EPlSB_ZN2at6native12_GLOBAL__N_124unique_dim_cuda_templateIjEESt5tupleIJNSC_6TensorESH_SH_EERKSH_lbbbEUlllE1_EE10hipError_tPvRmT2_T3_mT4_P12ihipStream_tbEUlmE_lEESB_NS0_8identityIvEEEESM_SP_SQ_mSR_ST_bEUlT_E_NS1_11comp_targetILNS1_3genE2ELNS1_11target_archE906ELNS1_3gpuE6ELNS1_3repE0EEENS1_30default_config_static_selectorELNS0_4arch9wavefront6targetE1EEEvT1_ ; -- Begin function _ZN7rocprim17ROCPRIM_400000_NS6detail17trampoline_kernelINS0_14default_configENS1_25transform_config_selectorIlLb0EEEZNS1_14transform_implILb0ES3_S5_NS0_18transform_iteratorINS0_17counting_iteratorImlEEZNS1_24adjacent_difference_implIS3_Lb1ELb0EPlSB_ZN2at6native12_GLOBAL__N_124unique_dim_cuda_templateIjEESt5tupleIJNSC_6TensorESH_SH_EERKSH_lbbbEUlllE1_EE10hipError_tPvRmT2_T3_mT4_P12ihipStream_tbEUlmE_lEESB_NS0_8identityIvEEEESM_SP_SQ_mSR_ST_bEUlT_E_NS1_11comp_targetILNS1_3genE2ELNS1_11target_archE906ELNS1_3gpuE6ELNS1_3repE0EEENS1_30default_config_static_selectorELNS0_4arch9wavefront6targetE1EEEvT1_
	.p2align	8
	.type	_ZN7rocprim17ROCPRIM_400000_NS6detail17trampoline_kernelINS0_14default_configENS1_25transform_config_selectorIlLb0EEEZNS1_14transform_implILb0ES3_S5_NS0_18transform_iteratorINS0_17counting_iteratorImlEEZNS1_24adjacent_difference_implIS3_Lb1ELb0EPlSB_ZN2at6native12_GLOBAL__N_124unique_dim_cuda_templateIjEESt5tupleIJNSC_6TensorESH_SH_EERKSH_lbbbEUlllE1_EE10hipError_tPvRmT2_T3_mT4_P12ihipStream_tbEUlmE_lEESB_NS0_8identityIvEEEESM_SP_SQ_mSR_ST_bEUlT_E_NS1_11comp_targetILNS1_3genE2ELNS1_11target_archE906ELNS1_3gpuE6ELNS1_3repE0EEENS1_30default_config_static_selectorELNS0_4arch9wavefront6targetE1EEEvT1_,@function
_ZN7rocprim17ROCPRIM_400000_NS6detail17trampoline_kernelINS0_14default_configENS1_25transform_config_selectorIlLb0EEEZNS1_14transform_implILb0ES3_S5_NS0_18transform_iteratorINS0_17counting_iteratorImlEEZNS1_24adjacent_difference_implIS3_Lb1ELb0EPlSB_ZN2at6native12_GLOBAL__N_124unique_dim_cuda_templateIjEESt5tupleIJNSC_6TensorESH_SH_EERKSH_lbbbEUlllE1_EE10hipError_tPvRmT2_T3_mT4_P12ihipStream_tbEUlmE_lEESB_NS0_8identityIvEEEESM_SP_SQ_mSR_ST_bEUlT_E_NS1_11comp_targetILNS1_3genE2ELNS1_11target_archE906ELNS1_3gpuE6ELNS1_3repE0EEENS1_30default_config_static_selectorELNS0_4arch9wavefront6targetE1EEEvT1_: ; @_ZN7rocprim17ROCPRIM_400000_NS6detail17trampoline_kernelINS0_14default_configENS1_25transform_config_selectorIlLb0EEEZNS1_14transform_implILb0ES3_S5_NS0_18transform_iteratorINS0_17counting_iteratorImlEEZNS1_24adjacent_difference_implIS3_Lb1ELb0EPlSB_ZN2at6native12_GLOBAL__N_124unique_dim_cuda_templateIjEESt5tupleIJNSC_6TensorESH_SH_EERKSH_lbbbEUlllE1_EE10hipError_tPvRmT2_T3_mT4_P12ihipStream_tbEUlmE_lEESB_NS0_8identityIvEEEESM_SP_SQ_mSR_ST_bEUlT_E_NS1_11comp_targetILNS1_3genE2ELNS1_11target_archE906ELNS1_3gpuE6ELNS1_3repE0EEENS1_30default_config_static_selectorELNS0_4arch9wavefront6targetE1EEEvT1_
; %bb.0:
	.section	.rodata,"a",@progbits
	.p2align	6, 0x0
	.amdhsa_kernel _ZN7rocprim17ROCPRIM_400000_NS6detail17trampoline_kernelINS0_14default_configENS1_25transform_config_selectorIlLb0EEEZNS1_14transform_implILb0ES3_S5_NS0_18transform_iteratorINS0_17counting_iteratorImlEEZNS1_24adjacent_difference_implIS3_Lb1ELb0EPlSB_ZN2at6native12_GLOBAL__N_124unique_dim_cuda_templateIjEESt5tupleIJNSC_6TensorESH_SH_EERKSH_lbbbEUlllE1_EE10hipError_tPvRmT2_T3_mT4_P12ihipStream_tbEUlmE_lEESB_NS0_8identityIvEEEESM_SP_SQ_mSR_ST_bEUlT_E_NS1_11comp_targetILNS1_3genE2ELNS1_11target_archE906ELNS1_3gpuE6ELNS1_3repE0EEENS1_30default_config_static_selectorELNS0_4arch9wavefront6targetE1EEEvT1_
		.amdhsa_group_segment_fixed_size 0
		.amdhsa_private_segment_fixed_size 0
		.amdhsa_kernarg_size 56
		.amdhsa_user_sgpr_count 6
		.amdhsa_user_sgpr_private_segment_buffer 1
		.amdhsa_user_sgpr_dispatch_ptr 0
		.amdhsa_user_sgpr_queue_ptr 0
		.amdhsa_user_sgpr_kernarg_segment_ptr 1
		.amdhsa_user_sgpr_dispatch_id 0
		.amdhsa_user_sgpr_flat_scratch_init 0
		.amdhsa_user_sgpr_kernarg_preload_length 0
		.amdhsa_user_sgpr_kernarg_preload_offset 0
		.amdhsa_user_sgpr_private_segment_size 0
		.amdhsa_uses_dynamic_stack 0
		.amdhsa_system_sgpr_private_segment_wavefront_offset 0
		.amdhsa_system_sgpr_workgroup_id_x 1
		.amdhsa_system_sgpr_workgroup_id_y 0
		.amdhsa_system_sgpr_workgroup_id_z 0
		.amdhsa_system_sgpr_workgroup_info 0
		.amdhsa_system_vgpr_workitem_id 0
		.amdhsa_next_free_vgpr 1
		.amdhsa_next_free_sgpr 0
		.amdhsa_accum_offset 4
		.amdhsa_reserve_vcc 0
		.amdhsa_reserve_flat_scratch 0
		.amdhsa_float_round_mode_32 0
		.amdhsa_float_round_mode_16_64 0
		.amdhsa_float_denorm_mode_32 3
		.amdhsa_float_denorm_mode_16_64 3
		.amdhsa_dx10_clamp 1
		.amdhsa_ieee_mode 1
		.amdhsa_fp16_overflow 0
		.amdhsa_tg_split 0
		.amdhsa_exception_fp_ieee_invalid_op 0
		.amdhsa_exception_fp_denorm_src 0
		.amdhsa_exception_fp_ieee_div_zero 0
		.amdhsa_exception_fp_ieee_overflow 0
		.amdhsa_exception_fp_ieee_underflow 0
		.amdhsa_exception_fp_ieee_inexact 0
		.amdhsa_exception_int_div_zero 0
	.end_amdhsa_kernel
	.section	.text._ZN7rocprim17ROCPRIM_400000_NS6detail17trampoline_kernelINS0_14default_configENS1_25transform_config_selectorIlLb0EEEZNS1_14transform_implILb0ES3_S5_NS0_18transform_iteratorINS0_17counting_iteratorImlEEZNS1_24adjacent_difference_implIS3_Lb1ELb0EPlSB_ZN2at6native12_GLOBAL__N_124unique_dim_cuda_templateIjEESt5tupleIJNSC_6TensorESH_SH_EERKSH_lbbbEUlllE1_EE10hipError_tPvRmT2_T3_mT4_P12ihipStream_tbEUlmE_lEESB_NS0_8identityIvEEEESM_SP_SQ_mSR_ST_bEUlT_E_NS1_11comp_targetILNS1_3genE2ELNS1_11target_archE906ELNS1_3gpuE6ELNS1_3repE0EEENS1_30default_config_static_selectorELNS0_4arch9wavefront6targetE1EEEvT1_,"axG",@progbits,_ZN7rocprim17ROCPRIM_400000_NS6detail17trampoline_kernelINS0_14default_configENS1_25transform_config_selectorIlLb0EEEZNS1_14transform_implILb0ES3_S5_NS0_18transform_iteratorINS0_17counting_iteratorImlEEZNS1_24adjacent_difference_implIS3_Lb1ELb0EPlSB_ZN2at6native12_GLOBAL__N_124unique_dim_cuda_templateIjEESt5tupleIJNSC_6TensorESH_SH_EERKSH_lbbbEUlllE1_EE10hipError_tPvRmT2_T3_mT4_P12ihipStream_tbEUlmE_lEESB_NS0_8identityIvEEEESM_SP_SQ_mSR_ST_bEUlT_E_NS1_11comp_targetILNS1_3genE2ELNS1_11target_archE906ELNS1_3gpuE6ELNS1_3repE0EEENS1_30default_config_static_selectorELNS0_4arch9wavefront6targetE1EEEvT1_,comdat
.Lfunc_end1526:
	.size	_ZN7rocprim17ROCPRIM_400000_NS6detail17trampoline_kernelINS0_14default_configENS1_25transform_config_selectorIlLb0EEEZNS1_14transform_implILb0ES3_S5_NS0_18transform_iteratorINS0_17counting_iteratorImlEEZNS1_24adjacent_difference_implIS3_Lb1ELb0EPlSB_ZN2at6native12_GLOBAL__N_124unique_dim_cuda_templateIjEESt5tupleIJNSC_6TensorESH_SH_EERKSH_lbbbEUlllE1_EE10hipError_tPvRmT2_T3_mT4_P12ihipStream_tbEUlmE_lEESB_NS0_8identityIvEEEESM_SP_SQ_mSR_ST_bEUlT_E_NS1_11comp_targetILNS1_3genE2ELNS1_11target_archE906ELNS1_3gpuE6ELNS1_3repE0EEENS1_30default_config_static_selectorELNS0_4arch9wavefront6targetE1EEEvT1_, .Lfunc_end1526-_ZN7rocprim17ROCPRIM_400000_NS6detail17trampoline_kernelINS0_14default_configENS1_25transform_config_selectorIlLb0EEEZNS1_14transform_implILb0ES3_S5_NS0_18transform_iteratorINS0_17counting_iteratorImlEEZNS1_24adjacent_difference_implIS3_Lb1ELb0EPlSB_ZN2at6native12_GLOBAL__N_124unique_dim_cuda_templateIjEESt5tupleIJNSC_6TensorESH_SH_EERKSH_lbbbEUlllE1_EE10hipError_tPvRmT2_T3_mT4_P12ihipStream_tbEUlmE_lEESB_NS0_8identityIvEEEESM_SP_SQ_mSR_ST_bEUlT_E_NS1_11comp_targetILNS1_3genE2ELNS1_11target_archE906ELNS1_3gpuE6ELNS1_3repE0EEENS1_30default_config_static_selectorELNS0_4arch9wavefront6targetE1EEEvT1_
                                        ; -- End function
	.section	.AMDGPU.csdata,"",@progbits
; Kernel info:
; codeLenInByte = 0
; NumSgprs: 4
; NumVgprs: 0
; NumAgprs: 0
; TotalNumVgprs: 0
; ScratchSize: 0
; MemoryBound: 0
; FloatMode: 240
; IeeeMode: 1
; LDSByteSize: 0 bytes/workgroup (compile time only)
; SGPRBlocks: 0
; VGPRBlocks: 0
; NumSGPRsForWavesPerEU: 4
; NumVGPRsForWavesPerEU: 1
; AccumOffset: 4
; Occupancy: 8
; WaveLimiterHint : 0
; COMPUTE_PGM_RSRC2:SCRATCH_EN: 0
; COMPUTE_PGM_RSRC2:USER_SGPR: 6
; COMPUTE_PGM_RSRC2:TRAP_HANDLER: 0
; COMPUTE_PGM_RSRC2:TGID_X_EN: 1
; COMPUTE_PGM_RSRC2:TGID_Y_EN: 0
; COMPUTE_PGM_RSRC2:TGID_Z_EN: 0
; COMPUTE_PGM_RSRC2:TIDIG_COMP_CNT: 0
; COMPUTE_PGM_RSRC3_GFX90A:ACCUM_OFFSET: 0
; COMPUTE_PGM_RSRC3_GFX90A:TG_SPLIT: 0
	.section	.text._ZN7rocprim17ROCPRIM_400000_NS6detail17trampoline_kernelINS0_14default_configENS1_25transform_config_selectorIlLb0EEEZNS1_14transform_implILb0ES3_S5_NS0_18transform_iteratorINS0_17counting_iteratorImlEEZNS1_24adjacent_difference_implIS3_Lb1ELb0EPlSB_ZN2at6native12_GLOBAL__N_124unique_dim_cuda_templateIjEESt5tupleIJNSC_6TensorESH_SH_EERKSH_lbbbEUlllE1_EE10hipError_tPvRmT2_T3_mT4_P12ihipStream_tbEUlmE_lEESB_NS0_8identityIvEEEESM_SP_SQ_mSR_ST_bEUlT_E_NS1_11comp_targetILNS1_3genE10ELNS1_11target_archE1201ELNS1_3gpuE5ELNS1_3repE0EEENS1_30default_config_static_selectorELNS0_4arch9wavefront6targetE1EEEvT1_,"axG",@progbits,_ZN7rocprim17ROCPRIM_400000_NS6detail17trampoline_kernelINS0_14default_configENS1_25transform_config_selectorIlLb0EEEZNS1_14transform_implILb0ES3_S5_NS0_18transform_iteratorINS0_17counting_iteratorImlEEZNS1_24adjacent_difference_implIS3_Lb1ELb0EPlSB_ZN2at6native12_GLOBAL__N_124unique_dim_cuda_templateIjEESt5tupleIJNSC_6TensorESH_SH_EERKSH_lbbbEUlllE1_EE10hipError_tPvRmT2_T3_mT4_P12ihipStream_tbEUlmE_lEESB_NS0_8identityIvEEEESM_SP_SQ_mSR_ST_bEUlT_E_NS1_11comp_targetILNS1_3genE10ELNS1_11target_archE1201ELNS1_3gpuE5ELNS1_3repE0EEENS1_30default_config_static_selectorELNS0_4arch9wavefront6targetE1EEEvT1_,comdat
	.globl	_ZN7rocprim17ROCPRIM_400000_NS6detail17trampoline_kernelINS0_14default_configENS1_25transform_config_selectorIlLb0EEEZNS1_14transform_implILb0ES3_S5_NS0_18transform_iteratorINS0_17counting_iteratorImlEEZNS1_24adjacent_difference_implIS3_Lb1ELb0EPlSB_ZN2at6native12_GLOBAL__N_124unique_dim_cuda_templateIjEESt5tupleIJNSC_6TensorESH_SH_EERKSH_lbbbEUlllE1_EE10hipError_tPvRmT2_T3_mT4_P12ihipStream_tbEUlmE_lEESB_NS0_8identityIvEEEESM_SP_SQ_mSR_ST_bEUlT_E_NS1_11comp_targetILNS1_3genE10ELNS1_11target_archE1201ELNS1_3gpuE5ELNS1_3repE0EEENS1_30default_config_static_selectorELNS0_4arch9wavefront6targetE1EEEvT1_ ; -- Begin function _ZN7rocprim17ROCPRIM_400000_NS6detail17trampoline_kernelINS0_14default_configENS1_25transform_config_selectorIlLb0EEEZNS1_14transform_implILb0ES3_S5_NS0_18transform_iteratorINS0_17counting_iteratorImlEEZNS1_24adjacent_difference_implIS3_Lb1ELb0EPlSB_ZN2at6native12_GLOBAL__N_124unique_dim_cuda_templateIjEESt5tupleIJNSC_6TensorESH_SH_EERKSH_lbbbEUlllE1_EE10hipError_tPvRmT2_T3_mT4_P12ihipStream_tbEUlmE_lEESB_NS0_8identityIvEEEESM_SP_SQ_mSR_ST_bEUlT_E_NS1_11comp_targetILNS1_3genE10ELNS1_11target_archE1201ELNS1_3gpuE5ELNS1_3repE0EEENS1_30default_config_static_selectorELNS0_4arch9wavefront6targetE1EEEvT1_
	.p2align	8
	.type	_ZN7rocprim17ROCPRIM_400000_NS6detail17trampoline_kernelINS0_14default_configENS1_25transform_config_selectorIlLb0EEEZNS1_14transform_implILb0ES3_S5_NS0_18transform_iteratorINS0_17counting_iteratorImlEEZNS1_24adjacent_difference_implIS3_Lb1ELb0EPlSB_ZN2at6native12_GLOBAL__N_124unique_dim_cuda_templateIjEESt5tupleIJNSC_6TensorESH_SH_EERKSH_lbbbEUlllE1_EE10hipError_tPvRmT2_T3_mT4_P12ihipStream_tbEUlmE_lEESB_NS0_8identityIvEEEESM_SP_SQ_mSR_ST_bEUlT_E_NS1_11comp_targetILNS1_3genE10ELNS1_11target_archE1201ELNS1_3gpuE5ELNS1_3repE0EEENS1_30default_config_static_selectorELNS0_4arch9wavefront6targetE1EEEvT1_,@function
_ZN7rocprim17ROCPRIM_400000_NS6detail17trampoline_kernelINS0_14default_configENS1_25transform_config_selectorIlLb0EEEZNS1_14transform_implILb0ES3_S5_NS0_18transform_iteratorINS0_17counting_iteratorImlEEZNS1_24adjacent_difference_implIS3_Lb1ELb0EPlSB_ZN2at6native12_GLOBAL__N_124unique_dim_cuda_templateIjEESt5tupleIJNSC_6TensorESH_SH_EERKSH_lbbbEUlllE1_EE10hipError_tPvRmT2_T3_mT4_P12ihipStream_tbEUlmE_lEESB_NS0_8identityIvEEEESM_SP_SQ_mSR_ST_bEUlT_E_NS1_11comp_targetILNS1_3genE10ELNS1_11target_archE1201ELNS1_3gpuE5ELNS1_3repE0EEENS1_30default_config_static_selectorELNS0_4arch9wavefront6targetE1EEEvT1_: ; @_ZN7rocprim17ROCPRIM_400000_NS6detail17trampoline_kernelINS0_14default_configENS1_25transform_config_selectorIlLb0EEEZNS1_14transform_implILb0ES3_S5_NS0_18transform_iteratorINS0_17counting_iteratorImlEEZNS1_24adjacent_difference_implIS3_Lb1ELb0EPlSB_ZN2at6native12_GLOBAL__N_124unique_dim_cuda_templateIjEESt5tupleIJNSC_6TensorESH_SH_EERKSH_lbbbEUlllE1_EE10hipError_tPvRmT2_T3_mT4_P12ihipStream_tbEUlmE_lEESB_NS0_8identityIvEEEESM_SP_SQ_mSR_ST_bEUlT_E_NS1_11comp_targetILNS1_3genE10ELNS1_11target_archE1201ELNS1_3gpuE5ELNS1_3repE0EEENS1_30default_config_static_selectorELNS0_4arch9wavefront6targetE1EEEvT1_
; %bb.0:
	.section	.rodata,"a",@progbits
	.p2align	6, 0x0
	.amdhsa_kernel _ZN7rocprim17ROCPRIM_400000_NS6detail17trampoline_kernelINS0_14default_configENS1_25transform_config_selectorIlLb0EEEZNS1_14transform_implILb0ES3_S5_NS0_18transform_iteratorINS0_17counting_iteratorImlEEZNS1_24adjacent_difference_implIS3_Lb1ELb0EPlSB_ZN2at6native12_GLOBAL__N_124unique_dim_cuda_templateIjEESt5tupleIJNSC_6TensorESH_SH_EERKSH_lbbbEUlllE1_EE10hipError_tPvRmT2_T3_mT4_P12ihipStream_tbEUlmE_lEESB_NS0_8identityIvEEEESM_SP_SQ_mSR_ST_bEUlT_E_NS1_11comp_targetILNS1_3genE10ELNS1_11target_archE1201ELNS1_3gpuE5ELNS1_3repE0EEENS1_30default_config_static_selectorELNS0_4arch9wavefront6targetE1EEEvT1_
		.amdhsa_group_segment_fixed_size 0
		.amdhsa_private_segment_fixed_size 0
		.amdhsa_kernarg_size 56
		.amdhsa_user_sgpr_count 6
		.amdhsa_user_sgpr_private_segment_buffer 1
		.amdhsa_user_sgpr_dispatch_ptr 0
		.amdhsa_user_sgpr_queue_ptr 0
		.amdhsa_user_sgpr_kernarg_segment_ptr 1
		.amdhsa_user_sgpr_dispatch_id 0
		.amdhsa_user_sgpr_flat_scratch_init 0
		.amdhsa_user_sgpr_kernarg_preload_length 0
		.amdhsa_user_sgpr_kernarg_preload_offset 0
		.amdhsa_user_sgpr_private_segment_size 0
		.amdhsa_uses_dynamic_stack 0
		.amdhsa_system_sgpr_private_segment_wavefront_offset 0
		.amdhsa_system_sgpr_workgroup_id_x 1
		.amdhsa_system_sgpr_workgroup_id_y 0
		.amdhsa_system_sgpr_workgroup_id_z 0
		.amdhsa_system_sgpr_workgroup_info 0
		.amdhsa_system_vgpr_workitem_id 0
		.amdhsa_next_free_vgpr 1
		.amdhsa_next_free_sgpr 0
		.amdhsa_accum_offset 4
		.amdhsa_reserve_vcc 0
		.amdhsa_reserve_flat_scratch 0
		.amdhsa_float_round_mode_32 0
		.amdhsa_float_round_mode_16_64 0
		.amdhsa_float_denorm_mode_32 3
		.amdhsa_float_denorm_mode_16_64 3
		.amdhsa_dx10_clamp 1
		.amdhsa_ieee_mode 1
		.amdhsa_fp16_overflow 0
		.amdhsa_tg_split 0
		.amdhsa_exception_fp_ieee_invalid_op 0
		.amdhsa_exception_fp_denorm_src 0
		.amdhsa_exception_fp_ieee_div_zero 0
		.amdhsa_exception_fp_ieee_overflow 0
		.amdhsa_exception_fp_ieee_underflow 0
		.amdhsa_exception_fp_ieee_inexact 0
		.amdhsa_exception_int_div_zero 0
	.end_amdhsa_kernel
	.section	.text._ZN7rocprim17ROCPRIM_400000_NS6detail17trampoline_kernelINS0_14default_configENS1_25transform_config_selectorIlLb0EEEZNS1_14transform_implILb0ES3_S5_NS0_18transform_iteratorINS0_17counting_iteratorImlEEZNS1_24adjacent_difference_implIS3_Lb1ELb0EPlSB_ZN2at6native12_GLOBAL__N_124unique_dim_cuda_templateIjEESt5tupleIJNSC_6TensorESH_SH_EERKSH_lbbbEUlllE1_EE10hipError_tPvRmT2_T3_mT4_P12ihipStream_tbEUlmE_lEESB_NS0_8identityIvEEEESM_SP_SQ_mSR_ST_bEUlT_E_NS1_11comp_targetILNS1_3genE10ELNS1_11target_archE1201ELNS1_3gpuE5ELNS1_3repE0EEENS1_30default_config_static_selectorELNS0_4arch9wavefront6targetE1EEEvT1_,"axG",@progbits,_ZN7rocprim17ROCPRIM_400000_NS6detail17trampoline_kernelINS0_14default_configENS1_25transform_config_selectorIlLb0EEEZNS1_14transform_implILb0ES3_S5_NS0_18transform_iteratorINS0_17counting_iteratorImlEEZNS1_24adjacent_difference_implIS3_Lb1ELb0EPlSB_ZN2at6native12_GLOBAL__N_124unique_dim_cuda_templateIjEESt5tupleIJNSC_6TensorESH_SH_EERKSH_lbbbEUlllE1_EE10hipError_tPvRmT2_T3_mT4_P12ihipStream_tbEUlmE_lEESB_NS0_8identityIvEEEESM_SP_SQ_mSR_ST_bEUlT_E_NS1_11comp_targetILNS1_3genE10ELNS1_11target_archE1201ELNS1_3gpuE5ELNS1_3repE0EEENS1_30default_config_static_selectorELNS0_4arch9wavefront6targetE1EEEvT1_,comdat
.Lfunc_end1527:
	.size	_ZN7rocprim17ROCPRIM_400000_NS6detail17trampoline_kernelINS0_14default_configENS1_25transform_config_selectorIlLb0EEEZNS1_14transform_implILb0ES3_S5_NS0_18transform_iteratorINS0_17counting_iteratorImlEEZNS1_24adjacent_difference_implIS3_Lb1ELb0EPlSB_ZN2at6native12_GLOBAL__N_124unique_dim_cuda_templateIjEESt5tupleIJNSC_6TensorESH_SH_EERKSH_lbbbEUlllE1_EE10hipError_tPvRmT2_T3_mT4_P12ihipStream_tbEUlmE_lEESB_NS0_8identityIvEEEESM_SP_SQ_mSR_ST_bEUlT_E_NS1_11comp_targetILNS1_3genE10ELNS1_11target_archE1201ELNS1_3gpuE5ELNS1_3repE0EEENS1_30default_config_static_selectorELNS0_4arch9wavefront6targetE1EEEvT1_, .Lfunc_end1527-_ZN7rocprim17ROCPRIM_400000_NS6detail17trampoline_kernelINS0_14default_configENS1_25transform_config_selectorIlLb0EEEZNS1_14transform_implILb0ES3_S5_NS0_18transform_iteratorINS0_17counting_iteratorImlEEZNS1_24adjacent_difference_implIS3_Lb1ELb0EPlSB_ZN2at6native12_GLOBAL__N_124unique_dim_cuda_templateIjEESt5tupleIJNSC_6TensorESH_SH_EERKSH_lbbbEUlllE1_EE10hipError_tPvRmT2_T3_mT4_P12ihipStream_tbEUlmE_lEESB_NS0_8identityIvEEEESM_SP_SQ_mSR_ST_bEUlT_E_NS1_11comp_targetILNS1_3genE10ELNS1_11target_archE1201ELNS1_3gpuE5ELNS1_3repE0EEENS1_30default_config_static_selectorELNS0_4arch9wavefront6targetE1EEEvT1_
                                        ; -- End function
	.section	.AMDGPU.csdata,"",@progbits
; Kernel info:
; codeLenInByte = 0
; NumSgprs: 4
; NumVgprs: 0
; NumAgprs: 0
; TotalNumVgprs: 0
; ScratchSize: 0
; MemoryBound: 0
; FloatMode: 240
; IeeeMode: 1
; LDSByteSize: 0 bytes/workgroup (compile time only)
; SGPRBlocks: 0
; VGPRBlocks: 0
; NumSGPRsForWavesPerEU: 4
; NumVGPRsForWavesPerEU: 1
; AccumOffset: 4
; Occupancy: 8
; WaveLimiterHint : 0
; COMPUTE_PGM_RSRC2:SCRATCH_EN: 0
; COMPUTE_PGM_RSRC2:USER_SGPR: 6
; COMPUTE_PGM_RSRC2:TRAP_HANDLER: 0
; COMPUTE_PGM_RSRC2:TGID_X_EN: 1
; COMPUTE_PGM_RSRC2:TGID_Y_EN: 0
; COMPUTE_PGM_RSRC2:TGID_Z_EN: 0
; COMPUTE_PGM_RSRC2:TIDIG_COMP_CNT: 0
; COMPUTE_PGM_RSRC3_GFX90A:ACCUM_OFFSET: 0
; COMPUTE_PGM_RSRC3_GFX90A:TG_SPLIT: 0
	.section	.text._ZN7rocprim17ROCPRIM_400000_NS6detail17trampoline_kernelINS0_14default_configENS1_25transform_config_selectorIlLb0EEEZNS1_14transform_implILb0ES3_S5_NS0_18transform_iteratorINS0_17counting_iteratorImlEEZNS1_24adjacent_difference_implIS3_Lb1ELb0EPlSB_ZN2at6native12_GLOBAL__N_124unique_dim_cuda_templateIjEESt5tupleIJNSC_6TensorESH_SH_EERKSH_lbbbEUlllE1_EE10hipError_tPvRmT2_T3_mT4_P12ihipStream_tbEUlmE_lEESB_NS0_8identityIvEEEESM_SP_SQ_mSR_ST_bEUlT_E_NS1_11comp_targetILNS1_3genE10ELNS1_11target_archE1200ELNS1_3gpuE4ELNS1_3repE0EEENS1_30default_config_static_selectorELNS0_4arch9wavefront6targetE1EEEvT1_,"axG",@progbits,_ZN7rocprim17ROCPRIM_400000_NS6detail17trampoline_kernelINS0_14default_configENS1_25transform_config_selectorIlLb0EEEZNS1_14transform_implILb0ES3_S5_NS0_18transform_iteratorINS0_17counting_iteratorImlEEZNS1_24adjacent_difference_implIS3_Lb1ELb0EPlSB_ZN2at6native12_GLOBAL__N_124unique_dim_cuda_templateIjEESt5tupleIJNSC_6TensorESH_SH_EERKSH_lbbbEUlllE1_EE10hipError_tPvRmT2_T3_mT4_P12ihipStream_tbEUlmE_lEESB_NS0_8identityIvEEEESM_SP_SQ_mSR_ST_bEUlT_E_NS1_11comp_targetILNS1_3genE10ELNS1_11target_archE1200ELNS1_3gpuE4ELNS1_3repE0EEENS1_30default_config_static_selectorELNS0_4arch9wavefront6targetE1EEEvT1_,comdat
	.globl	_ZN7rocprim17ROCPRIM_400000_NS6detail17trampoline_kernelINS0_14default_configENS1_25transform_config_selectorIlLb0EEEZNS1_14transform_implILb0ES3_S5_NS0_18transform_iteratorINS0_17counting_iteratorImlEEZNS1_24adjacent_difference_implIS3_Lb1ELb0EPlSB_ZN2at6native12_GLOBAL__N_124unique_dim_cuda_templateIjEESt5tupleIJNSC_6TensorESH_SH_EERKSH_lbbbEUlllE1_EE10hipError_tPvRmT2_T3_mT4_P12ihipStream_tbEUlmE_lEESB_NS0_8identityIvEEEESM_SP_SQ_mSR_ST_bEUlT_E_NS1_11comp_targetILNS1_3genE10ELNS1_11target_archE1200ELNS1_3gpuE4ELNS1_3repE0EEENS1_30default_config_static_selectorELNS0_4arch9wavefront6targetE1EEEvT1_ ; -- Begin function _ZN7rocprim17ROCPRIM_400000_NS6detail17trampoline_kernelINS0_14default_configENS1_25transform_config_selectorIlLb0EEEZNS1_14transform_implILb0ES3_S5_NS0_18transform_iteratorINS0_17counting_iteratorImlEEZNS1_24adjacent_difference_implIS3_Lb1ELb0EPlSB_ZN2at6native12_GLOBAL__N_124unique_dim_cuda_templateIjEESt5tupleIJNSC_6TensorESH_SH_EERKSH_lbbbEUlllE1_EE10hipError_tPvRmT2_T3_mT4_P12ihipStream_tbEUlmE_lEESB_NS0_8identityIvEEEESM_SP_SQ_mSR_ST_bEUlT_E_NS1_11comp_targetILNS1_3genE10ELNS1_11target_archE1200ELNS1_3gpuE4ELNS1_3repE0EEENS1_30default_config_static_selectorELNS0_4arch9wavefront6targetE1EEEvT1_
	.p2align	8
	.type	_ZN7rocprim17ROCPRIM_400000_NS6detail17trampoline_kernelINS0_14default_configENS1_25transform_config_selectorIlLb0EEEZNS1_14transform_implILb0ES3_S5_NS0_18transform_iteratorINS0_17counting_iteratorImlEEZNS1_24adjacent_difference_implIS3_Lb1ELb0EPlSB_ZN2at6native12_GLOBAL__N_124unique_dim_cuda_templateIjEESt5tupleIJNSC_6TensorESH_SH_EERKSH_lbbbEUlllE1_EE10hipError_tPvRmT2_T3_mT4_P12ihipStream_tbEUlmE_lEESB_NS0_8identityIvEEEESM_SP_SQ_mSR_ST_bEUlT_E_NS1_11comp_targetILNS1_3genE10ELNS1_11target_archE1200ELNS1_3gpuE4ELNS1_3repE0EEENS1_30default_config_static_selectorELNS0_4arch9wavefront6targetE1EEEvT1_,@function
_ZN7rocprim17ROCPRIM_400000_NS6detail17trampoline_kernelINS0_14default_configENS1_25transform_config_selectorIlLb0EEEZNS1_14transform_implILb0ES3_S5_NS0_18transform_iteratorINS0_17counting_iteratorImlEEZNS1_24adjacent_difference_implIS3_Lb1ELb0EPlSB_ZN2at6native12_GLOBAL__N_124unique_dim_cuda_templateIjEESt5tupleIJNSC_6TensorESH_SH_EERKSH_lbbbEUlllE1_EE10hipError_tPvRmT2_T3_mT4_P12ihipStream_tbEUlmE_lEESB_NS0_8identityIvEEEESM_SP_SQ_mSR_ST_bEUlT_E_NS1_11comp_targetILNS1_3genE10ELNS1_11target_archE1200ELNS1_3gpuE4ELNS1_3repE0EEENS1_30default_config_static_selectorELNS0_4arch9wavefront6targetE1EEEvT1_: ; @_ZN7rocprim17ROCPRIM_400000_NS6detail17trampoline_kernelINS0_14default_configENS1_25transform_config_selectorIlLb0EEEZNS1_14transform_implILb0ES3_S5_NS0_18transform_iteratorINS0_17counting_iteratorImlEEZNS1_24adjacent_difference_implIS3_Lb1ELb0EPlSB_ZN2at6native12_GLOBAL__N_124unique_dim_cuda_templateIjEESt5tupleIJNSC_6TensorESH_SH_EERKSH_lbbbEUlllE1_EE10hipError_tPvRmT2_T3_mT4_P12ihipStream_tbEUlmE_lEESB_NS0_8identityIvEEEESM_SP_SQ_mSR_ST_bEUlT_E_NS1_11comp_targetILNS1_3genE10ELNS1_11target_archE1200ELNS1_3gpuE4ELNS1_3repE0EEENS1_30default_config_static_selectorELNS0_4arch9wavefront6targetE1EEEvT1_
; %bb.0:
	.section	.rodata,"a",@progbits
	.p2align	6, 0x0
	.amdhsa_kernel _ZN7rocprim17ROCPRIM_400000_NS6detail17trampoline_kernelINS0_14default_configENS1_25transform_config_selectorIlLb0EEEZNS1_14transform_implILb0ES3_S5_NS0_18transform_iteratorINS0_17counting_iteratorImlEEZNS1_24adjacent_difference_implIS3_Lb1ELb0EPlSB_ZN2at6native12_GLOBAL__N_124unique_dim_cuda_templateIjEESt5tupleIJNSC_6TensorESH_SH_EERKSH_lbbbEUlllE1_EE10hipError_tPvRmT2_T3_mT4_P12ihipStream_tbEUlmE_lEESB_NS0_8identityIvEEEESM_SP_SQ_mSR_ST_bEUlT_E_NS1_11comp_targetILNS1_3genE10ELNS1_11target_archE1200ELNS1_3gpuE4ELNS1_3repE0EEENS1_30default_config_static_selectorELNS0_4arch9wavefront6targetE1EEEvT1_
		.amdhsa_group_segment_fixed_size 0
		.amdhsa_private_segment_fixed_size 0
		.amdhsa_kernarg_size 56
		.amdhsa_user_sgpr_count 6
		.amdhsa_user_sgpr_private_segment_buffer 1
		.amdhsa_user_sgpr_dispatch_ptr 0
		.amdhsa_user_sgpr_queue_ptr 0
		.amdhsa_user_sgpr_kernarg_segment_ptr 1
		.amdhsa_user_sgpr_dispatch_id 0
		.amdhsa_user_sgpr_flat_scratch_init 0
		.amdhsa_user_sgpr_kernarg_preload_length 0
		.amdhsa_user_sgpr_kernarg_preload_offset 0
		.amdhsa_user_sgpr_private_segment_size 0
		.amdhsa_uses_dynamic_stack 0
		.amdhsa_system_sgpr_private_segment_wavefront_offset 0
		.amdhsa_system_sgpr_workgroup_id_x 1
		.amdhsa_system_sgpr_workgroup_id_y 0
		.amdhsa_system_sgpr_workgroup_id_z 0
		.amdhsa_system_sgpr_workgroup_info 0
		.amdhsa_system_vgpr_workitem_id 0
		.amdhsa_next_free_vgpr 1
		.amdhsa_next_free_sgpr 0
		.amdhsa_accum_offset 4
		.amdhsa_reserve_vcc 0
		.amdhsa_reserve_flat_scratch 0
		.amdhsa_float_round_mode_32 0
		.amdhsa_float_round_mode_16_64 0
		.amdhsa_float_denorm_mode_32 3
		.amdhsa_float_denorm_mode_16_64 3
		.amdhsa_dx10_clamp 1
		.amdhsa_ieee_mode 1
		.amdhsa_fp16_overflow 0
		.amdhsa_tg_split 0
		.amdhsa_exception_fp_ieee_invalid_op 0
		.amdhsa_exception_fp_denorm_src 0
		.amdhsa_exception_fp_ieee_div_zero 0
		.amdhsa_exception_fp_ieee_overflow 0
		.amdhsa_exception_fp_ieee_underflow 0
		.amdhsa_exception_fp_ieee_inexact 0
		.amdhsa_exception_int_div_zero 0
	.end_amdhsa_kernel
	.section	.text._ZN7rocprim17ROCPRIM_400000_NS6detail17trampoline_kernelINS0_14default_configENS1_25transform_config_selectorIlLb0EEEZNS1_14transform_implILb0ES3_S5_NS0_18transform_iteratorINS0_17counting_iteratorImlEEZNS1_24adjacent_difference_implIS3_Lb1ELb0EPlSB_ZN2at6native12_GLOBAL__N_124unique_dim_cuda_templateIjEESt5tupleIJNSC_6TensorESH_SH_EERKSH_lbbbEUlllE1_EE10hipError_tPvRmT2_T3_mT4_P12ihipStream_tbEUlmE_lEESB_NS0_8identityIvEEEESM_SP_SQ_mSR_ST_bEUlT_E_NS1_11comp_targetILNS1_3genE10ELNS1_11target_archE1200ELNS1_3gpuE4ELNS1_3repE0EEENS1_30default_config_static_selectorELNS0_4arch9wavefront6targetE1EEEvT1_,"axG",@progbits,_ZN7rocprim17ROCPRIM_400000_NS6detail17trampoline_kernelINS0_14default_configENS1_25transform_config_selectorIlLb0EEEZNS1_14transform_implILb0ES3_S5_NS0_18transform_iteratorINS0_17counting_iteratorImlEEZNS1_24adjacent_difference_implIS3_Lb1ELb0EPlSB_ZN2at6native12_GLOBAL__N_124unique_dim_cuda_templateIjEESt5tupleIJNSC_6TensorESH_SH_EERKSH_lbbbEUlllE1_EE10hipError_tPvRmT2_T3_mT4_P12ihipStream_tbEUlmE_lEESB_NS0_8identityIvEEEESM_SP_SQ_mSR_ST_bEUlT_E_NS1_11comp_targetILNS1_3genE10ELNS1_11target_archE1200ELNS1_3gpuE4ELNS1_3repE0EEENS1_30default_config_static_selectorELNS0_4arch9wavefront6targetE1EEEvT1_,comdat
.Lfunc_end1528:
	.size	_ZN7rocprim17ROCPRIM_400000_NS6detail17trampoline_kernelINS0_14default_configENS1_25transform_config_selectorIlLb0EEEZNS1_14transform_implILb0ES3_S5_NS0_18transform_iteratorINS0_17counting_iteratorImlEEZNS1_24adjacent_difference_implIS3_Lb1ELb0EPlSB_ZN2at6native12_GLOBAL__N_124unique_dim_cuda_templateIjEESt5tupleIJNSC_6TensorESH_SH_EERKSH_lbbbEUlllE1_EE10hipError_tPvRmT2_T3_mT4_P12ihipStream_tbEUlmE_lEESB_NS0_8identityIvEEEESM_SP_SQ_mSR_ST_bEUlT_E_NS1_11comp_targetILNS1_3genE10ELNS1_11target_archE1200ELNS1_3gpuE4ELNS1_3repE0EEENS1_30default_config_static_selectorELNS0_4arch9wavefront6targetE1EEEvT1_, .Lfunc_end1528-_ZN7rocprim17ROCPRIM_400000_NS6detail17trampoline_kernelINS0_14default_configENS1_25transform_config_selectorIlLb0EEEZNS1_14transform_implILb0ES3_S5_NS0_18transform_iteratorINS0_17counting_iteratorImlEEZNS1_24adjacent_difference_implIS3_Lb1ELb0EPlSB_ZN2at6native12_GLOBAL__N_124unique_dim_cuda_templateIjEESt5tupleIJNSC_6TensorESH_SH_EERKSH_lbbbEUlllE1_EE10hipError_tPvRmT2_T3_mT4_P12ihipStream_tbEUlmE_lEESB_NS0_8identityIvEEEESM_SP_SQ_mSR_ST_bEUlT_E_NS1_11comp_targetILNS1_3genE10ELNS1_11target_archE1200ELNS1_3gpuE4ELNS1_3repE0EEENS1_30default_config_static_selectorELNS0_4arch9wavefront6targetE1EEEvT1_
                                        ; -- End function
	.section	.AMDGPU.csdata,"",@progbits
; Kernel info:
; codeLenInByte = 0
; NumSgprs: 4
; NumVgprs: 0
; NumAgprs: 0
; TotalNumVgprs: 0
; ScratchSize: 0
; MemoryBound: 0
; FloatMode: 240
; IeeeMode: 1
; LDSByteSize: 0 bytes/workgroup (compile time only)
; SGPRBlocks: 0
; VGPRBlocks: 0
; NumSGPRsForWavesPerEU: 4
; NumVGPRsForWavesPerEU: 1
; AccumOffset: 4
; Occupancy: 8
; WaveLimiterHint : 0
; COMPUTE_PGM_RSRC2:SCRATCH_EN: 0
; COMPUTE_PGM_RSRC2:USER_SGPR: 6
; COMPUTE_PGM_RSRC2:TRAP_HANDLER: 0
; COMPUTE_PGM_RSRC2:TGID_X_EN: 1
; COMPUTE_PGM_RSRC2:TGID_Y_EN: 0
; COMPUTE_PGM_RSRC2:TGID_Z_EN: 0
; COMPUTE_PGM_RSRC2:TIDIG_COMP_CNT: 0
; COMPUTE_PGM_RSRC3_GFX90A:ACCUM_OFFSET: 0
; COMPUTE_PGM_RSRC3_GFX90A:TG_SPLIT: 0
	.section	.text._ZN7rocprim17ROCPRIM_400000_NS6detail17trampoline_kernelINS0_14default_configENS1_25transform_config_selectorIlLb0EEEZNS1_14transform_implILb0ES3_S5_NS0_18transform_iteratorINS0_17counting_iteratorImlEEZNS1_24adjacent_difference_implIS3_Lb1ELb0EPlSB_ZN2at6native12_GLOBAL__N_124unique_dim_cuda_templateIjEESt5tupleIJNSC_6TensorESH_SH_EERKSH_lbbbEUlllE1_EE10hipError_tPvRmT2_T3_mT4_P12ihipStream_tbEUlmE_lEESB_NS0_8identityIvEEEESM_SP_SQ_mSR_ST_bEUlT_E_NS1_11comp_targetILNS1_3genE9ELNS1_11target_archE1100ELNS1_3gpuE3ELNS1_3repE0EEENS1_30default_config_static_selectorELNS0_4arch9wavefront6targetE1EEEvT1_,"axG",@progbits,_ZN7rocprim17ROCPRIM_400000_NS6detail17trampoline_kernelINS0_14default_configENS1_25transform_config_selectorIlLb0EEEZNS1_14transform_implILb0ES3_S5_NS0_18transform_iteratorINS0_17counting_iteratorImlEEZNS1_24adjacent_difference_implIS3_Lb1ELb0EPlSB_ZN2at6native12_GLOBAL__N_124unique_dim_cuda_templateIjEESt5tupleIJNSC_6TensorESH_SH_EERKSH_lbbbEUlllE1_EE10hipError_tPvRmT2_T3_mT4_P12ihipStream_tbEUlmE_lEESB_NS0_8identityIvEEEESM_SP_SQ_mSR_ST_bEUlT_E_NS1_11comp_targetILNS1_3genE9ELNS1_11target_archE1100ELNS1_3gpuE3ELNS1_3repE0EEENS1_30default_config_static_selectorELNS0_4arch9wavefront6targetE1EEEvT1_,comdat
	.globl	_ZN7rocprim17ROCPRIM_400000_NS6detail17trampoline_kernelINS0_14default_configENS1_25transform_config_selectorIlLb0EEEZNS1_14transform_implILb0ES3_S5_NS0_18transform_iteratorINS0_17counting_iteratorImlEEZNS1_24adjacent_difference_implIS3_Lb1ELb0EPlSB_ZN2at6native12_GLOBAL__N_124unique_dim_cuda_templateIjEESt5tupleIJNSC_6TensorESH_SH_EERKSH_lbbbEUlllE1_EE10hipError_tPvRmT2_T3_mT4_P12ihipStream_tbEUlmE_lEESB_NS0_8identityIvEEEESM_SP_SQ_mSR_ST_bEUlT_E_NS1_11comp_targetILNS1_3genE9ELNS1_11target_archE1100ELNS1_3gpuE3ELNS1_3repE0EEENS1_30default_config_static_selectorELNS0_4arch9wavefront6targetE1EEEvT1_ ; -- Begin function _ZN7rocprim17ROCPRIM_400000_NS6detail17trampoline_kernelINS0_14default_configENS1_25transform_config_selectorIlLb0EEEZNS1_14transform_implILb0ES3_S5_NS0_18transform_iteratorINS0_17counting_iteratorImlEEZNS1_24adjacent_difference_implIS3_Lb1ELb0EPlSB_ZN2at6native12_GLOBAL__N_124unique_dim_cuda_templateIjEESt5tupleIJNSC_6TensorESH_SH_EERKSH_lbbbEUlllE1_EE10hipError_tPvRmT2_T3_mT4_P12ihipStream_tbEUlmE_lEESB_NS0_8identityIvEEEESM_SP_SQ_mSR_ST_bEUlT_E_NS1_11comp_targetILNS1_3genE9ELNS1_11target_archE1100ELNS1_3gpuE3ELNS1_3repE0EEENS1_30default_config_static_selectorELNS0_4arch9wavefront6targetE1EEEvT1_
	.p2align	8
	.type	_ZN7rocprim17ROCPRIM_400000_NS6detail17trampoline_kernelINS0_14default_configENS1_25transform_config_selectorIlLb0EEEZNS1_14transform_implILb0ES3_S5_NS0_18transform_iteratorINS0_17counting_iteratorImlEEZNS1_24adjacent_difference_implIS3_Lb1ELb0EPlSB_ZN2at6native12_GLOBAL__N_124unique_dim_cuda_templateIjEESt5tupleIJNSC_6TensorESH_SH_EERKSH_lbbbEUlllE1_EE10hipError_tPvRmT2_T3_mT4_P12ihipStream_tbEUlmE_lEESB_NS0_8identityIvEEEESM_SP_SQ_mSR_ST_bEUlT_E_NS1_11comp_targetILNS1_3genE9ELNS1_11target_archE1100ELNS1_3gpuE3ELNS1_3repE0EEENS1_30default_config_static_selectorELNS0_4arch9wavefront6targetE1EEEvT1_,@function
_ZN7rocprim17ROCPRIM_400000_NS6detail17trampoline_kernelINS0_14default_configENS1_25transform_config_selectorIlLb0EEEZNS1_14transform_implILb0ES3_S5_NS0_18transform_iteratorINS0_17counting_iteratorImlEEZNS1_24adjacent_difference_implIS3_Lb1ELb0EPlSB_ZN2at6native12_GLOBAL__N_124unique_dim_cuda_templateIjEESt5tupleIJNSC_6TensorESH_SH_EERKSH_lbbbEUlllE1_EE10hipError_tPvRmT2_T3_mT4_P12ihipStream_tbEUlmE_lEESB_NS0_8identityIvEEEESM_SP_SQ_mSR_ST_bEUlT_E_NS1_11comp_targetILNS1_3genE9ELNS1_11target_archE1100ELNS1_3gpuE3ELNS1_3repE0EEENS1_30default_config_static_selectorELNS0_4arch9wavefront6targetE1EEEvT1_: ; @_ZN7rocprim17ROCPRIM_400000_NS6detail17trampoline_kernelINS0_14default_configENS1_25transform_config_selectorIlLb0EEEZNS1_14transform_implILb0ES3_S5_NS0_18transform_iteratorINS0_17counting_iteratorImlEEZNS1_24adjacent_difference_implIS3_Lb1ELb0EPlSB_ZN2at6native12_GLOBAL__N_124unique_dim_cuda_templateIjEESt5tupleIJNSC_6TensorESH_SH_EERKSH_lbbbEUlllE1_EE10hipError_tPvRmT2_T3_mT4_P12ihipStream_tbEUlmE_lEESB_NS0_8identityIvEEEESM_SP_SQ_mSR_ST_bEUlT_E_NS1_11comp_targetILNS1_3genE9ELNS1_11target_archE1100ELNS1_3gpuE3ELNS1_3repE0EEENS1_30default_config_static_selectorELNS0_4arch9wavefront6targetE1EEEvT1_
; %bb.0:
	.section	.rodata,"a",@progbits
	.p2align	6, 0x0
	.amdhsa_kernel _ZN7rocprim17ROCPRIM_400000_NS6detail17trampoline_kernelINS0_14default_configENS1_25transform_config_selectorIlLb0EEEZNS1_14transform_implILb0ES3_S5_NS0_18transform_iteratorINS0_17counting_iteratorImlEEZNS1_24adjacent_difference_implIS3_Lb1ELb0EPlSB_ZN2at6native12_GLOBAL__N_124unique_dim_cuda_templateIjEESt5tupleIJNSC_6TensorESH_SH_EERKSH_lbbbEUlllE1_EE10hipError_tPvRmT2_T3_mT4_P12ihipStream_tbEUlmE_lEESB_NS0_8identityIvEEEESM_SP_SQ_mSR_ST_bEUlT_E_NS1_11comp_targetILNS1_3genE9ELNS1_11target_archE1100ELNS1_3gpuE3ELNS1_3repE0EEENS1_30default_config_static_selectorELNS0_4arch9wavefront6targetE1EEEvT1_
		.amdhsa_group_segment_fixed_size 0
		.amdhsa_private_segment_fixed_size 0
		.amdhsa_kernarg_size 56
		.amdhsa_user_sgpr_count 6
		.amdhsa_user_sgpr_private_segment_buffer 1
		.amdhsa_user_sgpr_dispatch_ptr 0
		.amdhsa_user_sgpr_queue_ptr 0
		.amdhsa_user_sgpr_kernarg_segment_ptr 1
		.amdhsa_user_sgpr_dispatch_id 0
		.amdhsa_user_sgpr_flat_scratch_init 0
		.amdhsa_user_sgpr_kernarg_preload_length 0
		.amdhsa_user_sgpr_kernarg_preload_offset 0
		.amdhsa_user_sgpr_private_segment_size 0
		.amdhsa_uses_dynamic_stack 0
		.amdhsa_system_sgpr_private_segment_wavefront_offset 0
		.amdhsa_system_sgpr_workgroup_id_x 1
		.amdhsa_system_sgpr_workgroup_id_y 0
		.amdhsa_system_sgpr_workgroup_id_z 0
		.amdhsa_system_sgpr_workgroup_info 0
		.amdhsa_system_vgpr_workitem_id 0
		.amdhsa_next_free_vgpr 1
		.amdhsa_next_free_sgpr 0
		.amdhsa_accum_offset 4
		.amdhsa_reserve_vcc 0
		.amdhsa_reserve_flat_scratch 0
		.amdhsa_float_round_mode_32 0
		.amdhsa_float_round_mode_16_64 0
		.amdhsa_float_denorm_mode_32 3
		.amdhsa_float_denorm_mode_16_64 3
		.amdhsa_dx10_clamp 1
		.amdhsa_ieee_mode 1
		.amdhsa_fp16_overflow 0
		.amdhsa_tg_split 0
		.amdhsa_exception_fp_ieee_invalid_op 0
		.amdhsa_exception_fp_denorm_src 0
		.amdhsa_exception_fp_ieee_div_zero 0
		.amdhsa_exception_fp_ieee_overflow 0
		.amdhsa_exception_fp_ieee_underflow 0
		.amdhsa_exception_fp_ieee_inexact 0
		.amdhsa_exception_int_div_zero 0
	.end_amdhsa_kernel
	.section	.text._ZN7rocprim17ROCPRIM_400000_NS6detail17trampoline_kernelINS0_14default_configENS1_25transform_config_selectorIlLb0EEEZNS1_14transform_implILb0ES3_S5_NS0_18transform_iteratorINS0_17counting_iteratorImlEEZNS1_24adjacent_difference_implIS3_Lb1ELb0EPlSB_ZN2at6native12_GLOBAL__N_124unique_dim_cuda_templateIjEESt5tupleIJNSC_6TensorESH_SH_EERKSH_lbbbEUlllE1_EE10hipError_tPvRmT2_T3_mT4_P12ihipStream_tbEUlmE_lEESB_NS0_8identityIvEEEESM_SP_SQ_mSR_ST_bEUlT_E_NS1_11comp_targetILNS1_3genE9ELNS1_11target_archE1100ELNS1_3gpuE3ELNS1_3repE0EEENS1_30default_config_static_selectorELNS0_4arch9wavefront6targetE1EEEvT1_,"axG",@progbits,_ZN7rocprim17ROCPRIM_400000_NS6detail17trampoline_kernelINS0_14default_configENS1_25transform_config_selectorIlLb0EEEZNS1_14transform_implILb0ES3_S5_NS0_18transform_iteratorINS0_17counting_iteratorImlEEZNS1_24adjacent_difference_implIS3_Lb1ELb0EPlSB_ZN2at6native12_GLOBAL__N_124unique_dim_cuda_templateIjEESt5tupleIJNSC_6TensorESH_SH_EERKSH_lbbbEUlllE1_EE10hipError_tPvRmT2_T3_mT4_P12ihipStream_tbEUlmE_lEESB_NS0_8identityIvEEEESM_SP_SQ_mSR_ST_bEUlT_E_NS1_11comp_targetILNS1_3genE9ELNS1_11target_archE1100ELNS1_3gpuE3ELNS1_3repE0EEENS1_30default_config_static_selectorELNS0_4arch9wavefront6targetE1EEEvT1_,comdat
.Lfunc_end1529:
	.size	_ZN7rocprim17ROCPRIM_400000_NS6detail17trampoline_kernelINS0_14default_configENS1_25transform_config_selectorIlLb0EEEZNS1_14transform_implILb0ES3_S5_NS0_18transform_iteratorINS0_17counting_iteratorImlEEZNS1_24adjacent_difference_implIS3_Lb1ELb0EPlSB_ZN2at6native12_GLOBAL__N_124unique_dim_cuda_templateIjEESt5tupleIJNSC_6TensorESH_SH_EERKSH_lbbbEUlllE1_EE10hipError_tPvRmT2_T3_mT4_P12ihipStream_tbEUlmE_lEESB_NS0_8identityIvEEEESM_SP_SQ_mSR_ST_bEUlT_E_NS1_11comp_targetILNS1_3genE9ELNS1_11target_archE1100ELNS1_3gpuE3ELNS1_3repE0EEENS1_30default_config_static_selectorELNS0_4arch9wavefront6targetE1EEEvT1_, .Lfunc_end1529-_ZN7rocprim17ROCPRIM_400000_NS6detail17trampoline_kernelINS0_14default_configENS1_25transform_config_selectorIlLb0EEEZNS1_14transform_implILb0ES3_S5_NS0_18transform_iteratorINS0_17counting_iteratorImlEEZNS1_24adjacent_difference_implIS3_Lb1ELb0EPlSB_ZN2at6native12_GLOBAL__N_124unique_dim_cuda_templateIjEESt5tupleIJNSC_6TensorESH_SH_EERKSH_lbbbEUlllE1_EE10hipError_tPvRmT2_T3_mT4_P12ihipStream_tbEUlmE_lEESB_NS0_8identityIvEEEESM_SP_SQ_mSR_ST_bEUlT_E_NS1_11comp_targetILNS1_3genE9ELNS1_11target_archE1100ELNS1_3gpuE3ELNS1_3repE0EEENS1_30default_config_static_selectorELNS0_4arch9wavefront6targetE1EEEvT1_
                                        ; -- End function
	.section	.AMDGPU.csdata,"",@progbits
; Kernel info:
; codeLenInByte = 0
; NumSgprs: 4
; NumVgprs: 0
; NumAgprs: 0
; TotalNumVgprs: 0
; ScratchSize: 0
; MemoryBound: 0
; FloatMode: 240
; IeeeMode: 1
; LDSByteSize: 0 bytes/workgroup (compile time only)
; SGPRBlocks: 0
; VGPRBlocks: 0
; NumSGPRsForWavesPerEU: 4
; NumVGPRsForWavesPerEU: 1
; AccumOffset: 4
; Occupancy: 8
; WaveLimiterHint : 0
; COMPUTE_PGM_RSRC2:SCRATCH_EN: 0
; COMPUTE_PGM_RSRC2:USER_SGPR: 6
; COMPUTE_PGM_RSRC2:TRAP_HANDLER: 0
; COMPUTE_PGM_RSRC2:TGID_X_EN: 1
; COMPUTE_PGM_RSRC2:TGID_Y_EN: 0
; COMPUTE_PGM_RSRC2:TGID_Z_EN: 0
; COMPUTE_PGM_RSRC2:TIDIG_COMP_CNT: 0
; COMPUTE_PGM_RSRC3_GFX90A:ACCUM_OFFSET: 0
; COMPUTE_PGM_RSRC3_GFX90A:TG_SPLIT: 0
	.section	.text._ZN7rocprim17ROCPRIM_400000_NS6detail17trampoline_kernelINS0_14default_configENS1_25transform_config_selectorIlLb0EEEZNS1_14transform_implILb0ES3_S5_NS0_18transform_iteratorINS0_17counting_iteratorImlEEZNS1_24adjacent_difference_implIS3_Lb1ELb0EPlSB_ZN2at6native12_GLOBAL__N_124unique_dim_cuda_templateIjEESt5tupleIJNSC_6TensorESH_SH_EERKSH_lbbbEUlllE1_EE10hipError_tPvRmT2_T3_mT4_P12ihipStream_tbEUlmE_lEESB_NS0_8identityIvEEEESM_SP_SQ_mSR_ST_bEUlT_E_NS1_11comp_targetILNS1_3genE8ELNS1_11target_archE1030ELNS1_3gpuE2ELNS1_3repE0EEENS1_30default_config_static_selectorELNS0_4arch9wavefront6targetE1EEEvT1_,"axG",@progbits,_ZN7rocprim17ROCPRIM_400000_NS6detail17trampoline_kernelINS0_14default_configENS1_25transform_config_selectorIlLb0EEEZNS1_14transform_implILb0ES3_S5_NS0_18transform_iteratorINS0_17counting_iteratorImlEEZNS1_24adjacent_difference_implIS3_Lb1ELb0EPlSB_ZN2at6native12_GLOBAL__N_124unique_dim_cuda_templateIjEESt5tupleIJNSC_6TensorESH_SH_EERKSH_lbbbEUlllE1_EE10hipError_tPvRmT2_T3_mT4_P12ihipStream_tbEUlmE_lEESB_NS0_8identityIvEEEESM_SP_SQ_mSR_ST_bEUlT_E_NS1_11comp_targetILNS1_3genE8ELNS1_11target_archE1030ELNS1_3gpuE2ELNS1_3repE0EEENS1_30default_config_static_selectorELNS0_4arch9wavefront6targetE1EEEvT1_,comdat
	.globl	_ZN7rocprim17ROCPRIM_400000_NS6detail17trampoline_kernelINS0_14default_configENS1_25transform_config_selectorIlLb0EEEZNS1_14transform_implILb0ES3_S5_NS0_18transform_iteratorINS0_17counting_iteratorImlEEZNS1_24adjacent_difference_implIS3_Lb1ELb0EPlSB_ZN2at6native12_GLOBAL__N_124unique_dim_cuda_templateIjEESt5tupleIJNSC_6TensorESH_SH_EERKSH_lbbbEUlllE1_EE10hipError_tPvRmT2_T3_mT4_P12ihipStream_tbEUlmE_lEESB_NS0_8identityIvEEEESM_SP_SQ_mSR_ST_bEUlT_E_NS1_11comp_targetILNS1_3genE8ELNS1_11target_archE1030ELNS1_3gpuE2ELNS1_3repE0EEENS1_30default_config_static_selectorELNS0_4arch9wavefront6targetE1EEEvT1_ ; -- Begin function _ZN7rocprim17ROCPRIM_400000_NS6detail17trampoline_kernelINS0_14default_configENS1_25transform_config_selectorIlLb0EEEZNS1_14transform_implILb0ES3_S5_NS0_18transform_iteratorINS0_17counting_iteratorImlEEZNS1_24adjacent_difference_implIS3_Lb1ELb0EPlSB_ZN2at6native12_GLOBAL__N_124unique_dim_cuda_templateIjEESt5tupleIJNSC_6TensorESH_SH_EERKSH_lbbbEUlllE1_EE10hipError_tPvRmT2_T3_mT4_P12ihipStream_tbEUlmE_lEESB_NS0_8identityIvEEEESM_SP_SQ_mSR_ST_bEUlT_E_NS1_11comp_targetILNS1_3genE8ELNS1_11target_archE1030ELNS1_3gpuE2ELNS1_3repE0EEENS1_30default_config_static_selectorELNS0_4arch9wavefront6targetE1EEEvT1_
	.p2align	8
	.type	_ZN7rocprim17ROCPRIM_400000_NS6detail17trampoline_kernelINS0_14default_configENS1_25transform_config_selectorIlLb0EEEZNS1_14transform_implILb0ES3_S5_NS0_18transform_iteratorINS0_17counting_iteratorImlEEZNS1_24adjacent_difference_implIS3_Lb1ELb0EPlSB_ZN2at6native12_GLOBAL__N_124unique_dim_cuda_templateIjEESt5tupleIJNSC_6TensorESH_SH_EERKSH_lbbbEUlllE1_EE10hipError_tPvRmT2_T3_mT4_P12ihipStream_tbEUlmE_lEESB_NS0_8identityIvEEEESM_SP_SQ_mSR_ST_bEUlT_E_NS1_11comp_targetILNS1_3genE8ELNS1_11target_archE1030ELNS1_3gpuE2ELNS1_3repE0EEENS1_30default_config_static_selectorELNS0_4arch9wavefront6targetE1EEEvT1_,@function
_ZN7rocprim17ROCPRIM_400000_NS6detail17trampoline_kernelINS0_14default_configENS1_25transform_config_selectorIlLb0EEEZNS1_14transform_implILb0ES3_S5_NS0_18transform_iteratorINS0_17counting_iteratorImlEEZNS1_24adjacent_difference_implIS3_Lb1ELb0EPlSB_ZN2at6native12_GLOBAL__N_124unique_dim_cuda_templateIjEESt5tupleIJNSC_6TensorESH_SH_EERKSH_lbbbEUlllE1_EE10hipError_tPvRmT2_T3_mT4_P12ihipStream_tbEUlmE_lEESB_NS0_8identityIvEEEESM_SP_SQ_mSR_ST_bEUlT_E_NS1_11comp_targetILNS1_3genE8ELNS1_11target_archE1030ELNS1_3gpuE2ELNS1_3repE0EEENS1_30default_config_static_selectorELNS0_4arch9wavefront6targetE1EEEvT1_: ; @_ZN7rocprim17ROCPRIM_400000_NS6detail17trampoline_kernelINS0_14default_configENS1_25transform_config_selectorIlLb0EEEZNS1_14transform_implILb0ES3_S5_NS0_18transform_iteratorINS0_17counting_iteratorImlEEZNS1_24adjacent_difference_implIS3_Lb1ELb0EPlSB_ZN2at6native12_GLOBAL__N_124unique_dim_cuda_templateIjEESt5tupleIJNSC_6TensorESH_SH_EERKSH_lbbbEUlllE1_EE10hipError_tPvRmT2_T3_mT4_P12ihipStream_tbEUlmE_lEESB_NS0_8identityIvEEEESM_SP_SQ_mSR_ST_bEUlT_E_NS1_11comp_targetILNS1_3genE8ELNS1_11target_archE1030ELNS1_3gpuE2ELNS1_3repE0EEENS1_30default_config_static_selectorELNS0_4arch9wavefront6targetE1EEEvT1_
; %bb.0:
	.section	.rodata,"a",@progbits
	.p2align	6, 0x0
	.amdhsa_kernel _ZN7rocprim17ROCPRIM_400000_NS6detail17trampoline_kernelINS0_14default_configENS1_25transform_config_selectorIlLb0EEEZNS1_14transform_implILb0ES3_S5_NS0_18transform_iteratorINS0_17counting_iteratorImlEEZNS1_24adjacent_difference_implIS3_Lb1ELb0EPlSB_ZN2at6native12_GLOBAL__N_124unique_dim_cuda_templateIjEESt5tupleIJNSC_6TensorESH_SH_EERKSH_lbbbEUlllE1_EE10hipError_tPvRmT2_T3_mT4_P12ihipStream_tbEUlmE_lEESB_NS0_8identityIvEEEESM_SP_SQ_mSR_ST_bEUlT_E_NS1_11comp_targetILNS1_3genE8ELNS1_11target_archE1030ELNS1_3gpuE2ELNS1_3repE0EEENS1_30default_config_static_selectorELNS0_4arch9wavefront6targetE1EEEvT1_
		.amdhsa_group_segment_fixed_size 0
		.amdhsa_private_segment_fixed_size 0
		.amdhsa_kernarg_size 56
		.amdhsa_user_sgpr_count 6
		.amdhsa_user_sgpr_private_segment_buffer 1
		.amdhsa_user_sgpr_dispatch_ptr 0
		.amdhsa_user_sgpr_queue_ptr 0
		.amdhsa_user_sgpr_kernarg_segment_ptr 1
		.amdhsa_user_sgpr_dispatch_id 0
		.amdhsa_user_sgpr_flat_scratch_init 0
		.amdhsa_user_sgpr_kernarg_preload_length 0
		.amdhsa_user_sgpr_kernarg_preload_offset 0
		.amdhsa_user_sgpr_private_segment_size 0
		.amdhsa_uses_dynamic_stack 0
		.amdhsa_system_sgpr_private_segment_wavefront_offset 0
		.amdhsa_system_sgpr_workgroup_id_x 1
		.amdhsa_system_sgpr_workgroup_id_y 0
		.amdhsa_system_sgpr_workgroup_id_z 0
		.amdhsa_system_sgpr_workgroup_info 0
		.amdhsa_system_vgpr_workitem_id 0
		.amdhsa_next_free_vgpr 1
		.amdhsa_next_free_sgpr 0
		.amdhsa_accum_offset 4
		.amdhsa_reserve_vcc 0
		.amdhsa_reserve_flat_scratch 0
		.amdhsa_float_round_mode_32 0
		.amdhsa_float_round_mode_16_64 0
		.amdhsa_float_denorm_mode_32 3
		.amdhsa_float_denorm_mode_16_64 3
		.amdhsa_dx10_clamp 1
		.amdhsa_ieee_mode 1
		.amdhsa_fp16_overflow 0
		.amdhsa_tg_split 0
		.amdhsa_exception_fp_ieee_invalid_op 0
		.amdhsa_exception_fp_denorm_src 0
		.amdhsa_exception_fp_ieee_div_zero 0
		.amdhsa_exception_fp_ieee_overflow 0
		.amdhsa_exception_fp_ieee_underflow 0
		.amdhsa_exception_fp_ieee_inexact 0
		.amdhsa_exception_int_div_zero 0
	.end_amdhsa_kernel
	.section	.text._ZN7rocprim17ROCPRIM_400000_NS6detail17trampoline_kernelINS0_14default_configENS1_25transform_config_selectorIlLb0EEEZNS1_14transform_implILb0ES3_S5_NS0_18transform_iteratorINS0_17counting_iteratorImlEEZNS1_24adjacent_difference_implIS3_Lb1ELb0EPlSB_ZN2at6native12_GLOBAL__N_124unique_dim_cuda_templateIjEESt5tupleIJNSC_6TensorESH_SH_EERKSH_lbbbEUlllE1_EE10hipError_tPvRmT2_T3_mT4_P12ihipStream_tbEUlmE_lEESB_NS0_8identityIvEEEESM_SP_SQ_mSR_ST_bEUlT_E_NS1_11comp_targetILNS1_3genE8ELNS1_11target_archE1030ELNS1_3gpuE2ELNS1_3repE0EEENS1_30default_config_static_selectorELNS0_4arch9wavefront6targetE1EEEvT1_,"axG",@progbits,_ZN7rocprim17ROCPRIM_400000_NS6detail17trampoline_kernelINS0_14default_configENS1_25transform_config_selectorIlLb0EEEZNS1_14transform_implILb0ES3_S5_NS0_18transform_iteratorINS0_17counting_iteratorImlEEZNS1_24adjacent_difference_implIS3_Lb1ELb0EPlSB_ZN2at6native12_GLOBAL__N_124unique_dim_cuda_templateIjEESt5tupleIJNSC_6TensorESH_SH_EERKSH_lbbbEUlllE1_EE10hipError_tPvRmT2_T3_mT4_P12ihipStream_tbEUlmE_lEESB_NS0_8identityIvEEEESM_SP_SQ_mSR_ST_bEUlT_E_NS1_11comp_targetILNS1_3genE8ELNS1_11target_archE1030ELNS1_3gpuE2ELNS1_3repE0EEENS1_30default_config_static_selectorELNS0_4arch9wavefront6targetE1EEEvT1_,comdat
.Lfunc_end1530:
	.size	_ZN7rocprim17ROCPRIM_400000_NS6detail17trampoline_kernelINS0_14default_configENS1_25transform_config_selectorIlLb0EEEZNS1_14transform_implILb0ES3_S5_NS0_18transform_iteratorINS0_17counting_iteratorImlEEZNS1_24adjacent_difference_implIS3_Lb1ELb0EPlSB_ZN2at6native12_GLOBAL__N_124unique_dim_cuda_templateIjEESt5tupleIJNSC_6TensorESH_SH_EERKSH_lbbbEUlllE1_EE10hipError_tPvRmT2_T3_mT4_P12ihipStream_tbEUlmE_lEESB_NS0_8identityIvEEEESM_SP_SQ_mSR_ST_bEUlT_E_NS1_11comp_targetILNS1_3genE8ELNS1_11target_archE1030ELNS1_3gpuE2ELNS1_3repE0EEENS1_30default_config_static_selectorELNS0_4arch9wavefront6targetE1EEEvT1_, .Lfunc_end1530-_ZN7rocprim17ROCPRIM_400000_NS6detail17trampoline_kernelINS0_14default_configENS1_25transform_config_selectorIlLb0EEEZNS1_14transform_implILb0ES3_S5_NS0_18transform_iteratorINS0_17counting_iteratorImlEEZNS1_24adjacent_difference_implIS3_Lb1ELb0EPlSB_ZN2at6native12_GLOBAL__N_124unique_dim_cuda_templateIjEESt5tupleIJNSC_6TensorESH_SH_EERKSH_lbbbEUlllE1_EE10hipError_tPvRmT2_T3_mT4_P12ihipStream_tbEUlmE_lEESB_NS0_8identityIvEEEESM_SP_SQ_mSR_ST_bEUlT_E_NS1_11comp_targetILNS1_3genE8ELNS1_11target_archE1030ELNS1_3gpuE2ELNS1_3repE0EEENS1_30default_config_static_selectorELNS0_4arch9wavefront6targetE1EEEvT1_
                                        ; -- End function
	.section	.AMDGPU.csdata,"",@progbits
; Kernel info:
; codeLenInByte = 0
; NumSgprs: 4
; NumVgprs: 0
; NumAgprs: 0
; TotalNumVgprs: 0
; ScratchSize: 0
; MemoryBound: 0
; FloatMode: 240
; IeeeMode: 1
; LDSByteSize: 0 bytes/workgroup (compile time only)
; SGPRBlocks: 0
; VGPRBlocks: 0
; NumSGPRsForWavesPerEU: 4
; NumVGPRsForWavesPerEU: 1
; AccumOffset: 4
; Occupancy: 8
; WaveLimiterHint : 0
; COMPUTE_PGM_RSRC2:SCRATCH_EN: 0
; COMPUTE_PGM_RSRC2:USER_SGPR: 6
; COMPUTE_PGM_RSRC2:TRAP_HANDLER: 0
; COMPUTE_PGM_RSRC2:TGID_X_EN: 1
; COMPUTE_PGM_RSRC2:TGID_Y_EN: 0
; COMPUTE_PGM_RSRC2:TGID_Z_EN: 0
; COMPUTE_PGM_RSRC2:TIDIG_COMP_CNT: 0
; COMPUTE_PGM_RSRC3_GFX90A:ACCUM_OFFSET: 0
; COMPUTE_PGM_RSRC3_GFX90A:TG_SPLIT: 0
	.section	.text._ZN7rocprim17ROCPRIM_400000_NS6detail17trampoline_kernelINS0_14default_configENS1_35adjacent_difference_config_selectorILb1ElEEZNS1_24adjacent_difference_implIS3_Lb1ELb0EPlS7_ZN2at6native12_GLOBAL__N_124unique_dim_cuda_templateIjEESt5tupleIJNS8_6TensorESD_SD_EERKSD_lbbbEUlllE1_EE10hipError_tPvRmT2_T3_mT4_P12ihipStream_tbEUlT_E_NS1_11comp_targetILNS1_3genE0ELNS1_11target_archE4294967295ELNS1_3gpuE0ELNS1_3repE0EEENS1_30default_config_static_selectorELNS0_4arch9wavefront6targetE1EEEvT1_,"axG",@progbits,_ZN7rocprim17ROCPRIM_400000_NS6detail17trampoline_kernelINS0_14default_configENS1_35adjacent_difference_config_selectorILb1ElEEZNS1_24adjacent_difference_implIS3_Lb1ELb0EPlS7_ZN2at6native12_GLOBAL__N_124unique_dim_cuda_templateIjEESt5tupleIJNS8_6TensorESD_SD_EERKSD_lbbbEUlllE1_EE10hipError_tPvRmT2_T3_mT4_P12ihipStream_tbEUlT_E_NS1_11comp_targetILNS1_3genE0ELNS1_11target_archE4294967295ELNS1_3gpuE0ELNS1_3repE0EEENS1_30default_config_static_selectorELNS0_4arch9wavefront6targetE1EEEvT1_,comdat
	.globl	_ZN7rocprim17ROCPRIM_400000_NS6detail17trampoline_kernelINS0_14default_configENS1_35adjacent_difference_config_selectorILb1ElEEZNS1_24adjacent_difference_implIS3_Lb1ELb0EPlS7_ZN2at6native12_GLOBAL__N_124unique_dim_cuda_templateIjEESt5tupleIJNS8_6TensorESD_SD_EERKSD_lbbbEUlllE1_EE10hipError_tPvRmT2_T3_mT4_P12ihipStream_tbEUlT_E_NS1_11comp_targetILNS1_3genE0ELNS1_11target_archE4294967295ELNS1_3gpuE0ELNS1_3repE0EEENS1_30default_config_static_selectorELNS0_4arch9wavefront6targetE1EEEvT1_ ; -- Begin function _ZN7rocprim17ROCPRIM_400000_NS6detail17trampoline_kernelINS0_14default_configENS1_35adjacent_difference_config_selectorILb1ElEEZNS1_24adjacent_difference_implIS3_Lb1ELb0EPlS7_ZN2at6native12_GLOBAL__N_124unique_dim_cuda_templateIjEESt5tupleIJNS8_6TensorESD_SD_EERKSD_lbbbEUlllE1_EE10hipError_tPvRmT2_T3_mT4_P12ihipStream_tbEUlT_E_NS1_11comp_targetILNS1_3genE0ELNS1_11target_archE4294967295ELNS1_3gpuE0ELNS1_3repE0EEENS1_30default_config_static_selectorELNS0_4arch9wavefront6targetE1EEEvT1_
	.p2align	8
	.type	_ZN7rocprim17ROCPRIM_400000_NS6detail17trampoline_kernelINS0_14default_configENS1_35adjacent_difference_config_selectorILb1ElEEZNS1_24adjacent_difference_implIS3_Lb1ELb0EPlS7_ZN2at6native12_GLOBAL__N_124unique_dim_cuda_templateIjEESt5tupleIJNS8_6TensorESD_SD_EERKSD_lbbbEUlllE1_EE10hipError_tPvRmT2_T3_mT4_P12ihipStream_tbEUlT_E_NS1_11comp_targetILNS1_3genE0ELNS1_11target_archE4294967295ELNS1_3gpuE0ELNS1_3repE0EEENS1_30default_config_static_selectorELNS0_4arch9wavefront6targetE1EEEvT1_,@function
_ZN7rocprim17ROCPRIM_400000_NS6detail17trampoline_kernelINS0_14default_configENS1_35adjacent_difference_config_selectorILb1ElEEZNS1_24adjacent_difference_implIS3_Lb1ELb0EPlS7_ZN2at6native12_GLOBAL__N_124unique_dim_cuda_templateIjEESt5tupleIJNS8_6TensorESD_SD_EERKSD_lbbbEUlllE1_EE10hipError_tPvRmT2_T3_mT4_P12ihipStream_tbEUlT_E_NS1_11comp_targetILNS1_3genE0ELNS1_11target_archE4294967295ELNS1_3gpuE0ELNS1_3repE0EEENS1_30default_config_static_selectorELNS0_4arch9wavefront6targetE1EEEvT1_: ; @_ZN7rocprim17ROCPRIM_400000_NS6detail17trampoline_kernelINS0_14default_configENS1_35adjacent_difference_config_selectorILb1ElEEZNS1_24adjacent_difference_implIS3_Lb1ELb0EPlS7_ZN2at6native12_GLOBAL__N_124unique_dim_cuda_templateIjEESt5tupleIJNS8_6TensorESD_SD_EERKSD_lbbbEUlllE1_EE10hipError_tPvRmT2_T3_mT4_P12ihipStream_tbEUlT_E_NS1_11comp_targetILNS1_3genE0ELNS1_11target_archE4294967295ELNS1_3gpuE0ELNS1_3repE0EEENS1_30default_config_static_selectorELNS0_4arch9wavefront6targetE1EEEvT1_
; %bb.0:
	.section	.rodata,"a",@progbits
	.p2align	6, 0x0
	.amdhsa_kernel _ZN7rocprim17ROCPRIM_400000_NS6detail17trampoline_kernelINS0_14default_configENS1_35adjacent_difference_config_selectorILb1ElEEZNS1_24adjacent_difference_implIS3_Lb1ELb0EPlS7_ZN2at6native12_GLOBAL__N_124unique_dim_cuda_templateIjEESt5tupleIJNS8_6TensorESD_SD_EERKSD_lbbbEUlllE1_EE10hipError_tPvRmT2_T3_mT4_P12ihipStream_tbEUlT_E_NS1_11comp_targetILNS1_3genE0ELNS1_11target_archE4294967295ELNS1_3gpuE0ELNS1_3repE0EEENS1_30default_config_static_selectorELNS0_4arch9wavefront6targetE1EEEvT1_
		.amdhsa_group_segment_fixed_size 0
		.amdhsa_private_segment_fixed_size 0
		.amdhsa_kernarg_size 64
		.amdhsa_user_sgpr_count 6
		.amdhsa_user_sgpr_private_segment_buffer 1
		.amdhsa_user_sgpr_dispatch_ptr 0
		.amdhsa_user_sgpr_queue_ptr 0
		.amdhsa_user_sgpr_kernarg_segment_ptr 1
		.amdhsa_user_sgpr_dispatch_id 0
		.amdhsa_user_sgpr_flat_scratch_init 0
		.amdhsa_user_sgpr_kernarg_preload_length 0
		.amdhsa_user_sgpr_kernarg_preload_offset 0
		.amdhsa_user_sgpr_private_segment_size 0
		.amdhsa_uses_dynamic_stack 0
		.amdhsa_system_sgpr_private_segment_wavefront_offset 0
		.amdhsa_system_sgpr_workgroup_id_x 1
		.amdhsa_system_sgpr_workgroup_id_y 0
		.amdhsa_system_sgpr_workgroup_id_z 0
		.amdhsa_system_sgpr_workgroup_info 0
		.amdhsa_system_vgpr_workitem_id 0
		.amdhsa_next_free_vgpr 1
		.amdhsa_next_free_sgpr 0
		.amdhsa_accum_offset 4
		.amdhsa_reserve_vcc 0
		.amdhsa_reserve_flat_scratch 0
		.amdhsa_float_round_mode_32 0
		.amdhsa_float_round_mode_16_64 0
		.amdhsa_float_denorm_mode_32 3
		.amdhsa_float_denorm_mode_16_64 3
		.amdhsa_dx10_clamp 1
		.amdhsa_ieee_mode 1
		.amdhsa_fp16_overflow 0
		.amdhsa_tg_split 0
		.amdhsa_exception_fp_ieee_invalid_op 0
		.amdhsa_exception_fp_denorm_src 0
		.amdhsa_exception_fp_ieee_div_zero 0
		.amdhsa_exception_fp_ieee_overflow 0
		.amdhsa_exception_fp_ieee_underflow 0
		.amdhsa_exception_fp_ieee_inexact 0
		.amdhsa_exception_int_div_zero 0
	.end_amdhsa_kernel
	.section	.text._ZN7rocprim17ROCPRIM_400000_NS6detail17trampoline_kernelINS0_14default_configENS1_35adjacent_difference_config_selectorILb1ElEEZNS1_24adjacent_difference_implIS3_Lb1ELb0EPlS7_ZN2at6native12_GLOBAL__N_124unique_dim_cuda_templateIjEESt5tupleIJNS8_6TensorESD_SD_EERKSD_lbbbEUlllE1_EE10hipError_tPvRmT2_T3_mT4_P12ihipStream_tbEUlT_E_NS1_11comp_targetILNS1_3genE0ELNS1_11target_archE4294967295ELNS1_3gpuE0ELNS1_3repE0EEENS1_30default_config_static_selectorELNS0_4arch9wavefront6targetE1EEEvT1_,"axG",@progbits,_ZN7rocprim17ROCPRIM_400000_NS6detail17trampoline_kernelINS0_14default_configENS1_35adjacent_difference_config_selectorILb1ElEEZNS1_24adjacent_difference_implIS3_Lb1ELb0EPlS7_ZN2at6native12_GLOBAL__N_124unique_dim_cuda_templateIjEESt5tupleIJNS8_6TensorESD_SD_EERKSD_lbbbEUlllE1_EE10hipError_tPvRmT2_T3_mT4_P12ihipStream_tbEUlT_E_NS1_11comp_targetILNS1_3genE0ELNS1_11target_archE4294967295ELNS1_3gpuE0ELNS1_3repE0EEENS1_30default_config_static_selectorELNS0_4arch9wavefront6targetE1EEEvT1_,comdat
.Lfunc_end1531:
	.size	_ZN7rocprim17ROCPRIM_400000_NS6detail17trampoline_kernelINS0_14default_configENS1_35adjacent_difference_config_selectorILb1ElEEZNS1_24adjacent_difference_implIS3_Lb1ELb0EPlS7_ZN2at6native12_GLOBAL__N_124unique_dim_cuda_templateIjEESt5tupleIJNS8_6TensorESD_SD_EERKSD_lbbbEUlllE1_EE10hipError_tPvRmT2_T3_mT4_P12ihipStream_tbEUlT_E_NS1_11comp_targetILNS1_3genE0ELNS1_11target_archE4294967295ELNS1_3gpuE0ELNS1_3repE0EEENS1_30default_config_static_selectorELNS0_4arch9wavefront6targetE1EEEvT1_, .Lfunc_end1531-_ZN7rocprim17ROCPRIM_400000_NS6detail17trampoline_kernelINS0_14default_configENS1_35adjacent_difference_config_selectorILb1ElEEZNS1_24adjacent_difference_implIS3_Lb1ELb0EPlS7_ZN2at6native12_GLOBAL__N_124unique_dim_cuda_templateIjEESt5tupleIJNS8_6TensorESD_SD_EERKSD_lbbbEUlllE1_EE10hipError_tPvRmT2_T3_mT4_P12ihipStream_tbEUlT_E_NS1_11comp_targetILNS1_3genE0ELNS1_11target_archE4294967295ELNS1_3gpuE0ELNS1_3repE0EEENS1_30default_config_static_selectorELNS0_4arch9wavefront6targetE1EEEvT1_
                                        ; -- End function
	.section	.AMDGPU.csdata,"",@progbits
; Kernel info:
; codeLenInByte = 0
; NumSgprs: 4
; NumVgprs: 0
; NumAgprs: 0
; TotalNumVgprs: 0
; ScratchSize: 0
; MemoryBound: 0
; FloatMode: 240
; IeeeMode: 1
; LDSByteSize: 0 bytes/workgroup (compile time only)
; SGPRBlocks: 0
; VGPRBlocks: 0
; NumSGPRsForWavesPerEU: 4
; NumVGPRsForWavesPerEU: 1
; AccumOffset: 4
; Occupancy: 8
; WaveLimiterHint : 0
; COMPUTE_PGM_RSRC2:SCRATCH_EN: 0
; COMPUTE_PGM_RSRC2:USER_SGPR: 6
; COMPUTE_PGM_RSRC2:TRAP_HANDLER: 0
; COMPUTE_PGM_RSRC2:TGID_X_EN: 1
; COMPUTE_PGM_RSRC2:TGID_Y_EN: 0
; COMPUTE_PGM_RSRC2:TGID_Z_EN: 0
; COMPUTE_PGM_RSRC2:TIDIG_COMP_CNT: 0
; COMPUTE_PGM_RSRC3_GFX90A:ACCUM_OFFSET: 0
; COMPUTE_PGM_RSRC3_GFX90A:TG_SPLIT: 0
	.section	.text._ZN7rocprim17ROCPRIM_400000_NS6detail17trampoline_kernelINS0_14default_configENS1_35adjacent_difference_config_selectorILb1ElEEZNS1_24adjacent_difference_implIS3_Lb1ELb0EPlS7_ZN2at6native12_GLOBAL__N_124unique_dim_cuda_templateIjEESt5tupleIJNS8_6TensorESD_SD_EERKSD_lbbbEUlllE1_EE10hipError_tPvRmT2_T3_mT4_P12ihipStream_tbEUlT_E_NS1_11comp_targetILNS1_3genE10ELNS1_11target_archE1201ELNS1_3gpuE5ELNS1_3repE0EEENS1_30default_config_static_selectorELNS0_4arch9wavefront6targetE1EEEvT1_,"axG",@progbits,_ZN7rocprim17ROCPRIM_400000_NS6detail17trampoline_kernelINS0_14default_configENS1_35adjacent_difference_config_selectorILb1ElEEZNS1_24adjacent_difference_implIS3_Lb1ELb0EPlS7_ZN2at6native12_GLOBAL__N_124unique_dim_cuda_templateIjEESt5tupleIJNS8_6TensorESD_SD_EERKSD_lbbbEUlllE1_EE10hipError_tPvRmT2_T3_mT4_P12ihipStream_tbEUlT_E_NS1_11comp_targetILNS1_3genE10ELNS1_11target_archE1201ELNS1_3gpuE5ELNS1_3repE0EEENS1_30default_config_static_selectorELNS0_4arch9wavefront6targetE1EEEvT1_,comdat
	.globl	_ZN7rocprim17ROCPRIM_400000_NS6detail17trampoline_kernelINS0_14default_configENS1_35adjacent_difference_config_selectorILb1ElEEZNS1_24adjacent_difference_implIS3_Lb1ELb0EPlS7_ZN2at6native12_GLOBAL__N_124unique_dim_cuda_templateIjEESt5tupleIJNS8_6TensorESD_SD_EERKSD_lbbbEUlllE1_EE10hipError_tPvRmT2_T3_mT4_P12ihipStream_tbEUlT_E_NS1_11comp_targetILNS1_3genE10ELNS1_11target_archE1201ELNS1_3gpuE5ELNS1_3repE0EEENS1_30default_config_static_selectorELNS0_4arch9wavefront6targetE1EEEvT1_ ; -- Begin function _ZN7rocprim17ROCPRIM_400000_NS6detail17trampoline_kernelINS0_14default_configENS1_35adjacent_difference_config_selectorILb1ElEEZNS1_24adjacent_difference_implIS3_Lb1ELb0EPlS7_ZN2at6native12_GLOBAL__N_124unique_dim_cuda_templateIjEESt5tupleIJNS8_6TensorESD_SD_EERKSD_lbbbEUlllE1_EE10hipError_tPvRmT2_T3_mT4_P12ihipStream_tbEUlT_E_NS1_11comp_targetILNS1_3genE10ELNS1_11target_archE1201ELNS1_3gpuE5ELNS1_3repE0EEENS1_30default_config_static_selectorELNS0_4arch9wavefront6targetE1EEEvT1_
	.p2align	8
	.type	_ZN7rocprim17ROCPRIM_400000_NS6detail17trampoline_kernelINS0_14default_configENS1_35adjacent_difference_config_selectorILb1ElEEZNS1_24adjacent_difference_implIS3_Lb1ELb0EPlS7_ZN2at6native12_GLOBAL__N_124unique_dim_cuda_templateIjEESt5tupleIJNS8_6TensorESD_SD_EERKSD_lbbbEUlllE1_EE10hipError_tPvRmT2_T3_mT4_P12ihipStream_tbEUlT_E_NS1_11comp_targetILNS1_3genE10ELNS1_11target_archE1201ELNS1_3gpuE5ELNS1_3repE0EEENS1_30default_config_static_selectorELNS0_4arch9wavefront6targetE1EEEvT1_,@function
_ZN7rocprim17ROCPRIM_400000_NS6detail17trampoline_kernelINS0_14default_configENS1_35adjacent_difference_config_selectorILb1ElEEZNS1_24adjacent_difference_implIS3_Lb1ELb0EPlS7_ZN2at6native12_GLOBAL__N_124unique_dim_cuda_templateIjEESt5tupleIJNS8_6TensorESD_SD_EERKSD_lbbbEUlllE1_EE10hipError_tPvRmT2_T3_mT4_P12ihipStream_tbEUlT_E_NS1_11comp_targetILNS1_3genE10ELNS1_11target_archE1201ELNS1_3gpuE5ELNS1_3repE0EEENS1_30default_config_static_selectorELNS0_4arch9wavefront6targetE1EEEvT1_: ; @_ZN7rocprim17ROCPRIM_400000_NS6detail17trampoline_kernelINS0_14default_configENS1_35adjacent_difference_config_selectorILb1ElEEZNS1_24adjacent_difference_implIS3_Lb1ELb0EPlS7_ZN2at6native12_GLOBAL__N_124unique_dim_cuda_templateIjEESt5tupleIJNS8_6TensorESD_SD_EERKSD_lbbbEUlllE1_EE10hipError_tPvRmT2_T3_mT4_P12ihipStream_tbEUlT_E_NS1_11comp_targetILNS1_3genE10ELNS1_11target_archE1201ELNS1_3gpuE5ELNS1_3repE0EEENS1_30default_config_static_selectorELNS0_4arch9wavefront6targetE1EEEvT1_
; %bb.0:
	.section	.rodata,"a",@progbits
	.p2align	6, 0x0
	.amdhsa_kernel _ZN7rocprim17ROCPRIM_400000_NS6detail17trampoline_kernelINS0_14default_configENS1_35adjacent_difference_config_selectorILb1ElEEZNS1_24adjacent_difference_implIS3_Lb1ELb0EPlS7_ZN2at6native12_GLOBAL__N_124unique_dim_cuda_templateIjEESt5tupleIJNS8_6TensorESD_SD_EERKSD_lbbbEUlllE1_EE10hipError_tPvRmT2_T3_mT4_P12ihipStream_tbEUlT_E_NS1_11comp_targetILNS1_3genE10ELNS1_11target_archE1201ELNS1_3gpuE5ELNS1_3repE0EEENS1_30default_config_static_selectorELNS0_4arch9wavefront6targetE1EEEvT1_
		.amdhsa_group_segment_fixed_size 0
		.amdhsa_private_segment_fixed_size 0
		.amdhsa_kernarg_size 64
		.amdhsa_user_sgpr_count 6
		.amdhsa_user_sgpr_private_segment_buffer 1
		.amdhsa_user_sgpr_dispatch_ptr 0
		.amdhsa_user_sgpr_queue_ptr 0
		.amdhsa_user_sgpr_kernarg_segment_ptr 1
		.amdhsa_user_sgpr_dispatch_id 0
		.amdhsa_user_sgpr_flat_scratch_init 0
		.amdhsa_user_sgpr_kernarg_preload_length 0
		.amdhsa_user_sgpr_kernarg_preload_offset 0
		.amdhsa_user_sgpr_private_segment_size 0
		.amdhsa_uses_dynamic_stack 0
		.amdhsa_system_sgpr_private_segment_wavefront_offset 0
		.amdhsa_system_sgpr_workgroup_id_x 1
		.amdhsa_system_sgpr_workgroup_id_y 0
		.amdhsa_system_sgpr_workgroup_id_z 0
		.amdhsa_system_sgpr_workgroup_info 0
		.amdhsa_system_vgpr_workitem_id 0
		.amdhsa_next_free_vgpr 1
		.amdhsa_next_free_sgpr 0
		.amdhsa_accum_offset 4
		.amdhsa_reserve_vcc 0
		.amdhsa_reserve_flat_scratch 0
		.amdhsa_float_round_mode_32 0
		.amdhsa_float_round_mode_16_64 0
		.amdhsa_float_denorm_mode_32 3
		.amdhsa_float_denorm_mode_16_64 3
		.amdhsa_dx10_clamp 1
		.amdhsa_ieee_mode 1
		.amdhsa_fp16_overflow 0
		.amdhsa_tg_split 0
		.amdhsa_exception_fp_ieee_invalid_op 0
		.amdhsa_exception_fp_denorm_src 0
		.amdhsa_exception_fp_ieee_div_zero 0
		.amdhsa_exception_fp_ieee_overflow 0
		.amdhsa_exception_fp_ieee_underflow 0
		.amdhsa_exception_fp_ieee_inexact 0
		.amdhsa_exception_int_div_zero 0
	.end_amdhsa_kernel
	.section	.text._ZN7rocprim17ROCPRIM_400000_NS6detail17trampoline_kernelINS0_14default_configENS1_35adjacent_difference_config_selectorILb1ElEEZNS1_24adjacent_difference_implIS3_Lb1ELb0EPlS7_ZN2at6native12_GLOBAL__N_124unique_dim_cuda_templateIjEESt5tupleIJNS8_6TensorESD_SD_EERKSD_lbbbEUlllE1_EE10hipError_tPvRmT2_T3_mT4_P12ihipStream_tbEUlT_E_NS1_11comp_targetILNS1_3genE10ELNS1_11target_archE1201ELNS1_3gpuE5ELNS1_3repE0EEENS1_30default_config_static_selectorELNS0_4arch9wavefront6targetE1EEEvT1_,"axG",@progbits,_ZN7rocprim17ROCPRIM_400000_NS6detail17trampoline_kernelINS0_14default_configENS1_35adjacent_difference_config_selectorILb1ElEEZNS1_24adjacent_difference_implIS3_Lb1ELb0EPlS7_ZN2at6native12_GLOBAL__N_124unique_dim_cuda_templateIjEESt5tupleIJNS8_6TensorESD_SD_EERKSD_lbbbEUlllE1_EE10hipError_tPvRmT2_T3_mT4_P12ihipStream_tbEUlT_E_NS1_11comp_targetILNS1_3genE10ELNS1_11target_archE1201ELNS1_3gpuE5ELNS1_3repE0EEENS1_30default_config_static_selectorELNS0_4arch9wavefront6targetE1EEEvT1_,comdat
.Lfunc_end1532:
	.size	_ZN7rocprim17ROCPRIM_400000_NS6detail17trampoline_kernelINS0_14default_configENS1_35adjacent_difference_config_selectorILb1ElEEZNS1_24adjacent_difference_implIS3_Lb1ELb0EPlS7_ZN2at6native12_GLOBAL__N_124unique_dim_cuda_templateIjEESt5tupleIJNS8_6TensorESD_SD_EERKSD_lbbbEUlllE1_EE10hipError_tPvRmT2_T3_mT4_P12ihipStream_tbEUlT_E_NS1_11comp_targetILNS1_3genE10ELNS1_11target_archE1201ELNS1_3gpuE5ELNS1_3repE0EEENS1_30default_config_static_selectorELNS0_4arch9wavefront6targetE1EEEvT1_, .Lfunc_end1532-_ZN7rocprim17ROCPRIM_400000_NS6detail17trampoline_kernelINS0_14default_configENS1_35adjacent_difference_config_selectorILb1ElEEZNS1_24adjacent_difference_implIS3_Lb1ELb0EPlS7_ZN2at6native12_GLOBAL__N_124unique_dim_cuda_templateIjEESt5tupleIJNS8_6TensorESD_SD_EERKSD_lbbbEUlllE1_EE10hipError_tPvRmT2_T3_mT4_P12ihipStream_tbEUlT_E_NS1_11comp_targetILNS1_3genE10ELNS1_11target_archE1201ELNS1_3gpuE5ELNS1_3repE0EEENS1_30default_config_static_selectorELNS0_4arch9wavefront6targetE1EEEvT1_
                                        ; -- End function
	.section	.AMDGPU.csdata,"",@progbits
; Kernel info:
; codeLenInByte = 0
; NumSgprs: 4
; NumVgprs: 0
; NumAgprs: 0
; TotalNumVgprs: 0
; ScratchSize: 0
; MemoryBound: 0
; FloatMode: 240
; IeeeMode: 1
; LDSByteSize: 0 bytes/workgroup (compile time only)
; SGPRBlocks: 0
; VGPRBlocks: 0
; NumSGPRsForWavesPerEU: 4
; NumVGPRsForWavesPerEU: 1
; AccumOffset: 4
; Occupancy: 8
; WaveLimiterHint : 0
; COMPUTE_PGM_RSRC2:SCRATCH_EN: 0
; COMPUTE_PGM_RSRC2:USER_SGPR: 6
; COMPUTE_PGM_RSRC2:TRAP_HANDLER: 0
; COMPUTE_PGM_RSRC2:TGID_X_EN: 1
; COMPUTE_PGM_RSRC2:TGID_Y_EN: 0
; COMPUTE_PGM_RSRC2:TGID_Z_EN: 0
; COMPUTE_PGM_RSRC2:TIDIG_COMP_CNT: 0
; COMPUTE_PGM_RSRC3_GFX90A:ACCUM_OFFSET: 0
; COMPUTE_PGM_RSRC3_GFX90A:TG_SPLIT: 0
	.section	.text._ZN7rocprim17ROCPRIM_400000_NS6detail17trampoline_kernelINS0_14default_configENS1_35adjacent_difference_config_selectorILb1ElEEZNS1_24adjacent_difference_implIS3_Lb1ELb0EPlS7_ZN2at6native12_GLOBAL__N_124unique_dim_cuda_templateIjEESt5tupleIJNS8_6TensorESD_SD_EERKSD_lbbbEUlllE1_EE10hipError_tPvRmT2_T3_mT4_P12ihipStream_tbEUlT_E_NS1_11comp_targetILNS1_3genE5ELNS1_11target_archE942ELNS1_3gpuE9ELNS1_3repE0EEENS1_30default_config_static_selectorELNS0_4arch9wavefront6targetE1EEEvT1_,"axG",@progbits,_ZN7rocprim17ROCPRIM_400000_NS6detail17trampoline_kernelINS0_14default_configENS1_35adjacent_difference_config_selectorILb1ElEEZNS1_24adjacent_difference_implIS3_Lb1ELb0EPlS7_ZN2at6native12_GLOBAL__N_124unique_dim_cuda_templateIjEESt5tupleIJNS8_6TensorESD_SD_EERKSD_lbbbEUlllE1_EE10hipError_tPvRmT2_T3_mT4_P12ihipStream_tbEUlT_E_NS1_11comp_targetILNS1_3genE5ELNS1_11target_archE942ELNS1_3gpuE9ELNS1_3repE0EEENS1_30default_config_static_selectorELNS0_4arch9wavefront6targetE1EEEvT1_,comdat
	.globl	_ZN7rocprim17ROCPRIM_400000_NS6detail17trampoline_kernelINS0_14default_configENS1_35adjacent_difference_config_selectorILb1ElEEZNS1_24adjacent_difference_implIS3_Lb1ELb0EPlS7_ZN2at6native12_GLOBAL__N_124unique_dim_cuda_templateIjEESt5tupleIJNS8_6TensorESD_SD_EERKSD_lbbbEUlllE1_EE10hipError_tPvRmT2_T3_mT4_P12ihipStream_tbEUlT_E_NS1_11comp_targetILNS1_3genE5ELNS1_11target_archE942ELNS1_3gpuE9ELNS1_3repE0EEENS1_30default_config_static_selectorELNS0_4arch9wavefront6targetE1EEEvT1_ ; -- Begin function _ZN7rocprim17ROCPRIM_400000_NS6detail17trampoline_kernelINS0_14default_configENS1_35adjacent_difference_config_selectorILb1ElEEZNS1_24adjacent_difference_implIS3_Lb1ELb0EPlS7_ZN2at6native12_GLOBAL__N_124unique_dim_cuda_templateIjEESt5tupleIJNS8_6TensorESD_SD_EERKSD_lbbbEUlllE1_EE10hipError_tPvRmT2_T3_mT4_P12ihipStream_tbEUlT_E_NS1_11comp_targetILNS1_3genE5ELNS1_11target_archE942ELNS1_3gpuE9ELNS1_3repE0EEENS1_30default_config_static_selectorELNS0_4arch9wavefront6targetE1EEEvT1_
	.p2align	8
	.type	_ZN7rocprim17ROCPRIM_400000_NS6detail17trampoline_kernelINS0_14default_configENS1_35adjacent_difference_config_selectorILb1ElEEZNS1_24adjacent_difference_implIS3_Lb1ELb0EPlS7_ZN2at6native12_GLOBAL__N_124unique_dim_cuda_templateIjEESt5tupleIJNS8_6TensorESD_SD_EERKSD_lbbbEUlllE1_EE10hipError_tPvRmT2_T3_mT4_P12ihipStream_tbEUlT_E_NS1_11comp_targetILNS1_3genE5ELNS1_11target_archE942ELNS1_3gpuE9ELNS1_3repE0EEENS1_30default_config_static_selectorELNS0_4arch9wavefront6targetE1EEEvT1_,@function
_ZN7rocprim17ROCPRIM_400000_NS6detail17trampoline_kernelINS0_14default_configENS1_35adjacent_difference_config_selectorILb1ElEEZNS1_24adjacent_difference_implIS3_Lb1ELb0EPlS7_ZN2at6native12_GLOBAL__N_124unique_dim_cuda_templateIjEESt5tupleIJNS8_6TensorESD_SD_EERKSD_lbbbEUlllE1_EE10hipError_tPvRmT2_T3_mT4_P12ihipStream_tbEUlT_E_NS1_11comp_targetILNS1_3genE5ELNS1_11target_archE942ELNS1_3gpuE9ELNS1_3repE0EEENS1_30default_config_static_selectorELNS0_4arch9wavefront6targetE1EEEvT1_: ; @_ZN7rocprim17ROCPRIM_400000_NS6detail17trampoline_kernelINS0_14default_configENS1_35adjacent_difference_config_selectorILb1ElEEZNS1_24adjacent_difference_implIS3_Lb1ELb0EPlS7_ZN2at6native12_GLOBAL__N_124unique_dim_cuda_templateIjEESt5tupleIJNS8_6TensorESD_SD_EERKSD_lbbbEUlllE1_EE10hipError_tPvRmT2_T3_mT4_P12ihipStream_tbEUlT_E_NS1_11comp_targetILNS1_3genE5ELNS1_11target_archE942ELNS1_3gpuE9ELNS1_3repE0EEENS1_30default_config_static_selectorELNS0_4arch9wavefront6targetE1EEEvT1_
; %bb.0:
	.section	.rodata,"a",@progbits
	.p2align	6, 0x0
	.amdhsa_kernel _ZN7rocprim17ROCPRIM_400000_NS6detail17trampoline_kernelINS0_14default_configENS1_35adjacent_difference_config_selectorILb1ElEEZNS1_24adjacent_difference_implIS3_Lb1ELb0EPlS7_ZN2at6native12_GLOBAL__N_124unique_dim_cuda_templateIjEESt5tupleIJNS8_6TensorESD_SD_EERKSD_lbbbEUlllE1_EE10hipError_tPvRmT2_T3_mT4_P12ihipStream_tbEUlT_E_NS1_11comp_targetILNS1_3genE5ELNS1_11target_archE942ELNS1_3gpuE9ELNS1_3repE0EEENS1_30default_config_static_selectorELNS0_4arch9wavefront6targetE1EEEvT1_
		.amdhsa_group_segment_fixed_size 0
		.amdhsa_private_segment_fixed_size 0
		.amdhsa_kernarg_size 64
		.amdhsa_user_sgpr_count 6
		.amdhsa_user_sgpr_private_segment_buffer 1
		.amdhsa_user_sgpr_dispatch_ptr 0
		.amdhsa_user_sgpr_queue_ptr 0
		.amdhsa_user_sgpr_kernarg_segment_ptr 1
		.amdhsa_user_sgpr_dispatch_id 0
		.amdhsa_user_sgpr_flat_scratch_init 0
		.amdhsa_user_sgpr_kernarg_preload_length 0
		.amdhsa_user_sgpr_kernarg_preload_offset 0
		.amdhsa_user_sgpr_private_segment_size 0
		.amdhsa_uses_dynamic_stack 0
		.amdhsa_system_sgpr_private_segment_wavefront_offset 0
		.amdhsa_system_sgpr_workgroup_id_x 1
		.amdhsa_system_sgpr_workgroup_id_y 0
		.amdhsa_system_sgpr_workgroup_id_z 0
		.amdhsa_system_sgpr_workgroup_info 0
		.amdhsa_system_vgpr_workitem_id 0
		.amdhsa_next_free_vgpr 1
		.amdhsa_next_free_sgpr 0
		.amdhsa_accum_offset 4
		.amdhsa_reserve_vcc 0
		.amdhsa_reserve_flat_scratch 0
		.amdhsa_float_round_mode_32 0
		.amdhsa_float_round_mode_16_64 0
		.amdhsa_float_denorm_mode_32 3
		.amdhsa_float_denorm_mode_16_64 3
		.amdhsa_dx10_clamp 1
		.amdhsa_ieee_mode 1
		.amdhsa_fp16_overflow 0
		.amdhsa_tg_split 0
		.amdhsa_exception_fp_ieee_invalid_op 0
		.amdhsa_exception_fp_denorm_src 0
		.amdhsa_exception_fp_ieee_div_zero 0
		.amdhsa_exception_fp_ieee_overflow 0
		.amdhsa_exception_fp_ieee_underflow 0
		.amdhsa_exception_fp_ieee_inexact 0
		.amdhsa_exception_int_div_zero 0
	.end_amdhsa_kernel
	.section	.text._ZN7rocprim17ROCPRIM_400000_NS6detail17trampoline_kernelINS0_14default_configENS1_35adjacent_difference_config_selectorILb1ElEEZNS1_24adjacent_difference_implIS3_Lb1ELb0EPlS7_ZN2at6native12_GLOBAL__N_124unique_dim_cuda_templateIjEESt5tupleIJNS8_6TensorESD_SD_EERKSD_lbbbEUlllE1_EE10hipError_tPvRmT2_T3_mT4_P12ihipStream_tbEUlT_E_NS1_11comp_targetILNS1_3genE5ELNS1_11target_archE942ELNS1_3gpuE9ELNS1_3repE0EEENS1_30default_config_static_selectorELNS0_4arch9wavefront6targetE1EEEvT1_,"axG",@progbits,_ZN7rocprim17ROCPRIM_400000_NS6detail17trampoline_kernelINS0_14default_configENS1_35adjacent_difference_config_selectorILb1ElEEZNS1_24adjacent_difference_implIS3_Lb1ELb0EPlS7_ZN2at6native12_GLOBAL__N_124unique_dim_cuda_templateIjEESt5tupleIJNS8_6TensorESD_SD_EERKSD_lbbbEUlllE1_EE10hipError_tPvRmT2_T3_mT4_P12ihipStream_tbEUlT_E_NS1_11comp_targetILNS1_3genE5ELNS1_11target_archE942ELNS1_3gpuE9ELNS1_3repE0EEENS1_30default_config_static_selectorELNS0_4arch9wavefront6targetE1EEEvT1_,comdat
.Lfunc_end1533:
	.size	_ZN7rocprim17ROCPRIM_400000_NS6detail17trampoline_kernelINS0_14default_configENS1_35adjacent_difference_config_selectorILb1ElEEZNS1_24adjacent_difference_implIS3_Lb1ELb0EPlS7_ZN2at6native12_GLOBAL__N_124unique_dim_cuda_templateIjEESt5tupleIJNS8_6TensorESD_SD_EERKSD_lbbbEUlllE1_EE10hipError_tPvRmT2_T3_mT4_P12ihipStream_tbEUlT_E_NS1_11comp_targetILNS1_3genE5ELNS1_11target_archE942ELNS1_3gpuE9ELNS1_3repE0EEENS1_30default_config_static_selectorELNS0_4arch9wavefront6targetE1EEEvT1_, .Lfunc_end1533-_ZN7rocprim17ROCPRIM_400000_NS6detail17trampoline_kernelINS0_14default_configENS1_35adjacent_difference_config_selectorILb1ElEEZNS1_24adjacent_difference_implIS3_Lb1ELb0EPlS7_ZN2at6native12_GLOBAL__N_124unique_dim_cuda_templateIjEESt5tupleIJNS8_6TensorESD_SD_EERKSD_lbbbEUlllE1_EE10hipError_tPvRmT2_T3_mT4_P12ihipStream_tbEUlT_E_NS1_11comp_targetILNS1_3genE5ELNS1_11target_archE942ELNS1_3gpuE9ELNS1_3repE0EEENS1_30default_config_static_selectorELNS0_4arch9wavefront6targetE1EEEvT1_
                                        ; -- End function
	.section	.AMDGPU.csdata,"",@progbits
; Kernel info:
; codeLenInByte = 0
; NumSgprs: 4
; NumVgprs: 0
; NumAgprs: 0
; TotalNumVgprs: 0
; ScratchSize: 0
; MemoryBound: 0
; FloatMode: 240
; IeeeMode: 1
; LDSByteSize: 0 bytes/workgroup (compile time only)
; SGPRBlocks: 0
; VGPRBlocks: 0
; NumSGPRsForWavesPerEU: 4
; NumVGPRsForWavesPerEU: 1
; AccumOffset: 4
; Occupancy: 8
; WaveLimiterHint : 0
; COMPUTE_PGM_RSRC2:SCRATCH_EN: 0
; COMPUTE_PGM_RSRC2:USER_SGPR: 6
; COMPUTE_PGM_RSRC2:TRAP_HANDLER: 0
; COMPUTE_PGM_RSRC2:TGID_X_EN: 1
; COMPUTE_PGM_RSRC2:TGID_Y_EN: 0
; COMPUTE_PGM_RSRC2:TGID_Z_EN: 0
; COMPUTE_PGM_RSRC2:TIDIG_COMP_CNT: 0
; COMPUTE_PGM_RSRC3_GFX90A:ACCUM_OFFSET: 0
; COMPUTE_PGM_RSRC3_GFX90A:TG_SPLIT: 0
	.section	.text._ZN7rocprim17ROCPRIM_400000_NS6detail17trampoline_kernelINS0_14default_configENS1_35adjacent_difference_config_selectorILb1ElEEZNS1_24adjacent_difference_implIS3_Lb1ELb0EPlS7_ZN2at6native12_GLOBAL__N_124unique_dim_cuda_templateIjEESt5tupleIJNS8_6TensorESD_SD_EERKSD_lbbbEUlllE1_EE10hipError_tPvRmT2_T3_mT4_P12ihipStream_tbEUlT_E_NS1_11comp_targetILNS1_3genE4ELNS1_11target_archE910ELNS1_3gpuE8ELNS1_3repE0EEENS1_30default_config_static_selectorELNS0_4arch9wavefront6targetE1EEEvT1_,"axG",@progbits,_ZN7rocprim17ROCPRIM_400000_NS6detail17trampoline_kernelINS0_14default_configENS1_35adjacent_difference_config_selectorILb1ElEEZNS1_24adjacent_difference_implIS3_Lb1ELb0EPlS7_ZN2at6native12_GLOBAL__N_124unique_dim_cuda_templateIjEESt5tupleIJNS8_6TensorESD_SD_EERKSD_lbbbEUlllE1_EE10hipError_tPvRmT2_T3_mT4_P12ihipStream_tbEUlT_E_NS1_11comp_targetILNS1_3genE4ELNS1_11target_archE910ELNS1_3gpuE8ELNS1_3repE0EEENS1_30default_config_static_selectorELNS0_4arch9wavefront6targetE1EEEvT1_,comdat
	.globl	_ZN7rocprim17ROCPRIM_400000_NS6detail17trampoline_kernelINS0_14default_configENS1_35adjacent_difference_config_selectorILb1ElEEZNS1_24adjacent_difference_implIS3_Lb1ELb0EPlS7_ZN2at6native12_GLOBAL__N_124unique_dim_cuda_templateIjEESt5tupleIJNS8_6TensorESD_SD_EERKSD_lbbbEUlllE1_EE10hipError_tPvRmT2_T3_mT4_P12ihipStream_tbEUlT_E_NS1_11comp_targetILNS1_3genE4ELNS1_11target_archE910ELNS1_3gpuE8ELNS1_3repE0EEENS1_30default_config_static_selectorELNS0_4arch9wavefront6targetE1EEEvT1_ ; -- Begin function _ZN7rocprim17ROCPRIM_400000_NS6detail17trampoline_kernelINS0_14default_configENS1_35adjacent_difference_config_selectorILb1ElEEZNS1_24adjacent_difference_implIS3_Lb1ELb0EPlS7_ZN2at6native12_GLOBAL__N_124unique_dim_cuda_templateIjEESt5tupleIJNS8_6TensorESD_SD_EERKSD_lbbbEUlllE1_EE10hipError_tPvRmT2_T3_mT4_P12ihipStream_tbEUlT_E_NS1_11comp_targetILNS1_3genE4ELNS1_11target_archE910ELNS1_3gpuE8ELNS1_3repE0EEENS1_30default_config_static_selectorELNS0_4arch9wavefront6targetE1EEEvT1_
	.p2align	8
	.type	_ZN7rocprim17ROCPRIM_400000_NS6detail17trampoline_kernelINS0_14default_configENS1_35adjacent_difference_config_selectorILb1ElEEZNS1_24adjacent_difference_implIS3_Lb1ELb0EPlS7_ZN2at6native12_GLOBAL__N_124unique_dim_cuda_templateIjEESt5tupleIJNS8_6TensorESD_SD_EERKSD_lbbbEUlllE1_EE10hipError_tPvRmT2_T3_mT4_P12ihipStream_tbEUlT_E_NS1_11comp_targetILNS1_3genE4ELNS1_11target_archE910ELNS1_3gpuE8ELNS1_3repE0EEENS1_30default_config_static_selectorELNS0_4arch9wavefront6targetE1EEEvT1_,@function
_ZN7rocprim17ROCPRIM_400000_NS6detail17trampoline_kernelINS0_14default_configENS1_35adjacent_difference_config_selectorILb1ElEEZNS1_24adjacent_difference_implIS3_Lb1ELb0EPlS7_ZN2at6native12_GLOBAL__N_124unique_dim_cuda_templateIjEESt5tupleIJNS8_6TensorESD_SD_EERKSD_lbbbEUlllE1_EE10hipError_tPvRmT2_T3_mT4_P12ihipStream_tbEUlT_E_NS1_11comp_targetILNS1_3genE4ELNS1_11target_archE910ELNS1_3gpuE8ELNS1_3repE0EEENS1_30default_config_static_selectorELNS0_4arch9wavefront6targetE1EEEvT1_: ; @_ZN7rocprim17ROCPRIM_400000_NS6detail17trampoline_kernelINS0_14default_configENS1_35adjacent_difference_config_selectorILb1ElEEZNS1_24adjacent_difference_implIS3_Lb1ELb0EPlS7_ZN2at6native12_GLOBAL__N_124unique_dim_cuda_templateIjEESt5tupleIJNS8_6TensorESD_SD_EERKSD_lbbbEUlllE1_EE10hipError_tPvRmT2_T3_mT4_P12ihipStream_tbEUlT_E_NS1_11comp_targetILNS1_3genE4ELNS1_11target_archE910ELNS1_3gpuE8ELNS1_3repE0EEENS1_30default_config_static_selectorELNS0_4arch9wavefront6targetE1EEEvT1_
; %bb.0:
	s_load_dwordx16 s[8:23], s[4:5], 0x0
	s_mov_b32 s3, 0
	s_waitcnt lgkmcnt(0)
	s_lshl_b64 s[10:11], s[10:11], 3
	s_add_u32 s30, s8, s10
	s_addc_u32 s31, s9, s11
	s_lshl_b32 s8, s6, 10
	s_lshr_b64 s[0:1], s[14:15], 10
	s_and_b32 s2, s14, 0x3ff
	s_cmp_lg_u64 s[2:3], 0
	s_cselect_b64 s[4:5], -1, 0
	v_cndmask_b32_e64 v1, 0, 1, s[4:5]
	v_readfirstlane_b32 s2, v1
	s_add_u32 s26, s0, s2
	s_addc_u32 s27, s1, 0
	s_add_u32 s28, s22, s6
	s_addc_u32 s29, s23, 0
	s_mov_b32 s2, s6
	s_add_u32 s6, s26, -1
	s_addc_u32 s7, s27, -1
	v_pk_mov_b32 v[2:3], s[6:7], s[6:7] op_sel:[0,1]
	v_cmp_ge_u64_e64 s[0:1], s[28:29], v[2:3]
	s_mov_b64 s[4:5], -1
	s_and_b64 vcc, exec, s[0:1]
	s_cbranch_vccz .LBB1534_6
; %bb.1:
	s_lshl_b32 s4, s6, 10
	s_mov_b32 s9, s3
	s_sub_i32 s15, s14, s4
	s_lshl_b64 s[4:5], s[8:9], 3
	s_add_u32 s4, s30, s4
	s_addc_u32 s5, s31, s5
	v_cmp_gt_u32_e32 vcc, s15, v0
                                        ; implicit-def: $vgpr2_vgpr3_vgpr4_vgpr5
	s_and_saveexec_b64 s[24:25], vcc
	s_cbranch_execz .LBB1534_3
; %bb.2:
	v_lshlrev_b32_e32 v1, 3, v0
	global_load_dwordx2 v[2:3], v1, s[4:5]
.LBB1534_3:
	s_or_b64 exec, exec, s[24:25]
	v_or_b32_e32 v1, 0x200, v0
	v_cmp_gt_u32_e32 vcc, s15, v1
	s_and_saveexec_b64 s[24:25], vcc
	s_cbranch_execz .LBB1534_5
; %bb.4:
	v_lshlrev_b32_e32 v4, 3, v1
	global_load_dwordx2 v[4:5], v4, s[4:5]
.LBB1534_5:
	s_or_b64 exec, exec, s[24:25]
	v_lshrrev_b32_e32 v6, 2, v0
	v_lshrrev_b32_e32 v1, 2, v1
	v_and_b32_e32 v6, 0x78, v6
	v_lshlrev_b32_e32 v7, 3, v0
	v_and_b32_e32 v1, 0xf8, v1
	v_add_u32_e32 v6, v6, v7
	v_add_u32_e32 v1, v1, v7
	s_mov_b64 s[4:5], 0
	s_waitcnt vmcnt(0)
	ds_write_b64 v6, v[2:3]
	ds_write_b64 v1, v[4:5] offset:4096
	s_waitcnt lgkmcnt(0)
	s_barrier
.LBB1534_6:
	s_and_b64 vcc, exec, s[4:5]
	v_lshlrev_b32_e32 v1, 3, v0
	s_cbranch_vccz .LBB1534_8
; %bb.7:
	s_mov_b32 s9, 0
	s_lshl_b64 s[4:5], s[8:9], 3
	s_add_u32 s4, s30, s4
	s_addc_u32 s5, s31, s5
	v_mov_b32_e32 v2, s5
	v_add_co_u32_e32 v3, vcc, s4, v1
	v_addc_co_u32_e32 v4, vcc, 0, v2, vcc
	v_add_co_u32_e32 v2, vcc, 0x1000, v3
	v_addc_co_u32_e32 v3, vcc, 0, v4, vcc
	global_load_dwordx2 v[4:5], v1, s[4:5]
	global_load_dwordx2 v[6:7], v[2:3], off
	v_lshrrev_b32_e32 v2, 2, v0
	v_or_b32_e32 v3, 0x200, v0
	v_and_b32_e32 v2, 0x78, v2
	v_lshrrev_b32_e32 v3, 2, v3
	v_add_u32_e32 v2, v2, v1
	v_and_b32_e32 v3, 0xf8, v3
	v_add_u32_e32 v3, v3, v1
	s_waitcnt vmcnt(1)
	ds_write_b64 v2, v[4:5]
	s_waitcnt vmcnt(0)
	ds_write_b64 v3, v[6:7] offset:4096
	s_waitcnt lgkmcnt(0)
	s_barrier
.LBB1534_8:
	v_lshlrev_b32_e32 v2, 1, v0
	v_lshrrev_b32_e32 v3, 4, v0
	v_add_lshl_u32 v2, v3, v2, 3
	ds_read2_b64 v[2:5], v2 offset1:1
	s_cmp_eq_u64 s[28:29], 0
	s_mov_b64 s[24:25], 0
	s_waitcnt lgkmcnt(0)
	s_barrier
	s_cbranch_scc1 .LBB1534_17
; %bb.9:
	s_lshl_b64 s[4:5], s[22:23], 3
	s_add_u32 s4, s20, s4
	s_addc_u32 s5, s21, s5
	s_lshl_b64 s[2:3], s[2:3], 3
	s_add_u32 s2, s4, s2
	s_addc_u32 s3, s5, s3
	s_add_u32 s2, s2, -8
	s_addc_u32 s3, s3, -1
	s_load_dwordx2 s[20:21], s[2:3], 0x0
	s_cmp_lg_u64 s[28:29], s[6:7]
	s_cbranch_scc0 .LBB1534_18
; %bb.10:
	v_cmp_lt_i64_e64 s[2:3], s[16:17], 1
	v_pk_mov_b32 v[8:9], 0, 0
	v_cmp_gt_i64_e64 s[22:23], s[16:17], 0
	s_and_b64 vcc, exec, s[2:3]
	ds_write_b64 v1, v[4:5]
	s_cbranch_vccnz .LBB1534_21
; %bb.11:
	v_mul_lo_u32 v8, v5, s16
	v_mul_lo_u32 v9, v4, s17
	v_mad_u64_u32 v[6:7], s[2:3], v4, s16, 0
	v_add3_u32 v7, v7, v9, v8
	v_mul_lo_u32 v10, v3, s16
	v_mul_lo_u32 v11, v2, s17
	v_mad_u64_u32 v[8:9], s[2:3], v2, s16, 0
	v_add3_u32 v9, v9, v11, v10
	v_lshlrev_b64 v[10:11], 2, v[6:7]
	v_mov_b32_e32 v6, s19
	v_add_co_u32_e32 v12, vcc, s18, v10
	v_addc_co_u32_e64 v13, s[2:3], v6, v11, vcc
	v_lshlrev_b64 v[6:7], 2, v[8:9]
	v_mov_b32_e32 v8, s19
	v_add_co_u32_e64 v14, s[2:3], s18, v6
	v_addc_co_u32_e64 v15, s[4:5], v8, v7, s[2:3]
	global_load_dword v6, v[12:13], off
	global_load_dword v8, v[14:15], off
	s_waitcnt vmcnt(0)
	v_cmp_eq_u32_e64 s[4:5], v6, v8
	v_mov_b32_e32 v8, 1
	v_mov_b32_e32 v9, 0
	s_and_saveexec_b64 s[24:25], s[4:5]
	s_cbranch_execz .LBB1534_20
; %bb.12:
	v_mov_b32_e32 v6, s19
	v_addc_co_u32_e64 v7, s[2:3], v7, v6, s[2:3]
	v_add_co_u32_e64 v6, s[2:3], 4, v14
	v_mov_b32_e32 v8, s19
	v_addc_co_u32_e64 v7, s[2:3], 0, v7, s[2:3]
	v_addc_co_u32_e32 v9, vcc, v11, v8, vcc
	v_add_co_u32_e32 v8, vcc, 4, v12
	s_add_u32 s2, s16, -1
	v_addc_co_u32_e32 v9, vcc, 0, v9, vcc
	s_addc_u32 s3, s17, -1
	s_mov_b64 s[4:5], 0
	s_mov_b64 s[34:35], 0
                                        ; implicit-def: $sgpr30_sgpr31
	s_branch .LBB1534_15
.LBB1534_13:                            ;   in Loop: Header=BB1534_15 Depth=1
	global_load_dword v10, v[8:9], off
	global_load_dword v11, v[6:7], off
	v_add_co_u32_e32 v6, vcc, 4, v6
	v_addc_co_u32_e32 v7, vcc, 0, v7, vcc
	v_add_co_u32_e32 v8, vcc, 4, v8
	v_addc_co_u32_e32 v9, vcc, 0, v9, vcc
	s_add_u32 s34, s34, 1
	s_addc_u32 s35, s35, 0
	s_andn2_b64 s[30:31], s[30:31], exec
	s_waitcnt vmcnt(0)
	v_cmp_ne_u32_e32 vcc, v10, v11
	s_and_b64 s[36:37], vcc, exec
	s_or_b64 s[30:31], s[30:31], s[36:37]
.LBB1534_14:                            ;   in Loop: Header=BB1534_15 Depth=1
	s_and_b64 s[36:37], exec, s[30:31]
	s_or_b64 s[4:5], s[36:37], s[4:5]
	v_pk_mov_b32 v[10:11], s[34:35], s[34:35] op_sel:[0,1]
	s_andn2_b64 exec, exec, s[4:5]
	s_cbranch_execz .LBB1534_19
.LBB1534_15:                            ; =>This Inner Loop Header: Depth=1
	s_or_b64 s[30:31], s[30:31], exec
	s_cmp_eq_u64 s[2:3], s[34:35]
	s_cbranch_scc0 .LBB1534_13
; %bb.16:                               ;   in Loop: Header=BB1534_15 Depth=1
                                        ; implicit-def: $vgpr6_vgpr7
                                        ; implicit-def: $vgpr8_vgpr9
	s_mov_b64 s[34:35], s[16:17]
	s_branch .LBB1534_14
.LBB1534_17:
                                        ; implicit-def: $sgpr22_sgpr23
                                        ; implicit-def: $vgpr8_vgpr9
	s_cbranch_execnz .LBB1534_60
	s_branch .LBB1534_108
.LBB1534_18:
                                        ; implicit-def: $sgpr22_sgpr23
                                        ; implicit-def: $vgpr8_vgpr9
	s_cbranch_execnz .LBB1534_33
	s_branch .LBB1534_59
.LBB1534_19:
	s_or_b64 exec, exec, s[4:5]
	v_cmp_gt_i64_e32 vcc, s[16:17], v[10:11]
	s_mov_b32 s2, 0
	v_cndmask_b32_e64 v8, 0, 1, vcc
	v_mov_b32_e32 v9, s2
.LBB1534_20:
	s_or_b64 exec, exec, s[24:25]
.LBB1534_21:
	v_cmp_ne_u32_e32 vcc, 0, v0
	s_waitcnt lgkmcnt(0)
	v_pk_mov_b32 v[6:7], s[20:21], s[20:21] op_sel:[0,1]
	s_barrier
	s_and_saveexec_b64 s[2:3], vcc
	s_cbranch_execz .LBB1534_23
; %bb.22:
	v_add_u32_e32 v6, -8, v1
	ds_read_b64 v[6:7], v6
.LBB1534_23:
	s_or_b64 exec, exec, s[2:3]
	s_mov_b64 s[30:31], 0
	s_andn2_b64 vcc, exec, s[22:23]
	s_mov_b64 s[22:23], 0
	s_cbranch_vccnz .LBB1534_32
; %bb.24:
	v_mul_lo_u32 v12, v3, s16
	v_mul_lo_u32 v13, v2, s17
	v_mad_u64_u32 v[10:11], s[2:3], v2, s16, 0
	v_add3_u32 v11, v11, v13, v12
	s_waitcnt lgkmcnt(0)
	v_mul_lo_u32 v12, v7, s16
	v_mul_lo_u32 v13, v6, s17
	v_mad_u64_u32 v[6:7], s[2:3], v6, s16, 0
	v_lshlrev_b64 v[10:11], 2, v[10:11]
	v_add3_u32 v7, v7, v13, v12
	v_mov_b32_e32 v13, s19
	v_add_co_u32_e32 v12, vcc, s18, v10
	v_addc_co_u32_e64 v13, s[2:3], v13, v11, vcc
	v_lshlrev_b64 v[6:7], 2, v[6:7]
	v_mov_b32_e32 v10, s19
	v_add_co_u32_e64 v14, s[2:3], s18, v6
	v_addc_co_u32_e64 v15, s[4:5], v10, v7, s[2:3]
	global_load_dword v6, v[12:13], off
	global_load_dword v10, v[14:15], off
	s_mov_b64 s[22:23], -1
	s_waitcnt vmcnt(0)
	v_cmp_eq_u32_e64 s[4:5], v6, v10
	s_and_saveexec_b64 s[24:25], s[4:5]
	s_cbranch_execz .LBB1534_31
; %bb.25:
	v_mov_b32_e32 v6, s19
	v_addc_co_u32_e64 v7, s[2:3], v7, v6, s[2:3]
	v_add_co_u32_e64 v6, s[2:3], 4, v14
	v_mov_b32_e32 v10, s19
	v_addc_co_u32_e64 v7, s[2:3], 0, v7, s[2:3]
	v_addc_co_u32_e32 v11, vcc, v11, v10, vcc
	v_add_co_u32_e32 v10, vcc, 4, v12
	s_add_u32 s2, s16, -1
	v_addc_co_u32_e32 v11, vcc, 0, v11, vcc
	s_addc_u32 s3, s17, -1
	s_mov_b64 s[4:5], 0
	s_mov_b64 s[34:35], 0
                                        ; implicit-def: $sgpr22_sgpr23
	s_branch .LBB1534_28
.LBB1534_26:                            ;   in Loop: Header=BB1534_28 Depth=1
	global_load_dword v12, v[10:11], off
	global_load_dword v13, v[6:7], off
	v_add_co_u32_e32 v6, vcc, 4, v6
	v_addc_co_u32_e32 v7, vcc, 0, v7, vcc
	v_add_co_u32_e32 v10, vcc, 4, v10
	v_addc_co_u32_e32 v11, vcc, 0, v11, vcc
	s_add_u32 s34, s34, 1
	s_addc_u32 s35, s35, 0
	s_andn2_b64 s[22:23], s[22:23], exec
	s_waitcnt vmcnt(0)
	v_cmp_ne_u32_e32 vcc, v12, v13
	s_and_b64 s[36:37], vcc, exec
	s_or_b64 s[22:23], s[22:23], s[36:37]
.LBB1534_27:                            ;   in Loop: Header=BB1534_28 Depth=1
	s_and_b64 s[36:37], exec, s[22:23]
	s_or_b64 s[4:5], s[36:37], s[4:5]
	v_pk_mov_b32 v[12:13], s[34:35], s[34:35] op_sel:[0,1]
	s_andn2_b64 exec, exec, s[4:5]
	s_cbranch_execz .LBB1534_30
.LBB1534_28:                            ; =>This Inner Loop Header: Depth=1
	s_or_b64 s[22:23], s[22:23], exec
	s_cmp_eq_u64 s[2:3], s[34:35]
	s_cbranch_scc0 .LBB1534_26
; %bb.29:                               ;   in Loop: Header=BB1534_28 Depth=1
                                        ; implicit-def: $vgpr6_vgpr7
                                        ; implicit-def: $vgpr10_vgpr11
	s_mov_b64 s[34:35], s[16:17]
	s_branch .LBB1534_27
.LBB1534_30:
	s_or_b64 exec, exec, s[4:5]
	v_cmp_gt_i64_e32 vcc, s[16:17], v[12:13]
	s_orn2_b64 s[22:23], vcc, exec
.LBB1534_31:
	s_or_b64 exec, exec, s[24:25]
.LBB1534_32:
	s_mov_b64 s[24:25], -1
	s_and_b64 vcc, exec, s[30:31]
	s_cbranch_vccz .LBB1534_59
.LBB1534_33:
	s_lshl_b32 s2, s28, 10
	v_lshlrev_b32_e32 v16, 1, v0
	s_sub_i32 s7, s14, s2
	s_waitcnt lgkmcnt(0)
	v_or_b32_e32 v6, 1, v16
	v_cmp_gt_u32_e32 vcc, s7, v6
	v_pk_mov_b32 v[8:9], v[4:5], v[4:5] op_sel:[0,1]
	ds_write_b64 v1, v[4:5]
	v_pk_mov_b32 v[6:7], v[2:3], v[2:3] op_sel:[0,1]
	s_and_saveexec_b64 s[22:23], vcc
	s_cbranch_execz .LBB1534_44
; %bb.34:
	v_cmp_lt_i64_e64 s[2:3], s[16:17], 1
	s_and_b64 vcc, exec, s[2:3]
	s_cbranch_vccnz .LBB1534_41
; %bb.35:
	v_mul_lo_u32 v8, v5, s16
	v_mul_lo_u32 v9, v4, s17
	v_mad_u64_u32 v[6:7], s[2:3], v4, s16, 0
	v_add3_u32 v7, v7, v9, v8
	v_mul_lo_u32 v10, v3, s16
	v_mul_lo_u32 v11, v2, s17
	v_mad_u64_u32 v[8:9], s[2:3], v2, s16, 0
	v_add3_u32 v9, v9, v11, v10
	v_lshlrev_b64 v[10:11], 2, v[6:7]
	v_mov_b32_e32 v6, s19
	v_add_co_u32_e32 v12, vcc, s18, v10
	v_addc_co_u32_e64 v13, s[2:3], v6, v11, vcc
	v_lshlrev_b64 v[6:7], 2, v[8:9]
	v_mov_b32_e32 v8, s19
	v_add_co_u32_e64 v14, s[2:3], s18, v6
	v_addc_co_u32_e64 v15, s[4:5], v8, v7, s[2:3]
	global_load_dword v6, v[12:13], off
	global_load_dword v8, v[14:15], off
	s_waitcnt vmcnt(0)
	v_cmp_eq_u32_e64 s[4:5], v6, v8
	v_mov_b32_e32 v8, 1
	v_mov_b32_e32 v9, 0
	s_and_saveexec_b64 s[28:29], s[4:5]
	s_cbranch_execz .LBB1534_43
; %bb.36:
	v_mov_b32_e32 v6, s19
	v_addc_co_u32_e64 v7, s[2:3], v7, v6, s[2:3]
	v_add_co_u32_e64 v6, s[2:3], 4, v14
	v_mov_b32_e32 v8, s19
	v_addc_co_u32_e64 v7, s[2:3], 0, v7, s[2:3]
	v_addc_co_u32_e32 v9, vcc, v11, v8, vcc
	v_add_co_u32_e32 v8, vcc, 4, v12
	s_add_u32 s2, s16, -1
	v_addc_co_u32_e32 v9, vcc, 0, v9, vcc
	s_addc_u32 s3, s17, -1
	s_mov_b64 s[4:5], 0
	s_mov_b64 s[34:35], 0
                                        ; implicit-def: $sgpr30_sgpr31
	s_branch .LBB1534_39
.LBB1534_37:                            ;   in Loop: Header=BB1534_39 Depth=1
	global_load_dword v10, v[8:9], off
	global_load_dword v11, v[6:7], off
	v_add_co_u32_e32 v6, vcc, 4, v6
	v_addc_co_u32_e32 v7, vcc, 0, v7, vcc
	v_add_co_u32_e32 v8, vcc, 4, v8
	v_addc_co_u32_e32 v9, vcc, 0, v9, vcc
	s_add_u32 s34, s34, 1
	s_addc_u32 s35, s35, 0
	s_andn2_b64 s[30:31], s[30:31], exec
	s_waitcnt vmcnt(0)
	v_cmp_ne_u32_e32 vcc, v10, v11
	s_and_b64 s[36:37], vcc, exec
	s_or_b64 s[30:31], s[30:31], s[36:37]
.LBB1534_38:                            ;   in Loop: Header=BB1534_39 Depth=1
	s_and_b64 s[36:37], exec, s[30:31]
	s_or_b64 s[4:5], s[36:37], s[4:5]
	v_pk_mov_b32 v[10:11], s[34:35], s[34:35] op_sel:[0,1]
	s_andn2_b64 exec, exec, s[4:5]
	s_cbranch_execz .LBB1534_42
.LBB1534_39:                            ; =>This Inner Loop Header: Depth=1
	s_or_b64 s[30:31], s[30:31], exec
	s_cmp_eq_u64 s[2:3], s[34:35]
	s_cbranch_scc0 .LBB1534_37
; %bb.40:                               ;   in Loop: Header=BB1534_39 Depth=1
                                        ; implicit-def: $vgpr6_vgpr7
                                        ; implicit-def: $vgpr8_vgpr9
	s_mov_b64 s[34:35], s[16:17]
	s_branch .LBB1534_38
.LBB1534_41:
	v_pk_mov_b32 v[8:9], 0, 0
	s_branch .LBB1534_44
.LBB1534_42:
	s_or_b64 exec, exec, s[4:5]
	v_cmp_gt_i64_e32 vcc, s[16:17], v[10:11]
	s_mov_b32 s2, 0
	v_cndmask_b32_e64 v8, 0, 1, vcc
	v_mov_b32_e32 v9, s2
.LBB1534_43:
	s_or_b64 exec, exec, s[28:29]
.LBB1534_44:
	s_or_b64 exec, exec, s[22:23]
	v_cmp_ne_u32_e32 vcc, 0, v0
	v_pk_mov_b32 v[6:7], s[20:21], s[20:21] op_sel:[0,1]
	s_waitcnt lgkmcnt(0)
	s_barrier
	s_and_saveexec_b64 s[2:3], vcc
	s_cbranch_execz .LBB1534_46
; %bb.45:
	v_add_u32_e32 v6, -8, v1
	ds_read_b64 v[6:7], v6
.LBB1534_46:
	s_or_b64 exec, exec, s[2:3]
	v_cmp_gt_u32_e32 vcc, s7, v16
                                        ; implicit-def: $sgpr22_sgpr23
	s_and_saveexec_b64 s[20:21], vcc
	s_cbranch_execz .LBB1534_58
; %bb.47:
	v_cmp_lt_i64_e64 s[2:3], s[16:17], 1
	s_and_b64 vcc, exec, s[2:3]
	s_cbranch_vccnz .LBB1534_54
; %bb.48:
	v_mul_lo_u32 v12, v3, s16
	v_mul_lo_u32 v13, v2, s17
	v_mad_u64_u32 v[10:11], s[2:3], v2, s16, 0
	v_add3_u32 v11, v11, v13, v12
	s_waitcnt lgkmcnt(0)
	v_mul_lo_u32 v12, v7, s16
	v_mul_lo_u32 v13, v6, s17
	v_mad_u64_u32 v[6:7], s[2:3], v6, s16, 0
	v_lshlrev_b64 v[10:11], 2, v[10:11]
	v_add3_u32 v7, v7, v13, v12
	v_mov_b32_e32 v13, s19
	v_add_co_u32_e32 v12, vcc, s18, v10
	v_addc_co_u32_e64 v13, s[2:3], v13, v11, vcc
	v_lshlrev_b64 v[6:7], 2, v[6:7]
	v_mov_b32_e32 v10, s19
	v_add_co_u32_e64 v14, s[2:3], s18, v6
	v_addc_co_u32_e64 v15, s[4:5], v10, v7, s[2:3]
	global_load_dword v6, v[12:13], off
	global_load_dword v10, v[14:15], off
	s_mov_b64 s[28:29], -1
	s_waitcnt vmcnt(0)
	v_cmp_eq_u32_e64 s[4:5], v6, v10
	s_and_saveexec_b64 s[22:23], s[4:5]
	s_cbranch_execz .LBB1534_56
; %bb.49:
	v_mov_b32_e32 v6, s19
	v_addc_co_u32_e64 v7, s[2:3], v7, v6, s[2:3]
	v_add_co_u32_e64 v6, s[2:3], 4, v14
	v_mov_b32_e32 v10, s19
	v_addc_co_u32_e64 v7, s[2:3], 0, v7, s[2:3]
	v_addc_co_u32_e32 v11, vcc, v11, v10, vcc
	v_add_co_u32_e32 v10, vcc, 4, v12
	s_add_u32 s2, s16, -1
	v_addc_co_u32_e32 v11, vcc, 0, v11, vcc
	s_addc_u32 s3, s17, -1
	s_mov_b64 s[4:5], 0
	s_mov_b64 s[30:31], 0
                                        ; implicit-def: $sgpr28_sgpr29
	s_branch .LBB1534_52
.LBB1534_50:                            ;   in Loop: Header=BB1534_52 Depth=1
	global_load_dword v12, v[10:11], off
	global_load_dword v13, v[6:7], off
	v_add_co_u32_e32 v6, vcc, 4, v6
	v_addc_co_u32_e32 v7, vcc, 0, v7, vcc
	v_add_co_u32_e32 v10, vcc, 4, v10
	v_addc_co_u32_e32 v11, vcc, 0, v11, vcc
	s_add_u32 s30, s30, 1
	s_addc_u32 s31, s31, 0
	s_andn2_b64 s[28:29], s[28:29], exec
	s_waitcnt vmcnt(0)
	v_cmp_ne_u32_e32 vcc, v12, v13
	s_and_b64 s[34:35], vcc, exec
	s_or_b64 s[28:29], s[28:29], s[34:35]
.LBB1534_51:                            ;   in Loop: Header=BB1534_52 Depth=1
	s_and_b64 s[34:35], exec, s[28:29]
	s_or_b64 s[4:5], s[34:35], s[4:5]
	v_pk_mov_b32 v[12:13], s[30:31], s[30:31] op_sel:[0,1]
	s_andn2_b64 exec, exec, s[4:5]
	s_cbranch_execz .LBB1534_55
.LBB1534_52:                            ; =>This Inner Loop Header: Depth=1
	s_or_b64 s[28:29], s[28:29], exec
	s_cmp_eq_u64 s[2:3], s[30:31]
	s_cbranch_scc0 .LBB1534_50
; %bb.53:                               ;   in Loop: Header=BB1534_52 Depth=1
                                        ; implicit-def: $vgpr6_vgpr7
                                        ; implicit-def: $vgpr10_vgpr11
	s_mov_b64 s[30:31], s[16:17]
	s_branch .LBB1534_51
.LBB1534_54:
	s_mov_b64 s[28:29], 0
	s_branch .LBB1534_57
.LBB1534_55:
	s_or_b64 exec, exec, s[4:5]
	v_cmp_gt_i64_e32 vcc, s[16:17], v[12:13]
	s_orn2_b64 s[28:29], vcc, exec
.LBB1534_56:
	s_or_b64 exec, exec, s[22:23]
.LBB1534_57:
	s_and_b64 s[22:23], s[28:29], exec
	s_or_b64 s[24:25], s[24:25], exec
.LBB1534_58:
	s_or_b64 exec, exec, s[20:21]
.LBB1534_59:
	s_branch .LBB1534_108
.LBB1534_60:
	s_cmp_lg_u64 s[26:27], 1
	s_cbranch_scc0 .LBB1534_68
; %bb.61:
	v_cmp_lt_i64_e64 s[2:3], s[16:17], 1
	v_pk_mov_b32 v[8:9], 0, 0
	v_cmp_gt_i64_e64 s[26:27], s[16:17], 0
	s_and_b64 vcc, exec, s[2:3]
	ds_write_b64 v1, v[4:5]
	s_cbranch_vccnz .LBB1534_71
; %bb.62:
	v_mul_lo_u32 v8, v5, s16
	v_mul_lo_u32 v9, v4, s17
	s_waitcnt lgkmcnt(0)
	v_mad_u64_u32 v[6:7], s[2:3], v4, s16, 0
	v_add3_u32 v7, v7, v9, v8
	v_mul_lo_u32 v10, v3, s16
	v_mul_lo_u32 v11, v2, s17
	v_mad_u64_u32 v[8:9], s[2:3], v2, s16, 0
	v_add3_u32 v9, v9, v11, v10
	v_lshlrev_b64 v[10:11], 2, v[6:7]
	v_mov_b32_e32 v6, s19
	v_add_co_u32_e32 v12, vcc, s18, v10
	v_addc_co_u32_e64 v13, s[2:3], v6, v11, vcc
	v_lshlrev_b64 v[6:7], 2, v[8:9]
	v_mov_b32_e32 v8, s19
	v_add_co_u32_e64 v14, s[2:3], s18, v6
	v_addc_co_u32_e64 v15, s[4:5], v8, v7, s[2:3]
	global_load_dword v6, v[12:13], off
	global_load_dword v8, v[14:15], off
	s_waitcnt vmcnt(0)
	v_cmp_eq_u32_e64 s[4:5], v6, v8
	v_mov_b32_e32 v8, 1
	v_mov_b32_e32 v9, 0
	s_and_saveexec_b64 s[20:21], s[4:5]
	s_cbranch_execz .LBB1534_70
; %bb.63:
	v_mov_b32_e32 v6, s19
	v_addc_co_u32_e64 v7, s[2:3], v7, v6, s[2:3]
	v_add_co_u32_e64 v6, s[2:3], 4, v14
	v_mov_b32_e32 v8, s19
	v_addc_co_u32_e64 v7, s[2:3], 0, v7, s[2:3]
	v_addc_co_u32_e32 v9, vcc, v11, v8, vcc
	v_add_co_u32_e32 v8, vcc, 4, v12
	s_add_u32 s2, s16, -1
	v_addc_co_u32_e32 v9, vcc, 0, v9, vcc
	s_addc_u32 s3, s17, -1
	s_mov_b64 s[4:5], 0
	s_mov_b64 s[28:29], 0
                                        ; implicit-def: $sgpr22_sgpr23
	s_branch .LBB1534_66
.LBB1534_64:                            ;   in Loop: Header=BB1534_66 Depth=1
	global_load_dword v10, v[8:9], off
	global_load_dword v11, v[6:7], off
	v_add_co_u32_e32 v6, vcc, 4, v6
	v_addc_co_u32_e32 v7, vcc, 0, v7, vcc
	v_add_co_u32_e32 v8, vcc, 4, v8
	v_addc_co_u32_e32 v9, vcc, 0, v9, vcc
	s_add_u32 s28, s28, 1
	s_addc_u32 s29, s29, 0
	s_andn2_b64 s[22:23], s[22:23], exec
	s_waitcnt vmcnt(0)
	v_cmp_ne_u32_e32 vcc, v10, v11
	s_and_b64 s[30:31], vcc, exec
	s_or_b64 s[22:23], s[22:23], s[30:31]
.LBB1534_65:                            ;   in Loop: Header=BB1534_66 Depth=1
	s_and_b64 s[30:31], exec, s[22:23]
	s_or_b64 s[4:5], s[30:31], s[4:5]
	v_pk_mov_b32 v[10:11], s[28:29], s[28:29] op_sel:[0,1]
	s_andn2_b64 exec, exec, s[4:5]
	s_cbranch_execz .LBB1534_69
.LBB1534_66:                            ; =>This Inner Loop Header: Depth=1
	s_or_b64 s[22:23], s[22:23], exec
	s_cmp_eq_u64 s[2:3], s[28:29]
	s_cbranch_scc0 .LBB1534_64
; %bb.67:                               ;   in Loop: Header=BB1534_66 Depth=1
                                        ; implicit-def: $vgpr6_vgpr7
                                        ; implicit-def: $vgpr8_vgpr9
	s_mov_b64 s[28:29], s[16:17]
	s_branch .LBB1534_65
.LBB1534_68:
                                        ; implicit-def: $sgpr22_sgpr23
                                        ; implicit-def: $vgpr8_vgpr9
	s_cbranch_execnz .LBB1534_84
	s_branch .LBB1534_108
.LBB1534_69:
	s_or_b64 exec, exec, s[4:5]
	v_cmp_gt_i64_e32 vcc, s[16:17], v[10:11]
	s_mov_b32 s2, 0
	v_cndmask_b32_e64 v8, 0, 1, vcc
	v_mov_b32_e32 v9, s2
.LBB1534_70:
	s_or_b64 exec, exec, s[20:21]
.LBB1534_71:
	v_cmp_ne_u32_e32 vcc, 0, v0
	s_waitcnt lgkmcnt(0)
	s_barrier
	s_waitcnt lgkmcnt(0)
                                        ; implicit-def: $sgpr22_sgpr23
	s_and_saveexec_b64 s[20:21], vcc
	s_cbranch_execz .LBB1534_83
; %bb.72:
	s_andn2_b64 vcc, exec, s[26:27]
	s_cbranch_vccnz .LBB1534_79
; %bb.73:
	v_add_u32_e32 v6, -8, v1
	ds_read_b64 v[6:7], v6
	v_mul_lo_u32 v12, v3, s16
	v_mul_lo_u32 v13, v2, s17
	v_mad_u64_u32 v[10:11], s[2:3], v2, s16, 0
	v_add3_u32 v11, v11, v13, v12
	s_waitcnt lgkmcnt(0)
	v_mul_lo_u32 v12, v7, s16
	v_mul_lo_u32 v13, v6, s17
	v_mad_u64_u32 v[6:7], s[2:3], v6, s16, 0
	v_lshlrev_b64 v[10:11], 2, v[10:11]
	v_add3_u32 v7, v7, v13, v12
	v_mov_b32_e32 v13, s19
	v_add_co_u32_e32 v12, vcc, s18, v10
	v_addc_co_u32_e64 v13, s[2:3], v13, v11, vcc
	v_lshlrev_b64 v[6:7], 2, v[6:7]
	v_mov_b32_e32 v10, s19
	v_add_co_u32_e64 v14, s[2:3], s18, v6
	v_addc_co_u32_e64 v15, s[4:5], v10, v7, s[2:3]
	global_load_dword v6, v[12:13], off
	global_load_dword v10, v[14:15], off
	s_mov_b64 s[26:27], -1
	s_waitcnt vmcnt(0)
	v_cmp_eq_u32_e64 s[4:5], v6, v10
	s_and_saveexec_b64 s[22:23], s[4:5]
	s_cbranch_execz .LBB1534_81
; %bb.74:
	v_mov_b32_e32 v6, s19
	v_addc_co_u32_e64 v7, s[2:3], v7, v6, s[2:3]
	v_add_co_u32_e64 v6, s[2:3], 4, v14
	v_mov_b32_e32 v10, s19
	v_addc_co_u32_e64 v7, s[2:3], 0, v7, s[2:3]
	v_addc_co_u32_e32 v11, vcc, v11, v10, vcc
	v_add_co_u32_e32 v10, vcc, 4, v12
	s_add_u32 s2, s16, -1
	v_addc_co_u32_e32 v11, vcc, 0, v11, vcc
	s_addc_u32 s3, s17, -1
	s_mov_b64 s[4:5], 0
	s_mov_b64 s[28:29], 0
                                        ; implicit-def: $sgpr26_sgpr27
	s_branch .LBB1534_77
.LBB1534_75:                            ;   in Loop: Header=BB1534_77 Depth=1
	global_load_dword v12, v[10:11], off
	global_load_dword v13, v[6:7], off
	v_add_co_u32_e32 v6, vcc, 4, v6
	v_addc_co_u32_e32 v7, vcc, 0, v7, vcc
	v_add_co_u32_e32 v10, vcc, 4, v10
	v_addc_co_u32_e32 v11, vcc, 0, v11, vcc
	s_add_u32 s28, s28, 1
	s_addc_u32 s29, s29, 0
	s_andn2_b64 s[26:27], s[26:27], exec
	s_waitcnt vmcnt(0)
	v_cmp_ne_u32_e32 vcc, v12, v13
	s_and_b64 s[30:31], vcc, exec
	s_or_b64 s[26:27], s[26:27], s[30:31]
.LBB1534_76:                            ;   in Loop: Header=BB1534_77 Depth=1
	s_and_b64 s[30:31], exec, s[26:27]
	s_or_b64 s[4:5], s[30:31], s[4:5]
	v_pk_mov_b32 v[12:13], s[28:29], s[28:29] op_sel:[0,1]
	s_andn2_b64 exec, exec, s[4:5]
	s_cbranch_execz .LBB1534_80
.LBB1534_77:                            ; =>This Inner Loop Header: Depth=1
	s_or_b64 s[26:27], s[26:27], exec
	s_cmp_eq_u64 s[2:3], s[28:29]
	s_cbranch_scc0 .LBB1534_75
; %bb.78:                               ;   in Loop: Header=BB1534_77 Depth=1
                                        ; implicit-def: $vgpr6_vgpr7
                                        ; implicit-def: $vgpr10_vgpr11
	s_mov_b64 s[28:29], s[16:17]
	s_branch .LBB1534_76
.LBB1534_79:
	s_mov_b64 s[26:27], 0
	s_branch .LBB1534_82
.LBB1534_80:
	s_or_b64 exec, exec, s[4:5]
	v_cmp_gt_i64_e32 vcc, s[16:17], v[12:13]
	s_orn2_b64 s[26:27], vcc, exec
.LBB1534_81:
	s_or_b64 exec, exec, s[22:23]
.LBB1534_82:
	s_and_b64 s[22:23], s[26:27], exec
	s_or_b64 s[24:25], s[24:25], exec
.LBB1534_83:
	s_or_b64 exec, exec, s[20:21]
	s_branch .LBB1534_108
.LBB1534_84:
	v_lshlrev_b32_e32 v14, 1, v0
	s_waitcnt lgkmcnt(0)
	v_or_b32_e32 v6, 1, v14
	v_cmp_gt_u32_e32 vcc, s14, v6
	v_cmp_lt_i64_e64 s[20:21], s[16:17], 1
	v_pk_mov_b32 v[8:9], v[4:5], v[4:5] op_sel:[0,1]
	ds_write_b64 v1, v[4:5]
	v_pk_mov_b32 v[6:7], v[2:3], v[2:3] op_sel:[0,1]
	s_and_saveexec_b64 s[22:23], vcc
	s_cbranch_execz .LBB1534_95
; %bb.85:
	s_and_b64 vcc, exec, s[20:21]
	s_cbranch_vccnz .LBB1534_92
; %bb.86:
	v_mul_lo_u32 v6, v5, s16
	v_mul_lo_u32 v7, v4, s17
	v_mad_u64_u32 v[4:5], s[2:3], v4, s16, 0
	v_add3_u32 v5, v5, v7, v6
	v_mul_lo_u32 v6, v3, s16
	v_mul_lo_u32 v7, v2, s17
	v_mad_u64_u32 v[8:9], s[2:3], v2, s16, 0
	v_add3_u32 v9, v9, v7, v6
	v_lshlrev_b64 v[6:7], 2, v[4:5]
	v_mov_b32_e32 v4, s19
	v_add_co_u32_e32 v10, vcc, s18, v6
	v_addc_co_u32_e64 v11, s[2:3], v4, v7, vcc
	v_lshlrev_b64 v[4:5], 2, v[8:9]
	v_mov_b32_e32 v6, s19
	v_add_co_u32_e64 v12, s[2:3], s18, v4
	v_addc_co_u32_e64 v13, s[4:5], v6, v5, s[2:3]
	global_load_dword v4, v[10:11], off
	global_load_dword v6, v[12:13], off
	v_mov_b32_e32 v8, 1
	v_mov_b32_e32 v9, 0
	s_waitcnt vmcnt(0)
	v_cmp_eq_u32_e64 s[4:5], v4, v6
	s_and_saveexec_b64 s[26:27], s[4:5]
	s_cbranch_execz .LBB1534_94
; %bb.87:
	v_mov_b32_e32 v4, s19
	v_addc_co_u32_e64 v5, s[2:3], v5, v4, s[2:3]
	v_add_co_u32_e64 v4, s[2:3], 4, v12
	v_mov_b32_e32 v6, s19
	v_addc_co_u32_e64 v5, s[2:3], 0, v5, s[2:3]
	v_addc_co_u32_e32 v7, vcc, v7, v6, vcc
	v_add_co_u32_e32 v6, vcc, 4, v10
	s_add_u32 s2, s16, -1
	v_addc_co_u32_e32 v7, vcc, 0, v7, vcc
	s_addc_u32 s3, s17, -1
	s_mov_b64 s[4:5], 0
	s_mov_b64 s[30:31], 0
                                        ; implicit-def: $sgpr28_sgpr29
	s_branch .LBB1534_90
.LBB1534_88:                            ;   in Loop: Header=BB1534_90 Depth=1
	global_load_dword v8, v[6:7], off
	global_load_dword v9, v[4:5], off
	v_add_co_u32_e32 v4, vcc, 4, v4
	v_addc_co_u32_e32 v5, vcc, 0, v5, vcc
	v_add_co_u32_e32 v6, vcc, 4, v6
	v_addc_co_u32_e32 v7, vcc, 0, v7, vcc
	s_add_u32 s30, s30, 1
	s_addc_u32 s31, s31, 0
	s_andn2_b64 s[28:29], s[28:29], exec
	s_waitcnt vmcnt(0)
	v_cmp_ne_u32_e32 vcc, v8, v9
	s_and_b64 s[34:35], vcc, exec
	s_or_b64 s[28:29], s[28:29], s[34:35]
.LBB1534_89:                            ;   in Loop: Header=BB1534_90 Depth=1
	s_and_b64 s[34:35], exec, s[28:29]
	s_or_b64 s[4:5], s[34:35], s[4:5]
	v_pk_mov_b32 v[8:9], s[30:31], s[30:31] op_sel:[0,1]
	s_andn2_b64 exec, exec, s[4:5]
	s_cbranch_execz .LBB1534_93
.LBB1534_90:                            ; =>This Inner Loop Header: Depth=1
	s_or_b64 s[28:29], s[28:29], exec
	s_cmp_eq_u64 s[2:3], s[30:31]
	s_cbranch_scc0 .LBB1534_88
; %bb.91:                               ;   in Loop: Header=BB1534_90 Depth=1
                                        ; implicit-def: $vgpr4_vgpr5
                                        ; implicit-def: $vgpr6_vgpr7
	s_mov_b64 s[30:31], s[16:17]
	s_branch .LBB1534_89
.LBB1534_92:
	v_pk_mov_b32 v[8:9], 0, 0
	s_branch .LBB1534_95
.LBB1534_93:
	s_or_b64 exec, exec, s[4:5]
	v_cmp_gt_i64_e32 vcc, s[16:17], v[8:9]
	s_mov_b32 s2, 0
	v_cndmask_b32_e64 v8, 0, 1, vcc
	v_mov_b32_e32 v9, s2
.LBB1534_94:
	s_or_b64 exec, exec, s[26:27]
.LBB1534_95:
	s_or_b64 exec, exec, s[22:23]
	v_cmp_ne_u32_e32 vcc, 0, v0
	v_cmp_gt_u32_e64 s[2:3], s14, v14
	s_and_b64 s[2:3], vcc, s[2:3]
	s_waitcnt lgkmcnt(0)
	s_barrier
	s_waitcnt lgkmcnt(0)
                                        ; implicit-def: $sgpr22_sgpr23
	s_and_saveexec_b64 s[26:27], s[2:3]
	s_cbranch_execz .LBB1534_107
; %bb.96:
	s_and_b64 vcc, exec, s[20:21]
	s_cbranch_vccnz .LBB1534_103
; %bb.97:
	v_mul_lo_u32 v6, v3, s16
	v_add_u32_e32 v3, -8, v1
	ds_read_b64 v[4:5], v3
	v_mul_lo_u32 v7, v2, s17
	v_mad_u64_u32 v[2:3], s[2:3], v2, s16, 0
	v_add3_u32 v3, v3, v7, v6
	s_waitcnt lgkmcnt(0)
	v_mul_lo_u32 v5, v5, s16
	v_mul_lo_u32 v6, v4, s17
	v_mad_u64_u32 v[10:11], s[2:3], v4, s16, 0
	v_add3_u32 v11, v11, v6, v5
	v_lshlrev_b64 v[4:5], 2, v[2:3]
	v_mov_b32_e32 v2, s19
	v_add_co_u32_e32 v6, vcc, s18, v4
	v_addc_co_u32_e64 v7, s[2:3], v2, v5, vcc
	v_lshlrev_b64 v[2:3], 2, v[10:11]
	v_mov_b32_e32 v4, s19
	v_add_co_u32_e64 v10, s[2:3], s18, v2
	v_addc_co_u32_e64 v11, s[4:5], v4, v3, s[2:3]
	global_load_dword v2, v[6:7], off
	global_load_dword v4, v[10:11], off
	s_mov_b64 s[22:23], -1
	s_waitcnt vmcnt(0)
	v_cmp_eq_u32_e64 s[4:5], v2, v4
	s_and_saveexec_b64 s[20:21], s[4:5]
	s_cbranch_execz .LBB1534_105
; %bb.98:
	v_mov_b32_e32 v2, s19
	v_addc_co_u32_e64 v3, s[2:3], v3, v2, s[2:3]
	v_add_co_u32_e64 v2, s[2:3], 4, v10
	v_mov_b32_e32 v4, s19
	v_addc_co_u32_e64 v3, s[2:3], 0, v3, s[2:3]
	v_addc_co_u32_e32 v5, vcc, v5, v4, vcc
	v_add_co_u32_e32 v4, vcc, 4, v6
	s_add_u32 s2, s16, -1
	v_addc_co_u32_e32 v5, vcc, 0, v5, vcc
	s_addc_u32 s3, s17, -1
	s_mov_b64 s[4:5], 0
	s_mov_b64 s[22:23], 0
                                        ; implicit-def: $sgpr18_sgpr19
	s_branch .LBB1534_101
.LBB1534_99:                            ;   in Loop: Header=BB1534_101 Depth=1
	global_load_dword v6, v[4:5], off
	global_load_dword v7, v[2:3], off
	v_add_co_u32_e32 v2, vcc, 4, v2
	v_addc_co_u32_e32 v3, vcc, 0, v3, vcc
	v_add_co_u32_e32 v4, vcc, 4, v4
	v_addc_co_u32_e32 v5, vcc, 0, v5, vcc
	s_add_u32 s22, s22, 1
	s_addc_u32 s23, s23, 0
	s_andn2_b64 s[18:19], s[18:19], exec
	s_waitcnt vmcnt(0)
	v_cmp_ne_u32_e32 vcc, v6, v7
	s_and_b64 s[28:29], vcc, exec
	s_or_b64 s[18:19], s[18:19], s[28:29]
.LBB1534_100:                           ;   in Loop: Header=BB1534_101 Depth=1
	s_and_b64 s[28:29], exec, s[18:19]
	s_or_b64 s[4:5], s[28:29], s[4:5]
	v_pk_mov_b32 v[6:7], s[22:23], s[22:23] op_sel:[0,1]
	s_andn2_b64 exec, exec, s[4:5]
	s_cbranch_execz .LBB1534_104
.LBB1534_101:                           ; =>This Inner Loop Header: Depth=1
	s_or_b64 s[18:19], s[18:19], exec
	s_cmp_eq_u64 s[2:3], s[22:23]
	s_cbranch_scc0 .LBB1534_99
; %bb.102:                              ;   in Loop: Header=BB1534_101 Depth=1
                                        ; implicit-def: $vgpr2_vgpr3
                                        ; implicit-def: $vgpr4_vgpr5
	s_mov_b64 s[22:23], s[16:17]
	s_branch .LBB1534_100
.LBB1534_103:
	s_mov_b64 s[22:23], 0
	s_branch .LBB1534_106
.LBB1534_104:
	s_or_b64 exec, exec, s[4:5]
	v_cmp_gt_i64_e32 vcc, s[16:17], v[6:7]
	s_orn2_b64 s[22:23], vcc, exec
.LBB1534_105:
	s_or_b64 exec, exec, s[20:21]
.LBB1534_106:
	s_and_b64 s[22:23], s[22:23], exec
	s_or_b64 s[24:25], s[24:25], exec
                                        ; implicit-def: $vgpr2_vgpr3
.LBB1534_107:
	s_or_b64 exec, exec, s[26:27]
.LBB1534_108:
	s_and_saveexec_b64 s[2:3], s[24:25]
; %bb.109:
	s_mov_b32 s4, 0
	v_cndmask_b32_e64 v2, 0, 1, s[22:23]
	v_mov_b32_e32 v3, s4
; %bb.110:
	s_or_b64 exec, exec, s[2:3]
	s_add_u32 s4, s12, s10
	s_addc_u32 s5, s13, s11
	s_and_b64 vcc, exec, s[0:1]
	v_lshrrev_b32_e32 v10, 1, v0
	s_waitcnt lgkmcnt(0)
	s_barrier
	s_cbranch_vccz .LBB1534_114
; %bb.111:
	v_and_b32_e32 v4, 0xf8, v10
	v_lshl_add_u32 v6, v0, 4, v4
	v_mov_b32_e32 v4, v8
	v_mov_b32_e32 v5, v9
	v_or_b32_e32 v11, 0x200, v0
	s_lshl_b32 s0, s6, 10
	s_mov_b32 s9, 0
	ds_write2_b64 v6, v[2:3], v[4:5] offset1:1
	v_lshrrev_b32_e32 v4, 5, v11
	s_sub_i32 s2, s14, s0
	s_lshl_b64 s[0:1], s[8:9], 3
	v_add_lshl_u32 v4, v4, v0, 3
	s_add_u32 s0, s4, s0
	s_waitcnt lgkmcnt(0)
	s_barrier
	ds_read_b64 v[4:5], v4 offset:4096
	s_addc_u32 s1, s5, s1
	v_mov_b32_e32 v7, s1
	v_add_co_u32_e32 v6, vcc, s0, v1
	v_addc_co_u32_e32 v7, vcc, 0, v7, vcc
	v_cmp_gt_u32_e32 vcc, s2, v0
	s_and_saveexec_b64 s[0:1], vcc
	s_cbranch_execz .LBB1534_113
; %bb.112:
	v_lshrrev_b32_e32 v12, 5, v0
	v_add_lshl_u32 v12, v12, v0, 3
	ds_read_b64 v[12:13], v12
	s_waitcnt lgkmcnt(0)
	global_store_dwordx2 v[6:7], v[12:13], off
.LBB1534_113:
	s_or_b64 exec, exec, s[0:1]
	v_cmp_gt_u32_e64 s[0:1], s2, v11
	s_branch .LBB1534_116
.LBB1534_114:
	s_mov_b64 s[0:1], 0
                                        ; implicit-def: $vgpr4_vgpr5
                                        ; implicit-def: $vgpr6_vgpr7
	s_cbranch_execz .LBB1534_116
; %bb.115:
	s_waitcnt lgkmcnt(0)
	v_and_b32_e32 v4, 0xf8, v10
	v_lshl_add_u32 v6, v0, 4, v4
	v_mov_b32_e32 v4, v8
	v_mov_b32_e32 v5, v9
	s_mov_b32 s9, 0
	ds_write2_b64 v6, v[2:3], v[4:5] offset1:1
	v_lshrrev_b32_e32 v2, 5, v0
	v_or_b32_e32 v3, 0x200, v0
	s_lshl_b64 s[2:3], s[8:9], 3
	v_add_lshl_u32 v2, v2, v0, 3
	v_lshrrev_b32_e32 v3, 5, v3
	s_add_u32 s2, s4, s2
	s_waitcnt lgkmcnt(0)
	s_barrier
	v_add_lshl_u32 v0, v3, v0, 3
	ds_read_b64 v[2:3], v2
	ds_read_b64 v[4:5], v0 offset:4096
	s_addc_u32 s3, s5, s3
	v_mov_b32_e32 v0, s3
	v_add_co_u32_e32 v6, vcc, s2, v1
	v_addc_co_u32_e32 v7, vcc, 0, v0, vcc
	s_or_b64 s[0:1], s[0:1], exec
	s_waitcnt lgkmcnt(1)
	global_store_dwordx2 v1, v[2:3], s[2:3]
.LBB1534_116:
	s_and_saveexec_b64 s[2:3], s[0:1]
	s_cbranch_execnz .LBB1534_118
; %bb.117:
	s_endpgm
.LBB1534_118:
	v_add_co_u32_e32 v0, vcc, 0x1000, v6
	v_addc_co_u32_e32 v1, vcc, 0, v7, vcc
	s_waitcnt lgkmcnt(0)
	global_store_dwordx2 v[0:1], v[4:5], off
	s_endpgm
	.section	.rodata,"a",@progbits
	.p2align	6, 0x0
	.amdhsa_kernel _ZN7rocprim17ROCPRIM_400000_NS6detail17trampoline_kernelINS0_14default_configENS1_35adjacent_difference_config_selectorILb1ElEEZNS1_24adjacent_difference_implIS3_Lb1ELb0EPlS7_ZN2at6native12_GLOBAL__N_124unique_dim_cuda_templateIjEESt5tupleIJNS8_6TensorESD_SD_EERKSD_lbbbEUlllE1_EE10hipError_tPvRmT2_T3_mT4_P12ihipStream_tbEUlT_E_NS1_11comp_targetILNS1_3genE4ELNS1_11target_archE910ELNS1_3gpuE8ELNS1_3repE0EEENS1_30default_config_static_selectorELNS0_4arch9wavefront6targetE1EEEvT1_
		.amdhsa_group_segment_fixed_size 8448
		.amdhsa_private_segment_fixed_size 0
		.amdhsa_kernarg_size 64
		.amdhsa_user_sgpr_count 6
		.amdhsa_user_sgpr_private_segment_buffer 1
		.amdhsa_user_sgpr_dispatch_ptr 0
		.amdhsa_user_sgpr_queue_ptr 0
		.amdhsa_user_sgpr_kernarg_segment_ptr 1
		.amdhsa_user_sgpr_dispatch_id 0
		.amdhsa_user_sgpr_flat_scratch_init 0
		.amdhsa_user_sgpr_kernarg_preload_length 0
		.amdhsa_user_sgpr_kernarg_preload_offset 0
		.amdhsa_user_sgpr_private_segment_size 0
		.amdhsa_uses_dynamic_stack 0
		.amdhsa_system_sgpr_private_segment_wavefront_offset 0
		.amdhsa_system_sgpr_workgroup_id_x 1
		.amdhsa_system_sgpr_workgroup_id_y 0
		.amdhsa_system_sgpr_workgroup_id_z 0
		.amdhsa_system_sgpr_workgroup_info 0
		.amdhsa_system_vgpr_workitem_id 0
		.amdhsa_next_free_vgpr 17
		.amdhsa_next_free_sgpr 38
		.amdhsa_accum_offset 20
		.amdhsa_reserve_vcc 1
		.amdhsa_reserve_flat_scratch 0
		.amdhsa_float_round_mode_32 0
		.amdhsa_float_round_mode_16_64 0
		.amdhsa_float_denorm_mode_32 3
		.amdhsa_float_denorm_mode_16_64 3
		.amdhsa_dx10_clamp 1
		.amdhsa_ieee_mode 1
		.amdhsa_fp16_overflow 0
		.amdhsa_tg_split 0
		.amdhsa_exception_fp_ieee_invalid_op 0
		.amdhsa_exception_fp_denorm_src 0
		.amdhsa_exception_fp_ieee_div_zero 0
		.amdhsa_exception_fp_ieee_overflow 0
		.amdhsa_exception_fp_ieee_underflow 0
		.amdhsa_exception_fp_ieee_inexact 0
		.amdhsa_exception_int_div_zero 0
	.end_amdhsa_kernel
	.section	.text._ZN7rocprim17ROCPRIM_400000_NS6detail17trampoline_kernelINS0_14default_configENS1_35adjacent_difference_config_selectorILb1ElEEZNS1_24adjacent_difference_implIS3_Lb1ELb0EPlS7_ZN2at6native12_GLOBAL__N_124unique_dim_cuda_templateIjEESt5tupleIJNS8_6TensorESD_SD_EERKSD_lbbbEUlllE1_EE10hipError_tPvRmT2_T3_mT4_P12ihipStream_tbEUlT_E_NS1_11comp_targetILNS1_3genE4ELNS1_11target_archE910ELNS1_3gpuE8ELNS1_3repE0EEENS1_30default_config_static_selectorELNS0_4arch9wavefront6targetE1EEEvT1_,"axG",@progbits,_ZN7rocprim17ROCPRIM_400000_NS6detail17trampoline_kernelINS0_14default_configENS1_35adjacent_difference_config_selectorILb1ElEEZNS1_24adjacent_difference_implIS3_Lb1ELb0EPlS7_ZN2at6native12_GLOBAL__N_124unique_dim_cuda_templateIjEESt5tupleIJNS8_6TensorESD_SD_EERKSD_lbbbEUlllE1_EE10hipError_tPvRmT2_T3_mT4_P12ihipStream_tbEUlT_E_NS1_11comp_targetILNS1_3genE4ELNS1_11target_archE910ELNS1_3gpuE8ELNS1_3repE0EEENS1_30default_config_static_selectorELNS0_4arch9wavefront6targetE1EEEvT1_,comdat
.Lfunc_end1534:
	.size	_ZN7rocprim17ROCPRIM_400000_NS6detail17trampoline_kernelINS0_14default_configENS1_35adjacent_difference_config_selectorILb1ElEEZNS1_24adjacent_difference_implIS3_Lb1ELb0EPlS7_ZN2at6native12_GLOBAL__N_124unique_dim_cuda_templateIjEESt5tupleIJNS8_6TensorESD_SD_EERKSD_lbbbEUlllE1_EE10hipError_tPvRmT2_T3_mT4_P12ihipStream_tbEUlT_E_NS1_11comp_targetILNS1_3genE4ELNS1_11target_archE910ELNS1_3gpuE8ELNS1_3repE0EEENS1_30default_config_static_selectorELNS0_4arch9wavefront6targetE1EEEvT1_, .Lfunc_end1534-_ZN7rocprim17ROCPRIM_400000_NS6detail17trampoline_kernelINS0_14default_configENS1_35adjacent_difference_config_selectorILb1ElEEZNS1_24adjacent_difference_implIS3_Lb1ELb0EPlS7_ZN2at6native12_GLOBAL__N_124unique_dim_cuda_templateIjEESt5tupleIJNS8_6TensorESD_SD_EERKSD_lbbbEUlllE1_EE10hipError_tPvRmT2_T3_mT4_P12ihipStream_tbEUlT_E_NS1_11comp_targetILNS1_3genE4ELNS1_11target_archE910ELNS1_3gpuE8ELNS1_3repE0EEENS1_30default_config_static_selectorELNS0_4arch9wavefront6targetE1EEEvT1_
                                        ; -- End function
	.section	.AMDGPU.csdata,"",@progbits
; Kernel info:
; codeLenInByte = 4304
; NumSgprs: 42
; NumVgprs: 17
; NumAgprs: 0
; TotalNumVgprs: 17
; ScratchSize: 0
; MemoryBound: 0
; FloatMode: 240
; IeeeMode: 1
; LDSByteSize: 8448 bytes/workgroup (compile time only)
; SGPRBlocks: 5
; VGPRBlocks: 2
; NumSGPRsForWavesPerEU: 42
; NumVGPRsForWavesPerEU: 17
; AccumOffset: 20
; Occupancy: 8
; WaveLimiterHint : 1
; COMPUTE_PGM_RSRC2:SCRATCH_EN: 0
; COMPUTE_PGM_RSRC2:USER_SGPR: 6
; COMPUTE_PGM_RSRC2:TRAP_HANDLER: 0
; COMPUTE_PGM_RSRC2:TGID_X_EN: 1
; COMPUTE_PGM_RSRC2:TGID_Y_EN: 0
; COMPUTE_PGM_RSRC2:TGID_Z_EN: 0
; COMPUTE_PGM_RSRC2:TIDIG_COMP_CNT: 0
; COMPUTE_PGM_RSRC3_GFX90A:ACCUM_OFFSET: 4
; COMPUTE_PGM_RSRC3_GFX90A:TG_SPLIT: 0
	.section	.text._ZN7rocprim17ROCPRIM_400000_NS6detail17trampoline_kernelINS0_14default_configENS1_35adjacent_difference_config_selectorILb1ElEEZNS1_24adjacent_difference_implIS3_Lb1ELb0EPlS7_ZN2at6native12_GLOBAL__N_124unique_dim_cuda_templateIjEESt5tupleIJNS8_6TensorESD_SD_EERKSD_lbbbEUlllE1_EE10hipError_tPvRmT2_T3_mT4_P12ihipStream_tbEUlT_E_NS1_11comp_targetILNS1_3genE3ELNS1_11target_archE908ELNS1_3gpuE7ELNS1_3repE0EEENS1_30default_config_static_selectorELNS0_4arch9wavefront6targetE1EEEvT1_,"axG",@progbits,_ZN7rocprim17ROCPRIM_400000_NS6detail17trampoline_kernelINS0_14default_configENS1_35adjacent_difference_config_selectorILb1ElEEZNS1_24adjacent_difference_implIS3_Lb1ELb0EPlS7_ZN2at6native12_GLOBAL__N_124unique_dim_cuda_templateIjEESt5tupleIJNS8_6TensorESD_SD_EERKSD_lbbbEUlllE1_EE10hipError_tPvRmT2_T3_mT4_P12ihipStream_tbEUlT_E_NS1_11comp_targetILNS1_3genE3ELNS1_11target_archE908ELNS1_3gpuE7ELNS1_3repE0EEENS1_30default_config_static_selectorELNS0_4arch9wavefront6targetE1EEEvT1_,comdat
	.globl	_ZN7rocprim17ROCPRIM_400000_NS6detail17trampoline_kernelINS0_14default_configENS1_35adjacent_difference_config_selectorILb1ElEEZNS1_24adjacent_difference_implIS3_Lb1ELb0EPlS7_ZN2at6native12_GLOBAL__N_124unique_dim_cuda_templateIjEESt5tupleIJNS8_6TensorESD_SD_EERKSD_lbbbEUlllE1_EE10hipError_tPvRmT2_T3_mT4_P12ihipStream_tbEUlT_E_NS1_11comp_targetILNS1_3genE3ELNS1_11target_archE908ELNS1_3gpuE7ELNS1_3repE0EEENS1_30default_config_static_selectorELNS0_4arch9wavefront6targetE1EEEvT1_ ; -- Begin function _ZN7rocprim17ROCPRIM_400000_NS6detail17trampoline_kernelINS0_14default_configENS1_35adjacent_difference_config_selectorILb1ElEEZNS1_24adjacent_difference_implIS3_Lb1ELb0EPlS7_ZN2at6native12_GLOBAL__N_124unique_dim_cuda_templateIjEESt5tupleIJNS8_6TensorESD_SD_EERKSD_lbbbEUlllE1_EE10hipError_tPvRmT2_T3_mT4_P12ihipStream_tbEUlT_E_NS1_11comp_targetILNS1_3genE3ELNS1_11target_archE908ELNS1_3gpuE7ELNS1_3repE0EEENS1_30default_config_static_selectorELNS0_4arch9wavefront6targetE1EEEvT1_
	.p2align	8
	.type	_ZN7rocprim17ROCPRIM_400000_NS6detail17trampoline_kernelINS0_14default_configENS1_35adjacent_difference_config_selectorILb1ElEEZNS1_24adjacent_difference_implIS3_Lb1ELb0EPlS7_ZN2at6native12_GLOBAL__N_124unique_dim_cuda_templateIjEESt5tupleIJNS8_6TensorESD_SD_EERKSD_lbbbEUlllE1_EE10hipError_tPvRmT2_T3_mT4_P12ihipStream_tbEUlT_E_NS1_11comp_targetILNS1_3genE3ELNS1_11target_archE908ELNS1_3gpuE7ELNS1_3repE0EEENS1_30default_config_static_selectorELNS0_4arch9wavefront6targetE1EEEvT1_,@function
_ZN7rocprim17ROCPRIM_400000_NS6detail17trampoline_kernelINS0_14default_configENS1_35adjacent_difference_config_selectorILb1ElEEZNS1_24adjacent_difference_implIS3_Lb1ELb0EPlS7_ZN2at6native12_GLOBAL__N_124unique_dim_cuda_templateIjEESt5tupleIJNS8_6TensorESD_SD_EERKSD_lbbbEUlllE1_EE10hipError_tPvRmT2_T3_mT4_P12ihipStream_tbEUlT_E_NS1_11comp_targetILNS1_3genE3ELNS1_11target_archE908ELNS1_3gpuE7ELNS1_3repE0EEENS1_30default_config_static_selectorELNS0_4arch9wavefront6targetE1EEEvT1_: ; @_ZN7rocprim17ROCPRIM_400000_NS6detail17trampoline_kernelINS0_14default_configENS1_35adjacent_difference_config_selectorILb1ElEEZNS1_24adjacent_difference_implIS3_Lb1ELb0EPlS7_ZN2at6native12_GLOBAL__N_124unique_dim_cuda_templateIjEESt5tupleIJNS8_6TensorESD_SD_EERKSD_lbbbEUlllE1_EE10hipError_tPvRmT2_T3_mT4_P12ihipStream_tbEUlT_E_NS1_11comp_targetILNS1_3genE3ELNS1_11target_archE908ELNS1_3gpuE7ELNS1_3repE0EEENS1_30default_config_static_selectorELNS0_4arch9wavefront6targetE1EEEvT1_
; %bb.0:
	.section	.rodata,"a",@progbits
	.p2align	6, 0x0
	.amdhsa_kernel _ZN7rocprim17ROCPRIM_400000_NS6detail17trampoline_kernelINS0_14default_configENS1_35adjacent_difference_config_selectorILb1ElEEZNS1_24adjacent_difference_implIS3_Lb1ELb0EPlS7_ZN2at6native12_GLOBAL__N_124unique_dim_cuda_templateIjEESt5tupleIJNS8_6TensorESD_SD_EERKSD_lbbbEUlllE1_EE10hipError_tPvRmT2_T3_mT4_P12ihipStream_tbEUlT_E_NS1_11comp_targetILNS1_3genE3ELNS1_11target_archE908ELNS1_3gpuE7ELNS1_3repE0EEENS1_30default_config_static_selectorELNS0_4arch9wavefront6targetE1EEEvT1_
		.amdhsa_group_segment_fixed_size 0
		.amdhsa_private_segment_fixed_size 0
		.amdhsa_kernarg_size 64
		.amdhsa_user_sgpr_count 6
		.amdhsa_user_sgpr_private_segment_buffer 1
		.amdhsa_user_sgpr_dispatch_ptr 0
		.amdhsa_user_sgpr_queue_ptr 0
		.amdhsa_user_sgpr_kernarg_segment_ptr 1
		.amdhsa_user_sgpr_dispatch_id 0
		.amdhsa_user_sgpr_flat_scratch_init 0
		.amdhsa_user_sgpr_kernarg_preload_length 0
		.amdhsa_user_sgpr_kernarg_preload_offset 0
		.amdhsa_user_sgpr_private_segment_size 0
		.amdhsa_uses_dynamic_stack 0
		.amdhsa_system_sgpr_private_segment_wavefront_offset 0
		.amdhsa_system_sgpr_workgroup_id_x 1
		.amdhsa_system_sgpr_workgroup_id_y 0
		.amdhsa_system_sgpr_workgroup_id_z 0
		.amdhsa_system_sgpr_workgroup_info 0
		.amdhsa_system_vgpr_workitem_id 0
		.amdhsa_next_free_vgpr 1
		.amdhsa_next_free_sgpr 0
		.amdhsa_accum_offset 4
		.amdhsa_reserve_vcc 0
		.amdhsa_reserve_flat_scratch 0
		.amdhsa_float_round_mode_32 0
		.amdhsa_float_round_mode_16_64 0
		.amdhsa_float_denorm_mode_32 3
		.amdhsa_float_denorm_mode_16_64 3
		.amdhsa_dx10_clamp 1
		.amdhsa_ieee_mode 1
		.amdhsa_fp16_overflow 0
		.amdhsa_tg_split 0
		.amdhsa_exception_fp_ieee_invalid_op 0
		.amdhsa_exception_fp_denorm_src 0
		.amdhsa_exception_fp_ieee_div_zero 0
		.amdhsa_exception_fp_ieee_overflow 0
		.amdhsa_exception_fp_ieee_underflow 0
		.amdhsa_exception_fp_ieee_inexact 0
		.amdhsa_exception_int_div_zero 0
	.end_amdhsa_kernel
	.section	.text._ZN7rocprim17ROCPRIM_400000_NS6detail17trampoline_kernelINS0_14default_configENS1_35adjacent_difference_config_selectorILb1ElEEZNS1_24adjacent_difference_implIS3_Lb1ELb0EPlS7_ZN2at6native12_GLOBAL__N_124unique_dim_cuda_templateIjEESt5tupleIJNS8_6TensorESD_SD_EERKSD_lbbbEUlllE1_EE10hipError_tPvRmT2_T3_mT4_P12ihipStream_tbEUlT_E_NS1_11comp_targetILNS1_3genE3ELNS1_11target_archE908ELNS1_3gpuE7ELNS1_3repE0EEENS1_30default_config_static_selectorELNS0_4arch9wavefront6targetE1EEEvT1_,"axG",@progbits,_ZN7rocprim17ROCPRIM_400000_NS6detail17trampoline_kernelINS0_14default_configENS1_35adjacent_difference_config_selectorILb1ElEEZNS1_24adjacent_difference_implIS3_Lb1ELb0EPlS7_ZN2at6native12_GLOBAL__N_124unique_dim_cuda_templateIjEESt5tupleIJNS8_6TensorESD_SD_EERKSD_lbbbEUlllE1_EE10hipError_tPvRmT2_T3_mT4_P12ihipStream_tbEUlT_E_NS1_11comp_targetILNS1_3genE3ELNS1_11target_archE908ELNS1_3gpuE7ELNS1_3repE0EEENS1_30default_config_static_selectorELNS0_4arch9wavefront6targetE1EEEvT1_,comdat
.Lfunc_end1535:
	.size	_ZN7rocprim17ROCPRIM_400000_NS6detail17trampoline_kernelINS0_14default_configENS1_35adjacent_difference_config_selectorILb1ElEEZNS1_24adjacent_difference_implIS3_Lb1ELb0EPlS7_ZN2at6native12_GLOBAL__N_124unique_dim_cuda_templateIjEESt5tupleIJNS8_6TensorESD_SD_EERKSD_lbbbEUlllE1_EE10hipError_tPvRmT2_T3_mT4_P12ihipStream_tbEUlT_E_NS1_11comp_targetILNS1_3genE3ELNS1_11target_archE908ELNS1_3gpuE7ELNS1_3repE0EEENS1_30default_config_static_selectorELNS0_4arch9wavefront6targetE1EEEvT1_, .Lfunc_end1535-_ZN7rocprim17ROCPRIM_400000_NS6detail17trampoline_kernelINS0_14default_configENS1_35adjacent_difference_config_selectorILb1ElEEZNS1_24adjacent_difference_implIS3_Lb1ELb0EPlS7_ZN2at6native12_GLOBAL__N_124unique_dim_cuda_templateIjEESt5tupleIJNS8_6TensorESD_SD_EERKSD_lbbbEUlllE1_EE10hipError_tPvRmT2_T3_mT4_P12ihipStream_tbEUlT_E_NS1_11comp_targetILNS1_3genE3ELNS1_11target_archE908ELNS1_3gpuE7ELNS1_3repE0EEENS1_30default_config_static_selectorELNS0_4arch9wavefront6targetE1EEEvT1_
                                        ; -- End function
	.section	.AMDGPU.csdata,"",@progbits
; Kernel info:
; codeLenInByte = 0
; NumSgprs: 4
; NumVgprs: 0
; NumAgprs: 0
; TotalNumVgprs: 0
; ScratchSize: 0
; MemoryBound: 0
; FloatMode: 240
; IeeeMode: 1
; LDSByteSize: 0 bytes/workgroup (compile time only)
; SGPRBlocks: 0
; VGPRBlocks: 0
; NumSGPRsForWavesPerEU: 4
; NumVGPRsForWavesPerEU: 1
; AccumOffset: 4
; Occupancy: 8
; WaveLimiterHint : 0
; COMPUTE_PGM_RSRC2:SCRATCH_EN: 0
; COMPUTE_PGM_RSRC2:USER_SGPR: 6
; COMPUTE_PGM_RSRC2:TRAP_HANDLER: 0
; COMPUTE_PGM_RSRC2:TGID_X_EN: 1
; COMPUTE_PGM_RSRC2:TGID_Y_EN: 0
; COMPUTE_PGM_RSRC2:TGID_Z_EN: 0
; COMPUTE_PGM_RSRC2:TIDIG_COMP_CNT: 0
; COMPUTE_PGM_RSRC3_GFX90A:ACCUM_OFFSET: 0
; COMPUTE_PGM_RSRC3_GFX90A:TG_SPLIT: 0
	.section	.text._ZN7rocprim17ROCPRIM_400000_NS6detail17trampoline_kernelINS0_14default_configENS1_35adjacent_difference_config_selectorILb1ElEEZNS1_24adjacent_difference_implIS3_Lb1ELb0EPlS7_ZN2at6native12_GLOBAL__N_124unique_dim_cuda_templateIjEESt5tupleIJNS8_6TensorESD_SD_EERKSD_lbbbEUlllE1_EE10hipError_tPvRmT2_T3_mT4_P12ihipStream_tbEUlT_E_NS1_11comp_targetILNS1_3genE2ELNS1_11target_archE906ELNS1_3gpuE6ELNS1_3repE0EEENS1_30default_config_static_selectorELNS0_4arch9wavefront6targetE1EEEvT1_,"axG",@progbits,_ZN7rocprim17ROCPRIM_400000_NS6detail17trampoline_kernelINS0_14default_configENS1_35adjacent_difference_config_selectorILb1ElEEZNS1_24adjacent_difference_implIS3_Lb1ELb0EPlS7_ZN2at6native12_GLOBAL__N_124unique_dim_cuda_templateIjEESt5tupleIJNS8_6TensorESD_SD_EERKSD_lbbbEUlllE1_EE10hipError_tPvRmT2_T3_mT4_P12ihipStream_tbEUlT_E_NS1_11comp_targetILNS1_3genE2ELNS1_11target_archE906ELNS1_3gpuE6ELNS1_3repE0EEENS1_30default_config_static_selectorELNS0_4arch9wavefront6targetE1EEEvT1_,comdat
	.globl	_ZN7rocprim17ROCPRIM_400000_NS6detail17trampoline_kernelINS0_14default_configENS1_35adjacent_difference_config_selectorILb1ElEEZNS1_24adjacent_difference_implIS3_Lb1ELb0EPlS7_ZN2at6native12_GLOBAL__N_124unique_dim_cuda_templateIjEESt5tupleIJNS8_6TensorESD_SD_EERKSD_lbbbEUlllE1_EE10hipError_tPvRmT2_T3_mT4_P12ihipStream_tbEUlT_E_NS1_11comp_targetILNS1_3genE2ELNS1_11target_archE906ELNS1_3gpuE6ELNS1_3repE0EEENS1_30default_config_static_selectorELNS0_4arch9wavefront6targetE1EEEvT1_ ; -- Begin function _ZN7rocprim17ROCPRIM_400000_NS6detail17trampoline_kernelINS0_14default_configENS1_35adjacent_difference_config_selectorILb1ElEEZNS1_24adjacent_difference_implIS3_Lb1ELb0EPlS7_ZN2at6native12_GLOBAL__N_124unique_dim_cuda_templateIjEESt5tupleIJNS8_6TensorESD_SD_EERKSD_lbbbEUlllE1_EE10hipError_tPvRmT2_T3_mT4_P12ihipStream_tbEUlT_E_NS1_11comp_targetILNS1_3genE2ELNS1_11target_archE906ELNS1_3gpuE6ELNS1_3repE0EEENS1_30default_config_static_selectorELNS0_4arch9wavefront6targetE1EEEvT1_
	.p2align	8
	.type	_ZN7rocprim17ROCPRIM_400000_NS6detail17trampoline_kernelINS0_14default_configENS1_35adjacent_difference_config_selectorILb1ElEEZNS1_24adjacent_difference_implIS3_Lb1ELb0EPlS7_ZN2at6native12_GLOBAL__N_124unique_dim_cuda_templateIjEESt5tupleIJNS8_6TensorESD_SD_EERKSD_lbbbEUlllE1_EE10hipError_tPvRmT2_T3_mT4_P12ihipStream_tbEUlT_E_NS1_11comp_targetILNS1_3genE2ELNS1_11target_archE906ELNS1_3gpuE6ELNS1_3repE0EEENS1_30default_config_static_selectorELNS0_4arch9wavefront6targetE1EEEvT1_,@function
_ZN7rocprim17ROCPRIM_400000_NS6detail17trampoline_kernelINS0_14default_configENS1_35adjacent_difference_config_selectorILb1ElEEZNS1_24adjacent_difference_implIS3_Lb1ELb0EPlS7_ZN2at6native12_GLOBAL__N_124unique_dim_cuda_templateIjEESt5tupleIJNS8_6TensorESD_SD_EERKSD_lbbbEUlllE1_EE10hipError_tPvRmT2_T3_mT4_P12ihipStream_tbEUlT_E_NS1_11comp_targetILNS1_3genE2ELNS1_11target_archE906ELNS1_3gpuE6ELNS1_3repE0EEENS1_30default_config_static_selectorELNS0_4arch9wavefront6targetE1EEEvT1_: ; @_ZN7rocprim17ROCPRIM_400000_NS6detail17trampoline_kernelINS0_14default_configENS1_35adjacent_difference_config_selectorILb1ElEEZNS1_24adjacent_difference_implIS3_Lb1ELb0EPlS7_ZN2at6native12_GLOBAL__N_124unique_dim_cuda_templateIjEESt5tupleIJNS8_6TensorESD_SD_EERKSD_lbbbEUlllE1_EE10hipError_tPvRmT2_T3_mT4_P12ihipStream_tbEUlT_E_NS1_11comp_targetILNS1_3genE2ELNS1_11target_archE906ELNS1_3gpuE6ELNS1_3repE0EEENS1_30default_config_static_selectorELNS0_4arch9wavefront6targetE1EEEvT1_
; %bb.0:
	.section	.rodata,"a",@progbits
	.p2align	6, 0x0
	.amdhsa_kernel _ZN7rocprim17ROCPRIM_400000_NS6detail17trampoline_kernelINS0_14default_configENS1_35adjacent_difference_config_selectorILb1ElEEZNS1_24adjacent_difference_implIS3_Lb1ELb0EPlS7_ZN2at6native12_GLOBAL__N_124unique_dim_cuda_templateIjEESt5tupleIJNS8_6TensorESD_SD_EERKSD_lbbbEUlllE1_EE10hipError_tPvRmT2_T3_mT4_P12ihipStream_tbEUlT_E_NS1_11comp_targetILNS1_3genE2ELNS1_11target_archE906ELNS1_3gpuE6ELNS1_3repE0EEENS1_30default_config_static_selectorELNS0_4arch9wavefront6targetE1EEEvT1_
		.amdhsa_group_segment_fixed_size 0
		.amdhsa_private_segment_fixed_size 0
		.amdhsa_kernarg_size 64
		.amdhsa_user_sgpr_count 6
		.amdhsa_user_sgpr_private_segment_buffer 1
		.amdhsa_user_sgpr_dispatch_ptr 0
		.amdhsa_user_sgpr_queue_ptr 0
		.amdhsa_user_sgpr_kernarg_segment_ptr 1
		.amdhsa_user_sgpr_dispatch_id 0
		.amdhsa_user_sgpr_flat_scratch_init 0
		.amdhsa_user_sgpr_kernarg_preload_length 0
		.amdhsa_user_sgpr_kernarg_preload_offset 0
		.amdhsa_user_sgpr_private_segment_size 0
		.amdhsa_uses_dynamic_stack 0
		.amdhsa_system_sgpr_private_segment_wavefront_offset 0
		.amdhsa_system_sgpr_workgroup_id_x 1
		.amdhsa_system_sgpr_workgroup_id_y 0
		.amdhsa_system_sgpr_workgroup_id_z 0
		.amdhsa_system_sgpr_workgroup_info 0
		.amdhsa_system_vgpr_workitem_id 0
		.amdhsa_next_free_vgpr 1
		.amdhsa_next_free_sgpr 0
		.amdhsa_accum_offset 4
		.amdhsa_reserve_vcc 0
		.amdhsa_reserve_flat_scratch 0
		.amdhsa_float_round_mode_32 0
		.amdhsa_float_round_mode_16_64 0
		.amdhsa_float_denorm_mode_32 3
		.amdhsa_float_denorm_mode_16_64 3
		.amdhsa_dx10_clamp 1
		.amdhsa_ieee_mode 1
		.amdhsa_fp16_overflow 0
		.amdhsa_tg_split 0
		.amdhsa_exception_fp_ieee_invalid_op 0
		.amdhsa_exception_fp_denorm_src 0
		.amdhsa_exception_fp_ieee_div_zero 0
		.amdhsa_exception_fp_ieee_overflow 0
		.amdhsa_exception_fp_ieee_underflow 0
		.amdhsa_exception_fp_ieee_inexact 0
		.amdhsa_exception_int_div_zero 0
	.end_amdhsa_kernel
	.section	.text._ZN7rocprim17ROCPRIM_400000_NS6detail17trampoline_kernelINS0_14default_configENS1_35adjacent_difference_config_selectorILb1ElEEZNS1_24adjacent_difference_implIS3_Lb1ELb0EPlS7_ZN2at6native12_GLOBAL__N_124unique_dim_cuda_templateIjEESt5tupleIJNS8_6TensorESD_SD_EERKSD_lbbbEUlllE1_EE10hipError_tPvRmT2_T3_mT4_P12ihipStream_tbEUlT_E_NS1_11comp_targetILNS1_3genE2ELNS1_11target_archE906ELNS1_3gpuE6ELNS1_3repE0EEENS1_30default_config_static_selectorELNS0_4arch9wavefront6targetE1EEEvT1_,"axG",@progbits,_ZN7rocprim17ROCPRIM_400000_NS6detail17trampoline_kernelINS0_14default_configENS1_35adjacent_difference_config_selectorILb1ElEEZNS1_24adjacent_difference_implIS3_Lb1ELb0EPlS7_ZN2at6native12_GLOBAL__N_124unique_dim_cuda_templateIjEESt5tupleIJNS8_6TensorESD_SD_EERKSD_lbbbEUlllE1_EE10hipError_tPvRmT2_T3_mT4_P12ihipStream_tbEUlT_E_NS1_11comp_targetILNS1_3genE2ELNS1_11target_archE906ELNS1_3gpuE6ELNS1_3repE0EEENS1_30default_config_static_selectorELNS0_4arch9wavefront6targetE1EEEvT1_,comdat
.Lfunc_end1536:
	.size	_ZN7rocprim17ROCPRIM_400000_NS6detail17trampoline_kernelINS0_14default_configENS1_35adjacent_difference_config_selectorILb1ElEEZNS1_24adjacent_difference_implIS3_Lb1ELb0EPlS7_ZN2at6native12_GLOBAL__N_124unique_dim_cuda_templateIjEESt5tupleIJNS8_6TensorESD_SD_EERKSD_lbbbEUlllE1_EE10hipError_tPvRmT2_T3_mT4_P12ihipStream_tbEUlT_E_NS1_11comp_targetILNS1_3genE2ELNS1_11target_archE906ELNS1_3gpuE6ELNS1_3repE0EEENS1_30default_config_static_selectorELNS0_4arch9wavefront6targetE1EEEvT1_, .Lfunc_end1536-_ZN7rocprim17ROCPRIM_400000_NS6detail17trampoline_kernelINS0_14default_configENS1_35adjacent_difference_config_selectorILb1ElEEZNS1_24adjacent_difference_implIS3_Lb1ELb0EPlS7_ZN2at6native12_GLOBAL__N_124unique_dim_cuda_templateIjEESt5tupleIJNS8_6TensorESD_SD_EERKSD_lbbbEUlllE1_EE10hipError_tPvRmT2_T3_mT4_P12ihipStream_tbEUlT_E_NS1_11comp_targetILNS1_3genE2ELNS1_11target_archE906ELNS1_3gpuE6ELNS1_3repE0EEENS1_30default_config_static_selectorELNS0_4arch9wavefront6targetE1EEEvT1_
                                        ; -- End function
	.section	.AMDGPU.csdata,"",@progbits
; Kernel info:
; codeLenInByte = 0
; NumSgprs: 4
; NumVgprs: 0
; NumAgprs: 0
; TotalNumVgprs: 0
; ScratchSize: 0
; MemoryBound: 0
; FloatMode: 240
; IeeeMode: 1
; LDSByteSize: 0 bytes/workgroup (compile time only)
; SGPRBlocks: 0
; VGPRBlocks: 0
; NumSGPRsForWavesPerEU: 4
; NumVGPRsForWavesPerEU: 1
; AccumOffset: 4
; Occupancy: 8
; WaveLimiterHint : 0
; COMPUTE_PGM_RSRC2:SCRATCH_EN: 0
; COMPUTE_PGM_RSRC2:USER_SGPR: 6
; COMPUTE_PGM_RSRC2:TRAP_HANDLER: 0
; COMPUTE_PGM_RSRC2:TGID_X_EN: 1
; COMPUTE_PGM_RSRC2:TGID_Y_EN: 0
; COMPUTE_PGM_RSRC2:TGID_Z_EN: 0
; COMPUTE_PGM_RSRC2:TIDIG_COMP_CNT: 0
; COMPUTE_PGM_RSRC3_GFX90A:ACCUM_OFFSET: 0
; COMPUTE_PGM_RSRC3_GFX90A:TG_SPLIT: 0
	.section	.text._ZN7rocprim17ROCPRIM_400000_NS6detail17trampoline_kernelINS0_14default_configENS1_35adjacent_difference_config_selectorILb1ElEEZNS1_24adjacent_difference_implIS3_Lb1ELb0EPlS7_ZN2at6native12_GLOBAL__N_124unique_dim_cuda_templateIjEESt5tupleIJNS8_6TensorESD_SD_EERKSD_lbbbEUlllE1_EE10hipError_tPvRmT2_T3_mT4_P12ihipStream_tbEUlT_E_NS1_11comp_targetILNS1_3genE9ELNS1_11target_archE1100ELNS1_3gpuE3ELNS1_3repE0EEENS1_30default_config_static_selectorELNS0_4arch9wavefront6targetE1EEEvT1_,"axG",@progbits,_ZN7rocprim17ROCPRIM_400000_NS6detail17trampoline_kernelINS0_14default_configENS1_35adjacent_difference_config_selectorILb1ElEEZNS1_24adjacent_difference_implIS3_Lb1ELb0EPlS7_ZN2at6native12_GLOBAL__N_124unique_dim_cuda_templateIjEESt5tupleIJNS8_6TensorESD_SD_EERKSD_lbbbEUlllE1_EE10hipError_tPvRmT2_T3_mT4_P12ihipStream_tbEUlT_E_NS1_11comp_targetILNS1_3genE9ELNS1_11target_archE1100ELNS1_3gpuE3ELNS1_3repE0EEENS1_30default_config_static_selectorELNS0_4arch9wavefront6targetE1EEEvT1_,comdat
	.globl	_ZN7rocprim17ROCPRIM_400000_NS6detail17trampoline_kernelINS0_14default_configENS1_35adjacent_difference_config_selectorILb1ElEEZNS1_24adjacent_difference_implIS3_Lb1ELb0EPlS7_ZN2at6native12_GLOBAL__N_124unique_dim_cuda_templateIjEESt5tupleIJNS8_6TensorESD_SD_EERKSD_lbbbEUlllE1_EE10hipError_tPvRmT2_T3_mT4_P12ihipStream_tbEUlT_E_NS1_11comp_targetILNS1_3genE9ELNS1_11target_archE1100ELNS1_3gpuE3ELNS1_3repE0EEENS1_30default_config_static_selectorELNS0_4arch9wavefront6targetE1EEEvT1_ ; -- Begin function _ZN7rocprim17ROCPRIM_400000_NS6detail17trampoline_kernelINS0_14default_configENS1_35adjacent_difference_config_selectorILb1ElEEZNS1_24adjacent_difference_implIS3_Lb1ELb0EPlS7_ZN2at6native12_GLOBAL__N_124unique_dim_cuda_templateIjEESt5tupleIJNS8_6TensorESD_SD_EERKSD_lbbbEUlllE1_EE10hipError_tPvRmT2_T3_mT4_P12ihipStream_tbEUlT_E_NS1_11comp_targetILNS1_3genE9ELNS1_11target_archE1100ELNS1_3gpuE3ELNS1_3repE0EEENS1_30default_config_static_selectorELNS0_4arch9wavefront6targetE1EEEvT1_
	.p2align	8
	.type	_ZN7rocprim17ROCPRIM_400000_NS6detail17trampoline_kernelINS0_14default_configENS1_35adjacent_difference_config_selectorILb1ElEEZNS1_24adjacent_difference_implIS3_Lb1ELb0EPlS7_ZN2at6native12_GLOBAL__N_124unique_dim_cuda_templateIjEESt5tupleIJNS8_6TensorESD_SD_EERKSD_lbbbEUlllE1_EE10hipError_tPvRmT2_T3_mT4_P12ihipStream_tbEUlT_E_NS1_11comp_targetILNS1_3genE9ELNS1_11target_archE1100ELNS1_3gpuE3ELNS1_3repE0EEENS1_30default_config_static_selectorELNS0_4arch9wavefront6targetE1EEEvT1_,@function
_ZN7rocprim17ROCPRIM_400000_NS6detail17trampoline_kernelINS0_14default_configENS1_35adjacent_difference_config_selectorILb1ElEEZNS1_24adjacent_difference_implIS3_Lb1ELb0EPlS7_ZN2at6native12_GLOBAL__N_124unique_dim_cuda_templateIjEESt5tupleIJNS8_6TensorESD_SD_EERKSD_lbbbEUlllE1_EE10hipError_tPvRmT2_T3_mT4_P12ihipStream_tbEUlT_E_NS1_11comp_targetILNS1_3genE9ELNS1_11target_archE1100ELNS1_3gpuE3ELNS1_3repE0EEENS1_30default_config_static_selectorELNS0_4arch9wavefront6targetE1EEEvT1_: ; @_ZN7rocprim17ROCPRIM_400000_NS6detail17trampoline_kernelINS0_14default_configENS1_35adjacent_difference_config_selectorILb1ElEEZNS1_24adjacent_difference_implIS3_Lb1ELb0EPlS7_ZN2at6native12_GLOBAL__N_124unique_dim_cuda_templateIjEESt5tupleIJNS8_6TensorESD_SD_EERKSD_lbbbEUlllE1_EE10hipError_tPvRmT2_T3_mT4_P12ihipStream_tbEUlT_E_NS1_11comp_targetILNS1_3genE9ELNS1_11target_archE1100ELNS1_3gpuE3ELNS1_3repE0EEENS1_30default_config_static_selectorELNS0_4arch9wavefront6targetE1EEEvT1_
; %bb.0:
	.section	.rodata,"a",@progbits
	.p2align	6, 0x0
	.amdhsa_kernel _ZN7rocprim17ROCPRIM_400000_NS6detail17trampoline_kernelINS0_14default_configENS1_35adjacent_difference_config_selectorILb1ElEEZNS1_24adjacent_difference_implIS3_Lb1ELb0EPlS7_ZN2at6native12_GLOBAL__N_124unique_dim_cuda_templateIjEESt5tupleIJNS8_6TensorESD_SD_EERKSD_lbbbEUlllE1_EE10hipError_tPvRmT2_T3_mT4_P12ihipStream_tbEUlT_E_NS1_11comp_targetILNS1_3genE9ELNS1_11target_archE1100ELNS1_3gpuE3ELNS1_3repE0EEENS1_30default_config_static_selectorELNS0_4arch9wavefront6targetE1EEEvT1_
		.amdhsa_group_segment_fixed_size 0
		.amdhsa_private_segment_fixed_size 0
		.amdhsa_kernarg_size 64
		.amdhsa_user_sgpr_count 6
		.amdhsa_user_sgpr_private_segment_buffer 1
		.amdhsa_user_sgpr_dispatch_ptr 0
		.amdhsa_user_sgpr_queue_ptr 0
		.amdhsa_user_sgpr_kernarg_segment_ptr 1
		.amdhsa_user_sgpr_dispatch_id 0
		.amdhsa_user_sgpr_flat_scratch_init 0
		.amdhsa_user_sgpr_kernarg_preload_length 0
		.amdhsa_user_sgpr_kernarg_preload_offset 0
		.amdhsa_user_sgpr_private_segment_size 0
		.amdhsa_uses_dynamic_stack 0
		.amdhsa_system_sgpr_private_segment_wavefront_offset 0
		.amdhsa_system_sgpr_workgroup_id_x 1
		.amdhsa_system_sgpr_workgroup_id_y 0
		.amdhsa_system_sgpr_workgroup_id_z 0
		.amdhsa_system_sgpr_workgroup_info 0
		.amdhsa_system_vgpr_workitem_id 0
		.amdhsa_next_free_vgpr 1
		.amdhsa_next_free_sgpr 0
		.amdhsa_accum_offset 4
		.amdhsa_reserve_vcc 0
		.amdhsa_reserve_flat_scratch 0
		.amdhsa_float_round_mode_32 0
		.amdhsa_float_round_mode_16_64 0
		.amdhsa_float_denorm_mode_32 3
		.amdhsa_float_denorm_mode_16_64 3
		.amdhsa_dx10_clamp 1
		.amdhsa_ieee_mode 1
		.amdhsa_fp16_overflow 0
		.amdhsa_tg_split 0
		.amdhsa_exception_fp_ieee_invalid_op 0
		.amdhsa_exception_fp_denorm_src 0
		.amdhsa_exception_fp_ieee_div_zero 0
		.amdhsa_exception_fp_ieee_overflow 0
		.amdhsa_exception_fp_ieee_underflow 0
		.amdhsa_exception_fp_ieee_inexact 0
		.amdhsa_exception_int_div_zero 0
	.end_amdhsa_kernel
	.section	.text._ZN7rocprim17ROCPRIM_400000_NS6detail17trampoline_kernelINS0_14default_configENS1_35adjacent_difference_config_selectorILb1ElEEZNS1_24adjacent_difference_implIS3_Lb1ELb0EPlS7_ZN2at6native12_GLOBAL__N_124unique_dim_cuda_templateIjEESt5tupleIJNS8_6TensorESD_SD_EERKSD_lbbbEUlllE1_EE10hipError_tPvRmT2_T3_mT4_P12ihipStream_tbEUlT_E_NS1_11comp_targetILNS1_3genE9ELNS1_11target_archE1100ELNS1_3gpuE3ELNS1_3repE0EEENS1_30default_config_static_selectorELNS0_4arch9wavefront6targetE1EEEvT1_,"axG",@progbits,_ZN7rocprim17ROCPRIM_400000_NS6detail17trampoline_kernelINS0_14default_configENS1_35adjacent_difference_config_selectorILb1ElEEZNS1_24adjacent_difference_implIS3_Lb1ELb0EPlS7_ZN2at6native12_GLOBAL__N_124unique_dim_cuda_templateIjEESt5tupleIJNS8_6TensorESD_SD_EERKSD_lbbbEUlllE1_EE10hipError_tPvRmT2_T3_mT4_P12ihipStream_tbEUlT_E_NS1_11comp_targetILNS1_3genE9ELNS1_11target_archE1100ELNS1_3gpuE3ELNS1_3repE0EEENS1_30default_config_static_selectorELNS0_4arch9wavefront6targetE1EEEvT1_,comdat
.Lfunc_end1537:
	.size	_ZN7rocprim17ROCPRIM_400000_NS6detail17trampoline_kernelINS0_14default_configENS1_35adjacent_difference_config_selectorILb1ElEEZNS1_24adjacent_difference_implIS3_Lb1ELb0EPlS7_ZN2at6native12_GLOBAL__N_124unique_dim_cuda_templateIjEESt5tupleIJNS8_6TensorESD_SD_EERKSD_lbbbEUlllE1_EE10hipError_tPvRmT2_T3_mT4_P12ihipStream_tbEUlT_E_NS1_11comp_targetILNS1_3genE9ELNS1_11target_archE1100ELNS1_3gpuE3ELNS1_3repE0EEENS1_30default_config_static_selectorELNS0_4arch9wavefront6targetE1EEEvT1_, .Lfunc_end1537-_ZN7rocprim17ROCPRIM_400000_NS6detail17trampoline_kernelINS0_14default_configENS1_35adjacent_difference_config_selectorILb1ElEEZNS1_24adjacent_difference_implIS3_Lb1ELb0EPlS7_ZN2at6native12_GLOBAL__N_124unique_dim_cuda_templateIjEESt5tupleIJNS8_6TensorESD_SD_EERKSD_lbbbEUlllE1_EE10hipError_tPvRmT2_T3_mT4_P12ihipStream_tbEUlT_E_NS1_11comp_targetILNS1_3genE9ELNS1_11target_archE1100ELNS1_3gpuE3ELNS1_3repE0EEENS1_30default_config_static_selectorELNS0_4arch9wavefront6targetE1EEEvT1_
                                        ; -- End function
	.section	.AMDGPU.csdata,"",@progbits
; Kernel info:
; codeLenInByte = 0
; NumSgprs: 4
; NumVgprs: 0
; NumAgprs: 0
; TotalNumVgprs: 0
; ScratchSize: 0
; MemoryBound: 0
; FloatMode: 240
; IeeeMode: 1
; LDSByteSize: 0 bytes/workgroup (compile time only)
; SGPRBlocks: 0
; VGPRBlocks: 0
; NumSGPRsForWavesPerEU: 4
; NumVGPRsForWavesPerEU: 1
; AccumOffset: 4
; Occupancy: 8
; WaveLimiterHint : 0
; COMPUTE_PGM_RSRC2:SCRATCH_EN: 0
; COMPUTE_PGM_RSRC2:USER_SGPR: 6
; COMPUTE_PGM_RSRC2:TRAP_HANDLER: 0
; COMPUTE_PGM_RSRC2:TGID_X_EN: 1
; COMPUTE_PGM_RSRC2:TGID_Y_EN: 0
; COMPUTE_PGM_RSRC2:TGID_Z_EN: 0
; COMPUTE_PGM_RSRC2:TIDIG_COMP_CNT: 0
; COMPUTE_PGM_RSRC3_GFX90A:ACCUM_OFFSET: 0
; COMPUTE_PGM_RSRC3_GFX90A:TG_SPLIT: 0
	.section	.text._ZN7rocprim17ROCPRIM_400000_NS6detail17trampoline_kernelINS0_14default_configENS1_35adjacent_difference_config_selectorILb1ElEEZNS1_24adjacent_difference_implIS3_Lb1ELb0EPlS7_ZN2at6native12_GLOBAL__N_124unique_dim_cuda_templateIjEESt5tupleIJNS8_6TensorESD_SD_EERKSD_lbbbEUlllE1_EE10hipError_tPvRmT2_T3_mT4_P12ihipStream_tbEUlT_E_NS1_11comp_targetILNS1_3genE8ELNS1_11target_archE1030ELNS1_3gpuE2ELNS1_3repE0EEENS1_30default_config_static_selectorELNS0_4arch9wavefront6targetE1EEEvT1_,"axG",@progbits,_ZN7rocprim17ROCPRIM_400000_NS6detail17trampoline_kernelINS0_14default_configENS1_35adjacent_difference_config_selectorILb1ElEEZNS1_24adjacent_difference_implIS3_Lb1ELb0EPlS7_ZN2at6native12_GLOBAL__N_124unique_dim_cuda_templateIjEESt5tupleIJNS8_6TensorESD_SD_EERKSD_lbbbEUlllE1_EE10hipError_tPvRmT2_T3_mT4_P12ihipStream_tbEUlT_E_NS1_11comp_targetILNS1_3genE8ELNS1_11target_archE1030ELNS1_3gpuE2ELNS1_3repE0EEENS1_30default_config_static_selectorELNS0_4arch9wavefront6targetE1EEEvT1_,comdat
	.globl	_ZN7rocprim17ROCPRIM_400000_NS6detail17trampoline_kernelINS0_14default_configENS1_35adjacent_difference_config_selectorILb1ElEEZNS1_24adjacent_difference_implIS3_Lb1ELb0EPlS7_ZN2at6native12_GLOBAL__N_124unique_dim_cuda_templateIjEESt5tupleIJNS8_6TensorESD_SD_EERKSD_lbbbEUlllE1_EE10hipError_tPvRmT2_T3_mT4_P12ihipStream_tbEUlT_E_NS1_11comp_targetILNS1_3genE8ELNS1_11target_archE1030ELNS1_3gpuE2ELNS1_3repE0EEENS1_30default_config_static_selectorELNS0_4arch9wavefront6targetE1EEEvT1_ ; -- Begin function _ZN7rocprim17ROCPRIM_400000_NS6detail17trampoline_kernelINS0_14default_configENS1_35adjacent_difference_config_selectorILb1ElEEZNS1_24adjacent_difference_implIS3_Lb1ELb0EPlS7_ZN2at6native12_GLOBAL__N_124unique_dim_cuda_templateIjEESt5tupleIJNS8_6TensorESD_SD_EERKSD_lbbbEUlllE1_EE10hipError_tPvRmT2_T3_mT4_P12ihipStream_tbEUlT_E_NS1_11comp_targetILNS1_3genE8ELNS1_11target_archE1030ELNS1_3gpuE2ELNS1_3repE0EEENS1_30default_config_static_selectorELNS0_4arch9wavefront6targetE1EEEvT1_
	.p2align	8
	.type	_ZN7rocprim17ROCPRIM_400000_NS6detail17trampoline_kernelINS0_14default_configENS1_35adjacent_difference_config_selectorILb1ElEEZNS1_24adjacent_difference_implIS3_Lb1ELb0EPlS7_ZN2at6native12_GLOBAL__N_124unique_dim_cuda_templateIjEESt5tupleIJNS8_6TensorESD_SD_EERKSD_lbbbEUlllE1_EE10hipError_tPvRmT2_T3_mT4_P12ihipStream_tbEUlT_E_NS1_11comp_targetILNS1_3genE8ELNS1_11target_archE1030ELNS1_3gpuE2ELNS1_3repE0EEENS1_30default_config_static_selectorELNS0_4arch9wavefront6targetE1EEEvT1_,@function
_ZN7rocprim17ROCPRIM_400000_NS6detail17trampoline_kernelINS0_14default_configENS1_35adjacent_difference_config_selectorILb1ElEEZNS1_24adjacent_difference_implIS3_Lb1ELb0EPlS7_ZN2at6native12_GLOBAL__N_124unique_dim_cuda_templateIjEESt5tupleIJNS8_6TensorESD_SD_EERKSD_lbbbEUlllE1_EE10hipError_tPvRmT2_T3_mT4_P12ihipStream_tbEUlT_E_NS1_11comp_targetILNS1_3genE8ELNS1_11target_archE1030ELNS1_3gpuE2ELNS1_3repE0EEENS1_30default_config_static_selectorELNS0_4arch9wavefront6targetE1EEEvT1_: ; @_ZN7rocprim17ROCPRIM_400000_NS6detail17trampoline_kernelINS0_14default_configENS1_35adjacent_difference_config_selectorILb1ElEEZNS1_24adjacent_difference_implIS3_Lb1ELb0EPlS7_ZN2at6native12_GLOBAL__N_124unique_dim_cuda_templateIjEESt5tupleIJNS8_6TensorESD_SD_EERKSD_lbbbEUlllE1_EE10hipError_tPvRmT2_T3_mT4_P12ihipStream_tbEUlT_E_NS1_11comp_targetILNS1_3genE8ELNS1_11target_archE1030ELNS1_3gpuE2ELNS1_3repE0EEENS1_30default_config_static_selectorELNS0_4arch9wavefront6targetE1EEEvT1_
; %bb.0:
	.section	.rodata,"a",@progbits
	.p2align	6, 0x0
	.amdhsa_kernel _ZN7rocprim17ROCPRIM_400000_NS6detail17trampoline_kernelINS0_14default_configENS1_35adjacent_difference_config_selectorILb1ElEEZNS1_24adjacent_difference_implIS3_Lb1ELb0EPlS7_ZN2at6native12_GLOBAL__N_124unique_dim_cuda_templateIjEESt5tupleIJNS8_6TensorESD_SD_EERKSD_lbbbEUlllE1_EE10hipError_tPvRmT2_T3_mT4_P12ihipStream_tbEUlT_E_NS1_11comp_targetILNS1_3genE8ELNS1_11target_archE1030ELNS1_3gpuE2ELNS1_3repE0EEENS1_30default_config_static_selectorELNS0_4arch9wavefront6targetE1EEEvT1_
		.amdhsa_group_segment_fixed_size 0
		.amdhsa_private_segment_fixed_size 0
		.amdhsa_kernarg_size 64
		.amdhsa_user_sgpr_count 6
		.amdhsa_user_sgpr_private_segment_buffer 1
		.amdhsa_user_sgpr_dispatch_ptr 0
		.amdhsa_user_sgpr_queue_ptr 0
		.amdhsa_user_sgpr_kernarg_segment_ptr 1
		.amdhsa_user_sgpr_dispatch_id 0
		.amdhsa_user_sgpr_flat_scratch_init 0
		.amdhsa_user_sgpr_kernarg_preload_length 0
		.amdhsa_user_sgpr_kernarg_preload_offset 0
		.amdhsa_user_sgpr_private_segment_size 0
		.amdhsa_uses_dynamic_stack 0
		.amdhsa_system_sgpr_private_segment_wavefront_offset 0
		.amdhsa_system_sgpr_workgroup_id_x 1
		.amdhsa_system_sgpr_workgroup_id_y 0
		.amdhsa_system_sgpr_workgroup_id_z 0
		.amdhsa_system_sgpr_workgroup_info 0
		.amdhsa_system_vgpr_workitem_id 0
		.amdhsa_next_free_vgpr 1
		.amdhsa_next_free_sgpr 0
		.amdhsa_accum_offset 4
		.amdhsa_reserve_vcc 0
		.amdhsa_reserve_flat_scratch 0
		.amdhsa_float_round_mode_32 0
		.amdhsa_float_round_mode_16_64 0
		.amdhsa_float_denorm_mode_32 3
		.amdhsa_float_denorm_mode_16_64 3
		.amdhsa_dx10_clamp 1
		.amdhsa_ieee_mode 1
		.amdhsa_fp16_overflow 0
		.amdhsa_tg_split 0
		.amdhsa_exception_fp_ieee_invalid_op 0
		.amdhsa_exception_fp_denorm_src 0
		.amdhsa_exception_fp_ieee_div_zero 0
		.amdhsa_exception_fp_ieee_overflow 0
		.amdhsa_exception_fp_ieee_underflow 0
		.amdhsa_exception_fp_ieee_inexact 0
		.amdhsa_exception_int_div_zero 0
	.end_amdhsa_kernel
	.section	.text._ZN7rocprim17ROCPRIM_400000_NS6detail17trampoline_kernelINS0_14default_configENS1_35adjacent_difference_config_selectorILb1ElEEZNS1_24adjacent_difference_implIS3_Lb1ELb0EPlS7_ZN2at6native12_GLOBAL__N_124unique_dim_cuda_templateIjEESt5tupleIJNS8_6TensorESD_SD_EERKSD_lbbbEUlllE1_EE10hipError_tPvRmT2_T3_mT4_P12ihipStream_tbEUlT_E_NS1_11comp_targetILNS1_3genE8ELNS1_11target_archE1030ELNS1_3gpuE2ELNS1_3repE0EEENS1_30default_config_static_selectorELNS0_4arch9wavefront6targetE1EEEvT1_,"axG",@progbits,_ZN7rocprim17ROCPRIM_400000_NS6detail17trampoline_kernelINS0_14default_configENS1_35adjacent_difference_config_selectorILb1ElEEZNS1_24adjacent_difference_implIS3_Lb1ELb0EPlS7_ZN2at6native12_GLOBAL__N_124unique_dim_cuda_templateIjEESt5tupleIJNS8_6TensorESD_SD_EERKSD_lbbbEUlllE1_EE10hipError_tPvRmT2_T3_mT4_P12ihipStream_tbEUlT_E_NS1_11comp_targetILNS1_3genE8ELNS1_11target_archE1030ELNS1_3gpuE2ELNS1_3repE0EEENS1_30default_config_static_selectorELNS0_4arch9wavefront6targetE1EEEvT1_,comdat
.Lfunc_end1538:
	.size	_ZN7rocprim17ROCPRIM_400000_NS6detail17trampoline_kernelINS0_14default_configENS1_35adjacent_difference_config_selectorILb1ElEEZNS1_24adjacent_difference_implIS3_Lb1ELb0EPlS7_ZN2at6native12_GLOBAL__N_124unique_dim_cuda_templateIjEESt5tupleIJNS8_6TensorESD_SD_EERKSD_lbbbEUlllE1_EE10hipError_tPvRmT2_T3_mT4_P12ihipStream_tbEUlT_E_NS1_11comp_targetILNS1_3genE8ELNS1_11target_archE1030ELNS1_3gpuE2ELNS1_3repE0EEENS1_30default_config_static_selectorELNS0_4arch9wavefront6targetE1EEEvT1_, .Lfunc_end1538-_ZN7rocprim17ROCPRIM_400000_NS6detail17trampoline_kernelINS0_14default_configENS1_35adjacent_difference_config_selectorILb1ElEEZNS1_24adjacent_difference_implIS3_Lb1ELb0EPlS7_ZN2at6native12_GLOBAL__N_124unique_dim_cuda_templateIjEESt5tupleIJNS8_6TensorESD_SD_EERKSD_lbbbEUlllE1_EE10hipError_tPvRmT2_T3_mT4_P12ihipStream_tbEUlT_E_NS1_11comp_targetILNS1_3genE8ELNS1_11target_archE1030ELNS1_3gpuE2ELNS1_3repE0EEENS1_30default_config_static_selectorELNS0_4arch9wavefront6targetE1EEEvT1_
                                        ; -- End function
	.section	.AMDGPU.csdata,"",@progbits
; Kernel info:
; codeLenInByte = 0
; NumSgprs: 4
; NumVgprs: 0
; NumAgprs: 0
; TotalNumVgprs: 0
; ScratchSize: 0
; MemoryBound: 0
; FloatMode: 240
; IeeeMode: 1
; LDSByteSize: 0 bytes/workgroup (compile time only)
; SGPRBlocks: 0
; VGPRBlocks: 0
; NumSGPRsForWavesPerEU: 4
; NumVGPRsForWavesPerEU: 1
; AccumOffset: 4
; Occupancy: 8
; WaveLimiterHint : 0
; COMPUTE_PGM_RSRC2:SCRATCH_EN: 0
; COMPUTE_PGM_RSRC2:USER_SGPR: 6
; COMPUTE_PGM_RSRC2:TRAP_HANDLER: 0
; COMPUTE_PGM_RSRC2:TGID_X_EN: 1
; COMPUTE_PGM_RSRC2:TGID_Y_EN: 0
; COMPUTE_PGM_RSRC2:TGID_Z_EN: 0
; COMPUTE_PGM_RSRC2:TIDIG_COMP_CNT: 0
; COMPUTE_PGM_RSRC3_GFX90A:ACCUM_OFFSET: 0
; COMPUTE_PGM_RSRC3_GFX90A:TG_SPLIT: 0
	.section	.text._ZN7rocprim17ROCPRIM_400000_NS6detail17trampoline_kernelINS0_14default_configENS1_25partition_config_selectorILNS1_17partition_subalgoE8ElNS0_10empty_typeEbEEZZNS1_14partition_implILS5_8ELb0ES3_jPlPS6_PKS6_NS0_5tupleIJS9_S6_EEENSD_IJSA_SA_EEENS0_18inequality_wrapperIZN2at6native12_GLOBAL__N_124unique_dim_cuda_templateIjEESt5tupleIJNSH_6TensorESM_SM_EERKSM_lbbbEUlllE0_EEPmJS6_EEE10hipError_tPvRmT3_T4_T5_T6_T7_T9_mT8_P12ihipStream_tbDpT10_ENKUlT_T0_E_clISt17integral_constantIbLb0EES1C_EEDaS17_S18_EUlS17_E_NS1_11comp_targetILNS1_3genE0ELNS1_11target_archE4294967295ELNS1_3gpuE0ELNS1_3repE0EEENS1_30default_config_static_selectorELNS0_4arch9wavefront6targetE1EEEvT1_,"axG",@progbits,_ZN7rocprim17ROCPRIM_400000_NS6detail17trampoline_kernelINS0_14default_configENS1_25partition_config_selectorILNS1_17partition_subalgoE8ElNS0_10empty_typeEbEEZZNS1_14partition_implILS5_8ELb0ES3_jPlPS6_PKS6_NS0_5tupleIJS9_S6_EEENSD_IJSA_SA_EEENS0_18inequality_wrapperIZN2at6native12_GLOBAL__N_124unique_dim_cuda_templateIjEESt5tupleIJNSH_6TensorESM_SM_EERKSM_lbbbEUlllE0_EEPmJS6_EEE10hipError_tPvRmT3_T4_T5_T6_T7_T9_mT8_P12ihipStream_tbDpT10_ENKUlT_T0_E_clISt17integral_constantIbLb0EES1C_EEDaS17_S18_EUlS17_E_NS1_11comp_targetILNS1_3genE0ELNS1_11target_archE4294967295ELNS1_3gpuE0ELNS1_3repE0EEENS1_30default_config_static_selectorELNS0_4arch9wavefront6targetE1EEEvT1_,comdat
	.globl	_ZN7rocprim17ROCPRIM_400000_NS6detail17trampoline_kernelINS0_14default_configENS1_25partition_config_selectorILNS1_17partition_subalgoE8ElNS0_10empty_typeEbEEZZNS1_14partition_implILS5_8ELb0ES3_jPlPS6_PKS6_NS0_5tupleIJS9_S6_EEENSD_IJSA_SA_EEENS0_18inequality_wrapperIZN2at6native12_GLOBAL__N_124unique_dim_cuda_templateIjEESt5tupleIJNSH_6TensorESM_SM_EERKSM_lbbbEUlllE0_EEPmJS6_EEE10hipError_tPvRmT3_T4_T5_T6_T7_T9_mT8_P12ihipStream_tbDpT10_ENKUlT_T0_E_clISt17integral_constantIbLb0EES1C_EEDaS17_S18_EUlS17_E_NS1_11comp_targetILNS1_3genE0ELNS1_11target_archE4294967295ELNS1_3gpuE0ELNS1_3repE0EEENS1_30default_config_static_selectorELNS0_4arch9wavefront6targetE1EEEvT1_ ; -- Begin function _ZN7rocprim17ROCPRIM_400000_NS6detail17trampoline_kernelINS0_14default_configENS1_25partition_config_selectorILNS1_17partition_subalgoE8ElNS0_10empty_typeEbEEZZNS1_14partition_implILS5_8ELb0ES3_jPlPS6_PKS6_NS0_5tupleIJS9_S6_EEENSD_IJSA_SA_EEENS0_18inequality_wrapperIZN2at6native12_GLOBAL__N_124unique_dim_cuda_templateIjEESt5tupleIJNSH_6TensorESM_SM_EERKSM_lbbbEUlllE0_EEPmJS6_EEE10hipError_tPvRmT3_T4_T5_T6_T7_T9_mT8_P12ihipStream_tbDpT10_ENKUlT_T0_E_clISt17integral_constantIbLb0EES1C_EEDaS17_S18_EUlS17_E_NS1_11comp_targetILNS1_3genE0ELNS1_11target_archE4294967295ELNS1_3gpuE0ELNS1_3repE0EEENS1_30default_config_static_selectorELNS0_4arch9wavefront6targetE1EEEvT1_
	.p2align	8
	.type	_ZN7rocprim17ROCPRIM_400000_NS6detail17trampoline_kernelINS0_14default_configENS1_25partition_config_selectorILNS1_17partition_subalgoE8ElNS0_10empty_typeEbEEZZNS1_14partition_implILS5_8ELb0ES3_jPlPS6_PKS6_NS0_5tupleIJS9_S6_EEENSD_IJSA_SA_EEENS0_18inequality_wrapperIZN2at6native12_GLOBAL__N_124unique_dim_cuda_templateIjEESt5tupleIJNSH_6TensorESM_SM_EERKSM_lbbbEUlllE0_EEPmJS6_EEE10hipError_tPvRmT3_T4_T5_T6_T7_T9_mT8_P12ihipStream_tbDpT10_ENKUlT_T0_E_clISt17integral_constantIbLb0EES1C_EEDaS17_S18_EUlS17_E_NS1_11comp_targetILNS1_3genE0ELNS1_11target_archE4294967295ELNS1_3gpuE0ELNS1_3repE0EEENS1_30default_config_static_selectorELNS0_4arch9wavefront6targetE1EEEvT1_,@function
_ZN7rocprim17ROCPRIM_400000_NS6detail17trampoline_kernelINS0_14default_configENS1_25partition_config_selectorILNS1_17partition_subalgoE8ElNS0_10empty_typeEbEEZZNS1_14partition_implILS5_8ELb0ES3_jPlPS6_PKS6_NS0_5tupleIJS9_S6_EEENSD_IJSA_SA_EEENS0_18inequality_wrapperIZN2at6native12_GLOBAL__N_124unique_dim_cuda_templateIjEESt5tupleIJNSH_6TensorESM_SM_EERKSM_lbbbEUlllE0_EEPmJS6_EEE10hipError_tPvRmT3_T4_T5_T6_T7_T9_mT8_P12ihipStream_tbDpT10_ENKUlT_T0_E_clISt17integral_constantIbLb0EES1C_EEDaS17_S18_EUlS17_E_NS1_11comp_targetILNS1_3genE0ELNS1_11target_archE4294967295ELNS1_3gpuE0ELNS1_3repE0EEENS1_30default_config_static_selectorELNS0_4arch9wavefront6targetE1EEEvT1_: ; @_ZN7rocprim17ROCPRIM_400000_NS6detail17trampoline_kernelINS0_14default_configENS1_25partition_config_selectorILNS1_17partition_subalgoE8ElNS0_10empty_typeEbEEZZNS1_14partition_implILS5_8ELb0ES3_jPlPS6_PKS6_NS0_5tupleIJS9_S6_EEENSD_IJSA_SA_EEENS0_18inequality_wrapperIZN2at6native12_GLOBAL__N_124unique_dim_cuda_templateIjEESt5tupleIJNSH_6TensorESM_SM_EERKSM_lbbbEUlllE0_EEPmJS6_EEE10hipError_tPvRmT3_T4_T5_T6_T7_T9_mT8_P12ihipStream_tbDpT10_ENKUlT_T0_E_clISt17integral_constantIbLb0EES1C_EEDaS17_S18_EUlS17_E_NS1_11comp_targetILNS1_3genE0ELNS1_11target_archE4294967295ELNS1_3gpuE0ELNS1_3repE0EEENS1_30default_config_static_selectorELNS0_4arch9wavefront6targetE1EEEvT1_
; %bb.0:
	.section	.rodata,"a",@progbits
	.p2align	6, 0x0
	.amdhsa_kernel _ZN7rocprim17ROCPRIM_400000_NS6detail17trampoline_kernelINS0_14default_configENS1_25partition_config_selectorILNS1_17partition_subalgoE8ElNS0_10empty_typeEbEEZZNS1_14partition_implILS5_8ELb0ES3_jPlPS6_PKS6_NS0_5tupleIJS9_S6_EEENSD_IJSA_SA_EEENS0_18inequality_wrapperIZN2at6native12_GLOBAL__N_124unique_dim_cuda_templateIjEESt5tupleIJNSH_6TensorESM_SM_EERKSM_lbbbEUlllE0_EEPmJS6_EEE10hipError_tPvRmT3_T4_T5_T6_T7_T9_mT8_P12ihipStream_tbDpT10_ENKUlT_T0_E_clISt17integral_constantIbLb0EES1C_EEDaS17_S18_EUlS17_E_NS1_11comp_targetILNS1_3genE0ELNS1_11target_archE4294967295ELNS1_3gpuE0ELNS1_3repE0EEENS1_30default_config_static_selectorELNS0_4arch9wavefront6targetE1EEEvT1_
		.amdhsa_group_segment_fixed_size 0
		.amdhsa_private_segment_fixed_size 0
		.amdhsa_kernarg_size 120
		.amdhsa_user_sgpr_count 6
		.amdhsa_user_sgpr_private_segment_buffer 1
		.amdhsa_user_sgpr_dispatch_ptr 0
		.amdhsa_user_sgpr_queue_ptr 0
		.amdhsa_user_sgpr_kernarg_segment_ptr 1
		.amdhsa_user_sgpr_dispatch_id 0
		.amdhsa_user_sgpr_flat_scratch_init 0
		.amdhsa_user_sgpr_kernarg_preload_length 0
		.amdhsa_user_sgpr_kernarg_preload_offset 0
		.amdhsa_user_sgpr_private_segment_size 0
		.amdhsa_uses_dynamic_stack 0
		.amdhsa_system_sgpr_private_segment_wavefront_offset 0
		.amdhsa_system_sgpr_workgroup_id_x 1
		.amdhsa_system_sgpr_workgroup_id_y 0
		.amdhsa_system_sgpr_workgroup_id_z 0
		.amdhsa_system_sgpr_workgroup_info 0
		.amdhsa_system_vgpr_workitem_id 0
		.amdhsa_next_free_vgpr 1
		.amdhsa_next_free_sgpr 0
		.amdhsa_accum_offset 4
		.amdhsa_reserve_vcc 0
		.amdhsa_reserve_flat_scratch 0
		.amdhsa_float_round_mode_32 0
		.amdhsa_float_round_mode_16_64 0
		.amdhsa_float_denorm_mode_32 3
		.amdhsa_float_denorm_mode_16_64 3
		.amdhsa_dx10_clamp 1
		.amdhsa_ieee_mode 1
		.amdhsa_fp16_overflow 0
		.amdhsa_tg_split 0
		.amdhsa_exception_fp_ieee_invalid_op 0
		.amdhsa_exception_fp_denorm_src 0
		.amdhsa_exception_fp_ieee_div_zero 0
		.amdhsa_exception_fp_ieee_overflow 0
		.amdhsa_exception_fp_ieee_underflow 0
		.amdhsa_exception_fp_ieee_inexact 0
		.amdhsa_exception_int_div_zero 0
	.end_amdhsa_kernel
	.section	.text._ZN7rocprim17ROCPRIM_400000_NS6detail17trampoline_kernelINS0_14default_configENS1_25partition_config_selectorILNS1_17partition_subalgoE8ElNS0_10empty_typeEbEEZZNS1_14partition_implILS5_8ELb0ES3_jPlPS6_PKS6_NS0_5tupleIJS9_S6_EEENSD_IJSA_SA_EEENS0_18inequality_wrapperIZN2at6native12_GLOBAL__N_124unique_dim_cuda_templateIjEESt5tupleIJNSH_6TensorESM_SM_EERKSM_lbbbEUlllE0_EEPmJS6_EEE10hipError_tPvRmT3_T4_T5_T6_T7_T9_mT8_P12ihipStream_tbDpT10_ENKUlT_T0_E_clISt17integral_constantIbLb0EES1C_EEDaS17_S18_EUlS17_E_NS1_11comp_targetILNS1_3genE0ELNS1_11target_archE4294967295ELNS1_3gpuE0ELNS1_3repE0EEENS1_30default_config_static_selectorELNS0_4arch9wavefront6targetE1EEEvT1_,"axG",@progbits,_ZN7rocprim17ROCPRIM_400000_NS6detail17trampoline_kernelINS0_14default_configENS1_25partition_config_selectorILNS1_17partition_subalgoE8ElNS0_10empty_typeEbEEZZNS1_14partition_implILS5_8ELb0ES3_jPlPS6_PKS6_NS0_5tupleIJS9_S6_EEENSD_IJSA_SA_EEENS0_18inequality_wrapperIZN2at6native12_GLOBAL__N_124unique_dim_cuda_templateIjEESt5tupleIJNSH_6TensorESM_SM_EERKSM_lbbbEUlllE0_EEPmJS6_EEE10hipError_tPvRmT3_T4_T5_T6_T7_T9_mT8_P12ihipStream_tbDpT10_ENKUlT_T0_E_clISt17integral_constantIbLb0EES1C_EEDaS17_S18_EUlS17_E_NS1_11comp_targetILNS1_3genE0ELNS1_11target_archE4294967295ELNS1_3gpuE0ELNS1_3repE0EEENS1_30default_config_static_selectorELNS0_4arch9wavefront6targetE1EEEvT1_,comdat
.Lfunc_end1539:
	.size	_ZN7rocprim17ROCPRIM_400000_NS6detail17trampoline_kernelINS0_14default_configENS1_25partition_config_selectorILNS1_17partition_subalgoE8ElNS0_10empty_typeEbEEZZNS1_14partition_implILS5_8ELb0ES3_jPlPS6_PKS6_NS0_5tupleIJS9_S6_EEENSD_IJSA_SA_EEENS0_18inequality_wrapperIZN2at6native12_GLOBAL__N_124unique_dim_cuda_templateIjEESt5tupleIJNSH_6TensorESM_SM_EERKSM_lbbbEUlllE0_EEPmJS6_EEE10hipError_tPvRmT3_T4_T5_T6_T7_T9_mT8_P12ihipStream_tbDpT10_ENKUlT_T0_E_clISt17integral_constantIbLb0EES1C_EEDaS17_S18_EUlS17_E_NS1_11comp_targetILNS1_3genE0ELNS1_11target_archE4294967295ELNS1_3gpuE0ELNS1_3repE0EEENS1_30default_config_static_selectorELNS0_4arch9wavefront6targetE1EEEvT1_, .Lfunc_end1539-_ZN7rocprim17ROCPRIM_400000_NS6detail17trampoline_kernelINS0_14default_configENS1_25partition_config_selectorILNS1_17partition_subalgoE8ElNS0_10empty_typeEbEEZZNS1_14partition_implILS5_8ELb0ES3_jPlPS6_PKS6_NS0_5tupleIJS9_S6_EEENSD_IJSA_SA_EEENS0_18inequality_wrapperIZN2at6native12_GLOBAL__N_124unique_dim_cuda_templateIjEESt5tupleIJNSH_6TensorESM_SM_EERKSM_lbbbEUlllE0_EEPmJS6_EEE10hipError_tPvRmT3_T4_T5_T6_T7_T9_mT8_P12ihipStream_tbDpT10_ENKUlT_T0_E_clISt17integral_constantIbLb0EES1C_EEDaS17_S18_EUlS17_E_NS1_11comp_targetILNS1_3genE0ELNS1_11target_archE4294967295ELNS1_3gpuE0ELNS1_3repE0EEENS1_30default_config_static_selectorELNS0_4arch9wavefront6targetE1EEEvT1_
                                        ; -- End function
	.section	.AMDGPU.csdata,"",@progbits
; Kernel info:
; codeLenInByte = 0
; NumSgprs: 4
; NumVgprs: 0
; NumAgprs: 0
; TotalNumVgprs: 0
; ScratchSize: 0
; MemoryBound: 0
; FloatMode: 240
; IeeeMode: 1
; LDSByteSize: 0 bytes/workgroup (compile time only)
; SGPRBlocks: 0
; VGPRBlocks: 0
; NumSGPRsForWavesPerEU: 4
; NumVGPRsForWavesPerEU: 1
; AccumOffset: 4
; Occupancy: 8
; WaveLimiterHint : 0
; COMPUTE_PGM_RSRC2:SCRATCH_EN: 0
; COMPUTE_PGM_RSRC2:USER_SGPR: 6
; COMPUTE_PGM_RSRC2:TRAP_HANDLER: 0
; COMPUTE_PGM_RSRC2:TGID_X_EN: 1
; COMPUTE_PGM_RSRC2:TGID_Y_EN: 0
; COMPUTE_PGM_RSRC2:TGID_Z_EN: 0
; COMPUTE_PGM_RSRC2:TIDIG_COMP_CNT: 0
; COMPUTE_PGM_RSRC3_GFX90A:ACCUM_OFFSET: 0
; COMPUTE_PGM_RSRC3_GFX90A:TG_SPLIT: 0
	.section	.text._ZN7rocprim17ROCPRIM_400000_NS6detail17trampoline_kernelINS0_14default_configENS1_25partition_config_selectorILNS1_17partition_subalgoE8ElNS0_10empty_typeEbEEZZNS1_14partition_implILS5_8ELb0ES3_jPlPS6_PKS6_NS0_5tupleIJS9_S6_EEENSD_IJSA_SA_EEENS0_18inequality_wrapperIZN2at6native12_GLOBAL__N_124unique_dim_cuda_templateIjEESt5tupleIJNSH_6TensorESM_SM_EERKSM_lbbbEUlllE0_EEPmJS6_EEE10hipError_tPvRmT3_T4_T5_T6_T7_T9_mT8_P12ihipStream_tbDpT10_ENKUlT_T0_E_clISt17integral_constantIbLb0EES1C_EEDaS17_S18_EUlS17_E_NS1_11comp_targetILNS1_3genE5ELNS1_11target_archE942ELNS1_3gpuE9ELNS1_3repE0EEENS1_30default_config_static_selectorELNS0_4arch9wavefront6targetE1EEEvT1_,"axG",@progbits,_ZN7rocprim17ROCPRIM_400000_NS6detail17trampoline_kernelINS0_14default_configENS1_25partition_config_selectorILNS1_17partition_subalgoE8ElNS0_10empty_typeEbEEZZNS1_14partition_implILS5_8ELb0ES3_jPlPS6_PKS6_NS0_5tupleIJS9_S6_EEENSD_IJSA_SA_EEENS0_18inequality_wrapperIZN2at6native12_GLOBAL__N_124unique_dim_cuda_templateIjEESt5tupleIJNSH_6TensorESM_SM_EERKSM_lbbbEUlllE0_EEPmJS6_EEE10hipError_tPvRmT3_T4_T5_T6_T7_T9_mT8_P12ihipStream_tbDpT10_ENKUlT_T0_E_clISt17integral_constantIbLb0EES1C_EEDaS17_S18_EUlS17_E_NS1_11comp_targetILNS1_3genE5ELNS1_11target_archE942ELNS1_3gpuE9ELNS1_3repE0EEENS1_30default_config_static_selectorELNS0_4arch9wavefront6targetE1EEEvT1_,comdat
	.globl	_ZN7rocprim17ROCPRIM_400000_NS6detail17trampoline_kernelINS0_14default_configENS1_25partition_config_selectorILNS1_17partition_subalgoE8ElNS0_10empty_typeEbEEZZNS1_14partition_implILS5_8ELb0ES3_jPlPS6_PKS6_NS0_5tupleIJS9_S6_EEENSD_IJSA_SA_EEENS0_18inequality_wrapperIZN2at6native12_GLOBAL__N_124unique_dim_cuda_templateIjEESt5tupleIJNSH_6TensorESM_SM_EERKSM_lbbbEUlllE0_EEPmJS6_EEE10hipError_tPvRmT3_T4_T5_T6_T7_T9_mT8_P12ihipStream_tbDpT10_ENKUlT_T0_E_clISt17integral_constantIbLb0EES1C_EEDaS17_S18_EUlS17_E_NS1_11comp_targetILNS1_3genE5ELNS1_11target_archE942ELNS1_3gpuE9ELNS1_3repE0EEENS1_30default_config_static_selectorELNS0_4arch9wavefront6targetE1EEEvT1_ ; -- Begin function _ZN7rocprim17ROCPRIM_400000_NS6detail17trampoline_kernelINS0_14default_configENS1_25partition_config_selectorILNS1_17partition_subalgoE8ElNS0_10empty_typeEbEEZZNS1_14partition_implILS5_8ELb0ES3_jPlPS6_PKS6_NS0_5tupleIJS9_S6_EEENSD_IJSA_SA_EEENS0_18inequality_wrapperIZN2at6native12_GLOBAL__N_124unique_dim_cuda_templateIjEESt5tupleIJNSH_6TensorESM_SM_EERKSM_lbbbEUlllE0_EEPmJS6_EEE10hipError_tPvRmT3_T4_T5_T6_T7_T9_mT8_P12ihipStream_tbDpT10_ENKUlT_T0_E_clISt17integral_constantIbLb0EES1C_EEDaS17_S18_EUlS17_E_NS1_11comp_targetILNS1_3genE5ELNS1_11target_archE942ELNS1_3gpuE9ELNS1_3repE0EEENS1_30default_config_static_selectorELNS0_4arch9wavefront6targetE1EEEvT1_
	.p2align	8
	.type	_ZN7rocprim17ROCPRIM_400000_NS6detail17trampoline_kernelINS0_14default_configENS1_25partition_config_selectorILNS1_17partition_subalgoE8ElNS0_10empty_typeEbEEZZNS1_14partition_implILS5_8ELb0ES3_jPlPS6_PKS6_NS0_5tupleIJS9_S6_EEENSD_IJSA_SA_EEENS0_18inequality_wrapperIZN2at6native12_GLOBAL__N_124unique_dim_cuda_templateIjEESt5tupleIJNSH_6TensorESM_SM_EERKSM_lbbbEUlllE0_EEPmJS6_EEE10hipError_tPvRmT3_T4_T5_T6_T7_T9_mT8_P12ihipStream_tbDpT10_ENKUlT_T0_E_clISt17integral_constantIbLb0EES1C_EEDaS17_S18_EUlS17_E_NS1_11comp_targetILNS1_3genE5ELNS1_11target_archE942ELNS1_3gpuE9ELNS1_3repE0EEENS1_30default_config_static_selectorELNS0_4arch9wavefront6targetE1EEEvT1_,@function
_ZN7rocprim17ROCPRIM_400000_NS6detail17trampoline_kernelINS0_14default_configENS1_25partition_config_selectorILNS1_17partition_subalgoE8ElNS0_10empty_typeEbEEZZNS1_14partition_implILS5_8ELb0ES3_jPlPS6_PKS6_NS0_5tupleIJS9_S6_EEENSD_IJSA_SA_EEENS0_18inequality_wrapperIZN2at6native12_GLOBAL__N_124unique_dim_cuda_templateIjEESt5tupleIJNSH_6TensorESM_SM_EERKSM_lbbbEUlllE0_EEPmJS6_EEE10hipError_tPvRmT3_T4_T5_T6_T7_T9_mT8_P12ihipStream_tbDpT10_ENKUlT_T0_E_clISt17integral_constantIbLb0EES1C_EEDaS17_S18_EUlS17_E_NS1_11comp_targetILNS1_3genE5ELNS1_11target_archE942ELNS1_3gpuE9ELNS1_3repE0EEENS1_30default_config_static_selectorELNS0_4arch9wavefront6targetE1EEEvT1_: ; @_ZN7rocprim17ROCPRIM_400000_NS6detail17trampoline_kernelINS0_14default_configENS1_25partition_config_selectorILNS1_17partition_subalgoE8ElNS0_10empty_typeEbEEZZNS1_14partition_implILS5_8ELb0ES3_jPlPS6_PKS6_NS0_5tupleIJS9_S6_EEENSD_IJSA_SA_EEENS0_18inequality_wrapperIZN2at6native12_GLOBAL__N_124unique_dim_cuda_templateIjEESt5tupleIJNSH_6TensorESM_SM_EERKSM_lbbbEUlllE0_EEPmJS6_EEE10hipError_tPvRmT3_T4_T5_T6_T7_T9_mT8_P12ihipStream_tbDpT10_ENKUlT_T0_E_clISt17integral_constantIbLb0EES1C_EEDaS17_S18_EUlS17_E_NS1_11comp_targetILNS1_3genE5ELNS1_11target_archE942ELNS1_3gpuE9ELNS1_3repE0EEENS1_30default_config_static_selectorELNS0_4arch9wavefront6targetE1EEEvT1_
; %bb.0:
	.section	.rodata,"a",@progbits
	.p2align	6, 0x0
	.amdhsa_kernel _ZN7rocprim17ROCPRIM_400000_NS6detail17trampoline_kernelINS0_14default_configENS1_25partition_config_selectorILNS1_17partition_subalgoE8ElNS0_10empty_typeEbEEZZNS1_14partition_implILS5_8ELb0ES3_jPlPS6_PKS6_NS0_5tupleIJS9_S6_EEENSD_IJSA_SA_EEENS0_18inequality_wrapperIZN2at6native12_GLOBAL__N_124unique_dim_cuda_templateIjEESt5tupleIJNSH_6TensorESM_SM_EERKSM_lbbbEUlllE0_EEPmJS6_EEE10hipError_tPvRmT3_T4_T5_T6_T7_T9_mT8_P12ihipStream_tbDpT10_ENKUlT_T0_E_clISt17integral_constantIbLb0EES1C_EEDaS17_S18_EUlS17_E_NS1_11comp_targetILNS1_3genE5ELNS1_11target_archE942ELNS1_3gpuE9ELNS1_3repE0EEENS1_30default_config_static_selectorELNS0_4arch9wavefront6targetE1EEEvT1_
		.amdhsa_group_segment_fixed_size 0
		.amdhsa_private_segment_fixed_size 0
		.amdhsa_kernarg_size 120
		.amdhsa_user_sgpr_count 6
		.amdhsa_user_sgpr_private_segment_buffer 1
		.amdhsa_user_sgpr_dispatch_ptr 0
		.amdhsa_user_sgpr_queue_ptr 0
		.amdhsa_user_sgpr_kernarg_segment_ptr 1
		.amdhsa_user_sgpr_dispatch_id 0
		.amdhsa_user_sgpr_flat_scratch_init 0
		.amdhsa_user_sgpr_kernarg_preload_length 0
		.amdhsa_user_sgpr_kernarg_preload_offset 0
		.amdhsa_user_sgpr_private_segment_size 0
		.amdhsa_uses_dynamic_stack 0
		.amdhsa_system_sgpr_private_segment_wavefront_offset 0
		.amdhsa_system_sgpr_workgroup_id_x 1
		.amdhsa_system_sgpr_workgroup_id_y 0
		.amdhsa_system_sgpr_workgroup_id_z 0
		.amdhsa_system_sgpr_workgroup_info 0
		.amdhsa_system_vgpr_workitem_id 0
		.amdhsa_next_free_vgpr 1
		.amdhsa_next_free_sgpr 0
		.amdhsa_accum_offset 4
		.amdhsa_reserve_vcc 0
		.amdhsa_reserve_flat_scratch 0
		.amdhsa_float_round_mode_32 0
		.amdhsa_float_round_mode_16_64 0
		.amdhsa_float_denorm_mode_32 3
		.amdhsa_float_denorm_mode_16_64 3
		.amdhsa_dx10_clamp 1
		.amdhsa_ieee_mode 1
		.amdhsa_fp16_overflow 0
		.amdhsa_tg_split 0
		.amdhsa_exception_fp_ieee_invalid_op 0
		.amdhsa_exception_fp_denorm_src 0
		.amdhsa_exception_fp_ieee_div_zero 0
		.amdhsa_exception_fp_ieee_overflow 0
		.amdhsa_exception_fp_ieee_underflow 0
		.amdhsa_exception_fp_ieee_inexact 0
		.amdhsa_exception_int_div_zero 0
	.end_amdhsa_kernel
	.section	.text._ZN7rocprim17ROCPRIM_400000_NS6detail17trampoline_kernelINS0_14default_configENS1_25partition_config_selectorILNS1_17partition_subalgoE8ElNS0_10empty_typeEbEEZZNS1_14partition_implILS5_8ELb0ES3_jPlPS6_PKS6_NS0_5tupleIJS9_S6_EEENSD_IJSA_SA_EEENS0_18inequality_wrapperIZN2at6native12_GLOBAL__N_124unique_dim_cuda_templateIjEESt5tupleIJNSH_6TensorESM_SM_EERKSM_lbbbEUlllE0_EEPmJS6_EEE10hipError_tPvRmT3_T4_T5_T6_T7_T9_mT8_P12ihipStream_tbDpT10_ENKUlT_T0_E_clISt17integral_constantIbLb0EES1C_EEDaS17_S18_EUlS17_E_NS1_11comp_targetILNS1_3genE5ELNS1_11target_archE942ELNS1_3gpuE9ELNS1_3repE0EEENS1_30default_config_static_selectorELNS0_4arch9wavefront6targetE1EEEvT1_,"axG",@progbits,_ZN7rocprim17ROCPRIM_400000_NS6detail17trampoline_kernelINS0_14default_configENS1_25partition_config_selectorILNS1_17partition_subalgoE8ElNS0_10empty_typeEbEEZZNS1_14partition_implILS5_8ELb0ES3_jPlPS6_PKS6_NS0_5tupleIJS9_S6_EEENSD_IJSA_SA_EEENS0_18inequality_wrapperIZN2at6native12_GLOBAL__N_124unique_dim_cuda_templateIjEESt5tupleIJNSH_6TensorESM_SM_EERKSM_lbbbEUlllE0_EEPmJS6_EEE10hipError_tPvRmT3_T4_T5_T6_T7_T9_mT8_P12ihipStream_tbDpT10_ENKUlT_T0_E_clISt17integral_constantIbLb0EES1C_EEDaS17_S18_EUlS17_E_NS1_11comp_targetILNS1_3genE5ELNS1_11target_archE942ELNS1_3gpuE9ELNS1_3repE0EEENS1_30default_config_static_selectorELNS0_4arch9wavefront6targetE1EEEvT1_,comdat
.Lfunc_end1540:
	.size	_ZN7rocprim17ROCPRIM_400000_NS6detail17trampoline_kernelINS0_14default_configENS1_25partition_config_selectorILNS1_17partition_subalgoE8ElNS0_10empty_typeEbEEZZNS1_14partition_implILS5_8ELb0ES3_jPlPS6_PKS6_NS0_5tupleIJS9_S6_EEENSD_IJSA_SA_EEENS0_18inequality_wrapperIZN2at6native12_GLOBAL__N_124unique_dim_cuda_templateIjEESt5tupleIJNSH_6TensorESM_SM_EERKSM_lbbbEUlllE0_EEPmJS6_EEE10hipError_tPvRmT3_T4_T5_T6_T7_T9_mT8_P12ihipStream_tbDpT10_ENKUlT_T0_E_clISt17integral_constantIbLb0EES1C_EEDaS17_S18_EUlS17_E_NS1_11comp_targetILNS1_3genE5ELNS1_11target_archE942ELNS1_3gpuE9ELNS1_3repE0EEENS1_30default_config_static_selectorELNS0_4arch9wavefront6targetE1EEEvT1_, .Lfunc_end1540-_ZN7rocprim17ROCPRIM_400000_NS6detail17trampoline_kernelINS0_14default_configENS1_25partition_config_selectorILNS1_17partition_subalgoE8ElNS0_10empty_typeEbEEZZNS1_14partition_implILS5_8ELb0ES3_jPlPS6_PKS6_NS0_5tupleIJS9_S6_EEENSD_IJSA_SA_EEENS0_18inequality_wrapperIZN2at6native12_GLOBAL__N_124unique_dim_cuda_templateIjEESt5tupleIJNSH_6TensorESM_SM_EERKSM_lbbbEUlllE0_EEPmJS6_EEE10hipError_tPvRmT3_T4_T5_T6_T7_T9_mT8_P12ihipStream_tbDpT10_ENKUlT_T0_E_clISt17integral_constantIbLb0EES1C_EEDaS17_S18_EUlS17_E_NS1_11comp_targetILNS1_3genE5ELNS1_11target_archE942ELNS1_3gpuE9ELNS1_3repE0EEENS1_30default_config_static_selectorELNS0_4arch9wavefront6targetE1EEEvT1_
                                        ; -- End function
	.section	.AMDGPU.csdata,"",@progbits
; Kernel info:
; codeLenInByte = 0
; NumSgprs: 4
; NumVgprs: 0
; NumAgprs: 0
; TotalNumVgprs: 0
; ScratchSize: 0
; MemoryBound: 0
; FloatMode: 240
; IeeeMode: 1
; LDSByteSize: 0 bytes/workgroup (compile time only)
; SGPRBlocks: 0
; VGPRBlocks: 0
; NumSGPRsForWavesPerEU: 4
; NumVGPRsForWavesPerEU: 1
; AccumOffset: 4
; Occupancy: 8
; WaveLimiterHint : 0
; COMPUTE_PGM_RSRC2:SCRATCH_EN: 0
; COMPUTE_PGM_RSRC2:USER_SGPR: 6
; COMPUTE_PGM_RSRC2:TRAP_HANDLER: 0
; COMPUTE_PGM_RSRC2:TGID_X_EN: 1
; COMPUTE_PGM_RSRC2:TGID_Y_EN: 0
; COMPUTE_PGM_RSRC2:TGID_Z_EN: 0
; COMPUTE_PGM_RSRC2:TIDIG_COMP_CNT: 0
; COMPUTE_PGM_RSRC3_GFX90A:ACCUM_OFFSET: 0
; COMPUTE_PGM_RSRC3_GFX90A:TG_SPLIT: 0
	.section	.text._ZN7rocprim17ROCPRIM_400000_NS6detail17trampoline_kernelINS0_14default_configENS1_25partition_config_selectorILNS1_17partition_subalgoE8ElNS0_10empty_typeEbEEZZNS1_14partition_implILS5_8ELb0ES3_jPlPS6_PKS6_NS0_5tupleIJS9_S6_EEENSD_IJSA_SA_EEENS0_18inequality_wrapperIZN2at6native12_GLOBAL__N_124unique_dim_cuda_templateIjEESt5tupleIJNSH_6TensorESM_SM_EERKSM_lbbbEUlllE0_EEPmJS6_EEE10hipError_tPvRmT3_T4_T5_T6_T7_T9_mT8_P12ihipStream_tbDpT10_ENKUlT_T0_E_clISt17integral_constantIbLb0EES1C_EEDaS17_S18_EUlS17_E_NS1_11comp_targetILNS1_3genE4ELNS1_11target_archE910ELNS1_3gpuE8ELNS1_3repE0EEENS1_30default_config_static_selectorELNS0_4arch9wavefront6targetE1EEEvT1_,"axG",@progbits,_ZN7rocprim17ROCPRIM_400000_NS6detail17trampoline_kernelINS0_14default_configENS1_25partition_config_selectorILNS1_17partition_subalgoE8ElNS0_10empty_typeEbEEZZNS1_14partition_implILS5_8ELb0ES3_jPlPS6_PKS6_NS0_5tupleIJS9_S6_EEENSD_IJSA_SA_EEENS0_18inequality_wrapperIZN2at6native12_GLOBAL__N_124unique_dim_cuda_templateIjEESt5tupleIJNSH_6TensorESM_SM_EERKSM_lbbbEUlllE0_EEPmJS6_EEE10hipError_tPvRmT3_T4_T5_T6_T7_T9_mT8_P12ihipStream_tbDpT10_ENKUlT_T0_E_clISt17integral_constantIbLb0EES1C_EEDaS17_S18_EUlS17_E_NS1_11comp_targetILNS1_3genE4ELNS1_11target_archE910ELNS1_3gpuE8ELNS1_3repE0EEENS1_30default_config_static_selectorELNS0_4arch9wavefront6targetE1EEEvT1_,comdat
	.globl	_ZN7rocprim17ROCPRIM_400000_NS6detail17trampoline_kernelINS0_14default_configENS1_25partition_config_selectorILNS1_17partition_subalgoE8ElNS0_10empty_typeEbEEZZNS1_14partition_implILS5_8ELb0ES3_jPlPS6_PKS6_NS0_5tupleIJS9_S6_EEENSD_IJSA_SA_EEENS0_18inequality_wrapperIZN2at6native12_GLOBAL__N_124unique_dim_cuda_templateIjEESt5tupleIJNSH_6TensorESM_SM_EERKSM_lbbbEUlllE0_EEPmJS6_EEE10hipError_tPvRmT3_T4_T5_T6_T7_T9_mT8_P12ihipStream_tbDpT10_ENKUlT_T0_E_clISt17integral_constantIbLb0EES1C_EEDaS17_S18_EUlS17_E_NS1_11comp_targetILNS1_3genE4ELNS1_11target_archE910ELNS1_3gpuE8ELNS1_3repE0EEENS1_30default_config_static_selectorELNS0_4arch9wavefront6targetE1EEEvT1_ ; -- Begin function _ZN7rocprim17ROCPRIM_400000_NS6detail17trampoline_kernelINS0_14default_configENS1_25partition_config_selectorILNS1_17partition_subalgoE8ElNS0_10empty_typeEbEEZZNS1_14partition_implILS5_8ELb0ES3_jPlPS6_PKS6_NS0_5tupleIJS9_S6_EEENSD_IJSA_SA_EEENS0_18inequality_wrapperIZN2at6native12_GLOBAL__N_124unique_dim_cuda_templateIjEESt5tupleIJNSH_6TensorESM_SM_EERKSM_lbbbEUlllE0_EEPmJS6_EEE10hipError_tPvRmT3_T4_T5_T6_T7_T9_mT8_P12ihipStream_tbDpT10_ENKUlT_T0_E_clISt17integral_constantIbLb0EES1C_EEDaS17_S18_EUlS17_E_NS1_11comp_targetILNS1_3genE4ELNS1_11target_archE910ELNS1_3gpuE8ELNS1_3repE0EEENS1_30default_config_static_selectorELNS0_4arch9wavefront6targetE1EEEvT1_
	.p2align	8
	.type	_ZN7rocprim17ROCPRIM_400000_NS6detail17trampoline_kernelINS0_14default_configENS1_25partition_config_selectorILNS1_17partition_subalgoE8ElNS0_10empty_typeEbEEZZNS1_14partition_implILS5_8ELb0ES3_jPlPS6_PKS6_NS0_5tupleIJS9_S6_EEENSD_IJSA_SA_EEENS0_18inequality_wrapperIZN2at6native12_GLOBAL__N_124unique_dim_cuda_templateIjEESt5tupleIJNSH_6TensorESM_SM_EERKSM_lbbbEUlllE0_EEPmJS6_EEE10hipError_tPvRmT3_T4_T5_T6_T7_T9_mT8_P12ihipStream_tbDpT10_ENKUlT_T0_E_clISt17integral_constantIbLb0EES1C_EEDaS17_S18_EUlS17_E_NS1_11comp_targetILNS1_3genE4ELNS1_11target_archE910ELNS1_3gpuE8ELNS1_3repE0EEENS1_30default_config_static_selectorELNS0_4arch9wavefront6targetE1EEEvT1_,@function
_ZN7rocprim17ROCPRIM_400000_NS6detail17trampoline_kernelINS0_14default_configENS1_25partition_config_selectorILNS1_17partition_subalgoE8ElNS0_10empty_typeEbEEZZNS1_14partition_implILS5_8ELb0ES3_jPlPS6_PKS6_NS0_5tupleIJS9_S6_EEENSD_IJSA_SA_EEENS0_18inequality_wrapperIZN2at6native12_GLOBAL__N_124unique_dim_cuda_templateIjEESt5tupleIJNSH_6TensorESM_SM_EERKSM_lbbbEUlllE0_EEPmJS6_EEE10hipError_tPvRmT3_T4_T5_T6_T7_T9_mT8_P12ihipStream_tbDpT10_ENKUlT_T0_E_clISt17integral_constantIbLb0EES1C_EEDaS17_S18_EUlS17_E_NS1_11comp_targetILNS1_3genE4ELNS1_11target_archE910ELNS1_3gpuE8ELNS1_3repE0EEENS1_30default_config_static_selectorELNS0_4arch9wavefront6targetE1EEEvT1_: ; @_ZN7rocprim17ROCPRIM_400000_NS6detail17trampoline_kernelINS0_14default_configENS1_25partition_config_selectorILNS1_17partition_subalgoE8ElNS0_10empty_typeEbEEZZNS1_14partition_implILS5_8ELb0ES3_jPlPS6_PKS6_NS0_5tupleIJS9_S6_EEENSD_IJSA_SA_EEENS0_18inequality_wrapperIZN2at6native12_GLOBAL__N_124unique_dim_cuda_templateIjEESt5tupleIJNSH_6TensorESM_SM_EERKSM_lbbbEUlllE0_EEPmJS6_EEE10hipError_tPvRmT3_T4_T5_T6_T7_T9_mT8_P12ihipStream_tbDpT10_ENKUlT_T0_E_clISt17integral_constantIbLb0EES1C_EEDaS17_S18_EUlS17_E_NS1_11comp_targetILNS1_3genE4ELNS1_11target_archE910ELNS1_3gpuE8ELNS1_3repE0EEENS1_30default_config_static_selectorELNS0_4arch9wavefront6targetE1EEEvT1_
; %bb.0:
	s_load_dwordx8 s[20:27], s[4:5], 0x40
	s_load_dwordx4 s[0:3], s[4:5], 0x8
	s_load_dwordx4 s[28:31], s[4:5], 0x60
	s_load_dword s7, s[4:5], 0x70
	s_waitcnt lgkmcnt(0)
	v_mov_b32_e32 v2, s24
	s_lshl_b64 s[8:9], s[2:3], 3
	s_add_u32 s12, s0, s8
	s_mul_i32 s8, s7, 0x500
	s_addc_u32 s13, s1, s9
	s_add_i32 s1, s8, s2
	s_add_i32 s10, s7, -1
	s_sub_i32 s7, s24, s1
	s_add_u32 s8, s2, s8
	s_addc_u32 s9, s3, 0
	v_mov_b32_e32 v3, s25
	s_cmp_eq_u32 s6, s10
	s_load_dwordx2 s[22:23], s[22:23], 0x0
	v_cmp_ge_u64_e32 vcc, s[8:9], v[2:3]
	s_cselect_b64 s[24:25], -1, 0
	s_mul_i32 s0, s6, 0x500
	s_mov_b32 s1, 0
	s_and_b64 s[10:11], s[24:25], vcc
	s_xor_b64 s[34:35], s[10:11], -1
	s_lshl_b64 s[0:1], s[0:1], 3
	s_add_u32 s0, s12, s0
	s_mov_b64 s[8:9], -1
	s_addc_u32 s1, s13, s1
	s_and_b64 vcc, exec, s[34:35]
	s_cbranch_vccz .LBB1541_2
; %bb.1:
	v_lshlrev_b32_e32 v1, 3, v0
	v_mov_b32_e32 v2, s1
	v_add_co_u32_e32 v12, vcc, s0, v1
	v_addc_co_u32_e32 v13, vcc, 0, v2, vcc
	v_add_co_u32_e32 v2, vcc, 0x1000, v12
	v_addc_co_u32_e32 v3, vcc, 0, v13, vcc
	global_load_dwordx2 v[4:5], v1, s[0:1]
	global_load_dwordx2 v[6:7], v1, s[0:1] offset:2048
	global_load_dwordx2 v[8:9], v[2:3], off
	global_load_dwordx2 v[10:11], v[2:3], off offset:2048
	v_add_co_u32_e32 v2, vcc, 0x2000, v12
	v_addc_co_u32_e32 v3, vcc, 0, v13, vcc
	global_load_dwordx2 v[2:3], v[2:3], off
	s_mov_b64 s[8:9], 0
	s_waitcnt vmcnt(3)
	ds_write2st64_b64 v1, v[4:5], v[6:7] offset1:4
	s_waitcnt vmcnt(1)
	ds_write2st64_b64 v1, v[8:9], v[10:11] offset0:8 offset1:12
	s_waitcnt vmcnt(0)
	ds_write_b64 v1, v[2:3] offset:8192
	s_waitcnt lgkmcnt(0)
	s_barrier
.LBB1541_2:
	s_andn2_b64 vcc, exec, s[8:9]
	s_addk_i32 s7, 0x500
	s_cbranch_vccnz .LBB1541_14
; %bb.3:
	v_cmp_gt_u32_e32 vcc, s7, v0
                                        ; implicit-def: $vgpr2_vgpr3_vgpr4_vgpr5_vgpr6_vgpr7_vgpr8_vgpr9_vgpr10_vgpr11_vgpr12_vgpr13_vgpr14_vgpr15_vgpr16_vgpr17
	s_and_saveexec_b64 s[8:9], vcc
	s_cbranch_execz .LBB1541_5
; %bb.4:
	v_lshlrev_b32_e32 v1, 3, v0
	global_load_dwordx2 v[2:3], v1, s[0:1]
.LBB1541_5:
	s_or_b64 exec, exec, s[8:9]
	v_or_b32_e32 v1, 0x100, v0
	v_cmp_gt_u32_e32 vcc, s7, v1
	s_and_saveexec_b64 s[8:9], vcc
	s_cbranch_execz .LBB1541_7
; %bb.6:
	v_lshlrev_b32_e32 v1, 3, v0
	global_load_dwordx2 v[4:5], v1, s[0:1] offset:2048
.LBB1541_7:
	s_or_b64 exec, exec, s[8:9]
	v_or_b32_e32 v1, 0x200, v0
	v_cmp_gt_u32_e32 vcc, s7, v1
	s_and_saveexec_b64 s[8:9], vcc
	s_cbranch_execz .LBB1541_9
; %bb.8:
	v_lshlrev_b32_e32 v1, 3, v1
	global_load_dwordx2 v[6:7], v1, s[0:1]
.LBB1541_9:
	s_or_b64 exec, exec, s[8:9]
	v_or_b32_e32 v1, 0x300, v0
	v_cmp_gt_u32_e32 vcc, s7, v1
	s_and_saveexec_b64 s[8:9], vcc
	s_cbranch_execz .LBB1541_11
; %bb.10:
	v_lshlrev_b32_e32 v1, 3, v1
	global_load_dwordx2 v[8:9], v1, s[0:1]
.LBB1541_11:
	;; [unrolled: 9-line block ×3, first 2 shown]
	s_or_b64 exec, exec, s[8:9]
	v_lshlrev_b32_e32 v1, 3, v0
	s_waitcnt vmcnt(0)
	ds_write2st64_b64 v1, v[2:3], v[4:5] offset1:4
	ds_write2st64_b64 v1, v[6:7], v[8:9] offset0:8 offset1:12
	ds_write_b64 v1, v[10:11] offset:8192
	s_waitcnt lgkmcnt(0)
	s_barrier
.LBB1541_14:
	v_mul_u32_u24_e32 v1, 5, v0
	v_lshlrev_b32_e32 v20, 3, v1
	s_waitcnt lgkmcnt(0)
	ds_read2_b64 v[6:9], v20 offset1:1
	ds_read2_b64 v[2:5], v20 offset0:2 offset1:3
	ds_read_b64 v[10:11], v20 offset:32
	s_cmp_lg_u32 s6, 0
	s_cselect_b64 s[16:17], -1, 0
	s_cmp_lg_u64 s[2:3], 0
	s_cselect_b64 s[2:3], -1, 0
	s_or_b64 s[2:3], s[16:17], s[2:3]
	v_mad_u32_u24 v24, v0, 5, 1
	v_mad_u32_u24 v22, v0, 5, 2
	;; [unrolled: 1-line block ×4, first 2 shown]
	s_mov_b64 s[12:13], 0
	s_and_b64 vcc, exec, s[2:3]
	v_cmp_gt_i64_e64 s[2:3], s[26:27], 0
	s_waitcnt lgkmcnt(0)
	s_barrier
	s_cbranch_vccz .LBB1541_23
; %bb.15:
	s_add_u32 s0, s0, -8
	s_addc_u32 s1, s1, -1
	s_load_dwordx2 s[12:13], s[0:1], 0x0
	v_cndmask_b32_e64 v12, 0, 1, s[2:3]
	v_lshlrev_b32_e32 v21, 3, v0
	s_mov_b64 s[14:15], 0
	s_and_b64 vcc, exec, s[34:35]
	v_cmp_ne_u32_e64 s[0:1], 1, v12
	ds_write_b64 v21, v[10:11]
	s_cbranch_vccz .LBB1541_24
; %bb.16:
	v_mul_lo_u32 v14, v5, s26
	v_mul_lo_u32 v15, v4, s27
	v_mad_u64_u32 v[12:13], s[2:3], v4, s26, 0
	v_add3_u32 v13, v13, v15, v14
	s_and_b64 vcc, exec, s[0:1]
	v_lshlrev_b64 v[12:13], 2, v[12:13]
	s_cbranch_vccnz .LBB1541_27
; %bb.17:
	v_mul_lo_u32 v16, v11, s26
	v_mul_lo_u32 v17, v10, s27
	v_mad_u64_u32 v[14:15], s[2:3], v10, s26, 0
	v_add3_u32 v15, v15, v17, v16
	v_mov_b32_e32 v17, s29
	v_add_co_u32_e32 v16, vcc, s28, v12
	v_addc_co_u32_e64 v17, s[2:3], v17, v13, vcc
	v_lshlrev_b64 v[14:15], 2, v[14:15]
	v_mov_b32_e32 v19, s29
	v_add_co_u32_e64 v18, s[2:3], s28, v14
	v_addc_co_u32_e64 v19, s[8:9], v19, v15, s[2:3]
	global_load_dword v14, v[16:17], off
	global_load_dword v26, v[18:19], off
	s_mov_b64 s[14:15], -1
	s_waitcnt vmcnt(0)
	v_cmp_eq_u32_e64 s[8:9], v14, v26
	s_and_saveexec_b64 s[18:19], s[8:9]
	s_cbranch_execz .LBB1541_26
; %bb.18:
	v_mov_b32_e32 v14, s29
	v_addc_co_u32_e64 v15, s[2:3], v15, v14, s[2:3]
	v_add_co_u32_e64 v14, s[2:3], 4, v18
	v_mov_b32_e32 v17, s29
	v_addc_co_u32_e64 v15, s[2:3], 0, v15, s[2:3]
	v_addc_co_u32_e32 v17, vcc, v13, v17, vcc
	v_add_co_u32_e32 v16, vcc, 4, v16
	s_add_u32 s2, s26, -1
	v_addc_co_u32_e32 v17, vcc, 0, v17, vcc
	s_addc_u32 s3, s27, -1
	s_mov_b64 s[8:9], 0
	s_mov_b64 s[36:37], 0
                                        ; implicit-def: $sgpr14_sgpr15
	s_branch .LBB1541_21
.LBB1541_19:                            ;   in Loop: Header=BB1541_21 Depth=1
	global_load_dword v18, v[16:17], off
	global_load_dword v19, v[14:15], off
	v_add_co_u32_e32 v14, vcc, 4, v14
	v_addc_co_u32_e32 v15, vcc, 0, v15, vcc
	v_add_co_u32_e32 v16, vcc, 4, v16
	v_addc_co_u32_e32 v17, vcc, 0, v17, vcc
	s_add_u32 s36, s36, 1
	s_addc_u32 s37, s37, 0
	s_andn2_b64 s[14:15], s[14:15], exec
	s_waitcnt vmcnt(0)
	v_cmp_ne_u32_e32 vcc, v18, v19
	s_and_b64 s[38:39], vcc, exec
	s_or_b64 s[14:15], s[14:15], s[38:39]
.LBB1541_20:                            ;   in Loop: Header=BB1541_21 Depth=1
	s_and_b64 s[38:39], exec, s[14:15]
	s_or_b64 s[8:9], s[38:39], s[8:9]
	v_pk_mov_b32 v[18:19], s[36:37], s[36:37] op_sel:[0,1]
	s_andn2_b64 exec, exec, s[8:9]
	s_cbranch_execz .LBB1541_25
.LBB1541_21:                            ; =>This Inner Loop Header: Depth=1
	s_or_b64 s[14:15], s[14:15], exec
	s_cmp_eq_u64 s[2:3], s[36:37]
	s_cbranch_scc0 .LBB1541_19
; %bb.22:                               ;   in Loop: Header=BB1541_21 Depth=1
                                        ; implicit-def: $vgpr14_vgpr15
                                        ; implicit-def: $vgpr16_vgpr17
	s_mov_b64 s[36:37], s[26:27]
	s_branch .LBB1541_20
.LBB1541_23:
                                        ; implicit-def: $sgpr18_sgpr19
                                        ; implicit-def: $vgpr13
                                        ; implicit-def: $vgpr16
	s_branch .LBB1541_125
.LBB1541_24:
                                        ; implicit-def: $sgpr18_sgpr19
                                        ; implicit-def: $vgpr13
                                        ; implicit-def: $vgpr16
	s_cbranch_execnz .LBB1541_66
	s_branch .LBB1541_124
.LBB1541_25:
	s_or_b64 exec, exec, s[8:9]
	v_cmp_gt_i64_e32 vcc, s[26:27], v[18:19]
	s_orn2_b64 s[14:15], vcc, exec
.LBB1541_26:
	s_or_b64 exec, exec, s[18:19]
.LBB1541_27:
	v_mul_lo_u32 v16, v3, s26
	v_mul_lo_u32 v17, v2, s27
	v_mad_u64_u32 v[14:15], s[2:3], v2, s26, 0
	v_add3_u32 v15, v15, v17, v16
	s_mov_b64 s[18:19], 0
	s_and_b64 vcc, exec, s[0:1]
	v_lshlrev_b64 v[16:17], 2, v[14:15]
	s_mov_b64 s[36:37], 0
	s_cbranch_vccnz .LBB1541_36
; %bb.28:
	v_mov_b32_e32 v15, s29
	v_add_co_u32_e32 v14, vcc, s28, v16
	v_addc_co_u32_e64 v15, s[2:3], v15, v17, vcc
	v_mov_b32_e32 v19, s29
	v_add_co_u32_e64 v18, s[2:3], s28, v12
	v_addc_co_u32_e64 v19, s[8:9], v19, v13, s[2:3]
	global_load_dword v12, v[14:15], off
	global_load_dword v26, v[18:19], off
	s_mov_b64 s[36:37], -1
	s_waitcnt vmcnt(0)
	v_cmp_eq_u32_e64 s[8:9], v12, v26
	s_and_saveexec_b64 s[38:39], s[8:9]
	s_cbranch_execz .LBB1541_35
; %bb.29:
	v_mov_b32_e32 v12, s29
	v_addc_co_u32_e64 v13, s[2:3], v13, v12, s[2:3]
	v_add_co_u32_e64 v12, s[2:3], 4, v18
	v_mov_b32_e32 v15, s29
	v_addc_co_u32_e64 v13, s[2:3], 0, v13, s[2:3]
	v_addc_co_u32_e32 v15, vcc, v17, v15, vcc
	v_add_co_u32_e32 v14, vcc, 4, v14
	s_add_u32 s2, s26, -1
	v_addc_co_u32_e32 v15, vcc, 0, v15, vcc
	s_addc_u32 s3, s27, -1
	s_mov_b64 s[8:9], 0
	s_mov_b64 s[40:41], 0
                                        ; implicit-def: $sgpr36_sgpr37
	s_branch .LBB1541_32
.LBB1541_30:                            ;   in Loop: Header=BB1541_32 Depth=1
	global_load_dword v18, v[14:15], off
	global_load_dword v19, v[12:13], off
	v_add_co_u32_e32 v12, vcc, 4, v12
	v_addc_co_u32_e32 v13, vcc, 0, v13, vcc
	v_add_co_u32_e32 v14, vcc, 4, v14
	v_addc_co_u32_e32 v15, vcc, 0, v15, vcc
	s_add_u32 s40, s40, 1
	s_addc_u32 s41, s41, 0
	s_andn2_b64 s[36:37], s[36:37], exec
	s_waitcnt vmcnt(0)
	v_cmp_ne_u32_e32 vcc, v18, v19
	s_and_b64 s[42:43], vcc, exec
	s_or_b64 s[36:37], s[36:37], s[42:43]
.LBB1541_31:                            ;   in Loop: Header=BB1541_32 Depth=1
	s_and_b64 s[42:43], exec, s[36:37]
	s_or_b64 s[8:9], s[42:43], s[8:9]
	v_pk_mov_b32 v[18:19], s[40:41], s[40:41] op_sel:[0,1]
	s_andn2_b64 exec, exec, s[8:9]
	s_cbranch_execz .LBB1541_34
.LBB1541_32:                            ; =>This Inner Loop Header: Depth=1
	s_or_b64 s[36:37], s[36:37], exec
	s_cmp_eq_u64 s[2:3], s[40:41]
	s_cbranch_scc0 .LBB1541_30
; %bb.33:                               ;   in Loop: Header=BB1541_32 Depth=1
                                        ; implicit-def: $vgpr12_vgpr13
                                        ; implicit-def: $vgpr14_vgpr15
	s_mov_b64 s[40:41], s[26:27]
	s_branch .LBB1541_31
.LBB1541_34:
	s_or_b64 exec, exec, s[8:9]
	v_cmp_gt_i64_e32 vcc, s[26:27], v[18:19]
	s_orn2_b64 s[36:37], vcc, exec
.LBB1541_35:
	s_or_b64 exec, exec, s[38:39]
.LBB1541_36:
	v_mul_lo_u32 v14, v9, s26
	v_mul_lo_u32 v15, v8, s27
	v_mad_u64_u32 v[12:13], s[2:3], v8, s26, 0
	v_add3_u32 v13, v13, v15, v14
	s_and_b64 vcc, exec, s[0:1]
	v_lshlrev_b64 v[14:15], 2, v[12:13]
	s_cbranch_vccnz .LBB1541_45
; %bb.37:
	v_mov_b32_e32 v12, s29
	v_add_co_u32_e32 v18, vcc, s28, v14
	v_addc_co_u32_e64 v19, s[2:3], v12, v15, vcc
	v_mov_b32_e32 v13, s29
	v_add_co_u32_e64 v12, s[2:3], s28, v16
	v_addc_co_u32_e64 v13, s[8:9], v13, v17, s[2:3]
	global_load_dword v16, v[18:19], off
	global_load_dword v26, v[12:13], off
	s_mov_b64 s[18:19], -1
	s_waitcnt vmcnt(0)
	v_cmp_eq_u32_e64 s[8:9], v16, v26
	s_and_saveexec_b64 s[38:39], s[8:9]
	s_cbranch_execz .LBB1541_44
; %bb.38:
	v_mov_b32_e32 v13, s29
	v_addc_co_u32_e64 v13, s[2:3], v17, v13, s[2:3]
	v_add_co_u32_e64 v12, s[2:3], 4, v12
	v_mov_b32_e32 v16, s29
	v_addc_co_u32_e64 v13, s[2:3], 0, v13, s[2:3]
	v_addc_co_u32_e32 v17, vcc, v15, v16, vcc
	v_add_co_u32_e32 v16, vcc, 4, v18
	s_add_u32 s2, s26, -1
	v_addc_co_u32_e32 v17, vcc, 0, v17, vcc
	s_addc_u32 s3, s27, -1
	s_mov_b64 s[8:9], 0
	s_mov_b64 s[40:41], 0
                                        ; implicit-def: $sgpr18_sgpr19
	s_branch .LBB1541_41
.LBB1541_39:                            ;   in Loop: Header=BB1541_41 Depth=1
	global_load_dword v18, v[16:17], off
	global_load_dword v19, v[12:13], off
	v_add_co_u32_e32 v12, vcc, 4, v12
	v_addc_co_u32_e32 v13, vcc, 0, v13, vcc
	v_add_co_u32_e32 v16, vcc, 4, v16
	v_addc_co_u32_e32 v17, vcc, 0, v17, vcc
	s_add_u32 s40, s40, 1
	s_addc_u32 s41, s41, 0
	s_andn2_b64 s[18:19], s[18:19], exec
	s_waitcnt vmcnt(0)
	v_cmp_ne_u32_e32 vcc, v18, v19
	s_and_b64 s[42:43], vcc, exec
	s_or_b64 s[18:19], s[18:19], s[42:43]
.LBB1541_40:                            ;   in Loop: Header=BB1541_41 Depth=1
	s_and_b64 s[42:43], exec, s[18:19]
	s_or_b64 s[8:9], s[42:43], s[8:9]
	v_pk_mov_b32 v[18:19], s[40:41], s[40:41] op_sel:[0,1]
	s_andn2_b64 exec, exec, s[8:9]
	s_cbranch_execz .LBB1541_43
.LBB1541_41:                            ; =>This Inner Loop Header: Depth=1
	s_or_b64 s[18:19], s[18:19], exec
	s_cmp_eq_u64 s[2:3], s[40:41]
	s_cbranch_scc0 .LBB1541_39
; %bb.42:                               ;   in Loop: Header=BB1541_41 Depth=1
                                        ; implicit-def: $vgpr12_vgpr13
                                        ; implicit-def: $vgpr16_vgpr17
	s_mov_b64 s[40:41], s[26:27]
	s_branch .LBB1541_40
.LBB1541_43:
	s_or_b64 exec, exec, s[8:9]
	v_cmp_gt_i64_e32 vcc, s[26:27], v[18:19]
	s_orn2_b64 s[18:19], vcc, exec
.LBB1541_44:
	s_or_b64 exec, exec, s[38:39]
.LBB1541_45:
	v_mul_lo_u32 v16, v7, s26
	v_mul_lo_u32 v17, v6, s27
	v_mad_u64_u32 v[12:13], s[2:3], v6, s26, 0
	v_add3_u32 v13, v13, v17, v16
	s_mov_b64 s[40:41], 0
	s_and_b64 vcc, exec, s[0:1]
	v_lshlrev_b64 v[12:13], 2, v[12:13]
	s_cbranch_vccnz .LBB1541_54
; %bb.46:
	v_mov_b32_e32 v17, s29
	v_add_co_u32_e32 v16, vcc, s28, v12
	v_addc_co_u32_e64 v17, s[2:3], v17, v13, vcc
	v_mov_b32_e32 v19, s29
	v_add_co_u32_e64 v18, s[2:3], s28, v14
	v_addc_co_u32_e64 v19, s[8:9], v19, v15, s[2:3]
	global_load_dword v14, v[16:17], off
	global_load_dword v26, v[18:19], off
	s_mov_b64 s[40:41], -1
	s_waitcnt vmcnt(0)
	v_cmp_eq_u32_e64 s[8:9], v14, v26
	s_and_saveexec_b64 s[38:39], s[8:9]
	s_cbranch_execz .LBB1541_53
; %bb.47:
	v_mov_b32_e32 v14, s29
	v_addc_co_u32_e64 v15, s[2:3], v15, v14, s[2:3]
	v_add_co_u32_e64 v14, s[2:3], 4, v18
	v_mov_b32_e32 v17, s29
	v_addc_co_u32_e64 v15, s[2:3], 0, v15, s[2:3]
	v_addc_co_u32_e32 v17, vcc, v13, v17, vcc
	v_add_co_u32_e32 v16, vcc, 4, v16
	s_add_u32 s2, s26, -1
	v_addc_co_u32_e32 v17, vcc, 0, v17, vcc
	s_addc_u32 s3, s27, -1
	s_mov_b64 s[8:9], 0
	s_mov_b64 s[42:43], 0
                                        ; implicit-def: $sgpr40_sgpr41
	s_branch .LBB1541_50
.LBB1541_48:                            ;   in Loop: Header=BB1541_50 Depth=1
	global_load_dword v18, v[16:17], off
	global_load_dword v19, v[14:15], off
	v_add_co_u32_e32 v14, vcc, 4, v14
	v_addc_co_u32_e32 v15, vcc, 0, v15, vcc
	v_add_co_u32_e32 v16, vcc, 4, v16
	v_addc_co_u32_e32 v17, vcc, 0, v17, vcc
	s_add_u32 s42, s42, 1
	s_addc_u32 s43, s43, 0
	s_andn2_b64 s[40:41], s[40:41], exec
	s_waitcnt vmcnt(0)
	v_cmp_ne_u32_e32 vcc, v18, v19
	s_and_b64 s[44:45], vcc, exec
	s_or_b64 s[40:41], s[40:41], s[44:45]
.LBB1541_49:                            ;   in Loop: Header=BB1541_50 Depth=1
	s_and_b64 s[44:45], exec, s[40:41]
	s_or_b64 s[8:9], s[44:45], s[8:9]
	v_pk_mov_b32 v[18:19], s[42:43], s[42:43] op_sel:[0,1]
	s_andn2_b64 exec, exec, s[8:9]
	s_cbranch_execz .LBB1541_52
.LBB1541_50:                            ; =>This Inner Loop Header: Depth=1
	s_or_b64 s[40:41], s[40:41], exec
	s_cmp_eq_u64 s[2:3], s[42:43]
	s_cbranch_scc0 .LBB1541_48
; %bb.51:                               ;   in Loop: Header=BB1541_50 Depth=1
                                        ; implicit-def: $vgpr14_vgpr15
                                        ; implicit-def: $vgpr16_vgpr17
	s_mov_b64 s[42:43], s[26:27]
	s_branch .LBB1541_49
.LBB1541_52:
	s_or_b64 exec, exec, s[8:9]
	v_cmp_gt_i64_e32 vcc, s[26:27], v[18:19]
	s_orn2_b64 s[40:41], vcc, exec
.LBB1541_53:
	s_or_b64 exec, exec, s[38:39]
.LBB1541_54:
	v_cmp_ne_u32_e32 vcc, 0, v0
	s_waitcnt lgkmcnt(0)
	v_pk_mov_b32 v[14:15], s[12:13], s[12:13] op_sel:[0,1]
	s_barrier
	s_and_saveexec_b64 s[2:3], vcc
	s_cbranch_execz .LBB1541_56
; %bb.55:
	v_add_u32_e32 v14, -8, v21
	ds_read_b64 v[14:15], v14
.LBB1541_56:
	s_or_b64 exec, exec, s[2:3]
	v_cndmask_b32_e64 v17, 0, 1, s[36:37]
	v_cndmask_b32_e64 v16, 0, 1, s[18:19]
	;; [unrolled: 1-line block ×3, first 2 shown]
	v_lshlrev_b16_e32 v17, 8, v17
	v_lshlrev_b16_e32 v26, 8, v18
	v_or_b32_sdwa v27, v16, v17 dst_sel:WORD_1 dst_unused:UNUSED_PAD src0_sel:DWORD src1_sel:DWORD
	s_mov_b64 s[36:37], 0
	s_and_b64 vcc, exec, s[0:1]
	s_mov_b64 s[18:19], 0
	s_cbranch_vccnz .LBB1541_65
; %bb.57:
	s_waitcnt lgkmcnt(0)
	v_mul_lo_u32 v16, v15, s26
	v_mul_lo_u32 v17, v14, s27
	v_mad_u64_u32 v[14:15], s[2:3], v14, s26, 0
	v_add3_u32 v15, v15, v17, v16
	v_lshlrev_b64 v[14:15], 2, v[14:15]
	v_mov_b32_e32 v17, s29
	v_add_co_u32_e32 v16, vcc, s28, v14
	v_addc_co_u32_e64 v17, s[2:3], v17, v15, vcc
	v_mov_b32_e32 v14, s29
	v_add_co_u32_e64 v18, s[2:3], s28, v12
	v_addc_co_u32_e64 v19, s[8:9], v14, v13, s[2:3]
	global_load_dword v12, v[16:17], off
	global_load_dword v14, v[18:19], off
	s_mov_b64 s[18:19], -1
	s_waitcnt vmcnt(0)
	v_cmp_eq_u32_e64 s[8:9], v12, v14
	s_and_saveexec_b64 s[38:39], s[8:9]
	s_cbranch_execz .LBB1541_64
; %bb.58:
	v_mov_b32_e32 v12, s29
	v_addc_co_u32_e64 v13, s[2:3], v13, v12, s[2:3]
	v_add_co_u32_e64 v12, s[2:3], 4, v18
	v_mov_b32_e32 v14, s29
	v_addc_co_u32_e64 v13, s[2:3], 0, v13, s[2:3]
	v_addc_co_u32_e32 v15, vcc, v15, v14, vcc
	v_add_co_u32_e32 v14, vcc, 4, v16
	s_add_u32 s2, s26, -1
	v_addc_co_u32_e32 v15, vcc, 0, v15, vcc
	s_addc_u32 s3, s27, -1
	s_mov_b64 s[8:9], 0
	s_mov_b64 s[40:41], 0
                                        ; implicit-def: $sgpr18_sgpr19
	s_branch .LBB1541_61
.LBB1541_59:                            ;   in Loop: Header=BB1541_61 Depth=1
	global_load_dword v16, v[14:15], off
	global_load_dword v17, v[12:13], off
	v_add_co_u32_e32 v12, vcc, 4, v12
	v_addc_co_u32_e32 v13, vcc, 0, v13, vcc
	v_add_co_u32_e32 v14, vcc, 4, v14
	v_addc_co_u32_e32 v15, vcc, 0, v15, vcc
	s_add_u32 s40, s40, 1
	s_addc_u32 s41, s41, 0
	s_andn2_b64 s[18:19], s[18:19], exec
	s_waitcnt vmcnt(0)
	v_cmp_ne_u32_e32 vcc, v16, v17
	s_and_b64 s[42:43], vcc, exec
	s_or_b64 s[18:19], s[18:19], s[42:43]
.LBB1541_60:                            ;   in Loop: Header=BB1541_61 Depth=1
	s_and_b64 s[42:43], exec, s[18:19]
	s_or_b64 s[8:9], s[42:43], s[8:9]
	v_pk_mov_b32 v[16:17], s[40:41], s[40:41] op_sel:[0,1]
	s_andn2_b64 exec, exec, s[8:9]
	s_cbranch_execz .LBB1541_63
.LBB1541_61:                            ; =>This Inner Loop Header: Depth=1
	s_or_b64 s[18:19], s[18:19], exec
	s_cmp_eq_u64 s[2:3], s[40:41]
	s_cbranch_scc0 .LBB1541_59
; %bb.62:                               ;   in Loop: Header=BB1541_61 Depth=1
                                        ; implicit-def: $vgpr12_vgpr13
                                        ; implicit-def: $vgpr14_vgpr15
	s_mov_b64 s[40:41], s[26:27]
	s_branch .LBB1541_60
.LBB1541_63:
	s_or_b64 exec, exec, s[8:9]
	v_cmp_gt_i64_e32 vcc, s[26:27], v[16:17]
	s_orn2_b64 s[18:19], vcc, exec
.LBB1541_64:
	s_or_b64 exec, exec, s[38:39]
.LBB1541_65:
	v_cndmask_b32_e64 v13, 0, 1, s[14:15]
	v_or_b32_e32 v16, v26, v27
	s_and_b64 vcc, exec, s[36:37]
	s_cbranch_vccz .LBB1541_124
.LBB1541_66:
	v_cmp_gt_u32_e32 vcc, s7, v23
	s_mov_b64 s[18:19], 0
	s_mov_b64 s[14:15], 0
	s_and_saveexec_b64 s[36:37], vcc
	s_cbranch_execz .LBB1541_77
; %bb.67:
	s_and_b64 vcc, exec, s[0:1]
	s_mov_b64 s[38:39], 0
	s_cbranch_vccnz .LBB1541_76
; %bb.68:
	s_waitcnt lgkmcnt(0)
	v_mul_lo_u32 v14, v5, s26
	v_mul_lo_u32 v15, v4, s27
	v_mad_u64_u32 v[12:13], s[2:3], v4, s26, 0
	v_add3_u32 v13, v13, v15, v14
	v_mul_lo_u32 v14, v11, s26
	v_mul_lo_u32 v15, v10, s27
	v_mad_u64_u32 v[18:19], s[2:3], v10, s26, 0
	v_add3_u32 v19, v19, v15, v14
	v_lshlrev_b64 v[14:15], 2, v[12:13]
	v_mov_b32_e32 v12, s29
	v_add_co_u32_e32 v16, vcc, s28, v14
	v_addc_co_u32_e64 v17, s[2:3], v12, v15, vcc
	v_lshlrev_b64 v[12:13], 2, v[18:19]
	v_mov_b32_e32 v14, s29
	v_add_co_u32_e64 v18, s[2:3], s28, v12
	v_addc_co_u32_e64 v19, s[8:9], v14, v13, s[2:3]
	global_load_dword v12, v[16:17], off
	global_load_dword v14, v[18:19], off
	s_mov_b64 s[38:39], -1
	s_waitcnt vmcnt(0)
	v_cmp_eq_u32_e64 s[8:9], v12, v14
	s_and_saveexec_b64 s[14:15], s[8:9]
	s_cbranch_execz .LBB1541_75
; %bb.69:
	v_mov_b32_e32 v12, s29
	v_addc_co_u32_e64 v13, s[2:3], v13, v12, s[2:3]
	v_add_co_u32_e64 v12, s[2:3], 4, v18
	v_mov_b32_e32 v14, s29
	v_addc_co_u32_e64 v13, s[2:3], 0, v13, s[2:3]
	v_addc_co_u32_e32 v15, vcc, v15, v14, vcc
	v_add_co_u32_e32 v14, vcc, 4, v16
	s_add_u32 s2, s26, -1
	v_addc_co_u32_e32 v15, vcc, 0, v15, vcc
	s_addc_u32 s3, s27, -1
	s_mov_b64 s[8:9], 0
	s_mov_b64 s[40:41], 0
                                        ; implicit-def: $sgpr38_sgpr39
	s_branch .LBB1541_72
.LBB1541_70:                            ;   in Loop: Header=BB1541_72 Depth=1
	global_load_dword v16, v[14:15], off
	global_load_dword v17, v[12:13], off
	v_add_co_u32_e32 v12, vcc, 4, v12
	v_addc_co_u32_e32 v13, vcc, 0, v13, vcc
	v_add_co_u32_e32 v14, vcc, 4, v14
	v_addc_co_u32_e32 v15, vcc, 0, v15, vcc
	s_add_u32 s40, s40, 1
	s_addc_u32 s41, s41, 0
	s_andn2_b64 s[38:39], s[38:39], exec
	s_waitcnt vmcnt(0)
	v_cmp_ne_u32_e32 vcc, v16, v17
	s_and_b64 s[42:43], vcc, exec
	s_or_b64 s[38:39], s[38:39], s[42:43]
.LBB1541_71:                            ;   in Loop: Header=BB1541_72 Depth=1
	s_and_b64 s[42:43], exec, s[38:39]
	s_or_b64 s[8:9], s[42:43], s[8:9]
	v_pk_mov_b32 v[16:17], s[40:41], s[40:41] op_sel:[0,1]
	s_andn2_b64 exec, exec, s[8:9]
	s_cbranch_execz .LBB1541_74
.LBB1541_72:                            ; =>This Inner Loop Header: Depth=1
	s_or_b64 s[38:39], s[38:39], exec
	s_cmp_eq_u64 s[2:3], s[40:41]
	s_cbranch_scc0 .LBB1541_70
; %bb.73:                               ;   in Loop: Header=BB1541_72 Depth=1
                                        ; implicit-def: $vgpr12_vgpr13
                                        ; implicit-def: $vgpr14_vgpr15
	s_mov_b64 s[40:41], s[26:27]
	s_branch .LBB1541_71
.LBB1541_74:
	s_or_b64 exec, exec, s[8:9]
	v_cmp_gt_i64_e32 vcc, s[26:27], v[16:17]
	s_orn2_b64 s[38:39], vcc, exec
.LBB1541_75:
	s_or_b64 exec, exec, s[14:15]
.LBB1541_76:
	s_and_b64 s[14:15], s[38:39], exec
.LBB1541_77:
	s_or_b64 exec, exec, s[36:37]
	v_cmp_gt_u32_e32 vcc, s7, v25
	s_and_saveexec_b64 s[36:37], vcc
	s_cbranch_execz .LBB1541_88
; %bb.78:
	s_and_b64 vcc, exec, s[0:1]
	s_mov_b64 s[38:39], 0
	s_cbranch_vccnz .LBB1541_87
; %bb.79:
	s_waitcnt lgkmcnt(0)
	v_mul_lo_u32 v14, v3, s26
	v_mul_lo_u32 v15, v2, s27
	v_mad_u64_u32 v[12:13], s[2:3], v2, s26, 0
	v_add3_u32 v13, v13, v15, v14
	v_mul_lo_u32 v14, v5, s26
	v_mul_lo_u32 v15, v4, s27
	v_mad_u64_u32 v[18:19], s[2:3], v4, s26, 0
	v_add3_u32 v19, v19, v15, v14
	v_lshlrev_b64 v[14:15], 2, v[12:13]
	v_mov_b32_e32 v12, s29
	v_add_co_u32_e32 v16, vcc, s28, v14
	v_addc_co_u32_e64 v17, s[2:3], v12, v15, vcc
	v_lshlrev_b64 v[12:13], 2, v[18:19]
	v_mov_b32_e32 v14, s29
	v_add_co_u32_e64 v18, s[2:3], s28, v12
	v_addc_co_u32_e64 v19, s[8:9], v14, v13, s[2:3]
	global_load_dword v12, v[16:17], off
	global_load_dword v14, v[18:19], off
	s_mov_b64 s[38:39], -1
	s_waitcnt vmcnt(0)
	v_cmp_eq_u32_e64 s[8:9], v12, v14
	s_and_saveexec_b64 s[18:19], s[8:9]
	s_cbranch_execz .LBB1541_86
; %bb.80:
	v_mov_b32_e32 v12, s29
	v_addc_co_u32_e64 v13, s[2:3], v13, v12, s[2:3]
	v_add_co_u32_e64 v12, s[2:3], 4, v18
	v_mov_b32_e32 v14, s29
	v_addc_co_u32_e64 v13, s[2:3], 0, v13, s[2:3]
	v_addc_co_u32_e32 v15, vcc, v15, v14, vcc
	v_add_co_u32_e32 v14, vcc, 4, v16
	s_add_u32 s2, s26, -1
	v_addc_co_u32_e32 v15, vcc, 0, v15, vcc
	s_addc_u32 s3, s27, -1
	s_mov_b64 s[8:9], 0
	s_mov_b64 s[40:41], 0
                                        ; implicit-def: $sgpr38_sgpr39
	s_branch .LBB1541_83
.LBB1541_81:                            ;   in Loop: Header=BB1541_83 Depth=1
	global_load_dword v16, v[14:15], off
	global_load_dword v17, v[12:13], off
	v_add_co_u32_e32 v12, vcc, 4, v12
	v_addc_co_u32_e32 v13, vcc, 0, v13, vcc
	v_add_co_u32_e32 v14, vcc, 4, v14
	v_addc_co_u32_e32 v15, vcc, 0, v15, vcc
	s_add_u32 s40, s40, 1
	s_addc_u32 s41, s41, 0
	s_andn2_b64 s[38:39], s[38:39], exec
	s_waitcnt vmcnt(0)
	v_cmp_ne_u32_e32 vcc, v16, v17
	s_and_b64 s[42:43], vcc, exec
	s_or_b64 s[38:39], s[38:39], s[42:43]
.LBB1541_82:                            ;   in Loop: Header=BB1541_83 Depth=1
	s_and_b64 s[42:43], exec, s[38:39]
	s_or_b64 s[8:9], s[42:43], s[8:9]
	v_pk_mov_b32 v[16:17], s[40:41], s[40:41] op_sel:[0,1]
	s_andn2_b64 exec, exec, s[8:9]
	s_cbranch_execz .LBB1541_85
.LBB1541_83:                            ; =>This Inner Loop Header: Depth=1
	s_or_b64 s[38:39], s[38:39], exec
	s_cmp_eq_u64 s[2:3], s[40:41]
	s_cbranch_scc0 .LBB1541_81
; %bb.84:                               ;   in Loop: Header=BB1541_83 Depth=1
                                        ; implicit-def: $vgpr12_vgpr13
                                        ; implicit-def: $vgpr14_vgpr15
	s_mov_b64 s[40:41], s[26:27]
	s_branch .LBB1541_82
.LBB1541_85:
	s_or_b64 exec, exec, s[8:9]
	v_cmp_gt_i64_e32 vcc, s[26:27], v[16:17]
	s_orn2_b64 s[38:39], vcc, exec
.LBB1541_86:
	s_or_b64 exec, exec, s[18:19]
.LBB1541_87:
	s_and_b64 s[18:19], s[38:39], exec
.LBB1541_88:
	s_or_b64 exec, exec, s[36:37]
	v_cmp_gt_u32_e32 vcc, s7, v22
	s_mov_b64 s[36:37], 0
	s_mov_b64 s[38:39], 0
	s_and_saveexec_b64 s[40:41], vcc
	s_cbranch_execz .LBB1541_99
; %bb.89:
	s_and_b64 vcc, exec, s[0:1]
	s_mov_b64 s[42:43], 0
	s_cbranch_vccnz .LBB1541_98
; %bb.90:
	s_waitcnt lgkmcnt(0)
	v_mul_lo_u32 v14, v9, s26
	v_mul_lo_u32 v15, v8, s27
	v_mad_u64_u32 v[12:13], s[2:3], v8, s26, 0
	v_add3_u32 v13, v13, v15, v14
	v_mul_lo_u32 v14, v3, s26
	v_mul_lo_u32 v15, v2, s27
	v_mad_u64_u32 v[18:19], s[2:3], v2, s26, 0
	v_add3_u32 v19, v19, v15, v14
	v_lshlrev_b64 v[14:15], 2, v[12:13]
	v_mov_b32_e32 v12, s29
	v_add_co_u32_e32 v16, vcc, s28, v14
	v_addc_co_u32_e64 v17, s[2:3], v12, v15, vcc
	v_lshlrev_b64 v[12:13], 2, v[18:19]
	v_mov_b32_e32 v14, s29
	v_add_co_u32_e64 v18, s[2:3], s28, v12
	v_addc_co_u32_e64 v19, s[8:9], v14, v13, s[2:3]
	global_load_dword v12, v[16:17], off
	global_load_dword v14, v[18:19], off
	s_mov_b64 s[42:43], -1
	s_waitcnt vmcnt(0)
	v_cmp_eq_u32_e64 s[8:9], v12, v14
	s_and_saveexec_b64 s[38:39], s[8:9]
	s_cbranch_execz .LBB1541_97
; %bb.91:
	v_mov_b32_e32 v12, s29
	v_addc_co_u32_e64 v13, s[2:3], v13, v12, s[2:3]
	v_add_co_u32_e64 v12, s[2:3], 4, v18
	v_mov_b32_e32 v14, s29
	v_addc_co_u32_e64 v13, s[2:3], 0, v13, s[2:3]
	v_addc_co_u32_e32 v15, vcc, v15, v14, vcc
	v_add_co_u32_e32 v14, vcc, 4, v16
	s_add_u32 s2, s26, -1
	v_addc_co_u32_e32 v15, vcc, 0, v15, vcc
	s_addc_u32 s3, s27, -1
	s_mov_b64 s[8:9], 0
	s_mov_b64 s[44:45], 0
                                        ; implicit-def: $sgpr42_sgpr43
	s_branch .LBB1541_94
.LBB1541_92:                            ;   in Loop: Header=BB1541_94 Depth=1
	global_load_dword v16, v[14:15], off
	global_load_dword v17, v[12:13], off
	v_add_co_u32_e32 v12, vcc, 4, v12
	v_addc_co_u32_e32 v13, vcc, 0, v13, vcc
	v_add_co_u32_e32 v14, vcc, 4, v14
	v_addc_co_u32_e32 v15, vcc, 0, v15, vcc
	s_add_u32 s44, s44, 1
	s_addc_u32 s45, s45, 0
	s_andn2_b64 s[42:43], s[42:43], exec
	s_waitcnt vmcnt(0)
	v_cmp_ne_u32_e32 vcc, v16, v17
	s_and_b64 s[46:47], vcc, exec
	s_or_b64 s[42:43], s[42:43], s[46:47]
.LBB1541_93:                            ;   in Loop: Header=BB1541_94 Depth=1
	s_and_b64 s[46:47], exec, s[42:43]
	s_or_b64 s[8:9], s[46:47], s[8:9]
	v_pk_mov_b32 v[16:17], s[44:45], s[44:45] op_sel:[0,1]
	s_andn2_b64 exec, exec, s[8:9]
	s_cbranch_execz .LBB1541_96
.LBB1541_94:                            ; =>This Inner Loop Header: Depth=1
	s_or_b64 s[42:43], s[42:43], exec
	s_cmp_eq_u64 s[2:3], s[44:45]
	s_cbranch_scc0 .LBB1541_92
; %bb.95:                               ;   in Loop: Header=BB1541_94 Depth=1
                                        ; implicit-def: $vgpr12_vgpr13
                                        ; implicit-def: $vgpr14_vgpr15
	s_mov_b64 s[44:45], s[26:27]
	s_branch .LBB1541_93
.LBB1541_96:
	s_or_b64 exec, exec, s[8:9]
	v_cmp_gt_i64_e32 vcc, s[26:27], v[16:17]
	s_orn2_b64 s[42:43], vcc, exec
.LBB1541_97:
	s_or_b64 exec, exec, s[38:39]
.LBB1541_98:
	s_and_b64 s[38:39], s[42:43], exec
.LBB1541_99:
	s_or_b64 exec, exec, s[40:41]
	v_cmp_gt_u32_e32 vcc, s7, v24
	s_and_saveexec_b64 s[40:41], vcc
	s_cbranch_execz .LBB1541_110
; %bb.100:
	s_and_b64 vcc, exec, s[0:1]
	s_mov_b64 s[42:43], 0
	s_cbranch_vccnz .LBB1541_109
; %bb.101:
	s_waitcnt lgkmcnt(0)
	v_mul_lo_u32 v14, v7, s26
	v_mul_lo_u32 v15, v6, s27
	v_mad_u64_u32 v[12:13], s[2:3], v6, s26, 0
	v_add3_u32 v13, v13, v15, v14
	v_mul_lo_u32 v14, v9, s26
	v_mul_lo_u32 v15, v8, s27
	v_mad_u64_u32 v[18:19], s[2:3], v8, s26, 0
	v_add3_u32 v19, v19, v15, v14
	v_lshlrev_b64 v[14:15], 2, v[12:13]
	v_mov_b32_e32 v12, s29
	v_add_co_u32_e32 v16, vcc, s28, v14
	v_addc_co_u32_e64 v17, s[2:3], v12, v15, vcc
	v_lshlrev_b64 v[12:13], 2, v[18:19]
	v_mov_b32_e32 v14, s29
	v_add_co_u32_e64 v18, s[2:3], s28, v12
	v_addc_co_u32_e64 v19, s[8:9], v14, v13, s[2:3]
	global_load_dword v12, v[16:17], off
	global_load_dword v14, v[18:19], off
	s_mov_b64 s[42:43], -1
	s_waitcnt vmcnt(0)
	v_cmp_eq_u32_e64 s[8:9], v12, v14
	s_and_saveexec_b64 s[36:37], s[8:9]
	s_cbranch_execz .LBB1541_108
; %bb.102:
	v_mov_b32_e32 v12, s29
	v_addc_co_u32_e64 v13, s[2:3], v13, v12, s[2:3]
	v_add_co_u32_e64 v12, s[2:3], 4, v18
	v_mov_b32_e32 v14, s29
	v_addc_co_u32_e64 v13, s[2:3], 0, v13, s[2:3]
	v_addc_co_u32_e32 v15, vcc, v15, v14, vcc
	v_add_co_u32_e32 v14, vcc, 4, v16
	s_add_u32 s2, s26, -1
	v_addc_co_u32_e32 v15, vcc, 0, v15, vcc
	s_addc_u32 s3, s27, -1
	s_mov_b64 s[8:9], 0
	s_mov_b64 s[44:45], 0
                                        ; implicit-def: $sgpr42_sgpr43
	s_branch .LBB1541_105
.LBB1541_103:                           ;   in Loop: Header=BB1541_105 Depth=1
	global_load_dword v16, v[14:15], off
	global_load_dword v17, v[12:13], off
	v_add_co_u32_e32 v12, vcc, 4, v12
	v_addc_co_u32_e32 v13, vcc, 0, v13, vcc
	v_add_co_u32_e32 v14, vcc, 4, v14
	v_addc_co_u32_e32 v15, vcc, 0, v15, vcc
	s_add_u32 s44, s44, 1
	s_addc_u32 s45, s45, 0
	s_andn2_b64 s[42:43], s[42:43], exec
	s_waitcnt vmcnt(0)
	v_cmp_ne_u32_e32 vcc, v16, v17
	s_and_b64 s[46:47], vcc, exec
	s_or_b64 s[42:43], s[42:43], s[46:47]
.LBB1541_104:                           ;   in Loop: Header=BB1541_105 Depth=1
	s_and_b64 s[46:47], exec, s[42:43]
	s_or_b64 s[8:9], s[46:47], s[8:9]
	v_pk_mov_b32 v[16:17], s[44:45], s[44:45] op_sel:[0,1]
	s_andn2_b64 exec, exec, s[8:9]
	s_cbranch_execz .LBB1541_107
.LBB1541_105:                           ; =>This Inner Loop Header: Depth=1
	s_or_b64 s[42:43], s[42:43], exec
	s_cmp_eq_u64 s[2:3], s[44:45]
	s_cbranch_scc0 .LBB1541_103
; %bb.106:                              ;   in Loop: Header=BB1541_105 Depth=1
                                        ; implicit-def: $vgpr12_vgpr13
                                        ; implicit-def: $vgpr14_vgpr15
	s_mov_b64 s[44:45], s[26:27]
	s_branch .LBB1541_104
.LBB1541_107:
	s_or_b64 exec, exec, s[8:9]
	v_cmp_gt_i64_e32 vcc, s[26:27], v[16:17]
	s_orn2_b64 s[42:43], vcc, exec
.LBB1541_108:
	s_or_b64 exec, exec, s[36:37]
.LBB1541_109:
	s_and_b64 s[36:37], s[42:43], exec
.LBB1541_110:
	s_or_b64 exec, exec, s[40:41]
	v_cmp_ne_u32_e32 vcc, 0, v0
	s_waitcnt lgkmcnt(0)
	v_pk_mov_b32 v[12:13], s[12:13], s[12:13] op_sel:[0,1]
	s_barrier
	s_and_saveexec_b64 s[2:3], vcc
	s_cbranch_execz .LBB1541_112
; %bb.111:
	v_add_u32_e32 v12, -8, v21
	ds_read_b64 v[12:13], v12
.LBB1541_112:
	s_or_b64 exec, exec, s[2:3]
	v_cndmask_b32_e64 v15, 0, 1, s[18:19]
	v_cndmask_b32_e64 v14, 0, 1, s[38:39]
	;; [unrolled: 1-line block ×3, first 2 shown]
	v_lshlrev_b16_e32 v15, 8, v15
	v_cmp_gt_u32_e32 vcc, s7, v1
	v_lshlrev_b16_e32 v21, 8, v16
	v_or_b32_sdwa v26, v14, v15 dst_sel:WORD_1 dst_unused:UNUSED_PAD src0_sel:DWORD src1_sel:DWORD
	s_mov_b64 s[18:19], 0
	s_and_saveexec_b64 s[8:9], vcc
	s_cbranch_execz .LBB1541_123
; %bb.113:
	s_and_b64 vcc, exec, s[0:1]
	s_cbranch_vccnz .LBB1541_122
; %bb.114:
	s_waitcnt lgkmcnt(0)
	v_mul_lo_u32 v14, v13, s26
	v_mul_lo_u32 v15, v12, s27
	v_mad_u64_u32 v[12:13], s[0:1], v12, s26, 0
	v_add3_u32 v13, v13, v15, v14
	v_mul_lo_u32 v14, v7, s26
	v_mul_lo_u32 v15, v6, s27
	v_mad_u64_u32 v[18:19], s[0:1], v6, s26, 0
	v_add3_u32 v19, v19, v15, v14
	v_lshlrev_b64 v[14:15], 2, v[12:13]
	v_mov_b32_e32 v12, s29
	v_add_co_u32_e32 v16, vcc, s28, v14
	v_addc_co_u32_e64 v17, s[0:1], v12, v15, vcc
	v_lshlrev_b64 v[12:13], 2, v[18:19]
	v_mov_b32_e32 v14, s29
	v_add_co_u32_e64 v18, s[0:1], s28, v12
	v_addc_co_u32_e64 v19, s[2:3], v14, v13, s[0:1]
	global_load_dword v12, v[16:17], off
	global_load_dword v14, v[18:19], off
	s_mov_b64 s[18:19], -1
	s_waitcnt vmcnt(0)
	v_cmp_eq_u32_e64 s[2:3], v12, v14
	s_and_saveexec_b64 s[12:13], s[2:3]
	s_cbranch_execz .LBB1541_121
; %bb.115:
	v_mov_b32_e32 v12, s29
	v_addc_co_u32_e64 v13, s[0:1], v13, v12, s[0:1]
	v_add_co_u32_e64 v12, s[0:1], 4, v18
	v_mov_b32_e32 v14, s29
	v_addc_co_u32_e64 v13, s[0:1], 0, v13, s[0:1]
	v_addc_co_u32_e32 v15, vcc, v15, v14, vcc
	v_add_co_u32_e32 v14, vcc, 4, v16
	s_add_u32 s0, s26, -1
	v_addc_co_u32_e32 v15, vcc, 0, v15, vcc
	s_addc_u32 s1, s27, -1
	s_mov_b64 s[2:3], 0
	s_mov_b64 s[36:37], 0
                                        ; implicit-def: $sgpr18_sgpr19
	s_branch .LBB1541_118
.LBB1541_116:                           ;   in Loop: Header=BB1541_118 Depth=1
	global_load_dword v16, v[14:15], off
	global_load_dword v17, v[12:13], off
	v_add_co_u32_e32 v12, vcc, 4, v12
	v_addc_co_u32_e32 v13, vcc, 0, v13, vcc
	v_add_co_u32_e32 v14, vcc, 4, v14
	v_addc_co_u32_e32 v15, vcc, 0, v15, vcc
	s_add_u32 s36, s36, 1
	s_addc_u32 s37, s37, 0
	s_andn2_b64 s[18:19], s[18:19], exec
	s_waitcnt vmcnt(0)
	v_cmp_ne_u32_e32 vcc, v16, v17
	s_and_b64 s[38:39], vcc, exec
	s_or_b64 s[18:19], s[18:19], s[38:39]
.LBB1541_117:                           ;   in Loop: Header=BB1541_118 Depth=1
	s_and_b64 s[38:39], exec, s[18:19]
	s_or_b64 s[2:3], s[38:39], s[2:3]
	v_pk_mov_b32 v[16:17], s[36:37], s[36:37] op_sel:[0,1]
	s_andn2_b64 exec, exec, s[2:3]
	s_cbranch_execz .LBB1541_120
.LBB1541_118:                           ; =>This Inner Loop Header: Depth=1
	s_or_b64 s[18:19], s[18:19], exec
	s_cmp_eq_u64 s[0:1], s[36:37]
	s_cbranch_scc0 .LBB1541_116
; %bb.119:                              ;   in Loop: Header=BB1541_118 Depth=1
                                        ; implicit-def: $vgpr12_vgpr13
                                        ; implicit-def: $vgpr14_vgpr15
	s_mov_b64 s[36:37], s[26:27]
	s_branch .LBB1541_117
.LBB1541_120:
	s_or_b64 exec, exec, s[2:3]
	v_cmp_gt_i64_e32 vcc, s[26:27], v[16:17]
	s_orn2_b64 s[18:19], vcc, exec
.LBB1541_121:
	s_or_b64 exec, exec, s[12:13]
.LBB1541_122:
	s_and_b64 s[18:19], s[18:19], exec
.LBB1541_123:
	s_or_b64 exec, exec, s[8:9]
	s_waitcnt lgkmcnt(0)
	v_cndmask_b32_e64 v13, 0, 1, s[14:15]
	v_or_b32_e32 v16, v21, v26
.LBB1541_124:
	s_waitcnt lgkmcnt(0)
	s_mov_b64 s[12:13], -1
	s_cbranch_execnz .LBB1541_233
.LBB1541_125:
	v_lshlrev_b32_e32 v12, 5, v0
	v_sub_u32_e32 v26, v20, v12
	s_mov_b64 s[18:19], 0
	v_cmp_gt_i64_e64 s[14:15], s[26:27], 0
	s_and_b64 vcc, exec, s[34:35]
	ds_write_b64 v26, v[10:11]
	s_cbranch_vccz .LBB1541_133
; %bb.126:
	v_mul_lo_u32 v14, v5, s26
	v_mul_lo_u32 v15, v4, s27
	v_mad_u64_u32 v[12:13], s[0:1], v4, s26, 0
	v_add3_u32 v13, v13, v15, v14
	v_cndmask_b32_e64 v14, 0, 1, s[14:15]
	v_cmp_ne_u32_e64 s[0:1], 1, v14
	s_andn2_b64 vcc, exec, s[14:15]
	v_lshlrev_b64 v[12:13], 2, v[12:13]
	s_cbranch_vccnz .LBB1541_136
; %bb.127:
	v_mul_lo_u32 v16, v11, s26
	v_mul_lo_u32 v17, v10, s27
	v_mad_u64_u32 v[14:15], s[2:3], v10, s26, 0
	v_add3_u32 v15, v15, v17, v16
	v_mov_b32_e32 v17, s29
	v_add_co_u32_e32 v16, vcc, s28, v12
	v_addc_co_u32_e64 v17, s[2:3], v17, v13, vcc
	v_lshlrev_b64 v[14:15], 2, v[14:15]
	v_mov_b32_e32 v19, s29
	v_add_co_u32_e64 v18, s[2:3], s28, v14
	v_addc_co_u32_e64 v19, s[8:9], v19, v15, s[2:3]
	global_load_dword v14, v[16:17], off
	global_load_dword v20, v[18:19], off
	s_mov_b64 s[18:19], -1
	s_waitcnt vmcnt(0)
	v_cmp_eq_u32_e64 s[8:9], v14, v20
	s_and_saveexec_b64 s[36:37], s[8:9]
	s_cbranch_execz .LBB1541_135
; %bb.128:
	v_mov_b32_e32 v14, s29
	v_addc_co_u32_e64 v15, s[2:3], v15, v14, s[2:3]
	v_add_co_u32_e64 v14, s[2:3], 4, v18
	v_mov_b32_e32 v17, s29
	v_addc_co_u32_e64 v15, s[2:3], 0, v15, s[2:3]
	v_addc_co_u32_e32 v17, vcc, v13, v17, vcc
	v_add_co_u32_e32 v16, vcc, 4, v16
	s_add_u32 s2, s26, -1
	v_addc_co_u32_e32 v17, vcc, 0, v17, vcc
	s_addc_u32 s3, s27, -1
	s_mov_b64 s[8:9], 0
	s_mov_b64 s[38:39], 0
                                        ; implicit-def: $sgpr18_sgpr19
	s_branch .LBB1541_131
.LBB1541_129:                           ;   in Loop: Header=BB1541_131 Depth=1
	global_load_dword v18, v[16:17], off
	global_load_dword v19, v[14:15], off
	v_add_co_u32_e32 v14, vcc, 4, v14
	v_addc_co_u32_e32 v15, vcc, 0, v15, vcc
	v_add_co_u32_e32 v16, vcc, 4, v16
	v_addc_co_u32_e32 v17, vcc, 0, v17, vcc
	s_add_u32 s38, s38, 1
	s_addc_u32 s39, s39, 0
	s_andn2_b64 s[18:19], s[18:19], exec
	s_waitcnt vmcnt(0)
	v_cmp_ne_u32_e32 vcc, v18, v19
	s_and_b64 s[40:41], vcc, exec
	s_or_b64 s[18:19], s[18:19], s[40:41]
.LBB1541_130:                           ;   in Loop: Header=BB1541_131 Depth=1
	s_and_b64 s[40:41], exec, s[18:19]
	s_or_b64 s[8:9], s[40:41], s[8:9]
	v_pk_mov_b32 v[18:19], s[38:39], s[38:39] op_sel:[0,1]
	s_andn2_b64 exec, exec, s[8:9]
	s_cbranch_execz .LBB1541_134
.LBB1541_131:                           ; =>This Inner Loop Header: Depth=1
	s_or_b64 s[18:19], s[18:19], exec
	s_cmp_eq_u64 s[2:3], s[38:39]
	s_cbranch_scc0 .LBB1541_129
; %bb.132:                              ;   in Loop: Header=BB1541_131 Depth=1
                                        ; implicit-def: $vgpr14_vgpr15
                                        ; implicit-def: $vgpr16_vgpr17
	s_mov_b64 s[38:39], s[26:27]
	s_branch .LBB1541_130
.LBB1541_133:
                                        ; implicit-def: $sgpr18_sgpr19
                                        ; implicit-def: $vgpr13
                                        ; implicit-def: $vgpr16
	s_cbranch_execnz .LBB1541_175
	s_branch .LBB1541_233
.LBB1541_134:
	s_or_b64 exec, exec, s[8:9]
	v_cmp_gt_i64_e32 vcc, s[26:27], v[18:19]
	s_orn2_b64 s[18:19], vcc, exec
.LBB1541_135:
	s_or_b64 exec, exec, s[36:37]
.LBB1541_136:
	v_mul_lo_u32 v16, v3, s26
	v_mul_lo_u32 v17, v2, s27
	v_mad_u64_u32 v[14:15], s[2:3], v2, s26, 0
	v_add3_u32 v15, v15, v17, v16
	s_mov_b64 s[36:37], 0
	s_and_b64 vcc, exec, s[0:1]
	v_lshlrev_b64 v[14:15], 2, v[14:15]
	s_mov_b64 s[38:39], 0
	s_cbranch_vccnz .LBB1541_145
; %bb.137:
	v_mov_b32_e32 v17, s29
	v_add_co_u32_e32 v16, vcc, s28, v14
	v_addc_co_u32_e64 v17, s[2:3], v17, v15, vcc
	v_mov_b32_e32 v19, s29
	v_add_co_u32_e64 v18, s[2:3], s28, v12
	v_addc_co_u32_e64 v19, s[8:9], v19, v13, s[2:3]
	global_load_dword v12, v[16:17], off
	global_load_dword v20, v[18:19], off
	s_mov_b64 s[38:39], -1
	s_waitcnt vmcnt(0)
	v_cmp_eq_u32_e64 s[8:9], v12, v20
	s_and_saveexec_b64 s[40:41], s[8:9]
	s_cbranch_execz .LBB1541_144
; %bb.138:
	v_mov_b32_e32 v12, s29
	v_addc_co_u32_e64 v13, s[2:3], v13, v12, s[2:3]
	v_add_co_u32_e64 v12, s[2:3], 4, v18
	v_mov_b32_e32 v17, s29
	v_addc_co_u32_e64 v13, s[2:3], 0, v13, s[2:3]
	v_addc_co_u32_e32 v17, vcc, v15, v17, vcc
	v_add_co_u32_e32 v16, vcc, 4, v16
	s_add_u32 s2, s26, -1
	v_addc_co_u32_e32 v17, vcc, 0, v17, vcc
	s_addc_u32 s3, s27, -1
	s_mov_b64 s[8:9], 0
	s_mov_b64 s[42:43], 0
                                        ; implicit-def: $sgpr38_sgpr39
	s_branch .LBB1541_141
.LBB1541_139:                           ;   in Loop: Header=BB1541_141 Depth=1
	global_load_dword v18, v[16:17], off
	global_load_dword v19, v[12:13], off
	v_add_co_u32_e32 v12, vcc, 4, v12
	v_addc_co_u32_e32 v13, vcc, 0, v13, vcc
	v_add_co_u32_e32 v16, vcc, 4, v16
	v_addc_co_u32_e32 v17, vcc, 0, v17, vcc
	s_add_u32 s42, s42, 1
	s_addc_u32 s43, s43, 0
	s_andn2_b64 s[38:39], s[38:39], exec
	s_waitcnt vmcnt(0)
	v_cmp_ne_u32_e32 vcc, v18, v19
	s_and_b64 s[44:45], vcc, exec
	s_or_b64 s[38:39], s[38:39], s[44:45]
.LBB1541_140:                           ;   in Loop: Header=BB1541_141 Depth=1
	s_and_b64 s[44:45], exec, s[38:39]
	s_or_b64 s[8:9], s[44:45], s[8:9]
	v_pk_mov_b32 v[18:19], s[42:43], s[42:43] op_sel:[0,1]
	s_andn2_b64 exec, exec, s[8:9]
	s_cbranch_execz .LBB1541_143
.LBB1541_141:                           ; =>This Inner Loop Header: Depth=1
	s_or_b64 s[38:39], s[38:39], exec
	s_cmp_eq_u64 s[2:3], s[42:43]
	s_cbranch_scc0 .LBB1541_139
; %bb.142:                              ;   in Loop: Header=BB1541_141 Depth=1
                                        ; implicit-def: $vgpr12_vgpr13
                                        ; implicit-def: $vgpr16_vgpr17
	s_mov_b64 s[42:43], s[26:27]
	s_branch .LBB1541_140
.LBB1541_143:
	s_or_b64 exec, exec, s[8:9]
	v_cmp_gt_i64_e32 vcc, s[26:27], v[18:19]
	s_orn2_b64 s[38:39], vcc, exec
.LBB1541_144:
	s_or_b64 exec, exec, s[40:41]
.LBB1541_145:
	v_mul_lo_u32 v16, v9, s26
	v_mul_lo_u32 v17, v8, s27
	v_mad_u64_u32 v[12:13], s[2:3], v8, s26, 0
	v_add3_u32 v13, v13, v17, v16
	s_and_b64 vcc, exec, s[0:1]
	v_lshlrev_b64 v[12:13], 2, v[12:13]
	s_cbranch_vccnz .LBB1541_154
; %bb.146:
	v_mov_b32_e32 v17, s29
	v_add_co_u32_e32 v16, vcc, s28, v12
	v_addc_co_u32_e64 v17, s[2:3], v17, v13, vcc
	v_mov_b32_e32 v19, s29
	v_add_co_u32_e64 v18, s[2:3], s28, v14
	v_addc_co_u32_e64 v19, s[8:9], v19, v15, s[2:3]
	global_load_dword v14, v[16:17], off
	global_load_dword v20, v[18:19], off
	s_mov_b64 s[36:37], -1
	s_waitcnt vmcnt(0)
	v_cmp_eq_u32_e64 s[8:9], v14, v20
	s_and_saveexec_b64 s[40:41], s[8:9]
	s_cbranch_execz .LBB1541_153
; %bb.147:
	v_mov_b32_e32 v14, s29
	v_addc_co_u32_e64 v15, s[2:3], v15, v14, s[2:3]
	v_add_co_u32_e64 v14, s[2:3], 4, v18
	v_mov_b32_e32 v17, s29
	v_addc_co_u32_e64 v15, s[2:3], 0, v15, s[2:3]
	v_addc_co_u32_e32 v17, vcc, v13, v17, vcc
	v_add_co_u32_e32 v16, vcc, 4, v16
	s_add_u32 s2, s26, -1
	v_addc_co_u32_e32 v17, vcc, 0, v17, vcc
	s_addc_u32 s3, s27, -1
	s_mov_b64 s[8:9], 0
	s_mov_b64 s[42:43], 0
                                        ; implicit-def: $sgpr36_sgpr37
	s_branch .LBB1541_150
.LBB1541_148:                           ;   in Loop: Header=BB1541_150 Depth=1
	global_load_dword v18, v[16:17], off
	global_load_dword v19, v[14:15], off
	v_add_co_u32_e32 v14, vcc, 4, v14
	v_addc_co_u32_e32 v15, vcc, 0, v15, vcc
	v_add_co_u32_e32 v16, vcc, 4, v16
	v_addc_co_u32_e32 v17, vcc, 0, v17, vcc
	s_add_u32 s42, s42, 1
	s_addc_u32 s43, s43, 0
	s_andn2_b64 s[36:37], s[36:37], exec
	s_waitcnt vmcnt(0)
	v_cmp_ne_u32_e32 vcc, v18, v19
	s_and_b64 s[44:45], vcc, exec
	s_or_b64 s[36:37], s[36:37], s[44:45]
.LBB1541_149:                           ;   in Loop: Header=BB1541_150 Depth=1
	s_and_b64 s[44:45], exec, s[36:37]
	s_or_b64 s[8:9], s[44:45], s[8:9]
	v_pk_mov_b32 v[18:19], s[42:43], s[42:43] op_sel:[0,1]
	s_andn2_b64 exec, exec, s[8:9]
	s_cbranch_execz .LBB1541_152
.LBB1541_150:                           ; =>This Inner Loop Header: Depth=1
	s_or_b64 s[36:37], s[36:37], exec
	s_cmp_eq_u64 s[2:3], s[42:43]
	s_cbranch_scc0 .LBB1541_148
; %bb.151:                              ;   in Loop: Header=BB1541_150 Depth=1
                                        ; implicit-def: $vgpr14_vgpr15
                                        ; implicit-def: $vgpr16_vgpr17
	s_mov_b64 s[42:43], s[26:27]
	s_branch .LBB1541_149
.LBB1541_152:
	s_or_b64 exec, exec, s[8:9]
	v_cmp_gt_i64_e32 vcc, s[26:27], v[18:19]
	s_orn2_b64 s[36:37], vcc, exec
.LBB1541_153:
	s_or_b64 exec, exec, s[40:41]
.LBB1541_154:
	v_mul_lo_u32 v16, v7, s26
	v_mul_lo_u32 v17, v6, s27
	v_mad_u64_u32 v[14:15], s[2:3], v6, s26, 0
	v_add3_u32 v15, v15, v17, v16
	s_and_b64 vcc, exec, s[0:1]
	s_mov_b64 s[42:43], 0
	s_cbranch_vccnz .LBB1541_163
; %bb.155:
	v_lshlrev_b64 v[16:17], 2, v[14:15]
	v_mov_b32_e32 v19, s29
	v_add_co_u32_e32 v18, vcc, s28, v16
	v_addc_co_u32_e64 v19, s[2:3], v19, v17, vcc
	v_mov_b32_e32 v16, s29
	v_add_co_u32_e64 v20, s[2:3], s28, v12
	v_addc_co_u32_e64 v21, s[8:9], v16, v13, s[2:3]
	global_load_dword v12, v[18:19], off
	global_load_dword v16, v[20:21], off
	s_mov_b64 s[42:43], -1
	s_waitcnt vmcnt(0)
	v_cmp_eq_u32_e64 s[8:9], v12, v16
	s_and_saveexec_b64 s[40:41], s[8:9]
	s_cbranch_execz .LBB1541_162
; %bb.156:
	v_mov_b32_e32 v12, s29
	v_addc_co_u32_e64 v13, s[2:3], v13, v12, s[2:3]
	v_add_co_u32_e64 v12, s[2:3], 4, v20
	v_mov_b32_e32 v16, s29
	v_addc_co_u32_e64 v13, s[2:3], 0, v13, s[2:3]
	v_addc_co_u32_e32 v17, vcc, v17, v16, vcc
	v_add_co_u32_e32 v16, vcc, 4, v18
	s_add_u32 s2, s26, -1
	v_addc_co_u32_e32 v17, vcc, 0, v17, vcc
	s_addc_u32 s3, s27, -1
	s_mov_b64 s[8:9], 0
	s_mov_b64 s[44:45], 0
                                        ; implicit-def: $sgpr42_sgpr43
	s_branch .LBB1541_159
.LBB1541_157:                           ;   in Loop: Header=BB1541_159 Depth=1
	global_load_dword v18, v[16:17], off
	global_load_dword v19, v[12:13], off
	v_add_co_u32_e32 v12, vcc, 4, v12
	v_addc_co_u32_e32 v13, vcc, 0, v13, vcc
	v_add_co_u32_e32 v16, vcc, 4, v16
	v_addc_co_u32_e32 v17, vcc, 0, v17, vcc
	s_add_u32 s44, s44, 1
	s_addc_u32 s45, s45, 0
	s_andn2_b64 s[42:43], s[42:43], exec
	s_waitcnt vmcnt(0)
	v_cmp_ne_u32_e32 vcc, v18, v19
	s_and_b64 s[46:47], vcc, exec
	s_or_b64 s[42:43], s[42:43], s[46:47]
.LBB1541_158:                           ;   in Loop: Header=BB1541_159 Depth=1
	s_and_b64 s[46:47], exec, s[42:43]
	s_or_b64 s[8:9], s[46:47], s[8:9]
	v_pk_mov_b32 v[18:19], s[44:45], s[44:45] op_sel:[0,1]
	s_andn2_b64 exec, exec, s[8:9]
	s_cbranch_execz .LBB1541_161
.LBB1541_159:                           ; =>This Inner Loop Header: Depth=1
	s_or_b64 s[42:43], s[42:43], exec
	s_cmp_eq_u64 s[2:3], s[44:45]
	s_cbranch_scc0 .LBB1541_157
; %bb.160:                              ;   in Loop: Header=BB1541_159 Depth=1
                                        ; implicit-def: $vgpr12_vgpr13
                                        ; implicit-def: $vgpr16_vgpr17
	s_mov_b64 s[44:45], s[26:27]
	s_branch .LBB1541_158
.LBB1541_161:
	s_or_b64 exec, exec, s[8:9]
	v_cmp_gt_i64_e32 vcc, s[26:27], v[18:19]
	s_orn2_b64 s[42:43], vcc, exec
.LBB1541_162:
	s_or_b64 exec, exec, s[40:41]
.LBB1541_163:
	v_cndmask_b32_e64 v13, 0, 1, s[38:39]
	v_cndmask_b32_e64 v16, 0, 1, s[42:43]
	;; [unrolled: 1-line block ×3, first 2 shown]
	v_lshlrev_b16_e32 v16, 8, v16
	v_lshlrev_b16_e32 v13, 8, v13
	v_or_b32_e32 v16, 1, v16
	v_or_b32_sdwa v12, v12, v13 dst_sel:WORD_1 dst_unused:UNUSED_PAD src0_sel:DWORD src1_sel:DWORD
	v_or_b32_sdwa v12, v16, v12 dst_sel:DWORD dst_unused:UNUSED_PAD src0_sel:WORD_0 src1_sel:DWORD
	v_cndmask_b32_e64 v13, 0, 1, s[18:19]
	v_cmp_ne_u32_e32 vcc, 0, v0
	s_waitcnt lgkmcnt(0)
	s_barrier
	s_waitcnt lgkmcnt(0)
                                        ; implicit-def: $sgpr18_sgpr19
                                        ; implicit-def: $vgpr16
	s_and_saveexec_b64 s[2:3], vcc
	s_xor_b64 s[8:9], exec, s[2:3]
	s_cbranch_execz .LBB1541_174
; %bb.164:
	s_mov_b32 s33, 0x3020104
	s_and_b64 vcc, exec, s[0:1]
	s_mov_b64 s[36:37], 0
	s_cbranch_vccnz .LBB1541_173
; %bb.165:
	v_add_u32_e32 v16, -8, v26
	ds_read_b64 v[16:17], v16
	v_mov_b32_e32 v19, s29
	v_lshlrev_b64 v[14:15], 2, v[14:15]
	s_mov_b64 s[36:37], -1
	s_waitcnt lgkmcnt(0)
	v_mul_lo_u32 v18, v17, s26
	v_mul_lo_u32 v20, v16, s27
	v_mad_u64_u32 v[16:17], s[0:1], v16, s26, 0
	v_add3_u32 v17, v17, v20, v18
	v_lshlrev_b64 v[16:17], 2, v[16:17]
	v_add_co_u32_e32 v18, vcc, s28, v16
	v_addc_co_u32_e64 v19, s[0:1], v19, v17, vcc
	v_mov_b32_e32 v16, s29
	v_add_co_u32_e64 v20, s[0:1], s28, v14
	v_addc_co_u32_e64 v21, s[2:3], v16, v15, s[0:1]
	global_load_dword v14, v[18:19], off
	global_load_dword v16, v[20:21], off
	s_waitcnt vmcnt(0)
	v_cmp_eq_u32_e64 s[2:3], v14, v16
	s_and_saveexec_b64 s[18:19], s[2:3]
	s_cbranch_execz .LBB1541_172
; %bb.166:
	v_mov_b32_e32 v14, s29
	v_addc_co_u32_e64 v15, s[0:1], v15, v14, s[0:1]
	v_add_co_u32_e64 v14, s[0:1], 4, v20
	v_mov_b32_e32 v16, s29
	v_addc_co_u32_e64 v15, s[0:1], 0, v15, s[0:1]
	v_addc_co_u32_e32 v17, vcc, v17, v16, vcc
	v_add_co_u32_e32 v16, vcc, 4, v18
	s_add_u32 s0, s26, -1
	v_addc_co_u32_e32 v17, vcc, 0, v17, vcc
	s_addc_u32 s1, s27, -1
	s_mov_b64 s[2:3], 0
	s_mov_b64 s[38:39], 0
                                        ; implicit-def: $sgpr36_sgpr37
	s_branch .LBB1541_169
.LBB1541_167:                           ;   in Loop: Header=BB1541_169 Depth=1
	global_load_dword v18, v[16:17], off
	global_load_dword v19, v[14:15], off
	v_add_co_u32_e32 v14, vcc, 4, v14
	v_addc_co_u32_e32 v15, vcc, 0, v15, vcc
	v_add_co_u32_e32 v16, vcc, 4, v16
	v_addc_co_u32_e32 v17, vcc, 0, v17, vcc
	s_add_u32 s38, s38, 1
	s_addc_u32 s39, s39, 0
	s_andn2_b64 s[36:37], s[36:37], exec
	s_waitcnt vmcnt(0)
	v_cmp_ne_u32_e32 vcc, v18, v19
	s_and_b64 s[40:41], vcc, exec
	s_or_b64 s[36:37], s[36:37], s[40:41]
.LBB1541_168:                           ;   in Loop: Header=BB1541_169 Depth=1
	s_and_b64 s[40:41], exec, s[36:37]
	s_or_b64 s[2:3], s[40:41], s[2:3]
	v_pk_mov_b32 v[18:19], s[38:39], s[38:39] op_sel:[0,1]
	s_andn2_b64 exec, exec, s[2:3]
	s_cbranch_execz .LBB1541_171
.LBB1541_169:                           ; =>This Inner Loop Header: Depth=1
	s_or_b64 s[36:37], s[36:37], exec
	s_cmp_eq_u64 s[0:1], s[38:39]
	s_cbranch_scc0 .LBB1541_167
; %bb.170:                              ;   in Loop: Header=BB1541_169 Depth=1
                                        ; implicit-def: $vgpr14_vgpr15
                                        ; implicit-def: $vgpr16_vgpr17
	s_mov_b64 s[38:39], s[26:27]
	s_branch .LBB1541_168
.LBB1541_171:
	s_or_b64 exec, exec, s[2:3]
	v_cmp_gt_i64_e32 vcc, s[26:27], v[18:19]
	s_orn2_b64 s[36:37], vcc, exec
.LBB1541_172:
	s_or_b64 exec, exec, s[18:19]
.LBB1541_173:
	v_perm_b32 v16, v12, v12, s33
	s_and_b64 s[18:19], s[36:37], exec
	s_or_b64 s[12:13], s[12:13], exec
.LBB1541_174:
	s_or_b64 exec, exec, s[8:9]
	s_branch .LBB1541_233
.LBB1541_175:
	v_cmp_gt_u32_e32 vcc, s7, v23
	s_mov_b64 s[18:19], 0
	s_mov_b64 s[8:9], 0
	s_and_saveexec_b64 s[36:37], vcc
	s_cbranch_execz .LBB1541_186
; %bb.176:
	s_andn2_b64 vcc, exec, s[14:15]
	s_mov_b64 s[38:39], 0
	s_cbranch_vccnz .LBB1541_185
; %bb.177:
	v_mul_lo_u32 v14, v5, s26
	v_mul_lo_u32 v15, v4, s27
	v_mad_u64_u32 v[12:13], s[0:1], v4, s26, 0
	v_add3_u32 v13, v13, v15, v14
	v_mul_lo_u32 v14, v11, s26
	v_mul_lo_u32 v15, v10, s27
	v_mad_u64_u32 v[18:19], s[0:1], v10, s26, 0
	v_add3_u32 v19, v19, v15, v14
	v_lshlrev_b64 v[14:15], 2, v[12:13]
	v_mov_b32_e32 v12, s29
	v_add_co_u32_e32 v16, vcc, s28, v14
	v_addc_co_u32_e64 v17, s[0:1], v12, v15, vcc
	v_lshlrev_b64 v[12:13], 2, v[18:19]
	v_mov_b32_e32 v14, s29
	v_add_co_u32_e64 v18, s[0:1], s28, v12
	v_addc_co_u32_e64 v19, s[2:3], v14, v13, s[0:1]
	global_load_dword v12, v[16:17], off
	global_load_dword v14, v[18:19], off
	s_mov_b64 s[38:39], -1
	s_waitcnt vmcnt(0)
	v_cmp_eq_u32_e64 s[2:3], v12, v14
	s_and_saveexec_b64 s[8:9], s[2:3]
	s_cbranch_execz .LBB1541_184
; %bb.178:
	v_mov_b32_e32 v12, s29
	v_addc_co_u32_e64 v13, s[0:1], v13, v12, s[0:1]
	v_add_co_u32_e64 v12, s[0:1], 4, v18
	v_mov_b32_e32 v14, s29
	v_addc_co_u32_e64 v13, s[0:1], 0, v13, s[0:1]
	v_addc_co_u32_e32 v15, vcc, v15, v14, vcc
	v_add_co_u32_e32 v14, vcc, 4, v16
	s_add_u32 s0, s26, -1
	v_addc_co_u32_e32 v15, vcc, 0, v15, vcc
	s_addc_u32 s1, s27, -1
	s_mov_b64 s[2:3], 0
	s_mov_b64 s[40:41], 0
                                        ; implicit-def: $sgpr38_sgpr39
	s_branch .LBB1541_181
.LBB1541_179:                           ;   in Loop: Header=BB1541_181 Depth=1
	global_load_dword v16, v[14:15], off
	global_load_dword v17, v[12:13], off
	v_add_co_u32_e32 v12, vcc, 4, v12
	v_addc_co_u32_e32 v13, vcc, 0, v13, vcc
	v_add_co_u32_e32 v14, vcc, 4, v14
	v_addc_co_u32_e32 v15, vcc, 0, v15, vcc
	s_add_u32 s40, s40, 1
	s_addc_u32 s41, s41, 0
	s_andn2_b64 s[38:39], s[38:39], exec
	s_waitcnt vmcnt(0)
	v_cmp_ne_u32_e32 vcc, v16, v17
	s_and_b64 s[42:43], vcc, exec
	s_or_b64 s[38:39], s[38:39], s[42:43]
.LBB1541_180:                           ;   in Loop: Header=BB1541_181 Depth=1
	s_and_b64 s[42:43], exec, s[38:39]
	s_or_b64 s[2:3], s[42:43], s[2:3]
	v_pk_mov_b32 v[16:17], s[40:41], s[40:41] op_sel:[0,1]
	s_andn2_b64 exec, exec, s[2:3]
	s_cbranch_execz .LBB1541_183
.LBB1541_181:                           ; =>This Inner Loop Header: Depth=1
	s_or_b64 s[38:39], s[38:39], exec
	s_cmp_eq_u64 s[0:1], s[40:41]
	s_cbranch_scc0 .LBB1541_179
; %bb.182:                              ;   in Loop: Header=BB1541_181 Depth=1
                                        ; implicit-def: $vgpr12_vgpr13
                                        ; implicit-def: $vgpr14_vgpr15
	s_mov_b64 s[40:41], s[26:27]
	s_branch .LBB1541_180
.LBB1541_183:
	s_or_b64 exec, exec, s[2:3]
	v_cmp_gt_i64_e32 vcc, s[26:27], v[16:17]
	s_orn2_b64 s[38:39], vcc, exec
.LBB1541_184:
	s_or_b64 exec, exec, s[8:9]
.LBB1541_185:
	s_and_b64 s[8:9], s[38:39], exec
.LBB1541_186:
	s_or_b64 exec, exec, s[36:37]
	v_cmp_gt_u32_e32 vcc, s7, v25
	s_and_saveexec_b64 s[36:37], vcc
	s_cbranch_execz .LBB1541_197
; %bb.187:
	s_andn2_b64 vcc, exec, s[14:15]
	s_mov_b64 s[38:39], 0
	s_cbranch_vccnz .LBB1541_196
; %bb.188:
	v_mul_lo_u32 v14, v3, s26
	v_mul_lo_u32 v15, v2, s27
	v_mad_u64_u32 v[12:13], s[0:1], v2, s26, 0
	v_add3_u32 v13, v13, v15, v14
	v_mul_lo_u32 v14, v5, s26
	v_mul_lo_u32 v15, v4, s27
	v_mad_u64_u32 v[18:19], s[0:1], v4, s26, 0
	v_add3_u32 v19, v19, v15, v14
	v_lshlrev_b64 v[14:15], 2, v[12:13]
	v_mov_b32_e32 v12, s29
	v_add_co_u32_e32 v16, vcc, s28, v14
	v_addc_co_u32_e64 v17, s[0:1], v12, v15, vcc
	v_lshlrev_b64 v[12:13], 2, v[18:19]
	v_mov_b32_e32 v14, s29
	v_add_co_u32_e64 v18, s[0:1], s28, v12
	v_addc_co_u32_e64 v19, s[2:3], v14, v13, s[0:1]
	global_load_dword v12, v[16:17], off
	global_load_dword v14, v[18:19], off
	s_mov_b64 s[38:39], -1
	s_waitcnt vmcnt(0)
	v_cmp_eq_u32_e64 s[2:3], v12, v14
	s_and_saveexec_b64 s[18:19], s[2:3]
	s_cbranch_execz .LBB1541_195
; %bb.189:
	v_mov_b32_e32 v12, s29
	v_addc_co_u32_e64 v13, s[0:1], v13, v12, s[0:1]
	v_add_co_u32_e64 v12, s[0:1], 4, v18
	v_mov_b32_e32 v14, s29
	v_addc_co_u32_e64 v13, s[0:1], 0, v13, s[0:1]
	v_addc_co_u32_e32 v15, vcc, v15, v14, vcc
	v_add_co_u32_e32 v14, vcc, 4, v16
	s_add_u32 s0, s26, -1
	v_addc_co_u32_e32 v15, vcc, 0, v15, vcc
	s_addc_u32 s1, s27, -1
	s_mov_b64 s[2:3], 0
	s_mov_b64 s[40:41], 0
                                        ; implicit-def: $sgpr38_sgpr39
	s_branch .LBB1541_192
.LBB1541_190:                           ;   in Loop: Header=BB1541_192 Depth=1
	global_load_dword v16, v[14:15], off
	global_load_dword v17, v[12:13], off
	v_add_co_u32_e32 v12, vcc, 4, v12
	v_addc_co_u32_e32 v13, vcc, 0, v13, vcc
	v_add_co_u32_e32 v14, vcc, 4, v14
	v_addc_co_u32_e32 v15, vcc, 0, v15, vcc
	s_add_u32 s40, s40, 1
	s_addc_u32 s41, s41, 0
	s_andn2_b64 s[38:39], s[38:39], exec
	s_waitcnt vmcnt(0)
	v_cmp_ne_u32_e32 vcc, v16, v17
	s_and_b64 s[42:43], vcc, exec
	s_or_b64 s[38:39], s[38:39], s[42:43]
.LBB1541_191:                           ;   in Loop: Header=BB1541_192 Depth=1
	s_and_b64 s[42:43], exec, s[38:39]
	s_or_b64 s[2:3], s[42:43], s[2:3]
	v_pk_mov_b32 v[16:17], s[40:41], s[40:41] op_sel:[0,1]
	s_andn2_b64 exec, exec, s[2:3]
	s_cbranch_execz .LBB1541_194
.LBB1541_192:                           ; =>This Inner Loop Header: Depth=1
	s_or_b64 s[38:39], s[38:39], exec
	s_cmp_eq_u64 s[0:1], s[40:41]
	s_cbranch_scc0 .LBB1541_190
; %bb.193:                              ;   in Loop: Header=BB1541_192 Depth=1
                                        ; implicit-def: $vgpr12_vgpr13
                                        ; implicit-def: $vgpr14_vgpr15
	s_mov_b64 s[40:41], s[26:27]
	s_branch .LBB1541_191
.LBB1541_194:
	s_or_b64 exec, exec, s[2:3]
	v_cmp_gt_i64_e32 vcc, s[26:27], v[16:17]
	s_orn2_b64 s[38:39], vcc, exec
.LBB1541_195:
	s_or_b64 exec, exec, s[18:19]
.LBB1541_196:
	s_and_b64 s[18:19], s[38:39], exec
.LBB1541_197:
	s_or_b64 exec, exec, s[36:37]
	v_cmp_gt_u32_e32 vcc, s7, v22
	s_mov_b64 s[36:37], 0
	s_mov_b64 s[38:39], 0
	s_and_saveexec_b64 s[40:41], vcc
	s_cbranch_execz .LBB1541_208
; %bb.198:
	s_andn2_b64 vcc, exec, s[14:15]
	s_mov_b64 s[42:43], 0
	s_cbranch_vccnz .LBB1541_207
; %bb.199:
	v_mul_lo_u32 v14, v9, s26
	v_mul_lo_u32 v15, v8, s27
	v_mad_u64_u32 v[12:13], s[0:1], v8, s26, 0
	v_add3_u32 v13, v13, v15, v14
	v_mul_lo_u32 v14, v3, s26
	v_mul_lo_u32 v15, v2, s27
	v_mad_u64_u32 v[18:19], s[0:1], v2, s26, 0
	v_add3_u32 v19, v19, v15, v14
	v_lshlrev_b64 v[14:15], 2, v[12:13]
	v_mov_b32_e32 v12, s29
	v_add_co_u32_e32 v16, vcc, s28, v14
	v_addc_co_u32_e64 v17, s[0:1], v12, v15, vcc
	v_lshlrev_b64 v[12:13], 2, v[18:19]
	v_mov_b32_e32 v14, s29
	v_add_co_u32_e64 v18, s[0:1], s28, v12
	v_addc_co_u32_e64 v19, s[2:3], v14, v13, s[0:1]
	global_load_dword v12, v[16:17], off
	global_load_dword v14, v[18:19], off
	s_mov_b64 s[42:43], -1
	s_waitcnt vmcnt(0)
	v_cmp_eq_u32_e64 s[2:3], v12, v14
	s_and_saveexec_b64 s[38:39], s[2:3]
	s_cbranch_execz .LBB1541_206
; %bb.200:
	v_mov_b32_e32 v12, s29
	v_addc_co_u32_e64 v13, s[0:1], v13, v12, s[0:1]
	v_add_co_u32_e64 v12, s[0:1], 4, v18
	v_mov_b32_e32 v14, s29
	v_addc_co_u32_e64 v13, s[0:1], 0, v13, s[0:1]
	v_addc_co_u32_e32 v15, vcc, v15, v14, vcc
	v_add_co_u32_e32 v14, vcc, 4, v16
	s_add_u32 s0, s26, -1
	v_addc_co_u32_e32 v15, vcc, 0, v15, vcc
	s_addc_u32 s1, s27, -1
	s_mov_b64 s[2:3], 0
	s_mov_b64 s[44:45], 0
                                        ; implicit-def: $sgpr42_sgpr43
	s_branch .LBB1541_203
.LBB1541_201:                           ;   in Loop: Header=BB1541_203 Depth=1
	global_load_dword v16, v[14:15], off
	global_load_dword v17, v[12:13], off
	v_add_co_u32_e32 v12, vcc, 4, v12
	v_addc_co_u32_e32 v13, vcc, 0, v13, vcc
	v_add_co_u32_e32 v14, vcc, 4, v14
	v_addc_co_u32_e32 v15, vcc, 0, v15, vcc
	s_add_u32 s44, s44, 1
	s_addc_u32 s45, s45, 0
	s_andn2_b64 s[42:43], s[42:43], exec
	s_waitcnt vmcnt(0)
	v_cmp_ne_u32_e32 vcc, v16, v17
	s_and_b64 s[46:47], vcc, exec
	s_or_b64 s[42:43], s[42:43], s[46:47]
.LBB1541_202:                           ;   in Loop: Header=BB1541_203 Depth=1
	s_and_b64 s[46:47], exec, s[42:43]
	s_or_b64 s[2:3], s[46:47], s[2:3]
	v_pk_mov_b32 v[16:17], s[44:45], s[44:45] op_sel:[0,1]
	s_andn2_b64 exec, exec, s[2:3]
	s_cbranch_execz .LBB1541_205
.LBB1541_203:                           ; =>This Inner Loop Header: Depth=1
	s_or_b64 s[42:43], s[42:43], exec
	s_cmp_eq_u64 s[0:1], s[44:45]
	s_cbranch_scc0 .LBB1541_201
; %bb.204:                              ;   in Loop: Header=BB1541_203 Depth=1
                                        ; implicit-def: $vgpr12_vgpr13
                                        ; implicit-def: $vgpr14_vgpr15
	s_mov_b64 s[44:45], s[26:27]
	s_branch .LBB1541_202
.LBB1541_205:
	s_or_b64 exec, exec, s[2:3]
	v_cmp_gt_i64_e32 vcc, s[26:27], v[16:17]
	s_orn2_b64 s[42:43], vcc, exec
.LBB1541_206:
	s_or_b64 exec, exec, s[38:39]
.LBB1541_207:
	s_and_b64 s[38:39], s[42:43], exec
.LBB1541_208:
	s_or_b64 exec, exec, s[40:41]
	v_cmp_gt_u32_e32 vcc, s7, v24
	s_and_saveexec_b64 s[40:41], vcc
	s_cbranch_execz .LBB1541_219
; %bb.209:
	s_andn2_b64 vcc, exec, s[14:15]
	s_mov_b64 s[42:43], 0
	s_cbranch_vccnz .LBB1541_218
; %bb.210:
	v_mul_lo_u32 v14, v7, s26
	v_mul_lo_u32 v15, v6, s27
	v_mad_u64_u32 v[12:13], s[0:1], v6, s26, 0
	v_add3_u32 v13, v13, v15, v14
	v_mul_lo_u32 v14, v9, s26
	v_mul_lo_u32 v15, v8, s27
	v_mad_u64_u32 v[18:19], s[0:1], v8, s26, 0
	v_add3_u32 v19, v19, v15, v14
	v_lshlrev_b64 v[14:15], 2, v[12:13]
	v_mov_b32_e32 v12, s29
	v_add_co_u32_e32 v16, vcc, s28, v14
	v_addc_co_u32_e64 v17, s[0:1], v12, v15, vcc
	v_lshlrev_b64 v[12:13], 2, v[18:19]
	v_mov_b32_e32 v14, s29
	v_add_co_u32_e64 v18, s[0:1], s28, v12
	v_addc_co_u32_e64 v19, s[2:3], v14, v13, s[0:1]
	global_load_dword v12, v[16:17], off
	global_load_dword v14, v[18:19], off
	s_mov_b64 s[42:43], -1
	s_waitcnt vmcnt(0)
	v_cmp_eq_u32_e64 s[2:3], v12, v14
	s_and_saveexec_b64 s[36:37], s[2:3]
	s_cbranch_execz .LBB1541_217
; %bb.211:
	v_mov_b32_e32 v12, s29
	v_addc_co_u32_e64 v13, s[0:1], v13, v12, s[0:1]
	v_add_co_u32_e64 v12, s[0:1], 4, v18
	v_mov_b32_e32 v14, s29
	v_addc_co_u32_e64 v13, s[0:1], 0, v13, s[0:1]
	v_addc_co_u32_e32 v15, vcc, v15, v14, vcc
	v_add_co_u32_e32 v14, vcc, 4, v16
	s_add_u32 s0, s26, -1
	v_addc_co_u32_e32 v15, vcc, 0, v15, vcc
	s_addc_u32 s1, s27, -1
	s_mov_b64 s[2:3], 0
	s_mov_b64 s[44:45], 0
                                        ; implicit-def: $sgpr42_sgpr43
	s_branch .LBB1541_214
.LBB1541_212:                           ;   in Loop: Header=BB1541_214 Depth=1
	global_load_dword v16, v[14:15], off
	global_load_dword v17, v[12:13], off
	v_add_co_u32_e32 v12, vcc, 4, v12
	v_addc_co_u32_e32 v13, vcc, 0, v13, vcc
	v_add_co_u32_e32 v14, vcc, 4, v14
	v_addc_co_u32_e32 v15, vcc, 0, v15, vcc
	s_add_u32 s44, s44, 1
	s_addc_u32 s45, s45, 0
	s_andn2_b64 s[42:43], s[42:43], exec
	s_waitcnt vmcnt(0)
	v_cmp_ne_u32_e32 vcc, v16, v17
	s_and_b64 s[46:47], vcc, exec
	s_or_b64 s[42:43], s[42:43], s[46:47]
.LBB1541_213:                           ;   in Loop: Header=BB1541_214 Depth=1
	s_and_b64 s[46:47], exec, s[42:43]
	s_or_b64 s[2:3], s[46:47], s[2:3]
	v_pk_mov_b32 v[16:17], s[44:45], s[44:45] op_sel:[0,1]
	s_andn2_b64 exec, exec, s[2:3]
	s_cbranch_execz .LBB1541_216
.LBB1541_214:                           ; =>This Inner Loop Header: Depth=1
	s_or_b64 s[42:43], s[42:43], exec
	s_cmp_eq_u64 s[0:1], s[44:45]
	s_cbranch_scc0 .LBB1541_212
; %bb.215:                              ;   in Loop: Header=BB1541_214 Depth=1
                                        ; implicit-def: $vgpr12_vgpr13
                                        ; implicit-def: $vgpr14_vgpr15
	s_mov_b64 s[44:45], s[26:27]
	s_branch .LBB1541_213
.LBB1541_216:
	s_or_b64 exec, exec, s[2:3]
	v_cmp_gt_i64_e32 vcc, s[26:27], v[16:17]
	s_orn2_b64 s[42:43], vcc, exec
.LBB1541_217:
	s_or_b64 exec, exec, s[36:37]
.LBB1541_218:
	s_and_b64 s[36:37], s[42:43], exec
.LBB1541_219:
	s_or_b64 exec, exec, s[40:41]
	v_cndmask_b32_e64 v13, 0, 1, s[18:19]
	v_cndmask_b32_e64 v14, 0, 1, s[36:37]
	;; [unrolled: 1-line block ×3, first 2 shown]
	v_lshlrev_b16_e32 v14, 8, v14
	v_lshlrev_b16_e32 v13, 8, v13
	v_or_b32_e32 v14, 1, v14
	v_or_b32_sdwa v12, v12, v13 dst_sel:WORD_1 dst_unused:UNUSED_PAD src0_sel:DWORD src1_sel:DWORD
	v_or_b32_sdwa v12, v14, v12 dst_sel:DWORD dst_unused:UNUSED_PAD src0_sel:WORD_0 src1_sel:DWORD
	v_cndmask_b32_e64 v13, 0, 1, s[8:9]
	v_cmp_ne_u32_e32 vcc, 0, v0
	s_waitcnt lgkmcnt(0)
	s_barrier
	s_waitcnt lgkmcnt(0)
                                        ; implicit-def: $sgpr18_sgpr19
                                        ; implicit-def: $vgpr16
	s_and_saveexec_b64 s[8:9], vcc
	s_cbranch_execz .LBB1541_232
; %bb.220:
	v_cmp_gt_u32_e32 vcc, s7, v1
	s_mov_b32 s33, 0x3020104
	s_mov_b64 s[0:1], 0
	s_and_saveexec_b64 s[18:19], vcc
	s_cbranch_execz .LBB1541_231
; %bb.221:
	s_andn2_b64 vcc, exec, s[14:15]
	s_mov_b64 s[36:37], 0
	s_cbranch_vccnz .LBB1541_230
; %bb.222:
	v_add_u32_e32 v14, -8, v26
	ds_read_b64 v[14:15], v14
	v_mul_lo_u32 v16, v7, s26
	v_mad_u64_u32 v[20:21], s[0:1], v6, s26, 0
	s_mov_b64 s[36:37], -1
	s_waitcnt lgkmcnt(0)
	v_mul_lo_u32 v17, v15, s26
	v_mul_lo_u32 v18, v14, s27
	v_mad_u64_u32 v[14:15], s[0:1], v14, s26, 0
	v_add3_u32 v15, v15, v18, v17
	v_mul_lo_u32 v17, v6, s27
	v_add3_u32 v21, v21, v17, v16
	v_lshlrev_b64 v[16:17], 2, v[14:15]
	v_mov_b32_e32 v14, s29
	v_add_co_u32_e32 v18, vcc, s28, v16
	v_addc_co_u32_e64 v19, s[0:1], v14, v17, vcc
	v_lshlrev_b64 v[14:15], 2, v[20:21]
	v_mov_b32_e32 v16, s29
	v_add_co_u32_e64 v20, s[0:1], s28, v14
	v_addc_co_u32_e64 v21, s[2:3], v16, v15, s[0:1]
	global_load_dword v14, v[18:19], off
	global_load_dword v16, v[20:21], off
	s_waitcnt vmcnt(0)
	v_cmp_eq_u32_e64 s[2:3], v14, v16
	s_and_saveexec_b64 s[14:15], s[2:3]
	s_cbranch_execz .LBB1541_229
; %bb.223:
	v_mov_b32_e32 v14, s29
	v_addc_co_u32_e64 v15, s[0:1], v15, v14, s[0:1]
	v_add_co_u32_e64 v14, s[0:1], 4, v20
	v_mov_b32_e32 v16, s29
	v_addc_co_u32_e64 v15, s[0:1], 0, v15, s[0:1]
	v_addc_co_u32_e32 v17, vcc, v17, v16, vcc
	v_add_co_u32_e32 v16, vcc, 4, v18
	s_add_u32 s0, s26, -1
	v_addc_co_u32_e32 v17, vcc, 0, v17, vcc
	s_addc_u32 s1, s27, -1
	s_mov_b64 s[2:3], 0
	s_mov_b64 s[36:37], 0
                                        ; implicit-def: $sgpr28_sgpr29
	s_branch .LBB1541_226
.LBB1541_224:                           ;   in Loop: Header=BB1541_226 Depth=1
	global_load_dword v18, v[16:17], off
	global_load_dword v19, v[14:15], off
	v_add_co_u32_e32 v14, vcc, 4, v14
	v_addc_co_u32_e32 v15, vcc, 0, v15, vcc
	v_add_co_u32_e32 v16, vcc, 4, v16
	v_addc_co_u32_e32 v17, vcc, 0, v17, vcc
	s_add_u32 s36, s36, 1
	s_addc_u32 s37, s37, 0
	s_andn2_b64 s[28:29], s[28:29], exec
	s_waitcnt vmcnt(0)
	v_cmp_ne_u32_e32 vcc, v18, v19
	s_and_b64 s[38:39], vcc, exec
	s_or_b64 s[28:29], s[28:29], s[38:39]
.LBB1541_225:                           ;   in Loop: Header=BB1541_226 Depth=1
	s_and_b64 s[38:39], exec, s[28:29]
	s_or_b64 s[2:3], s[38:39], s[2:3]
	v_pk_mov_b32 v[18:19], s[36:37], s[36:37] op_sel:[0,1]
	s_andn2_b64 exec, exec, s[2:3]
	s_cbranch_execz .LBB1541_228
.LBB1541_226:                           ; =>This Inner Loop Header: Depth=1
	s_or_b64 s[28:29], s[28:29], exec
	s_cmp_eq_u64 s[0:1], s[36:37]
	s_cbranch_scc0 .LBB1541_224
; %bb.227:                              ;   in Loop: Header=BB1541_226 Depth=1
                                        ; implicit-def: $vgpr14_vgpr15
                                        ; implicit-def: $vgpr16_vgpr17
	s_mov_b64 s[36:37], s[26:27]
	s_branch .LBB1541_225
.LBB1541_228:
	s_or_b64 exec, exec, s[2:3]
	v_cmp_gt_i64_e32 vcc, s[26:27], v[18:19]
	s_orn2_b64 s[36:37], vcc, exec
.LBB1541_229:
	s_or_b64 exec, exec, s[14:15]
.LBB1541_230:
	s_and_b64 s[0:1], s[36:37], exec
.LBB1541_231:
	s_or_b64 exec, exec, s[18:19]
	v_perm_b32 v16, v12, v12, s33
	s_and_b64 s[18:19], s[0:1], exec
	s_or_b64 s[12:13], s[12:13], exec
.LBB1541_232:
	s_or_b64 exec, exec, s[8:9]
.LBB1541_233:
	s_and_saveexec_b64 s[0:1], s[12:13]
	s_cbranch_execz .LBB1541_235
; %bb.234:
	v_lshrrev_b32_e32 v14, 24, v16
	s_movk_i32 s2, 0xff
	v_lshlrev_b16_e32 v14, 8, v14
	v_and_b32_sdwa v15, v16, s2 dst_sel:DWORD dst_unused:UNUSED_PAD src0_sel:WORD_1 src1_sel:DWORD
	v_or_b32_sdwa v14, v15, v14 dst_sel:WORD_1 dst_unused:UNUSED_PAD src0_sel:DWORD src1_sel:DWORD
	v_mov_b32_e32 v15, 8
	v_cndmask_b32_e64 v12, 0, 1, s[18:19]
	v_lshrrev_b32_sdwa v15, v15, v16 dst_sel:BYTE_1 dst_unused:UNUSED_PAD src0_sel:DWORD src1_sel:DWORD
	v_or_b32_e32 v12, v12, v15
	s_mov_b32 s2, 0xffff
	v_or_b32_sdwa v12, v12, v14 dst_sel:DWORD dst_unused:UNUSED_PAD src0_sel:WORD_0 src1_sel:DWORD
	v_and_b32_sdwa v13, s2, v13 dst_sel:DWORD dst_unused:UNUSED_PAD src0_sel:DWORD src1_sel:BYTE_0
.LBB1541_235:
	s_or_b64 exec, exec, s[0:1]
	s_andn2_b64 vcc, exec, s[10:11]
	s_cbranch_vccnz .LBB1541_237
; %bb.236:
	v_cmp_gt_u32_e32 vcc, s7, v1
	v_cndmask_b32_e32 v1, 0, v12, vcc
	v_and_b32_e32 v1, 0xffff00ff, v1
	v_cmp_gt_u32_e64 s[0:1], s7, v24
	v_cndmask_b32_e64 v1, v1, v12, s[0:1]
	v_lshrrev_b32_e32 v14, 24, v1
	s_mov_b32 s2, 0x40c0100
	v_perm_b32 v1, v14, v1, s2
	v_cmp_gt_u32_e64 s[2:3], s7, v22
	v_cmp_gt_u32_e64 s[8:9], s7, v25
	v_cndmask_b32_e64 v1, v1, v12, s[2:3]
	s_or_b64 s[2:3], s[8:9], s[2:3]
	s_or_b64 s[0:1], s[2:3], s[0:1]
	s_or_b64 vcc, s[0:1], vcc
	v_and_b32_e32 v1, 0xffffff, v1
	v_cndmask_b32_e32 v14, 0, v13, vcc
	v_cndmask_b32_e64 v1, v1, v12, s[8:9]
	v_and_b32_e32 v14, 0xffffff00, v14
	v_cmp_gt_u32_e32 vcc, s7, v23
	v_cndmask_b32_e32 v1, v1, v12, vcc
	v_cndmask_b32_e32 v12, v14, v13, vcc
	s_mov_b32 s0, 0x3020104
	v_and_b32_e32 v13, 0xff, v12
	v_perm_b32 v12, v1, v1, s0
.LBB1541_237:
	v_and_b32_e32 v1, 0xff, v12
	v_bfe_u32 v25, v12, 8, 8
	v_bfe_u32 v27, v12, 16, 8
	v_alignbit_b32 v14, v13, v12, 24
	v_and_b32_e32 v28, 0xff, v14
	v_and_b32_e32 v14, 0xff, v13
	v_add3_u32 v15, v25, v1, v27
	v_add3_u32 v31, v15, v28, v14
	v_mbcnt_lo_u32_b32 v14, -1, 0
	v_mbcnt_hi_u32_b32 v29, -1, v14
	v_and_b32_e32 v14, 15, v29
	v_cmp_eq_u32_e64 s[14:15], 0, v14
	v_cmp_lt_u32_e64 s[12:13], 1, v14
	v_cmp_lt_u32_e64 s[10:11], 3, v14
	;; [unrolled: 1-line block ×3, first 2 shown]
	v_and_b32_e32 v14, 16, v29
	v_cmp_eq_u32_e64 s[18:19], 0, v14
	v_or_b32_e32 v14, 63, v0
	v_cmp_lt_u32_e64 s[0:1], 31, v29
	v_lshrrev_b32_e32 v30, 6, v0
	v_cmp_eq_u32_e64 s[2:3], v14, v0
	s_and_b64 vcc, exec, s[16:17]
	s_waitcnt lgkmcnt(0)
	s_barrier
	s_cbranch_vccz .LBB1541_264
; %bb.238:
	v_mov_b32_dpp v14, v31 row_shr:1 row_mask:0xf bank_mask:0xf
	v_cndmask_b32_e64 v14, v14, 0, s[14:15]
	v_add_u32_e32 v14, v14, v31
	s_nop 1
	v_mov_b32_dpp v15, v14 row_shr:2 row_mask:0xf bank_mask:0xf
	v_cndmask_b32_e64 v15, 0, v15, s[12:13]
	v_add_u32_e32 v14, v14, v15
	s_nop 1
	;; [unrolled: 4-line block ×4, first 2 shown]
	v_mov_b32_dpp v15, v14 row_bcast:15 row_mask:0xf bank_mask:0xf
	v_cndmask_b32_e64 v15, v15, 0, s[18:19]
	v_add_u32_e32 v14, v14, v15
	s_nop 1
	v_mov_b32_dpp v15, v14 row_bcast:31 row_mask:0xf bank_mask:0xf
	v_cndmask_b32_e64 v15, 0, v15, s[0:1]
	v_add_u32_e32 v14, v14, v15
	s_and_saveexec_b64 s[16:17], s[2:3]
	s_cbranch_execz .LBB1541_240
; %bb.239:
	v_lshlrev_b32_e32 v15, 2, v30
	ds_write_b32 v15, v14
.LBB1541_240:
	s_or_b64 exec, exec, s[16:17]
	v_cmp_gt_u32_e32 vcc, 4, v0
	s_waitcnt lgkmcnt(0)
	s_barrier
	s_and_saveexec_b64 s[16:17], vcc
	s_cbranch_execz .LBB1541_242
; %bb.241:
	v_lshlrev_b32_e32 v15, 2, v0
	ds_read_b32 v16, v15
	v_and_b32_e32 v17, 3, v29
	v_cmp_ne_u32_e32 vcc, 0, v17
	s_waitcnt lgkmcnt(0)
	v_mov_b32_dpp v18, v16 row_shr:1 row_mask:0xf bank_mask:0xf
	v_cndmask_b32_e32 v18, 0, v18, vcc
	v_add_u32_e32 v16, v18, v16
	v_cmp_lt_u32_e32 vcc, 1, v17
	s_nop 0
	v_mov_b32_dpp v18, v16 row_shr:2 row_mask:0xf bank_mask:0xf
	v_cndmask_b32_e32 v17, 0, v18, vcc
	v_add_u32_e32 v16, v16, v17
	ds_write_b32 v15, v16
.LBB1541_242:
	s_or_b64 exec, exec, s[16:17]
	v_cmp_gt_u32_e32 vcc, 64, v0
	v_cmp_lt_u32_e64 s[16:17], 63, v0
	s_waitcnt lgkmcnt(0)
	s_barrier
	s_waitcnt lgkmcnt(0)
                                        ; implicit-def: $vgpr24
	s_and_saveexec_b64 s[26:27], s[16:17]
	s_cbranch_execz .LBB1541_244
; %bb.243:
	v_lshl_add_u32 v15, v30, 2, -4
	ds_read_b32 v24, v15
	s_waitcnt lgkmcnt(0)
	v_add_u32_e32 v14, v24, v14
.LBB1541_244:
	s_or_b64 exec, exec, s[26:27]
	v_add_u32_e32 v15, -1, v29
	v_and_b32_e32 v16, 64, v29
	v_cmp_lt_i32_e64 s[16:17], v15, v16
	v_cndmask_b32_e64 v15, v15, v29, s[16:17]
	v_lshlrev_b32_e32 v15, 2, v15
	ds_bpermute_b32 v26, v15, v14
	v_cmp_eq_u32_e64 s[16:17], 0, v29
	s_and_saveexec_b64 s[26:27], vcc
	s_cbranch_execz .LBB1541_263
; %bb.245:
	v_mov_b32_e32 v21, 0
	ds_read_b32 v14, v21 offset:12
	s_and_saveexec_b64 s[28:29], s[16:17]
	s_cbranch_execz .LBB1541_247
; %bb.246:
	s_add_i32 s36, s6, 64
	s_mov_b32 s37, 0
	s_lshl_b64 s[36:37], s[36:37], 3
	s_add_u32 s36, s30, s36
	v_mov_b32_e32 v15, 1
	s_addc_u32 s37, s31, s37
	s_waitcnt lgkmcnt(0)
	global_store_dwordx2 v21, v[14:15], s[36:37]
.LBB1541_247:
	s_or_b64 exec, exec, s[28:29]
	v_xad_u32 v16, v29, -1, s6
	v_add_u32_e32 v20, 64, v16
	v_lshlrev_b64 v[18:19], 3, v[20:21]
	v_mov_b32_e32 v15, s31
	v_add_co_u32_e32 v22, vcc, s30, v18
	v_addc_co_u32_e32 v23, vcc, v15, v19, vcc
	global_load_dwordx2 v[18:19], v[22:23], off glc
	s_waitcnt vmcnt(0)
	v_cmp_eq_u16_sdwa s[36:37], v19, v21 src0_sel:BYTE_0 src1_sel:DWORD
	s_and_saveexec_b64 s[28:29], s[36:37]
	s_cbranch_execz .LBB1541_251
; %bb.248:
	s_mov_b64 s[36:37], 0
	v_mov_b32_e32 v15, 0
.LBB1541_249:                           ; =>This Inner Loop Header: Depth=1
	global_load_dwordx2 v[18:19], v[22:23], off glc
	s_waitcnt vmcnt(0)
	v_cmp_ne_u16_sdwa s[38:39], v19, v15 src0_sel:BYTE_0 src1_sel:DWORD
	s_or_b64 s[36:37], s[38:39], s[36:37]
	s_andn2_b64 exec, exec, s[36:37]
	s_cbranch_execnz .LBB1541_249
; %bb.250:
	s_or_b64 exec, exec, s[36:37]
.LBB1541_251:
	s_or_b64 exec, exec, s[28:29]
	v_and_b32_e32 v32, 63, v29
	v_mov_b32_e32 v15, 2
	v_cmp_ne_u32_e32 vcc, 63, v32
	v_cmp_eq_u16_sdwa s[28:29], v19, v15 src0_sel:BYTE_0 src1_sel:DWORD
	v_lshlrev_b64 v[20:21], v29, -1
	v_addc_co_u32_e32 v23, vcc, 0, v29, vcc
	v_and_b32_e32 v17, s29, v21
	v_lshlrev_b32_e32 v33, 2, v23
	v_or_b32_e32 v17, 0x80000000, v17
	ds_bpermute_b32 v23, v33, v18
	v_and_b32_e32 v22, s28, v20
	v_ffbl_b32_e32 v17, v17
	v_add_u32_e32 v17, 32, v17
	v_ffbl_b32_e32 v22, v22
	v_min_u32_e32 v17, v22, v17
	v_cmp_lt_u32_e32 vcc, v32, v17
	s_waitcnt lgkmcnt(0)
	v_cndmask_b32_e32 v22, 0, v23, vcc
	v_cmp_gt_u32_e32 vcc, 62, v32
	v_add_u32_e32 v18, v22, v18
	v_cndmask_b32_e64 v22, 0, 1, vcc
	v_lshlrev_b32_e32 v22, 1, v22
	v_add_lshl_u32 v34, v22, v29, 2
	ds_bpermute_b32 v22, v34, v18
	v_add_u32_e32 v35, 2, v32
	v_cmp_le_u32_e32 vcc, v35, v17
	v_add_u32_e32 v37, 4, v32
	v_add_u32_e32 v39, 8, v32
	s_waitcnt lgkmcnt(0)
	v_cndmask_b32_e32 v22, 0, v22, vcc
	v_cmp_gt_u32_e32 vcc, 60, v32
	v_add_u32_e32 v18, v18, v22
	v_cndmask_b32_e64 v22, 0, 1, vcc
	v_lshlrev_b32_e32 v22, 2, v22
	v_add_lshl_u32 v36, v22, v29, 2
	ds_bpermute_b32 v22, v36, v18
	v_cmp_le_u32_e32 vcc, v37, v17
	v_add_u32_e32 v42, 16, v32
	v_add_u32_e32 v44, 32, v32
	s_waitcnt lgkmcnt(0)
	v_cndmask_b32_e32 v22, 0, v22, vcc
	v_cmp_gt_u32_e32 vcc, 56, v32
	v_add_u32_e32 v18, v18, v22
	v_cndmask_b32_e64 v22, 0, 1, vcc
	v_lshlrev_b32_e32 v22, 3, v22
	v_add_lshl_u32 v38, v22, v29, 2
	ds_bpermute_b32 v22, v38, v18
	v_cmp_le_u32_e32 vcc, v39, v17
	s_waitcnt lgkmcnt(0)
	v_cndmask_b32_e32 v22, 0, v22, vcc
	v_cmp_gt_u32_e32 vcc, 48, v32
	v_add_u32_e32 v18, v18, v22
	v_cndmask_b32_e64 v22, 0, 1, vcc
	v_lshlrev_b32_e32 v22, 4, v22
	v_add_lshl_u32 v41, v22, v29, 2
	ds_bpermute_b32 v22, v41, v18
	v_cmp_le_u32_e32 vcc, v42, v17
	;; [unrolled: 9-line block ×3, first 2 shown]
	s_waitcnt lgkmcnt(0)
	v_cndmask_b32_e32 v17, 0, v22, vcc
	v_add_u32_e32 v18, v18, v17
	v_mov_b32_e32 v17, 0
	s_branch .LBB1541_253
.LBB1541_252:                           ;   in Loop: Header=BB1541_253 Depth=1
	s_or_b64 exec, exec, s[28:29]
	v_cmp_eq_u16_sdwa s[28:29], v19, v15 src0_sel:BYTE_0 src1_sel:DWORD
	v_and_b32_e32 v22, s29, v21
	v_or_b32_e32 v22, 0x80000000, v22
	ds_bpermute_b32 v45, v33, v18
	v_and_b32_e32 v23, s28, v20
	v_ffbl_b32_e32 v22, v22
	v_add_u32_e32 v22, 32, v22
	v_ffbl_b32_e32 v23, v23
	v_min_u32_e32 v22, v23, v22
	v_cmp_lt_u32_e32 vcc, v32, v22
	s_waitcnt lgkmcnt(0)
	v_cndmask_b32_e32 v23, 0, v45, vcc
	v_add_u32_e32 v18, v23, v18
	ds_bpermute_b32 v23, v34, v18
	v_cmp_le_u32_e32 vcc, v35, v22
	v_subrev_u32_e32 v16, 64, v16
	s_waitcnt lgkmcnt(0)
	v_cndmask_b32_e32 v23, 0, v23, vcc
	v_add_u32_e32 v18, v18, v23
	ds_bpermute_b32 v23, v36, v18
	v_cmp_le_u32_e32 vcc, v37, v22
	s_waitcnt lgkmcnt(0)
	v_cndmask_b32_e32 v23, 0, v23, vcc
	v_add_u32_e32 v18, v18, v23
	ds_bpermute_b32 v23, v38, v18
	v_cmp_le_u32_e32 vcc, v39, v22
	;; [unrolled: 5-line block ×4, first 2 shown]
	s_waitcnt lgkmcnt(0)
	v_cndmask_b32_e32 v22, 0, v23, vcc
	v_add3_u32 v18, v22, v40, v18
.LBB1541_253:                           ; =>This Loop Header: Depth=1
                                        ;     Child Loop BB1541_256 Depth 2
	v_cmp_ne_u16_sdwa s[28:29], v19, v15 src0_sel:BYTE_0 src1_sel:DWORD
	v_cndmask_b32_e64 v19, 0, 1, s[28:29]
	;;#ASMSTART
	;;#ASMEND
	v_cmp_ne_u32_e32 vcc, 0, v19
	s_cmp_lg_u64 vcc, exec
	v_mov_b32_e32 v40, v18
	s_cbranch_scc1 .LBB1541_258
; %bb.254:                              ;   in Loop: Header=BB1541_253 Depth=1
	v_lshlrev_b64 v[18:19], 3, v[16:17]
	v_mov_b32_e32 v23, s31
	v_add_co_u32_e32 v22, vcc, s30, v18
	v_addc_co_u32_e32 v23, vcc, v23, v19, vcc
	global_load_dwordx2 v[18:19], v[22:23], off glc
	s_waitcnt vmcnt(0)
	v_cmp_eq_u16_sdwa s[36:37], v19, v17 src0_sel:BYTE_0 src1_sel:DWORD
	s_and_saveexec_b64 s[28:29], s[36:37]
	s_cbranch_execz .LBB1541_252
; %bb.255:                              ;   in Loop: Header=BB1541_253 Depth=1
	s_mov_b64 s[36:37], 0
.LBB1541_256:                           ;   Parent Loop BB1541_253 Depth=1
                                        ; =>  This Inner Loop Header: Depth=2
	global_load_dwordx2 v[18:19], v[22:23], off glc
	s_waitcnt vmcnt(0)
	v_cmp_ne_u16_sdwa s[38:39], v19, v17 src0_sel:BYTE_0 src1_sel:DWORD
	s_or_b64 s[36:37], s[38:39], s[36:37]
	s_andn2_b64 exec, exec, s[36:37]
	s_cbranch_execnz .LBB1541_256
; %bb.257:                              ;   in Loop: Header=BB1541_253 Depth=1
	s_or_b64 exec, exec, s[36:37]
	s_branch .LBB1541_252
.LBB1541_258:                           ;   in Loop: Header=BB1541_253 Depth=1
                                        ; implicit-def: $vgpr18
                                        ; implicit-def: $vgpr19
	s_cbranch_execz .LBB1541_253
; %bb.259:
	s_and_saveexec_b64 s[28:29], s[16:17]
	s_cbranch_execz .LBB1541_261
; %bb.260:
	s_add_i32 s6, s6, 64
	s_mov_b32 s7, 0
	s_lshl_b64 s[6:7], s[6:7], 3
	s_add_u32 s6, s30, s6
	v_add_u32_e32 v16, v40, v14
	v_mov_b32_e32 v17, 2
	s_addc_u32 s7, s31, s7
	v_mov_b32_e32 v15, 0
	global_store_dwordx2 v15, v[16:17], s[6:7]
	s_movk_i32 s6, 0x2800
	v_add_u32_e64 v15, s6, 0
	ds_write2_b32 v15, v14, v40 offset1:2
.LBB1541_261:
	s_or_b64 exec, exec, s[28:29]
	v_cmp_eq_u32_e32 vcc, 0, v0
	s_and_b64 exec, exec, vcc
	s_cbranch_execz .LBB1541_263
; %bb.262:
	v_mov_b32_e32 v14, 0
	ds_write_b32 v14, v40 offset:12
.LBB1541_263:
	s_or_b64 exec, exec, s[26:27]
	v_mov_b32_e32 v14, 0
	s_waitcnt lgkmcnt(0)
	s_barrier
	ds_read_b32 v14, v14 offset:12
	v_cndmask_b32_e64 v15, v26, v24, s[16:17]
	v_cmp_ne_u32_e32 vcc, 0, v0
	v_cndmask_b32_e32 v15, 0, v15, vcc
	s_movk_i32 s6, 0x2800
	s_waitcnt lgkmcnt(0)
	v_add_u32_e32 v26, v14, v15
	v_add_u32_e64 v14, s6, 0
	s_barrier
	ds_read2_b32 v[14:15], v14 offset1:2
	v_add_u32_e32 v24, v26, v1
	v_add_u32_e32 v22, v24, v25
	;; [unrolled: 1-line block ×4, first 2 shown]
	s_load_dwordx2 s[4:5], s[4:5], 0x28
	v_lshrrev_b64 v[16:17], 24, v[12:13]
	s_branch .LBB1541_274
.LBB1541_264:
                                        ; implicit-def: $vgpr18
                                        ; implicit-def: $vgpr20
                                        ; implicit-def: $vgpr22
                                        ; implicit-def: $vgpr24
                                        ; implicit-def: $vgpr26
                                        ; implicit-def: $vgpr15
	s_load_dwordx2 s[4:5], s[4:5], 0x28
	v_lshrrev_b64 v[16:17], 24, v[12:13]
	s_cbranch_execz .LBB1541_274
; %bb.265:
	s_waitcnt lgkmcnt(0)
	v_mov_b32_dpp v14, v31 row_shr:1 row_mask:0xf bank_mask:0xf
	v_cndmask_b32_e64 v14, v14, 0, s[14:15]
	v_add_u32_e32 v14, v14, v31
	s_nop 1
	v_mov_b32_dpp v15, v14 row_shr:2 row_mask:0xf bank_mask:0xf
	v_cndmask_b32_e64 v15, 0, v15, s[12:13]
	v_add_u32_e32 v14, v14, v15
	s_nop 1
	;; [unrolled: 4-line block ×4, first 2 shown]
	v_mov_b32_dpp v15, v14 row_bcast:15 row_mask:0xf bank_mask:0xf
	v_cndmask_b32_e64 v15, v15, 0, s[18:19]
	v_add_u32_e32 v14, v14, v15
	s_nop 1
	v_mov_b32_dpp v15, v14 row_bcast:31 row_mask:0xf bank_mask:0xf
	v_cndmask_b32_e64 v15, 0, v15, s[0:1]
	v_add_u32_e32 v14, v14, v15
	s_and_saveexec_b64 s[0:1], s[2:3]
	s_cbranch_execz .LBB1541_267
; %bb.266:
	v_lshlrev_b32_e32 v15, 2, v30
	ds_write_b32 v15, v14
.LBB1541_267:
	s_or_b64 exec, exec, s[0:1]
	v_cmp_gt_u32_e32 vcc, 4, v0
	s_waitcnt lgkmcnt(0)
	s_barrier
	s_and_saveexec_b64 s[0:1], vcc
	s_cbranch_execz .LBB1541_269
; %bb.268:
	v_lshlrev_b32_e32 v15, 2, v0
	ds_read_b32 v17, v15
	v_and_b32_e32 v18, 3, v29
	v_cmp_ne_u32_e32 vcc, 0, v18
	s_waitcnt lgkmcnt(0)
	v_mov_b32_dpp v19, v17 row_shr:1 row_mask:0xf bank_mask:0xf
	v_cndmask_b32_e32 v19, 0, v19, vcc
	v_add_u32_e32 v17, v19, v17
	v_cmp_lt_u32_e32 vcc, 1, v18
	s_nop 0
	v_mov_b32_dpp v19, v17 row_shr:2 row_mask:0xf bank_mask:0xf
	v_cndmask_b32_e32 v18, 0, v19, vcc
	v_add_u32_e32 v17, v17, v18
	ds_write_b32 v15, v17
.LBB1541_269:
	s_or_b64 exec, exec, s[0:1]
	v_cmp_lt_u32_e32 vcc, 63, v0
	v_mov_b32_e32 v15, 0
	v_mov_b32_e32 v17, 0
	s_waitcnt lgkmcnt(0)
	s_barrier
	s_and_saveexec_b64 s[0:1], vcc
	s_cbranch_execz .LBB1541_271
; %bb.270:
	v_lshl_add_u32 v17, v30, 2, -4
	ds_read_b32 v17, v17
.LBB1541_271:
	s_or_b64 exec, exec, s[0:1]
	v_add_u32_e32 v18, -1, v29
	v_and_b32_e32 v19, 64, v29
	v_cmp_lt_i32_e32 vcc, v18, v19
	v_cndmask_b32_e32 v18, v18, v29, vcc
	s_waitcnt lgkmcnt(0)
	v_add_u32_e32 v14, v17, v14
	v_lshlrev_b32_e32 v18, 2, v18
	ds_bpermute_b32 v18, v18, v14
	ds_read_b32 v14, v15 offset:12
	v_cmp_eq_u32_e32 vcc, 0, v0
	s_and_saveexec_b64 s[0:1], vcc
	s_cbranch_execz .LBB1541_273
; %bb.272:
	v_mov_b32_e32 v19, 0
	v_mov_b32_e32 v15, 2
	s_waitcnt lgkmcnt(0)
	global_store_dwordx2 v19, v[14:15], s[30:31] offset:512
.LBB1541_273:
	s_or_b64 exec, exec, s[0:1]
	v_cmp_eq_u32_e64 s[0:1], 0, v29
	s_waitcnt lgkmcnt(1)
	v_cndmask_b32_e64 v17, v18, v17, s[0:1]
	v_cndmask_b32_e64 v26, v17, 0, vcc
	v_add_u32_e32 v24, v26, v1
	v_add_u32_e32 v22, v24, v25
	v_add_u32_e32 v20, v22, v27
	v_mov_b32_e32 v15, 0
	v_add_u32_e32 v18, v20, v28
	s_waitcnt lgkmcnt(0)
	s_barrier
.LBB1541_274:
	s_movk_i32 s0, 0x101
	s_waitcnt lgkmcnt(0)
	v_cmp_gt_u32_e32 vcc, s0, v14
	v_lshrrev_b32_e32 v1, 8, v12
	s_mov_b64 s[0:1], -1
	s_cbranch_vccnz .LBB1541_278
; %bb.275:
	s_and_b64 vcc, exec, s[0:1]
	s_cbranch_vccnz .LBB1541_294
.LBB1541_276:
	v_cmp_eq_u32_e32 vcc, 0, v0
	s_and_b64 s[0:1], vcc, s[24:25]
	s_and_saveexec_b64 s[2:3], s[0:1]
	s_cbranch_execnz .LBB1541_308
.LBB1541_277:
	s_endpgm
.LBB1541_278:
	v_add_u32_e32 v17, v15, v14
	v_cmp_lt_u32_e32 vcc, v26, v17
	s_or_b64 s[2:3], s[34:35], vcc
	s_and_saveexec_b64 s[0:1], s[2:3]
	s_cbranch_execz .LBB1541_281
; %bb.279:
	v_and_b32_e32 v19, 1, v12
	v_cmp_eq_u32_e32 vcc, 1, v19
	s_and_b64 exec, exec, vcc
	s_cbranch_execz .LBB1541_281
; %bb.280:
	s_lshl_b64 s[2:3], s[22:23], 3
	s_add_u32 s2, s4, s2
	v_mov_b32_e32 v27, 0
	s_addc_u32 s3, s5, s3
	v_lshlrev_b64 v[28:29], 3, v[26:27]
	v_mov_b32_e32 v19, s3
	v_add_co_u32_e32 v28, vcc, s2, v28
	v_addc_co_u32_e32 v29, vcc, v19, v29, vcc
	global_store_dwordx2 v[28:29], v[6:7], off
.LBB1541_281:
	s_or_b64 exec, exec, s[0:1]
	v_cmp_lt_u32_e32 vcc, v24, v17
	s_or_b64 s[2:3], s[34:35], vcc
	s_and_saveexec_b64 s[0:1], s[2:3]
	s_cbranch_execz .LBB1541_284
; %bb.282:
	v_and_b32_e32 v19, 1, v1
	v_cmp_eq_u32_e32 vcc, 1, v19
	s_and_b64 exec, exec, vcc
	s_cbranch_execz .LBB1541_284
; %bb.283:
	s_lshl_b64 s[2:3], s[22:23], 3
	s_add_u32 s2, s4, s2
	v_mov_b32_e32 v25, 0
	s_addc_u32 s3, s5, s3
	v_lshlrev_b64 v[28:29], 3, v[24:25]
	v_mov_b32_e32 v19, s3
	v_add_co_u32_e32 v28, vcc, s2, v28
	v_addc_co_u32_e32 v29, vcc, v19, v29, vcc
	global_store_dwordx2 v[28:29], v[8:9], off
.LBB1541_284:
	s_or_b64 exec, exec, s[0:1]
	v_cmp_lt_u32_e32 vcc, v22, v17
	s_or_b64 s[2:3], s[34:35], vcc
	s_and_saveexec_b64 s[0:1], s[2:3]
	s_cbranch_execz .LBB1541_287
; %bb.285:
	v_mov_b32_e32 v19, 1
	v_and_b32_sdwa v19, v19, v12 dst_sel:DWORD dst_unused:UNUSED_PAD src0_sel:DWORD src1_sel:WORD_1
	v_cmp_eq_u32_e32 vcc, 1, v19
	s_and_b64 exec, exec, vcc
	s_cbranch_execz .LBB1541_287
; %bb.286:
	s_lshl_b64 s[2:3], s[22:23], 3
	s_add_u32 s2, s4, s2
	v_mov_b32_e32 v23, 0
	s_addc_u32 s3, s5, s3
	v_lshlrev_b64 v[28:29], 3, v[22:23]
	v_mov_b32_e32 v19, s3
	v_add_co_u32_e32 v28, vcc, s2, v28
	v_addc_co_u32_e32 v29, vcc, v19, v29, vcc
	global_store_dwordx2 v[28:29], v[2:3], off
.LBB1541_287:
	s_or_b64 exec, exec, s[0:1]
	v_cmp_lt_u32_e32 vcc, v20, v17
	s_or_b64 s[2:3], s[34:35], vcc
	s_and_saveexec_b64 s[0:1], s[2:3]
	s_cbranch_execz .LBB1541_290
; %bb.288:
	v_and_b32_e32 v19, 1, v16
	v_cmp_eq_u32_e32 vcc, 1, v19
	s_and_b64 exec, exec, vcc
	s_cbranch_execz .LBB1541_290
; %bb.289:
	s_lshl_b64 s[2:3], s[22:23], 3
	s_add_u32 s2, s4, s2
	v_mov_b32_e32 v21, 0
	s_addc_u32 s3, s5, s3
	v_lshlrev_b64 v[28:29], 3, v[20:21]
	v_mov_b32_e32 v19, s3
	v_add_co_u32_e32 v28, vcc, s2, v28
	v_addc_co_u32_e32 v29, vcc, v19, v29, vcc
	global_store_dwordx2 v[28:29], v[4:5], off
.LBB1541_290:
	s_or_b64 exec, exec, s[0:1]
	v_cmp_lt_u32_e32 vcc, v18, v17
	s_or_b64 s[2:3], s[34:35], vcc
	s_and_saveexec_b64 s[0:1], s[2:3]
	s_cbranch_execz .LBB1541_293
; %bb.291:
	v_and_b32_e32 v17, 1, v13
	v_cmp_eq_u32_e32 vcc, 1, v17
	s_and_b64 exec, exec, vcc
	s_cbranch_execz .LBB1541_293
; %bb.292:
	s_lshl_b64 s[2:3], s[22:23], 3
	s_add_u32 s2, s4, s2
	v_mov_b32_e32 v19, 0
	s_addc_u32 s3, s5, s3
	v_lshlrev_b64 v[28:29], 3, v[18:19]
	v_mov_b32_e32 v17, s3
	v_add_co_u32_e32 v28, vcc, s2, v28
	v_addc_co_u32_e32 v29, vcc, v17, v29, vcc
	global_store_dwordx2 v[28:29], v[10:11], off
.LBB1541_293:
	s_or_b64 exec, exec, s[0:1]
	s_branch .LBB1541_276
.LBB1541_294:
	v_and_b32_e32 v17, 1, v12
	v_cmp_eq_u32_e32 vcc, 1, v17
	s_and_saveexec_b64 s[0:1], vcc
	s_cbranch_execz .LBB1541_296
; %bb.295:
	v_sub_u32_e32 v17, v26, v15
	v_lshlrev_b32_e32 v17, 3, v17
	ds_write_b64 v17, v[6:7]
.LBB1541_296:
	s_or_b64 exec, exec, s[0:1]
	v_and_b32_e32 v1, 1, v1
	v_cmp_eq_u32_e32 vcc, 1, v1
	s_and_saveexec_b64 s[0:1], vcc
	s_cbranch_execz .LBB1541_298
; %bb.297:
	v_sub_u32_e32 v1, v24, v15
	v_lshlrev_b32_e32 v1, 3, v1
	ds_write_b64 v1, v[8:9]
.LBB1541_298:
	s_or_b64 exec, exec, s[0:1]
	v_mov_b32_e32 v1, 1
	v_and_b32_sdwa v1, v1, v12 dst_sel:DWORD dst_unused:UNUSED_PAD src0_sel:DWORD src1_sel:WORD_1
	v_cmp_eq_u32_e32 vcc, 1, v1
	s_and_saveexec_b64 s[0:1], vcc
	s_cbranch_execz .LBB1541_300
; %bb.299:
	v_sub_u32_e32 v1, v22, v15
	v_lshlrev_b32_e32 v1, 3, v1
	ds_write_b64 v1, v[2:3]
.LBB1541_300:
	s_or_b64 exec, exec, s[0:1]
	v_and_b32_e32 v1, 1, v16
	v_cmp_eq_u32_e32 vcc, 1, v1
	s_and_saveexec_b64 s[0:1], vcc
	s_cbranch_execz .LBB1541_302
; %bb.301:
	v_sub_u32_e32 v1, v20, v15
	v_lshlrev_b32_e32 v1, 3, v1
	ds_write_b64 v1, v[4:5]
.LBB1541_302:
	s_or_b64 exec, exec, s[0:1]
	v_and_b32_e32 v1, 1, v13
	v_cmp_eq_u32_e32 vcc, 1, v1
	s_and_saveexec_b64 s[0:1], vcc
	s_cbranch_execz .LBB1541_304
; %bb.303:
	v_sub_u32_e32 v1, v18, v15
	v_lshlrev_b32_e32 v1, 3, v1
	ds_write_b64 v1, v[10:11]
.LBB1541_304:
	s_or_b64 exec, exec, s[0:1]
	v_cmp_lt_u32_e32 vcc, v0, v14
	s_waitcnt lgkmcnt(0)
	s_barrier
	s_and_saveexec_b64 s[0:1], vcc
	s_cbranch_execz .LBB1541_307
; %bb.305:
	v_mov_b32_e32 v3, 0
	v_mov_b32_e32 v2, v15
	v_lshlrev_b64 v[4:5], 3, v[2:3]
	v_mov_b32_e32 v1, s5
	v_add_co_u32_e32 v2, vcc, s4, v4
	v_addc_co_u32_e32 v4, vcc, v1, v5, vcc
	s_lshl_b64 s[2:3], s[22:23], 3
	v_mov_b32_e32 v5, s3
	v_add_co_u32_e32 v1, vcc, s2, v2
	v_addc_co_u32_e32 v4, vcc, v4, v5, vcc
	v_lshlrev_b32_e32 v5, 3, v0
	s_mov_b64 s[2:3], 0
	v_mov_b32_e32 v2, v0
.LBB1541_306:                           ; =>This Inner Loop Header: Depth=1
	ds_read_b64 v[6:7], v5
	v_lshlrev_b64 v[8:9], 3, v[2:3]
	v_add_co_u32_e32 v8, vcc, v1, v8
	v_add_u32_e32 v2, 0x100, v2
	v_addc_co_u32_e32 v9, vcc, v4, v9, vcc
	v_cmp_ge_u32_e32 vcc, v2, v14
	v_add_u32_e32 v5, 0x800, v5
	s_or_b64 s[2:3], vcc, s[2:3]
	s_waitcnt lgkmcnt(0)
	global_store_dwordx2 v[8:9], v[6:7], off
	s_andn2_b64 exec, exec, s[2:3]
	s_cbranch_execnz .LBB1541_306
.LBB1541_307:
	s_or_b64 exec, exec, s[0:1]
	v_cmp_eq_u32_e32 vcc, 0, v0
	s_and_b64 s[0:1], vcc, s[24:25]
	s_and_saveexec_b64 s[2:3], s[0:1]
	s_cbranch_execz .LBB1541_277
.LBB1541_308:
	v_mov_b32_e32 v0, s23
	v_add_co_u32_e32 v1, vcc, s22, v14
	v_addc_co_u32_e32 v3, vcc, 0, v0, vcc
	v_add_co_u32_e32 v0, vcc, v1, v15
	v_mov_b32_e32 v2, 0
	v_addc_co_u32_e32 v1, vcc, 0, v3, vcc
	global_store_dwordx2 v2, v[0:1], s[20:21]
	s_endpgm
	.section	.rodata,"a",@progbits
	.p2align	6, 0x0
	.amdhsa_kernel _ZN7rocprim17ROCPRIM_400000_NS6detail17trampoline_kernelINS0_14default_configENS1_25partition_config_selectorILNS1_17partition_subalgoE8ElNS0_10empty_typeEbEEZZNS1_14partition_implILS5_8ELb0ES3_jPlPS6_PKS6_NS0_5tupleIJS9_S6_EEENSD_IJSA_SA_EEENS0_18inequality_wrapperIZN2at6native12_GLOBAL__N_124unique_dim_cuda_templateIjEESt5tupleIJNSH_6TensorESM_SM_EERKSM_lbbbEUlllE0_EEPmJS6_EEE10hipError_tPvRmT3_T4_T5_T6_T7_T9_mT8_P12ihipStream_tbDpT10_ENKUlT_T0_E_clISt17integral_constantIbLb0EES1C_EEDaS17_S18_EUlS17_E_NS1_11comp_targetILNS1_3genE4ELNS1_11target_archE910ELNS1_3gpuE8ELNS1_3repE0EEENS1_30default_config_static_selectorELNS0_4arch9wavefront6targetE1EEEvT1_
		.amdhsa_group_segment_fixed_size 10252
		.amdhsa_private_segment_fixed_size 0
		.amdhsa_kernarg_size 120
		.amdhsa_user_sgpr_count 6
		.amdhsa_user_sgpr_private_segment_buffer 1
		.amdhsa_user_sgpr_dispatch_ptr 0
		.amdhsa_user_sgpr_queue_ptr 0
		.amdhsa_user_sgpr_kernarg_segment_ptr 1
		.amdhsa_user_sgpr_dispatch_id 0
		.amdhsa_user_sgpr_flat_scratch_init 0
		.amdhsa_user_sgpr_kernarg_preload_length 0
		.amdhsa_user_sgpr_kernarg_preload_offset 0
		.amdhsa_user_sgpr_private_segment_size 0
		.amdhsa_uses_dynamic_stack 0
		.amdhsa_system_sgpr_private_segment_wavefront_offset 0
		.amdhsa_system_sgpr_workgroup_id_x 1
		.amdhsa_system_sgpr_workgroup_id_y 0
		.amdhsa_system_sgpr_workgroup_id_z 0
		.amdhsa_system_sgpr_workgroup_info 0
		.amdhsa_system_vgpr_workitem_id 0
		.amdhsa_next_free_vgpr 46
		.amdhsa_next_free_sgpr 48
		.amdhsa_accum_offset 48
		.amdhsa_reserve_vcc 1
		.amdhsa_reserve_flat_scratch 0
		.amdhsa_float_round_mode_32 0
		.amdhsa_float_round_mode_16_64 0
		.amdhsa_float_denorm_mode_32 3
		.amdhsa_float_denorm_mode_16_64 3
		.amdhsa_dx10_clamp 1
		.amdhsa_ieee_mode 1
		.amdhsa_fp16_overflow 0
		.amdhsa_tg_split 0
		.amdhsa_exception_fp_ieee_invalid_op 0
		.amdhsa_exception_fp_denorm_src 0
		.amdhsa_exception_fp_ieee_div_zero 0
		.amdhsa_exception_fp_ieee_overflow 0
		.amdhsa_exception_fp_ieee_underflow 0
		.amdhsa_exception_fp_ieee_inexact 0
		.amdhsa_exception_int_div_zero 0
	.end_amdhsa_kernel
	.section	.text._ZN7rocprim17ROCPRIM_400000_NS6detail17trampoline_kernelINS0_14default_configENS1_25partition_config_selectorILNS1_17partition_subalgoE8ElNS0_10empty_typeEbEEZZNS1_14partition_implILS5_8ELb0ES3_jPlPS6_PKS6_NS0_5tupleIJS9_S6_EEENSD_IJSA_SA_EEENS0_18inequality_wrapperIZN2at6native12_GLOBAL__N_124unique_dim_cuda_templateIjEESt5tupleIJNSH_6TensorESM_SM_EERKSM_lbbbEUlllE0_EEPmJS6_EEE10hipError_tPvRmT3_T4_T5_T6_T7_T9_mT8_P12ihipStream_tbDpT10_ENKUlT_T0_E_clISt17integral_constantIbLb0EES1C_EEDaS17_S18_EUlS17_E_NS1_11comp_targetILNS1_3genE4ELNS1_11target_archE910ELNS1_3gpuE8ELNS1_3repE0EEENS1_30default_config_static_selectorELNS0_4arch9wavefront6targetE1EEEvT1_,"axG",@progbits,_ZN7rocprim17ROCPRIM_400000_NS6detail17trampoline_kernelINS0_14default_configENS1_25partition_config_selectorILNS1_17partition_subalgoE8ElNS0_10empty_typeEbEEZZNS1_14partition_implILS5_8ELb0ES3_jPlPS6_PKS6_NS0_5tupleIJS9_S6_EEENSD_IJSA_SA_EEENS0_18inequality_wrapperIZN2at6native12_GLOBAL__N_124unique_dim_cuda_templateIjEESt5tupleIJNSH_6TensorESM_SM_EERKSM_lbbbEUlllE0_EEPmJS6_EEE10hipError_tPvRmT3_T4_T5_T6_T7_T9_mT8_P12ihipStream_tbDpT10_ENKUlT_T0_E_clISt17integral_constantIbLb0EES1C_EEDaS17_S18_EUlS17_E_NS1_11comp_targetILNS1_3genE4ELNS1_11target_archE910ELNS1_3gpuE8ELNS1_3repE0EEENS1_30default_config_static_selectorELNS0_4arch9wavefront6targetE1EEEvT1_,comdat
.Lfunc_end1541:
	.size	_ZN7rocprim17ROCPRIM_400000_NS6detail17trampoline_kernelINS0_14default_configENS1_25partition_config_selectorILNS1_17partition_subalgoE8ElNS0_10empty_typeEbEEZZNS1_14partition_implILS5_8ELb0ES3_jPlPS6_PKS6_NS0_5tupleIJS9_S6_EEENSD_IJSA_SA_EEENS0_18inequality_wrapperIZN2at6native12_GLOBAL__N_124unique_dim_cuda_templateIjEESt5tupleIJNSH_6TensorESM_SM_EERKSM_lbbbEUlllE0_EEPmJS6_EEE10hipError_tPvRmT3_T4_T5_T6_T7_T9_mT8_P12ihipStream_tbDpT10_ENKUlT_T0_E_clISt17integral_constantIbLb0EES1C_EEDaS17_S18_EUlS17_E_NS1_11comp_targetILNS1_3genE4ELNS1_11target_archE910ELNS1_3gpuE8ELNS1_3repE0EEENS1_30default_config_static_selectorELNS0_4arch9wavefront6targetE1EEEvT1_, .Lfunc_end1541-_ZN7rocprim17ROCPRIM_400000_NS6detail17trampoline_kernelINS0_14default_configENS1_25partition_config_selectorILNS1_17partition_subalgoE8ElNS0_10empty_typeEbEEZZNS1_14partition_implILS5_8ELb0ES3_jPlPS6_PKS6_NS0_5tupleIJS9_S6_EEENSD_IJSA_SA_EEENS0_18inequality_wrapperIZN2at6native12_GLOBAL__N_124unique_dim_cuda_templateIjEESt5tupleIJNSH_6TensorESM_SM_EERKSM_lbbbEUlllE0_EEPmJS6_EEE10hipError_tPvRmT3_T4_T5_T6_T7_T9_mT8_P12ihipStream_tbDpT10_ENKUlT_T0_E_clISt17integral_constantIbLb0EES1C_EEDaS17_S18_EUlS17_E_NS1_11comp_targetILNS1_3genE4ELNS1_11target_archE910ELNS1_3gpuE8ELNS1_3repE0EEENS1_30default_config_static_selectorELNS0_4arch9wavefront6targetE1EEEvT1_
                                        ; -- End function
	.section	.AMDGPU.csdata,"",@progbits
; Kernel info:
; codeLenInByte = 11376
; NumSgprs: 52
; NumVgprs: 46
; NumAgprs: 0
; TotalNumVgprs: 46
; ScratchSize: 0
; MemoryBound: 0
; FloatMode: 240
; IeeeMode: 1
; LDSByteSize: 10252 bytes/workgroup (compile time only)
; SGPRBlocks: 6
; VGPRBlocks: 5
; NumSGPRsForWavesPerEU: 52
; NumVGPRsForWavesPerEU: 46
; AccumOffset: 48
; Occupancy: 6
; WaveLimiterHint : 1
; COMPUTE_PGM_RSRC2:SCRATCH_EN: 0
; COMPUTE_PGM_RSRC2:USER_SGPR: 6
; COMPUTE_PGM_RSRC2:TRAP_HANDLER: 0
; COMPUTE_PGM_RSRC2:TGID_X_EN: 1
; COMPUTE_PGM_RSRC2:TGID_Y_EN: 0
; COMPUTE_PGM_RSRC2:TGID_Z_EN: 0
; COMPUTE_PGM_RSRC2:TIDIG_COMP_CNT: 0
; COMPUTE_PGM_RSRC3_GFX90A:ACCUM_OFFSET: 11
; COMPUTE_PGM_RSRC3_GFX90A:TG_SPLIT: 0
	.section	.text._ZN7rocprim17ROCPRIM_400000_NS6detail17trampoline_kernelINS0_14default_configENS1_25partition_config_selectorILNS1_17partition_subalgoE8ElNS0_10empty_typeEbEEZZNS1_14partition_implILS5_8ELb0ES3_jPlPS6_PKS6_NS0_5tupleIJS9_S6_EEENSD_IJSA_SA_EEENS0_18inequality_wrapperIZN2at6native12_GLOBAL__N_124unique_dim_cuda_templateIjEESt5tupleIJNSH_6TensorESM_SM_EERKSM_lbbbEUlllE0_EEPmJS6_EEE10hipError_tPvRmT3_T4_T5_T6_T7_T9_mT8_P12ihipStream_tbDpT10_ENKUlT_T0_E_clISt17integral_constantIbLb0EES1C_EEDaS17_S18_EUlS17_E_NS1_11comp_targetILNS1_3genE3ELNS1_11target_archE908ELNS1_3gpuE7ELNS1_3repE0EEENS1_30default_config_static_selectorELNS0_4arch9wavefront6targetE1EEEvT1_,"axG",@progbits,_ZN7rocprim17ROCPRIM_400000_NS6detail17trampoline_kernelINS0_14default_configENS1_25partition_config_selectorILNS1_17partition_subalgoE8ElNS0_10empty_typeEbEEZZNS1_14partition_implILS5_8ELb0ES3_jPlPS6_PKS6_NS0_5tupleIJS9_S6_EEENSD_IJSA_SA_EEENS0_18inequality_wrapperIZN2at6native12_GLOBAL__N_124unique_dim_cuda_templateIjEESt5tupleIJNSH_6TensorESM_SM_EERKSM_lbbbEUlllE0_EEPmJS6_EEE10hipError_tPvRmT3_T4_T5_T6_T7_T9_mT8_P12ihipStream_tbDpT10_ENKUlT_T0_E_clISt17integral_constantIbLb0EES1C_EEDaS17_S18_EUlS17_E_NS1_11comp_targetILNS1_3genE3ELNS1_11target_archE908ELNS1_3gpuE7ELNS1_3repE0EEENS1_30default_config_static_selectorELNS0_4arch9wavefront6targetE1EEEvT1_,comdat
	.globl	_ZN7rocprim17ROCPRIM_400000_NS6detail17trampoline_kernelINS0_14default_configENS1_25partition_config_selectorILNS1_17partition_subalgoE8ElNS0_10empty_typeEbEEZZNS1_14partition_implILS5_8ELb0ES3_jPlPS6_PKS6_NS0_5tupleIJS9_S6_EEENSD_IJSA_SA_EEENS0_18inequality_wrapperIZN2at6native12_GLOBAL__N_124unique_dim_cuda_templateIjEESt5tupleIJNSH_6TensorESM_SM_EERKSM_lbbbEUlllE0_EEPmJS6_EEE10hipError_tPvRmT3_T4_T5_T6_T7_T9_mT8_P12ihipStream_tbDpT10_ENKUlT_T0_E_clISt17integral_constantIbLb0EES1C_EEDaS17_S18_EUlS17_E_NS1_11comp_targetILNS1_3genE3ELNS1_11target_archE908ELNS1_3gpuE7ELNS1_3repE0EEENS1_30default_config_static_selectorELNS0_4arch9wavefront6targetE1EEEvT1_ ; -- Begin function _ZN7rocprim17ROCPRIM_400000_NS6detail17trampoline_kernelINS0_14default_configENS1_25partition_config_selectorILNS1_17partition_subalgoE8ElNS0_10empty_typeEbEEZZNS1_14partition_implILS5_8ELb0ES3_jPlPS6_PKS6_NS0_5tupleIJS9_S6_EEENSD_IJSA_SA_EEENS0_18inequality_wrapperIZN2at6native12_GLOBAL__N_124unique_dim_cuda_templateIjEESt5tupleIJNSH_6TensorESM_SM_EERKSM_lbbbEUlllE0_EEPmJS6_EEE10hipError_tPvRmT3_T4_T5_T6_T7_T9_mT8_P12ihipStream_tbDpT10_ENKUlT_T0_E_clISt17integral_constantIbLb0EES1C_EEDaS17_S18_EUlS17_E_NS1_11comp_targetILNS1_3genE3ELNS1_11target_archE908ELNS1_3gpuE7ELNS1_3repE0EEENS1_30default_config_static_selectorELNS0_4arch9wavefront6targetE1EEEvT1_
	.p2align	8
	.type	_ZN7rocprim17ROCPRIM_400000_NS6detail17trampoline_kernelINS0_14default_configENS1_25partition_config_selectorILNS1_17partition_subalgoE8ElNS0_10empty_typeEbEEZZNS1_14partition_implILS5_8ELb0ES3_jPlPS6_PKS6_NS0_5tupleIJS9_S6_EEENSD_IJSA_SA_EEENS0_18inequality_wrapperIZN2at6native12_GLOBAL__N_124unique_dim_cuda_templateIjEESt5tupleIJNSH_6TensorESM_SM_EERKSM_lbbbEUlllE0_EEPmJS6_EEE10hipError_tPvRmT3_T4_T5_T6_T7_T9_mT8_P12ihipStream_tbDpT10_ENKUlT_T0_E_clISt17integral_constantIbLb0EES1C_EEDaS17_S18_EUlS17_E_NS1_11comp_targetILNS1_3genE3ELNS1_11target_archE908ELNS1_3gpuE7ELNS1_3repE0EEENS1_30default_config_static_selectorELNS0_4arch9wavefront6targetE1EEEvT1_,@function
_ZN7rocprim17ROCPRIM_400000_NS6detail17trampoline_kernelINS0_14default_configENS1_25partition_config_selectorILNS1_17partition_subalgoE8ElNS0_10empty_typeEbEEZZNS1_14partition_implILS5_8ELb0ES3_jPlPS6_PKS6_NS0_5tupleIJS9_S6_EEENSD_IJSA_SA_EEENS0_18inequality_wrapperIZN2at6native12_GLOBAL__N_124unique_dim_cuda_templateIjEESt5tupleIJNSH_6TensorESM_SM_EERKSM_lbbbEUlllE0_EEPmJS6_EEE10hipError_tPvRmT3_T4_T5_T6_T7_T9_mT8_P12ihipStream_tbDpT10_ENKUlT_T0_E_clISt17integral_constantIbLb0EES1C_EEDaS17_S18_EUlS17_E_NS1_11comp_targetILNS1_3genE3ELNS1_11target_archE908ELNS1_3gpuE7ELNS1_3repE0EEENS1_30default_config_static_selectorELNS0_4arch9wavefront6targetE1EEEvT1_: ; @_ZN7rocprim17ROCPRIM_400000_NS6detail17trampoline_kernelINS0_14default_configENS1_25partition_config_selectorILNS1_17partition_subalgoE8ElNS0_10empty_typeEbEEZZNS1_14partition_implILS5_8ELb0ES3_jPlPS6_PKS6_NS0_5tupleIJS9_S6_EEENSD_IJSA_SA_EEENS0_18inequality_wrapperIZN2at6native12_GLOBAL__N_124unique_dim_cuda_templateIjEESt5tupleIJNSH_6TensorESM_SM_EERKSM_lbbbEUlllE0_EEPmJS6_EEE10hipError_tPvRmT3_T4_T5_T6_T7_T9_mT8_P12ihipStream_tbDpT10_ENKUlT_T0_E_clISt17integral_constantIbLb0EES1C_EEDaS17_S18_EUlS17_E_NS1_11comp_targetILNS1_3genE3ELNS1_11target_archE908ELNS1_3gpuE7ELNS1_3repE0EEENS1_30default_config_static_selectorELNS0_4arch9wavefront6targetE1EEEvT1_
; %bb.0:
	.section	.rodata,"a",@progbits
	.p2align	6, 0x0
	.amdhsa_kernel _ZN7rocprim17ROCPRIM_400000_NS6detail17trampoline_kernelINS0_14default_configENS1_25partition_config_selectorILNS1_17partition_subalgoE8ElNS0_10empty_typeEbEEZZNS1_14partition_implILS5_8ELb0ES3_jPlPS6_PKS6_NS0_5tupleIJS9_S6_EEENSD_IJSA_SA_EEENS0_18inequality_wrapperIZN2at6native12_GLOBAL__N_124unique_dim_cuda_templateIjEESt5tupleIJNSH_6TensorESM_SM_EERKSM_lbbbEUlllE0_EEPmJS6_EEE10hipError_tPvRmT3_T4_T5_T6_T7_T9_mT8_P12ihipStream_tbDpT10_ENKUlT_T0_E_clISt17integral_constantIbLb0EES1C_EEDaS17_S18_EUlS17_E_NS1_11comp_targetILNS1_3genE3ELNS1_11target_archE908ELNS1_3gpuE7ELNS1_3repE0EEENS1_30default_config_static_selectorELNS0_4arch9wavefront6targetE1EEEvT1_
		.amdhsa_group_segment_fixed_size 0
		.amdhsa_private_segment_fixed_size 0
		.amdhsa_kernarg_size 120
		.amdhsa_user_sgpr_count 6
		.amdhsa_user_sgpr_private_segment_buffer 1
		.amdhsa_user_sgpr_dispatch_ptr 0
		.amdhsa_user_sgpr_queue_ptr 0
		.amdhsa_user_sgpr_kernarg_segment_ptr 1
		.amdhsa_user_sgpr_dispatch_id 0
		.amdhsa_user_sgpr_flat_scratch_init 0
		.amdhsa_user_sgpr_kernarg_preload_length 0
		.amdhsa_user_sgpr_kernarg_preload_offset 0
		.amdhsa_user_sgpr_private_segment_size 0
		.amdhsa_uses_dynamic_stack 0
		.amdhsa_system_sgpr_private_segment_wavefront_offset 0
		.amdhsa_system_sgpr_workgroup_id_x 1
		.amdhsa_system_sgpr_workgroup_id_y 0
		.amdhsa_system_sgpr_workgroup_id_z 0
		.amdhsa_system_sgpr_workgroup_info 0
		.amdhsa_system_vgpr_workitem_id 0
		.amdhsa_next_free_vgpr 1
		.amdhsa_next_free_sgpr 0
		.amdhsa_accum_offset 4
		.amdhsa_reserve_vcc 0
		.amdhsa_reserve_flat_scratch 0
		.amdhsa_float_round_mode_32 0
		.amdhsa_float_round_mode_16_64 0
		.amdhsa_float_denorm_mode_32 3
		.amdhsa_float_denorm_mode_16_64 3
		.amdhsa_dx10_clamp 1
		.amdhsa_ieee_mode 1
		.amdhsa_fp16_overflow 0
		.amdhsa_tg_split 0
		.amdhsa_exception_fp_ieee_invalid_op 0
		.amdhsa_exception_fp_denorm_src 0
		.amdhsa_exception_fp_ieee_div_zero 0
		.amdhsa_exception_fp_ieee_overflow 0
		.amdhsa_exception_fp_ieee_underflow 0
		.amdhsa_exception_fp_ieee_inexact 0
		.amdhsa_exception_int_div_zero 0
	.end_amdhsa_kernel
	.section	.text._ZN7rocprim17ROCPRIM_400000_NS6detail17trampoline_kernelINS0_14default_configENS1_25partition_config_selectorILNS1_17partition_subalgoE8ElNS0_10empty_typeEbEEZZNS1_14partition_implILS5_8ELb0ES3_jPlPS6_PKS6_NS0_5tupleIJS9_S6_EEENSD_IJSA_SA_EEENS0_18inequality_wrapperIZN2at6native12_GLOBAL__N_124unique_dim_cuda_templateIjEESt5tupleIJNSH_6TensorESM_SM_EERKSM_lbbbEUlllE0_EEPmJS6_EEE10hipError_tPvRmT3_T4_T5_T6_T7_T9_mT8_P12ihipStream_tbDpT10_ENKUlT_T0_E_clISt17integral_constantIbLb0EES1C_EEDaS17_S18_EUlS17_E_NS1_11comp_targetILNS1_3genE3ELNS1_11target_archE908ELNS1_3gpuE7ELNS1_3repE0EEENS1_30default_config_static_selectorELNS0_4arch9wavefront6targetE1EEEvT1_,"axG",@progbits,_ZN7rocprim17ROCPRIM_400000_NS6detail17trampoline_kernelINS0_14default_configENS1_25partition_config_selectorILNS1_17partition_subalgoE8ElNS0_10empty_typeEbEEZZNS1_14partition_implILS5_8ELb0ES3_jPlPS6_PKS6_NS0_5tupleIJS9_S6_EEENSD_IJSA_SA_EEENS0_18inequality_wrapperIZN2at6native12_GLOBAL__N_124unique_dim_cuda_templateIjEESt5tupleIJNSH_6TensorESM_SM_EERKSM_lbbbEUlllE0_EEPmJS6_EEE10hipError_tPvRmT3_T4_T5_T6_T7_T9_mT8_P12ihipStream_tbDpT10_ENKUlT_T0_E_clISt17integral_constantIbLb0EES1C_EEDaS17_S18_EUlS17_E_NS1_11comp_targetILNS1_3genE3ELNS1_11target_archE908ELNS1_3gpuE7ELNS1_3repE0EEENS1_30default_config_static_selectorELNS0_4arch9wavefront6targetE1EEEvT1_,comdat
.Lfunc_end1542:
	.size	_ZN7rocprim17ROCPRIM_400000_NS6detail17trampoline_kernelINS0_14default_configENS1_25partition_config_selectorILNS1_17partition_subalgoE8ElNS0_10empty_typeEbEEZZNS1_14partition_implILS5_8ELb0ES3_jPlPS6_PKS6_NS0_5tupleIJS9_S6_EEENSD_IJSA_SA_EEENS0_18inequality_wrapperIZN2at6native12_GLOBAL__N_124unique_dim_cuda_templateIjEESt5tupleIJNSH_6TensorESM_SM_EERKSM_lbbbEUlllE0_EEPmJS6_EEE10hipError_tPvRmT3_T4_T5_T6_T7_T9_mT8_P12ihipStream_tbDpT10_ENKUlT_T0_E_clISt17integral_constantIbLb0EES1C_EEDaS17_S18_EUlS17_E_NS1_11comp_targetILNS1_3genE3ELNS1_11target_archE908ELNS1_3gpuE7ELNS1_3repE0EEENS1_30default_config_static_selectorELNS0_4arch9wavefront6targetE1EEEvT1_, .Lfunc_end1542-_ZN7rocprim17ROCPRIM_400000_NS6detail17trampoline_kernelINS0_14default_configENS1_25partition_config_selectorILNS1_17partition_subalgoE8ElNS0_10empty_typeEbEEZZNS1_14partition_implILS5_8ELb0ES3_jPlPS6_PKS6_NS0_5tupleIJS9_S6_EEENSD_IJSA_SA_EEENS0_18inequality_wrapperIZN2at6native12_GLOBAL__N_124unique_dim_cuda_templateIjEESt5tupleIJNSH_6TensorESM_SM_EERKSM_lbbbEUlllE0_EEPmJS6_EEE10hipError_tPvRmT3_T4_T5_T6_T7_T9_mT8_P12ihipStream_tbDpT10_ENKUlT_T0_E_clISt17integral_constantIbLb0EES1C_EEDaS17_S18_EUlS17_E_NS1_11comp_targetILNS1_3genE3ELNS1_11target_archE908ELNS1_3gpuE7ELNS1_3repE0EEENS1_30default_config_static_selectorELNS0_4arch9wavefront6targetE1EEEvT1_
                                        ; -- End function
	.section	.AMDGPU.csdata,"",@progbits
; Kernel info:
; codeLenInByte = 0
; NumSgprs: 4
; NumVgprs: 0
; NumAgprs: 0
; TotalNumVgprs: 0
; ScratchSize: 0
; MemoryBound: 0
; FloatMode: 240
; IeeeMode: 1
; LDSByteSize: 0 bytes/workgroup (compile time only)
; SGPRBlocks: 0
; VGPRBlocks: 0
; NumSGPRsForWavesPerEU: 4
; NumVGPRsForWavesPerEU: 1
; AccumOffset: 4
; Occupancy: 8
; WaveLimiterHint : 0
; COMPUTE_PGM_RSRC2:SCRATCH_EN: 0
; COMPUTE_PGM_RSRC2:USER_SGPR: 6
; COMPUTE_PGM_RSRC2:TRAP_HANDLER: 0
; COMPUTE_PGM_RSRC2:TGID_X_EN: 1
; COMPUTE_PGM_RSRC2:TGID_Y_EN: 0
; COMPUTE_PGM_RSRC2:TGID_Z_EN: 0
; COMPUTE_PGM_RSRC2:TIDIG_COMP_CNT: 0
; COMPUTE_PGM_RSRC3_GFX90A:ACCUM_OFFSET: 0
; COMPUTE_PGM_RSRC3_GFX90A:TG_SPLIT: 0
	.section	.text._ZN7rocprim17ROCPRIM_400000_NS6detail17trampoline_kernelINS0_14default_configENS1_25partition_config_selectorILNS1_17partition_subalgoE8ElNS0_10empty_typeEbEEZZNS1_14partition_implILS5_8ELb0ES3_jPlPS6_PKS6_NS0_5tupleIJS9_S6_EEENSD_IJSA_SA_EEENS0_18inequality_wrapperIZN2at6native12_GLOBAL__N_124unique_dim_cuda_templateIjEESt5tupleIJNSH_6TensorESM_SM_EERKSM_lbbbEUlllE0_EEPmJS6_EEE10hipError_tPvRmT3_T4_T5_T6_T7_T9_mT8_P12ihipStream_tbDpT10_ENKUlT_T0_E_clISt17integral_constantIbLb0EES1C_EEDaS17_S18_EUlS17_E_NS1_11comp_targetILNS1_3genE2ELNS1_11target_archE906ELNS1_3gpuE6ELNS1_3repE0EEENS1_30default_config_static_selectorELNS0_4arch9wavefront6targetE1EEEvT1_,"axG",@progbits,_ZN7rocprim17ROCPRIM_400000_NS6detail17trampoline_kernelINS0_14default_configENS1_25partition_config_selectorILNS1_17partition_subalgoE8ElNS0_10empty_typeEbEEZZNS1_14partition_implILS5_8ELb0ES3_jPlPS6_PKS6_NS0_5tupleIJS9_S6_EEENSD_IJSA_SA_EEENS0_18inequality_wrapperIZN2at6native12_GLOBAL__N_124unique_dim_cuda_templateIjEESt5tupleIJNSH_6TensorESM_SM_EERKSM_lbbbEUlllE0_EEPmJS6_EEE10hipError_tPvRmT3_T4_T5_T6_T7_T9_mT8_P12ihipStream_tbDpT10_ENKUlT_T0_E_clISt17integral_constantIbLb0EES1C_EEDaS17_S18_EUlS17_E_NS1_11comp_targetILNS1_3genE2ELNS1_11target_archE906ELNS1_3gpuE6ELNS1_3repE0EEENS1_30default_config_static_selectorELNS0_4arch9wavefront6targetE1EEEvT1_,comdat
	.globl	_ZN7rocprim17ROCPRIM_400000_NS6detail17trampoline_kernelINS0_14default_configENS1_25partition_config_selectorILNS1_17partition_subalgoE8ElNS0_10empty_typeEbEEZZNS1_14partition_implILS5_8ELb0ES3_jPlPS6_PKS6_NS0_5tupleIJS9_S6_EEENSD_IJSA_SA_EEENS0_18inequality_wrapperIZN2at6native12_GLOBAL__N_124unique_dim_cuda_templateIjEESt5tupleIJNSH_6TensorESM_SM_EERKSM_lbbbEUlllE0_EEPmJS6_EEE10hipError_tPvRmT3_T4_T5_T6_T7_T9_mT8_P12ihipStream_tbDpT10_ENKUlT_T0_E_clISt17integral_constantIbLb0EES1C_EEDaS17_S18_EUlS17_E_NS1_11comp_targetILNS1_3genE2ELNS1_11target_archE906ELNS1_3gpuE6ELNS1_3repE0EEENS1_30default_config_static_selectorELNS0_4arch9wavefront6targetE1EEEvT1_ ; -- Begin function _ZN7rocprim17ROCPRIM_400000_NS6detail17trampoline_kernelINS0_14default_configENS1_25partition_config_selectorILNS1_17partition_subalgoE8ElNS0_10empty_typeEbEEZZNS1_14partition_implILS5_8ELb0ES3_jPlPS6_PKS6_NS0_5tupleIJS9_S6_EEENSD_IJSA_SA_EEENS0_18inequality_wrapperIZN2at6native12_GLOBAL__N_124unique_dim_cuda_templateIjEESt5tupleIJNSH_6TensorESM_SM_EERKSM_lbbbEUlllE0_EEPmJS6_EEE10hipError_tPvRmT3_T4_T5_T6_T7_T9_mT8_P12ihipStream_tbDpT10_ENKUlT_T0_E_clISt17integral_constantIbLb0EES1C_EEDaS17_S18_EUlS17_E_NS1_11comp_targetILNS1_3genE2ELNS1_11target_archE906ELNS1_3gpuE6ELNS1_3repE0EEENS1_30default_config_static_selectorELNS0_4arch9wavefront6targetE1EEEvT1_
	.p2align	8
	.type	_ZN7rocprim17ROCPRIM_400000_NS6detail17trampoline_kernelINS0_14default_configENS1_25partition_config_selectorILNS1_17partition_subalgoE8ElNS0_10empty_typeEbEEZZNS1_14partition_implILS5_8ELb0ES3_jPlPS6_PKS6_NS0_5tupleIJS9_S6_EEENSD_IJSA_SA_EEENS0_18inequality_wrapperIZN2at6native12_GLOBAL__N_124unique_dim_cuda_templateIjEESt5tupleIJNSH_6TensorESM_SM_EERKSM_lbbbEUlllE0_EEPmJS6_EEE10hipError_tPvRmT3_T4_T5_T6_T7_T9_mT8_P12ihipStream_tbDpT10_ENKUlT_T0_E_clISt17integral_constantIbLb0EES1C_EEDaS17_S18_EUlS17_E_NS1_11comp_targetILNS1_3genE2ELNS1_11target_archE906ELNS1_3gpuE6ELNS1_3repE0EEENS1_30default_config_static_selectorELNS0_4arch9wavefront6targetE1EEEvT1_,@function
_ZN7rocprim17ROCPRIM_400000_NS6detail17trampoline_kernelINS0_14default_configENS1_25partition_config_selectorILNS1_17partition_subalgoE8ElNS0_10empty_typeEbEEZZNS1_14partition_implILS5_8ELb0ES3_jPlPS6_PKS6_NS0_5tupleIJS9_S6_EEENSD_IJSA_SA_EEENS0_18inequality_wrapperIZN2at6native12_GLOBAL__N_124unique_dim_cuda_templateIjEESt5tupleIJNSH_6TensorESM_SM_EERKSM_lbbbEUlllE0_EEPmJS6_EEE10hipError_tPvRmT3_T4_T5_T6_T7_T9_mT8_P12ihipStream_tbDpT10_ENKUlT_T0_E_clISt17integral_constantIbLb0EES1C_EEDaS17_S18_EUlS17_E_NS1_11comp_targetILNS1_3genE2ELNS1_11target_archE906ELNS1_3gpuE6ELNS1_3repE0EEENS1_30default_config_static_selectorELNS0_4arch9wavefront6targetE1EEEvT1_: ; @_ZN7rocprim17ROCPRIM_400000_NS6detail17trampoline_kernelINS0_14default_configENS1_25partition_config_selectorILNS1_17partition_subalgoE8ElNS0_10empty_typeEbEEZZNS1_14partition_implILS5_8ELb0ES3_jPlPS6_PKS6_NS0_5tupleIJS9_S6_EEENSD_IJSA_SA_EEENS0_18inequality_wrapperIZN2at6native12_GLOBAL__N_124unique_dim_cuda_templateIjEESt5tupleIJNSH_6TensorESM_SM_EERKSM_lbbbEUlllE0_EEPmJS6_EEE10hipError_tPvRmT3_T4_T5_T6_T7_T9_mT8_P12ihipStream_tbDpT10_ENKUlT_T0_E_clISt17integral_constantIbLb0EES1C_EEDaS17_S18_EUlS17_E_NS1_11comp_targetILNS1_3genE2ELNS1_11target_archE906ELNS1_3gpuE6ELNS1_3repE0EEENS1_30default_config_static_selectorELNS0_4arch9wavefront6targetE1EEEvT1_
; %bb.0:
	.section	.rodata,"a",@progbits
	.p2align	6, 0x0
	.amdhsa_kernel _ZN7rocprim17ROCPRIM_400000_NS6detail17trampoline_kernelINS0_14default_configENS1_25partition_config_selectorILNS1_17partition_subalgoE8ElNS0_10empty_typeEbEEZZNS1_14partition_implILS5_8ELb0ES3_jPlPS6_PKS6_NS0_5tupleIJS9_S6_EEENSD_IJSA_SA_EEENS0_18inequality_wrapperIZN2at6native12_GLOBAL__N_124unique_dim_cuda_templateIjEESt5tupleIJNSH_6TensorESM_SM_EERKSM_lbbbEUlllE0_EEPmJS6_EEE10hipError_tPvRmT3_T4_T5_T6_T7_T9_mT8_P12ihipStream_tbDpT10_ENKUlT_T0_E_clISt17integral_constantIbLb0EES1C_EEDaS17_S18_EUlS17_E_NS1_11comp_targetILNS1_3genE2ELNS1_11target_archE906ELNS1_3gpuE6ELNS1_3repE0EEENS1_30default_config_static_selectorELNS0_4arch9wavefront6targetE1EEEvT1_
		.amdhsa_group_segment_fixed_size 0
		.amdhsa_private_segment_fixed_size 0
		.amdhsa_kernarg_size 120
		.amdhsa_user_sgpr_count 6
		.amdhsa_user_sgpr_private_segment_buffer 1
		.amdhsa_user_sgpr_dispatch_ptr 0
		.amdhsa_user_sgpr_queue_ptr 0
		.amdhsa_user_sgpr_kernarg_segment_ptr 1
		.amdhsa_user_sgpr_dispatch_id 0
		.amdhsa_user_sgpr_flat_scratch_init 0
		.amdhsa_user_sgpr_kernarg_preload_length 0
		.amdhsa_user_sgpr_kernarg_preload_offset 0
		.amdhsa_user_sgpr_private_segment_size 0
		.amdhsa_uses_dynamic_stack 0
		.amdhsa_system_sgpr_private_segment_wavefront_offset 0
		.amdhsa_system_sgpr_workgroup_id_x 1
		.amdhsa_system_sgpr_workgroup_id_y 0
		.amdhsa_system_sgpr_workgroup_id_z 0
		.amdhsa_system_sgpr_workgroup_info 0
		.amdhsa_system_vgpr_workitem_id 0
		.amdhsa_next_free_vgpr 1
		.amdhsa_next_free_sgpr 0
		.amdhsa_accum_offset 4
		.amdhsa_reserve_vcc 0
		.amdhsa_reserve_flat_scratch 0
		.amdhsa_float_round_mode_32 0
		.amdhsa_float_round_mode_16_64 0
		.amdhsa_float_denorm_mode_32 3
		.amdhsa_float_denorm_mode_16_64 3
		.amdhsa_dx10_clamp 1
		.amdhsa_ieee_mode 1
		.amdhsa_fp16_overflow 0
		.amdhsa_tg_split 0
		.amdhsa_exception_fp_ieee_invalid_op 0
		.amdhsa_exception_fp_denorm_src 0
		.amdhsa_exception_fp_ieee_div_zero 0
		.amdhsa_exception_fp_ieee_overflow 0
		.amdhsa_exception_fp_ieee_underflow 0
		.amdhsa_exception_fp_ieee_inexact 0
		.amdhsa_exception_int_div_zero 0
	.end_amdhsa_kernel
	.section	.text._ZN7rocprim17ROCPRIM_400000_NS6detail17trampoline_kernelINS0_14default_configENS1_25partition_config_selectorILNS1_17partition_subalgoE8ElNS0_10empty_typeEbEEZZNS1_14partition_implILS5_8ELb0ES3_jPlPS6_PKS6_NS0_5tupleIJS9_S6_EEENSD_IJSA_SA_EEENS0_18inequality_wrapperIZN2at6native12_GLOBAL__N_124unique_dim_cuda_templateIjEESt5tupleIJNSH_6TensorESM_SM_EERKSM_lbbbEUlllE0_EEPmJS6_EEE10hipError_tPvRmT3_T4_T5_T6_T7_T9_mT8_P12ihipStream_tbDpT10_ENKUlT_T0_E_clISt17integral_constantIbLb0EES1C_EEDaS17_S18_EUlS17_E_NS1_11comp_targetILNS1_3genE2ELNS1_11target_archE906ELNS1_3gpuE6ELNS1_3repE0EEENS1_30default_config_static_selectorELNS0_4arch9wavefront6targetE1EEEvT1_,"axG",@progbits,_ZN7rocprim17ROCPRIM_400000_NS6detail17trampoline_kernelINS0_14default_configENS1_25partition_config_selectorILNS1_17partition_subalgoE8ElNS0_10empty_typeEbEEZZNS1_14partition_implILS5_8ELb0ES3_jPlPS6_PKS6_NS0_5tupleIJS9_S6_EEENSD_IJSA_SA_EEENS0_18inequality_wrapperIZN2at6native12_GLOBAL__N_124unique_dim_cuda_templateIjEESt5tupleIJNSH_6TensorESM_SM_EERKSM_lbbbEUlllE0_EEPmJS6_EEE10hipError_tPvRmT3_T4_T5_T6_T7_T9_mT8_P12ihipStream_tbDpT10_ENKUlT_T0_E_clISt17integral_constantIbLb0EES1C_EEDaS17_S18_EUlS17_E_NS1_11comp_targetILNS1_3genE2ELNS1_11target_archE906ELNS1_3gpuE6ELNS1_3repE0EEENS1_30default_config_static_selectorELNS0_4arch9wavefront6targetE1EEEvT1_,comdat
.Lfunc_end1543:
	.size	_ZN7rocprim17ROCPRIM_400000_NS6detail17trampoline_kernelINS0_14default_configENS1_25partition_config_selectorILNS1_17partition_subalgoE8ElNS0_10empty_typeEbEEZZNS1_14partition_implILS5_8ELb0ES3_jPlPS6_PKS6_NS0_5tupleIJS9_S6_EEENSD_IJSA_SA_EEENS0_18inequality_wrapperIZN2at6native12_GLOBAL__N_124unique_dim_cuda_templateIjEESt5tupleIJNSH_6TensorESM_SM_EERKSM_lbbbEUlllE0_EEPmJS6_EEE10hipError_tPvRmT3_T4_T5_T6_T7_T9_mT8_P12ihipStream_tbDpT10_ENKUlT_T0_E_clISt17integral_constantIbLb0EES1C_EEDaS17_S18_EUlS17_E_NS1_11comp_targetILNS1_3genE2ELNS1_11target_archE906ELNS1_3gpuE6ELNS1_3repE0EEENS1_30default_config_static_selectorELNS0_4arch9wavefront6targetE1EEEvT1_, .Lfunc_end1543-_ZN7rocprim17ROCPRIM_400000_NS6detail17trampoline_kernelINS0_14default_configENS1_25partition_config_selectorILNS1_17partition_subalgoE8ElNS0_10empty_typeEbEEZZNS1_14partition_implILS5_8ELb0ES3_jPlPS6_PKS6_NS0_5tupleIJS9_S6_EEENSD_IJSA_SA_EEENS0_18inequality_wrapperIZN2at6native12_GLOBAL__N_124unique_dim_cuda_templateIjEESt5tupleIJNSH_6TensorESM_SM_EERKSM_lbbbEUlllE0_EEPmJS6_EEE10hipError_tPvRmT3_T4_T5_T6_T7_T9_mT8_P12ihipStream_tbDpT10_ENKUlT_T0_E_clISt17integral_constantIbLb0EES1C_EEDaS17_S18_EUlS17_E_NS1_11comp_targetILNS1_3genE2ELNS1_11target_archE906ELNS1_3gpuE6ELNS1_3repE0EEENS1_30default_config_static_selectorELNS0_4arch9wavefront6targetE1EEEvT1_
                                        ; -- End function
	.section	.AMDGPU.csdata,"",@progbits
; Kernel info:
; codeLenInByte = 0
; NumSgprs: 4
; NumVgprs: 0
; NumAgprs: 0
; TotalNumVgprs: 0
; ScratchSize: 0
; MemoryBound: 0
; FloatMode: 240
; IeeeMode: 1
; LDSByteSize: 0 bytes/workgroup (compile time only)
; SGPRBlocks: 0
; VGPRBlocks: 0
; NumSGPRsForWavesPerEU: 4
; NumVGPRsForWavesPerEU: 1
; AccumOffset: 4
; Occupancy: 8
; WaveLimiterHint : 0
; COMPUTE_PGM_RSRC2:SCRATCH_EN: 0
; COMPUTE_PGM_RSRC2:USER_SGPR: 6
; COMPUTE_PGM_RSRC2:TRAP_HANDLER: 0
; COMPUTE_PGM_RSRC2:TGID_X_EN: 1
; COMPUTE_PGM_RSRC2:TGID_Y_EN: 0
; COMPUTE_PGM_RSRC2:TGID_Z_EN: 0
; COMPUTE_PGM_RSRC2:TIDIG_COMP_CNT: 0
; COMPUTE_PGM_RSRC3_GFX90A:ACCUM_OFFSET: 0
; COMPUTE_PGM_RSRC3_GFX90A:TG_SPLIT: 0
	.section	.text._ZN7rocprim17ROCPRIM_400000_NS6detail17trampoline_kernelINS0_14default_configENS1_25partition_config_selectorILNS1_17partition_subalgoE8ElNS0_10empty_typeEbEEZZNS1_14partition_implILS5_8ELb0ES3_jPlPS6_PKS6_NS0_5tupleIJS9_S6_EEENSD_IJSA_SA_EEENS0_18inequality_wrapperIZN2at6native12_GLOBAL__N_124unique_dim_cuda_templateIjEESt5tupleIJNSH_6TensorESM_SM_EERKSM_lbbbEUlllE0_EEPmJS6_EEE10hipError_tPvRmT3_T4_T5_T6_T7_T9_mT8_P12ihipStream_tbDpT10_ENKUlT_T0_E_clISt17integral_constantIbLb0EES1C_EEDaS17_S18_EUlS17_E_NS1_11comp_targetILNS1_3genE10ELNS1_11target_archE1200ELNS1_3gpuE4ELNS1_3repE0EEENS1_30default_config_static_selectorELNS0_4arch9wavefront6targetE1EEEvT1_,"axG",@progbits,_ZN7rocprim17ROCPRIM_400000_NS6detail17trampoline_kernelINS0_14default_configENS1_25partition_config_selectorILNS1_17partition_subalgoE8ElNS0_10empty_typeEbEEZZNS1_14partition_implILS5_8ELb0ES3_jPlPS6_PKS6_NS0_5tupleIJS9_S6_EEENSD_IJSA_SA_EEENS0_18inequality_wrapperIZN2at6native12_GLOBAL__N_124unique_dim_cuda_templateIjEESt5tupleIJNSH_6TensorESM_SM_EERKSM_lbbbEUlllE0_EEPmJS6_EEE10hipError_tPvRmT3_T4_T5_T6_T7_T9_mT8_P12ihipStream_tbDpT10_ENKUlT_T0_E_clISt17integral_constantIbLb0EES1C_EEDaS17_S18_EUlS17_E_NS1_11comp_targetILNS1_3genE10ELNS1_11target_archE1200ELNS1_3gpuE4ELNS1_3repE0EEENS1_30default_config_static_selectorELNS0_4arch9wavefront6targetE1EEEvT1_,comdat
	.globl	_ZN7rocprim17ROCPRIM_400000_NS6detail17trampoline_kernelINS0_14default_configENS1_25partition_config_selectorILNS1_17partition_subalgoE8ElNS0_10empty_typeEbEEZZNS1_14partition_implILS5_8ELb0ES3_jPlPS6_PKS6_NS0_5tupleIJS9_S6_EEENSD_IJSA_SA_EEENS0_18inequality_wrapperIZN2at6native12_GLOBAL__N_124unique_dim_cuda_templateIjEESt5tupleIJNSH_6TensorESM_SM_EERKSM_lbbbEUlllE0_EEPmJS6_EEE10hipError_tPvRmT3_T4_T5_T6_T7_T9_mT8_P12ihipStream_tbDpT10_ENKUlT_T0_E_clISt17integral_constantIbLb0EES1C_EEDaS17_S18_EUlS17_E_NS1_11comp_targetILNS1_3genE10ELNS1_11target_archE1200ELNS1_3gpuE4ELNS1_3repE0EEENS1_30default_config_static_selectorELNS0_4arch9wavefront6targetE1EEEvT1_ ; -- Begin function _ZN7rocprim17ROCPRIM_400000_NS6detail17trampoline_kernelINS0_14default_configENS1_25partition_config_selectorILNS1_17partition_subalgoE8ElNS0_10empty_typeEbEEZZNS1_14partition_implILS5_8ELb0ES3_jPlPS6_PKS6_NS0_5tupleIJS9_S6_EEENSD_IJSA_SA_EEENS0_18inequality_wrapperIZN2at6native12_GLOBAL__N_124unique_dim_cuda_templateIjEESt5tupleIJNSH_6TensorESM_SM_EERKSM_lbbbEUlllE0_EEPmJS6_EEE10hipError_tPvRmT3_T4_T5_T6_T7_T9_mT8_P12ihipStream_tbDpT10_ENKUlT_T0_E_clISt17integral_constantIbLb0EES1C_EEDaS17_S18_EUlS17_E_NS1_11comp_targetILNS1_3genE10ELNS1_11target_archE1200ELNS1_3gpuE4ELNS1_3repE0EEENS1_30default_config_static_selectorELNS0_4arch9wavefront6targetE1EEEvT1_
	.p2align	8
	.type	_ZN7rocprim17ROCPRIM_400000_NS6detail17trampoline_kernelINS0_14default_configENS1_25partition_config_selectorILNS1_17partition_subalgoE8ElNS0_10empty_typeEbEEZZNS1_14partition_implILS5_8ELb0ES3_jPlPS6_PKS6_NS0_5tupleIJS9_S6_EEENSD_IJSA_SA_EEENS0_18inequality_wrapperIZN2at6native12_GLOBAL__N_124unique_dim_cuda_templateIjEESt5tupleIJNSH_6TensorESM_SM_EERKSM_lbbbEUlllE0_EEPmJS6_EEE10hipError_tPvRmT3_T4_T5_T6_T7_T9_mT8_P12ihipStream_tbDpT10_ENKUlT_T0_E_clISt17integral_constantIbLb0EES1C_EEDaS17_S18_EUlS17_E_NS1_11comp_targetILNS1_3genE10ELNS1_11target_archE1200ELNS1_3gpuE4ELNS1_3repE0EEENS1_30default_config_static_selectorELNS0_4arch9wavefront6targetE1EEEvT1_,@function
_ZN7rocprim17ROCPRIM_400000_NS6detail17trampoline_kernelINS0_14default_configENS1_25partition_config_selectorILNS1_17partition_subalgoE8ElNS0_10empty_typeEbEEZZNS1_14partition_implILS5_8ELb0ES3_jPlPS6_PKS6_NS0_5tupleIJS9_S6_EEENSD_IJSA_SA_EEENS0_18inequality_wrapperIZN2at6native12_GLOBAL__N_124unique_dim_cuda_templateIjEESt5tupleIJNSH_6TensorESM_SM_EERKSM_lbbbEUlllE0_EEPmJS6_EEE10hipError_tPvRmT3_T4_T5_T6_T7_T9_mT8_P12ihipStream_tbDpT10_ENKUlT_T0_E_clISt17integral_constantIbLb0EES1C_EEDaS17_S18_EUlS17_E_NS1_11comp_targetILNS1_3genE10ELNS1_11target_archE1200ELNS1_3gpuE4ELNS1_3repE0EEENS1_30default_config_static_selectorELNS0_4arch9wavefront6targetE1EEEvT1_: ; @_ZN7rocprim17ROCPRIM_400000_NS6detail17trampoline_kernelINS0_14default_configENS1_25partition_config_selectorILNS1_17partition_subalgoE8ElNS0_10empty_typeEbEEZZNS1_14partition_implILS5_8ELb0ES3_jPlPS6_PKS6_NS0_5tupleIJS9_S6_EEENSD_IJSA_SA_EEENS0_18inequality_wrapperIZN2at6native12_GLOBAL__N_124unique_dim_cuda_templateIjEESt5tupleIJNSH_6TensorESM_SM_EERKSM_lbbbEUlllE0_EEPmJS6_EEE10hipError_tPvRmT3_T4_T5_T6_T7_T9_mT8_P12ihipStream_tbDpT10_ENKUlT_T0_E_clISt17integral_constantIbLb0EES1C_EEDaS17_S18_EUlS17_E_NS1_11comp_targetILNS1_3genE10ELNS1_11target_archE1200ELNS1_3gpuE4ELNS1_3repE0EEENS1_30default_config_static_selectorELNS0_4arch9wavefront6targetE1EEEvT1_
; %bb.0:
	.section	.rodata,"a",@progbits
	.p2align	6, 0x0
	.amdhsa_kernel _ZN7rocprim17ROCPRIM_400000_NS6detail17trampoline_kernelINS0_14default_configENS1_25partition_config_selectorILNS1_17partition_subalgoE8ElNS0_10empty_typeEbEEZZNS1_14partition_implILS5_8ELb0ES3_jPlPS6_PKS6_NS0_5tupleIJS9_S6_EEENSD_IJSA_SA_EEENS0_18inequality_wrapperIZN2at6native12_GLOBAL__N_124unique_dim_cuda_templateIjEESt5tupleIJNSH_6TensorESM_SM_EERKSM_lbbbEUlllE0_EEPmJS6_EEE10hipError_tPvRmT3_T4_T5_T6_T7_T9_mT8_P12ihipStream_tbDpT10_ENKUlT_T0_E_clISt17integral_constantIbLb0EES1C_EEDaS17_S18_EUlS17_E_NS1_11comp_targetILNS1_3genE10ELNS1_11target_archE1200ELNS1_3gpuE4ELNS1_3repE0EEENS1_30default_config_static_selectorELNS0_4arch9wavefront6targetE1EEEvT1_
		.amdhsa_group_segment_fixed_size 0
		.amdhsa_private_segment_fixed_size 0
		.amdhsa_kernarg_size 120
		.amdhsa_user_sgpr_count 6
		.amdhsa_user_sgpr_private_segment_buffer 1
		.amdhsa_user_sgpr_dispatch_ptr 0
		.amdhsa_user_sgpr_queue_ptr 0
		.amdhsa_user_sgpr_kernarg_segment_ptr 1
		.amdhsa_user_sgpr_dispatch_id 0
		.amdhsa_user_sgpr_flat_scratch_init 0
		.amdhsa_user_sgpr_kernarg_preload_length 0
		.amdhsa_user_sgpr_kernarg_preload_offset 0
		.amdhsa_user_sgpr_private_segment_size 0
		.amdhsa_uses_dynamic_stack 0
		.amdhsa_system_sgpr_private_segment_wavefront_offset 0
		.amdhsa_system_sgpr_workgroup_id_x 1
		.amdhsa_system_sgpr_workgroup_id_y 0
		.amdhsa_system_sgpr_workgroup_id_z 0
		.amdhsa_system_sgpr_workgroup_info 0
		.amdhsa_system_vgpr_workitem_id 0
		.amdhsa_next_free_vgpr 1
		.amdhsa_next_free_sgpr 0
		.amdhsa_accum_offset 4
		.amdhsa_reserve_vcc 0
		.amdhsa_reserve_flat_scratch 0
		.amdhsa_float_round_mode_32 0
		.amdhsa_float_round_mode_16_64 0
		.amdhsa_float_denorm_mode_32 3
		.amdhsa_float_denorm_mode_16_64 3
		.amdhsa_dx10_clamp 1
		.amdhsa_ieee_mode 1
		.amdhsa_fp16_overflow 0
		.amdhsa_tg_split 0
		.amdhsa_exception_fp_ieee_invalid_op 0
		.amdhsa_exception_fp_denorm_src 0
		.amdhsa_exception_fp_ieee_div_zero 0
		.amdhsa_exception_fp_ieee_overflow 0
		.amdhsa_exception_fp_ieee_underflow 0
		.amdhsa_exception_fp_ieee_inexact 0
		.amdhsa_exception_int_div_zero 0
	.end_amdhsa_kernel
	.section	.text._ZN7rocprim17ROCPRIM_400000_NS6detail17trampoline_kernelINS0_14default_configENS1_25partition_config_selectorILNS1_17partition_subalgoE8ElNS0_10empty_typeEbEEZZNS1_14partition_implILS5_8ELb0ES3_jPlPS6_PKS6_NS0_5tupleIJS9_S6_EEENSD_IJSA_SA_EEENS0_18inequality_wrapperIZN2at6native12_GLOBAL__N_124unique_dim_cuda_templateIjEESt5tupleIJNSH_6TensorESM_SM_EERKSM_lbbbEUlllE0_EEPmJS6_EEE10hipError_tPvRmT3_T4_T5_T6_T7_T9_mT8_P12ihipStream_tbDpT10_ENKUlT_T0_E_clISt17integral_constantIbLb0EES1C_EEDaS17_S18_EUlS17_E_NS1_11comp_targetILNS1_3genE10ELNS1_11target_archE1200ELNS1_3gpuE4ELNS1_3repE0EEENS1_30default_config_static_selectorELNS0_4arch9wavefront6targetE1EEEvT1_,"axG",@progbits,_ZN7rocprim17ROCPRIM_400000_NS6detail17trampoline_kernelINS0_14default_configENS1_25partition_config_selectorILNS1_17partition_subalgoE8ElNS0_10empty_typeEbEEZZNS1_14partition_implILS5_8ELb0ES3_jPlPS6_PKS6_NS0_5tupleIJS9_S6_EEENSD_IJSA_SA_EEENS0_18inequality_wrapperIZN2at6native12_GLOBAL__N_124unique_dim_cuda_templateIjEESt5tupleIJNSH_6TensorESM_SM_EERKSM_lbbbEUlllE0_EEPmJS6_EEE10hipError_tPvRmT3_T4_T5_T6_T7_T9_mT8_P12ihipStream_tbDpT10_ENKUlT_T0_E_clISt17integral_constantIbLb0EES1C_EEDaS17_S18_EUlS17_E_NS1_11comp_targetILNS1_3genE10ELNS1_11target_archE1200ELNS1_3gpuE4ELNS1_3repE0EEENS1_30default_config_static_selectorELNS0_4arch9wavefront6targetE1EEEvT1_,comdat
.Lfunc_end1544:
	.size	_ZN7rocprim17ROCPRIM_400000_NS6detail17trampoline_kernelINS0_14default_configENS1_25partition_config_selectorILNS1_17partition_subalgoE8ElNS0_10empty_typeEbEEZZNS1_14partition_implILS5_8ELb0ES3_jPlPS6_PKS6_NS0_5tupleIJS9_S6_EEENSD_IJSA_SA_EEENS0_18inequality_wrapperIZN2at6native12_GLOBAL__N_124unique_dim_cuda_templateIjEESt5tupleIJNSH_6TensorESM_SM_EERKSM_lbbbEUlllE0_EEPmJS6_EEE10hipError_tPvRmT3_T4_T5_T6_T7_T9_mT8_P12ihipStream_tbDpT10_ENKUlT_T0_E_clISt17integral_constantIbLb0EES1C_EEDaS17_S18_EUlS17_E_NS1_11comp_targetILNS1_3genE10ELNS1_11target_archE1200ELNS1_3gpuE4ELNS1_3repE0EEENS1_30default_config_static_selectorELNS0_4arch9wavefront6targetE1EEEvT1_, .Lfunc_end1544-_ZN7rocprim17ROCPRIM_400000_NS6detail17trampoline_kernelINS0_14default_configENS1_25partition_config_selectorILNS1_17partition_subalgoE8ElNS0_10empty_typeEbEEZZNS1_14partition_implILS5_8ELb0ES3_jPlPS6_PKS6_NS0_5tupleIJS9_S6_EEENSD_IJSA_SA_EEENS0_18inequality_wrapperIZN2at6native12_GLOBAL__N_124unique_dim_cuda_templateIjEESt5tupleIJNSH_6TensorESM_SM_EERKSM_lbbbEUlllE0_EEPmJS6_EEE10hipError_tPvRmT3_T4_T5_T6_T7_T9_mT8_P12ihipStream_tbDpT10_ENKUlT_T0_E_clISt17integral_constantIbLb0EES1C_EEDaS17_S18_EUlS17_E_NS1_11comp_targetILNS1_3genE10ELNS1_11target_archE1200ELNS1_3gpuE4ELNS1_3repE0EEENS1_30default_config_static_selectorELNS0_4arch9wavefront6targetE1EEEvT1_
                                        ; -- End function
	.section	.AMDGPU.csdata,"",@progbits
; Kernel info:
; codeLenInByte = 0
; NumSgprs: 4
; NumVgprs: 0
; NumAgprs: 0
; TotalNumVgprs: 0
; ScratchSize: 0
; MemoryBound: 0
; FloatMode: 240
; IeeeMode: 1
; LDSByteSize: 0 bytes/workgroup (compile time only)
; SGPRBlocks: 0
; VGPRBlocks: 0
; NumSGPRsForWavesPerEU: 4
; NumVGPRsForWavesPerEU: 1
; AccumOffset: 4
; Occupancy: 8
; WaveLimiterHint : 0
; COMPUTE_PGM_RSRC2:SCRATCH_EN: 0
; COMPUTE_PGM_RSRC2:USER_SGPR: 6
; COMPUTE_PGM_RSRC2:TRAP_HANDLER: 0
; COMPUTE_PGM_RSRC2:TGID_X_EN: 1
; COMPUTE_PGM_RSRC2:TGID_Y_EN: 0
; COMPUTE_PGM_RSRC2:TGID_Z_EN: 0
; COMPUTE_PGM_RSRC2:TIDIG_COMP_CNT: 0
; COMPUTE_PGM_RSRC3_GFX90A:ACCUM_OFFSET: 0
; COMPUTE_PGM_RSRC3_GFX90A:TG_SPLIT: 0
	.section	.text._ZN7rocprim17ROCPRIM_400000_NS6detail17trampoline_kernelINS0_14default_configENS1_25partition_config_selectorILNS1_17partition_subalgoE8ElNS0_10empty_typeEbEEZZNS1_14partition_implILS5_8ELb0ES3_jPlPS6_PKS6_NS0_5tupleIJS9_S6_EEENSD_IJSA_SA_EEENS0_18inequality_wrapperIZN2at6native12_GLOBAL__N_124unique_dim_cuda_templateIjEESt5tupleIJNSH_6TensorESM_SM_EERKSM_lbbbEUlllE0_EEPmJS6_EEE10hipError_tPvRmT3_T4_T5_T6_T7_T9_mT8_P12ihipStream_tbDpT10_ENKUlT_T0_E_clISt17integral_constantIbLb0EES1C_EEDaS17_S18_EUlS17_E_NS1_11comp_targetILNS1_3genE9ELNS1_11target_archE1100ELNS1_3gpuE3ELNS1_3repE0EEENS1_30default_config_static_selectorELNS0_4arch9wavefront6targetE1EEEvT1_,"axG",@progbits,_ZN7rocprim17ROCPRIM_400000_NS6detail17trampoline_kernelINS0_14default_configENS1_25partition_config_selectorILNS1_17partition_subalgoE8ElNS0_10empty_typeEbEEZZNS1_14partition_implILS5_8ELb0ES3_jPlPS6_PKS6_NS0_5tupleIJS9_S6_EEENSD_IJSA_SA_EEENS0_18inequality_wrapperIZN2at6native12_GLOBAL__N_124unique_dim_cuda_templateIjEESt5tupleIJNSH_6TensorESM_SM_EERKSM_lbbbEUlllE0_EEPmJS6_EEE10hipError_tPvRmT3_T4_T5_T6_T7_T9_mT8_P12ihipStream_tbDpT10_ENKUlT_T0_E_clISt17integral_constantIbLb0EES1C_EEDaS17_S18_EUlS17_E_NS1_11comp_targetILNS1_3genE9ELNS1_11target_archE1100ELNS1_3gpuE3ELNS1_3repE0EEENS1_30default_config_static_selectorELNS0_4arch9wavefront6targetE1EEEvT1_,comdat
	.globl	_ZN7rocprim17ROCPRIM_400000_NS6detail17trampoline_kernelINS0_14default_configENS1_25partition_config_selectorILNS1_17partition_subalgoE8ElNS0_10empty_typeEbEEZZNS1_14partition_implILS5_8ELb0ES3_jPlPS6_PKS6_NS0_5tupleIJS9_S6_EEENSD_IJSA_SA_EEENS0_18inequality_wrapperIZN2at6native12_GLOBAL__N_124unique_dim_cuda_templateIjEESt5tupleIJNSH_6TensorESM_SM_EERKSM_lbbbEUlllE0_EEPmJS6_EEE10hipError_tPvRmT3_T4_T5_T6_T7_T9_mT8_P12ihipStream_tbDpT10_ENKUlT_T0_E_clISt17integral_constantIbLb0EES1C_EEDaS17_S18_EUlS17_E_NS1_11comp_targetILNS1_3genE9ELNS1_11target_archE1100ELNS1_3gpuE3ELNS1_3repE0EEENS1_30default_config_static_selectorELNS0_4arch9wavefront6targetE1EEEvT1_ ; -- Begin function _ZN7rocprim17ROCPRIM_400000_NS6detail17trampoline_kernelINS0_14default_configENS1_25partition_config_selectorILNS1_17partition_subalgoE8ElNS0_10empty_typeEbEEZZNS1_14partition_implILS5_8ELb0ES3_jPlPS6_PKS6_NS0_5tupleIJS9_S6_EEENSD_IJSA_SA_EEENS0_18inequality_wrapperIZN2at6native12_GLOBAL__N_124unique_dim_cuda_templateIjEESt5tupleIJNSH_6TensorESM_SM_EERKSM_lbbbEUlllE0_EEPmJS6_EEE10hipError_tPvRmT3_T4_T5_T6_T7_T9_mT8_P12ihipStream_tbDpT10_ENKUlT_T0_E_clISt17integral_constantIbLb0EES1C_EEDaS17_S18_EUlS17_E_NS1_11comp_targetILNS1_3genE9ELNS1_11target_archE1100ELNS1_3gpuE3ELNS1_3repE0EEENS1_30default_config_static_selectorELNS0_4arch9wavefront6targetE1EEEvT1_
	.p2align	8
	.type	_ZN7rocprim17ROCPRIM_400000_NS6detail17trampoline_kernelINS0_14default_configENS1_25partition_config_selectorILNS1_17partition_subalgoE8ElNS0_10empty_typeEbEEZZNS1_14partition_implILS5_8ELb0ES3_jPlPS6_PKS6_NS0_5tupleIJS9_S6_EEENSD_IJSA_SA_EEENS0_18inequality_wrapperIZN2at6native12_GLOBAL__N_124unique_dim_cuda_templateIjEESt5tupleIJNSH_6TensorESM_SM_EERKSM_lbbbEUlllE0_EEPmJS6_EEE10hipError_tPvRmT3_T4_T5_T6_T7_T9_mT8_P12ihipStream_tbDpT10_ENKUlT_T0_E_clISt17integral_constantIbLb0EES1C_EEDaS17_S18_EUlS17_E_NS1_11comp_targetILNS1_3genE9ELNS1_11target_archE1100ELNS1_3gpuE3ELNS1_3repE0EEENS1_30default_config_static_selectorELNS0_4arch9wavefront6targetE1EEEvT1_,@function
_ZN7rocprim17ROCPRIM_400000_NS6detail17trampoline_kernelINS0_14default_configENS1_25partition_config_selectorILNS1_17partition_subalgoE8ElNS0_10empty_typeEbEEZZNS1_14partition_implILS5_8ELb0ES3_jPlPS6_PKS6_NS0_5tupleIJS9_S6_EEENSD_IJSA_SA_EEENS0_18inequality_wrapperIZN2at6native12_GLOBAL__N_124unique_dim_cuda_templateIjEESt5tupleIJNSH_6TensorESM_SM_EERKSM_lbbbEUlllE0_EEPmJS6_EEE10hipError_tPvRmT3_T4_T5_T6_T7_T9_mT8_P12ihipStream_tbDpT10_ENKUlT_T0_E_clISt17integral_constantIbLb0EES1C_EEDaS17_S18_EUlS17_E_NS1_11comp_targetILNS1_3genE9ELNS1_11target_archE1100ELNS1_3gpuE3ELNS1_3repE0EEENS1_30default_config_static_selectorELNS0_4arch9wavefront6targetE1EEEvT1_: ; @_ZN7rocprim17ROCPRIM_400000_NS6detail17trampoline_kernelINS0_14default_configENS1_25partition_config_selectorILNS1_17partition_subalgoE8ElNS0_10empty_typeEbEEZZNS1_14partition_implILS5_8ELb0ES3_jPlPS6_PKS6_NS0_5tupleIJS9_S6_EEENSD_IJSA_SA_EEENS0_18inequality_wrapperIZN2at6native12_GLOBAL__N_124unique_dim_cuda_templateIjEESt5tupleIJNSH_6TensorESM_SM_EERKSM_lbbbEUlllE0_EEPmJS6_EEE10hipError_tPvRmT3_T4_T5_T6_T7_T9_mT8_P12ihipStream_tbDpT10_ENKUlT_T0_E_clISt17integral_constantIbLb0EES1C_EEDaS17_S18_EUlS17_E_NS1_11comp_targetILNS1_3genE9ELNS1_11target_archE1100ELNS1_3gpuE3ELNS1_3repE0EEENS1_30default_config_static_selectorELNS0_4arch9wavefront6targetE1EEEvT1_
; %bb.0:
	.section	.rodata,"a",@progbits
	.p2align	6, 0x0
	.amdhsa_kernel _ZN7rocprim17ROCPRIM_400000_NS6detail17trampoline_kernelINS0_14default_configENS1_25partition_config_selectorILNS1_17partition_subalgoE8ElNS0_10empty_typeEbEEZZNS1_14partition_implILS5_8ELb0ES3_jPlPS6_PKS6_NS0_5tupleIJS9_S6_EEENSD_IJSA_SA_EEENS0_18inequality_wrapperIZN2at6native12_GLOBAL__N_124unique_dim_cuda_templateIjEESt5tupleIJNSH_6TensorESM_SM_EERKSM_lbbbEUlllE0_EEPmJS6_EEE10hipError_tPvRmT3_T4_T5_T6_T7_T9_mT8_P12ihipStream_tbDpT10_ENKUlT_T0_E_clISt17integral_constantIbLb0EES1C_EEDaS17_S18_EUlS17_E_NS1_11comp_targetILNS1_3genE9ELNS1_11target_archE1100ELNS1_3gpuE3ELNS1_3repE0EEENS1_30default_config_static_selectorELNS0_4arch9wavefront6targetE1EEEvT1_
		.amdhsa_group_segment_fixed_size 0
		.amdhsa_private_segment_fixed_size 0
		.amdhsa_kernarg_size 120
		.amdhsa_user_sgpr_count 6
		.amdhsa_user_sgpr_private_segment_buffer 1
		.amdhsa_user_sgpr_dispatch_ptr 0
		.amdhsa_user_sgpr_queue_ptr 0
		.amdhsa_user_sgpr_kernarg_segment_ptr 1
		.amdhsa_user_sgpr_dispatch_id 0
		.amdhsa_user_sgpr_flat_scratch_init 0
		.amdhsa_user_sgpr_kernarg_preload_length 0
		.amdhsa_user_sgpr_kernarg_preload_offset 0
		.amdhsa_user_sgpr_private_segment_size 0
		.amdhsa_uses_dynamic_stack 0
		.amdhsa_system_sgpr_private_segment_wavefront_offset 0
		.amdhsa_system_sgpr_workgroup_id_x 1
		.amdhsa_system_sgpr_workgroup_id_y 0
		.amdhsa_system_sgpr_workgroup_id_z 0
		.amdhsa_system_sgpr_workgroup_info 0
		.amdhsa_system_vgpr_workitem_id 0
		.amdhsa_next_free_vgpr 1
		.amdhsa_next_free_sgpr 0
		.amdhsa_accum_offset 4
		.amdhsa_reserve_vcc 0
		.amdhsa_reserve_flat_scratch 0
		.amdhsa_float_round_mode_32 0
		.amdhsa_float_round_mode_16_64 0
		.amdhsa_float_denorm_mode_32 3
		.amdhsa_float_denorm_mode_16_64 3
		.amdhsa_dx10_clamp 1
		.amdhsa_ieee_mode 1
		.amdhsa_fp16_overflow 0
		.amdhsa_tg_split 0
		.amdhsa_exception_fp_ieee_invalid_op 0
		.amdhsa_exception_fp_denorm_src 0
		.amdhsa_exception_fp_ieee_div_zero 0
		.amdhsa_exception_fp_ieee_overflow 0
		.amdhsa_exception_fp_ieee_underflow 0
		.amdhsa_exception_fp_ieee_inexact 0
		.amdhsa_exception_int_div_zero 0
	.end_amdhsa_kernel
	.section	.text._ZN7rocprim17ROCPRIM_400000_NS6detail17trampoline_kernelINS0_14default_configENS1_25partition_config_selectorILNS1_17partition_subalgoE8ElNS0_10empty_typeEbEEZZNS1_14partition_implILS5_8ELb0ES3_jPlPS6_PKS6_NS0_5tupleIJS9_S6_EEENSD_IJSA_SA_EEENS0_18inequality_wrapperIZN2at6native12_GLOBAL__N_124unique_dim_cuda_templateIjEESt5tupleIJNSH_6TensorESM_SM_EERKSM_lbbbEUlllE0_EEPmJS6_EEE10hipError_tPvRmT3_T4_T5_T6_T7_T9_mT8_P12ihipStream_tbDpT10_ENKUlT_T0_E_clISt17integral_constantIbLb0EES1C_EEDaS17_S18_EUlS17_E_NS1_11comp_targetILNS1_3genE9ELNS1_11target_archE1100ELNS1_3gpuE3ELNS1_3repE0EEENS1_30default_config_static_selectorELNS0_4arch9wavefront6targetE1EEEvT1_,"axG",@progbits,_ZN7rocprim17ROCPRIM_400000_NS6detail17trampoline_kernelINS0_14default_configENS1_25partition_config_selectorILNS1_17partition_subalgoE8ElNS0_10empty_typeEbEEZZNS1_14partition_implILS5_8ELb0ES3_jPlPS6_PKS6_NS0_5tupleIJS9_S6_EEENSD_IJSA_SA_EEENS0_18inequality_wrapperIZN2at6native12_GLOBAL__N_124unique_dim_cuda_templateIjEESt5tupleIJNSH_6TensorESM_SM_EERKSM_lbbbEUlllE0_EEPmJS6_EEE10hipError_tPvRmT3_T4_T5_T6_T7_T9_mT8_P12ihipStream_tbDpT10_ENKUlT_T0_E_clISt17integral_constantIbLb0EES1C_EEDaS17_S18_EUlS17_E_NS1_11comp_targetILNS1_3genE9ELNS1_11target_archE1100ELNS1_3gpuE3ELNS1_3repE0EEENS1_30default_config_static_selectorELNS0_4arch9wavefront6targetE1EEEvT1_,comdat
.Lfunc_end1545:
	.size	_ZN7rocprim17ROCPRIM_400000_NS6detail17trampoline_kernelINS0_14default_configENS1_25partition_config_selectorILNS1_17partition_subalgoE8ElNS0_10empty_typeEbEEZZNS1_14partition_implILS5_8ELb0ES3_jPlPS6_PKS6_NS0_5tupleIJS9_S6_EEENSD_IJSA_SA_EEENS0_18inequality_wrapperIZN2at6native12_GLOBAL__N_124unique_dim_cuda_templateIjEESt5tupleIJNSH_6TensorESM_SM_EERKSM_lbbbEUlllE0_EEPmJS6_EEE10hipError_tPvRmT3_T4_T5_T6_T7_T9_mT8_P12ihipStream_tbDpT10_ENKUlT_T0_E_clISt17integral_constantIbLb0EES1C_EEDaS17_S18_EUlS17_E_NS1_11comp_targetILNS1_3genE9ELNS1_11target_archE1100ELNS1_3gpuE3ELNS1_3repE0EEENS1_30default_config_static_selectorELNS0_4arch9wavefront6targetE1EEEvT1_, .Lfunc_end1545-_ZN7rocprim17ROCPRIM_400000_NS6detail17trampoline_kernelINS0_14default_configENS1_25partition_config_selectorILNS1_17partition_subalgoE8ElNS0_10empty_typeEbEEZZNS1_14partition_implILS5_8ELb0ES3_jPlPS6_PKS6_NS0_5tupleIJS9_S6_EEENSD_IJSA_SA_EEENS0_18inequality_wrapperIZN2at6native12_GLOBAL__N_124unique_dim_cuda_templateIjEESt5tupleIJNSH_6TensorESM_SM_EERKSM_lbbbEUlllE0_EEPmJS6_EEE10hipError_tPvRmT3_T4_T5_T6_T7_T9_mT8_P12ihipStream_tbDpT10_ENKUlT_T0_E_clISt17integral_constantIbLb0EES1C_EEDaS17_S18_EUlS17_E_NS1_11comp_targetILNS1_3genE9ELNS1_11target_archE1100ELNS1_3gpuE3ELNS1_3repE0EEENS1_30default_config_static_selectorELNS0_4arch9wavefront6targetE1EEEvT1_
                                        ; -- End function
	.section	.AMDGPU.csdata,"",@progbits
; Kernel info:
; codeLenInByte = 0
; NumSgprs: 4
; NumVgprs: 0
; NumAgprs: 0
; TotalNumVgprs: 0
; ScratchSize: 0
; MemoryBound: 0
; FloatMode: 240
; IeeeMode: 1
; LDSByteSize: 0 bytes/workgroup (compile time only)
; SGPRBlocks: 0
; VGPRBlocks: 0
; NumSGPRsForWavesPerEU: 4
; NumVGPRsForWavesPerEU: 1
; AccumOffset: 4
; Occupancy: 8
; WaveLimiterHint : 0
; COMPUTE_PGM_RSRC2:SCRATCH_EN: 0
; COMPUTE_PGM_RSRC2:USER_SGPR: 6
; COMPUTE_PGM_RSRC2:TRAP_HANDLER: 0
; COMPUTE_PGM_RSRC2:TGID_X_EN: 1
; COMPUTE_PGM_RSRC2:TGID_Y_EN: 0
; COMPUTE_PGM_RSRC2:TGID_Z_EN: 0
; COMPUTE_PGM_RSRC2:TIDIG_COMP_CNT: 0
; COMPUTE_PGM_RSRC3_GFX90A:ACCUM_OFFSET: 0
; COMPUTE_PGM_RSRC3_GFX90A:TG_SPLIT: 0
	.section	.text._ZN7rocprim17ROCPRIM_400000_NS6detail17trampoline_kernelINS0_14default_configENS1_25partition_config_selectorILNS1_17partition_subalgoE8ElNS0_10empty_typeEbEEZZNS1_14partition_implILS5_8ELb0ES3_jPlPS6_PKS6_NS0_5tupleIJS9_S6_EEENSD_IJSA_SA_EEENS0_18inequality_wrapperIZN2at6native12_GLOBAL__N_124unique_dim_cuda_templateIjEESt5tupleIJNSH_6TensorESM_SM_EERKSM_lbbbEUlllE0_EEPmJS6_EEE10hipError_tPvRmT3_T4_T5_T6_T7_T9_mT8_P12ihipStream_tbDpT10_ENKUlT_T0_E_clISt17integral_constantIbLb0EES1C_EEDaS17_S18_EUlS17_E_NS1_11comp_targetILNS1_3genE8ELNS1_11target_archE1030ELNS1_3gpuE2ELNS1_3repE0EEENS1_30default_config_static_selectorELNS0_4arch9wavefront6targetE1EEEvT1_,"axG",@progbits,_ZN7rocprim17ROCPRIM_400000_NS6detail17trampoline_kernelINS0_14default_configENS1_25partition_config_selectorILNS1_17partition_subalgoE8ElNS0_10empty_typeEbEEZZNS1_14partition_implILS5_8ELb0ES3_jPlPS6_PKS6_NS0_5tupleIJS9_S6_EEENSD_IJSA_SA_EEENS0_18inequality_wrapperIZN2at6native12_GLOBAL__N_124unique_dim_cuda_templateIjEESt5tupleIJNSH_6TensorESM_SM_EERKSM_lbbbEUlllE0_EEPmJS6_EEE10hipError_tPvRmT3_T4_T5_T6_T7_T9_mT8_P12ihipStream_tbDpT10_ENKUlT_T0_E_clISt17integral_constantIbLb0EES1C_EEDaS17_S18_EUlS17_E_NS1_11comp_targetILNS1_3genE8ELNS1_11target_archE1030ELNS1_3gpuE2ELNS1_3repE0EEENS1_30default_config_static_selectorELNS0_4arch9wavefront6targetE1EEEvT1_,comdat
	.globl	_ZN7rocprim17ROCPRIM_400000_NS6detail17trampoline_kernelINS0_14default_configENS1_25partition_config_selectorILNS1_17partition_subalgoE8ElNS0_10empty_typeEbEEZZNS1_14partition_implILS5_8ELb0ES3_jPlPS6_PKS6_NS0_5tupleIJS9_S6_EEENSD_IJSA_SA_EEENS0_18inequality_wrapperIZN2at6native12_GLOBAL__N_124unique_dim_cuda_templateIjEESt5tupleIJNSH_6TensorESM_SM_EERKSM_lbbbEUlllE0_EEPmJS6_EEE10hipError_tPvRmT3_T4_T5_T6_T7_T9_mT8_P12ihipStream_tbDpT10_ENKUlT_T0_E_clISt17integral_constantIbLb0EES1C_EEDaS17_S18_EUlS17_E_NS1_11comp_targetILNS1_3genE8ELNS1_11target_archE1030ELNS1_3gpuE2ELNS1_3repE0EEENS1_30default_config_static_selectorELNS0_4arch9wavefront6targetE1EEEvT1_ ; -- Begin function _ZN7rocprim17ROCPRIM_400000_NS6detail17trampoline_kernelINS0_14default_configENS1_25partition_config_selectorILNS1_17partition_subalgoE8ElNS0_10empty_typeEbEEZZNS1_14partition_implILS5_8ELb0ES3_jPlPS6_PKS6_NS0_5tupleIJS9_S6_EEENSD_IJSA_SA_EEENS0_18inequality_wrapperIZN2at6native12_GLOBAL__N_124unique_dim_cuda_templateIjEESt5tupleIJNSH_6TensorESM_SM_EERKSM_lbbbEUlllE0_EEPmJS6_EEE10hipError_tPvRmT3_T4_T5_T6_T7_T9_mT8_P12ihipStream_tbDpT10_ENKUlT_T0_E_clISt17integral_constantIbLb0EES1C_EEDaS17_S18_EUlS17_E_NS1_11comp_targetILNS1_3genE8ELNS1_11target_archE1030ELNS1_3gpuE2ELNS1_3repE0EEENS1_30default_config_static_selectorELNS0_4arch9wavefront6targetE1EEEvT1_
	.p2align	8
	.type	_ZN7rocprim17ROCPRIM_400000_NS6detail17trampoline_kernelINS0_14default_configENS1_25partition_config_selectorILNS1_17partition_subalgoE8ElNS0_10empty_typeEbEEZZNS1_14partition_implILS5_8ELb0ES3_jPlPS6_PKS6_NS0_5tupleIJS9_S6_EEENSD_IJSA_SA_EEENS0_18inequality_wrapperIZN2at6native12_GLOBAL__N_124unique_dim_cuda_templateIjEESt5tupleIJNSH_6TensorESM_SM_EERKSM_lbbbEUlllE0_EEPmJS6_EEE10hipError_tPvRmT3_T4_T5_T6_T7_T9_mT8_P12ihipStream_tbDpT10_ENKUlT_T0_E_clISt17integral_constantIbLb0EES1C_EEDaS17_S18_EUlS17_E_NS1_11comp_targetILNS1_3genE8ELNS1_11target_archE1030ELNS1_3gpuE2ELNS1_3repE0EEENS1_30default_config_static_selectorELNS0_4arch9wavefront6targetE1EEEvT1_,@function
_ZN7rocprim17ROCPRIM_400000_NS6detail17trampoline_kernelINS0_14default_configENS1_25partition_config_selectorILNS1_17partition_subalgoE8ElNS0_10empty_typeEbEEZZNS1_14partition_implILS5_8ELb0ES3_jPlPS6_PKS6_NS0_5tupleIJS9_S6_EEENSD_IJSA_SA_EEENS0_18inequality_wrapperIZN2at6native12_GLOBAL__N_124unique_dim_cuda_templateIjEESt5tupleIJNSH_6TensorESM_SM_EERKSM_lbbbEUlllE0_EEPmJS6_EEE10hipError_tPvRmT3_T4_T5_T6_T7_T9_mT8_P12ihipStream_tbDpT10_ENKUlT_T0_E_clISt17integral_constantIbLb0EES1C_EEDaS17_S18_EUlS17_E_NS1_11comp_targetILNS1_3genE8ELNS1_11target_archE1030ELNS1_3gpuE2ELNS1_3repE0EEENS1_30default_config_static_selectorELNS0_4arch9wavefront6targetE1EEEvT1_: ; @_ZN7rocprim17ROCPRIM_400000_NS6detail17trampoline_kernelINS0_14default_configENS1_25partition_config_selectorILNS1_17partition_subalgoE8ElNS0_10empty_typeEbEEZZNS1_14partition_implILS5_8ELb0ES3_jPlPS6_PKS6_NS0_5tupleIJS9_S6_EEENSD_IJSA_SA_EEENS0_18inequality_wrapperIZN2at6native12_GLOBAL__N_124unique_dim_cuda_templateIjEESt5tupleIJNSH_6TensorESM_SM_EERKSM_lbbbEUlllE0_EEPmJS6_EEE10hipError_tPvRmT3_T4_T5_T6_T7_T9_mT8_P12ihipStream_tbDpT10_ENKUlT_T0_E_clISt17integral_constantIbLb0EES1C_EEDaS17_S18_EUlS17_E_NS1_11comp_targetILNS1_3genE8ELNS1_11target_archE1030ELNS1_3gpuE2ELNS1_3repE0EEENS1_30default_config_static_selectorELNS0_4arch9wavefront6targetE1EEEvT1_
; %bb.0:
	.section	.rodata,"a",@progbits
	.p2align	6, 0x0
	.amdhsa_kernel _ZN7rocprim17ROCPRIM_400000_NS6detail17trampoline_kernelINS0_14default_configENS1_25partition_config_selectorILNS1_17partition_subalgoE8ElNS0_10empty_typeEbEEZZNS1_14partition_implILS5_8ELb0ES3_jPlPS6_PKS6_NS0_5tupleIJS9_S6_EEENSD_IJSA_SA_EEENS0_18inequality_wrapperIZN2at6native12_GLOBAL__N_124unique_dim_cuda_templateIjEESt5tupleIJNSH_6TensorESM_SM_EERKSM_lbbbEUlllE0_EEPmJS6_EEE10hipError_tPvRmT3_T4_T5_T6_T7_T9_mT8_P12ihipStream_tbDpT10_ENKUlT_T0_E_clISt17integral_constantIbLb0EES1C_EEDaS17_S18_EUlS17_E_NS1_11comp_targetILNS1_3genE8ELNS1_11target_archE1030ELNS1_3gpuE2ELNS1_3repE0EEENS1_30default_config_static_selectorELNS0_4arch9wavefront6targetE1EEEvT1_
		.amdhsa_group_segment_fixed_size 0
		.amdhsa_private_segment_fixed_size 0
		.amdhsa_kernarg_size 120
		.amdhsa_user_sgpr_count 6
		.amdhsa_user_sgpr_private_segment_buffer 1
		.amdhsa_user_sgpr_dispatch_ptr 0
		.amdhsa_user_sgpr_queue_ptr 0
		.amdhsa_user_sgpr_kernarg_segment_ptr 1
		.amdhsa_user_sgpr_dispatch_id 0
		.amdhsa_user_sgpr_flat_scratch_init 0
		.amdhsa_user_sgpr_kernarg_preload_length 0
		.amdhsa_user_sgpr_kernarg_preload_offset 0
		.amdhsa_user_sgpr_private_segment_size 0
		.amdhsa_uses_dynamic_stack 0
		.amdhsa_system_sgpr_private_segment_wavefront_offset 0
		.amdhsa_system_sgpr_workgroup_id_x 1
		.amdhsa_system_sgpr_workgroup_id_y 0
		.amdhsa_system_sgpr_workgroup_id_z 0
		.amdhsa_system_sgpr_workgroup_info 0
		.amdhsa_system_vgpr_workitem_id 0
		.amdhsa_next_free_vgpr 1
		.amdhsa_next_free_sgpr 0
		.amdhsa_accum_offset 4
		.amdhsa_reserve_vcc 0
		.amdhsa_reserve_flat_scratch 0
		.amdhsa_float_round_mode_32 0
		.amdhsa_float_round_mode_16_64 0
		.amdhsa_float_denorm_mode_32 3
		.amdhsa_float_denorm_mode_16_64 3
		.amdhsa_dx10_clamp 1
		.amdhsa_ieee_mode 1
		.amdhsa_fp16_overflow 0
		.amdhsa_tg_split 0
		.amdhsa_exception_fp_ieee_invalid_op 0
		.amdhsa_exception_fp_denorm_src 0
		.amdhsa_exception_fp_ieee_div_zero 0
		.amdhsa_exception_fp_ieee_overflow 0
		.amdhsa_exception_fp_ieee_underflow 0
		.amdhsa_exception_fp_ieee_inexact 0
		.amdhsa_exception_int_div_zero 0
	.end_amdhsa_kernel
	.section	.text._ZN7rocprim17ROCPRIM_400000_NS6detail17trampoline_kernelINS0_14default_configENS1_25partition_config_selectorILNS1_17partition_subalgoE8ElNS0_10empty_typeEbEEZZNS1_14partition_implILS5_8ELb0ES3_jPlPS6_PKS6_NS0_5tupleIJS9_S6_EEENSD_IJSA_SA_EEENS0_18inequality_wrapperIZN2at6native12_GLOBAL__N_124unique_dim_cuda_templateIjEESt5tupleIJNSH_6TensorESM_SM_EERKSM_lbbbEUlllE0_EEPmJS6_EEE10hipError_tPvRmT3_T4_T5_T6_T7_T9_mT8_P12ihipStream_tbDpT10_ENKUlT_T0_E_clISt17integral_constantIbLb0EES1C_EEDaS17_S18_EUlS17_E_NS1_11comp_targetILNS1_3genE8ELNS1_11target_archE1030ELNS1_3gpuE2ELNS1_3repE0EEENS1_30default_config_static_selectorELNS0_4arch9wavefront6targetE1EEEvT1_,"axG",@progbits,_ZN7rocprim17ROCPRIM_400000_NS6detail17trampoline_kernelINS0_14default_configENS1_25partition_config_selectorILNS1_17partition_subalgoE8ElNS0_10empty_typeEbEEZZNS1_14partition_implILS5_8ELb0ES3_jPlPS6_PKS6_NS0_5tupleIJS9_S6_EEENSD_IJSA_SA_EEENS0_18inequality_wrapperIZN2at6native12_GLOBAL__N_124unique_dim_cuda_templateIjEESt5tupleIJNSH_6TensorESM_SM_EERKSM_lbbbEUlllE0_EEPmJS6_EEE10hipError_tPvRmT3_T4_T5_T6_T7_T9_mT8_P12ihipStream_tbDpT10_ENKUlT_T0_E_clISt17integral_constantIbLb0EES1C_EEDaS17_S18_EUlS17_E_NS1_11comp_targetILNS1_3genE8ELNS1_11target_archE1030ELNS1_3gpuE2ELNS1_3repE0EEENS1_30default_config_static_selectorELNS0_4arch9wavefront6targetE1EEEvT1_,comdat
.Lfunc_end1546:
	.size	_ZN7rocprim17ROCPRIM_400000_NS6detail17trampoline_kernelINS0_14default_configENS1_25partition_config_selectorILNS1_17partition_subalgoE8ElNS0_10empty_typeEbEEZZNS1_14partition_implILS5_8ELb0ES3_jPlPS6_PKS6_NS0_5tupleIJS9_S6_EEENSD_IJSA_SA_EEENS0_18inequality_wrapperIZN2at6native12_GLOBAL__N_124unique_dim_cuda_templateIjEESt5tupleIJNSH_6TensorESM_SM_EERKSM_lbbbEUlllE0_EEPmJS6_EEE10hipError_tPvRmT3_T4_T5_T6_T7_T9_mT8_P12ihipStream_tbDpT10_ENKUlT_T0_E_clISt17integral_constantIbLb0EES1C_EEDaS17_S18_EUlS17_E_NS1_11comp_targetILNS1_3genE8ELNS1_11target_archE1030ELNS1_3gpuE2ELNS1_3repE0EEENS1_30default_config_static_selectorELNS0_4arch9wavefront6targetE1EEEvT1_, .Lfunc_end1546-_ZN7rocprim17ROCPRIM_400000_NS6detail17trampoline_kernelINS0_14default_configENS1_25partition_config_selectorILNS1_17partition_subalgoE8ElNS0_10empty_typeEbEEZZNS1_14partition_implILS5_8ELb0ES3_jPlPS6_PKS6_NS0_5tupleIJS9_S6_EEENSD_IJSA_SA_EEENS0_18inequality_wrapperIZN2at6native12_GLOBAL__N_124unique_dim_cuda_templateIjEESt5tupleIJNSH_6TensorESM_SM_EERKSM_lbbbEUlllE0_EEPmJS6_EEE10hipError_tPvRmT3_T4_T5_T6_T7_T9_mT8_P12ihipStream_tbDpT10_ENKUlT_T0_E_clISt17integral_constantIbLb0EES1C_EEDaS17_S18_EUlS17_E_NS1_11comp_targetILNS1_3genE8ELNS1_11target_archE1030ELNS1_3gpuE2ELNS1_3repE0EEENS1_30default_config_static_selectorELNS0_4arch9wavefront6targetE1EEEvT1_
                                        ; -- End function
	.section	.AMDGPU.csdata,"",@progbits
; Kernel info:
; codeLenInByte = 0
; NumSgprs: 4
; NumVgprs: 0
; NumAgprs: 0
; TotalNumVgprs: 0
; ScratchSize: 0
; MemoryBound: 0
; FloatMode: 240
; IeeeMode: 1
; LDSByteSize: 0 bytes/workgroup (compile time only)
; SGPRBlocks: 0
; VGPRBlocks: 0
; NumSGPRsForWavesPerEU: 4
; NumVGPRsForWavesPerEU: 1
; AccumOffset: 4
; Occupancy: 8
; WaveLimiterHint : 0
; COMPUTE_PGM_RSRC2:SCRATCH_EN: 0
; COMPUTE_PGM_RSRC2:USER_SGPR: 6
; COMPUTE_PGM_RSRC2:TRAP_HANDLER: 0
; COMPUTE_PGM_RSRC2:TGID_X_EN: 1
; COMPUTE_PGM_RSRC2:TGID_Y_EN: 0
; COMPUTE_PGM_RSRC2:TGID_Z_EN: 0
; COMPUTE_PGM_RSRC2:TIDIG_COMP_CNT: 0
; COMPUTE_PGM_RSRC3_GFX90A:ACCUM_OFFSET: 0
; COMPUTE_PGM_RSRC3_GFX90A:TG_SPLIT: 0
	.section	.text._ZN7rocprim17ROCPRIM_400000_NS6detail17trampoline_kernelINS0_14default_configENS1_25partition_config_selectorILNS1_17partition_subalgoE8ElNS0_10empty_typeEbEEZZNS1_14partition_implILS5_8ELb0ES3_jPlPS6_PKS6_NS0_5tupleIJS9_S6_EEENSD_IJSA_SA_EEENS0_18inequality_wrapperIZN2at6native12_GLOBAL__N_124unique_dim_cuda_templateIjEESt5tupleIJNSH_6TensorESM_SM_EERKSM_lbbbEUlllE0_EEPmJS6_EEE10hipError_tPvRmT3_T4_T5_T6_T7_T9_mT8_P12ihipStream_tbDpT10_ENKUlT_T0_E_clISt17integral_constantIbLb1EES1C_EEDaS17_S18_EUlS17_E_NS1_11comp_targetILNS1_3genE0ELNS1_11target_archE4294967295ELNS1_3gpuE0ELNS1_3repE0EEENS1_30default_config_static_selectorELNS0_4arch9wavefront6targetE1EEEvT1_,"axG",@progbits,_ZN7rocprim17ROCPRIM_400000_NS6detail17trampoline_kernelINS0_14default_configENS1_25partition_config_selectorILNS1_17partition_subalgoE8ElNS0_10empty_typeEbEEZZNS1_14partition_implILS5_8ELb0ES3_jPlPS6_PKS6_NS0_5tupleIJS9_S6_EEENSD_IJSA_SA_EEENS0_18inequality_wrapperIZN2at6native12_GLOBAL__N_124unique_dim_cuda_templateIjEESt5tupleIJNSH_6TensorESM_SM_EERKSM_lbbbEUlllE0_EEPmJS6_EEE10hipError_tPvRmT3_T4_T5_T6_T7_T9_mT8_P12ihipStream_tbDpT10_ENKUlT_T0_E_clISt17integral_constantIbLb1EES1C_EEDaS17_S18_EUlS17_E_NS1_11comp_targetILNS1_3genE0ELNS1_11target_archE4294967295ELNS1_3gpuE0ELNS1_3repE0EEENS1_30default_config_static_selectorELNS0_4arch9wavefront6targetE1EEEvT1_,comdat
	.globl	_ZN7rocprim17ROCPRIM_400000_NS6detail17trampoline_kernelINS0_14default_configENS1_25partition_config_selectorILNS1_17partition_subalgoE8ElNS0_10empty_typeEbEEZZNS1_14partition_implILS5_8ELb0ES3_jPlPS6_PKS6_NS0_5tupleIJS9_S6_EEENSD_IJSA_SA_EEENS0_18inequality_wrapperIZN2at6native12_GLOBAL__N_124unique_dim_cuda_templateIjEESt5tupleIJNSH_6TensorESM_SM_EERKSM_lbbbEUlllE0_EEPmJS6_EEE10hipError_tPvRmT3_T4_T5_T6_T7_T9_mT8_P12ihipStream_tbDpT10_ENKUlT_T0_E_clISt17integral_constantIbLb1EES1C_EEDaS17_S18_EUlS17_E_NS1_11comp_targetILNS1_3genE0ELNS1_11target_archE4294967295ELNS1_3gpuE0ELNS1_3repE0EEENS1_30default_config_static_selectorELNS0_4arch9wavefront6targetE1EEEvT1_ ; -- Begin function _ZN7rocprim17ROCPRIM_400000_NS6detail17trampoline_kernelINS0_14default_configENS1_25partition_config_selectorILNS1_17partition_subalgoE8ElNS0_10empty_typeEbEEZZNS1_14partition_implILS5_8ELb0ES3_jPlPS6_PKS6_NS0_5tupleIJS9_S6_EEENSD_IJSA_SA_EEENS0_18inequality_wrapperIZN2at6native12_GLOBAL__N_124unique_dim_cuda_templateIjEESt5tupleIJNSH_6TensorESM_SM_EERKSM_lbbbEUlllE0_EEPmJS6_EEE10hipError_tPvRmT3_T4_T5_T6_T7_T9_mT8_P12ihipStream_tbDpT10_ENKUlT_T0_E_clISt17integral_constantIbLb1EES1C_EEDaS17_S18_EUlS17_E_NS1_11comp_targetILNS1_3genE0ELNS1_11target_archE4294967295ELNS1_3gpuE0ELNS1_3repE0EEENS1_30default_config_static_selectorELNS0_4arch9wavefront6targetE1EEEvT1_
	.p2align	8
	.type	_ZN7rocprim17ROCPRIM_400000_NS6detail17trampoline_kernelINS0_14default_configENS1_25partition_config_selectorILNS1_17partition_subalgoE8ElNS0_10empty_typeEbEEZZNS1_14partition_implILS5_8ELb0ES3_jPlPS6_PKS6_NS0_5tupleIJS9_S6_EEENSD_IJSA_SA_EEENS0_18inequality_wrapperIZN2at6native12_GLOBAL__N_124unique_dim_cuda_templateIjEESt5tupleIJNSH_6TensorESM_SM_EERKSM_lbbbEUlllE0_EEPmJS6_EEE10hipError_tPvRmT3_T4_T5_T6_T7_T9_mT8_P12ihipStream_tbDpT10_ENKUlT_T0_E_clISt17integral_constantIbLb1EES1C_EEDaS17_S18_EUlS17_E_NS1_11comp_targetILNS1_3genE0ELNS1_11target_archE4294967295ELNS1_3gpuE0ELNS1_3repE0EEENS1_30default_config_static_selectorELNS0_4arch9wavefront6targetE1EEEvT1_,@function
_ZN7rocprim17ROCPRIM_400000_NS6detail17trampoline_kernelINS0_14default_configENS1_25partition_config_selectorILNS1_17partition_subalgoE8ElNS0_10empty_typeEbEEZZNS1_14partition_implILS5_8ELb0ES3_jPlPS6_PKS6_NS0_5tupleIJS9_S6_EEENSD_IJSA_SA_EEENS0_18inequality_wrapperIZN2at6native12_GLOBAL__N_124unique_dim_cuda_templateIjEESt5tupleIJNSH_6TensorESM_SM_EERKSM_lbbbEUlllE0_EEPmJS6_EEE10hipError_tPvRmT3_T4_T5_T6_T7_T9_mT8_P12ihipStream_tbDpT10_ENKUlT_T0_E_clISt17integral_constantIbLb1EES1C_EEDaS17_S18_EUlS17_E_NS1_11comp_targetILNS1_3genE0ELNS1_11target_archE4294967295ELNS1_3gpuE0ELNS1_3repE0EEENS1_30default_config_static_selectorELNS0_4arch9wavefront6targetE1EEEvT1_: ; @_ZN7rocprim17ROCPRIM_400000_NS6detail17trampoline_kernelINS0_14default_configENS1_25partition_config_selectorILNS1_17partition_subalgoE8ElNS0_10empty_typeEbEEZZNS1_14partition_implILS5_8ELb0ES3_jPlPS6_PKS6_NS0_5tupleIJS9_S6_EEENSD_IJSA_SA_EEENS0_18inequality_wrapperIZN2at6native12_GLOBAL__N_124unique_dim_cuda_templateIjEESt5tupleIJNSH_6TensorESM_SM_EERKSM_lbbbEUlllE0_EEPmJS6_EEE10hipError_tPvRmT3_T4_T5_T6_T7_T9_mT8_P12ihipStream_tbDpT10_ENKUlT_T0_E_clISt17integral_constantIbLb1EES1C_EEDaS17_S18_EUlS17_E_NS1_11comp_targetILNS1_3genE0ELNS1_11target_archE4294967295ELNS1_3gpuE0ELNS1_3repE0EEENS1_30default_config_static_selectorELNS0_4arch9wavefront6targetE1EEEvT1_
; %bb.0:
	.section	.rodata,"a",@progbits
	.p2align	6, 0x0
	.amdhsa_kernel _ZN7rocprim17ROCPRIM_400000_NS6detail17trampoline_kernelINS0_14default_configENS1_25partition_config_selectorILNS1_17partition_subalgoE8ElNS0_10empty_typeEbEEZZNS1_14partition_implILS5_8ELb0ES3_jPlPS6_PKS6_NS0_5tupleIJS9_S6_EEENSD_IJSA_SA_EEENS0_18inequality_wrapperIZN2at6native12_GLOBAL__N_124unique_dim_cuda_templateIjEESt5tupleIJNSH_6TensorESM_SM_EERKSM_lbbbEUlllE0_EEPmJS6_EEE10hipError_tPvRmT3_T4_T5_T6_T7_T9_mT8_P12ihipStream_tbDpT10_ENKUlT_T0_E_clISt17integral_constantIbLb1EES1C_EEDaS17_S18_EUlS17_E_NS1_11comp_targetILNS1_3genE0ELNS1_11target_archE4294967295ELNS1_3gpuE0ELNS1_3repE0EEENS1_30default_config_static_selectorELNS0_4arch9wavefront6targetE1EEEvT1_
		.amdhsa_group_segment_fixed_size 0
		.amdhsa_private_segment_fixed_size 0
		.amdhsa_kernarg_size 136
		.amdhsa_user_sgpr_count 6
		.amdhsa_user_sgpr_private_segment_buffer 1
		.amdhsa_user_sgpr_dispatch_ptr 0
		.amdhsa_user_sgpr_queue_ptr 0
		.amdhsa_user_sgpr_kernarg_segment_ptr 1
		.amdhsa_user_sgpr_dispatch_id 0
		.amdhsa_user_sgpr_flat_scratch_init 0
		.amdhsa_user_sgpr_kernarg_preload_length 0
		.amdhsa_user_sgpr_kernarg_preload_offset 0
		.amdhsa_user_sgpr_private_segment_size 0
		.amdhsa_uses_dynamic_stack 0
		.amdhsa_system_sgpr_private_segment_wavefront_offset 0
		.amdhsa_system_sgpr_workgroup_id_x 1
		.amdhsa_system_sgpr_workgroup_id_y 0
		.amdhsa_system_sgpr_workgroup_id_z 0
		.amdhsa_system_sgpr_workgroup_info 0
		.amdhsa_system_vgpr_workitem_id 0
		.amdhsa_next_free_vgpr 1
		.amdhsa_next_free_sgpr 0
		.amdhsa_accum_offset 4
		.amdhsa_reserve_vcc 0
		.amdhsa_reserve_flat_scratch 0
		.amdhsa_float_round_mode_32 0
		.amdhsa_float_round_mode_16_64 0
		.amdhsa_float_denorm_mode_32 3
		.amdhsa_float_denorm_mode_16_64 3
		.amdhsa_dx10_clamp 1
		.amdhsa_ieee_mode 1
		.amdhsa_fp16_overflow 0
		.amdhsa_tg_split 0
		.amdhsa_exception_fp_ieee_invalid_op 0
		.amdhsa_exception_fp_denorm_src 0
		.amdhsa_exception_fp_ieee_div_zero 0
		.amdhsa_exception_fp_ieee_overflow 0
		.amdhsa_exception_fp_ieee_underflow 0
		.amdhsa_exception_fp_ieee_inexact 0
		.amdhsa_exception_int_div_zero 0
	.end_amdhsa_kernel
	.section	.text._ZN7rocprim17ROCPRIM_400000_NS6detail17trampoline_kernelINS0_14default_configENS1_25partition_config_selectorILNS1_17partition_subalgoE8ElNS0_10empty_typeEbEEZZNS1_14partition_implILS5_8ELb0ES3_jPlPS6_PKS6_NS0_5tupleIJS9_S6_EEENSD_IJSA_SA_EEENS0_18inequality_wrapperIZN2at6native12_GLOBAL__N_124unique_dim_cuda_templateIjEESt5tupleIJNSH_6TensorESM_SM_EERKSM_lbbbEUlllE0_EEPmJS6_EEE10hipError_tPvRmT3_T4_T5_T6_T7_T9_mT8_P12ihipStream_tbDpT10_ENKUlT_T0_E_clISt17integral_constantIbLb1EES1C_EEDaS17_S18_EUlS17_E_NS1_11comp_targetILNS1_3genE0ELNS1_11target_archE4294967295ELNS1_3gpuE0ELNS1_3repE0EEENS1_30default_config_static_selectorELNS0_4arch9wavefront6targetE1EEEvT1_,"axG",@progbits,_ZN7rocprim17ROCPRIM_400000_NS6detail17trampoline_kernelINS0_14default_configENS1_25partition_config_selectorILNS1_17partition_subalgoE8ElNS0_10empty_typeEbEEZZNS1_14partition_implILS5_8ELb0ES3_jPlPS6_PKS6_NS0_5tupleIJS9_S6_EEENSD_IJSA_SA_EEENS0_18inequality_wrapperIZN2at6native12_GLOBAL__N_124unique_dim_cuda_templateIjEESt5tupleIJNSH_6TensorESM_SM_EERKSM_lbbbEUlllE0_EEPmJS6_EEE10hipError_tPvRmT3_T4_T5_T6_T7_T9_mT8_P12ihipStream_tbDpT10_ENKUlT_T0_E_clISt17integral_constantIbLb1EES1C_EEDaS17_S18_EUlS17_E_NS1_11comp_targetILNS1_3genE0ELNS1_11target_archE4294967295ELNS1_3gpuE0ELNS1_3repE0EEENS1_30default_config_static_selectorELNS0_4arch9wavefront6targetE1EEEvT1_,comdat
.Lfunc_end1547:
	.size	_ZN7rocprim17ROCPRIM_400000_NS6detail17trampoline_kernelINS0_14default_configENS1_25partition_config_selectorILNS1_17partition_subalgoE8ElNS0_10empty_typeEbEEZZNS1_14partition_implILS5_8ELb0ES3_jPlPS6_PKS6_NS0_5tupleIJS9_S6_EEENSD_IJSA_SA_EEENS0_18inequality_wrapperIZN2at6native12_GLOBAL__N_124unique_dim_cuda_templateIjEESt5tupleIJNSH_6TensorESM_SM_EERKSM_lbbbEUlllE0_EEPmJS6_EEE10hipError_tPvRmT3_T4_T5_T6_T7_T9_mT8_P12ihipStream_tbDpT10_ENKUlT_T0_E_clISt17integral_constantIbLb1EES1C_EEDaS17_S18_EUlS17_E_NS1_11comp_targetILNS1_3genE0ELNS1_11target_archE4294967295ELNS1_3gpuE0ELNS1_3repE0EEENS1_30default_config_static_selectorELNS0_4arch9wavefront6targetE1EEEvT1_, .Lfunc_end1547-_ZN7rocprim17ROCPRIM_400000_NS6detail17trampoline_kernelINS0_14default_configENS1_25partition_config_selectorILNS1_17partition_subalgoE8ElNS0_10empty_typeEbEEZZNS1_14partition_implILS5_8ELb0ES3_jPlPS6_PKS6_NS0_5tupleIJS9_S6_EEENSD_IJSA_SA_EEENS0_18inequality_wrapperIZN2at6native12_GLOBAL__N_124unique_dim_cuda_templateIjEESt5tupleIJNSH_6TensorESM_SM_EERKSM_lbbbEUlllE0_EEPmJS6_EEE10hipError_tPvRmT3_T4_T5_T6_T7_T9_mT8_P12ihipStream_tbDpT10_ENKUlT_T0_E_clISt17integral_constantIbLb1EES1C_EEDaS17_S18_EUlS17_E_NS1_11comp_targetILNS1_3genE0ELNS1_11target_archE4294967295ELNS1_3gpuE0ELNS1_3repE0EEENS1_30default_config_static_selectorELNS0_4arch9wavefront6targetE1EEEvT1_
                                        ; -- End function
	.section	.AMDGPU.csdata,"",@progbits
; Kernel info:
; codeLenInByte = 0
; NumSgprs: 4
; NumVgprs: 0
; NumAgprs: 0
; TotalNumVgprs: 0
; ScratchSize: 0
; MemoryBound: 0
; FloatMode: 240
; IeeeMode: 1
; LDSByteSize: 0 bytes/workgroup (compile time only)
; SGPRBlocks: 0
; VGPRBlocks: 0
; NumSGPRsForWavesPerEU: 4
; NumVGPRsForWavesPerEU: 1
; AccumOffset: 4
; Occupancy: 8
; WaveLimiterHint : 0
; COMPUTE_PGM_RSRC2:SCRATCH_EN: 0
; COMPUTE_PGM_RSRC2:USER_SGPR: 6
; COMPUTE_PGM_RSRC2:TRAP_HANDLER: 0
; COMPUTE_PGM_RSRC2:TGID_X_EN: 1
; COMPUTE_PGM_RSRC2:TGID_Y_EN: 0
; COMPUTE_PGM_RSRC2:TGID_Z_EN: 0
; COMPUTE_PGM_RSRC2:TIDIG_COMP_CNT: 0
; COMPUTE_PGM_RSRC3_GFX90A:ACCUM_OFFSET: 0
; COMPUTE_PGM_RSRC3_GFX90A:TG_SPLIT: 0
	.section	.text._ZN7rocprim17ROCPRIM_400000_NS6detail17trampoline_kernelINS0_14default_configENS1_25partition_config_selectorILNS1_17partition_subalgoE8ElNS0_10empty_typeEbEEZZNS1_14partition_implILS5_8ELb0ES3_jPlPS6_PKS6_NS0_5tupleIJS9_S6_EEENSD_IJSA_SA_EEENS0_18inequality_wrapperIZN2at6native12_GLOBAL__N_124unique_dim_cuda_templateIjEESt5tupleIJNSH_6TensorESM_SM_EERKSM_lbbbEUlllE0_EEPmJS6_EEE10hipError_tPvRmT3_T4_T5_T6_T7_T9_mT8_P12ihipStream_tbDpT10_ENKUlT_T0_E_clISt17integral_constantIbLb1EES1C_EEDaS17_S18_EUlS17_E_NS1_11comp_targetILNS1_3genE5ELNS1_11target_archE942ELNS1_3gpuE9ELNS1_3repE0EEENS1_30default_config_static_selectorELNS0_4arch9wavefront6targetE1EEEvT1_,"axG",@progbits,_ZN7rocprim17ROCPRIM_400000_NS6detail17trampoline_kernelINS0_14default_configENS1_25partition_config_selectorILNS1_17partition_subalgoE8ElNS0_10empty_typeEbEEZZNS1_14partition_implILS5_8ELb0ES3_jPlPS6_PKS6_NS0_5tupleIJS9_S6_EEENSD_IJSA_SA_EEENS0_18inequality_wrapperIZN2at6native12_GLOBAL__N_124unique_dim_cuda_templateIjEESt5tupleIJNSH_6TensorESM_SM_EERKSM_lbbbEUlllE0_EEPmJS6_EEE10hipError_tPvRmT3_T4_T5_T6_T7_T9_mT8_P12ihipStream_tbDpT10_ENKUlT_T0_E_clISt17integral_constantIbLb1EES1C_EEDaS17_S18_EUlS17_E_NS1_11comp_targetILNS1_3genE5ELNS1_11target_archE942ELNS1_3gpuE9ELNS1_3repE0EEENS1_30default_config_static_selectorELNS0_4arch9wavefront6targetE1EEEvT1_,comdat
	.globl	_ZN7rocprim17ROCPRIM_400000_NS6detail17trampoline_kernelINS0_14default_configENS1_25partition_config_selectorILNS1_17partition_subalgoE8ElNS0_10empty_typeEbEEZZNS1_14partition_implILS5_8ELb0ES3_jPlPS6_PKS6_NS0_5tupleIJS9_S6_EEENSD_IJSA_SA_EEENS0_18inequality_wrapperIZN2at6native12_GLOBAL__N_124unique_dim_cuda_templateIjEESt5tupleIJNSH_6TensorESM_SM_EERKSM_lbbbEUlllE0_EEPmJS6_EEE10hipError_tPvRmT3_T4_T5_T6_T7_T9_mT8_P12ihipStream_tbDpT10_ENKUlT_T0_E_clISt17integral_constantIbLb1EES1C_EEDaS17_S18_EUlS17_E_NS1_11comp_targetILNS1_3genE5ELNS1_11target_archE942ELNS1_3gpuE9ELNS1_3repE0EEENS1_30default_config_static_selectorELNS0_4arch9wavefront6targetE1EEEvT1_ ; -- Begin function _ZN7rocprim17ROCPRIM_400000_NS6detail17trampoline_kernelINS0_14default_configENS1_25partition_config_selectorILNS1_17partition_subalgoE8ElNS0_10empty_typeEbEEZZNS1_14partition_implILS5_8ELb0ES3_jPlPS6_PKS6_NS0_5tupleIJS9_S6_EEENSD_IJSA_SA_EEENS0_18inequality_wrapperIZN2at6native12_GLOBAL__N_124unique_dim_cuda_templateIjEESt5tupleIJNSH_6TensorESM_SM_EERKSM_lbbbEUlllE0_EEPmJS6_EEE10hipError_tPvRmT3_T4_T5_T6_T7_T9_mT8_P12ihipStream_tbDpT10_ENKUlT_T0_E_clISt17integral_constantIbLb1EES1C_EEDaS17_S18_EUlS17_E_NS1_11comp_targetILNS1_3genE5ELNS1_11target_archE942ELNS1_3gpuE9ELNS1_3repE0EEENS1_30default_config_static_selectorELNS0_4arch9wavefront6targetE1EEEvT1_
	.p2align	8
	.type	_ZN7rocprim17ROCPRIM_400000_NS6detail17trampoline_kernelINS0_14default_configENS1_25partition_config_selectorILNS1_17partition_subalgoE8ElNS0_10empty_typeEbEEZZNS1_14partition_implILS5_8ELb0ES3_jPlPS6_PKS6_NS0_5tupleIJS9_S6_EEENSD_IJSA_SA_EEENS0_18inequality_wrapperIZN2at6native12_GLOBAL__N_124unique_dim_cuda_templateIjEESt5tupleIJNSH_6TensorESM_SM_EERKSM_lbbbEUlllE0_EEPmJS6_EEE10hipError_tPvRmT3_T4_T5_T6_T7_T9_mT8_P12ihipStream_tbDpT10_ENKUlT_T0_E_clISt17integral_constantIbLb1EES1C_EEDaS17_S18_EUlS17_E_NS1_11comp_targetILNS1_3genE5ELNS1_11target_archE942ELNS1_3gpuE9ELNS1_3repE0EEENS1_30default_config_static_selectorELNS0_4arch9wavefront6targetE1EEEvT1_,@function
_ZN7rocprim17ROCPRIM_400000_NS6detail17trampoline_kernelINS0_14default_configENS1_25partition_config_selectorILNS1_17partition_subalgoE8ElNS0_10empty_typeEbEEZZNS1_14partition_implILS5_8ELb0ES3_jPlPS6_PKS6_NS0_5tupleIJS9_S6_EEENSD_IJSA_SA_EEENS0_18inequality_wrapperIZN2at6native12_GLOBAL__N_124unique_dim_cuda_templateIjEESt5tupleIJNSH_6TensorESM_SM_EERKSM_lbbbEUlllE0_EEPmJS6_EEE10hipError_tPvRmT3_T4_T5_T6_T7_T9_mT8_P12ihipStream_tbDpT10_ENKUlT_T0_E_clISt17integral_constantIbLb1EES1C_EEDaS17_S18_EUlS17_E_NS1_11comp_targetILNS1_3genE5ELNS1_11target_archE942ELNS1_3gpuE9ELNS1_3repE0EEENS1_30default_config_static_selectorELNS0_4arch9wavefront6targetE1EEEvT1_: ; @_ZN7rocprim17ROCPRIM_400000_NS6detail17trampoline_kernelINS0_14default_configENS1_25partition_config_selectorILNS1_17partition_subalgoE8ElNS0_10empty_typeEbEEZZNS1_14partition_implILS5_8ELb0ES3_jPlPS6_PKS6_NS0_5tupleIJS9_S6_EEENSD_IJSA_SA_EEENS0_18inequality_wrapperIZN2at6native12_GLOBAL__N_124unique_dim_cuda_templateIjEESt5tupleIJNSH_6TensorESM_SM_EERKSM_lbbbEUlllE0_EEPmJS6_EEE10hipError_tPvRmT3_T4_T5_T6_T7_T9_mT8_P12ihipStream_tbDpT10_ENKUlT_T0_E_clISt17integral_constantIbLb1EES1C_EEDaS17_S18_EUlS17_E_NS1_11comp_targetILNS1_3genE5ELNS1_11target_archE942ELNS1_3gpuE9ELNS1_3repE0EEENS1_30default_config_static_selectorELNS0_4arch9wavefront6targetE1EEEvT1_
; %bb.0:
	.section	.rodata,"a",@progbits
	.p2align	6, 0x0
	.amdhsa_kernel _ZN7rocprim17ROCPRIM_400000_NS6detail17trampoline_kernelINS0_14default_configENS1_25partition_config_selectorILNS1_17partition_subalgoE8ElNS0_10empty_typeEbEEZZNS1_14partition_implILS5_8ELb0ES3_jPlPS6_PKS6_NS0_5tupleIJS9_S6_EEENSD_IJSA_SA_EEENS0_18inequality_wrapperIZN2at6native12_GLOBAL__N_124unique_dim_cuda_templateIjEESt5tupleIJNSH_6TensorESM_SM_EERKSM_lbbbEUlllE0_EEPmJS6_EEE10hipError_tPvRmT3_T4_T5_T6_T7_T9_mT8_P12ihipStream_tbDpT10_ENKUlT_T0_E_clISt17integral_constantIbLb1EES1C_EEDaS17_S18_EUlS17_E_NS1_11comp_targetILNS1_3genE5ELNS1_11target_archE942ELNS1_3gpuE9ELNS1_3repE0EEENS1_30default_config_static_selectorELNS0_4arch9wavefront6targetE1EEEvT1_
		.amdhsa_group_segment_fixed_size 0
		.amdhsa_private_segment_fixed_size 0
		.amdhsa_kernarg_size 136
		.amdhsa_user_sgpr_count 6
		.amdhsa_user_sgpr_private_segment_buffer 1
		.amdhsa_user_sgpr_dispatch_ptr 0
		.amdhsa_user_sgpr_queue_ptr 0
		.amdhsa_user_sgpr_kernarg_segment_ptr 1
		.amdhsa_user_sgpr_dispatch_id 0
		.amdhsa_user_sgpr_flat_scratch_init 0
		.amdhsa_user_sgpr_kernarg_preload_length 0
		.amdhsa_user_sgpr_kernarg_preload_offset 0
		.amdhsa_user_sgpr_private_segment_size 0
		.amdhsa_uses_dynamic_stack 0
		.amdhsa_system_sgpr_private_segment_wavefront_offset 0
		.amdhsa_system_sgpr_workgroup_id_x 1
		.amdhsa_system_sgpr_workgroup_id_y 0
		.amdhsa_system_sgpr_workgroup_id_z 0
		.amdhsa_system_sgpr_workgroup_info 0
		.amdhsa_system_vgpr_workitem_id 0
		.amdhsa_next_free_vgpr 1
		.amdhsa_next_free_sgpr 0
		.amdhsa_accum_offset 4
		.amdhsa_reserve_vcc 0
		.amdhsa_reserve_flat_scratch 0
		.amdhsa_float_round_mode_32 0
		.amdhsa_float_round_mode_16_64 0
		.amdhsa_float_denorm_mode_32 3
		.amdhsa_float_denorm_mode_16_64 3
		.amdhsa_dx10_clamp 1
		.amdhsa_ieee_mode 1
		.amdhsa_fp16_overflow 0
		.amdhsa_tg_split 0
		.amdhsa_exception_fp_ieee_invalid_op 0
		.amdhsa_exception_fp_denorm_src 0
		.amdhsa_exception_fp_ieee_div_zero 0
		.amdhsa_exception_fp_ieee_overflow 0
		.amdhsa_exception_fp_ieee_underflow 0
		.amdhsa_exception_fp_ieee_inexact 0
		.amdhsa_exception_int_div_zero 0
	.end_amdhsa_kernel
	.section	.text._ZN7rocprim17ROCPRIM_400000_NS6detail17trampoline_kernelINS0_14default_configENS1_25partition_config_selectorILNS1_17partition_subalgoE8ElNS0_10empty_typeEbEEZZNS1_14partition_implILS5_8ELb0ES3_jPlPS6_PKS6_NS0_5tupleIJS9_S6_EEENSD_IJSA_SA_EEENS0_18inequality_wrapperIZN2at6native12_GLOBAL__N_124unique_dim_cuda_templateIjEESt5tupleIJNSH_6TensorESM_SM_EERKSM_lbbbEUlllE0_EEPmJS6_EEE10hipError_tPvRmT3_T4_T5_T6_T7_T9_mT8_P12ihipStream_tbDpT10_ENKUlT_T0_E_clISt17integral_constantIbLb1EES1C_EEDaS17_S18_EUlS17_E_NS1_11comp_targetILNS1_3genE5ELNS1_11target_archE942ELNS1_3gpuE9ELNS1_3repE0EEENS1_30default_config_static_selectorELNS0_4arch9wavefront6targetE1EEEvT1_,"axG",@progbits,_ZN7rocprim17ROCPRIM_400000_NS6detail17trampoline_kernelINS0_14default_configENS1_25partition_config_selectorILNS1_17partition_subalgoE8ElNS0_10empty_typeEbEEZZNS1_14partition_implILS5_8ELb0ES3_jPlPS6_PKS6_NS0_5tupleIJS9_S6_EEENSD_IJSA_SA_EEENS0_18inequality_wrapperIZN2at6native12_GLOBAL__N_124unique_dim_cuda_templateIjEESt5tupleIJNSH_6TensorESM_SM_EERKSM_lbbbEUlllE0_EEPmJS6_EEE10hipError_tPvRmT3_T4_T5_T6_T7_T9_mT8_P12ihipStream_tbDpT10_ENKUlT_T0_E_clISt17integral_constantIbLb1EES1C_EEDaS17_S18_EUlS17_E_NS1_11comp_targetILNS1_3genE5ELNS1_11target_archE942ELNS1_3gpuE9ELNS1_3repE0EEENS1_30default_config_static_selectorELNS0_4arch9wavefront6targetE1EEEvT1_,comdat
.Lfunc_end1548:
	.size	_ZN7rocprim17ROCPRIM_400000_NS6detail17trampoline_kernelINS0_14default_configENS1_25partition_config_selectorILNS1_17partition_subalgoE8ElNS0_10empty_typeEbEEZZNS1_14partition_implILS5_8ELb0ES3_jPlPS6_PKS6_NS0_5tupleIJS9_S6_EEENSD_IJSA_SA_EEENS0_18inequality_wrapperIZN2at6native12_GLOBAL__N_124unique_dim_cuda_templateIjEESt5tupleIJNSH_6TensorESM_SM_EERKSM_lbbbEUlllE0_EEPmJS6_EEE10hipError_tPvRmT3_T4_T5_T6_T7_T9_mT8_P12ihipStream_tbDpT10_ENKUlT_T0_E_clISt17integral_constantIbLb1EES1C_EEDaS17_S18_EUlS17_E_NS1_11comp_targetILNS1_3genE5ELNS1_11target_archE942ELNS1_3gpuE9ELNS1_3repE0EEENS1_30default_config_static_selectorELNS0_4arch9wavefront6targetE1EEEvT1_, .Lfunc_end1548-_ZN7rocprim17ROCPRIM_400000_NS6detail17trampoline_kernelINS0_14default_configENS1_25partition_config_selectorILNS1_17partition_subalgoE8ElNS0_10empty_typeEbEEZZNS1_14partition_implILS5_8ELb0ES3_jPlPS6_PKS6_NS0_5tupleIJS9_S6_EEENSD_IJSA_SA_EEENS0_18inequality_wrapperIZN2at6native12_GLOBAL__N_124unique_dim_cuda_templateIjEESt5tupleIJNSH_6TensorESM_SM_EERKSM_lbbbEUlllE0_EEPmJS6_EEE10hipError_tPvRmT3_T4_T5_T6_T7_T9_mT8_P12ihipStream_tbDpT10_ENKUlT_T0_E_clISt17integral_constantIbLb1EES1C_EEDaS17_S18_EUlS17_E_NS1_11comp_targetILNS1_3genE5ELNS1_11target_archE942ELNS1_3gpuE9ELNS1_3repE0EEENS1_30default_config_static_selectorELNS0_4arch9wavefront6targetE1EEEvT1_
                                        ; -- End function
	.section	.AMDGPU.csdata,"",@progbits
; Kernel info:
; codeLenInByte = 0
; NumSgprs: 4
; NumVgprs: 0
; NumAgprs: 0
; TotalNumVgprs: 0
; ScratchSize: 0
; MemoryBound: 0
; FloatMode: 240
; IeeeMode: 1
; LDSByteSize: 0 bytes/workgroup (compile time only)
; SGPRBlocks: 0
; VGPRBlocks: 0
; NumSGPRsForWavesPerEU: 4
; NumVGPRsForWavesPerEU: 1
; AccumOffset: 4
; Occupancy: 8
; WaveLimiterHint : 0
; COMPUTE_PGM_RSRC2:SCRATCH_EN: 0
; COMPUTE_PGM_RSRC2:USER_SGPR: 6
; COMPUTE_PGM_RSRC2:TRAP_HANDLER: 0
; COMPUTE_PGM_RSRC2:TGID_X_EN: 1
; COMPUTE_PGM_RSRC2:TGID_Y_EN: 0
; COMPUTE_PGM_RSRC2:TGID_Z_EN: 0
; COMPUTE_PGM_RSRC2:TIDIG_COMP_CNT: 0
; COMPUTE_PGM_RSRC3_GFX90A:ACCUM_OFFSET: 0
; COMPUTE_PGM_RSRC3_GFX90A:TG_SPLIT: 0
	.section	.text._ZN7rocprim17ROCPRIM_400000_NS6detail17trampoline_kernelINS0_14default_configENS1_25partition_config_selectorILNS1_17partition_subalgoE8ElNS0_10empty_typeEbEEZZNS1_14partition_implILS5_8ELb0ES3_jPlPS6_PKS6_NS0_5tupleIJS9_S6_EEENSD_IJSA_SA_EEENS0_18inequality_wrapperIZN2at6native12_GLOBAL__N_124unique_dim_cuda_templateIjEESt5tupleIJNSH_6TensorESM_SM_EERKSM_lbbbEUlllE0_EEPmJS6_EEE10hipError_tPvRmT3_T4_T5_T6_T7_T9_mT8_P12ihipStream_tbDpT10_ENKUlT_T0_E_clISt17integral_constantIbLb1EES1C_EEDaS17_S18_EUlS17_E_NS1_11comp_targetILNS1_3genE4ELNS1_11target_archE910ELNS1_3gpuE8ELNS1_3repE0EEENS1_30default_config_static_selectorELNS0_4arch9wavefront6targetE1EEEvT1_,"axG",@progbits,_ZN7rocprim17ROCPRIM_400000_NS6detail17trampoline_kernelINS0_14default_configENS1_25partition_config_selectorILNS1_17partition_subalgoE8ElNS0_10empty_typeEbEEZZNS1_14partition_implILS5_8ELb0ES3_jPlPS6_PKS6_NS0_5tupleIJS9_S6_EEENSD_IJSA_SA_EEENS0_18inequality_wrapperIZN2at6native12_GLOBAL__N_124unique_dim_cuda_templateIjEESt5tupleIJNSH_6TensorESM_SM_EERKSM_lbbbEUlllE0_EEPmJS6_EEE10hipError_tPvRmT3_T4_T5_T6_T7_T9_mT8_P12ihipStream_tbDpT10_ENKUlT_T0_E_clISt17integral_constantIbLb1EES1C_EEDaS17_S18_EUlS17_E_NS1_11comp_targetILNS1_3genE4ELNS1_11target_archE910ELNS1_3gpuE8ELNS1_3repE0EEENS1_30default_config_static_selectorELNS0_4arch9wavefront6targetE1EEEvT1_,comdat
	.globl	_ZN7rocprim17ROCPRIM_400000_NS6detail17trampoline_kernelINS0_14default_configENS1_25partition_config_selectorILNS1_17partition_subalgoE8ElNS0_10empty_typeEbEEZZNS1_14partition_implILS5_8ELb0ES3_jPlPS6_PKS6_NS0_5tupleIJS9_S6_EEENSD_IJSA_SA_EEENS0_18inequality_wrapperIZN2at6native12_GLOBAL__N_124unique_dim_cuda_templateIjEESt5tupleIJNSH_6TensorESM_SM_EERKSM_lbbbEUlllE0_EEPmJS6_EEE10hipError_tPvRmT3_T4_T5_T6_T7_T9_mT8_P12ihipStream_tbDpT10_ENKUlT_T0_E_clISt17integral_constantIbLb1EES1C_EEDaS17_S18_EUlS17_E_NS1_11comp_targetILNS1_3genE4ELNS1_11target_archE910ELNS1_3gpuE8ELNS1_3repE0EEENS1_30default_config_static_selectorELNS0_4arch9wavefront6targetE1EEEvT1_ ; -- Begin function _ZN7rocprim17ROCPRIM_400000_NS6detail17trampoline_kernelINS0_14default_configENS1_25partition_config_selectorILNS1_17partition_subalgoE8ElNS0_10empty_typeEbEEZZNS1_14partition_implILS5_8ELb0ES3_jPlPS6_PKS6_NS0_5tupleIJS9_S6_EEENSD_IJSA_SA_EEENS0_18inequality_wrapperIZN2at6native12_GLOBAL__N_124unique_dim_cuda_templateIjEESt5tupleIJNSH_6TensorESM_SM_EERKSM_lbbbEUlllE0_EEPmJS6_EEE10hipError_tPvRmT3_T4_T5_T6_T7_T9_mT8_P12ihipStream_tbDpT10_ENKUlT_T0_E_clISt17integral_constantIbLb1EES1C_EEDaS17_S18_EUlS17_E_NS1_11comp_targetILNS1_3genE4ELNS1_11target_archE910ELNS1_3gpuE8ELNS1_3repE0EEENS1_30default_config_static_selectorELNS0_4arch9wavefront6targetE1EEEvT1_
	.p2align	8
	.type	_ZN7rocprim17ROCPRIM_400000_NS6detail17trampoline_kernelINS0_14default_configENS1_25partition_config_selectorILNS1_17partition_subalgoE8ElNS0_10empty_typeEbEEZZNS1_14partition_implILS5_8ELb0ES3_jPlPS6_PKS6_NS0_5tupleIJS9_S6_EEENSD_IJSA_SA_EEENS0_18inequality_wrapperIZN2at6native12_GLOBAL__N_124unique_dim_cuda_templateIjEESt5tupleIJNSH_6TensorESM_SM_EERKSM_lbbbEUlllE0_EEPmJS6_EEE10hipError_tPvRmT3_T4_T5_T6_T7_T9_mT8_P12ihipStream_tbDpT10_ENKUlT_T0_E_clISt17integral_constantIbLb1EES1C_EEDaS17_S18_EUlS17_E_NS1_11comp_targetILNS1_3genE4ELNS1_11target_archE910ELNS1_3gpuE8ELNS1_3repE0EEENS1_30default_config_static_selectorELNS0_4arch9wavefront6targetE1EEEvT1_,@function
_ZN7rocprim17ROCPRIM_400000_NS6detail17trampoline_kernelINS0_14default_configENS1_25partition_config_selectorILNS1_17partition_subalgoE8ElNS0_10empty_typeEbEEZZNS1_14partition_implILS5_8ELb0ES3_jPlPS6_PKS6_NS0_5tupleIJS9_S6_EEENSD_IJSA_SA_EEENS0_18inequality_wrapperIZN2at6native12_GLOBAL__N_124unique_dim_cuda_templateIjEESt5tupleIJNSH_6TensorESM_SM_EERKSM_lbbbEUlllE0_EEPmJS6_EEE10hipError_tPvRmT3_T4_T5_T6_T7_T9_mT8_P12ihipStream_tbDpT10_ENKUlT_T0_E_clISt17integral_constantIbLb1EES1C_EEDaS17_S18_EUlS17_E_NS1_11comp_targetILNS1_3genE4ELNS1_11target_archE910ELNS1_3gpuE8ELNS1_3repE0EEENS1_30default_config_static_selectorELNS0_4arch9wavefront6targetE1EEEvT1_: ; @_ZN7rocprim17ROCPRIM_400000_NS6detail17trampoline_kernelINS0_14default_configENS1_25partition_config_selectorILNS1_17partition_subalgoE8ElNS0_10empty_typeEbEEZZNS1_14partition_implILS5_8ELb0ES3_jPlPS6_PKS6_NS0_5tupleIJS9_S6_EEENSD_IJSA_SA_EEENS0_18inequality_wrapperIZN2at6native12_GLOBAL__N_124unique_dim_cuda_templateIjEESt5tupleIJNSH_6TensorESM_SM_EERKSM_lbbbEUlllE0_EEPmJS6_EEE10hipError_tPvRmT3_T4_T5_T6_T7_T9_mT8_P12ihipStream_tbDpT10_ENKUlT_T0_E_clISt17integral_constantIbLb1EES1C_EEDaS17_S18_EUlS17_E_NS1_11comp_targetILNS1_3genE4ELNS1_11target_archE910ELNS1_3gpuE8ELNS1_3repE0EEENS1_30default_config_static_selectorELNS0_4arch9wavefront6targetE1EEEvT1_
; %bb.0:
	s_load_dwordx2 s[28:29], s[4:5], 0x28
	s_load_dwordx8 s[20:27], s[4:5], 0x40
	s_load_dwordx4 s[16:19], s[4:5], 0x60
	v_cmp_ne_u32_e64 s[2:3], 0, v0
	v_cmp_eq_u32_e64 s[0:1], 0, v0
	s_and_saveexec_b64 s[6:7], s[0:1]
	s_cbranch_execz .LBB1549_4
; %bb.1:
	s_mov_b64 s[10:11], exec
	v_mbcnt_lo_u32_b32 v1, s10, 0
	v_mbcnt_hi_u32_b32 v1, s11, v1
	v_cmp_eq_u32_e32 vcc, 0, v1
                                        ; implicit-def: $vgpr2
	s_and_saveexec_b64 s[8:9], vcc
	s_cbranch_execz .LBB1549_3
; %bb.2:
	s_load_dwordx2 s[12:13], s[4:5], 0x78
	s_bcnt1_i32_b64 s10, s[10:11]
	v_mov_b32_e32 v2, 0
	v_mov_b32_e32 v3, s10
	s_waitcnt lgkmcnt(0)
	global_atomic_add v2, v2, v3, s[12:13] glc
.LBB1549_3:
	s_or_b64 exec, exec, s[8:9]
	s_waitcnt vmcnt(0)
	v_readfirstlane_b32 s8, v2
	v_add_u32_e32 v1, s8, v1
	v_mov_b32_e32 v2, 0
	ds_write_b32 v2, v1
.LBB1549_4:
	s_or_b64 exec, exec, s[6:7]
	v_mov_b32_e32 v3, 0
	s_load_dwordx4 s[8:11], s[4:5], 0x8
	s_load_dword s12, s[4:5], 0x70
	s_waitcnt lgkmcnt(0)
	s_barrier
	ds_read_b32 v1, v3
	s_waitcnt lgkmcnt(0)
	s_barrier
	global_load_dwordx2 v[4:5], v3, s[22:23]
	s_lshl_b64 s[4:5], s[10:11], 3
	s_mul_i32 s14, s12, 0x500
	s_add_u32 s8, s8, s4
	s_addc_u32 s4, s9, s5
	s_add_i32 s5, s14, s10
	s_add_i32 s12, s12, -1
	s_sub_i32 s48, s24, s5
	v_mov_b32_e32 v8, s4
	s_add_u32 s4, s10, s14
	s_addc_u32 s5, s11, 0
	v_readfirstlane_b32 s33, v1
	v_mov_b32_e32 v6, s24
	v_mov_b32_e32 v7, s25
	s_movk_i32 s13, 0x500
	s_cmp_eq_u32 s33, s12
	v_mul_lo_u32 v2, v1, s13
	v_cmp_ge_u64_e32 vcc, s[4:5], v[6:7]
	s_cselect_b64 s[24:25], -1, 0
	v_lshlrev_b64 v[2:3], 3, v[2:3]
	s_and_b64 s[12:13], vcc, s[24:25]
	v_add_co_u32_e64 v18, s[4:5], s8, v2
	s_xor_b64 s[30:31], s[12:13], -1
	s_mov_b64 s[6:7], -1
	v_addc_co_u32_e64 v19, s[4:5], v8, v3, s[4:5]
	s_and_b64 vcc, exec, s[30:31]
	s_waitcnt vmcnt(0)
	v_readfirstlane_b32 s22, v4
	v_readfirstlane_b32 s23, v5
	s_cbranch_vccz .LBB1549_6
; %bb.5:
	v_lshlrev_b32_e32 v1, 3, v0
	v_add_co_u32_e32 v12, vcc, v18, v1
	v_addc_co_u32_e32 v13, vcc, 0, v19, vcc
	v_add_co_u32_e32 v2, vcc, 0x1000, v12
	v_readfirstlane_b32 s4, v18
	v_readfirstlane_b32 s5, v19
	v_addc_co_u32_e32 v3, vcc, 0, v13, vcc
	s_nop 3
	global_load_dwordx2 v[4:5], v1, s[4:5]
	global_load_dwordx2 v[6:7], v1, s[4:5] offset:2048
	global_load_dwordx2 v[8:9], v[2:3], off
	global_load_dwordx2 v[10:11], v[2:3], off offset:2048
	v_add_co_u32_e32 v2, vcc, 0x2000, v12
	v_addc_co_u32_e32 v3, vcc, 0, v13, vcc
	global_load_dwordx2 v[2:3], v[2:3], off
	s_mov_b64 s[6:7], 0
	s_waitcnt vmcnt(3)
	ds_write2st64_b64 v1, v[4:5], v[6:7] offset1:4
	s_waitcnt vmcnt(1)
	ds_write2st64_b64 v1, v[8:9], v[10:11] offset0:8 offset1:12
	s_waitcnt vmcnt(0)
	ds_write_b64 v1, v[2:3] offset:8192
	s_waitcnt lgkmcnt(0)
	s_barrier
.LBB1549_6:
	s_andn2_b64 vcc, exec, s[6:7]
	s_addk_i32 s48, 0x500
	s_cbranch_vccnz .LBB1549_18
; %bb.7:
	v_cmp_gt_u32_e32 vcc, s48, v0
                                        ; implicit-def: $vgpr2_vgpr3_vgpr4_vgpr5_vgpr6_vgpr7_vgpr8_vgpr9_vgpr10_vgpr11_vgpr12_vgpr13_vgpr14_vgpr15_vgpr16_vgpr17
	s_and_saveexec_b64 s[4:5], vcc
	s_cbranch_execz .LBB1549_9
; %bb.8:
	v_lshlrev_b32_e32 v1, 3, v0
	v_readfirstlane_b32 s6, v18
	v_readfirstlane_b32 s7, v19
	s_nop 4
	global_load_dwordx2 v[2:3], v1, s[6:7]
.LBB1549_9:
	s_or_b64 exec, exec, s[4:5]
	v_or_b32_e32 v1, 0x100, v0
	v_cmp_gt_u32_e32 vcc, s48, v1
	s_and_saveexec_b64 s[4:5], vcc
	s_cbranch_execz .LBB1549_11
; %bb.10:
	v_lshlrev_b32_e32 v1, 3, v0
	v_readfirstlane_b32 s6, v18
	v_readfirstlane_b32 s7, v19
	s_nop 4
	global_load_dwordx2 v[4:5], v1, s[6:7] offset:2048
.LBB1549_11:
	s_or_b64 exec, exec, s[4:5]
	v_or_b32_e32 v1, 0x200, v0
	v_cmp_gt_u32_e32 vcc, s48, v1
	s_and_saveexec_b64 s[4:5], vcc
	s_cbranch_execz .LBB1549_13
; %bb.12:
	v_lshlrev_b32_e32 v1, 3, v1
	v_readfirstlane_b32 s6, v18
	v_readfirstlane_b32 s7, v19
	s_nop 4
	global_load_dwordx2 v[6:7], v1, s[6:7]
.LBB1549_13:
	s_or_b64 exec, exec, s[4:5]
	v_or_b32_e32 v1, 0x300, v0
	v_cmp_gt_u32_e32 vcc, s48, v1
	s_and_saveexec_b64 s[4:5], vcc
	s_cbranch_execz .LBB1549_15
; %bb.14:
	v_lshlrev_b32_e32 v1, 3, v1
	v_readfirstlane_b32 s6, v18
	v_readfirstlane_b32 s7, v19
	s_nop 4
	global_load_dwordx2 v[8:9], v1, s[6:7]
.LBB1549_15:
	;; [unrolled: 12-line block ×3, first 2 shown]
	s_or_b64 exec, exec, s[4:5]
	v_lshlrev_b32_e32 v1, 3, v0
	s_waitcnt vmcnt(0)
	ds_write2st64_b64 v1, v[2:3], v[4:5] offset1:4
	ds_write2st64_b64 v1, v[6:7], v[8:9] offset0:8 offset1:12
	ds_write_b64 v1, v[10:11] offset:8192
	s_waitcnt lgkmcnt(0)
	s_barrier
.LBB1549_18:
	v_mul_u32_u24_e32 v1, 5, v0
	v_lshlrev_b32_e32 v26, 3, v1
	ds_read2_b64 v[6:9], v26 offset1:1
	ds_read2_b64 v[2:5], v26 offset0:2 offset1:3
	ds_read_b64 v[10:11], v26 offset:32
	s_cmp_lg_u32 s33, 0
	s_cselect_b64 s[34:35], -1, 0
	s_cmp_lg_u64 s[10:11], 0
	s_cselect_b64 s[4:5], -1, 0
	s_or_b64 s[4:5], s[4:5], s[34:35]
	v_mad_u32_u24 v24, v0, 5, 1
	v_mad_u32_u24 v22, v0, 5, 2
	v_mad_u32_u24 v25, v0, 5, 3
	v_mad_u32_u24 v23, v0, 5, 4
	s_mov_b64 s[14:15], 0
	s_and_b64 vcc, exec, s[4:5]
	v_cmp_gt_i64_e64 s[4:5], s[26:27], 0
	s_waitcnt lgkmcnt(0)
	s_barrier
	s_cbranch_vccz .LBB1549_27
; %bb.19:
	global_load_dwordx2 v[14:15], v[18:19], off offset:-8
	v_cndmask_b32_e64 v12, 0, 1, s[4:5]
	v_lshlrev_b32_e32 v27, 3, v0
	s_mov_b64 s[10:11], 0
	s_and_b64 vcc, exec, s[30:31]
	v_cmp_ne_u32_e64 s[4:5], 1, v12
	ds_write_b64 v27, v[10:11]
	s_cbranch_vccz .LBB1549_28
; %bb.20:
	v_mul_lo_u32 v16, v5, s26
	v_mul_lo_u32 v17, v4, s27
	v_mad_u64_u32 v[12:13], s[6:7], v4, s26, 0
	v_add3_u32 v13, v13, v17, v16
	s_and_b64 vcc, exec, s[4:5]
	v_lshlrev_b64 v[12:13], 2, v[12:13]
	s_cbranch_vccnz .LBB1549_31
; %bb.21:
	v_mul_lo_u32 v18, v11, s26
	v_mul_lo_u32 v19, v10, s27
	v_mad_u64_u32 v[16:17], s[6:7], v10, s26, 0
	v_add3_u32 v17, v17, v19, v18
	v_mov_b32_e32 v19, s17
	v_add_co_u32_e32 v18, vcc, s16, v12
	v_addc_co_u32_e64 v19, s[6:7], v19, v13, vcc
	v_lshlrev_b64 v[16:17], 2, v[16:17]
	v_mov_b32_e32 v21, s17
	v_add_co_u32_e64 v20, s[6:7], s16, v16
	v_addc_co_u32_e64 v21, s[8:9], v21, v17, s[6:7]
	global_load_dword v16, v[18:19], off
	global_load_dword v28, v[20:21], off
	s_mov_b64 s[10:11], -1
	s_waitcnt vmcnt(0)
	v_cmp_eq_u32_e64 s[8:9], v16, v28
	s_and_saveexec_b64 s[14:15], s[8:9]
	s_cbranch_execz .LBB1549_30
; %bb.22:
	v_mov_b32_e32 v16, s17
	v_addc_co_u32_e64 v17, s[6:7], v17, v16, s[6:7]
	v_add_co_u32_e64 v16, s[6:7], 4, v20
	v_mov_b32_e32 v19, s17
	v_addc_co_u32_e64 v17, s[6:7], 0, v17, s[6:7]
	v_addc_co_u32_e32 v19, vcc, v13, v19, vcc
	v_add_co_u32_e32 v18, vcc, 4, v18
	s_add_u32 s6, s26, -1
	v_addc_co_u32_e32 v19, vcc, 0, v19, vcc
	s_addc_u32 s7, s27, -1
	s_mov_b64 s[8:9], 0
	s_mov_b64 s[36:37], 0
                                        ; implicit-def: $sgpr10_sgpr11
	s_branch .LBB1549_25
.LBB1549_23:                            ;   in Loop: Header=BB1549_25 Depth=1
	global_load_dword v20, v[18:19], off
	global_load_dword v21, v[16:17], off
	v_add_co_u32_e32 v16, vcc, 4, v16
	v_addc_co_u32_e32 v17, vcc, 0, v17, vcc
	v_add_co_u32_e32 v18, vcc, 4, v18
	v_addc_co_u32_e32 v19, vcc, 0, v19, vcc
	s_add_u32 s36, s36, 1
	s_addc_u32 s37, s37, 0
	s_andn2_b64 s[10:11], s[10:11], exec
	s_waitcnt vmcnt(0)
	v_cmp_ne_u32_e32 vcc, v20, v21
	s_and_b64 s[38:39], vcc, exec
	s_or_b64 s[10:11], s[10:11], s[38:39]
.LBB1549_24:                            ;   in Loop: Header=BB1549_25 Depth=1
	s_and_b64 s[38:39], exec, s[10:11]
	s_or_b64 s[8:9], s[38:39], s[8:9]
	v_pk_mov_b32 v[20:21], s[36:37], s[36:37] op_sel:[0,1]
	s_andn2_b64 exec, exec, s[8:9]
	s_cbranch_execz .LBB1549_29
.LBB1549_25:                            ; =>This Inner Loop Header: Depth=1
	s_or_b64 s[10:11], s[10:11], exec
	s_cmp_eq_u64 s[6:7], s[36:37]
	s_cbranch_scc0 .LBB1549_23
; %bb.26:                               ;   in Loop: Header=BB1549_25 Depth=1
                                        ; implicit-def: $vgpr16_vgpr17
                                        ; implicit-def: $vgpr18_vgpr19
	s_mov_b64 s[36:37], s[26:27]
	s_branch .LBB1549_24
.LBB1549_27:
                                        ; implicit-def: $sgpr36_sgpr37
                                        ; implicit-def: $vgpr13
                                        ; implicit-def: $vgpr16
	s_branch .LBB1549_129
.LBB1549_28:
                                        ; implicit-def: $sgpr36_sgpr37
                                        ; implicit-def: $vgpr13
                                        ; implicit-def: $vgpr16
	s_cbranch_execnz .LBB1549_70
	s_branch .LBB1549_128
.LBB1549_29:
	s_or_b64 exec, exec, s[8:9]
	v_cmp_gt_i64_e32 vcc, s[26:27], v[20:21]
	s_orn2_b64 s[10:11], vcc, exec
.LBB1549_30:
	s_or_b64 exec, exec, s[14:15]
.LBB1549_31:
	v_mul_lo_u32 v18, v3, s26
	v_mul_lo_u32 v19, v2, s27
	v_mad_u64_u32 v[16:17], s[6:7], v2, s26, 0
	v_add3_u32 v17, v17, v19, v18
	s_mov_b64 s[14:15], 0
	s_and_b64 vcc, exec, s[4:5]
	v_lshlrev_b64 v[18:19], 2, v[16:17]
	s_mov_b64 s[36:37], 0
	s_cbranch_vccnz .LBB1549_40
; %bb.32:
	v_mov_b32_e32 v17, s17
	v_add_co_u32_e32 v16, vcc, s16, v18
	v_addc_co_u32_e64 v17, s[6:7], v17, v19, vcc
	v_mov_b32_e32 v21, s17
	v_add_co_u32_e64 v20, s[6:7], s16, v12
	v_addc_co_u32_e64 v21, s[8:9], v21, v13, s[6:7]
	global_load_dword v12, v[16:17], off
	global_load_dword v28, v[20:21], off
	s_mov_b64 s[36:37], -1
	s_waitcnt vmcnt(0)
	v_cmp_eq_u32_e64 s[8:9], v12, v28
	s_and_saveexec_b64 s[38:39], s[8:9]
	s_cbranch_execz .LBB1549_39
; %bb.33:
	v_mov_b32_e32 v12, s17
	v_addc_co_u32_e64 v13, s[6:7], v13, v12, s[6:7]
	v_add_co_u32_e64 v12, s[6:7], 4, v20
	v_mov_b32_e32 v17, s17
	v_addc_co_u32_e64 v13, s[6:7], 0, v13, s[6:7]
	v_addc_co_u32_e32 v17, vcc, v19, v17, vcc
	v_add_co_u32_e32 v16, vcc, 4, v16
	s_add_u32 s6, s26, -1
	v_addc_co_u32_e32 v17, vcc, 0, v17, vcc
	s_addc_u32 s7, s27, -1
	s_mov_b64 s[8:9], 0
	s_mov_b64 s[40:41], 0
                                        ; implicit-def: $sgpr36_sgpr37
	s_branch .LBB1549_36
.LBB1549_34:                            ;   in Loop: Header=BB1549_36 Depth=1
	global_load_dword v20, v[16:17], off
	global_load_dword v21, v[12:13], off
	v_add_co_u32_e32 v12, vcc, 4, v12
	v_addc_co_u32_e32 v13, vcc, 0, v13, vcc
	v_add_co_u32_e32 v16, vcc, 4, v16
	v_addc_co_u32_e32 v17, vcc, 0, v17, vcc
	s_add_u32 s40, s40, 1
	s_addc_u32 s41, s41, 0
	s_andn2_b64 s[36:37], s[36:37], exec
	s_waitcnt vmcnt(0)
	v_cmp_ne_u32_e32 vcc, v20, v21
	s_and_b64 s[42:43], vcc, exec
	s_or_b64 s[36:37], s[36:37], s[42:43]
.LBB1549_35:                            ;   in Loop: Header=BB1549_36 Depth=1
	s_and_b64 s[42:43], exec, s[36:37]
	s_or_b64 s[8:9], s[42:43], s[8:9]
	v_pk_mov_b32 v[20:21], s[40:41], s[40:41] op_sel:[0,1]
	s_andn2_b64 exec, exec, s[8:9]
	s_cbranch_execz .LBB1549_38
.LBB1549_36:                            ; =>This Inner Loop Header: Depth=1
	s_or_b64 s[36:37], s[36:37], exec
	s_cmp_eq_u64 s[6:7], s[40:41]
	s_cbranch_scc0 .LBB1549_34
; %bb.37:                               ;   in Loop: Header=BB1549_36 Depth=1
                                        ; implicit-def: $vgpr12_vgpr13
                                        ; implicit-def: $vgpr16_vgpr17
	s_mov_b64 s[40:41], s[26:27]
	s_branch .LBB1549_35
.LBB1549_38:
	s_or_b64 exec, exec, s[8:9]
	v_cmp_gt_i64_e32 vcc, s[26:27], v[20:21]
	s_orn2_b64 s[36:37], vcc, exec
.LBB1549_39:
	s_or_b64 exec, exec, s[38:39]
.LBB1549_40:
	v_mul_lo_u32 v16, v9, s26
	v_mul_lo_u32 v17, v8, s27
	v_mad_u64_u32 v[12:13], s[6:7], v8, s26, 0
	v_add3_u32 v13, v13, v17, v16
	s_and_b64 vcc, exec, s[4:5]
	v_lshlrev_b64 v[16:17], 2, v[12:13]
	s_cbranch_vccnz .LBB1549_49
; %bb.41:
	v_mov_b32_e32 v12, s17
	v_add_co_u32_e32 v20, vcc, s16, v16
	v_addc_co_u32_e64 v21, s[6:7], v12, v17, vcc
	v_mov_b32_e32 v13, s17
	v_add_co_u32_e64 v12, s[6:7], s16, v18
	v_addc_co_u32_e64 v13, s[8:9], v13, v19, s[6:7]
	global_load_dword v18, v[20:21], off
	global_load_dword v28, v[12:13], off
	s_mov_b64 s[14:15], -1
	s_waitcnt vmcnt(0)
	v_cmp_eq_u32_e64 s[8:9], v18, v28
	s_and_saveexec_b64 s[38:39], s[8:9]
	s_cbranch_execz .LBB1549_48
; %bb.42:
	v_mov_b32_e32 v13, s17
	v_addc_co_u32_e64 v13, s[6:7], v19, v13, s[6:7]
	v_add_co_u32_e64 v12, s[6:7], 4, v12
	v_mov_b32_e32 v18, s17
	v_addc_co_u32_e64 v13, s[6:7], 0, v13, s[6:7]
	v_addc_co_u32_e32 v19, vcc, v17, v18, vcc
	v_add_co_u32_e32 v18, vcc, 4, v20
	s_add_u32 s6, s26, -1
	v_addc_co_u32_e32 v19, vcc, 0, v19, vcc
	s_addc_u32 s7, s27, -1
	s_mov_b64 s[8:9], 0
	s_mov_b64 s[40:41], 0
                                        ; implicit-def: $sgpr14_sgpr15
	s_branch .LBB1549_45
.LBB1549_43:                            ;   in Loop: Header=BB1549_45 Depth=1
	global_load_dword v20, v[18:19], off
	global_load_dword v21, v[12:13], off
	v_add_co_u32_e32 v12, vcc, 4, v12
	v_addc_co_u32_e32 v13, vcc, 0, v13, vcc
	v_add_co_u32_e32 v18, vcc, 4, v18
	v_addc_co_u32_e32 v19, vcc, 0, v19, vcc
	s_add_u32 s40, s40, 1
	s_addc_u32 s41, s41, 0
	s_andn2_b64 s[14:15], s[14:15], exec
	s_waitcnt vmcnt(0)
	v_cmp_ne_u32_e32 vcc, v20, v21
	s_and_b64 s[42:43], vcc, exec
	s_or_b64 s[14:15], s[14:15], s[42:43]
.LBB1549_44:                            ;   in Loop: Header=BB1549_45 Depth=1
	s_and_b64 s[42:43], exec, s[14:15]
	s_or_b64 s[8:9], s[42:43], s[8:9]
	v_pk_mov_b32 v[20:21], s[40:41], s[40:41] op_sel:[0,1]
	s_andn2_b64 exec, exec, s[8:9]
	s_cbranch_execz .LBB1549_47
.LBB1549_45:                            ; =>This Inner Loop Header: Depth=1
	s_or_b64 s[14:15], s[14:15], exec
	s_cmp_eq_u64 s[6:7], s[40:41]
	s_cbranch_scc0 .LBB1549_43
; %bb.46:                               ;   in Loop: Header=BB1549_45 Depth=1
                                        ; implicit-def: $vgpr12_vgpr13
                                        ; implicit-def: $vgpr18_vgpr19
	s_mov_b64 s[40:41], s[26:27]
	s_branch .LBB1549_44
.LBB1549_47:
	s_or_b64 exec, exec, s[8:9]
	v_cmp_gt_i64_e32 vcc, s[26:27], v[20:21]
	s_orn2_b64 s[14:15], vcc, exec
.LBB1549_48:
	s_or_b64 exec, exec, s[38:39]
.LBB1549_49:
	v_mul_lo_u32 v18, v7, s26
	v_mul_lo_u32 v19, v6, s27
	v_mad_u64_u32 v[12:13], s[6:7], v6, s26, 0
	v_add3_u32 v13, v13, v19, v18
	s_mov_b64 s[40:41], 0
	s_and_b64 vcc, exec, s[4:5]
	v_lshlrev_b64 v[12:13], 2, v[12:13]
	s_cbranch_vccnz .LBB1549_58
; %bb.50:
	v_mov_b32_e32 v19, s17
	v_add_co_u32_e32 v18, vcc, s16, v12
	v_addc_co_u32_e64 v19, s[6:7], v19, v13, vcc
	v_mov_b32_e32 v21, s17
	v_add_co_u32_e64 v20, s[6:7], s16, v16
	v_addc_co_u32_e64 v21, s[8:9], v21, v17, s[6:7]
	global_load_dword v16, v[18:19], off
	global_load_dword v28, v[20:21], off
	s_mov_b64 s[40:41], -1
	s_waitcnt vmcnt(0)
	v_cmp_eq_u32_e64 s[8:9], v16, v28
	s_and_saveexec_b64 s[38:39], s[8:9]
	s_cbranch_execz .LBB1549_57
; %bb.51:
	v_mov_b32_e32 v16, s17
	v_addc_co_u32_e64 v17, s[6:7], v17, v16, s[6:7]
	v_add_co_u32_e64 v16, s[6:7], 4, v20
	v_mov_b32_e32 v19, s17
	v_addc_co_u32_e64 v17, s[6:7], 0, v17, s[6:7]
	v_addc_co_u32_e32 v19, vcc, v13, v19, vcc
	v_add_co_u32_e32 v18, vcc, 4, v18
	s_add_u32 s6, s26, -1
	v_addc_co_u32_e32 v19, vcc, 0, v19, vcc
	s_addc_u32 s7, s27, -1
	s_mov_b64 s[8:9], 0
	s_mov_b64 s[42:43], 0
                                        ; implicit-def: $sgpr40_sgpr41
	s_branch .LBB1549_54
.LBB1549_52:                            ;   in Loop: Header=BB1549_54 Depth=1
	global_load_dword v20, v[18:19], off
	global_load_dword v21, v[16:17], off
	v_add_co_u32_e32 v16, vcc, 4, v16
	v_addc_co_u32_e32 v17, vcc, 0, v17, vcc
	v_add_co_u32_e32 v18, vcc, 4, v18
	v_addc_co_u32_e32 v19, vcc, 0, v19, vcc
	s_add_u32 s42, s42, 1
	s_addc_u32 s43, s43, 0
	s_andn2_b64 s[40:41], s[40:41], exec
	s_waitcnt vmcnt(0)
	v_cmp_ne_u32_e32 vcc, v20, v21
	s_and_b64 s[44:45], vcc, exec
	s_or_b64 s[40:41], s[40:41], s[44:45]
.LBB1549_53:                            ;   in Loop: Header=BB1549_54 Depth=1
	s_and_b64 s[44:45], exec, s[40:41]
	s_or_b64 s[8:9], s[44:45], s[8:9]
	v_pk_mov_b32 v[20:21], s[42:43], s[42:43] op_sel:[0,1]
	s_andn2_b64 exec, exec, s[8:9]
	s_cbranch_execz .LBB1549_56
.LBB1549_54:                            ; =>This Inner Loop Header: Depth=1
	s_or_b64 s[40:41], s[40:41], exec
	s_cmp_eq_u64 s[6:7], s[42:43]
	s_cbranch_scc0 .LBB1549_52
; %bb.55:                               ;   in Loop: Header=BB1549_54 Depth=1
                                        ; implicit-def: $vgpr16_vgpr17
                                        ; implicit-def: $vgpr18_vgpr19
	s_mov_b64 s[42:43], s[26:27]
	s_branch .LBB1549_53
.LBB1549_56:
	s_or_b64 exec, exec, s[8:9]
	v_cmp_gt_i64_e32 vcc, s[26:27], v[20:21]
	s_orn2_b64 s[40:41], vcc, exec
.LBB1549_57:
	s_or_b64 exec, exec, s[38:39]
.LBB1549_58:
	s_waitcnt vmcnt(0)
	v_pk_mov_b32 v[16:17], v[14:15], v[14:15] op_sel:[0,1]
	s_waitcnt lgkmcnt(0)
	s_barrier
	s_and_saveexec_b64 s[6:7], s[2:3]
	s_cbranch_execz .LBB1549_60
; %bb.59:
	v_add_u32_e32 v16, -8, v27
	ds_read_b64 v[16:17], v16
.LBB1549_60:
	s_or_b64 exec, exec, s[6:7]
	v_cndmask_b32_e64 v19, 0, 1, s[36:37]
	v_cndmask_b32_e64 v18, 0, 1, s[14:15]
	;; [unrolled: 1-line block ×3, first 2 shown]
	v_lshlrev_b16_e32 v19, 8, v19
	v_lshlrev_b16_e32 v28, 8, v20
	v_or_b32_sdwa v29, v18, v19 dst_sel:WORD_1 dst_unused:UNUSED_PAD src0_sel:DWORD src1_sel:DWORD
	s_mov_b64 s[14:15], 0
	s_and_b64 vcc, exec, s[4:5]
	s_mov_b64 s[36:37], 0
	s_cbranch_vccnz .LBB1549_69
; %bb.61:
	s_waitcnt lgkmcnt(0)
	v_mul_lo_u32 v18, v17, s26
	v_mul_lo_u32 v19, v16, s27
	v_mad_u64_u32 v[16:17], s[6:7], v16, s26, 0
	v_add3_u32 v17, v17, v19, v18
	v_lshlrev_b64 v[16:17], 2, v[16:17]
	v_mov_b32_e32 v19, s17
	v_add_co_u32_e32 v18, vcc, s16, v16
	v_addc_co_u32_e64 v19, s[6:7], v19, v17, vcc
	v_mov_b32_e32 v16, s17
	v_add_co_u32_e64 v20, s[6:7], s16, v12
	v_addc_co_u32_e64 v21, s[8:9], v16, v13, s[6:7]
	global_load_dword v12, v[18:19], off
	global_load_dword v16, v[20:21], off
	s_mov_b64 s[36:37], -1
	s_waitcnt vmcnt(0)
	v_cmp_eq_u32_e64 s[8:9], v12, v16
	s_and_saveexec_b64 s[38:39], s[8:9]
	s_cbranch_execz .LBB1549_68
; %bb.62:
	v_mov_b32_e32 v12, s17
	v_addc_co_u32_e64 v13, s[6:7], v13, v12, s[6:7]
	v_add_co_u32_e64 v12, s[6:7], 4, v20
	v_mov_b32_e32 v16, s17
	v_addc_co_u32_e64 v13, s[6:7], 0, v13, s[6:7]
	v_addc_co_u32_e32 v17, vcc, v17, v16, vcc
	v_add_co_u32_e32 v16, vcc, 4, v18
	s_add_u32 s6, s26, -1
	v_addc_co_u32_e32 v17, vcc, 0, v17, vcc
	s_addc_u32 s7, s27, -1
	s_mov_b64 s[8:9], 0
	s_mov_b64 s[40:41], 0
                                        ; implicit-def: $sgpr36_sgpr37
	s_branch .LBB1549_65
.LBB1549_63:                            ;   in Loop: Header=BB1549_65 Depth=1
	global_load_dword v18, v[16:17], off
	global_load_dword v19, v[12:13], off
	v_add_co_u32_e32 v12, vcc, 4, v12
	v_addc_co_u32_e32 v13, vcc, 0, v13, vcc
	v_add_co_u32_e32 v16, vcc, 4, v16
	v_addc_co_u32_e32 v17, vcc, 0, v17, vcc
	s_add_u32 s40, s40, 1
	s_addc_u32 s41, s41, 0
	s_andn2_b64 s[36:37], s[36:37], exec
	s_waitcnt vmcnt(0)
	v_cmp_ne_u32_e32 vcc, v18, v19
	s_and_b64 s[42:43], vcc, exec
	s_or_b64 s[36:37], s[36:37], s[42:43]
.LBB1549_64:                            ;   in Loop: Header=BB1549_65 Depth=1
	s_and_b64 s[42:43], exec, s[36:37]
	s_or_b64 s[8:9], s[42:43], s[8:9]
	v_pk_mov_b32 v[18:19], s[40:41], s[40:41] op_sel:[0,1]
	s_andn2_b64 exec, exec, s[8:9]
	s_cbranch_execz .LBB1549_67
.LBB1549_65:                            ; =>This Inner Loop Header: Depth=1
	s_or_b64 s[36:37], s[36:37], exec
	s_cmp_eq_u64 s[6:7], s[40:41]
	s_cbranch_scc0 .LBB1549_63
; %bb.66:                               ;   in Loop: Header=BB1549_65 Depth=1
                                        ; implicit-def: $vgpr12_vgpr13
                                        ; implicit-def: $vgpr16_vgpr17
	s_mov_b64 s[40:41], s[26:27]
	s_branch .LBB1549_64
.LBB1549_67:
	s_or_b64 exec, exec, s[8:9]
	v_cmp_gt_i64_e32 vcc, s[26:27], v[18:19]
	s_orn2_b64 s[36:37], vcc, exec
.LBB1549_68:
	s_or_b64 exec, exec, s[38:39]
.LBB1549_69:
	v_cndmask_b32_e64 v13, 0, 1, s[10:11]
	s_waitcnt lgkmcnt(0)
	v_or_b32_e32 v16, v28, v29
	s_and_b64 vcc, exec, s[14:15]
	s_cbranch_vccz .LBB1549_128
.LBB1549_70:
	v_cmp_gt_u32_e32 vcc, s48, v23
	s_mov_b64 s[14:15], 0
	s_mov_b64 s[10:11], 0
	s_and_saveexec_b64 s[36:37], vcc
	s_cbranch_execz .LBB1549_81
; %bb.71:
	s_and_b64 vcc, exec, s[4:5]
	s_mov_b64 s[38:39], 0
	s_cbranch_vccnz .LBB1549_80
; %bb.72:
	v_mul_lo_u32 v16, v5, s26
	v_mul_lo_u32 v17, v4, s27
	v_mad_u64_u32 v[12:13], s[6:7], v4, s26, 0
	v_add3_u32 v13, v13, v17, v16
	v_mul_lo_u32 v16, v11, s26
	v_mul_lo_u32 v17, v10, s27
	v_mad_u64_u32 v[20:21], s[6:7], v10, s26, 0
	v_add3_u32 v21, v21, v17, v16
	v_lshlrev_b64 v[16:17], 2, v[12:13]
	v_mov_b32_e32 v12, s17
	v_add_co_u32_e32 v18, vcc, s16, v16
	v_addc_co_u32_e64 v19, s[6:7], v12, v17, vcc
	v_lshlrev_b64 v[12:13], 2, v[20:21]
	v_mov_b32_e32 v16, s17
	v_add_co_u32_e64 v20, s[6:7], s16, v12
	v_addc_co_u32_e64 v21, s[8:9], v16, v13, s[6:7]
	global_load_dword v12, v[18:19], off
	global_load_dword v16, v[20:21], off
	s_mov_b64 s[38:39], -1
	s_waitcnt vmcnt(0)
	v_cmp_eq_u32_e64 s[8:9], v12, v16
	s_and_saveexec_b64 s[10:11], s[8:9]
	s_cbranch_execz .LBB1549_79
; %bb.73:
	v_mov_b32_e32 v12, s17
	v_addc_co_u32_e64 v13, s[6:7], v13, v12, s[6:7]
	v_add_co_u32_e64 v12, s[6:7], 4, v20
	v_mov_b32_e32 v16, s17
	v_addc_co_u32_e64 v13, s[6:7], 0, v13, s[6:7]
	v_addc_co_u32_e32 v17, vcc, v17, v16, vcc
	v_add_co_u32_e32 v16, vcc, 4, v18
	s_add_u32 s6, s26, -1
	v_addc_co_u32_e32 v17, vcc, 0, v17, vcc
	s_addc_u32 s7, s27, -1
	s_mov_b64 s[8:9], 0
	s_mov_b64 s[40:41], 0
                                        ; implicit-def: $sgpr38_sgpr39
	s_branch .LBB1549_76
.LBB1549_74:                            ;   in Loop: Header=BB1549_76 Depth=1
	global_load_dword v18, v[16:17], off
	global_load_dword v19, v[12:13], off
	v_add_co_u32_e32 v12, vcc, 4, v12
	v_addc_co_u32_e32 v13, vcc, 0, v13, vcc
	v_add_co_u32_e32 v16, vcc, 4, v16
	v_addc_co_u32_e32 v17, vcc, 0, v17, vcc
	s_add_u32 s40, s40, 1
	s_addc_u32 s41, s41, 0
	s_andn2_b64 s[38:39], s[38:39], exec
	s_waitcnt vmcnt(0)
	v_cmp_ne_u32_e32 vcc, v18, v19
	s_and_b64 s[42:43], vcc, exec
	s_or_b64 s[38:39], s[38:39], s[42:43]
.LBB1549_75:                            ;   in Loop: Header=BB1549_76 Depth=1
	s_and_b64 s[42:43], exec, s[38:39]
	s_or_b64 s[8:9], s[42:43], s[8:9]
	v_pk_mov_b32 v[18:19], s[40:41], s[40:41] op_sel:[0,1]
	s_andn2_b64 exec, exec, s[8:9]
	s_cbranch_execz .LBB1549_78
.LBB1549_76:                            ; =>This Inner Loop Header: Depth=1
	s_or_b64 s[38:39], s[38:39], exec
	s_cmp_eq_u64 s[6:7], s[40:41]
	s_cbranch_scc0 .LBB1549_74
; %bb.77:                               ;   in Loop: Header=BB1549_76 Depth=1
                                        ; implicit-def: $vgpr12_vgpr13
                                        ; implicit-def: $vgpr16_vgpr17
	s_mov_b64 s[40:41], s[26:27]
	s_branch .LBB1549_75
.LBB1549_78:
	s_or_b64 exec, exec, s[8:9]
	v_cmp_gt_i64_e32 vcc, s[26:27], v[18:19]
	s_orn2_b64 s[38:39], vcc, exec
.LBB1549_79:
	s_or_b64 exec, exec, s[10:11]
.LBB1549_80:
	s_and_b64 s[10:11], s[38:39], exec
.LBB1549_81:
	s_or_b64 exec, exec, s[36:37]
	v_cmp_gt_u32_e32 vcc, s48, v25
	s_and_saveexec_b64 s[36:37], vcc
	s_cbranch_execz .LBB1549_92
; %bb.82:
	s_and_b64 vcc, exec, s[4:5]
	s_mov_b64 s[38:39], 0
	s_cbranch_vccnz .LBB1549_91
; %bb.83:
	v_mul_lo_u32 v16, v3, s26
	v_mul_lo_u32 v17, v2, s27
	v_mad_u64_u32 v[12:13], s[6:7], v2, s26, 0
	v_add3_u32 v13, v13, v17, v16
	v_mul_lo_u32 v16, v5, s26
	v_mul_lo_u32 v17, v4, s27
	v_mad_u64_u32 v[20:21], s[6:7], v4, s26, 0
	v_add3_u32 v21, v21, v17, v16
	v_lshlrev_b64 v[16:17], 2, v[12:13]
	v_mov_b32_e32 v12, s17
	v_add_co_u32_e32 v18, vcc, s16, v16
	v_addc_co_u32_e64 v19, s[6:7], v12, v17, vcc
	v_lshlrev_b64 v[12:13], 2, v[20:21]
	v_mov_b32_e32 v16, s17
	v_add_co_u32_e64 v20, s[6:7], s16, v12
	v_addc_co_u32_e64 v21, s[8:9], v16, v13, s[6:7]
	global_load_dword v12, v[18:19], off
	global_load_dword v16, v[20:21], off
	s_mov_b64 s[38:39], -1
	s_waitcnt vmcnt(0)
	v_cmp_eq_u32_e64 s[8:9], v12, v16
	s_and_saveexec_b64 s[14:15], s[8:9]
	s_cbranch_execz .LBB1549_90
; %bb.84:
	v_mov_b32_e32 v12, s17
	v_addc_co_u32_e64 v13, s[6:7], v13, v12, s[6:7]
	v_add_co_u32_e64 v12, s[6:7], 4, v20
	v_mov_b32_e32 v16, s17
	v_addc_co_u32_e64 v13, s[6:7], 0, v13, s[6:7]
	v_addc_co_u32_e32 v17, vcc, v17, v16, vcc
	v_add_co_u32_e32 v16, vcc, 4, v18
	s_add_u32 s6, s26, -1
	v_addc_co_u32_e32 v17, vcc, 0, v17, vcc
	s_addc_u32 s7, s27, -1
	s_mov_b64 s[8:9], 0
	s_mov_b64 s[40:41], 0
                                        ; implicit-def: $sgpr38_sgpr39
	s_branch .LBB1549_87
.LBB1549_85:                            ;   in Loop: Header=BB1549_87 Depth=1
	global_load_dword v18, v[16:17], off
	global_load_dword v19, v[12:13], off
	v_add_co_u32_e32 v12, vcc, 4, v12
	v_addc_co_u32_e32 v13, vcc, 0, v13, vcc
	v_add_co_u32_e32 v16, vcc, 4, v16
	v_addc_co_u32_e32 v17, vcc, 0, v17, vcc
	s_add_u32 s40, s40, 1
	s_addc_u32 s41, s41, 0
	s_andn2_b64 s[38:39], s[38:39], exec
	s_waitcnt vmcnt(0)
	v_cmp_ne_u32_e32 vcc, v18, v19
	s_and_b64 s[42:43], vcc, exec
	s_or_b64 s[38:39], s[38:39], s[42:43]
.LBB1549_86:                            ;   in Loop: Header=BB1549_87 Depth=1
	s_and_b64 s[42:43], exec, s[38:39]
	s_or_b64 s[8:9], s[42:43], s[8:9]
	v_pk_mov_b32 v[18:19], s[40:41], s[40:41] op_sel:[0,1]
	s_andn2_b64 exec, exec, s[8:9]
	s_cbranch_execz .LBB1549_89
.LBB1549_87:                            ; =>This Inner Loop Header: Depth=1
	s_or_b64 s[38:39], s[38:39], exec
	s_cmp_eq_u64 s[6:7], s[40:41]
	s_cbranch_scc0 .LBB1549_85
; %bb.88:                               ;   in Loop: Header=BB1549_87 Depth=1
                                        ; implicit-def: $vgpr12_vgpr13
                                        ; implicit-def: $vgpr16_vgpr17
	s_mov_b64 s[40:41], s[26:27]
	s_branch .LBB1549_86
.LBB1549_89:
	s_or_b64 exec, exec, s[8:9]
	v_cmp_gt_i64_e32 vcc, s[26:27], v[18:19]
	s_orn2_b64 s[38:39], vcc, exec
.LBB1549_90:
	s_or_b64 exec, exec, s[14:15]
.LBB1549_91:
	s_and_b64 s[14:15], s[38:39], exec
.LBB1549_92:
	s_or_b64 exec, exec, s[36:37]
	v_cmp_gt_u32_e32 vcc, s48, v22
	s_mov_b64 s[36:37], 0
	s_mov_b64 s[38:39], 0
	s_and_saveexec_b64 s[40:41], vcc
	s_cbranch_execz .LBB1549_103
; %bb.93:
	s_and_b64 vcc, exec, s[4:5]
	s_mov_b64 s[42:43], 0
	s_cbranch_vccnz .LBB1549_102
; %bb.94:
	v_mul_lo_u32 v16, v9, s26
	v_mul_lo_u32 v17, v8, s27
	v_mad_u64_u32 v[12:13], s[6:7], v8, s26, 0
	v_add3_u32 v13, v13, v17, v16
	v_mul_lo_u32 v16, v3, s26
	v_mul_lo_u32 v17, v2, s27
	v_mad_u64_u32 v[20:21], s[6:7], v2, s26, 0
	v_add3_u32 v21, v21, v17, v16
	v_lshlrev_b64 v[16:17], 2, v[12:13]
	v_mov_b32_e32 v12, s17
	v_add_co_u32_e32 v18, vcc, s16, v16
	v_addc_co_u32_e64 v19, s[6:7], v12, v17, vcc
	v_lshlrev_b64 v[12:13], 2, v[20:21]
	v_mov_b32_e32 v16, s17
	v_add_co_u32_e64 v20, s[6:7], s16, v12
	v_addc_co_u32_e64 v21, s[8:9], v16, v13, s[6:7]
	global_load_dword v12, v[18:19], off
	global_load_dword v16, v[20:21], off
	s_mov_b64 s[42:43], -1
	s_waitcnt vmcnt(0)
	v_cmp_eq_u32_e64 s[8:9], v12, v16
	s_and_saveexec_b64 s[38:39], s[8:9]
	s_cbranch_execz .LBB1549_101
; %bb.95:
	v_mov_b32_e32 v12, s17
	v_addc_co_u32_e64 v13, s[6:7], v13, v12, s[6:7]
	v_add_co_u32_e64 v12, s[6:7], 4, v20
	v_mov_b32_e32 v16, s17
	v_addc_co_u32_e64 v13, s[6:7], 0, v13, s[6:7]
	v_addc_co_u32_e32 v17, vcc, v17, v16, vcc
	v_add_co_u32_e32 v16, vcc, 4, v18
	s_add_u32 s6, s26, -1
	v_addc_co_u32_e32 v17, vcc, 0, v17, vcc
	s_addc_u32 s7, s27, -1
	s_mov_b64 s[8:9], 0
	s_mov_b64 s[44:45], 0
                                        ; implicit-def: $sgpr42_sgpr43
	s_branch .LBB1549_98
.LBB1549_96:                            ;   in Loop: Header=BB1549_98 Depth=1
	global_load_dword v18, v[16:17], off
	global_load_dword v19, v[12:13], off
	v_add_co_u32_e32 v12, vcc, 4, v12
	v_addc_co_u32_e32 v13, vcc, 0, v13, vcc
	v_add_co_u32_e32 v16, vcc, 4, v16
	v_addc_co_u32_e32 v17, vcc, 0, v17, vcc
	s_add_u32 s44, s44, 1
	s_addc_u32 s45, s45, 0
	s_andn2_b64 s[42:43], s[42:43], exec
	s_waitcnt vmcnt(0)
	v_cmp_ne_u32_e32 vcc, v18, v19
	s_and_b64 s[46:47], vcc, exec
	s_or_b64 s[42:43], s[42:43], s[46:47]
.LBB1549_97:                            ;   in Loop: Header=BB1549_98 Depth=1
	s_and_b64 s[46:47], exec, s[42:43]
	s_or_b64 s[8:9], s[46:47], s[8:9]
	v_pk_mov_b32 v[18:19], s[44:45], s[44:45] op_sel:[0,1]
	s_andn2_b64 exec, exec, s[8:9]
	s_cbranch_execz .LBB1549_100
.LBB1549_98:                            ; =>This Inner Loop Header: Depth=1
	s_or_b64 s[42:43], s[42:43], exec
	s_cmp_eq_u64 s[6:7], s[44:45]
	s_cbranch_scc0 .LBB1549_96
; %bb.99:                               ;   in Loop: Header=BB1549_98 Depth=1
                                        ; implicit-def: $vgpr12_vgpr13
                                        ; implicit-def: $vgpr16_vgpr17
	s_mov_b64 s[44:45], s[26:27]
	s_branch .LBB1549_97
.LBB1549_100:
	s_or_b64 exec, exec, s[8:9]
	v_cmp_gt_i64_e32 vcc, s[26:27], v[18:19]
	s_orn2_b64 s[42:43], vcc, exec
.LBB1549_101:
	s_or_b64 exec, exec, s[38:39]
.LBB1549_102:
	s_and_b64 s[38:39], s[42:43], exec
.LBB1549_103:
	s_or_b64 exec, exec, s[40:41]
	v_cmp_gt_u32_e32 vcc, s48, v24
	s_and_saveexec_b64 s[40:41], vcc
	s_cbranch_execz .LBB1549_114
; %bb.104:
	s_and_b64 vcc, exec, s[4:5]
	s_mov_b64 s[42:43], 0
	s_cbranch_vccnz .LBB1549_113
; %bb.105:
	v_mul_lo_u32 v16, v7, s26
	v_mul_lo_u32 v17, v6, s27
	v_mad_u64_u32 v[12:13], s[6:7], v6, s26, 0
	v_add3_u32 v13, v13, v17, v16
	v_mul_lo_u32 v16, v9, s26
	v_mul_lo_u32 v17, v8, s27
	v_mad_u64_u32 v[20:21], s[6:7], v8, s26, 0
	v_add3_u32 v21, v21, v17, v16
	v_lshlrev_b64 v[16:17], 2, v[12:13]
	v_mov_b32_e32 v12, s17
	v_add_co_u32_e32 v18, vcc, s16, v16
	v_addc_co_u32_e64 v19, s[6:7], v12, v17, vcc
	v_lshlrev_b64 v[12:13], 2, v[20:21]
	v_mov_b32_e32 v16, s17
	v_add_co_u32_e64 v20, s[6:7], s16, v12
	v_addc_co_u32_e64 v21, s[8:9], v16, v13, s[6:7]
	global_load_dword v12, v[18:19], off
	global_load_dword v16, v[20:21], off
	s_mov_b64 s[42:43], -1
	s_waitcnt vmcnt(0)
	v_cmp_eq_u32_e64 s[8:9], v12, v16
	s_and_saveexec_b64 s[36:37], s[8:9]
	s_cbranch_execz .LBB1549_112
; %bb.106:
	v_mov_b32_e32 v12, s17
	v_addc_co_u32_e64 v13, s[6:7], v13, v12, s[6:7]
	v_add_co_u32_e64 v12, s[6:7], 4, v20
	v_mov_b32_e32 v16, s17
	v_addc_co_u32_e64 v13, s[6:7], 0, v13, s[6:7]
	v_addc_co_u32_e32 v17, vcc, v17, v16, vcc
	v_add_co_u32_e32 v16, vcc, 4, v18
	s_add_u32 s6, s26, -1
	v_addc_co_u32_e32 v17, vcc, 0, v17, vcc
	s_addc_u32 s7, s27, -1
	s_mov_b64 s[8:9], 0
	s_mov_b64 s[44:45], 0
                                        ; implicit-def: $sgpr42_sgpr43
	s_branch .LBB1549_109
.LBB1549_107:                           ;   in Loop: Header=BB1549_109 Depth=1
	global_load_dword v18, v[16:17], off
	global_load_dword v19, v[12:13], off
	v_add_co_u32_e32 v12, vcc, 4, v12
	v_addc_co_u32_e32 v13, vcc, 0, v13, vcc
	v_add_co_u32_e32 v16, vcc, 4, v16
	v_addc_co_u32_e32 v17, vcc, 0, v17, vcc
	s_add_u32 s44, s44, 1
	s_addc_u32 s45, s45, 0
	s_andn2_b64 s[42:43], s[42:43], exec
	s_waitcnt vmcnt(0)
	v_cmp_ne_u32_e32 vcc, v18, v19
	s_and_b64 s[46:47], vcc, exec
	s_or_b64 s[42:43], s[42:43], s[46:47]
.LBB1549_108:                           ;   in Loop: Header=BB1549_109 Depth=1
	s_and_b64 s[46:47], exec, s[42:43]
	s_or_b64 s[8:9], s[46:47], s[8:9]
	v_pk_mov_b32 v[18:19], s[44:45], s[44:45] op_sel:[0,1]
	s_andn2_b64 exec, exec, s[8:9]
	s_cbranch_execz .LBB1549_111
.LBB1549_109:                           ; =>This Inner Loop Header: Depth=1
	s_or_b64 s[42:43], s[42:43], exec
	s_cmp_eq_u64 s[6:7], s[44:45]
	s_cbranch_scc0 .LBB1549_107
; %bb.110:                              ;   in Loop: Header=BB1549_109 Depth=1
                                        ; implicit-def: $vgpr12_vgpr13
                                        ; implicit-def: $vgpr16_vgpr17
	s_mov_b64 s[44:45], s[26:27]
	s_branch .LBB1549_108
.LBB1549_111:
	s_or_b64 exec, exec, s[8:9]
	v_cmp_gt_i64_e32 vcc, s[26:27], v[18:19]
	s_orn2_b64 s[42:43], vcc, exec
.LBB1549_112:
	s_or_b64 exec, exec, s[36:37]
.LBB1549_113:
	s_and_b64 s[36:37], s[42:43], exec
.LBB1549_114:
	s_or_b64 exec, exec, s[40:41]
	s_waitcnt lgkmcnt(0)
	s_barrier
	s_and_saveexec_b64 s[6:7], s[2:3]
	s_cbranch_execz .LBB1549_116
; %bb.115:
	v_add_u32_e32 v12, -8, v27
	s_waitcnt vmcnt(0)
	ds_read_b64 v[14:15], v12
.LBB1549_116:
	s_or_b64 exec, exec, s[6:7]
	v_cndmask_b32_e64 v13, 0, 1, s[14:15]
	v_cndmask_b32_e64 v12, 0, 1, s[38:39]
	;; [unrolled: 1-line block ×3, first 2 shown]
	v_lshlrev_b16_e32 v13, 8, v13
	v_cmp_gt_u32_e32 vcc, s48, v1
	v_lshlrev_b16_e32 v20, 8, v16
	v_or_b32_sdwa v21, v12, v13 dst_sel:WORD_1 dst_unused:UNUSED_PAD src0_sel:DWORD src1_sel:DWORD
	s_mov_b64 s[36:37], 0
	s_and_saveexec_b64 s[8:9], vcc
	s_cbranch_execz .LBB1549_127
; %bb.117:
	s_and_b64 vcc, exec, s[4:5]
	s_cbranch_vccnz .LBB1549_126
; %bb.118:
	s_waitcnt vmcnt(0) lgkmcnt(0)
	v_mul_lo_u32 v15, v15, s26
	v_mul_lo_u32 v16, v14, s27
	v_mad_u64_u32 v[12:13], s[4:5], v14, s26, 0
	v_add3_u32 v13, v13, v16, v15
	v_mul_lo_u32 v14, v7, s26
	v_mul_lo_u32 v15, v6, s27
	v_mad_u64_u32 v[18:19], s[4:5], v6, s26, 0
	v_add3_u32 v19, v19, v15, v14
	v_lshlrev_b64 v[14:15], 2, v[12:13]
	v_mov_b32_e32 v12, s17
	v_add_co_u32_e32 v16, vcc, s16, v14
	v_addc_co_u32_e64 v17, s[4:5], v12, v15, vcc
	v_lshlrev_b64 v[12:13], 2, v[18:19]
	v_mov_b32_e32 v14, s17
	v_add_co_u32_e64 v18, s[4:5], s16, v12
	v_addc_co_u32_e64 v19, s[6:7], v14, v13, s[4:5]
	global_load_dword v12, v[16:17], off
	global_load_dword v14, v[18:19], off
	s_mov_b64 s[36:37], -1
	s_waitcnt vmcnt(0)
	v_cmp_eq_u32_e64 s[6:7], v12, v14
	s_and_saveexec_b64 s[14:15], s[6:7]
	s_cbranch_execz .LBB1549_125
; %bb.119:
	v_mov_b32_e32 v12, s17
	v_addc_co_u32_e64 v13, s[4:5], v13, v12, s[4:5]
	v_add_co_u32_e64 v12, s[4:5], 4, v18
	v_mov_b32_e32 v14, s17
	v_addc_co_u32_e64 v13, s[4:5], 0, v13, s[4:5]
	v_addc_co_u32_e32 v15, vcc, v15, v14, vcc
	v_add_co_u32_e32 v14, vcc, 4, v16
	s_add_u32 s4, s26, -1
	v_addc_co_u32_e32 v15, vcc, 0, v15, vcc
	s_addc_u32 s5, s27, -1
	s_mov_b64 s[6:7], 0
	s_mov_b64 s[38:39], 0
                                        ; implicit-def: $sgpr36_sgpr37
	s_branch .LBB1549_122
.LBB1549_120:                           ;   in Loop: Header=BB1549_122 Depth=1
	global_load_dword v16, v[14:15], off
	global_load_dword v17, v[12:13], off
	v_add_co_u32_e32 v12, vcc, 4, v12
	v_addc_co_u32_e32 v13, vcc, 0, v13, vcc
	v_add_co_u32_e32 v14, vcc, 4, v14
	v_addc_co_u32_e32 v15, vcc, 0, v15, vcc
	s_add_u32 s38, s38, 1
	s_addc_u32 s39, s39, 0
	s_andn2_b64 s[36:37], s[36:37], exec
	s_waitcnt vmcnt(0)
	v_cmp_ne_u32_e32 vcc, v16, v17
	s_and_b64 s[40:41], vcc, exec
	s_or_b64 s[36:37], s[36:37], s[40:41]
.LBB1549_121:                           ;   in Loop: Header=BB1549_122 Depth=1
	s_and_b64 s[40:41], exec, s[36:37]
	s_or_b64 s[6:7], s[40:41], s[6:7]
	v_pk_mov_b32 v[16:17], s[38:39], s[38:39] op_sel:[0,1]
	s_andn2_b64 exec, exec, s[6:7]
	s_cbranch_execz .LBB1549_124
.LBB1549_122:                           ; =>This Inner Loop Header: Depth=1
	s_or_b64 s[36:37], s[36:37], exec
	s_cmp_eq_u64 s[4:5], s[38:39]
	s_cbranch_scc0 .LBB1549_120
; %bb.123:                              ;   in Loop: Header=BB1549_122 Depth=1
                                        ; implicit-def: $vgpr12_vgpr13
                                        ; implicit-def: $vgpr14_vgpr15
	s_mov_b64 s[38:39], s[26:27]
	s_branch .LBB1549_121
.LBB1549_124:
	s_or_b64 exec, exec, s[6:7]
	v_cmp_gt_i64_e32 vcc, s[26:27], v[16:17]
	s_orn2_b64 s[36:37], vcc, exec
.LBB1549_125:
	s_or_b64 exec, exec, s[14:15]
.LBB1549_126:
	s_and_b64 s[36:37], s[36:37], exec
.LBB1549_127:
	s_or_b64 exec, exec, s[8:9]
	v_cndmask_b32_e64 v13, 0, 1, s[10:11]
	v_or_b32_e32 v16, v20, v21
.LBB1549_128:
	s_mov_b64 s[14:15], -1
	s_cbranch_execnz .LBB1549_237
.LBB1549_129:
	v_lshlrev_b32_e32 v12, 5, v0
	v_sub_u32_e32 v26, v26, v12
	s_mov_b64 s[36:37], 0
	v_cmp_gt_i64_e64 s[10:11], s[26:27], 0
	s_and_b64 vcc, exec, s[30:31]
	ds_write_b64 v26, v[10:11]
	s_cbranch_vccz .LBB1549_137
; %bb.130:
	s_waitcnt vmcnt(0) lgkmcnt(1)
	v_mul_lo_u32 v14, v5, s26
	v_mul_lo_u32 v15, v4, s27
	v_mad_u64_u32 v[12:13], s[4:5], v4, s26, 0
	v_add3_u32 v13, v13, v15, v14
	v_cndmask_b32_e64 v14, 0, 1, s[10:11]
	v_cmp_ne_u32_e64 s[4:5], 1, v14
	s_andn2_b64 vcc, exec, s[10:11]
	v_lshlrev_b64 v[12:13], 2, v[12:13]
	s_cbranch_vccnz .LBB1549_140
; %bb.131:
	v_mul_lo_u32 v16, v11, s26
	v_mul_lo_u32 v17, v10, s27
	v_mad_u64_u32 v[14:15], s[6:7], v10, s26, 0
	v_add3_u32 v15, v15, v17, v16
	v_mov_b32_e32 v17, s17
	v_add_co_u32_e32 v16, vcc, s16, v12
	v_addc_co_u32_e64 v17, s[6:7], v17, v13, vcc
	v_lshlrev_b64 v[14:15], 2, v[14:15]
	v_mov_b32_e32 v19, s17
	v_add_co_u32_e64 v18, s[6:7], s16, v14
	v_addc_co_u32_e64 v19, s[8:9], v19, v15, s[6:7]
	global_load_dword v14, v[16:17], off
	global_load_dword v20, v[18:19], off
	s_mov_b64 s[36:37], -1
	s_waitcnt vmcnt(0)
	v_cmp_eq_u32_e64 s[8:9], v14, v20
	s_and_saveexec_b64 s[38:39], s[8:9]
	s_cbranch_execz .LBB1549_139
; %bb.132:
	v_mov_b32_e32 v14, s17
	v_addc_co_u32_e64 v15, s[6:7], v15, v14, s[6:7]
	v_add_co_u32_e64 v14, s[6:7], 4, v18
	v_mov_b32_e32 v17, s17
	v_addc_co_u32_e64 v15, s[6:7], 0, v15, s[6:7]
	v_addc_co_u32_e32 v17, vcc, v13, v17, vcc
	v_add_co_u32_e32 v16, vcc, 4, v16
	s_add_u32 s6, s26, -1
	v_addc_co_u32_e32 v17, vcc, 0, v17, vcc
	s_addc_u32 s7, s27, -1
	s_mov_b64 s[8:9], 0
	s_mov_b64 s[40:41], 0
                                        ; implicit-def: $sgpr36_sgpr37
	s_branch .LBB1549_135
.LBB1549_133:                           ;   in Loop: Header=BB1549_135 Depth=1
	global_load_dword v18, v[16:17], off
	global_load_dword v19, v[14:15], off
	v_add_co_u32_e32 v14, vcc, 4, v14
	v_addc_co_u32_e32 v15, vcc, 0, v15, vcc
	v_add_co_u32_e32 v16, vcc, 4, v16
	v_addc_co_u32_e32 v17, vcc, 0, v17, vcc
	s_add_u32 s40, s40, 1
	s_addc_u32 s41, s41, 0
	s_andn2_b64 s[36:37], s[36:37], exec
	s_waitcnt vmcnt(0)
	v_cmp_ne_u32_e32 vcc, v18, v19
	s_and_b64 s[42:43], vcc, exec
	s_or_b64 s[36:37], s[36:37], s[42:43]
.LBB1549_134:                           ;   in Loop: Header=BB1549_135 Depth=1
	s_and_b64 s[42:43], exec, s[36:37]
	s_or_b64 s[8:9], s[42:43], s[8:9]
	v_pk_mov_b32 v[18:19], s[40:41], s[40:41] op_sel:[0,1]
	s_andn2_b64 exec, exec, s[8:9]
	s_cbranch_execz .LBB1549_138
.LBB1549_135:                           ; =>This Inner Loop Header: Depth=1
	s_or_b64 s[36:37], s[36:37], exec
	s_cmp_eq_u64 s[6:7], s[40:41]
	s_cbranch_scc0 .LBB1549_133
; %bb.136:                              ;   in Loop: Header=BB1549_135 Depth=1
                                        ; implicit-def: $vgpr14_vgpr15
                                        ; implicit-def: $vgpr16_vgpr17
	s_mov_b64 s[40:41], s[26:27]
	s_branch .LBB1549_134
.LBB1549_137:
                                        ; implicit-def: $sgpr36_sgpr37
                                        ; implicit-def: $vgpr13
                                        ; implicit-def: $vgpr16
	s_cbranch_execnz .LBB1549_179
	s_branch .LBB1549_237
.LBB1549_138:
	s_or_b64 exec, exec, s[8:9]
	v_cmp_gt_i64_e32 vcc, s[26:27], v[18:19]
	s_orn2_b64 s[36:37], vcc, exec
.LBB1549_139:
	s_or_b64 exec, exec, s[38:39]
.LBB1549_140:
	v_mul_lo_u32 v16, v3, s26
	v_mul_lo_u32 v17, v2, s27
	v_mad_u64_u32 v[14:15], s[6:7], v2, s26, 0
	v_add3_u32 v15, v15, v17, v16
	s_mov_b64 s[38:39], 0
	s_and_b64 vcc, exec, s[4:5]
	v_lshlrev_b64 v[14:15], 2, v[14:15]
	s_mov_b64 s[40:41], 0
	s_cbranch_vccnz .LBB1549_149
; %bb.141:
	v_mov_b32_e32 v17, s17
	v_add_co_u32_e32 v16, vcc, s16, v14
	v_addc_co_u32_e64 v17, s[6:7], v17, v15, vcc
	v_mov_b32_e32 v19, s17
	v_add_co_u32_e64 v18, s[6:7], s16, v12
	v_addc_co_u32_e64 v19, s[8:9], v19, v13, s[6:7]
	global_load_dword v12, v[16:17], off
	global_load_dword v20, v[18:19], off
	s_mov_b64 s[40:41], -1
	s_waitcnt vmcnt(0)
	v_cmp_eq_u32_e64 s[8:9], v12, v20
	s_and_saveexec_b64 s[42:43], s[8:9]
	s_cbranch_execz .LBB1549_148
; %bb.142:
	v_mov_b32_e32 v12, s17
	v_addc_co_u32_e64 v13, s[6:7], v13, v12, s[6:7]
	v_add_co_u32_e64 v12, s[6:7], 4, v18
	v_mov_b32_e32 v17, s17
	v_addc_co_u32_e64 v13, s[6:7], 0, v13, s[6:7]
	v_addc_co_u32_e32 v17, vcc, v15, v17, vcc
	v_add_co_u32_e32 v16, vcc, 4, v16
	s_add_u32 s6, s26, -1
	v_addc_co_u32_e32 v17, vcc, 0, v17, vcc
	s_addc_u32 s7, s27, -1
	s_mov_b64 s[8:9], 0
	s_mov_b64 s[44:45], 0
                                        ; implicit-def: $sgpr40_sgpr41
	s_branch .LBB1549_145
.LBB1549_143:                           ;   in Loop: Header=BB1549_145 Depth=1
	global_load_dword v18, v[16:17], off
	global_load_dword v19, v[12:13], off
	v_add_co_u32_e32 v12, vcc, 4, v12
	v_addc_co_u32_e32 v13, vcc, 0, v13, vcc
	v_add_co_u32_e32 v16, vcc, 4, v16
	v_addc_co_u32_e32 v17, vcc, 0, v17, vcc
	s_add_u32 s44, s44, 1
	s_addc_u32 s45, s45, 0
	s_andn2_b64 s[40:41], s[40:41], exec
	s_waitcnt vmcnt(0)
	v_cmp_ne_u32_e32 vcc, v18, v19
	s_and_b64 s[46:47], vcc, exec
	s_or_b64 s[40:41], s[40:41], s[46:47]
.LBB1549_144:                           ;   in Loop: Header=BB1549_145 Depth=1
	s_and_b64 s[46:47], exec, s[40:41]
	s_or_b64 s[8:9], s[46:47], s[8:9]
	v_pk_mov_b32 v[18:19], s[44:45], s[44:45] op_sel:[0,1]
	s_andn2_b64 exec, exec, s[8:9]
	s_cbranch_execz .LBB1549_147
.LBB1549_145:                           ; =>This Inner Loop Header: Depth=1
	s_or_b64 s[40:41], s[40:41], exec
	s_cmp_eq_u64 s[6:7], s[44:45]
	s_cbranch_scc0 .LBB1549_143
; %bb.146:                              ;   in Loop: Header=BB1549_145 Depth=1
                                        ; implicit-def: $vgpr12_vgpr13
                                        ; implicit-def: $vgpr16_vgpr17
	s_mov_b64 s[44:45], s[26:27]
	s_branch .LBB1549_144
.LBB1549_147:
	s_or_b64 exec, exec, s[8:9]
	v_cmp_gt_i64_e32 vcc, s[26:27], v[18:19]
	s_orn2_b64 s[40:41], vcc, exec
.LBB1549_148:
	s_or_b64 exec, exec, s[42:43]
.LBB1549_149:
	v_mul_lo_u32 v16, v9, s26
	v_mul_lo_u32 v17, v8, s27
	v_mad_u64_u32 v[12:13], s[6:7], v8, s26, 0
	v_add3_u32 v13, v13, v17, v16
	s_and_b64 vcc, exec, s[4:5]
	v_lshlrev_b64 v[12:13], 2, v[12:13]
	s_cbranch_vccnz .LBB1549_158
; %bb.150:
	v_mov_b32_e32 v17, s17
	v_add_co_u32_e32 v16, vcc, s16, v12
	v_addc_co_u32_e64 v17, s[6:7], v17, v13, vcc
	v_mov_b32_e32 v19, s17
	v_add_co_u32_e64 v18, s[6:7], s16, v14
	v_addc_co_u32_e64 v19, s[8:9], v19, v15, s[6:7]
	global_load_dword v14, v[16:17], off
	global_load_dword v20, v[18:19], off
	s_mov_b64 s[38:39], -1
	s_waitcnt vmcnt(0)
	v_cmp_eq_u32_e64 s[8:9], v14, v20
	s_and_saveexec_b64 s[42:43], s[8:9]
	s_cbranch_execz .LBB1549_157
; %bb.151:
	v_mov_b32_e32 v14, s17
	v_addc_co_u32_e64 v15, s[6:7], v15, v14, s[6:7]
	v_add_co_u32_e64 v14, s[6:7], 4, v18
	v_mov_b32_e32 v17, s17
	v_addc_co_u32_e64 v15, s[6:7], 0, v15, s[6:7]
	v_addc_co_u32_e32 v17, vcc, v13, v17, vcc
	v_add_co_u32_e32 v16, vcc, 4, v16
	s_add_u32 s6, s26, -1
	v_addc_co_u32_e32 v17, vcc, 0, v17, vcc
	s_addc_u32 s7, s27, -1
	s_mov_b64 s[8:9], 0
	s_mov_b64 s[44:45], 0
                                        ; implicit-def: $sgpr38_sgpr39
	s_branch .LBB1549_154
.LBB1549_152:                           ;   in Loop: Header=BB1549_154 Depth=1
	global_load_dword v18, v[16:17], off
	global_load_dword v19, v[14:15], off
	v_add_co_u32_e32 v14, vcc, 4, v14
	v_addc_co_u32_e32 v15, vcc, 0, v15, vcc
	v_add_co_u32_e32 v16, vcc, 4, v16
	v_addc_co_u32_e32 v17, vcc, 0, v17, vcc
	s_add_u32 s44, s44, 1
	s_addc_u32 s45, s45, 0
	s_andn2_b64 s[38:39], s[38:39], exec
	s_waitcnt vmcnt(0)
	v_cmp_ne_u32_e32 vcc, v18, v19
	s_and_b64 s[46:47], vcc, exec
	s_or_b64 s[38:39], s[38:39], s[46:47]
.LBB1549_153:                           ;   in Loop: Header=BB1549_154 Depth=1
	s_and_b64 s[46:47], exec, s[38:39]
	s_or_b64 s[8:9], s[46:47], s[8:9]
	v_pk_mov_b32 v[18:19], s[44:45], s[44:45] op_sel:[0,1]
	s_andn2_b64 exec, exec, s[8:9]
	s_cbranch_execz .LBB1549_156
.LBB1549_154:                           ; =>This Inner Loop Header: Depth=1
	s_or_b64 s[38:39], s[38:39], exec
	s_cmp_eq_u64 s[6:7], s[44:45]
	s_cbranch_scc0 .LBB1549_152
; %bb.155:                              ;   in Loop: Header=BB1549_154 Depth=1
                                        ; implicit-def: $vgpr14_vgpr15
                                        ; implicit-def: $vgpr16_vgpr17
	s_mov_b64 s[44:45], s[26:27]
	s_branch .LBB1549_153
.LBB1549_156:
	s_or_b64 exec, exec, s[8:9]
	v_cmp_gt_i64_e32 vcc, s[26:27], v[18:19]
	s_orn2_b64 s[38:39], vcc, exec
.LBB1549_157:
	s_or_b64 exec, exec, s[42:43]
.LBB1549_158:
	v_mul_lo_u32 v16, v7, s26
	v_mul_lo_u32 v17, v6, s27
	v_mad_u64_u32 v[14:15], s[6:7], v6, s26, 0
	v_add3_u32 v15, v15, v17, v16
	s_and_b64 vcc, exec, s[4:5]
	s_mov_b64 s[44:45], 0
	s_cbranch_vccnz .LBB1549_167
; %bb.159:
	v_lshlrev_b64 v[16:17], 2, v[14:15]
	v_mov_b32_e32 v19, s17
	v_add_co_u32_e32 v18, vcc, s16, v16
	v_addc_co_u32_e64 v19, s[6:7], v19, v17, vcc
	v_mov_b32_e32 v16, s17
	v_add_co_u32_e64 v20, s[6:7], s16, v12
	v_addc_co_u32_e64 v21, s[8:9], v16, v13, s[6:7]
	global_load_dword v12, v[18:19], off
	global_load_dword v16, v[20:21], off
	s_mov_b64 s[44:45], -1
	s_waitcnt vmcnt(0)
	v_cmp_eq_u32_e64 s[8:9], v12, v16
	s_and_saveexec_b64 s[42:43], s[8:9]
	s_cbranch_execz .LBB1549_166
; %bb.160:
	v_mov_b32_e32 v12, s17
	v_addc_co_u32_e64 v13, s[6:7], v13, v12, s[6:7]
	v_add_co_u32_e64 v12, s[6:7], 4, v20
	v_mov_b32_e32 v16, s17
	v_addc_co_u32_e64 v13, s[6:7], 0, v13, s[6:7]
	v_addc_co_u32_e32 v17, vcc, v17, v16, vcc
	v_add_co_u32_e32 v16, vcc, 4, v18
	s_add_u32 s6, s26, -1
	v_addc_co_u32_e32 v17, vcc, 0, v17, vcc
	s_addc_u32 s7, s27, -1
	s_mov_b64 s[8:9], 0
	s_mov_b64 s[46:47], 0
                                        ; implicit-def: $sgpr44_sgpr45
	s_branch .LBB1549_163
.LBB1549_161:                           ;   in Loop: Header=BB1549_163 Depth=1
	global_load_dword v18, v[16:17], off
	global_load_dword v19, v[12:13], off
	v_add_co_u32_e32 v12, vcc, 4, v12
	v_addc_co_u32_e32 v13, vcc, 0, v13, vcc
	v_add_co_u32_e32 v16, vcc, 4, v16
	v_addc_co_u32_e32 v17, vcc, 0, v17, vcc
	s_add_u32 s46, s46, 1
	s_addc_u32 s47, s47, 0
	s_andn2_b64 s[44:45], s[44:45], exec
	s_waitcnt vmcnt(0)
	v_cmp_ne_u32_e32 vcc, v18, v19
	s_and_b64 s[50:51], vcc, exec
	s_or_b64 s[44:45], s[44:45], s[50:51]
.LBB1549_162:                           ;   in Loop: Header=BB1549_163 Depth=1
	s_and_b64 s[50:51], exec, s[44:45]
	s_or_b64 s[8:9], s[50:51], s[8:9]
	v_pk_mov_b32 v[18:19], s[46:47], s[46:47] op_sel:[0,1]
	s_andn2_b64 exec, exec, s[8:9]
	s_cbranch_execz .LBB1549_165
.LBB1549_163:                           ; =>This Inner Loop Header: Depth=1
	s_or_b64 s[44:45], s[44:45], exec
	s_cmp_eq_u64 s[6:7], s[46:47]
	s_cbranch_scc0 .LBB1549_161
; %bb.164:                              ;   in Loop: Header=BB1549_163 Depth=1
                                        ; implicit-def: $vgpr12_vgpr13
                                        ; implicit-def: $vgpr16_vgpr17
	s_mov_b64 s[46:47], s[26:27]
	s_branch .LBB1549_162
.LBB1549_165:
	s_or_b64 exec, exec, s[8:9]
	v_cmp_gt_i64_e32 vcc, s[26:27], v[18:19]
	s_orn2_b64 s[44:45], vcc, exec
.LBB1549_166:
	s_or_b64 exec, exec, s[42:43]
.LBB1549_167:
	v_cndmask_b32_e64 v13, 0, 1, s[40:41]
	v_cndmask_b32_e64 v16, 0, 1, s[44:45]
	v_cndmask_b32_e64 v12, 0, 1, s[38:39]
	v_lshlrev_b16_e32 v16, 8, v16
	v_lshlrev_b16_e32 v13, 8, v13
	v_or_b32_e32 v16, 1, v16
	v_or_b32_sdwa v12, v12, v13 dst_sel:WORD_1 dst_unused:UNUSED_PAD src0_sel:DWORD src1_sel:DWORD
	v_or_b32_sdwa v12, v16, v12 dst_sel:DWORD dst_unused:UNUSED_PAD src0_sel:WORD_0 src1_sel:DWORD
	v_cndmask_b32_e64 v13, 0, 1, s[36:37]
	s_waitcnt lgkmcnt(0)
	s_barrier
	s_waitcnt lgkmcnt(0)
                                        ; implicit-def: $sgpr36_sgpr37
                                        ; implicit-def: $vgpr16
	s_and_saveexec_b64 s[6:7], s[2:3]
	s_xor_b64 s[8:9], exec, s[6:7]
	s_cbranch_execz .LBB1549_178
; %bb.168:
	s_mov_b32 s42, 0x3020104
	s_and_b64 vcc, exec, s[4:5]
	s_mov_b64 s[38:39], 0
	s_cbranch_vccnz .LBB1549_177
; %bb.169:
	v_add_u32_e32 v16, -8, v26
	ds_read_b64 v[16:17], v16
	v_mov_b32_e32 v19, s17
	v_lshlrev_b64 v[14:15], 2, v[14:15]
	s_mov_b64 s[38:39], -1
	s_waitcnt lgkmcnt(0)
	v_mul_lo_u32 v18, v17, s26
	v_mul_lo_u32 v20, v16, s27
	v_mad_u64_u32 v[16:17], s[4:5], v16, s26, 0
	v_add3_u32 v17, v17, v20, v18
	v_lshlrev_b64 v[16:17], 2, v[16:17]
	v_add_co_u32_e32 v18, vcc, s16, v16
	v_addc_co_u32_e64 v19, s[4:5], v19, v17, vcc
	v_mov_b32_e32 v16, s17
	v_add_co_u32_e64 v20, s[4:5], s16, v14
	v_addc_co_u32_e64 v21, s[6:7], v16, v15, s[4:5]
	global_load_dword v14, v[18:19], off
	global_load_dword v16, v[20:21], off
	s_waitcnt vmcnt(0)
	v_cmp_eq_u32_e64 s[6:7], v14, v16
	s_and_saveexec_b64 s[36:37], s[6:7]
	s_cbranch_execz .LBB1549_176
; %bb.170:
	v_mov_b32_e32 v14, s17
	v_addc_co_u32_e64 v15, s[4:5], v15, v14, s[4:5]
	v_add_co_u32_e64 v14, s[4:5], 4, v20
	v_mov_b32_e32 v16, s17
	v_addc_co_u32_e64 v15, s[4:5], 0, v15, s[4:5]
	v_addc_co_u32_e32 v17, vcc, v17, v16, vcc
	v_add_co_u32_e32 v16, vcc, 4, v18
	s_add_u32 s4, s26, -1
	v_addc_co_u32_e32 v17, vcc, 0, v17, vcc
	s_addc_u32 s5, s27, -1
	s_mov_b64 s[6:7], 0
	s_mov_b64 s[40:41], 0
                                        ; implicit-def: $sgpr38_sgpr39
	s_branch .LBB1549_173
.LBB1549_171:                           ;   in Loop: Header=BB1549_173 Depth=1
	global_load_dword v18, v[16:17], off
	global_load_dword v19, v[14:15], off
	v_add_co_u32_e32 v14, vcc, 4, v14
	v_addc_co_u32_e32 v15, vcc, 0, v15, vcc
	v_add_co_u32_e32 v16, vcc, 4, v16
	v_addc_co_u32_e32 v17, vcc, 0, v17, vcc
	s_add_u32 s40, s40, 1
	s_addc_u32 s41, s41, 0
	s_andn2_b64 s[38:39], s[38:39], exec
	s_waitcnt vmcnt(0)
	v_cmp_ne_u32_e32 vcc, v18, v19
	s_and_b64 s[44:45], vcc, exec
	s_or_b64 s[38:39], s[38:39], s[44:45]
.LBB1549_172:                           ;   in Loop: Header=BB1549_173 Depth=1
	s_and_b64 s[44:45], exec, s[38:39]
	s_or_b64 s[6:7], s[44:45], s[6:7]
	v_pk_mov_b32 v[18:19], s[40:41], s[40:41] op_sel:[0,1]
	s_andn2_b64 exec, exec, s[6:7]
	s_cbranch_execz .LBB1549_175
.LBB1549_173:                           ; =>This Inner Loop Header: Depth=1
	s_or_b64 s[38:39], s[38:39], exec
	s_cmp_eq_u64 s[4:5], s[40:41]
	s_cbranch_scc0 .LBB1549_171
; %bb.174:                              ;   in Loop: Header=BB1549_173 Depth=1
                                        ; implicit-def: $vgpr14_vgpr15
                                        ; implicit-def: $vgpr16_vgpr17
	s_mov_b64 s[40:41], s[26:27]
	s_branch .LBB1549_172
.LBB1549_175:
	s_or_b64 exec, exec, s[6:7]
	v_cmp_gt_i64_e32 vcc, s[26:27], v[18:19]
	s_orn2_b64 s[38:39], vcc, exec
.LBB1549_176:
	s_or_b64 exec, exec, s[36:37]
.LBB1549_177:
	v_perm_b32 v16, v12, v12, s42
	s_and_b64 s[36:37], s[38:39], exec
	s_or_b64 s[14:15], s[14:15], exec
.LBB1549_178:
	s_or_b64 exec, exec, s[8:9]
	s_branch .LBB1549_237
.LBB1549_179:
	v_cmp_gt_u32_e32 vcc, s48, v23
	s_mov_b64 s[36:37], 0
	s_mov_b64 s[8:9], 0
	s_and_saveexec_b64 s[38:39], vcc
	s_cbranch_execz .LBB1549_190
; %bb.180:
	s_andn2_b64 vcc, exec, s[10:11]
	s_mov_b64 s[40:41], 0
	s_cbranch_vccnz .LBB1549_189
; %bb.181:
	s_waitcnt vmcnt(0) lgkmcnt(1)
	v_mul_lo_u32 v14, v5, s26
	v_mul_lo_u32 v15, v4, s27
	v_mad_u64_u32 v[12:13], s[4:5], v4, s26, 0
	v_add3_u32 v13, v13, v15, v14
	v_mul_lo_u32 v14, v11, s26
	v_mul_lo_u32 v15, v10, s27
	v_mad_u64_u32 v[18:19], s[4:5], v10, s26, 0
	v_add3_u32 v19, v19, v15, v14
	v_lshlrev_b64 v[14:15], 2, v[12:13]
	v_mov_b32_e32 v12, s17
	v_add_co_u32_e32 v16, vcc, s16, v14
	v_addc_co_u32_e64 v17, s[4:5], v12, v15, vcc
	v_lshlrev_b64 v[12:13], 2, v[18:19]
	v_mov_b32_e32 v14, s17
	v_add_co_u32_e64 v18, s[4:5], s16, v12
	v_addc_co_u32_e64 v19, s[6:7], v14, v13, s[4:5]
	global_load_dword v12, v[16:17], off
	global_load_dword v14, v[18:19], off
	s_mov_b64 s[40:41], -1
	s_waitcnt vmcnt(0)
	v_cmp_eq_u32_e64 s[6:7], v12, v14
	s_and_saveexec_b64 s[8:9], s[6:7]
	s_cbranch_execz .LBB1549_188
; %bb.182:
	v_mov_b32_e32 v12, s17
	v_addc_co_u32_e64 v13, s[4:5], v13, v12, s[4:5]
	v_add_co_u32_e64 v12, s[4:5], 4, v18
	v_mov_b32_e32 v14, s17
	v_addc_co_u32_e64 v13, s[4:5], 0, v13, s[4:5]
	v_addc_co_u32_e32 v15, vcc, v15, v14, vcc
	v_add_co_u32_e32 v14, vcc, 4, v16
	s_add_u32 s4, s26, -1
	v_addc_co_u32_e32 v15, vcc, 0, v15, vcc
	s_addc_u32 s5, s27, -1
	s_mov_b64 s[6:7], 0
	s_mov_b64 s[42:43], 0
                                        ; implicit-def: $sgpr40_sgpr41
	s_branch .LBB1549_185
.LBB1549_183:                           ;   in Loop: Header=BB1549_185 Depth=1
	global_load_dword v16, v[14:15], off
	global_load_dword v17, v[12:13], off
	v_add_co_u32_e32 v12, vcc, 4, v12
	v_addc_co_u32_e32 v13, vcc, 0, v13, vcc
	v_add_co_u32_e32 v14, vcc, 4, v14
	v_addc_co_u32_e32 v15, vcc, 0, v15, vcc
	s_add_u32 s42, s42, 1
	s_addc_u32 s43, s43, 0
	s_andn2_b64 s[40:41], s[40:41], exec
	s_waitcnt vmcnt(0)
	v_cmp_ne_u32_e32 vcc, v16, v17
	s_and_b64 s[44:45], vcc, exec
	s_or_b64 s[40:41], s[40:41], s[44:45]
.LBB1549_184:                           ;   in Loop: Header=BB1549_185 Depth=1
	s_and_b64 s[44:45], exec, s[40:41]
	s_or_b64 s[6:7], s[44:45], s[6:7]
	v_pk_mov_b32 v[16:17], s[42:43], s[42:43] op_sel:[0,1]
	s_andn2_b64 exec, exec, s[6:7]
	s_cbranch_execz .LBB1549_187
.LBB1549_185:                           ; =>This Inner Loop Header: Depth=1
	s_or_b64 s[40:41], s[40:41], exec
	s_cmp_eq_u64 s[4:5], s[42:43]
	s_cbranch_scc0 .LBB1549_183
; %bb.186:                              ;   in Loop: Header=BB1549_185 Depth=1
                                        ; implicit-def: $vgpr12_vgpr13
                                        ; implicit-def: $vgpr14_vgpr15
	s_mov_b64 s[42:43], s[26:27]
	s_branch .LBB1549_184
.LBB1549_187:
	s_or_b64 exec, exec, s[6:7]
	v_cmp_gt_i64_e32 vcc, s[26:27], v[16:17]
	s_orn2_b64 s[40:41], vcc, exec
.LBB1549_188:
	s_or_b64 exec, exec, s[8:9]
.LBB1549_189:
	s_and_b64 s[8:9], s[40:41], exec
.LBB1549_190:
	s_or_b64 exec, exec, s[38:39]
	v_cmp_gt_u32_e32 vcc, s48, v25
	s_and_saveexec_b64 s[38:39], vcc
	s_cbranch_execz .LBB1549_201
; %bb.191:
	s_andn2_b64 vcc, exec, s[10:11]
	s_mov_b64 s[40:41], 0
	s_cbranch_vccnz .LBB1549_200
; %bb.192:
	s_waitcnt vmcnt(0) lgkmcnt(1)
	v_mul_lo_u32 v14, v3, s26
	v_mul_lo_u32 v15, v2, s27
	v_mad_u64_u32 v[12:13], s[4:5], v2, s26, 0
	v_add3_u32 v13, v13, v15, v14
	v_mul_lo_u32 v14, v5, s26
	v_mul_lo_u32 v15, v4, s27
	v_mad_u64_u32 v[18:19], s[4:5], v4, s26, 0
	v_add3_u32 v19, v19, v15, v14
	v_lshlrev_b64 v[14:15], 2, v[12:13]
	v_mov_b32_e32 v12, s17
	v_add_co_u32_e32 v16, vcc, s16, v14
	v_addc_co_u32_e64 v17, s[4:5], v12, v15, vcc
	v_lshlrev_b64 v[12:13], 2, v[18:19]
	v_mov_b32_e32 v14, s17
	v_add_co_u32_e64 v18, s[4:5], s16, v12
	v_addc_co_u32_e64 v19, s[6:7], v14, v13, s[4:5]
	global_load_dword v12, v[16:17], off
	global_load_dword v14, v[18:19], off
	s_mov_b64 s[40:41], -1
	s_waitcnt vmcnt(0)
	v_cmp_eq_u32_e64 s[6:7], v12, v14
	s_and_saveexec_b64 s[36:37], s[6:7]
	s_cbranch_execz .LBB1549_199
; %bb.193:
	v_mov_b32_e32 v12, s17
	v_addc_co_u32_e64 v13, s[4:5], v13, v12, s[4:5]
	v_add_co_u32_e64 v12, s[4:5], 4, v18
	v_mov_b32_e32 v14, s17
	v_addc_co_u32_e64 v13, s[4:5], 0, v13, s[4:5]
	v_addc_co_u32_e32 v15, vcc, v15, v14, vcc
	v_add_co_u32_e32 v14, vcc, 4, v16
	s_add_u32 s4, s26, -1
	v_addc_co_u32_e32 v15, vcc, 0, v15, vcc
	s_addc_u32 s5, s27, -1
	s_mov_b64 s[6:7], 0
	s_mov_b64 s[42:43], 0
                                        ; implicit-def: $sgpr40_sgpr41
	s_branch .LBB1549_196
.LBB1549_194:                           ;   in Loop: Header=BB1549_196 Depth=1
	global_load_dword v16, v[14:15], off
	global_load_dword v17, v[12:13], off
	v_add_co_u32_e32 v12, vcc, 4, v12
	v_addc_co_u32_e32 v13, vcc, 0, v13, vcc
	v_add_co_u32_e32 v14, vcc, 4, v14
	v_addc_co_u32_e32 v15, vcc, 0, v15, vcc
	s_add_u32 s42, s42, 1
	s_addc_u32 s43, s43, 0
	s_andn2_b64 s[40:41], s[40:41], exec
	s_waitcnt vmcnt(0)
	v_cmp_ne_u32_e32 vcc, v16, v17
	s_and_b64 s[44:45], vcc, exec
	s_or_b64 s[40:41], s[40:41], s[44:45]
.LBB1549_195:                           ;   in Loop: Header=BB1549_196 Depth=1
	s_and_b64 s[44:45], exec, s[40:41]
	s_or_b64 s[6:7], s[44:45], s[6:7]
	v_pk_mov_b32 v[16:17], s[42:43], s[42:43] op_sel:[0,1]
	s_andn2_b64 exec, exec, s[6:7]
	s_cbranch_execz .LBB1549_198
.LBB1549_196:                           ; =>This Inner Loop Header: Depth=1
	s_or_b64 s[40:41], s[40:41], exec
	s_cmp_eq_u64 s[4:5], s[42:43]
	s_cbranch_scc0 .LBB1549_194
; %bb.197:                              ;   in Loop: Header=BB1549_196 Depth=1
                                        ; implicit-def: $vgpr12_vgpr13
                                        ; implicit-def: $vgpr14_vgpr15
	s_mov_b64 s[42:43], s[26:27]
	s_branch .LBB1549_195
.LBB1549_198:
	s_or_b64 exec, exec, s[6:7]
	v_cmp_gt_i64_e32 vcc, s[26:27], v[16:17]
	s_orn2_b64 s[40:41], vcc, exec
.LBB1549_199:
	s_or_b64 exec, exec, s[36:37]
.LBB1549_200:
	s_and_b64 s[36:37], s[40:41], exec
.LBB1549_201:
	s_or_b64 exec, exec, s[38:39]
	v_cmp_gt_u32_e32 vcc, s48, v22
	s_mov_b64 s[38:39], 0
	s_mov_b64 s[40:41], 0
	s_and_saveexec_b64 s[42:43], vcc
	s_cbranch_execz .LBB1549_212
; %bb.202:
	s_andn2_b64 vcc, exec, s[10:11]
	s_mov_b64 s[44:45], 0
	s_cbranch_vccnz .LBB1549_211
; %bb.203:
	s_waitcnt vmcnt(0) lgkmcnt(1)
	v_mul_lo_u32 v14, v9, s26
	v_mul_lo_u32 v15, v8, s27
	v_mad_u64_u32 v[12:13], s[4:5], v8, s26, 0
	v_add3_u32 v13, v13, v15, v14
	v_mul_lo_u32 v14, v3, s26
	v_mul_lo_u32 v15, v2, s27
	v_mad_u64_u32 v[18:19], s[4:5], v2, s26, 0
	v_add3_u32 v19, v19, v15, v14
	v_lshlrev_b64 v[14:15], 2, v[12:13]
	v_mov_b32_e32 v12, s17
	v_add_co_u32_e32 v16, vcc, s16, v14
	v_addc_co_u32_e64 v17, s[4:5], v12, v15, vcc
	v_lshlrev_b64 v[12:13], 2, v[18:19]
	v_mov_b32_e32 v14, s17
	v_add_co_u32_e64 v18, s[4:5], s16, v12
	v_addc_co_u32_e64 v19, s[6:7], v14, v13, s[4:5]
	global_load_dword v12, v[16:17], off
	global_load_dword v14, v[18:19], off
	s_mov_b64 s[44:45], -1
	s_waitcnt vmcnt(0)
	v_cmp_eq_u32_e64 s[6:7], v12, v14
	s_and_saveexec_b64 s[40:41], s[6:7]
	s_cbranch_execz .LBB1549_210
; %bb.204:
	v_mov_b32_e32 v12, s17
	v_addc_co_u32_e64 v13, s[4:5], v13, v12, s[4:5]
	v_add_co_u32_e64 v12, s[4:5], 4, v18
	v_mov_b32_e32 v14, s17
	v_addc_co_u32_e64 v13, s[4:5], 0, v13, s[4:5]
	v_addc_co_u32_e32 v15, vcc, v15, v14, vcc
	v_add_co_u32_e32 v14, vcc, 4, v16
	s_add_u32 s4, s26, -1
	v_addc_co_u32_e32 v15, vcc, 0, v15, vcc
	s_addc_u32 s5, s27, -1
	s_mov_b64 s[6:7], 0
	s_mov_b64 s[46:47], 0
                                        ; implicit-def: $sgpr44_sgpr45
	s_branch .LBB1549_207
.LBB1549_205:                           ;   in Loop: Header=BB1549_207 Depth=1
	global_load_dword v16, v[14:15], off
	global_load_dword v17, v[12:13], off
	v_add_co_u32_e32 v12, vcc, 4, v12
	v_addc_co_u32_e32 v13, vcc, 0, v13, vcc
	v_add_co_u32_e32 v14, vcc, 4, v14
	v_addc_co_u32_e32 v15, vcc, 0, v15, vcc
	s_add_u32 s46, s46, 1
	s_addc_u32 s47, s47, 0
	s_andn2_b64 s[44:45], s[44:45], exec
	s_waitcnt vmcnt(0)
	v_cmp_ne_u32_e32 vcc, v16, v17
	s_and_b64 s[50:51], vcc, exec
	s_or_b64 s[44:45], s[44:45], s[50:51]
.LBB1549_206:                           ;   in Loop: Header=BB1549_207 Depth=1
	s_and_b64 s[50:51], exec, s[44:45]
	s_or_b64 s[6:7], s[50:51], s[6:7]
	v_pk_mov_b32 v[16:17], s[46:47], s[46:47] op_sel:[0,1]
	s_andn2_b64 exec, exec, s[6:7]
	s_cbranch_execz .LBB1549_209
.LBB1549_207:                           ; =>This Inner Loop Header: Depth=1
	s_or_b64 s[44:45], s[44:45], exec
	s_cmp_eq_u64 s[4:5], s[46:47]
	s_cbranch_scc0 .LBB1549_205
; %bb.208:                              ;   in Loop: Header=BB1549_207 Depth=1
                                        ; implicit-def: $vgpr12_vgpr13
                                        ; implicit-def: $vgpr14_vgpr15
	s_mov_b64 s[46:47], s[26:27]
	s_branch .LBB1549_206
.LBB1549_209:
	s_or_b64 exec, exec, s[6:7]
	v_cmp_gt_i64_e32 vcc, s[26:27], v[16:17]
	s_orn2_b64 s[44:45], vcc, exec
.LBB1549_210:
	s_or_b64 exec, exec, s[40:41]
.LBB1549_211:
	s_and_b64 s[40:41], s[44:45], exec
.LBB1549_212:
	s_or_b64 exec, exec, s[42:43]
	v_cmp_gt_u32_e32 vcc, s48, v24
	s_and_saveexec_b64 s[42:43], vcc
	s_cbranch_execz .LBB1549_223
; %bb.213:
	s_andn2_b64 vcc, exec, s[10:11]
	s_mov_b64 s[44:45], 0
	s_cbranch_vccnz .LBB1549_222
; %bb.214:
	s_waitcnt vmcnt(0) lgkmcnt(1)
	v_mul_lo_u32 v14, v7, s26
	v_mul_lo_u32 v15, v6, s27
	v_mad_u64_u32 v[12:13], s[4:5], v6, s26, 0
	v_add3_u32 v13, v13, v15, v14
	v_mul_lo_u32 v14, v9, s26
	v_mul_lo_u32 v15, v8, s27
	v_mad_u64_u32 v[18:19], s[4:5], v8, s26, 0
	v_add3_u32 v19, v19, v15, v14
	v_lshlrev_b64 v[14:15], 2, v[12:13]
	v_mov_b32_e32 v12, s17
	v_add_co_u32_e32 v16, vcc, s16, v14
	v_addc_co_u32_e64 v17, s[4:5], v12, v15, vcc
	v_lshlrev_b64 v[12:13], 2, v[18:19]
	v_mov_b32_e32 v14, s17
	v_add_co_u32_e64 v18, s[4:5], s16, v12
	v_addc_co_u32_e64 v19, s[6:7], v14, v13, s[4:5]
	global_load_dword v12, v[16:17], off
	global_load_dword v14, v[18:19], off
	s_mov_b64 s[44:45], -1
	s_waitcnt vmcnt(0)
	v_cmp_eq_u32_e64 s[6:7], v12, v14
	s_and_saveexec_b64 s[38:39], s[6:7]
	s_cbranch_execz .LBB1549_221
; %bb.215:
	v_mov_b32_e32 v12, s17
	v_addc_co_u32_e64 v13, s[4:5], v13, v12, s[4:5]
	v_add_co_u32_e64 v12, s[4:5], 4, v18
	v_mov_b32_e32 v14, s17
	v_addc_co_u32_e64 v13, s[4:5], 0, v13, s[4:5]
	v_addc_co_u32_e32 v15, vcc, v15, v14, vcc
	v_add_co_u32_e32 v14, vcc, 4, v16
	s_add_u32 s4, s26, -1
	v_addc_co_u32_e32 v15, vcc, 0, v15, vcc
	s_addc_u32 s5, s27, -1
	s_mov_b64 s[6:7], 0
	s_mov_b64 s[46:47], 0
                                        ; implicit-def: $sgpr44_sgpr45
	s_branch .LBB1549_218
.LBB1549_216:                           ;   in Loop: Header=BB1549_218 Depth=1
	global_load_dword v16, v[14:15], off
	global_load_dword v17, v[12:13], off
	v_add_co_u32_e32 v12, vcc, 4, v12
	v_addc_co_u32_e32 v13, vcc, 0, v13, vcc
	v_add_co_u32_e32 v14, vcc, 4, v14
	v_addc_co_u32_e32 v15, vcc, 0, v15, vcc
	s_add_u32 s46, s46, 1
	s_addc_u32 s47, s47, 0
	s_andn2_b64 s[44:45], s[44:45], exec
	s_waitcnt vmcnt(0)
	v_cmp_ne_u32_e32 vcc, v16, v17
	s_and_b64 s[50:51], vcc, exec
	s_or_b64 s[44:45], s[44:45], s[50:51]
.LBB1549_217:                           ;   in Loop: Header=BB1549_218 Depth=1
	s_and_b64 s[50:51], exec, s[44:45]
	s_or_b64 s[6:7], s[50:51], s[6:7]
	v_pk_mov_b32 v[16:17], s[46:47], s[46:47] op_sel:[0,1]
	s_andn2_b64 exec, exec, s[6:7]
	s_cbranch_execz .LBB1549_220
.LBB1549_218:                           ; =>This Inner Loop Header: Depth=1
	s_or_b64 s[44:45], s[44:45], exec
	s_cmp_eq_u64 s[4:5], s[46:47]
	s_cbranch_scc0 .LBB1549_216
; %bb.219:                              ;   in Loop: Header=BB1549_218 Depth=1
                                        ; implicit-def: $vgpr12_vgpr13
                                        ; implicit-def: $vgpr14_vgpr15
	s_mov_b64 s[46:47], s[26:27]
	s_branch .LBB1549_217
.LBB1549_220:
	s_or_b64 exec, exec, s[6:7]
	v_cmp_gt_i64_e32 vcc, s[26:27], v[16:17]
	s_orn2_b64 s[44:45], vcc, exec
.LBB1549_221:
	s_or_b64 exec, exec, s[38:39]
.LBB1549_222:
	s_and_b64 s[38:39], s[44:45], exec
.LBB1549_223:
	s_or_b64 exec, exec, s[42:43]
	v_cndmask_b32_e64 v13, 0, 1, s[36:37]
	s_waitcnt vmcnt(0) lgkmcnt(1)
	v_cndmask_b32_e64 v14, 0, 1, s[38:39]
	v_cndmask_b32_e64 v12, 0, 1, s[40:41]
	v_lshlrev_b16_e32 v14, 8, v14
	v_lshlrev_b16_e32 v13, 8, v13
	v_or_b32_e32 v14, 1, v14
	v_or_b32_sdwa v12, v12, v13 dst_sel:WORD_1 dst_unused:UNUSED_PAD src0_sel:DWORD src1_sel:DWORD
	v_or_b32_sdwa v12, v14, v12 dst_sel:DWORD dst_unused:UNUSED_PAD src0_sel:WORD_0 src1_sel:DWORD
	v_cndmask_b32_e64 v13, 0, 1, s[8:9]
	s_waitcnt lgkmcnt(0)
	s_barrier
	s_waitcnt lgkmcnt(0)
                                        ; implicit-def: $sgpr36_sgpr37
                                        ; implicit-def: $vgpr16
	s_and_saveexec_b64 s[6:7], s[2:3]
	s_cbranch_execz .LBB1549_236
; %bb.224:
	v_cmp_gt_u32_e32 vcc, s48, v1
	s_mov_b32 s38, 0x3020104
	s_mov_b64 s[2:3], 0
	s_and_saveexec_b64 s[8:9], vcc
	s_cbranch_execz .LBB1549_235
; %bb.225:
	s_andn2_b64 vcc, exec, s[10:11]
	s_mov_b64 s[36:37], 0
	s_cbranch_vccnz .LBB1549_234
; %bb.226:
	v_add_u32_e32 v14, -8, v26
	ds_read_b64 v[14:15], v14
	v_mul_lo_u32 v16, v7, s26
	v_mad_u64_u32 v[20:21], s[2:3], v6, s26, 0
	s_mov_b64 s[36:37], -1
	s_waitcnt lgkmcnt(0)
	v_mul_lo_u32 v17, v15, s26
	v_mul_lo_u32 v18, v14, s27
	v_mad_u64_u32 v[14:15], s[2:3], v14, s26, 0
	v_add3_u32 v15, v15, v18, v17
	v_mul_lo_u32 v17, v6, s27
	v_add3_u32 v21, v21, v17, v16
	v_lshlrev_b64 v[16:17], 2, v[14:15]
	v_mov_b32_e32 v14, s17
	v_add_co_u32_e32 v18, vcc, s16, v16
	v_addc_co_u32_e64 v19, s[2:3], v14, v17, vcc
	v_lshlrev_b64 v[14:15], 2, v[20:21]
	v_mov_b32_e32 v16, s17
	v_add_co_u32_e64 v20, s[2:3], s16, v14
	v_addc_co_u32_e64 v21, s[4:5], v16, v15, s[2:3]
	global_load_dword v14, v[18:19], off
	global_load_dword v16, v[20:21], off
	s_waitcnt vmcnt(0)
	v_cmp_eq_u32_e64 s[4:5], v14, v16
	s_and_saveexec_b64 s[10:11], s[4:5]
	s_cbranch_execz .LBB1549_233
; %bb.227:
	v_mov_b32_e32 v14, s17
	v_addc_co_u32_e64 v15, s[2:3], v15, v14, s[2:3]
	v_add_co_u32_e64 v14, s[2:3], 4, v20
	v_mov_b32_e32 v16, s17
	v_addc_co_u32_e64 v15, s[2:3], 0, v15, s[2:3]
	v_addc_co_u32_e32 v17, vcc, v17, v16, vcc
	v_add_co_u32_e32 v16, vcc, 4, v18
	s_add_u32 s2, s26, -1
	v_addc_co_u32_e32 v17, vcc, 0, v17, vcc
	s_addc_u32 s3, s27, -1
	s_mov_b64 s[4:5], 0
	s_mov_b64 s[36:37], 0
                                        ; implicit-def: $sgpr16_sgpr17
	s_branch .LBB1549_230
.LBB1549_228:                           ;   in Loop: Header=BB1549_230 Depth=1
	global_load_dword v18, v[16:17], off
	global_load_dword v19, v[14:15], off
	v_add_co_u32_e32 v14, vcc, 4, v14
	v_addc_co_u32_e32 v15, vcc, 0, v15, vcc
	v_add_co_u32_e32 v16, vcc, 4, v16
	v_addc_co_u32_e32 v17, vcc, 0, v17, vcc
	s_add_u32 s36, s36, 1
	s_addc_u32 s37, s37, 0
	s_andn2_b64 s[16:17], s[16:17], exec
	s_waitcnt vmcnt(0)
	v_cmp_ne_u32_e32 vcc, v18, v19
	s_and_b64 s[40:41], vcc, exec
	s_or_b64 s[16:17], s[16:17], s[40:41]
.LBB1549_229:                           ;   in Loop: Header=BB1549_230 Depth=1
	s_and_b64 s[40:41], exec, s[16:17]
	s_or_b64 s[4:5], s[40:41], s[4:5]
	v_pk_mov_b32 v[18:19], s[36:37], s[36:37] op_sel:[0,1]
	s_andn2_b64 exec, exec, s[4:5]
	s_cbranch_execz .LBB1549_232
.LBB1549_230:                           ; =>This Inner Loop Header: Depth=1
	s_or_b64 s[16:17], s[16:17], exec
	s_cmp_eq_u64 s[2:3], s[36:37]
	s_cbranch_scc0 .LBB1549_228
; %bb.231:                              ;   in Loop: Header=BB1549_230 Depth=1
                                        ; implicit-def: $vgpr14_vgpr15
                                        ; implicit-def: $vgpr16_vgpr17
	s_mov_b64 s[36:37], s[26:27]
	s_branch .LBB1549_229
.LBB1549_232:
	s_or_b64 exec, exec, s[4:5]
	v_cmp_gt_i64_e32 vcc, s[26:27], v[18:19]
	s_orn2_b64 s[36:37], vcc, exec
.LBB1549_233:
	s_or_b64 exec, exec, s[10:11]
.LBB1549_234:
	s_and_b64 s[2:3], s[36:37], exec
.LBB1549_235:
	s_or_b64 exec, exec, s[8:9]
	v_perm_b32 v16, v12, v12, s38
	s_and_b64 s[36:37], s[2:3], exec
	s_or_b64 s[14:15], s[14:15], exec
.LBB1549_236:
	s_or_b64 exec, exec, s[6:7]
.LBB1549_237:
	s_and_saveexec_b64 s[2:3], s[14:15]
	s_cbranch_execz .LBB1549_239
; %bb.238:
	s_waitcnt vmcnt(0) lgkmcnt(0)
	v_lshrrev_b32_e32 v14, 24, v16
	s_movk_i32 s4, 0xff
	v_lshlrev_b16_e32 v14, 8, v14
	v_and_b32_sdwa v15, v16, s4 dst_sel:DWORD dst_unused:UNUSED_PAD src0_sel:WORD_1 src1_sel:DWORD
	v_or_b32_sdwa v14, v15, v14 dst_sel:WORD_1 dst_unused:UNUSED_PAD src0_sel:DWORD src1_sel:DWORD
	v_mov_b32_e32 v15, 8
	v_cndmask_b32_e64 v12, 0, 1, s[36:37]
	v_lshrrev_b32_sdwa v15, v15, v16 dst_sel:BYTE_1 dst_unused:UNUSED_PAD src0_sel:DWORD src1_sel:DWORD
	v_or_b32_e32 v12, v12, v15
	s_mov_b32 s4, 0xffff
	v_or_b32_sdwa v12, v12, v14 dst_sel:DWORD dst_unused:UNUSED_PAD src0_sel:WORD_0 src1_sel:DWORD
	v_and_b32_sdwa v13, s4, v13 dst_sel:DWORD dst_unused:UNUSED_PAD src0_sel:DWORD src1_sel:BYTE_0
.LBB1549_239:
	s_or_b64 exec, exec, s[2:3]
	s_andn2_b64 vcc, exec, s[12:13]
	s_cbranch_vccnz .LBB1549_241
; %bb.240:
	v_cmp_gt_u32_e32 vcc, s48, v1
	v_cndmask_b32_e32 v1, 0, v12, vcc
	v_and_b32_e32 v1, 0xffff00ff, v1
	v_cmp_gt_u32_e64 s[2:3], s48, v24
	v_cndmask_b32_e64 v1, v1, v12, s[2:3]
	s_waitcnt vmcnt(0) lgkmcnt(0)
	v_lshrrev_b32_e32 v14, 24, v1
	s_mov_b32 s4, 0x40c0100
	v_perm_b32 v1, v14, v1, s4
	v_cmp_gt_u32_e64 s[4:5], s48, v22
	v_cmp_gt_u32_e64 s[6:7], s48, v25
	v_cndmask_b32_e64 v1, v1, v12, s[4:5]
	s_or_b64 s[4:5], s[6:7], s[4:5]
	s_or_b64 s[2:3], s[4:5], s[2:3]
	s_or_b64 vcc, s[2:3], vcc
	v_and_b32_e32 v1, 0xffffff, v1
	v_cndmask_b32_e32 v14, 0, v13, vcc
	v_cndmask_b32_e64 v1, v1, v12, s[6:7]
	v_and_b32_e32 v14, 0xffffff00, v14
	v_cmp_gt_u32_e32 vcc, s48, v23
	v_cndmask_b32_e32 v1, v1, v12, vcc
	v_cndmask_b32_e32 v12, v14, v13, vcc
	s_mov_b32 s2, 0x3020104
	v_and_b32_e32 v13, 0xff, v12
	v_perm_b32 v12, v1, v1, s2
.LBB1549_241:
	v_and_b32_e32 v1, 0xff, v12
	v_bfe_u32 v25, v12, 8, 8
	v_bfe_u32 v27, v12, 16, 8
	s_waitcnt vmcnt(0) lgkmcnt(0)
	v_alignbit_b32 v14, v13, v12, 24
	v_and_b32_e32 v28, 0xff, v14
	v_and_b32_e32 v14, 0xff, v13
	v_add3_u32 v15, v25, v1, v27
	v_add3_u32 v31, v15, v28, v14
	v_mbcnt_lo_u32_b32 v14, -1, 0
	v_mbcnt_hi_u32_b32 v29, -1, v14
	v_and_b32_e32 v14, 15, v29
	v_cmp_eq_u32_e64 s[14:15], 0, v14
	v_cmp_lt_u32_e64 s[12:13], 1, v14
	v_cmp_lt_u32_e64 s[10:11], 3, v14
	;; [unrolled: 1-line block ×3, first 2 shown]
	v_and_b32_e32 v14, 16, v29
	v_cmp_eq_u32_e64 s[6:7], 0, v14
	v_or_b32_e32 v14, 63, v0
	v_cmp_lt_u32_e64 s[2:3], 31, v29
	v_lshrrev_b32_e32 v30, 6, v0
	v_cmp_eq_u32_e64 s[4:5], v14, v0
	s_and_b64 vcc, exec, s[34:35]
	s_barrier
	s_cbranch_vccz .LBB1549_272
; %bb.242:
	v_mov_b32_dpp v14, v31 row_shr:1 row_mask:0xf bank_mask:0xf
	v_cndmask_b32_e64 v14, v14, 0, s[14:15]
	v_add_u32_e32 v14, v14, v31
	s_nop 1
	v_mov_b32_dpp v15, v14 row_shr:2 row_mask:0xf bank_mask:0xf
	v_cndmask_b32_e64 v15, 0, v15, s[12:13]
	v_add_u32_e32 v14, v14, v15
	s_nop 1
	;; [unrolled: 4-line block ×4, first 2 shown]
	v_mov_b32_dpp v15, v14 row_bcast:15 row_mask:0xf bank_mask:0xf
	v_cndmask_b32_e64 v15, v15, 0, s[6:7]
	v_add_u32_e32 v14, v14, v15
	s_nop 1
	v_mov_b32_dpp v15, v14 row_bcast:31 row_mask:0xf bank_mask:0xf
	v_cndmask_b32_e64 v15, 0, v15, s[2:3]
	v_add_u32_e32 v14, v14, v15
	s_and_saveexec_b64 s[16:17], s[4:5]
	s_cbranch_execz .LBB1549_244
; %bb.243:
	v_lshlrev_b32_e32 v15, 2, v30
	ds_write_b32 v15, v14
.LBB1549_244:
	s_or_b64 exec, exec, s[16:17]
	v_cmp_gt_u32_e32 vcc, 4, v0
	s_waitcnt lgkmcnt(0)
	s_barrier
	s_and_saveexec_b64 s[16:17], vcc
	s_cbranch_execz .LBB1549_246
; %bb.245:
	v_lshlrev_b32_e32 v15, 2, v0
	ds_read_b32 v16, v15
	v_and_b32_e32 v17, 3, v29
	v_cmp_ne_u32_e32 vcc, 0, v17
	s_waitcnt lgkmcnt(0)
	v_mov_b32_dpp v18, v16 row_shr:1 row_mask:0xf bank_mask:0xf
	v_cndmask_b32_e32 v18, 0, v18, vcc
	v_add_u32_e32 v16, v18, v16
	v_cmp_lt_u32_e32 vcc, 1, v17
	s_nop 0
	v_mov_b32_dpp v18, v16 row_shr:2 row_mask:0xf bank_mask:0xf
	v_cndmask_b32_e32 v17, 0, v18, vcc
	v_add_u32_e32 v16, v16, v17
	ds_write_b32 v15, v16
.LBB1549_246:
	s_or_b64 exec, exec, s[16:17]
	v_cmp_gt_u32_e32 vcc, 64, v0
	v_cmp_lt_u32_e64 s[16:17], 63, v0
	s_waitcnt lgkmcnt(0)
	s_barrier
	s_waitcnt lgkmcnt(0)
                                        ; implicit-def: $vgpr24
	s_and_saveexec_b64 s[26:27], s[16:17]
	s_cbranch_execz .LBB1549_248
; %bb.247:
	v_lshl_add_u32 v15, v30, 2, -4
	ds_read_b32 v24, v15
	s_waitcnt lgkmcnt(0)
	v_add_u32_e32 v14, v24, v14
.LBB1549_248:
	s_or_b64 exec, exec, s[26:27]
	v_add_u32_e32 v15, -1, v29
	v_and_b32_e32 v16, 64, v29
	v_cmp_lt_i32_e64 s[16:17], v15, v16
	v_cndmask_b32_e64 v15, v15, v29, s[16:17]
	v_lshlrev_b32_e32 v15, 2, v15
	ds_bpermute_b32 v26, v15, v14
	v_cmp_eq_u32_e64 s[16:17], 0, v29
	s_and_saveexec_b64 s[26:27], vcc
	s_cbranch_execz .LBB1549_271
; %bb.249:
	v_mov_b32_e32 v23, 0
	ds_read_b32 v14, v23 offset:12
	s_and_saveexec_b64 s[34:35], s[16:17]
	s_cbranch_execz .LBB1549_251
; %bb.250:
	s_add_i32 s36, s33, 64
	s_mov_b32 s37, 0
	s_lshl_b64 s[36:37], s[36:37], 3
	s_add_u32 s36, s18, s36
	v_mov_b32_e32 v15, 1
	s_addc_u32 s37, s19, s37
	s_waitcnt lgkmcnt(0)
	global_store_dwordx2 v23, v[14:15], s[36:37]
.LBB1549_251:
	s_or_b64 exec, exec, s[34:35]
	v_xad_u32 v16, v29, -1, s33
	v_add_u32_e32 v22, 64, v16
	v_lshlrev_b64 v[18:19], 3, v[22:23]
	v_mov_b32_e32 v15, s19
	v_add_co_u32_e32 v18, vcc, s18, v18
	v_addc_co_u32_e32 v19, vcc, v15, v19, vcc
	global_load_dwordx2 v[20:21], v[18:19], off glc
	s_waitcnt vmcnt(0)
	v_cmp_eq_u16_sdwa s[36:37], v21, v23 src0_sel:BYTE_0 src1_sel:DWORD
	s_and_saveexec_b64 s[34:35], s[36:37]
	s_cbranch_execz .LBB1549_257
; %bb.252:
	s_mov_b32 s38, 1
	s_mov_b64 s[36:37], 0
	v_mov_b32_e32 v15, 0
.LBB1549_253:                           ; =>This Loop Header: Depth=1
                                        ;     Child Loop BB1549_254 Depth 2
	s_max_u32 s39, s38, 1
.LBB1549_254:                           ;   Parent Loop BB1549_253 Depth=1
                                        ; =>  This Inner Loop Header: Depth=2
	s_add_i32 s39, s39, -1
	s_cmp_eq_u32 s39, 0
	s_sleep 1
	s_cbranch_scc0 .LBB1549_254
; %bb.255:                              ;   in Loop: Header=BB1549_253 Depth=1
	global_load_dwordx2 v[20:21], v[18:19], off glc
	s_cmp_lt_u32 s38, 32
	s_cselect_b64 s[40:41], -1, 0
	s_cmp_lg_u64 s[40:41], 0
	s_addc_u32 s38, s38, 0
	s_waitcnt vmcnt(0)
	v_cmp_ne_u16_sdwa s[40:41], v21, v15 src0_sel:BYTE_0 src1_sel:DWORD
	s_or_b64 s[36:37], s[40:41], s[36:37]
	s_andn2_b64 exec, exec, s[36:37]
	s_cbranch_execnz .LBB1549_253
; %bb.256:
	s_or_b64 exec, exec, s[36:37]
.LBB1549_257:
	s_or_b64 exec, exec, s[34:35]
	v_and_b32_e32 v32, 63, v29
	v_mov_b32_e32 v15, 2
	v_cmp_ne_u32_e32 vcc, 63, v32
	v_cmp_eq_u16_sdwa s[34:35], v21, v15 src0_sel:BYTE_0 src1_sel:DWORD
	v_lshlrev_b64 v[18:19], v29, -1
	v_addc_co_u32_e32 v23, vcc, 0, v29, vcc
	v_and_b32_e32 v17, s35, v19
	v_lshlrev_b32_e32 v33, 2, v23
	v_or_b32_e32 v17, 0x80000000, v17
	ds_bpermute_b32 v23, v33, v20
	v_and_b32_e32 v22, s34, v18
	v_ffbl_b32_e32 v17, v17
	v_add_u32_e32 v17, 32, v17
	v_ffbl_b32_e32 v22, v22
	v_min_u32_e32 v17, v22, v17
	v_cmp_lt_u32_e32 vcc, v32, v17
	s_waitcnt lgkmcnt(0)
	v_cndmask_b32_e32 v22, 0, v23, vcc
	v_cmp_gt_u32_e32 vcc, 62, v32
	v_add_u32_e32 v20, v22, v20
	v_cndmask_b32_e64 v22, 0, 1, vcc
	v_lshlrev_b32_e32 v22, 1, v22
	v_add_lshl_u32 v34, v22, v29, 2
	ds_bpermute_b32 v22, v34, v20
	v_add_u32_e32 v35, 2, v32
	v_cmp_le_u32_e32 vcc, v35, v17
	v_add_u32_e32 v37, 4, v32
	v_add_u32_e32 v39, 8, v32
	s_waitcnt lgkmcnt(0)
	v_cndmask_b32_e32 v22, 0, v22, vcc
	v_cmp_gt_u32_e32 vcc, 60, v32
	v_add_u32_e32 v20, v20, v22
	v_cndmask_b32_e64 v22, 0, 1, vcc
	v_lshlrev_b32_e32 v22, 2, v22
	v_add_lshl_u32 v36, v22, v29, 2
	ds_bpermute_b32 v22, v36, v20
	v_cmp_le_u32_e32 vcc, v37, v17
	v_add_u32_e32 v42, 16, v32
	v_add_u32_e32 v44, 32, v32
	s_waitcnt lgkmcnt(0)
	v_cndmask_b32_e32 v22, 0, v22, vcc
	v_cmp_gt_u32_e32 vcc, 56, v32
	v_add_u32_e32 v20, v20, v22
	v_cndmask_b32_e64 v22, 0, 1, vcc
	v_lshlrev_b32_e32 v22, 3, v22
	v_add_lshl_u32 v38, v22, v29, 2
	ds_bpermute_b32 v22, v38, v20
	v_cmp_le_u32_e32 vcc, v39, v17
	s_waitcnt lgkmcnt(0)
	v_cndmask_b32_e32 v22, 0, v22, vcc
	v_cmp_gt_u32_e32 vcc, 48, v32
	v_add_u32_e32 v20, v20, v22
	v_cndmask_b32_e64 v22, 0, 1, vcc
	v_lshlrev_b32_e32 v22, 4, v22
	v_add_lshl_u32 v41, v22, v29, 2
	ds_bpermute_b32 v22, v41, v20
	v_cmp_le_u32_e32 vcc, v42, v17
	;; [unrolled: 9-line block ×3, first 2 shown]
	s_waitcnt lgkmcnt(0)
	v_cndmask_b32_e32 v17, 0, v22, vcc
	v_add_u32_e32 v20, v20, v17
	v_mov_b32_e32 v17, 0
	s_branch .LBB1549_259
.LBB1549_258:                           ;   in Loop: Header=BB1549_259 Depth=1
	s_or_b64 exec, exec, s[34:35]
	v_cmp_eq_u16_sdwa s[34:35], v21, v15 src0_sel:BYTE_0 src1_sel:DWORD
	v_and_b32_e32 v22, s35, v19
	v_or_b32_e32 v22, 0x80000000, v22
	ds_bpermute_b32 v45, v33, v20
	v_and_b32_e32 v23, s34, v18
	v_ffbl_b32_e32 v22, v22
	v_add_u32_e32 v22, 32, v22
	v_ffbl_b32_e32 v23, v23
	v_min_u32_e32 v22, v23, v22
	v_cmp_lt_u32_e32 vcc, v32, v22
	s_waitcnt lgkmcnt(0)
	v_cndmask_b32_e32 v23, 0, v45, vcc
	v_add_u32_e32 v20, v23, v20
	ds_bpermute_b32 v23, v34, v20
	v_cmp_le_u32_e32 vcc, v35, v22
	v_subrev_u32_e32 v16, 64, v16
	s_waitcnt lgkmcnt(0)
	v_cndmask_b32_e32 v23, 0, v23, vcc
	v_add_u32_e32 v20, v20, v23
	ds_bpermute_b32 v23, v36, v20
	v_cmp_le_u32_e32 vcc, v37, v22
	s_waitcnt lgkmcnt(0)
	v_cndmask_b32_e32 v23, 0, v23, vcc
	v_add_u32_e32 v20, v20, v23
	ds_bpermute_b32 v23, v38, v20
	v_cmp_le_u32_e32 vcc, v39, v22
	;; [unrolled: 5-line block ×4, first 2 shown]
	s_waitcnt lgkmcnt(0)
	v_cndmask_b32_e32 v22, 0, v23, vcc
	v_add3_u32 v20, v22, v40, v20
.LBB1549_259:                           ; =>This Loop Header: Depth=1
                                        ;     Child Loop BB1549_262 Depth 2
                                        ;       Child Loop BB1549_263 Depth 3
	v_cmp_ne_u16_sdwa s[34:35], v21, v15 src0_sel:BYTE_0 src1_sel:DWORD
	v_cndmask_b32_e64 v21, 0, 1, s[34:35]
	;;#ASMSTART
	;;#ASMEND
	v_cmp_ne_u32_e32 vcc, 0, v21
	s_cmp_lg_u64 vcc, exec
	v_mov_b32_e32 v40, v20
	s_cbranch_scc1 .LBB1549_266
; %bb.260:                              ;   in Loop: Header=BB1549_259 Depth=1
	v_lshlrev_b64 v[20:21], 3, v[16:17]
	v_mov_b32_e32 v23, s19
	v_add_co_u32_e32 v22, vcc, s18, v20
	v_addc_co_u32_e32 v23, vcc, v23, v21, vcc
	global_load_dwordx2 v[20:21], v[22:23], off glc
	s_waitcnt vmcnt(0)
	v_cmp_eq_u16_sdwa s[36:37], v21, v17 src0_sel:BYTE_0 src1_sel:DWORD
	s_and_saveexec_b64 s[34:35], s[36:37]
	s_cbranch_execz .LBB1549_258
; %bb.261:                              ;   in Loop: Header=BB1549_259 Depth=1
	s_mov_b32 s38, 1
	s_mov_b64 s[36:37], 0
.LBB1549_262:                           ;   Parent Loop BB1549_259 Depth=1
                                        ; =>  This Loop Header: Depth=2
                                        ;       Child Loop BB1549_263 Depth 3
	s_max_u32 s39, s38, 1
.LBB1549_263:                           ;   Parent Loop BB1549_259 Depth=1
                                        ;     Parent Loop BB1549_262 Depth=2
                                        ; =>    This Inner Loop Header: Depth=3
	s_add_i32 s39, s39, -1
	s_cmp_eq_u32 s39, 0
	s_sleep 1
	s_cbranch_scc0 .LBB1549_263
; %bb.264:                              ;   in Loop: Header=BB1549_262 Depth=2
	global_load_dwordx2 v[20:21], v[22:23], off glc
	s_cmp_lt_u32 s38, 32
	s_cselect_b64 s[40:41], -1, 0
	s_cmp_lg_u64 s[40:41], 0
	s_addc_u32 s38, s38, 0
	s_waitcnt vmcnt(0)
	v_cmp_ne_u16_sdwa s[40:41], v21, v17 src0_sel:BYTE_0 src1_sel:DWORD
	s_or_b64 s[36:37], s[40:41], s[36:37]
	s_andn2_b64 exec, exec, s[36:37]
	s_cbranch_execnz .LBB1549_262
; %bb.265:                              ;   in Loop: Header=BB1549_259 Depth=1
	s_or_b64 exec, exec, s[36:37]
	s_branch .LBB1549_258
.LBB1549_266:                           ;   in Loop: Header=BB1549_259 Depth=1
                                        ; implicit-def: $vgpr20
                                        ; implicit-def: $vgpr21
	s_cbranch_execz .LBB1549_259
; %bb.267:
	s_and_saveexec_b64 s[34:35], s[16:17]
	s_cbranch_execz .LBB1549_269
; %bb.268:
	s_add_i32 s36, s33, 64
	s_mov_b32 s37, 0
	s_lshl_b64 s[36:37], s[36:37], 3
	s_add_u32 s36, s18, s36
	v_add_u32_e32 v16, v40, v14
	v_mov_b32_e32 v17, 2
	s_addc_u32 s37, s19, s37
	v_mov_b32_e32 v15, 0
	s_movk_i32 s33, 0x2800
	global_store_dwordx2 v15, v[16:17], s[36:37]
	v_add_u32_e64 v15, s33, 0
	ds_write2_b32 v15, v14, v40 offset1:2
.LBB1549_269:
	s_or_b64 exec, exec, s[34:35]
	s_and_b64 exec, exec, s[0:1]
	s_cbranch_execz .LBB1549_271
; %bb.270:
	v_mov_b32_e32 v14, 0
	ds_write_b32 v14, v40 offset:12
.LBB1549_271:
	s_or_b64 exec, exec, s[26:27]
	v_mov_b32_e32 v14, 0
	s_waitcnt lgkmcnt(0)
	s_barrier
	ds_read_b32 v14, v14 offset:12
	v_cndmask_b32_e64 v15, v26, v24, s[16:17]
	v_cndmask_b32_e64 v15, v15, 0, s[0:1]
	s_movk_i32 s16, 0x2800
	s_waitcnt lgkmcnt(0)
	v_add_u32_e32 v26, v14, v15
	v_add_u32_e64 v14, s16, 0
	s_barrier
	ds_read2_b32 v[14:15], v14 offset1:2
	v_add_u32_e32 v24, v26, v1
	v_add_u32_e32 v22, v24, v25
	;; [unrolled: 1-line block ×4, first 2 shown]
	v_lshrrev_b64 v[16:17], 24, v[12:13]
	s_branch .LBB1549_282
.LBB1549_272:
                                        ; implicit-def: $vgpr18
                                        ; implicit-def: $vgpr20
                                        ; implicit-def: $vgpr22
                                        ; implicit-def: $vgpr24
                                        ; implicit-def: $vgpr26
                                        ; implicit-def: $vgpr15
	v_lshrrev_b64 v[16:17], 24, v[12:13]
	s_cbranch_execz .LBB1549_282
; %bb.273:
	s_waitcnt lgkmcnt(0)
	v_mov_b32_dpp v14, v31 row_shr:1 row_mask:0xf bank_mask:0xf
	v_cndmask_b32_e64 v14, v14, 0, s[14:15]
	v_add_u32_e32 v14, v14, v31
	s_nop 1
	v_mov_b32_dpp v15, v14 row_shr:2 row_mask:0xf bank_mask:0xf
	v_cndmask_b32_e64 v15, 0, v15, s[12:13]
	v_add_u32_e32 v14, v14, v15
	s_nop 1
	v_mov_b32_dpp v15, v14 row_shr:4 row_mask:0xf bank_mask:0xf
	v_cndmask_b32_e64 v15, 0, v15, s[10:11]
	v_add_u32_e32 v14, v14, v15
	s_nop 1
	v_mov_b32_dpp v15, v14 row_shr:8 row_mask:0xf bank_mask:0xf
	v_cndmask_b32_e64 v15, 0, v15, s[8:9]
	v_add_u32_e32 v14, v14, v15
	s_nop 1
	v_mov_b32_dpp v15, v14 row_bcast:15 row_mask:0xf bank_mask:0xf
	v_cndmask_b32_e64 v15, v15, 0, s[6:7]
	v_add_u32_e32 v14, v14, v15
	s_nop 1
	v_mov_b32_dpp v15, v14 row_bcast:31 row_mask:0xf bank_mask:0xf
	v_cndmask_b32_e64 v15, 0, v15, s[2:3]
	v_add_u32_e32 v14, v14, v15
	s_and_saveexec_b64 s[2:3], s[4:5]
	s_cbranch_execz .LBB1549_275
; %bb.274:
	v_lshlrev_b32_e32 v15, 2, v30
	ds_write_b32 v15, v14
.LBB1549_275:
	s_or_b64 exec, exec, s[2:3]
	v_cmp_gt_u32_e32 vcc, 4, v0
	s_waitcnt lgkmcnt(0)
	s_barrier
	s_and_saveexec_b64 s[2:3], vcc
	s_cbranch_execz .LBB1549_277
; %bb.276:
	v_lshlrev_b32_e32 v15, 2, v0
	ds_read_b32 v17, v15
	v_and_b32_e32 v18, 3, v29
	v_cmp_ne_u32_e32 vcc, 0, v18
	s_waitcnt lgkmcnt(0)
	v_mov_b32_dpp v19, v17 row_shr:1 row_mask:0xf bank_mask:0xf
	v_cndmask_b32_e32 v19, 0, v19, vcc
	v_add_u32_e32 v17, v19, v17
	v_cmp_lt_u32_e32 vcc, 1, v18
	s_nop 0
	v_mov_b32_dpp v19, v17 row_shr:2 row_mask:0xf bank_mask:0xf
	v_cndmask_b32_e32 v18, 0, v19, vcc
	v_add_u32_e32 v17, v17, v18
	ds_write_b32 v15, v17
.LBB1549_277:
	s_or_b64 exec, exec, s[2:3]
	v_cmp_lt_u32_e32 vcc, 63, v0
	v_mov_b32_e32 v15, 0
	v_mov_b32_e32 v17, 0
	s_waitcnt lgkmcnt(0)
	s_barrier
	s_and_saveexec_b64 s[2:3], vcc
	s_cbranch_execz .LBB1549_279
; %bb.278:
	v_lshl_add_u32 v17, v30, 2, -4
	ds_read_b32 v17, v17
.LBB1549_279:
	s_or_b64 exec, exec, s[2:3]
	v_add_u32_e32 v18, -1, v29
	v_and_b32_e32 v19, 64, v29
	v_cmp_lt_i32_e32 vcc, v18, v19
	v_cndmask_b32_e32 v18, v18, v29, vcc
	s_waitcnt lgkmcnt(0)
	v_add_u32_e32 v14, v17, v14
	v_lshlrev_b32_e32 v18, 2, v18
	ds_bpermute_b32 v18, v18, v14
	ds_read_b32 v14, v15 offset:12
	s_and_saveexec_b64 s[2:3], s[0:1]
	s_cbranch_execz .LBB1549_281
; %bb.280:
	v_mov_b32_e32 v19, 0
	v_mov_b32_e32 v15, 2
	s_waitcnt lgkmcnt(0)
	global_store_dwordx2 v19, v[14:15], s[18:19] offset:512
.LBB1549_281:
	s_or_b64 exec, exec, s[2:3]
	v_cmp_eq_u32_e32 vcc, 0, v29
	s_waitcnt lgkmcnt(1)
	v_cndmask_b32_e32 v17, v18, v17, vcc
	v_cndmask_b32_e64 v26, v17, 0, s[0:1]
	v_add_u32_e32 v24, v26, v1
	v_add_u32_e32 v22, v24, v25
	;; [unrolled: 1-line block ×3, first 2 shown]
	v_mov_b32_e32 v15, 0
	v_add_u32_e32 v18, v20, v28
	s_waitcnt lgkmcnt(0)
	s_barrier
.LBB1549_282:
	s_movk_i32 s2, 0x101
	s_waitcnt lgkmcnt(0)
	v_cmp_gt_u32_e32 vcc, s2, v14
	v_lshrrev_b32_e32 v1, 8, v12
	s_mov_b64 s[2:3], -1
	s_cbranch_vccnz .LBB1549_286
; %bb.283:
	s_and_b64 vcc, exec, s[2:3]
	s_cbranch_vccnz .LBB1549_302
.LBB1549_284:
	s_and_b64 s[0:1], s[0:1], s[24:25]
	s_and_saveexec_b64 s[2:3], s[0:1]
	s_cbranch_execnz .LBB1549_316
.LBB1549_285:
	s_endpgm
.LBB1549_286:
	v_add_u32_e32 v17, v15, v14
	v_cmp_lt_u32_e32 vcc, v26, v17
	s_or_b64 s[4:5], s[30:31], vcc
	s_and_saveexec_b64 s[2:3], s[4:5]
	s_cbranch_execz .LBB1549_289
; %bb.287:
	v_and_b32_e32 v19, 1, v12
	v_cmp_eq_u32_e32 vcc, 1, v19
	s_and_b64 exec, exec, vcc
	s_cbranch_execz .LBB1549_289
; %bb.288:
	s_lshl_b64 s[4:5], s[22:23], 3
	s_add_u32 s4, s28, s4
	v_mov_b32_e32 v27, 0
	s_addc_u32 s5, s29, s5
	v_lshlrev_b64 v[28:29], 3, v[26:27]
	v_mov_b32_e32 v19, s5
	v_add_co_u32_e32 v28, vcc, s4, v28
	v_addc_co_u32_e32 v29, vcc, v19, v29, vcc
	global_store_dwordx2 v[28:29], v[6:7], off
.LBB1549_289:
	s_or_b64 exec, exec, s[2:3]
	v_cmp_lt_u32_e32 vcc, v24, v17
	s_or_b64 s[4:5], s[30:31], vcc
	s_and_saveexec_b64 s[2:3], s[4:5]
	s_cbranch_execz .LBB1549_292
; %bb.290:
	v_and_b32_e32 v19, 1, v1
	v_cmp_eq_u32_e32 vcc, 1, v19
	s_and_b64 exec, exec, vcc
	s_cbranch_execz .LBB1549_292
; %bb.291:
	s_lshl_b64 s[4:5], s[22:23], 3
	s_add_u32 s4, s28, s4
	v_mov_b32_e32 v25, 0
	s_addc_u32 s5, s29, s5
	v_lshlrev_b64 v[28:29], 3, v[24:25]
	v_mov_b32_e32 v19, s5
	v_add_co_u32_e32 v28, vcc, s4, v28
	v_addc_co_u32_e32 v29, vcc, v19, v29, vcc
	global_store_dwordx2 v[28:29], v[8:9], off
.LBB1549_292:
	s_or_b64 exec, exec, s[2:3]
	v_cmp_lt_u32_e32 vcc, v22, v17
	s_or_b64 s[4:5], s[30:31], vcc
	s_and_saveexec_b64 s[2:3], s[4:5]
	s_cbranch_execz .LBB1549_295
; %bb.293:
	v_mov_b32_e32 v19, 1
	v_and_b32_sdwa v19, v19, v12 dst_sel:DWORD dst_unused:UNUSED_PAD src0_sel:DWORD src1_sel:WORD_1
	v_cmp_eq_u32_e32 vcc, 1, v19
	s_and_b64 exec, exec, vcc
	s_cbranch_execz .LBB1549_295
; %bb.294:
	s_lshl_b64 s[4:5], s[22:23], 3
	s_add_u32 s4, s28, s4
	v_mov_b32_e32 v23, 0
	s_addc_u32 s5, s29, s5
	v_lshlrev_b64 v[28:29], 3, v[22:23]
	v_mov_b32_e32 v19, s5
	v_add_co_u32_e32 v28, vcc, s4, v28
	v_addc_co_u32_e32 v29, vcc, v19, v29, vcc
	global_store_dwordx2 v[28:29], v[2:3], off
.LBB1549_295:
	s_or_b64 exec, exec, s[2:3]
	v_cmp_lt_u32_e32 vcc, v20, v17
	s_or_b64 s[4:5], s[30:31], vcc
	s_and_saveexec_b64 s[2:3], s[4:5]
	s_cbranch_execz .LBB1549_298
; %bb.296:
	v_and_b32_e32 v19, 1, v16
	v_cmp_eq_u32_e32 vcc, 1, v19
	s_and_b64 exec, exec, vcc
	s_cbranch_execz .LBB1549_298
; %bb.297:
	s_lshl_b64 s[4:5], s[22:23], 3
	s_add_u32 s4, s28, s4
	v_mov_b32_e32 v21, 0
	s_addc_u32 s5, s29, s5
	v_lshlrev_b64 v[28:29], 3, v[20:21]
	v_mov_b32_e32 v19, s5
	v_add_co_u32_e32 v28, vcc, s4, v28
	v_addc_co_u32_e32 v29, vcc, v19, v29, vcc
	global_store_dwordx2 v[28:29], v[4:5], off
.LBB1549_298:
	s_or_b64 exec, exec, s[2:3]
	v_cmp_lt_u32_e32 vcc, v18, v17
	s_or_b64 s[4:5], s[30:31], vcc
	s_and_saveexec_b64 s[2:3], s[4:5]
	s_cbranch_execz .LBB1549_301
; %bb.299:
	v_and_b32_e32 v17, 1, v13
	v_cmp_eq_u32_e32 vcc, 1, v17
	s_and_b64 exec, exec, vcc
	s_cbranch_execz .LBB1549_301
; %bb.300:
	s_lshl_b64 s[4:5], s[22:23], 3
	s_add_u32 s4, s28, s4
	v_mov_b32_e32 v19, 0
	s_addc_u32 s5, s29, s5
	v_lshlrev_b64 v[28:29], 3, v[18:19]
	v_mov_b32_e32 v17, s5
	v_add_co_u32_e32 v28, vcc, s4, v28
	v_addc_co_u32_e32 v29, vcc, v17, v29, vcc
	global_store_dwordx2 v[28:29], v[10:11], off
.LBB1549_301:
	s_or_b64 exec, exec, s[2:3]
	s_branch .LBB1549_284
.LBB1549_302:
	v_and_b32_e32 v17, 1, v12
	v_cmp_eq_u32_e32 vcc, 1, v17
	s_and_saveexec_b64 s[2:3], vcc
	s_cbranch_execz .LBB1549_304
; %bb.303:
	v_sub_u32_e32 v17, v26, v15
	v_lshlrev_b32_e32 v17, 3, v17
	ds_write_b64 v17, v[6:7]
.LBB1549_304:
	s_or_b64 exec, exec, s[2:3]
	v_and_b32_e32 v1, 1, v1
	v_cmp_eq_u32_e32 vcc, 1, v1
	s_and_saveexec_b64 s[2:3], vcc
	s_cbranch_execz .LBB1549_306
; %bb.305:
	v_sub_u32_e32 v1, v24, v15
	v_lshlrev_b32_e32 v1, 3, v1
	ds_write_b64 v1, v[8:9]
.LBB1549_306:
	s_or_b64 exec, exec, s[2:3]
	v_mov_b32_e32 v1, 1
	v_and_b32_sdwa v1, v1, v12 dst_sel:DWORD dst_unused:UNUSED_PAD src0_sel:DWORD src1_sel:WORD_1
	v_cmp_eq_u32_e32 vcc, 1, v1
	s_and_saveexec_b64 s[2:3], vcc
	s_cbranch_execz .LBB1549_308
; %bb.307:
	v_sub_u32_e32 v1, v22, v15
	v_lshlrev_b32_e32 v1, 3, v1
	ds_write_b64 v1, v[2:3]
.LBB1549_308:
	s_or_b64 exec, exec, s[2:3]
	v_and_b32_e32 v1, 1, v16
	v_cmp_eq_u32_e32 vcc, 1, v1
	s_and_saveexec_b64 s[2:3], vcc
	s_cbranch_execz .LBB1549_310
; %bb.309:
	v_sub_u32_e32 v1, v20, v15
	v_lshlrev_b32_e32 v1, 3, v1
	ds_write_b64 v1, v[4:5]
.LBB1549_310:
	s_or_b64 exec, exec, s[2:3]
	v_and_b32_e32 v1, 1, v13
	v_cmp_eq_u32_e32 vcc, 1, v1
	s_and_saveexec_b64 s[2:3], vcc
	s_cbranch_execz .LBB1549_312
; %bb.311:
	v_sub_u32_e32 v1, v18, v15
	v_lshlrev_b32_e32 v1, 3, v1
	ds_write_b64 v1, v[10:11]
.LBB1549_312:
	s_or_b64 exec, exec, s[2:3]
	v_cmp_lt_u32_e32 vcc, v0, v14
	s_waitcnt lgkmcnt(0)
	s_barrier
	s_and_saveexec_b64 s[2:3], vcc
	s_cbranch_execz .LBB1549_315
; %bb.313:
	v_mov_b32_e32 v1, 0
	v_mov_b32_e32 v2, v15
	v_mov_b32_e32 v3, v1
	v_lshlrev_b64 v[2:3], 3, v[2:3]
	v_mov_b32_e32 v4, s29
	v_add_co_u32_e32 v2, vcc, s28, v2
	v_addc_co_u32_e32 v3, vcc, v4, v3, vcc
	s_lshl_b64 s[4:5], s[22:23], 3
	v_mov_b32_e32 v4, s5
	v_add_co_u32_e32 v2, vcc, s4, v2
	v_addc_co_u32_e32 v3, vcc, v3, v4, vcc
	v_lshlrev_b32_e32 v4, 3, v0
	s_mov_b64 s[4:5], 0
.LBB1549_314:                           ; =>This Inner Loop Header: Depth=1
	ds_read_b64 v[6:7], v4
	v_lshlrev_b64 v[8:9], 3, v[0:1]
	v_add_co_u32_e32 v8, vcc, v2, v8
	v_add_u32_e32 v0, 0x100, v0
	v_addc_co_u32_e32 v9, vcc, v3, v9, vcc
	v_cmp_ge_u32_e32 vcc, v0, v14
	v_add_u32_e32 v4, 0x800, v4
	s_or_b64 s[4:5], vcc, s[4:5]
	s_waitcnt lgkmcnt(0)
	global_store_dwordx2 v[8:9], v[6:7], off
	s_andn2_b64 exec, exec, s[4:5]
	s_cbranch_execnz .LBB1549_314
.LBB1549_315:
	s_or_b64 exec, exec, s[2:3]
	s_and_b64 s[0:1], s[0:1], s[24:25]
	s_and_saveexec_b64 s[2:3], s[0:1]
	s_cbranch_execz .LBB1549_285
.LBB1549_316:
	v_mov_b32_e32 v0, s23
	v_add_co_u32_e32 v1, vcc, s22, v14
	v_addc_co_u32_e32 v3, vcc, 0, v0, vcc
	v_add_co_u32_e32 v0, vcc, v1, v15
	v_mov_b32_e32 v2, 0
	v_addc_co_u32_e32 v1, vcc, 0, v3, vcc
	global_store_dwordx2 v2, v[0:1], s[20:21]
	s_endpgm
	.section	.rodata,"a",@progbits
	.p2align	6, 0x0
	.amdhsa_kernel _ZN7rocprim17ROCPRIM_400000_NS6detail17trampoline_kernelINS0_14default_configENS1_25partition_config_selectorILNS1_17partition_subalgoE8ElNS0_10empty_typeEbEEZZNS1_14partition_implILS5_8ELb0ES3_jPlPS6_PKS6_NS0_5tupleIJS9_S6_EEENSD_IJSA_SA_EEENS0_18inequality_wrapperIZN2at6native12_GLOBAL__N_124unique_dim_cuda_templateIjEESt5tupleIJNSH_6TensorESM_SM_EERKSM_lbbbEUlllE0_EEPmJS6_EEE10hipError_tPvRmT3_T4_T5_T6_T7_T9_mT8_P12ihipStream_tbDpT10_ENKUlT_T0_E_clISt17integral_constantIbLb1EES1C_EEDaS17_S18_EUlS17_E_NS1_11comp_targetILNS1_3genE4ELNS1_11target_archE910ELNS1_3gpuE8ELNS1_3repE0EEENS1_30default_config_static_selectorELNS0_4arch9wavefront6targetE1EEEvT1_
		.amdhsa_group_segment_fixed_size 10252
		.amdhsa_private_segment_fixed_size 0
		.amdhsa_kernarg_size 136
		.amdhsa_user_sgpr_count 6
		.amdhsa_user_sgpr_private_segment_buffer 1
		.amdhsa_user_sgpr_dispatch_ptr 0
		.amdhsa_user_sgpr_queue_ptr 0
		.amdhsa_user_sgpr_kernarg_segment_ptr 1
		.amdhsa_user_sgpr_dispatch_id 0
		.amdhsa_user_sgpr_flat_scratch_init 0
		.amdhsa_user_sgpr_kernarg_preload_length 0
		.amdhsa_user_sgpr_kernarg_preload_offset 0
		.amdhsa_user_sgpr_private_segment_size 0
		.amdhsa_uses_dynamic_stack 0
		.amdhsa_system_sgpr_private_segment_wavefront_offset 0
		.amdhsa_system_sgpr_workgroup_id_x 1
		.amdhsa_system_sgpr_workgroup_id_y 0
		.amdhsa_system_sgpr_workgroup_id_z 0
		.amdhsa_system_sgpr_workgroup_info 0
		.amdhsa_system_vgpr_workitem_id 0
		.amdhsa_next_free_vgpr 46
		.amdhsa_next_free_sgpr 52
		.amdhsa_accum_offset 48
		.amdhsa_reserve_vcc 1
		.amdhsa_reserve_flat_scratch 0
		.amdhsa_float_round_mode_32 0
		.amdhsa_float_round_mode_16_64 0
		.amdhsa_float_denorm_mode_32 3
		.amdhsa_float_denorm_mode_16_64 3
		.amdhsa_dx10_clamp 1
		.amdhsa_ieee_mode 1
		.amdhsa_fp16_overflow 0
		.amdhsa_tg_split 0
		.amdhsa_exception_fp_ieee_invalid_op 0
		.amdhsa_exception_fp_denorm_src 0
		.amdhsa_exception_fp_ieee_div_zero 0
		.amdhsa_exception_fp_ieee_overflow 0
		.amdhsa_exception_fp_ieee_underflow 0
		.amdhsa_exception_fp_ieee_inexact 0
		.amdhsa_exception_int_div_zero 0
	.end_amdhsa_kernel
	.section	.text._ZN7rocprim17ROCPRIM_400000_NS6detail17trampoline_kernelINS0_14default_configENS1_25partition_config_selectorILNS1_17partition_subalgoE8ElNS0_10empty_typeEbEEZZNS1_14partition_implILS5_8ELb0ES3_jPlPS6_PKS6_NS0_5tupleIJS9_S6_EEENSD_IJSA_SA_EEENS0_18inequality_wrapperIZN2at6native12_GLOBAL__N_124unique_dim_cuda_templateIjEESt5tupleIJNSH_6TensorESM_SM_EERKSM_lbbbEUlllE0_EEPmJS6_EEE10hipError_tPvRmT3_T4_T5_T6_T7_T9_mT8_P12ihipStream_tbDpT10_ENKUlT_T0_E_clISt17integral_constantIbLb1EES1C_EEDaS17_S18_EUlS17_E_NS1_11comp_targetILNS1_3genE4ELNS1_11target_archE910ELNS1_3gpuE8ELNS1_3repE0EEENS1_30default_config_static_selectorELNS0_4arch9wavefront6targetE1EEEvT1_,"axG",@progbits,_ZN7rocprim17ROCPRIM_400000_NS6detail17trampoline_kernelINS0_14default_configENS1_25partition_config_selectorILNS1_17partition_subalgoE8ElNS0_10empty_typeEbEEZZNS1_14partition_implILS5_8ELb0ES3_jPlPS6_PKS6_NS0_5tupleIJS9_S6_EEENSD_IJSA_SA_EEENS0_18inequality_wrapperIZN2at6native12_GLOBAL__N_124unique_dim_cuda_templateIjEESt5tupleIJNSH_6TensorESM_SM_EERKSM_lbbbEUlllE0_EEPmJS6_EEE10hipError_tPvRmT3_T4_T5_T6_T7_T9_mT8_P12ihipStream_tbDpT10_ENKUlT_T0_E_clISt17integral_constantIbLb1EES1C_EEDaS17_S18_EUlS17_E_NS1_11comp_targetILNS1_3genE4ELNS1_11target_archE910ELNS1_3gpuE8ELNS1_3repE0EEENS1_30default_config_static_selectorELNS0_4arch9wavefront6targetE1EEEvT1_,comdat
.Lfunc_end1549:
	.size	_ZN7rocprim17ROCPRIM_400000_NS6detail17trampoline_kernelINS0_14default_configENS1_25partition_config_selectorILNS1_17partition_subalgoE8ElNS0_10empty_typeEbEEZZNS1_14partition_implILS5_8ELb0ES3_jPlPS6_PKS6_NS0_5tupleIJS9_S6_EEENSD_IJSA_SA_EEENS0_18inequality_wrapperIZN2at6native12_GLOBAL__N_124unique_dim_cuda_templateIjEESt5tupleIJNSH_6TensorESM_SM_EERKSM_lbbbEUlllE0_EEPmJS6_EEE10hipError_tPvRmT3_T4_T5_T6_T7_T9_mT8_P12ihipStream_tbDpT10_ENKUlT_T0_E_clISt17integral_constantIbLb1EES1C_EEDaS17_S18_EUlS17_E_NS1_11comp_targetILNS1_3genE4ELNS1_11target_archE910ELNS1_3gpuE8ELNS1_3repE0EEENS1_30default_config_static_selectorELNS0_4arch9wavefront6targetE1EEEvT1_, .Lfunc_end1549-_ZN7rocprim17ROCPRIM_400000_NS6detail17trampoline_kernelINS0_14default_configENS1_25partition_config_selectorILNS1_17partition_subalgoE8ElNS0_10empty_typeEbEEZZNS1_14partition_implILS5_8ELb0ES3_jPlPS6_PKS6_NS0_5tupleIJS9_S6_EEENSD_IJSA_SA_EEENS0_18inequality_wrapperIZN2at6native12_GLOBAL__N_124unique_dim_cuda_templateIjEESt5tupleIJNSH_6TensorESM_SM_EERKSM_lbbbEUlllE0_EEPmJS6_EEE10hipError_tPvRmT3_T4_T5_T6_T7_T9_mT8_P12ihipStream_tbDpT10_ENKUlT_T0_E_clISt17integral_constantIbLb1EES1C_EEDaS17_S18_EUlS17_E_NS1_11comp_targetILNS1_3genE4ELNS1_11target_archE910ELNS1_3gpuE8ELNS1_3repE0EEENS1_30default_config_static_selectorELNS0_4arch9wavefront6targetE1EEEvT1_
                                        ; -- End function
	.section	.AMDGPU.csdata,"",@progbits
; Kernel info:
; codeLenInByte = 11652
; NumSgprs: 56
; NumVgprs: 46
; NumAgprs: 0
; TotalNumVgprs: 46
; ScratchSize: 0
; MemoryBound: 0
; FloatMode: 240
; IeeeMode: 1
; LDSByteSize: 10252 bytes/workgroup (compile time only)
; SGPRBlocks: 6
; VGPRBlocks: 5
; NumSGPRsForWavesPerEU: 56
; NumVGPRsForWavesPerEU: 46
; AccumOffset: 48
; Occupancy: 6
; WaveLimiterHint : 1
; COMPUTE_PGM_RSRC2:SCRATCH_EN: 0
; COMPUTE_PGM_RSRC2:USER_SGPR: 6
; COMPUTE_PGM_RSRC2:TRAP_HANDLER: 0
; COMPUTE_PGM_RSRC2:TGID_X_EN: 1
; COMPUTE_PGM_RSRC2:TGID_Y_EN: 0
; COMPUTE_PGM_RSRC2:TGID_Z_EN: 0
; COMPUTE_PGM_RSRC2:TIDIG_COMP_CNT: 0
; COMPUTE_PGM_RSRC3_GFX90A:ACCUM_OFFSET: 11
; COMPUTE_PGM_RSRC3_GFX90A:TG_SPLIT: 0
	.section	.text._ZN7rocprim17ROCPRIM_400000_NS6detail17trampoline_kernelINS0_14default_configENS1_25partition_config_selectorILNS1_17partition_subalgoE8ElNS0_10empty_typeEbEEZZNS1_14partition_implILS5_8ELb0ES3_jPlPS6_PKS6_NS0_5tupleIJS9_S6_EEENSD_IJSA_SA_EEENS0_18inequality_wrapperIZN2at6native12_GLOBAL__N_124unique_dim_cuda_templateIjEESt5tupleIJNSH_6TensorESM_SM_EERKSM_lbbbEUlllE0_EEPmJS6_EEE10hipError_tPvRmT3_T4_T5_T6_T7_T9_mT8_P12ihipStream_tbDpT10_ENKUlT_T0_E_clISt17integral_constantIbLb1EES1C_EEDaS17_S18_EUlS17_E_NS1_11comp_targetILNS1_3genE3ELNS1_11target_archE908ELNS1_3gpuE7ELNS1_3repE0EEENS1_30default_config_static_selectorELNS0_4arch9wavefront6targetE1EEEvT1_,"axG",@progbits,_ZN7rocprim17ROCPRIM_400000_NS6detail17trampoline_kernelINS0_14default_configENS1_25partition_config_selectorILNS1_17partition_subalgoE8ElNS0_10empty_typeEbEEZZNS1_14partition_implILS5_8ELb0ES3_jPlPS6_PKS6_NS0_5tupleIJS9_S6_EEENSD_IJSA_SA_EEENS0_18inequality_wrapperIZN2at6native12_GLOBAL__N_124unique_dim_cuda_templateIjEESt5tupleIJNSH_6TensorESM_SM_EERKSM_lbbbEUlllE0_EEPmJS6_EEE10hipError_tPvRmT3_T4_T5_T6_T7_T9_mT8_P12ihipStream_tbDpT10_ENKUlT_T0_E_clISt17integral_constantIbLb1EES1C_EEDaS17_S18_EUlS17_E_NS1_11comp_targetILNS1_3genE3ELNS1_11target_archE908ELNS1_3gpuE7ELNS1_3repE0EEENS1_30default_config_static_selectorELNS0_4arch9wavefront6targetE1EEEvT1_,comdat
	.globl	_ZN7rocprim17ROCPRIM_400000_NS6detail17trampoline_kernelINS0_14default_configENS1_25partition_config_selectorILNS1_17partition_subalgoE8ElNS0_10empty_typeEbEEZZNS1_14partition_implILS5_8ELb0ES3_jPlPS6_PKS6_NS0_5tupleIJS9_S6_EEENSD_IJSA_SA_EEENS0_18inequality_wrapperIZN2at6native12_GLOBAL__N_124unique_dim_cuda_templateIjEESt5tupleIJNSH_6TensorESM_SM_EERKSM_lbbbEUlllE0_EEPmJS6_EEE10hipError_tPvRmT3_T4_T5_T6_T7_T9_mT8_P12ihipStream_tbDpT10_ENKUlT_T0_E_clISt17integral_constantIbLb1EES1C_EEDaS17_S18_EUlS17_E_NS1_11comp_targetILNS1_3genE3ELNS1_11target_archE908ELNS1_3gpuE7ELNS1_3repE0EEENS1_30default_config_static_selectorELNS0_4arch9wavefront6targetE1EEEvT1_ ; -- Begin function _ZN7rocprim17ROCPRIM_400000_NS6detail17trampoline_kernelINS0_14default_configENS1_25partition_config_selectorILNS1_17partition_subalgoE8ElNS0_10empty_typeEbEEZZNS1_14partition_implILS5_8ELb0ES3_jPlPS6_PKS6_NS0_5tupleIJS9_S6_EEENSD_IJSA_SA_EEENS0_18inequality_wrapperIZN2at6native12_GLOBAL__N_124unique_dim_cuda_templateIjEESt5tupleIJNSH_6TensorESM_SM_EERKSM_lbbbEUlllE0_EEPmJS6_EEE10hipError_tPvRmT3_T4_T5_T6_T7_T9_mT8_P12ihipStream_tbDpT10_ENKUlT_T0_E_clISt17integral_constantIbLb1EES1C_EEDaS17_S18_EUlS17_E_NS1_11comp_targetILNS1_3genE3ELNS1_11target_archE908ELNS1_3gpuE7ELNS1_3repE0EEENS1_30default_config_static_selectorELNS0_4arch9wavefront6targetE1EEEvT1_
	.p2align	8
	.type	_ZN7rocprim17ROCPRIM_400000_NS6detail17trampoline_kernelINS0_14default_configENS1_25partition_config_selectorILNS1_17partition_subalgoE8ElNS0_10empty_typeEbEEZZNS1_14partition_implILS5_8ELb0ES3_jPlPS6_PKS6_NS0_5tupleIJS9_S6_EEENSD_IJSA_SA_EEENS0_18inequality_wrapperIZN2at6native12_GLOBAL__N_124unique_dim_cuda_templateIjEESt5tupleIJNSH_6TensorESM_SM_EERKSM_lbbbEUlllE0_EEPmJS6_EEE10hipError_tPvRmT3_T4_T5_T6_T7_T9_mT8_P12ihipStream_tbDpT10_ENKUlT_T0_E_clISt17integral_constantIbLb1EES1C_EEDaS17_S18_EUlS17_E_NS1_11comp_targetILNS1_3genE3ELNS1_11target_archE908ELNS1_3gpuE7ELNS1_3repE0EEENS1_30default_config_static_selectorELNS0_4arch9wavefront6targetE1EEEvT1_,@function
_ZN7rocprim17ROCPRIM_400000_NS6detail17trampoline_kernelINS0_14default_configENS1_25partition_config_selectorILNS1_17partition_subalgoE8ElNS0_10empty_typeEbEEZZNS1_14partition_implILS5_8ELb0ES3_jPlPS6_PKS6_NS0_5tupleIJS9_S6_EEENSD_IJSA_SA_EEENS0_18inequality_wrapperIZN2at6native12_GLOBAL__N_124unique_dim_cuda_templateIjEESt5tupleIJNSH_6TensorESM_SM_EERKSM_lbbbEUlllE0_EEPmJS6_EEE10hipError_tPvRmT3_T4_T5_T6_T7_T9_mT8_P12ihipStream_tbDpT10_ENKUlT_T0_E_clISt17integral_constantIbLb1EES1C_EEDaS17_S18_EUlS17_E_NS1_11comp_targetILNS1_3genE3ELNS1_11target_archE908ELNS1_3gpuE7ELNS1_3repE0EEENS1_30default_config_static_selectorELNS0_4arch9wavefront6targetE1EEEvT1_: ; @_ZN7rocprim17ROCPRIM_400000_NS6detail17trampoline_kernelINS0_14default_configENS1_25partition_config_selectorILNS1_17partition_subalgoE8ElNS0_10empty_typeEbEEZZNS1_14partition_implILS5_8ELb0ES3_jPlPS6_PKS6_NS0_5tupleIJS9_S6_EEENSD_IJSA_SA_EEENS0_18inequality_wrapperIZN2at6native12_GLOBAL__N_124unique_dim_cuda_templateIjEESt5tupleIJNSH_6TensorESM_SM_EERKSM_lbbbEUlllE0_EEPmJS6_EEE10hipError_tPvRmT3_T4_T5_T6_T7_T9_mT8_P12ihipStream_tbDpT10_ENKUlT_T0_E_clISt17integral_constantIbLb1EES1C_EEDaS17_S18_EUlS17_E_NS1_11comp_targetILNS1_3genE3ELNS1_11target_archE908ELNS1_3gpuE7ELNS1_3repE0EEENS1_30default_config_static_selectorELNS0_4arch9wavefront6targetE1EEEvT1_
; %bb.0:
	.section	.rodata,"a",@progbits
	.p2align	6, 0x0
	.amdhsa_kernel _ZN7rocprim17ROCPRIM_400000_NS6detail17trampoline_kernelINS0_14default_configENS1_25partition_config_selectorILNS1_17partition_subalgoE8ElNS0_10empty_typeEbEEZZNS1_14partition_implILS5_8ELb0ES3_jPlPS6_PKS6_NS0_5tupleIJS9_S6_EEENSD_IJSA_SA_EEENS0_18inequality_wrapperIZN2at6native12_GLOBAL__N_124unique_dim_cuda_templateIjEESt5tupleIJNSH_6TensorESM_SM_EERKSM_lbbbEUlllE0_EEPmJS6_EEE10hipError_tPvRmT3_T4_T5_T6_T7_T9_mT8_P12ihipStream_tbDpT10_ENKUlT_T0_E_clISt17integral_constantIbLb1EES1C_EEDaS17_S18_EUlS17_E_NS1_11comp_targetILNS1_3genE3ELNS1_11target_archE908ELNS1_3gpuE7ELNS1_3repE0EEENS1_30default_config_static_selectorELNS0_4arch9wavefront6targetE1EEEvT1_
		.amdhsa_group_segment_fixed_size 0
		.amdhsa_private_segment_fixed_size 0
		.amdhsa_kernarg_size 136
		.amdhsa_user_sgpr_count 6
		.amdhsa_user_sgpr_private_segment_buffer 1
		.amdhsa_user_sgpr_dispatch_ptr 0
		.amdhsa_user_sgpr_queue_ptr 0
		.amdhsa_user_sgpr_kernarg_segment_ptr 1
		.amdhsa_user_sgpr_dispatch_id 0
		.amdhsa_user_sgpr_flat_scratch_init 0
		.amdhsa_user_sgpr_kernarg_preload_length 0
		.amdhsa_user_sgpr_kernarg_preload_offset 0
		.amdhsa_user_sgpr_private_segment_size 0
		.amdhsa_uses_dynamic_stack 0
		.amdhsa_system_sgpr_private_segment_wavefront_offset 0
		.amdhsa_system_sgpr_workgroup_id_x 1
		.amdhsa_system_sgpr_workgroup_id_y 0
		.amdhsa_system_sgpr_workgroup_id_z 0
		.amdhsa_system_sgpr_workgroup_info 0
		.amdhsa_system_vgpr_workitem_id 0
		.amdhsa_next_free_vgpr 1
		.amdhsa_next_free_sgpr 0
		.amdhsa_accum_offset 4
		.amdhsa_reserve_vcc 0
		.amdhsa_reserve_flat_scratch 0
		.amdhsa_float_round_mode_32 0
		.amdhsa_float_round_mode_16_64 0
		.amdhsa_float_denorm_mode_32 3
		.amdhsa_float_denorm_mode_16_64 3
		.amdhsa_dx10_clamp 1
		.amdhsa_ieee_mode 1
		.amdhsa_fp16_overflow 0
		.amdhsa_tg_split 0
		.amdhsa_exception_fp_ieee_invalid_op 0
		.amdhsa_exception_fp_denorm_src 0
		.amdhsa_exception_fp_ieee_div_zero 0
		.amdhsa_exception_fp_ieee_overflow 0
		.amdhsa_exception_fp_ieee_underflow 0
		.amdhsa_exception_fp_ieee_inexact 0
		.amdhsa_exception_int_div_zero 0
	.end_amdhsa_kernel
	.section	.text._ZN7rocprim17ROCPRIM_400000_NS6detail17trampoline_kernelINS0_14default_configENS1_25partition_config_selectorILNS1_17partition_subalgoE8ElNS0_10empty_typeEbEEZZNS1_14partition_implILS5_8ELb0ES3_jPlPS6_PKS6_NS0_5tupleIJS9_S6_EEENSD_IJSA_SA_EEENS0_18inequality_wrapperIZN2at6native12_GLOBAL__N_124unique_dim_cuda_templateIjEESt5tupleIJNSH_6TensorESM_SM_EERKSM_lbbbEUlllE0_EEPmJS6_EEE10hipError_tPvRmT3_T4_T5_T6_T7_T9_mT8_P12ihipStream_tbDpT10_ENKUlT_T0_E_clISt17integral_constantIbLb1EES1C_EEDaS17_S18_EUlS17_E_NS1_11comp_targetILNS1_3genE3ELNS1_11target_archE908ELNS1_3gpuE7ELNS1_3repE0EEENS1_30default_config_static_selectorELNS0_4arch9wavefront6targetE1EEEvT1_,"axG",@progbits,_ZN7rocprim17ROCPRIM_400000_NS6detail17trampoline_kernelINS0_14default_configENS1_25partition_config_selectorILNS1_17partition_subalgoE8ElNS0_10empty_typeEbEEZZNS1_14partition_implILS5_8ELb0ES3_jPlPS6_PKS6_NS0_5tupleIJS9_S6_EEENSD_IJSA_SA_EEENS0_18inequality_wrapperIZN2at6native12_GLOBAL__N_124unique_dim_cuda_templateIjEESt5tupleIJNSH_6TensorESM_SM_EERKSM_lbbbEUlllE0_EEPmJS6_EEE10hipError_tPvRmT3_T4_T5_T6_T7_T9_mT8_P12ihipStream_tbDpT10_ENKUlT_T0_E_clISt17integral_constantIbLb1EES1C_EEDaS17_S18_EUlS17_E_NS1_11comp_targetILNS1_3genE3ELNS1_11target_archE908ELNS1_3gpuE7ELNS1_3repE0EEENS1_30default_config_static_selectorELNS0_4arch9wavefront6targetE1EEEvT1_,comdat
.Lfunc_end1550:
	.size	_ZN7rocprim17ROCPRIM_400000_NS6detail17trampoline_kernelINS0_14default_configENS1_25partition_config_selectorILNS1_17partition_subalgoE8ElNS0_10empty_typeEbEEZZNS1_14partition_implILS5_8ELb0ES3_jPlPS6_PKS6_NS0_5tupleIJS9_S6_EEENSD_IJSA_SA_EEENS0_18inequality_wrapperIZN2at6native12_GLOBAL__N_124unique_dim_cuda_templateIjEESt5tupleIJNSH_6TensorESM_SM_EERKSM_lbbbEUlllE0_EEPmJS6_EEE10hipError_tPvRmT3_T4_T5_T6_T7_T9_mT8_P12ihipStream_tbDpT10_ENKUlT_T0_E_clISt17integral_constantIbLb1EES1C_EEDaS17_S18_EUlS17_E_NS1_11comp_targetILNS1_3genE3ELNS1_11target_archE908ELNS1_3gpuE7ELNS1_3repE0EEENS1_30default_config_static_selectorELNS0_4arch9wavefront6targetE1EEEvT1_, .Lfunc_end1550-_ZN7rocprim17ROCPRIM_400000_NS6detail17trampoline_kernelINS0_14default_configENS1_25partition_config_selectorILNS1_17partition_subalgoE8ElNS0_10empty_typeEbEEZZNS1_14partition_implILS5_8ELb0ES3_jPlPS6_PKS6_NS0_5tupleIJS9_S6_EEENSD_IJSA_SA_EEENS0_18inequality_wrapperIZN2at6native12_GLOBAL__N_124unique_dim_cuda_templateIjEESt5tupleIJNSH_6TensorESM_SM_EERKSM_lbbbEUlllE0_EEPmJS6_EEE10hipError_tPvRmT3_T4_T5_T6_T7_T9_mT8_P12ihipStream_tbDpT10_ENKUlT_T0_E_clISt17integral_constantIbLb1EES1C_EEDaS17_S18_EUlS17_E_NS1_11comp_targetILNS1_3genE3ELNS1_11target_archE908ELNS1_3gpuE7ELNS1_3repE0EEENS1_30default_config_static_selectorELNS0_4arch9wavefront6targetE1EEEvT1_
                                        ; -- End function
	.section	.AMDGPU.csdata,"",@progbits
; Kernel info:
; codeLenInByte = 0
; NumSgprs: 4
; NumVgprs: 0
; NumAgprs: 0
; TotalNumVgprs: 0
; ScratchSize: 0
; MemoryBound: 0
; FloatMode: 240
; IeeeMode: 1
; LDSByteSize: 0 bytes/workgroup (compile time only)
; SGPRBlocks: 0
; VGPRBlocks: 0
; NumSGPRsForWavesPerEU: 4
; NumVGPRsForWavesPerEU: 1
; AccumOffset: 4
; Occupancy: 8
; WaveLimiterHint : 0
; COMPUTE_PGM_RSRC2:SCRATCH_EN: 0
; COMPUTE_PGM_RSRC2:USER_SGPR: 6
; COMPUTE_PGM_RSRC2:TRAP_HANDLER: 0
; COMPUTE_PGM_RSRC2:TGID_X_EN: 1
; COMPUTE_PGM_RSRC2:TGID_Y_EN: 0
; COMPUTE_PGM_RSRC2:TGID_Z_EN: 0
; COMPUTE_PGM_RSRC2:TIDIG_COMP_CNT: 0
; COMPUTE_PGM_RSRC3_GFX90A:ACCUM_OFFSET: 0
; COMPUTE_PGM_RSRC3_GFX90A:TG_SPLIT: 0
	.section	.text._ZN7rocprim17ROCPRIM_400000_NS6detail17trampoline_kernelINS0_14default_configENS1_25partition_config_selectorILNS1_17partition_subalgoE8ElNS0_10empty_typeEbEEZZNS1_14partition_implILS5_8ELb0ES3_jPlPS6_PKS6_NS0_5tupleIJS9_S6_EEENSD_IJSA_SA_EEENS0_18inequality_wrapperIZN2at6native12_GLOBAL__N_124unique_dim_cuda_templateIjEESt5tupleIJNSH_6TensorESM_SM_EERKSM_lbbbEUlllE0_EEPmJS6_EEE10hipError_tPvRmT3_T4_T5_T6_T7_T9_mT8_P12ihipStream_tbDpT10_ENKUlT_T0_E_clISt17integral_constantIbLb1EES1C_EEDaS17_S18_EUlS17_E_NS1_11comp_targetILNS1_3genE2ELNS1_11target_archE906ELNS1_3gpuE6ELNS1_3repE0EEENS1_30default_config_static_selectorELNS0_4arch9wavefront6targetE1EEEvT1_,"axG",@progbits,_ZN7rocprim17ROCPRIM_400000_NS6detail17trampoline_kernelINS0_14default_configENS1_25partition_config_selectorILNS1_17partition_subalgoE8ElNS0_10empty_typeEbEEZZNS1_14partition_implILS5_8ELb0ES3_jPlPS6_PKS6_NS0_5tupleIJS9_S6_EEENSD_IJSA_SA_EEENS0_18inequality_wrapperIZN2at6native12_GLOBAL__N_124unique_dim_cuda_templateIjEESt5tupleIJNSH_6TensorESM_SM_EERKSM_lbbbEUlllE0_EEPmJS6_EEE10hipError_tPvRmT3_T4_T5_T6_T7_T9_mT8_P12ihipStream_tbDpT10_ENKUlT_T0_E_clISt17integral_constantIbLb1EES1C_EEDaS17_S18_EUlS17_E_NS1_11comp_targetILNS1_3genE2ELNS1_11target_archE906ELNS1_3gpuE6ELNS1_3repE0EEENS1_30default_config_static_selectorELNS0_4arch9wavefront6targetE1EEEvT1_,comdat
	.globl	_ZN7rocprim17ROCPRIM_400000_NS6detail17trampoline_kernelINS0_14default_configENS1_25partition_config_selectorILNS1_17partition_subalgoE8ElNS0_10empty_typeEbEEZZNS1_14partition_implILS5_8ELb0ES3_jPlPS6_PKS6_NS0_5tupleIJS9_S6_EEENSD_IJSA_SA_EEENS0_18inequality_wrapperIZN2at6native12_GLOBAL__N_124unique_dim_cuda_templateIjEESt5tupleIJNSH_6TensorESM_SM_EERKSM_lbbbEUlllE0_EEPmJS6_EEE10hipError_tPvRmT3_T4_T5_T6_T7_T9_mT8_P12ihipStream_tbDpT10_ENKUlT_T0_E_clISt17integral_constantIbLb1EES1C_EEDaS17_S18_EUlS17_E_NS1_11comp_targetILNS1_3genE2ELNS1_11target_archE906ELNS1_3gpuE6ELNS1_3repE0EEENS1_30default_config_static_selectorELNS0_4arch9wavefront6targetE1EEEvT1_ ; -- Begin function _ZN7rocprim17ROCPRIM_400000_NS6detail17trampoline_kernelINS0_14default_configENS1_25partition_config_selectorILNS1_17partition_subalgoE8ElNS0_10empty_typeEbEEZZNS1_14partition_implILS5_8ELb0ES3_jPlPS6_PKS6_NS0_5tupleIJS9_S6_EEENSD_IJSA_SA_EEENS0_18inequality_wrapperIZN2at6native12_GLOBAL__N_124unique_dim_cuda_templateIjEESt5tupleIJNSH_6TensorESM_SM_EERKSM_lbbbEUlllE0_EEPmJS6_EEE10hipError_tPvRmT3_T4_T5_T6_T7_T9_mT8_P12ihipStream_tbDpT10_ENKUlT_T0_E_clISt17integral_constantIbLb1EES1C_EEDaS17_S18_EUlS17_E_NS1_11comp_targetILNS1_3genE2ELNS1_11target_archE906ELNS1_3gpuE6ELNS1_3repE0EEENS1_30default_config_static_selectorELNS0_4arch9wavefront6targetE1EEEvT1_
	.p2align	8
	.type	_ZN7rocprim17ROCPRIM_400000_NS6detail17trampoline_kernelINS0_14default_configENS1_25partition_config_selectorILNS1_17partition_subalgoE8ElNS0_10empty_typeEbEEZZNS1_14partition_implILS5_8ELb0ES3_jPlPS6_PKS6_NS0_5tupleIJS9_S6_EEENSD_IJSA_SA_EEENS0_18inequality_wrapperIZN2at6native12_GLOBAL__N_124unique_dim_cuda_templateIjEESt5tupleIJNSH_6TensorESM_SM_EERKSM_lbbbEUlllE0_EEPmJS6_EEE10hipError_tPvRmT3_T4_T5_T6_T7_T9_mT8_P12ihipStream_tbDpT10_ENKUlT_T0_E_clISt17integral_constantIbLb1EES1C_EEDaS17_S18_EUlS17_E_NS1_11comp_targetILNS1_3genE2ELNS1_11target_archE906ELNS1_3gpuE6ELNS1_3repE0EEENS1_30default_config_static_selectorELNS0_4arch9wavefront6targetE1EEEvT1_,@function
_ZN7rocprim17ROCPRIM_400000_NS6detail17trampoline_kernelINS0_14default_configENS1_25partition_config_selectorILNS1_17partition_subalgoE8ElNS0_10empty_typeEbEEZZNS1_14partition_implILS5_8ELb0ES3_jPlPS6_PKS6_NS0_5tupleIJS9_S6_EEENSD_IJSA_SA_EEENS0_18inequality_wrapperIZN2at6native12_GLOBAL__N_124unique_dim_cuda_templateIjEESt5tupleIJNSH_6TensorESM_SM_EERKSM_lbbbEUlllE0_EEPmJS6_EEE10hipError_tPvRmT3_T4_T5_T6_T7_T9_mT8_P12ihipStream_tbDpT10_ENKUlT_T0_E_clISt17integral_constantIbLb1EES1C_EEDaS17_S18_EUlS17_E_NS1_11comp_targetILNS1_3genE2ELNS1_11target_archE906ELNS1_3gpuE6ELNS1_3repE0EEENS1_30default_config_static_selectorELNS0_4arch9wavefront6targetE1EEEvT1_: ; @_ZN7rocprim17ROCPRIM_400000_NS6detail17trampoline_kernelINS0_14default_configENS1_25partition_config_selectorILNS1_17partition_subalgoE8ElNS0_10empty_typeEbEEZZNS1_14partition_implILS5_8ELb0ES3_jPlPS6_PKS6_NS0_5tupleIJS9_S6_EEENSD_IJSA_SA_EEENS0_18inequality_wrapperIZN2at6native12_GLOBAL__N_124unique_dim_cuda_templateIjEESt5tupleIJNSH_6TensorESM_SM_EERKSM_lbbbEUlllE0_EEPmJS6_EEE10hipError_tPvRmT3_T4_T5_T6_T7_T9_mT8_P12ihipStream_tbDpT10_ENKUlT_T0_E_clISt17integral_constantIbLb1EES1C_EEDaS17_S18_EUlS17_E_NS1_11comp_targetILNS1_3genE2ELNS1_11target_archE906ELNS1_3gpuE6ELNS1_3repE0EEENS1_30default_config_static_selectorELNS0_4arch9wavefront6targetE1EEEvT1_
; %bb.0:
	.section	.rodata,"a",@progbits
	.p2align	6, 0x0
	.amdhsa_kernel _ZN7rocprim17ROCPRIM_400000_NS6detail17trampoline_kernelINS0_14default_configENS1_25partition_config_selectorILNS1_17partition_subalgoE8ElNS0_10empty_typeEbEEZZNS1_14partition_implILS5_8ELb0ES3_jPlPS6_PKS6_NS0_5tupleIJS9_S6_EEENSD_IJSA_SA_EEENS0_18inequality_wrapperIZN2at6native12_GLOBAL__N_124unique_dim_cuda_templateIjEESt5tupleIJNSH_6TensorESM_SM_EERKSM_lbbbEUlllE0_EEPmJS6_EEE10hipError_tPvRmT3_T4_T5_T6_T7_T9_mT8_P12ihipStream_tbDpT10_ENKUlT_T0_E_clISt17integral_constantIbLb1EES1C_EEDaS17_S18_EUlS17_E_NS1_11comp_targetILNS1_3genE2ELNS1_11target_archE906ELNS1_3gpuE6ELNS1_3repE0EEENS1_30default_config_static_selectorELNS0_4arch9wavefront6targetE1EEEvT1_
		.amdhsa_group_segment_fixed_size 0
		.amdhsa_private_segment_fixed_size 0
		.amdhsa_kernarg_size 136
		.amdhsa_user_sgpr_count 6
		.amdhsa_user_sgpr_private_segment_buffer 1
		.amdhsa_user_sgpr_dispatch_ptr 0
		.amdhsa_user_sgpr_queue_ptr 0
		.amdhsa_user_sgpr_kernarg_segment_ptr 1
		.amdhsa_user_sgpr_dispatch_id 0
		.amdhsa_user_sgpr_flat_scratch_init 0
		.amdhsa_user_sgpr_kernarg_preload_length 0
		.amdhsa_user_sgpr_kernarg_preload_offset 0
		.amdhsa_user_sgpr_private_segment_size 0
		.amdhsa_uses_dynamic_stack 0
		.amdhsa_system_sgpr_private_segment_wavefront_offset 0
		.amdhsa_system_sgpr_workgroup_id_x 1
		.amdhsa_system_sgpr_workgroup_id_y 0
		.amdhsa_system_sgpr_workgroup_id_z 0
		.amdhsa_system_sgpr_workgroup_info 0
		.amdhsa_system_vgpr_workitem_id 0
		.amdhsa_next_free_vgpr 1
		.amdhsa_next_free_sgpr 0
		.amdhsa_accum_offset 4
		.amdhsa_reserve_vcc 0
		.amdhsa_reserve_flat_scratch 0
		.amdhsa_float_round_mode_32 0
		.amdhsa_float_round_mode_16_64 0
		.amdhsa_float_denorm_mode_32 3
		.amdhsa_float_denorm_mode_16_64 3
		.amdhsa_dx10_clamp 1
		.amdhsa_ieee_mode 1
		.amdhsa_fp16_overflow 0
		.amdhsa_tg_split 0
		.amdhsa_exception_fp_ieee_invalid_op 0
		.amdhsa_exception_fp_denorm_src 0
		.amdhsa_exception_fp_ieee_div_zero 0
		.amdhsa_exception_fp_ieee_overflow 0
		.amdhsa_exception_fp_ieee_underflow 0
		.amdhsa_exception_fp_ieee_inexact 0
		.amdhsa_exception_int_div_zero 0
	.end_amdhsa_kernel
	.section	.text._ZN7rocprim17ROCPRIM_400000_NS6detail17trampoline_kernelINS0_14default_configENS1_25partition_config_selectorILNS1_17partition_subalgoE8ElNS0_10empty_typeEbEEZZNS1_14partition_implILS5_8ELb0ES3_jPlPS6_PKS6_NS0_5tupleIJS9_S6_EEENSD_IJSA_SA_EEENS0_18inequality_wrapperIZN2at6native12_GLOBAL__N_124unique_dim_cuda_templateIjEESt5tupleIJNSH_6TensorESM_SM_EERKSM_lbbbEUlllE0_EEPmJS6_EEE10hipError_tPvRmT3_T4_T5_T6_T7_T9_mT8_P12ihipStream_tbDpT10_ENKUlT_T0_E_clISt17integral_constantIbLb1EES1C_EEDaS17_S18_EUlS17_E_NS1_11comp_targetILNS1_3genE2ELNS1_11target_archE906ELNS1_3gpuE6ELNS1_3repE0EEENS1_30default_config_static_selectorELNS0_4arch9wavefront6targetE1EEEvT1_,"axG",@progbits,_ZN7rocprim17ROCPRIM_400000_NS6detail17trampoline_kernelINS0_14default_configENS1_25partition_config_selectorILNS1_17partition_subalgoE8ElNS0_10empty_typeEbEEZZNS1_14partition_implILS5_8ELb0ES3_jPlPS6_PKS6_NS0_5tupleIJS9_S6_EEENSD_IJSA_SA_EEENS0_18inequality_wrapperIZN2at6native12_GLOBAL__N_124unique_dim_cuda_templateIjEESt5tupleIJNSH_6TensorESM_SM_EERKSM_lbbbEUlllE0_EEPmJS6_EEE10hipError_tPvRmT3_T4_T5_T6_T7_T9_mT8_P12ihipStream_tbDpT10_ENKUlT_T0_E_clISt17integral_constantIbLb1EES1C_EEDaS17_S18_EUlS17_E_NS1_11comp_targetILNS1_3genE2ELNS1_11target_archE906ELNS1_3gpuE6ELNS1_3repE0EEENS1_30default_config_static_selectorELNS0_4arch9wavefront6targetE1EEEvT1_,comdat
.Lfunc_end1551:
	.size	_ZN7rocprim17ROCPRIM_400000_NS6detail17trampoline_kernelINS0_14default_configENS1_25partition_config_selectorILNS1_17partition_subalgoE8ElNS0_10empty_typeEbEEZZNS1_14partition_implILS5_8ELb0ES3_jPlPS6_PKS6_NS0_5tupleIJS9_S6_EEENSD_IJSA_SA_EEENS0_18inequality_wrapperIZN2at6native12_GLOBAL__N_124unique_dim_cuda_templateIjEESt5tupleIJNSH_6TensorESM_SM_EERKSM_lbbbEUlllE0_EEPmJS6_EEE10hipError_tPvRmT3_T4_T5_T6_T7_T9_mT8_P12ihipStream_tbDpT10_ENKUlT_T0_E_clISt17integral_constantIbLb1EES1C_EEDaS17_S18_EUlS17_E_NS1_11comp_targetILNS1_3genE2ELNS1_11target_archE906ELNS1_3gpuE6ELNS1_3repE0EEENS1_30default_config_static_selectorELNS0_4arch9wavefront6targetE1EEEvT1_, .Lfunc_end1551-_ZN7rocprim17ROCPRIM_400000_NS6detail17trampoline_kernelINS0_14default_configENS1_25partition_config_selectorILNS1_17partition_subalgoE8ElNS0_10empty_typeEbEEZZNS1_14partition_implILS5_8ELb0ES3_jPlPS6_PKS6_NS0_5tupleIJS9_S6_EEENSD_IJSA_SA_EEENS0_18inequality_wrapperIZN2at6native12_GLOBAL__N_124unique_dim_cuda_templateIjEESt5tupleIJNSH_6TensorESM_SM_EERKSM_lbbbEUlllE0_EEPmJS6_EEE10hipError_tPvRmT3_T4_T5_T6_T7_T9_mT8_P12ihipStream_tbDpT10_ENKUlT_T0_E_clISt17integral_constantIbLb1EES1C_EEDaS17_S18_EUlS17_E_NS1_11comp_targetILNS1_3genE2ELNS1_11target_archE906ELNS1_3gpuE6ELNS1_3repE0EEENS1_30default_config_static_selectorELNS0_4arch9wavefront6targetE1EEEvT1_
                                        ; -- End function
	.section	.AMDGPU.csdata,"",@progbits
; Kernel info:
; codeLenInByte = 0
; NumSgprs: 4
; NumVgprs: 0
; NumAgprs: 0
; TotalNumVgprs: 0
; ScratchSize: 0
; MemoryBound: 0
; FloatMode: 240
; IeeeMode: 1
; LDSByteSize: 0 bytes/workgroup (compile time only)
; SGPRBlocks: 0
; VGPRBlocks: 0
; NumSGPRsForWavesPerEU: 4
; NumVGPRsForWavesPerEU: 1
; AccumOffset: 4
; Occupancy: 8
; WaveLimiterHint : 0
; COMPUTE_PGM_RSRC2:SCRATCH_EN: 0
; COMPUTE_PGM_RSRC2:USER_SGPR: 6
; COMPUTE_PGM_RSRC2:TRAP_HANDLER: 0
; COMPUTE_PGM_RSRC2:TGID_X_EN: 1
; COMPUTE_PGM_RSRC2:TGID_Y_EN: 0
; COMPUTE_PGM_RSRC2:TGID_Z_EN: 0
; COMPUTE_PGM_RSRC2:TIDIG_COMP_CNT: 0
; COMPUTE_PGM_RSRC3_GFX90A:ACCUM_OFFSET: 0
; COMPUTE_PGM_RSRC3_GFX90A:TG_SPLIT: 0
	.section	.text._ZN7rocprim17ROCPRIM_400000_NS6detail17trampoline_kernelINS0_14default_configENS1_25partition_config_selectorILNS1_17partition_subalgoE8ElNS0_10empty_typeEbEEZZNS1_14partition_implILS5_8ELb0ES3_jPlPS6_PKS6_NS0_5tupleIJS9_S6_EEENSD_IJSA_SA_EEENS0_18inequality_wrapperIZN2at6native12_GLOBAL__N_124unique_dim_cuda_templateIjEESt5tupleIJNSH_6TensorESM_SM_EERKSM_lbbbEUlllE0_EEPmJS6_EEE10hipError_tPvRmT3_T4_T5_T6_T7_T9_mT8_P12ihipStream_tbDpT10_ENKUlT_T0_E_clISt17integral_constantIbLb1EES1C_EEDaS17_S18_EUlS17_E_NS1_11comp_targetILNS1_3genE10ELNS1_11target_archE1200ELNS1_3gpuE4ELNS1_3repE0EEENS1_30default_config_static_selectorELNS0_4arch9wavefront6targetE1EEEvT1_,"axG",@progbits,_ZN7rocprim17ROCPRIM_400000_NS6detail17trampoline_kernelINS0_14default_configENS1_25partition_config_selectorILNS1_17partition_subalgoE8ElNS0_10empty_typeEbEEZZNS1_14partition_implILS5_8ELb0ES3_jPlPS6_PKS6_NS0_5tupleIJS9_S6_EEENSD_IJSA_SA_EEENS0_18inequality_wrapperIZN2at6native12_GLOBAL__N_124unique_dim_cuda_templateIjEESt5tupleIJNSH_6TensorESM_SM_EERKSM_lbbbEUlllE0_EEPmJS6_EEE10hipError_tPvRmT3_T4_T5_T6_T7_T9_mT8_P12ihipStream_tbDpT10_ENKUlT_T0_E_clISt17integral_constantIbLb1EES1C_EEDaS17_S18_EUlS17_E_NS1_11comp_targetILNS1_3genE10ELNS1_11target_archE1200ELNS1_3gpuE4ELNS1_3repE0EEENS1_30default_config_static_selectorELNS0_4arch9wavefront6targetE1EEEvT1_,comdat
	.globl	_ZN7rocprim17ROCPRIM_400000_NS6detail17trampoline_kernelINS0_14default_configENS1_25partition_config_selectorILNS1_17partition_subalgoE8ElNS0_10empty_typeEbEEZZNS1_14partition_implILS5_8ELb0ES3_jPlPS6_PKS6_NS0_5tupleIJS9_S6_EEENSD_IJSA_SA_EEENS0_18inequality_wrapperIZN2at6native12_GLOBAL__N_124unique_dim_cuda_templateIjEESt5tupleIJNSH_6TensorESM_SM_EERKSM_lbbbEUlllE0_EEPmJS6_EEE10hipError_tPvRmT3_T4_T5_T6_T7_T9_mT8_P12ihipStream_tbDpT10_ENKUlT_T0_E_clISt17integral_constantIbLb1EES1C_EEDaS17_S18_EUlS17_E_NS1_11comp_targetILNS1_3genE10ELNS1_11target_archE1200ELNS1_3gpuE4ELNS1_3repE0EEENS1_30default_config_static_selectorELNS0_4arch9wavefront6targetE1EEEvT1_ ; -- Begin function _ZN7rocprim17ROCPRIM_400000_NS6detail17trampoline_kernelINS0_14default_configENS1_25partition_config_selectorILNS1_17partition_subalgoE8ElNS0_10empty_typeEbEEZZNS1_14partition_implILS5_8ELb0ES3_jPlPS6_PKS6_NS0_5tupleIJS9_S6_EEENSD_IJSA_SA_EEENS0_18inequality_wrapperIZN2at6native12_GLOBAL__N_124unique_dim_cuda_templateIjEESt5tupleIJNSH_6TensorESM_SM_EERKSM_lbbbEUlllE0_EEPmJS6_EEE10hipError_tPvRmT3_T4_T5_T6_T7_T9_mT8_P12ihipStream_tbDpT10_ENKUlT_T0_E_clISt17integral_constantIbLb1EES1C_EEDaS17_S18_EUlS17_E_NS1_11comp_targetILNS1_3genE10ELNS1_11target_archE1200ELNS1_3gpuE4ELNS1_3repE0EEENS1_30default_config_static_selectorELNS0_4arch9wavefront6targetE1EEEvT1_
	.p2align	8
	.type	_ZN7rocprim17ROCPRIM_400000_NS6detail17trampoline_kernelINS0_14default_configENS1_25partition_config_selectorILNS1_17partition_subalgoE8ElNS0_10empty_typeEbEEZZNS1_14partition_implILS5_8ELb0ES3_jPlPS6_PKS6_NS0_5tupleIJS9_S6_EEENSD_IJSA_SA_EEENS0_18inequality_wrapperIZN2at6native12_GLOBAL__N_124unique_dim_cuda_templateIjEESt5tupleIJNSH_6TensorESM_SM_EERKSM_lbbbEUlllE0_EEPmJS6_EEE10hipError_tPvRmT3_T4_T5_T6_T7_T9_mT8_P12ihipStream_tbDpT10_ENKUlT_T0_E_clISt17integral_constantIbLb1EES1C_EEDaS17_S18_EUlS17_E_NS1_11comp_targetILNS1_3genE10ELNS1_11target_archE1200ELNS1_3gpuE4ELNS1_3repE0EEENS1_30default_config_static_selectorELNS0_4arch9wavefront6targetE1EEEvT1_,@function
_ZN7rocprim17ROCPRIM_400000_NS6detail17trampoline_kernelINS0_14default_configENS1_25partition_config_selectorILNS1_17partition_subalgoE8ElNS0_10empty_typeEbEEZZNS1_14partition_implILS5_8ELb0ES3_jPlPS6_PKS6_NS0_5tupleIJS9_S6_EEENSD_IJSA_SA_EEENS0_18inequality_wrapperIZN2at6native12_GLOBAL__N_124unique_dim_cuda_templateIjEESt5tupleIJNSH_6TensorESM_SM_EERKSM_lbbbEUlllE0_EEPmJS6_EEE10hipError_tPvRmT3_T4_T5_T6_T7_T9_mT8_P12ihipStream_tbDpT10_ENKUlT_T0_E_clISt17integral_constantIbLb1EES1C_EEDaS17_S18_EUlS17_E_NS1_11comp_targetILNS1_3genE10ELNS1_11target_archE1200ELNS1_3gpuE4ELNS1_3repE0EEENS1_30default_config_static_selectorELNS0_4arch9wavefront6targetE1EEEvT1_: ; @_ZN7rocprim17ROCPRIM_400000_NS6detail17trampoline_kernelINS0_14default_configENS1_25partition_config_selectorILNS1_17partition_subalgoE8ElNS0_10empty_typeEbEEZZNS1_14partition_implILS5_8ELb0ES3_jPlPS6_PKS6_NS0_5tupleIJS9_S6_EEENSD_IJSA_SA_EEENS0_18inequality_wrapperIZN2at6native12_GLOBAL__N_124unique_dim_cuda_templateIjEESt5tupleIJNSH_6TensorESM_SM_EERKSM_lbbbEUlllE0_EEPmJS6_EEE10hipError_tPvRmT3_T4_T5_T6_T7_T9_mT8_P12ihipStream_tbDpT10_ENKUlT_T0_E_clISt17integral_constantIbLb1EES1C_EEDaS17_S18_EUlS17_E_NS1_11comp_targetILNS1_3genE10ELNS1_11target_archE1200ELNS1_3gpuE4ELNS1_3repE0EEENS1_30default_config_static_selectorELNS0_4arch9wavefront6targetE1EEEvT1_
; %bb.0:
	.section	.rodata,"a",@progbits
	.p2align	6, 0x0
	.amdhsa_kernel _ZN7rocprim17ROCPRIM_400000_NS6detail17trampoline_kernelINS0_14default_configENS1_25partition_config_selectorILNS1_17partition_subalgoE8ElNS0_10empty_typeEbEEZZNS1_14partition_implILS5_8ELb0ES3_jPlPS6_PKS6_NS0_5tupleIJS9_S6_EEENSD_IJSA_SA_EEENS0_18inequality_wrapperIZN2at6native12_GLOBAL__N_124unique_dim_cuda_templateIjEESt5tupleIJNSH_6TensorESM_SM_EERKSM_lbbbEUlllE0_EEPmJS6_EEE10hipError_tPvRmT3_T4_T5_T6_T7_T9_mT8_P12ihipStream_tbDpT10_ENKUlT_T0_E_clISt17integral_constantIbLb1EES1C_EEDaS17_S18_EUlS17_E_NS1_11comp_targetILNS1_3genE10ELNS1_11target_archE1200ELNS1_3gpuE4ELNS1_3repE0EEENS1_30default_config_static_selectorELNS0_4arch9wavefront6targetE1EEEvT1_
		.amdhsa_group_segment_fixed_size 0
		.amdhsa_private_segment_fixed_size 0
		.amdhsa_kernarg_size 136
		.amdhsa_user_sgpr_count 6
		.amdhsa_user_sgpr_private_segment_buffer 1
		.amdhsa_user_sgpr_dispatch_ptr 0
		.amdhsa_user_sgpr_queue_ptr 0
		.amdhsa_user_sgpr_kernarg_segment_ptr 1
		.amdhsa_user_sgpr_dispatch_id 0
		.amdhsa_user_sgpr_flat_scratch_init 0
		.amdhsa_user_sgpr_kernarg_preload_length 0
		.amdhsa_user_sgpr_kernarg_preload_offset 0
		.amdhsa_user_sgpr_private_segment_size 0
		.amdhsa_uses_dynamic_stack 0
		.amdhsa_system_sgpr_private_segment_wavefront_offset 0
		.amdhsa_system_sgpr_workgroup_id_x 1
		.amdhsa_system_sgpr_workgroup_id_y 0
		.amdhsa_system_sgpr_workgroup_id_z 0
		.amdhsa_system_sgpr_workgroup_info 0
		.amdhsa_system_vgpr_workitem_id 0
		.amdhsa_next_free_vgpr 1
		.amdhsa_next_free_sgpr 0
		.amdhsa_accum_offset 4
		.amdhsa_reserve_vcc 0
		.amdhsa_reserve_flat_scratch 0
		.amdhsa_float_round_mode_32 0
		.amdhsa_float_round_mode_16_64 0
		.amdhsa_float_denorm_mode_32 3
		.amdhsa_float_denorm_mode_16_64 3
		.amdhsa_dx10_clamp 1
		.amdhsa_ieee_mode 1
		.amdhsa_fp16_overflow 0
		.amdhsa_tg_split 0
		.amdhsa_exception_fp_ieee_invalid_op 0
		.amdhsa_exception_fp_denorm_src 0
		.amdhsa_exception_fp_ieee_div_zero 0
		.amdhsa_exception_fp_ieee_overflow 0
		.amdhsa_exception_fp_ieee_underflow 0
		.amdhsa_exception_fp_ieee_inexact 0
		.amdhsa_exception_int_div_zero 0
	.end_amdhsa_kernel
	.section	.text._ZN7rocprim17ROCPRIM_400000_NS6detail17trampoline_kernelINS0_14default_configENS1_25partition_config_selectorILNS1_17partition_subalgoE8ElNS0_10empty_typeEbEEZZNS1_14partition_implILS5_8ELb0ES3_jPlPS6_PKS6_NS0_5tupleIJS9_S6_EEENSD_IJSA_SA_EEENS0_18inequality_wrapperIZN2at6native12_GLOBAL__N_124unique_dim_cuda_templateIjEESt5tupleIJNSH_6TensorESM_SM_EERKSM_lbbbEUlllE0_EEPmJS6_EEE10hipError_tPvRmT3_T4_T5_T6_T7_T9_mT8_P12ihipStream_tbDpT10_ENKUlT_T0_E_clISt17integral_constantIbLb1EES1C_EEDaS17_S18_EUlS17_E_NS1_11comp_targetILNS1_3genE10ELNS1_11target_archE1200ELNS1_3gpuE4ELNS1_3repE0EEENS1_30default_config_static_selectorELNS0_4arch9wavefront6targetE1EEEvT1_,"axG",@progbits,_ZN7rocprim17ROCPRIM_400000_NS6detail17trampoline_kernelINS0_14default_configENS1_25partition_config_selectorILNS1_17partition_subalgoE8ElNS0_10empty_typeEbEEZZNS1_14partition_implILS5_8ELb0ES3_jPlPS6_PKS6_NS0_5tupleIJS9_S6_EEENSD_IJSA_SA_EEENS0_18inequality_wrapperIZN2at6native12_GLOBAL__N_124unique_dim_cuda_templateIjEESt5tupleIJNSH_6TensorESM_SM_EERKSM_lbbbEUlllE0_EEPmJS6_EEE10hipError_tPvRmT3_T4_T5_T6_T7_T9_mT8_P12ihipStream_tbDpT10_ENKUlT_T0_E_clISt17integral_constantIbLb1EES1C_EEDaS17_S18_EUlS17_E_NS1_11comp_targetILNS1_3genE10ELNS1_11target_archE1200ELNS1_3gpuE4ELNS1_3repE0EEENS1_30default_config_static_selectorELNS0_4arch9wavefront6targetE1EEEvT1_,comdat
.Lfunc_end1552:
	.size	_ZN7rocprim17ROCPRIM_400000_NS6detail17trampoline_kernelINS0_14default_configENS1_25partition_config_selectorILNS1_17partition_subalgoE8ElNS0_10empty_typeEbEEZZNS1_14partition_implILS5_8ELb0ES3_jPlPS6_PKS6_NS0_5tupleIJS9_S6_EEENSD_IJSA_SA_EEENS0_18inequality_wrapperIZN2at6native12_GLOBAL__N_124unique_dim_cuda_templateIjEESt5tupleIJNSH_6TensorESM_SM_EERKSM_lbbbEUlllE0_EEPmJS6_EEE10hipError_tPvRmT3_T4_T5_T6_T7_T9_mT8_P12ihipStream_tbDpT10_ENKUlT_T0_E_clISt17integral_constantIbLb1EES1C_EEDaS17_S18_EUlS17_E_NS1_11comp_targetILNS1_3genE10ELNS1_11target_archE1200ELNS1_3gpuE4ELNS1_3repE0EEENS1_30default_config_static_selectorELNS0_4arch9wavefront6targetE1EEEvT1_, .Lfunc_end1552-_ZN7rocprim17ROCPRIM_400000_NS6detail17trampoline_kernelINS0_14default_configENS1_25partition_config_selectorILNS1_17partition_subalgoE8ElNS0_10empty_typeEbEEZZNS1_14partition_implILS5_8ELb0ES3_jPlPS6_PKS6_NS0_5tupleIJS9_S6_EEENSD_IJSA_SA_EEENS0_18inequality_wrapperIZN2at6native12_GLOBAL__N_124unique_dim_cuda_templateIjEESt5tupleIJNSH_6TensorESM_SM_EERKSM_lbbbEUlllE0_EEPmJS6_EEE10hipError_tPvRmT3_T4_T5_T6_T7_T9_mT8_P12ihipStream_tbDpT10_ENKUlT_T0_E_clISt17integral_constantIbLb1EES1C_EEDaS17_S18_EUlS17_E_NS1_11comp_targetILNS1_3genE10ELNS1_11target_archE1200ELNS1_3gpuE4ELNS1_3repE0EEENS1_30default_config_static_selectorELNS0_4arch9wavefront6targetE1EEEvT1_
                                        ; -- End function
	.section	.AMDGPU.csdata,"",@progbits
; Kernel info:
; codeLenInByte = 0
; NumSgprs: 4
; NumVgprs: 0
; NumAgprs: 0
; TotalNumVgprs: 0
; ScratchSize: 0
; MemoryBound: 0
; FloatMode: 240
; IeeeMode: 1
; LDSByteSize: 0 bytes/workgroup (compile time only)
; SGPRBlocks: 0
; VGPRBlocks: 0
; NumSGPRsForWavesPerEU: 4
; NumVGPRsForWavesPerEU: 1
; AccumOffset: 4
; Occupancy: 8
; WaveLimiterHint : 0
; COMPUTE_PGM_RSRC2:SCRATCH_EN: 0
; COMPUTE_PGM_RSRC2:USER_SGPR: 6
; COMPUTE_PGM_RSRC2:TRAP_HANDLER: 0
; COMPUTE_PGM_RSRC2:TGID_X_EN: 1
; COMPUTE_PGM_RSRC2:TGID_Y_EN: 0
; COMPUTE_PGM_RSRC2:TGID_Z_EN: 0
; COMPUTE_PGM_RSRC2:TIDIG_COMP_CNT: 0
; COMPUTE_PGM_RSRC3_GFX90A:ACCUM_OFFSET: 0
; COMPUTE_PGM_RSRC3_GFX90A:TG_SPLIT: 0
	.section	.text._ZN7rocprim17ROCPRIM_400000_NS6detail17trampoline_kernelINS0_14default_configENS1_25partition_config_selectorILNS1_17partition_subalgoE8ElNS0_10empty_typeEbEEZZNS1_14partition_implILS5_8ELb0ES3_jPlPS6_PKS6_NS0_5tupleIJS9_S6_EEENSD_IJSA_SA_EEENS0_18inequality_wrapperIZN2at6native12_GLOBAL__N_124unique_dim_cuda_templateIjEESt5tupleIJNSH_6TensorESM_SM_EERKSM_lbbbEUlllE0_EEPmJS6_EEE10hipError_tPvRmT3_T4_T5_T6_T7_T9_mT8_P12ihipStream_tbDpT10_ENKUlT_T0_E_clISt17integral_constantIbLb1EES1C_EEDaS17_S18_EUlS17_E_NS1_11comp_targetILNS1_3genE9ELNS1_11target_archE1100ELNS1_3gpuE3ELNS1_3repE0EEENS1_30default_config_static_selectorELNS0_4arch9wavefront6targetE1EEEvT1_,"axG",@progbits,_ZN7rocprim17ROCPRIM_400000_NS6detail17trampoline_kernelINS0_14default_configENS1_25partition_config_selectorILNS1_17partition_subalgoE8ElNS0_10empty_typeEbEEZZNS1_14partition_implILS5_8ELb0ES3_jPlPS6_PKS6_NS0_5tupleIJS9_S6_EEENSD_IJSA_SA_EEENS0_18inequality_wrapperIZN2at6native12_GLOBAL__N_124unique_dim_cuda_templateIjEESt5tupleIJNSH_6TensorESM_SM_EERKSM_lbbbEUlllE0_EEPmJS6_EEE10hipError_tPvRmT3_T4_T5_T6_T7_T9_mT8_P12ihipStream_tbDpT10_ENKUlT_T0_E_clISt17integral_constantIbLb1EES1C_EEDaS17_S18_EUlS17_E_NS1_11comp_targetILNS1_3genE9ELNS1_11target_archE1100ELNS1_3gpuE3ELNS1_3repE0EEENS1_30default_config_static_selectorELNS0_4arch9wavefront6targetE1EEEvT1_,comdat
	.globl	_ZN7rocprim17ROCPRIM_400000_NS6detail17trampoline_kernelINS0_14default_configENS1_25partition_config_selectorILNS1_17partition_subalgoE8ElNS0_10empty_typeEbEEZZNS1_14partition_implILS5_8ELb0ES3_jPlPS6_PKS6_NS0_5tupleIJS9_S6_EEENSD_IJSA_SA_EEENS0_18inequality_wrapperIZN2at6native12_GLOBAL__N_124unique_dim_cuda_templateIjEESt5tupleIJNSH_6TensorESM_SM_EERKSM_lbbbEUlllE0_EEPmJS6_EEE10hipError_tPvRmT3_T4_T5_T6_T7_T9_mT8_P12ihipStream_tbDpT10_ENKUlT_T0_E_clISt17integral_constantIbLb1EES1C_EEDaS17_S18_EUlS17_E_NS1_11comp_targetILNS1_3genE9ELNS1_11target_archE1100ELNS1_3gpuE3ELNS1_3repE0EEENS1_30default_config_static_selectorELNS0_4arch9wavefront6targetE1EEEvT1_ ; -- Begin function _ZN7rocprim17ROCPRIM_400000_NS6detail17trampoline_kernelINS0_14default_configENS1_25partition_config_selectorILNS1_17partition_subalgoE8ElNS0_10empty_typeEbEEZZNS1_14partition_implILS5_8ELb0ES3_jPlPS6_PKS6_NS0_5tupleIJS9_S6_EEENSD_IJSA_SA_EEENS0_18inequality_wrapperIZN2at6native12_GLOBAL__N_124unique_dim_cuda_templateIjEESt5tupleIJNSH_6TensorESM_SM_EERKSM_lbbbEUlllE0_EEPmJS6_EEE10hipError_tPvRmT3_T4_T5_T6_T7_T9_mT8_P12ihipStream_tbDpT10_ENKUlT_T0_E_clISt17integral_constantIbLb1EES1C_EEDaS17_S18_EUlS17_E_NS1_11comp_targetILNS1_3genE9ELNS1_11target_archE1100ELNS1_3gpuE3ELNS1_3repE0EEENS1_30default_config_static_selectorELNS0_4arch9wavefront6targetE1EEEvT1_
	.p2align	8
	.type	_ZN7rocprim17ROCPRIM_400000_NS6detail17trampoline_kernelINS0_14default_configENS1_25partition_config_selectorILNS1_17partition_subalgoE8ElNS0_10empty_typeEbEEZZNS1_14partition_implILS5_8ELb0ES3_jPlPS6_PKS6_NS0_5tupleIJS9_S6_EEENSD_IJSA_SA_EEENS0_18inequality_wrapperIZN2at6native12_GLOBAL__N_124unique_dim_cuda_templateIjEESt5tupleIJNSH_6TensorESM_SM_EERKSM_lbbbEUlllE0_EEPmJS6_EEE10hipError_tPvRmT3_T4_T5_T6_T7_T9_mT8_P12ihipStream_tbDpT10_ENKUlT_T0_E_clISt17integral_constantIbLb1EES1C_EEDaS17_S18_EUlS17_E_NS1_11comp_targetILNS1_3genE9ELNS1_11target_archE1100ELNS1_3gpuE3ELNS1_3repE0EEENS1_30default_config_static_selectorELNS0_4arch9wavefront6targetE1EEEvT1_,@function
_ZN7rocprim17ROCPRIM_400000_NS6detail17trampoline_kernelINS0_14default_configENS1_25partition_config_selectorILNS1_17partition_subalgoE8ElNS0_10empty_typeEbEEZZNS1_14partition_implILS5_8ELb0ES3_jPlPS6_PKS6_NS0_5tupleIJS9_S6_EEENSD_IJSA_SA_EEENS0_18inequality_wrapperIZN2at6native12_GLOBAL__N_124unique_dim_cuda_templateIjEESt5tupleIJNSH_6TensorESM_SM_EERKSM_lbbbEUlllE0_EEPmJS6_EEE10hipError_tPvRmT3_T4_T5_T6_T7_T9_mT8_P12ihipStream_tbDpT10_ENKUlT_T0_E_clISt17integral_constantIbLb1EES1C_EEDaS17_S18_EUlS17_E_NS1_11comp_targetILNS1_3genE9ELNS1_11target_archE1100ELNS1_3gpuE3ELNS1_3repE0EEENS1_30default_config_static_selectorELNS0_4arch9wavefront6targetE1EEEvT1_: ; @_ZN7rocprim17ROCPRIM_400000_NS6detail17trampoline_kernelINS0_14default_configENS1_25partition_config_selectorILNS1_17partition_subalgoE8ElNS0_10empty_typeEbEEZZNS1_14partition_implILS5_8ELb0ES3_jPlPS6_PKS6_NS0_5tupleIJS9_S6_EEENSD_IJSA_SA_EEENS0_18inequality_wrapperIZN2at6native12_GLOBAL__N_124unique_dim_cuda_templateIjEESt5tupleIJNSH_6TensorESM_SM_EERKSM_lbbbEUlllE0_EEPmJS6_EEE10hipError_tPvRmT3_T4_T5_T6_T7_T9_mT8_P12ihipStream_tbDpT10_ENKUlT_T0_E_clISt17integral_constantIbLb1EES1C_EEDaS17_S18_EUlS17_E_NS1_11comp_targetILNS1_3genE9ELNS1_11target_archE1100ELNS1_3gpuE3ELNS1_3repE0EEENS1_30default_config_static_selectorELNS0_4arch9wavefront6targetE1EEEvT1_
; %bb.0:
	.section	.rodata,"a",@progbits
	.p2align	6, 0x0
	.amdhsa_kernel _ZN7rocprim17ROCPRIM_400000_NS6detail17trampoline_kernelINS0_14default_configENS1_25partition_config_selectorILNS1_17partition_subalgoE8ElNS0_10empty_typeEbEEZZNS1_14partition_implILS5_8ELb0ES3_jPlPS6_PKS6_NS0_5tupleIJS9_S6_EEENSD_IJSA_SA_EEENS0_18inequality_wrapperIZN2at6native12_GLOBAL__N_124unique_dim_cuda_templateIjEESt5tupleIJNSH_6TensorESM_SM_EERKSM_lbbbEUlllE0_EEPmJS6_EEE10hipError_tPvRmT3_T4_T5_T6_T7_T9_mT8_P12ihipStream_tbDpT10_ENKUlT_T0_E_clISt17integral_constantIbLb1EES1C_EEDaS17_S18_EUlS17_E_NS1_11comp_targetILNS1_3genE9ELNS1_11target_archE1100ELNS1_3gpuE3ELNS1_3repE0EEENS1_30default_config_static_selectorELNS0_4arch9wavefront6targetE1EEEvT1_
		.amdhsa_group_segment_fixed_size 0
		.amdhsa_private_segment_fixed_size 0
		.amdhsa_kernarg_size 136
		.amdhsa_user_sgpr_count 6
		.amdhsa_user_sgpr_private_segment_buffer 1
		.amdhsa_user_sgpr_dispatch_ptr 0
		.amdhsa_user_sgpr_queue_ptr 0
		.amdhsa_user_sgpr_kernarg_segment_ptr 1
		.amdhsa_user_sgpr_dispatch_id 0
		.amdhsa_user_sgpr_flat_scratch_init 0
		.amdhsa_user_sgpr_kernarg_preload_length 0
		.amdhsa_user_sgpr_kernarg_preload_offset 0
		.amdhsa_user_sgpr_private_segment_size 0
		.amdhsa_uses_dynamic_stack 0
		.amdhsa_system_sgpr_private_segment_wavefront_offset 0
		.amdhsa_system_sgpr_workgroup_id_x 1
		.amdhsa_system_sgpr_workgroup_id_y 0
		.amdhsa_system_sgpr_workgroup_id_z 0
		.amdhsa_system_sgpr_workgroup_info 0
		.amdhsa_system_vgpr_workitem_id 0
		.amdhsa_next_free_vgpr 1
		.amdhsa_next_free_sgpr 0
		.amdhsa_accum_offset 4
		.amdhsa_reserve_vcc 0
		.amdhsa_reserve_flat_scratch 0
		.amdhsa_float_round_mode_32 0
		.amdhsa_float_round_mode_16_64 0
		.amdhsa_float_denorm_mode_32 3
		.amdhsa_float_denorm_mode_16_64 3
		.amdhsa_dx10_clamp 1
		.amdhsa_ieee_mode 1
		.amdhsa_fp16_overflow 0
		.amdhsa_tg_split 0
		.amdhsa_exception_fp_ieee_invalid_op 0
		.amdhsa_exception_fp_denorm_src 0
		.amdhsa_exception_fp_ieee_div_zero 0
		.amdhsa_exception_fp_ieee_overflow 0
		.amdhsa_exception_fp_ieee_underflow 0
		.amdhsa_exception_fp_ieee_inexact 0
		.amdhsa_exception_int_div_zero 0
	.end_amdhsa_kernel
	.section	.text._ZN7rocprim17ROCPRIM_400000_NS6detail17trampoline_kernelINS0_14default_configENS1_25partition_config_selectorILNS1_17partition_subalgoE8ElNS0_10empty_typeEbEEZZNS1_14partition_implILS5_8ELb0ES3_jPlPS6_PKS6_NS0_5tupleIJS9_S6_EEENSD_IJSA_SA_EEENS0_18inequality_wrapperIZN2at6native12_GLOBAL__N_124unique_dim_cuda_templateIjEESt5tupleIJNSH_6TensorESM_SM_EERKSM_lbbbEUlllE0_EEPmJS6_EEE10hipError_tPvRmT3_T4_T5_T6_T7_T9_mT8_P12ihipStream_tbDpT10_ENKUlT_T0_E_clISt17integral_constantIbLb1EES1C_EEDaS17_S18_EUlS17_E_NS1_11comp_targetILNS1_3genE9ELNS1_11target_archE1100ELNS1_3gpuE3ELNS1_3repE0EEENS1_30default_config_static_selectorELNS0_4arch9wavefront6targetE1EEEvT1_,"axG",@progbits,_ZN7rocprim17ROCPRIM_400000_NS6detail17trampoline_kernelINS0_14default_configENS1_25partition_config_selectorILNS1_17partition_subalgoE8ElNS0_10empty_typeEbEEZZNS1_14partition_implILS5_8ELb0ES3_jPlPS6_PKS6_NS0_5tupleIJS9_S6_EEENSD_IJSA_SA_EEENS0_18inequality_wrapperIZN2at6native12_GLOBAL__N_124unique_dim_cuda_templateIjEESt5tupleIJNSH_6TensorESM_SM_EERKSM_lbbbEUlllE0_EEPmJS6_EEE10hipError_tPvRmT3_T4_T5_T6_T7_T9_mT8_P12ihipStream_tbDpT10_ENKUlT_T0_E_clISt17integral_constantIbLb1EES1C_EEDaS17_S18_EUlS17_E_NS1_11comp_targetILNS1_3genE9ELNS1_11target_archE1100ELNS1_3gpuE3ELNS1_3repE0EEENS1_30default_config_static_selectorELNS0_4arch9wavefront6targetE1EEEvT1_,comdat
.Lfunc_end1553:
	.size	_ZN7rocprim17ROCPRIM_400000_NS6detail17trampoline_kernelINS0_14default_configENS1_25partition_config_selectorILNS1_17partition_subalgoE8ElNS0_10empty_typeEbEEZZNS1_14partition_implILS5_8ELb0ES3_jPlPS6_PKS6_NS0_5tupleIJS9_S6_EEENSD_IJSA_SA_EEENS0_18inequality_wrapperIZN2at6native12_GLOBAL__N_124unique_dim_cuda_templateIjEESt5tupleIJNSH_6TensorESM_SM_EERKSM_lbbbEUlllE0_EEPmJS6_EEE10hipError_tPvRmT3_T4_T5_T6_T7_T9_mT8_P12ihipStream_tbDpT10_ENKUlT_T0_E_clISt17integral_constantIbLb1EES1C_EEDaS17_S18_EUlS17_E_NS1_11comp_targetILNS1_3genE9ELNS1_11target_archE1100ELNS1_3gpuE3ELNS1_3repE0EEENS1_30default_config_static_selectorELNS0_4arch9wavefront6targetE1EEEvT1_, .Lfunc_end1553-_ZN7rocprim17ROCPRIM_400000_NS6detail17trampoline_kernelINS0_14default_configENS1_25partition_config_selectorILNS1_17partition_subalgoE8ElNS0_10empty_typeEbEEZZNS1_14partition_implILS5_8ELb0ES3_jPlPS6_PKS6_NS0_5tupleIJS9_S6_EEENSD_IJSA_SA_EEENS0_18inequality_wrapperIZN2at6native12_GLOBAL__N_124unique_dim_cuda_templateIjEESt5tupleIJNSH_6TensorESM_SM_EERKSM_lbbbEUlllE0_EEPmJS6_EEE10hipError_tPvRmT3_T4_T5_T6_T7_T9_mT8_P12ihipStream_tbDpT10_ENKUlT_T0_E_clISt17integral_constantIbLb1EES1C_EEDaS17_S18_EUlS17_E_NS1_11comp_targetILNS1_3genE9ELNS1_11target_archE1100ELNS1_3gpuE3ELNS1_3repE0EEENS1_30default_config_static_selectorELNS0_4arch9wavefront6targetE1EEEvT1_
                                        ; -- End function
	.section	.AMDGPU.csdata,"",@progbits
; Kernel info:
; codeLenInByte = 0
; NumSgprs: 4
; NumVgprs: 0
; NumAgprs: 0
; TotalNumVgprs: 0
; ScratchSize: 0
; MemoryBound: 0
; FloatMode: 240
; IeeeMode: 1
; LDSByteSize: 0 bytes/workgroup (compile time only)
; SGPRBlocks: 0
; VGPRBlocks: 0
; NumSGPRsForWavesPerEU: 4
; NumVGPRsForWavesPerEU: 1
; AccumOffset: 4
; Occupancy: 8
; WaveLimiterHint : 0
; COMPUTE_PGM_RSRC2:SCRATCH_EN: 0
; COMPUTE_PGM_RSRC2:USER_SGPR: 6
; COMPUTE_PGM_RSRC2:TRAP_HANDLER: 0
; COMPUTE_PGM_RSRC2:TGID_X_EN: 1
; COMPUTE_PGM_RSRC2:TGID_Y_EN: 0
; COMPUTE_PGM_RSRC2:TGID_Z_EN: 0
; COMPUTE_PGM_RSRC2:TIDIG_COMP_CNT: 0
; COMPUTE_PGM_RSRC3_GFX90A:ACCUM_OFFSET: 0
; COMPUTE_PGM_RSRC3_GFX90A:TG_SPLIT: 0
	.section	.text._ZN7rocprim17ROCPRIM_400000_NS6detail17trampoline_kernelINS0_14default_configENS1_25partition_config_selectorILNS1_17partition_subalgoE8ElNS0_10empty_typeEbEEZZNS1_14partition_implILS5_8ELb0ES3_jPlPS6_PKS6_NS0_5tupleIJS9_S6_EEENSD_IJSA_SA_EEENS0_18inequality_wrapperIZN2at6native12_GLOBAL__N_124unique_dim_cuda_templateIjEESt5tupleIJNSH_6TensorESM_SM_EERKSM_lbbbEUlllE0_EEPmJS6_EEE10hipError_tPvRmT3_T4_T5_T6_T7_T9_mT8_P12ihipStream_tbDpT10_ENKUlT_T0_E_clISt17integral_constantIbLb1EES1C_EEDaS17_S18_EUlS17_E_NS1_11comp_targetILNS1_3genE8ELNS1_11target_archE1030ELNS1_3gpuE2ELNS1_3repE0EEENS1_30default_config_static_selectorELNS0_4arch9wavefront6targetE1EEEvT1_,"axG",@progbits,_ZN7rocprim17ROCPRIM_400000_NS6detail17trampoline_kernelINS0_14default_configENS1_25partition_config_selectorILNS1_17partition_subalgoE8ElNS0_10empty_typeEbEEZZNS1_14partition_implILS5_8ELb0ES3_jPlPS6_PKS6_NS0_5tupleIJS9_S6_EEENSD_IJSA_SA_EEENS0_18inequality_wrapperIZN2at6native12_GLOBAL__N_124unique_dim_cuda_templateIjEESt5tupleIJNSH_6TensorESM_SM_EERKSM_lbbbEUlllE0_EEPmJS6_EEE10hipError_tPvRmT3_T4_T5_T6_T7_T9_mT8_P12ihipStream_tbDpT10_ENKUlT_T0_E_clISt17integral_constantIbLb1EES1C_EEDaS17_S18_EUlS17_E_NS1_11comp_targetILNS1_3genE8ELNS1_11target_archE1030ELNS1_3gpuE2ELNS1_3repE0EEENS1_30default_config_static_selectorELNS0_4arch9wavefront6targetE1EEEvT1_,comdat
	.globl	_ZN7rocprim17ROCPRIM_400000_NS6detail17trampoline_kernelINS0_14default_configENS1_25partition_config_selectorILNS1_17partition_subalgoE8ElNS0_10empty_typeEbEEZZNS1_14partition_implILS5_8ELb0ES3_jPlPS6_PKS6_NS0_5tupleIJS9_S6_EEENSD_IJSA_SA_EEENS0_18inequality_wrapperIZN2at6native12_GLOBAL__N_124unique_dim_cuda_templateIjEESt5tupleIJNSH_6TensorESM_SM_EERKSM_lbbbEUlllE0_EEPmJS6_EEE10hipError_tPvRmT3_T4_T5_T6_T7_T9_mT8_P12ihipStream_tbDpT10_ENKUlT_T0_E_clISt17integral_constantIbLb1EES1C_EEDaS17_S18_EUlS17_E_NS1_11comp_targetILNS1_3genE8ELNS1_11target_archE1030ELNS1_3gpuE2ELNS1_3repE0EEENS1_30default_config_static_selectorELNS0_4arch9wavefront6targetE1EEEvT1_ ; -- Begin function _ZN7rocprim17ROCPRIM_400000_NS6detail17trampoline_kernelINS0_14default_configENS1_25partition_config_selectorILNS1_17partition_subalgoE8ElNS0_10empty_typeEbEEZZNS1_14partition_implILS5_8ELb0ES3_jPlPS6_PKS6_NS0_5tupleIJS9_S6_EEENSD_IJSA_SA_EEENS0_18inequality_wrapperIZN2at6native12_GLOBAL__N_124unique_dim_cuda_templateIjEESt5tupleIJNSH_6TensorESM_SM_EERKSM_lbbbEUlllE0_EEPmJS6_EEE10hipError_tPvRmT3_T4_T5_T6_T7_T9_mT8_P12ihipStream_tbDpT10_ENKUlT_T0_E_clISt17integral_constantIbLb1EES1C_EEDaS17_S18_EUlS17_E_NS1_11comp_targetILNS1_3genE8ELNS1_11target_archE1030ELNS1_3gpuE2ELNS1_3repE0EEENS1_30default_config_static_selectorELNS0_4arch9wavefront6targetE1EEEvT1_
	.p2align	8
	.type	_ZN7rocprim17ROCPRIM_400000_NS6detail17trampoline_kernelINS0_14default_configENS1_25partition_config_selectorILNS1_17partition_subalgoE8ElNS0_10empty_typeEbEEZZNS1_14partition_implILS5_8ELb0ES3_jPlPS6_PKS6_NS0_5tupleIJS9_S6_EEENSD_IJSA_SA_EEENS0_18inequality_wrapperIZN2at6native12_GLOBAL__N_124unique_dim_cuda_templateIjEESt5tupleIJNSH_6TensorESM_SM_EERKSM_lbbbEUlllE0_EEPmJS6_EEE10hipError_tPvRmT3_T4_T5_T6_T7_T9_mT8_P12ihipStream_tbDpT10_ENKUlT_T0_E_clISt17integral_constantIbLb1EES1C_EEDaS17_S18_EUlS17_E_NS1_11comp_targetILNS1_3genE8ELNS1_11target_archE1030ELNS1_3gpuE2ELNS1_3repE0EEENS1_30default_config_static_selectorELNS0_4arch9wavefront6targetE1EEEvT1_,@function
_ZN7rocprim17ROCPRIM_400000_NS6detail17trampoline_kernelINS0_14default_configENS1_25partition_config_selectorILNS1_17partition_subalgoE8ElNS0_10empty_typeEbEEZZNS1_14partition_implILS5_8ELb0ES3_jPlPS6_PKS6_NS0_5tupleIJS9_S6_EEENSD_IJSA_SA_EEENS0_18inequality_wrapperIZN2at6native12_GLOBAL__N_124unique_dim_cuda_templateIjEESt5tupleIJNSH_6TensorESM_SM_EERKSM_lbbbEUlllE0_EEPmJS6_EEE10hipError_tPvRmT3_T4_T5_T6_T7_T9_mT8_P12ihipStream_tbDpT10_ENKUlT_T0_E_clISt17integral_constantIbLb1EES1C_EEDaS17_S18_EUlS17_E_NS1_11comp_targetILNS1_3genE8ELNS1_11target_archE1030ELNS1_3gpuE2ELNS1_3repE0EEENS1_30default_config_static_selectorELNS0_4arch9wavefront6targetE1EEEvT1_: ; @_ZN7rocprim17ROCPRIM_400000_NS6detail17trampoline_kernelINS0_14default_configENS1_25partition_config_selectorILNS1_17partition_subalgoE8ElNS0_10empty_typeEbEEZZNS1_14partition_implILS5_8ELb0ES3_jPlPS6_PKS6_NS0_5tupleIJS9_S6_EEENSD_IJSA_SA_EEENS0_18inequality_wrapperIZN2at6native12_GLOBAL__N_124unique_dim_cuda_templateIjEESt5tupleIJNSH_6TensorESM_SM_EERKSM_lbbbEUlllE0_EEPmJS6_EEE10hipError_tPvRmT3_T4_T5_T6_T7_T9_mT8_P12ihipStream_tbDpT10_ENKUlT_T0_E_clISt17integral_constantIbLb1EES1C_EEDaS17_S18_EUlS17_E_NS1_11comp_targetILNS1_3genE8ELNS1_11target_archE1030ELNS1_3gpuE2ELNS1_3repE0EEENS1_30default_config_static_selectorELNS0_4arch9wavefront6targetE1EEEvT1_
; %bb.0:
	.section	.rodata,"a",@progbits
	.p2align	6, 0x0
	.amdhsa_kernel _ZN7rocprim17ROCPRIM_400000_NS6detail17trampoline_kernelINS0_14default_configENS1_25partition_config_selectorILNS1_17partition_subalgoE8ElNS0_10empty_typeEbEEZZNS1_14partition_implILS5_8ELb0ES3_jPlPS6_PKS6_NS0_5tupleIJS9_S6_EEENSD_IJSA_SA_EEENS0_18inequality_wrapperIZN2at6native12_GLOBAL__N_124unique_dim_cuda_templateIjEESt5tupleIJNSH_6TensorESM_SM_EERKSM_lbbbEUlllE0_EEPmJS6_EEE10hipError_tPvRmT3_T4_T5_T6_T7_T9_mT8_P12ihipStream_tbDpT10_ENKUlT_T0_E_clISt17integral_constantIbLb1EES1C_EEDaS17_S18_EUlS17_E_NS1_11comp_targetILNS1_3genE8ELNS1_11target_archE1030ELNS1_3gpuE2ELNS1_3repE0EEENS1_30default_config_static_selectorELNS0_4arch9wavefront6targetE1EEEvT1_
		.amdhsa_group_segment_fixed_size 0
		.amdhsa_private_segment_fixed_size 0
		.amdhsa_kernarg_size 136
		.amdhsa_user_sgpr_count 6
		.amdhsa_user_sgpr_private_segment_buffer 1
		.amdhsa_user_sgpr_dispatch_ptr 0
		.amdhsa_user_sgpr_queue_ptr 0
		.amdhsa_user_sgpr_kernarg_segment_ptr 1
		.amdhsa_user_sgpr_dispatch_id 0
		.amdhsa_user_sgpr_flat_scratch_init 0
		.amdhsa_user_sgpr_kernarg_preload_length 0
		.amdhsa_user_sgpr_kernarg_preload_offset 0
		.amdhsa_user_sgpr_private_segment_size 0
		.amdhsa_uses_dynamic_stack 0
		.amdhsa_system_sgpr_private_segment_wavefront_offset 0
		.amdhsa_system_sgpr_workgroup_id_x 1
		.amdhsa_system_sgpr_workgroup_id_y 0
		.amdhsa_system_sgpr_workgroup_id_z 0
		.amdhsa_system_sgpr_workgroup_info 0
		.amdhsa_system_vgpr_workitem_id 0
		.amdhsa_next_free_vgpr 1
		.amdhsa_next_free_sgpr 0
		.amdhsa_accum_offset 4
		.amdhsa_reserve_vcc 0
		.amdhsa_reserve_flat_scratch 0
		.amdhsa_float_round_mode_32 0
		.amdhsa_float_round_mode_16_64 0
		.amdhsa_float_denorm_mode_32 3
		.amdhsa_float_denorm_mode_16_64 3
		.amdhsa_dx10_clamp 1
		.amdhsa_ieee_mode 1
		.amdhsa_fp16_overflow 0
		.amdhsa_tg_split 0
		.amdhsa_exception_fp_ieee_invalid_op 0
		.amdhsa_exception_fp_denorm_src 0
		.amdhsa_exception_fp_ieee_div_zero 0
		.amdhsa_exception_fp_ieee_overflow 0
		.amdhsa_exception_fp_ieee_underflow 0
		.amdhsa_exception_fp_ieee_inexact 0
		.amdhsa_exception_int_div_zero 0
	.end_amdhsa_kernel
	.section	.text._ZN7rocprim17ROCPRIM_400000_NS6detail17trampoline_kernelINS0_14default_configENS1_25partition_config_selectorILNS1_17partition_subalgoE8ElNS0_10empty_typeEbEEZZNS1_14partition_implILS5_8ELb0ES3_jPlPS6_PKS6_NS0_5tupleIJS9_S6_EEENSD_IJSA_SA_EEENS0_18inequality_wrapperIZN2at6native12_GLOBAL__N_124unique_dim_cuda_templateIjEESt5tupleIJNSH_6TensorESM_SM_EERKSM_lbbbEUlllE0_EEPmJS6_EEE10hipError_tPvRmT3_T4_T5_T6_T7_T9_mT8_P12ihipStream_tbDpT10_ENKUlT_T0_E_clISt17integral_constantIbLb1EES1C_EEDaS17_S18_EUlS17_E_NS1_11comp_targetILNS1_3genE8ELNS1_11target_archE1030ELNS1_3gpuE2ELNS1_3repE0EEENS1_30default_config_static_selectorELNS0_4arch9wavefront6targetE1EEEvT1_,"axG",@progbits,_ZN7rocprim17ROCPRIM_400000_NS6detail17trampoline_kernelINS0_14default_configENS1_25partition_config_selectorILNS1_17partition_subalgoE8ElNS0_10empty_typeEbEEZZNS1_14partition_implILS5_8ELb0ES3_jPlPS6_PKS6_NS0_5tupleIJS9_S6_EEENSD_IJSA_SA_EEENS0_18inequality_wrapperIZN2at6native12_GLOBAL__N_124unique_dim_cuda_templateIjEESt5tupleIJNSH_6TensorESM_SM_EERKSM_lbbbEUlllE0_EEPmJS6_EEE10hipError_tPvRmT3_T4_T5_T6_T7_T9_mT8_P12ihipStream_tbDpT10_ENKUlT_T0_E_clISt17integral_constantIbLb1EES1C_EEDaS17_S18_EUlS17_E_NS1_11comp_targetILNS1_3genE8ELNS1_11target_archE1030ELNS1_3gpuE2ELNS1_3repE0EEENS1_30default_config_static_selectorELNS0_4arch9wavefront6targetE1EEEvT1_,comdat
.Lfunc_end1554:
	.size	_ZN7rocprim17ROCPRIM_400000_NS6detail17trampoline_kernelINS0_14default_configENS1_25partition_config_selectorILNS1_17partition_subalgoE8ElNS0_10empty_typeEbEEZZNS1_14partition_implILS5_8ELb0ES3_jPlPS6_PKS6_NS0_5tupleIJS9_S6_EEENSD_IJSA_SA_EEENS0_18inequality_wrapperIZN2at6native12_GLOBAL__N_124unique_dim_cuda_templateIjEESt5tupleIJNSH_6TensorESM_SM_EERKSM_lbbbEUlllE0_EEPmJS6_EEE10hipError_tPvRmT3_T4_T5_T6_T7_T9_mT8_P12ihipStream_tbDpT10_ENKUlT_T0_E_clISt17integral_constantIbLb1EES1C_EEDaS17_S18_EUlS17_E_NS1_11comp_targetILNS1_3genE8ELNS1_11target_archE1030ELNS1_3gpuE2ELNS1_3repE0EEENS1_30default_config_static_selectorELNS0_4arch9wavefront6targetE1EEEvT1_, .Lfunc_end1554-_ZN7rocprim17ROCPRIM_400000_NS6detail17trampoline_kernelINS0_14default_configENS1_25partition_config_selectorILNS1_17partition_subalgoE8ElNS0_10empty_typeEbEEZZNS1_14partition_implILS5_8ELb0ES3_jPlPS6_PKS6_NS0_5tupleIJS9_S6_EEENSD_IJSA_SA_EEENS0_18inequality_wrapperIZN2at6native12_GLOBAL__N_124unique_dim_cuda_templateIjEESt5tupleIJNSH_6TensorESM_SM_EERKSM_lbbbEUlllE0_EEPmJS6_EEE10hipError_tPvRmT3_T4_T5_T6_T7_T9_mT8_P12ihipStream_tbDpT10_ENKUlT_T0_E_clISt17integral_constantIbLb1EES1C_EEDaS17_S18_EUlS17_E_NS1_11comp_targetILNS1_3genE8ELNS1_11target_archE1030ELNS1_3gpuE2ELNS1_3repE0EEENS1_30default_config_static_selectorELNS0_4arch9wavefront6targetE1EEEvT1_
                                        ; -- End function
	.section	.AMDGPU.csdata,"",@progbits
; Kernel info:
; codeLenInByte = 0
; NumSgprs: 4
; NumVgprs: 0
; NumAgprs: 0
; TotalNumVgprs: 0
; ScratchSize: 0
; MemoryBound: 0
; FloatMode: 240
; IeeeMode: 1
; LDSByteSize: 0 bytes/workgroup (compile time only)
; SGPRBlocks: 0
; VGPRBlocks: 0
; NumSGPRsForWavesPerEU: 4
; NumVGPRsForWavesPerEU: 1
; AccumOffset: 4
; Occupancy: 8
; WaveLimiterHint : 0
; COMPUTE_PGM_RSRC2:SCRATCH_EN: 0
; COMPUTE_PGM_RSRC2:USER_SGPR: 6
; COMPUTE_PGM_RSRC2:TRAP_HANDLER: 0
; COMPUTE_PGM_RSRC2:TGID_X_EN: 1
; COMPUTE_PGM_RSRC2:TGID_Y_EN: 0
; COMPUTE_PGM_RSRC2:TGID_Z_EN: 0
; COMPUTE_PGM_RSRC2:TIDIG_COMP_CNT: 0
; COMPUTE_PGM_RSRC3_GFX90A:ACCUM_OFFSET: 0
; COMPUTE_PGM_RSRC3_GFX90A:TG_SPLIT: 0
	.section	.text._ZN7rocprim17ROCPRIM_400000_NS6detail17trampoline_kernelINS0_14default_configENS1_25partition_config_selectorILNS1_17partition_subalgoE8ElNS0_10empty_typeEbEEZZNS1_14partition_implILS5_8ELb0ES3_jPlPS6_PKS6_NS0_5tupleIJS9_S6_EEENSD_IJSA_SA_EEENS0_18inequality_wrapperIZN2at6native12_GLOBAL__N_124unique_dim_cuda_templateIjEESt5tupleIJNSH_6TensorESM_SM_EERKSM_lbbbEUlllE0_EEPmJS6_EEE10hipError_tPvRmT3_T4_T5_T6_T7_T9_mT8_P12ihipStream_tbDpT10_ENKUlT_T0_E_clISt17integral_constantIbLb1EES1B_IbLb0EEEEDaS17_S18_EUlS17_E_NS1_11comp_targetILNS1_3genE0ELNS1_11target_archE4294967295ELNS1_3gpuE0ELNS1_3repE0EEENS1_30default_config_static_selectorELNS0_4arch9wavefront6targetE1EEEvT1_,"axG",@progbits,_ZN7rocprim17ROCPRIM_400000_NS6detail17trampoline_kernelINS0_14default_configENS1_25partition_config_selectorILNS1_17partition_subalgoE8ElNS0_10empty_typeEbEEZZNS1_14partition_implILS5_8ELb0ES3_jPlPS6_PKS6_NS0_5tupleIJS9_S6_EEENSD_IJSA_SA_EEENS0_18inequality_wrapperIZN2at6native12_GLOBAL__N_124unique_dim_cuda_templateIjEESt5tupleIJNSH_6TensorESM_SM_EERKSM_lbbbEUlllE0_EEPmJS6_EEE10hipError_tPvRmT3_T4_T5_T6_T7_T9_mT8_P12ihipStream_tbDpT10_ENKUlT_T0_E_clISt17integral_constantIbLb1EES1B_IbLb0EEEEDaS17_S18_EUlS17_E_NS1_11comp_targetILNS1_3genE0ELNS1_11target_archE4294967295ELNS1_3gpuE0ELNS1_3repE0EEENS1_30default_config_static_selectorELNS0_4arch9wavefront6targetE1EEEvT1_,comdat
	.globl	_ZN7rocprim17ROCPRIM_400000_NS6detail17trampoline_kernelINS0_14default_configENS1_25partition_config_selectorILNS1_17partition_subalgoE8ElNS0_10empty_typeEbEEZZNS1_14partition_implILS5_8ELb0ES3_jPlPS6_PKS6_NS0_5tupleIJS9_S6_EEENSD_IJSA_SA_EEENS0_18inequality_wrapperIZN2at6native12_GLOBAL__N_124unique_dim_cuda_templateIjEESt5tupleIJNSH_6TensorESM_SM_EERKSM_lbbbEUlllE0_EEPmJS6_EEE10hipError_tPvRmT3_T4_T5_T6_T7_T9_mT8_P12ihipStream_tbDpT10_ENKUlT_T0_E_clISt17integral_constantIbLb1EES1B_IbLb0EEEEDaS17_S18_EUlS17_E_NS1_11comp_targetILNS1_3genE0ELNS1_11target_archE4294967295ELNS1_3gpuE0ELNS1_3repE0EEENS1_30default_config_static_selectorELNS0_4arch9wavefront6targetE1EEEvT1_ ; -- Begin function _ZN7rocprim17ROCPRIM_400000_NS6detail17trampoline_kernelINS0_14default_configENS1_25partition_config_selectorILNS1_17partition_subalgoE8ElNS0_10empty_typeEbEEZZNS1_14partition_implILS5_8ELb0ES3_jPlPS6_PKS6_NS0_5tupleIJS9_S6_EEENSD_IJSA_SA_EEENS0_18inequality_wrapperIZN2at6native12_GLOBAL__N_124unique_dim_cuda_templateIjEESt5tupleIJNSH_6TensorESM_SM_EERKSM_lbbbEUlllE0_EEPmJS6_EEE10hipError_tPvRmT3_T4_T5_T6_T7_T9_mT8_P12ihipStream_tbDpT10_ENKUlT_T0_E_clISt17integral_constantIbLb1EES1B_IbLb0EEEEDaS17_S18_EUlS17_E_NS1_11comp_targetILNS1_3genE0ELNS1_11target_archE4294967295ELNS1_3gpuE0ELNS1_3repE0EEENS1_30default_config_static_selectorELNS0_4arch9wavefront6targetE1EEEvT1_
	.p2align	8
	.type	_ZN7rocprim17ROCPRIM_400000_NS6detail17trampoline_kernelINS0_14default_configENS1_25partition_config_selectorILNS1_17partition_subalgoE8ElNS0_10empty_typeEbEEZZNS1_14partition_implILS5_8ELb0ES3_jPlPS6_PKS6_NS0_5tupleIJS9_S6_EEENSD_IJSA_SA_EEENS0_18inequality_wrapperIZN2at6native12_GLOBAL__N_124unique_dim_cuda_templateIjEESt5tupleIJNSH_6TensorESM_SM_EERKSM_lbbbEUlllE0_EEPmJS6_EEE10hipError_tPvRmT3_T4_T5_T6_T7_T9_mT8_P12ihipStream_tbDpT10_ENKUlT_T0_E_clISt17integral_constantIbLb1EES1B_IbLb0EEEEDaS17_S18_EUlS17_E_NS1_11comp_targetILNS1_3genE0ELNS1_11target_archE4294967295ELNS1_3gpuE0ELNS1_3repE0EEENS1_30default_config_static_selectorELNS0_4arch9wavefront6targetE1EEEvT1_,@function
_ZN7rocprim17ROCPRIM_400000_NS6detail17trampoline_kernelINS0_14default_configENS1_25partition_config_selectorILNS1_17partition_subalgoE8ElNS0_10empty_typeEbEEZZNS1_14partition_implILS5_8ELb0ES3_jPlPS6_PKS6_NS0_5tupleIJS9_S6_EEENSD_IJSA_SA_EEENS0_18inequality_wrapperIZN2at6native12_GLOBAL__N_124unique_dim_cuda_templateIjEESt5tupleIJNSH_6TensorESM_SM_EERKSM_lbbbEUlllE0_EEPmJS6_EEE10hipError_tPvRmT3_T4_T5_T6_T7_T9_mT8_P12ihipStream_tbDpT10_ENKUlT_T0_E_clISt17integral_constantIbLb1EES1B_IbLb0EEEEDaS17_S18_EUlS17_E_NS1_11comp_targetILNS1_3genE0ELNS1_11target_archE4294967295ELNS1_3gpuE0ELNS1_3repE0EEENS1_30default_config_static_selectorELNS0_4arch9wavefront6targetE1EEEvT1_: ; @_ZN7rocprim17ROCPRIM_400000_NS6detail17trampoline_kernelINS0_14default_configENS1_25partition_config_selectorILNS1_17partition_subalgoE8ElNS0_10empty_typeEbEEZZNS1_14partition_implILS5_8ELb0ES3_jPlPS6_PKS6_NS0_5tupleIJS9_S6_EEENSD_IJSA_SA_EEENS0_18inequality_wrapperIZN2at6native12_GLOBAL__N_124unique_dim_cuda_templateIjEESt5tupleIJNSH_6TensorESM_SM_EERKSM_lbbbEUlllE0_EEPmJS6_EEE10hipError_tPvRmT3_T4_T5_T6_T7_T9_mT8_P12ihipStream_tbDpT10_ENKUlT_T0_E_clISt17integral_constantIbLb1EES1B_IbLb0EEEEDaS17_S18_EUlS17_E_NS1_11comp_targetILNS1_3genE0ELNS1_11target_archE4294967295ELNS1_3gpuE0ELNS1_3repE0EEENS1_30default_config_static_selectorELNS0_4arch9wavefront6targetE1EEEvT1_
; %bb.0:
	.section	.rodata,"a",@progbits
	.p2align	6, 0x0
	.amdhsa_kernel _ZN7rocprim17ROCPRIM_400000_NS6detail17trampoline_kernelINS0_14default_configENS1_25partition_config_selectorILNS1_17partition_subalgoE8ElNS0_10empty_typeEbEEZZNS1_14partition_implILS5_8ELb0ES3_jPlPS6_PKS6_NS0_5tupleIJS9_S6_EEENSD_IJSA_SA_EEENS0_18inequality_wrapperIZN2at6native12_GLOBAL__N_124unique_dim_cuda_templateIjEESt5tupleIJNSH_6TensorESM_SM_EERKSM_lbbbEUlllE0_EEPmJS6_EEE10hipError_tPvRmT3_T4_T5_T6_T7_T9_mT8_P12ihipStream_tbDpT10_ENKUlT_T0_E_clISt17integral_constantIbLb1EES1B_IbLb0EEEEDaS17_S18_EUlS17_E_NS1_11comp_targetILNS1_3genE0ELNS1_11target_archE4294967295ELNS1_3gpuE0ELNS1_3repE0EEENS1_30default_config_static_selectorELNS0_4arch9wavefront6targetE1EEEvT1_
		.amdhsa_group_segment_fixed_size 0
		.amdhsa_private_segment_fixed_size 0
		.amdhsa_kernarg_size 120
		.amdhsa_user_sgpr_count 6
		.amdhsa_user_sgpr_private_segment_buffer 1
		.amdhsa_user_sgpr_dispatch_ptr 0
		.amdhsa_user_sgpr_queue_ptr 0
		.amdhsa_user_sgpr_kernarg_segment_ptr 1
		.amdhsa_user_sgpr_dispatch_id 0
		.amdhsa_user_sgpr_flat_scratch_init 0
		.amdhsa_user_sgpr_kernarg_preload_length 0
		.amdhsa_user_sgpr_kernarg_preload_offset 0
		.amdhsa_user_sgpr_private_segment_size 0
		.amdhsa_uses_dynamic_stack 0
		.amdhsa_system_sgpr_private_segment_wavefront_offset 0
		.amdhsa_system_sgpr_workgroup_id_x 1
		.amdhsa_system_sgpr_workgroup_id_y 0
		.amdhsa_system_sgpr_workgroup_id_z 0
		.amdhsa_system_sgpr_workgroup_info 0
		.amdhsa_system_vgpr_workitem_id 0
		.amdhsa_next_free_vgpr 1
		.amdhsa_next_free_sgpr 0
		.amdhsa_accum_offset 4
		.amdhsa_reserve_vcc 0
		.amdhsa_reserve_flat_scratch 0
		.amdhsa_float_round_mode_32 0
		.amdhsa_float_round_mode_16_64 0
		.amdhsa_float_denorm_mode_32 3
		.amdhsa_float_denorm_mode_16_64 3
		.amdhsa_dx10_clamp 1
		.amdhsa_ieee_mode 1
		.amdhsa_fp16_overflow 0
		.amdhsa_tg_split 0
		.amdhsa_exception_fp_ieee_invalid_op 0
		.amdhsa_exception_fp_denorm_src 0
		.amdhsa_exception_fp_ieee_div_zero 0
		.amdhsa_exception_fp_ieee_overflow 0
		.amdhsa_exception_fp_ieee_underflow 0
		.amdhsa_exception_fp_ieee_inexact 0
		.amdhsa_exception_int_div_zero 0
	.end_amdhsa_kernel
	.section	.text._ZN7rocprim17ROCPRIM_400000_NS6detail17trampoline_kernelINS0_14default_configENS1_25partition_config_selectorILNS1_17partition_subalgoE8ElNS0_10empty_typeEbEEZZNS1_14partition_implILS5_8ELb0ES3_jPlPS6_PKS6_NS0_5tupleIJS9_S6_EEENSD_IJSA_SA_EEENS0_18inequality_wrapperIZN2at6native12_GLOBAL__N_124unique_dim_cuda_templateIjEESt5tupleIJNSH_6TensorESM_SM_EERKSM_lbbbEUlllE0_EEPmJS6_EEE10hipError_tPvRmT3_T4_T5_T6_T7_T9_mT8_P12ihipStream_tbDpT10_ENKUlT_T0_E_clISt17integral_constantIbLb1EES1B_IbLb0EEEEDaS17_S18_EUlS17_E_NS1_11comp_targetILNS1_3genE0ELNS1_11target_archE4294967295ELNS1_3gpuE0ELNS1_3repE0EEENS1_30default_config_static_selectorELNS0_4arch9wavefront6targetE1EEEvT1_,"axG",@progbits,_ZN7rocprim17ROCPRIM_400000_NS6detail17trampoline_kernelINS0_14default_configENS1_25partition_config_selectorILNS1_17partition_subalgoE8ElNS0_10empty_typeEbEEZZNS1_14partition_implILS5_8ELb0ES3_jPlPS6_PKS6_NS0_5tupleIJS9_S6_EEENSD_IJSA_SA_EEENS0_18inequality_wrapperIZN2at6native12_GLOBAL__N_124unique_dim_cuda_templateIjEESt5tupleIJNSH_6TensorESM_SM_EERKSM_lbbbEUlllE0_EEPmJS6_EEE10hipError_tPvRmT3_T4_T5_T6_T7_T9_mT8_P12ihipStream_tbDpT10_ENKUlT_T0_E_clISt17integral_constantIbLb1EES1B_IbLb0EEEEDaS17_S18_EUlS17_E_NS1_11comp_targetILNS1_3genE0ELNS1_11target_archE4294967295ELNS1_3gpuE0ELNS1_3repE0EEENS1_30default_config_static_selectorELNS0_4arch9wavefront6targetE1EEEvT1_,comdat
.Lfunc_end1555:
	.size	_ZN7rocprim17ROCPRIM_400000_NS6detail17trampoline_kernelINS0_14default_configENS1_25partition_config_selectorILNS1_17partition_subalgoE8ElNS0_10empty_typeEbEEZZNS1_14partition_implILS5_8ELb0ES3_jPlPS6_PKS6_NS0_5tupleIJS9_S6_EEENSD_IJSA_SA_EEENS0_18inequality_wrapperIZN2at6native12_GLOBAL__N_124unique_dim_cuda_templateIjEESt5tupleIJNSH_6TensorESM_SM_EERKSM_lbbbEUlllE0_EEPmJS6_EEE10hipError_tPvRmT3_T4_T5_T6_T7_T9_mT8_P12ihipStream_tbDpT10_ENKUlT_T0_E_clISt17integral_constantIbLb1EES1B_IbLb0EEEEDaS17_S18_EUlS17_E_NS1_11comp_targetILNS1_3genE0ELNS1_11target_archE4294967295ELNS1_3gpuE0ELNS1_3repE0EEENS1_30default_config_static_selectorELNS0_4arch9wavefront6targetE1EEEvT1_, .Lfunc_end1555-_ZN7rocprim17ROCPRIM_400000_NS6detail17trampoline_kernelINS0_14default_configENS1_25partition_config_selectorILNS1_17partition_subalgoE8ElNS0_10empty_typeEbEEZZNS1_14partition_implILS5_8ELb0ES3_jPlPS6_PKS6_NS0_5tupleIJS9_S6_EEENSD_IJSA_SA_EEENS0_18inequality_wrapperIZN2at6native12_GLOBAL__N_124unique_dim_cuda_templateIjEESt5tupleIJNSH_6TensorESM_SM_EERKSM_lbbbEUlllE0_EEPmJS6_EEE10hipError_tPvRmT3_T4_T5_T6_T7_T9_mT8_P12ihipStream_tbDpT10_ENKUlT_T0_E_clISt17integral_constantIbLb1EES1B_IbLb0EEEEDaS17_S18_EUlS17_E_NS1_11comp_targetILNS1_3genE0ELNS1_11target_archE4294967295ELNS1_3gpuE0ELNS1_3repE0EEENS1_30default_config_static_selectorELNS0_4arch9wavefront6targetE1EEEvT1_
                                        ; -- End function
	.section	.AMDGPU.csdata,"",@progbits
; Kernel info:
; codeLenInByte = 0
; NumSgprs: 4
; NumVgprs: 0
; NumAgprs: 0
; TotalNumVgprs: 0
; ScratchSize: 0
; MemoryBound: 0
; FloatMode: 240
; IeeeMode: 1
; LDSByteSize: 0 bytes/workgroup (compile time only)
; SGPRBlocks: 0
; VGPRBlocks: 0
; NumSGPRsForWavesPerEU: 4
; NumVGPRsForWavesPerEU: 1
; AccumOffset: 4
; Occupancy: 8
; WaveLimiterHint : 0
; COMPUTE_PGM_RSRC2:SCRATCH_EN: 0
; COMPUTE_PGM_RSRC2:USER_SGPR: 6
; COMPUTE_PGM_RSRC2:TRAP_HANDLER: 0
; COMPUTE_PGM_RSRC2:TGID_X_EN: 1
; COMPUTE_PGM_RSRC2:TGID_Y_EN: 0
; COMPUTE_PGM_RSRC2:TGID_Z_EN: 0
; COMPUTE_PGM_RSRC2:TIDIG_COMP_CNT: 0
; COMPUTE_PGM_RSRC3_GFX90A:ACCUM_OFFSET: 0
; COMPUTE_PGM_RSRC3_GFX90A:TG_SPLIT: 0
	.section	.text._ZN7rocprim17ROCPRIM_400000_NS6detail17trampoline_kernelINS0_14default_configENS1_25partition_config_selectorILNS1_17partition_subalgoE8ElNS0_10empty_typeEbEEZZNS1_14partition_implILS5_8ELb0ES3_jPlPS6_PKS6_NS0_5tupleIJS9_S6_EEENSD_IJSA_SA_EEENS0_18inequality_wrapperIZN2at6native12_GLOBAL__N_124unique_dim_cuda_templateIjEESt5tupleIJNSH_6TensorESM_SM_EERKSM_lbbbEUlllE0_EEPmJS6_EEE10hipError_tPvRmT3_T4_T5_T6_T7_T9_mT8_P12ihipStream_tbDpT10_ENKUlT_T0_E_clISt17integral_constantIbLb1EES1B_IbLb0EEEEDaS17_S18_EUlS17_E_NS1_11comp_targetILNS1_3genE5ELNS1_11target_archE942ELNS1_3gpuE9ELNS1_3repE0EEENS1_30default_config_static_selectorELNS0_4arch9wavefront6targetE1EEEvT1_,"axG",@progbits,_ZN7rocprim17ROCPRIM_400000_NS6detail17trampoline_kernelINS0_14default_configENS1_25partition_config_selectorILNS1_17partition_subalgoE8ElNS0_10empty_typeEbEEZZNS1_14partition_implILS5_8ELb0ES3_jPlPS6_PKS6_NS0_5tupleIJS9_S6_EEENSD_IJSA_SA_EEENS0_18inequality_wrapperIZN2at6native12_GLOBAL__N_124unique_dim_cuda_templateIjEESt5tupleIJNSH_6TensorESM_SM_EERKSM_lbbbEUlllE0_EEPmJS6_EEE10hipError_tPvRmT3_T4_T5_T6_T7_T9_mT8_P12ihipStream_tbDpT10_ENKUlT_T0_E_clISt17integral_constantIbLb1EES1B_IbLb0EEEEDaS17_S18_EUlS17_E_NS1_11comp_targetILNS1_3genE5ELNS1_11target_archE942ELNS1_3gpuE9ELNS1_3repE0EEENS1_30default_config_static_selectorELNS0_4arch9wavefront6targetE1EEEvT1_,comdat
	.globl	_ZN7rocprim17ROCPRIM_400000_NS6detail17trampoline_kernelINS0_14default_configENS1_25partition_config_selectorILNS1_17partition_subalgoE8ElNS0_10empty_typeEbEEZZNS1_14partition_implILS5_8ELb0ES3_jPlPS6_PKS6_NS0_5tupleIJS9_S6_EEENSD_IJSA_SA_EEENS0_18inequality_wrapperIZN2at6native12_GLOBAL__N_124unique_dim_cuda_templateIjEESt5tupleIJNSH_6TensorESM_SM_EERKSM_lbbbEUlllE0_EEPmJS6_EEE10hipError_tPvRmT3_T4_T5_T6_T7_T9_mT8_P12ihipStream_tbDpT10_ENKUlT_T0_E_clISt17integral_constantIbLb1EES1B_IbLb0EEEEDaS17_S18_EUlS17_E_NS1_11comp_targetILNS1_3genE5ELNS1_11target_archE942ELNS1_3gpuE9ELNS1_3repE0EEENS1_30default_config_static_selectorELNS0_4arch9wavefront6targetE1EEEvT1_ ; -- Begin function _ZN7rocprim17ROCPRIM_400000_NS6detail17trampoline_kernelINS0_14default_configENS1_25partition_config_selectorILNS1_17partition_subalgoE8ElNS0_10empty_typeEbEEZZNS1_14partition_implILS5_8ELb0ES3_jPlPS6_PKS6_NS0_5tupleIJS9_S6_EEENSD_IJSA_SA_EEENS0_18inequality_wrapperIZN2at6native12_GLOBAL__N_124unique_dim_cuda_templateIjEESt5tupleIJNSH_6TensorESM_SM_EERKSM_lbbbEUlllE0_EEPmJS6_EEE10hipError_tPvRmT3_T4_T5_T6_T7_T9_mT8_P12ihipStream_tbDpT10_ENKUlT_T0_E_clISt17integral_constantIbLb1EES1B_IbLb0EEEEDaS17_S18_EUlS17_E_NS1_11comp_targetILNS1_3genE5ELNS1_11target_archE942ELNS1_3gpuE9ELNS1_3repE0EEENS1_30default_config_static_selectorELNS0_4arch9wavefront6targetE1EEEvT1_
	.p2align	8
	.type	_ZN7rocprim17ROCPRIM_400000_NS6detail17trampoline_kernelINS0_14default_configENS1_25partition_config_selectorILNS1_17partition_subalgoE8ElNS0_10empty_typeEbEEZZNS1_14partition_implILS5_8ELb0ES3_jPlPS6_PKS6_NS0_5tupleIJS9_S6_EEENSD_IJSA_SA_EEENS0_18inequality_wrapperIZN2at6native12_GLOBAL__N_124unique_dim_cuda_templateIjEESt5tupleIJNSH_6TensorESM_SM_EERKSM_lbbbEUlllE0_EEPmJS6_EEE10hipError_tPvRmT3_T4_T5_T6_T7_T9_mT8_P12ihipStream_tbDpT10_ENKUlT_T0_E_clISt17integral_constantIbLb1EES1B_IbLb0EEEEDaS17_S18_EUlS17_E_NS1_11comp_targetILNS1_3genE5ELNS1_11target_archE942ELNS1_3gpuE9ELNS1_3repE0EEENS1_30default_config_static_selectorELNS0_4arch9wavefront6targetE1EEEvT1_,@function
_ZN7rocprim17ROCPRIM_400000_NS6detail17trampoline_kernelINS0_14default_configENS1_25partition_config_selectorILNS1_17partition_subalgoE8ElNS0_10empty_typeEbEEZZNS1_14partition_implILS5_8ELb0ES3_jPlPS6_PKS6_NS0_5tupleIJS9_S6_EEENSD_IJSA_SA_EEENS0_18inequality_wrapperIZN2at6native12_GLOBAL__N_124unique_dim_cuda_templateIjEESt5tupleIJNSH_6TensorESM_SM_EERKSM_lbbbEUlllE0_EEPmJS6_EEE10hipError_tPvRmT3_T4_T5_T6_T7_T9_mT8_P12ihipStream_tbDpT10_ENKUlT_T0_E_clISt17integral_constantIbLb1EES1B_IbLb0EEEEDaS17_S18_EUlS17_E_NS1_11comp_targetILNS1_3genE5ELNS1_11target_archE942ELNS1_3gpuE9ELNS1_3repE0EEENS1_30default_config_static_selectorELNS0_4arch9wavefront6targetE1EEEvT1_: ; @_ZN7rocprim17ROCPRIM_400000_NS6detail17trampoline_kernelINS0_14default_configENS1_25partition_config_selectorILNS1_17partition_subalgoE8ElNS0_10empty_typeEbEEZZNS1_14partition_implILS5_8ELb0ES3_jPlPS6_PKS6_NS0_5tupleIJS9_S6_EEENSD_IJSA_SA_EEENS0_18inequality_wrapperIZN2at6native12_GLOBAL__N_124unique_dim_cuda_templateIjEESt5tupleIJNSH_6TensorESM_SM_EERKSM_lbbbEUlllE0_EEPmJS6_EEE10hipError_tPvRmT3_T4_T5_T6_T7_T9_mT8_P12ihipStream_tbDpT10_ENKUlT_T0_E_clISt17integral_constantIbLb1EES1B_IbLb0EEEEDaS17_S18_EUlS17_E_NS1_11comp_targetILNS1_3genE5ELNS1_11target_archE942ELNS1_3gpuE9ELNS1_3repE0EEENS1_30default_config_static_selectorELNS0_4arch9wavefront6targetE1EEEvT1_
; %bb.0:
	.section	.rodata,"a",@progbits
	.p2align	6, 0x0
	.amdhsa_kernel _ZN7rocprim17ROCPRIM_400000_NS6detail17trampoline_kernelINS0_14default_configENS1_25partition_config_selectorILNS1_17partition_subalgoE8ElNS0_10empty_typeEbEEZZNS1_14partition_implILS5_8ELb0ES3_jPlPS6_PKS6_NS0_5tupleIJS9_S6_EEENSD_IJSA_SA_EEENS0_18inequality_wrapperIZN2at6native12_GLOBAL__N_124unique_dim_cuda_templateIjEESt5tupleIJNSH_6TensorESM_SM_EERKSM_lbbbEUlllE0_EEPmJS6_EEE10hipError_tPvRmT3_T4_T5_T6_T7_T9_mT8_P12ihipStream_tbDpT10_ENKUlT_T0_E_clISt17integral_constantIbLb1EES1B_IbLb0EEEEDaS17_S18_EUlS17_E_NS1_11comp_targetILNS1_3genE5ELNS1_11target_archE942ELNS1_3gpuE9ELNS1_3repE0EEENS1_30default_config_static_selectorELNS0_4arch9wavefront6targetE1EEEvT1_
		.amdhsa_group_segment_fixed_size 0
		.amdhsa_private_segment_fixed_size 0
		.amdhsa_kernarg_size 120
		.amdhsa_user_sgpr_count 6
		.amdhsa_user_sgpr_private_segment_buffer 1
		.amdhsa_user_sgpr_dispatch_ptr 0
		.amdhsa_user_sgpr_queue_ptr 0
		.amdhsa_user_sgpr_kernarg_segment_ptr 1
		.amdhsa_user_sgpr_dispatch_id 0
		.amdhsa_user_sgpr_flat_scratch_init 0
		.amdhsa_user_sgpr_kernarg_preload_length 0
		.amdhsa_user_sgpr_kernarg_preload_offset 0
		.amdhsa_user_sgpr_private_segment_size 0
		.amdhsa_uses_dynamic_stack 0
		.amdhsa_system_sgpr_private_segment_wavefront_offset 0
		.amdhsa_system_sgpr_workgroup_id_x 1
		.amdhsa_system_sgpr_workgroup_id_y 0
		.amdhsa_system_sgpr_workgroup_id_z 0
		.amdhsa_system_sgpr_workgroup_info 0
		.amdhsa_system_vgpr_workitem_id 0
		.amdhsa_next_free_vgpr 1
		.amdhsa_next_free_sgpr 0
		.amdhsa_accum_offset 4
		.amdhsa_reserve_vcc 0
		.amdhsa_reserve_flat_scratch 0
		.amdhsa_float_round_mode_32 0
		.amdhsa_float_round_mode_16_64 0
		.amdhsa_float_denorm_mode_32 3
		.amdhsa_float_denorm_mode_16_64 3
		.amdhsa_dx10_clamp 1
		.amdhsa_ieee_mode 1
		.amdhsa_fp16_overflow 0
		.amdhsa_tg_split 0
		.amdhsa_exception_fp_ieee_invalid_op 0
		.amdhsa_exception_fp_denorm_src 0
		.amdhsa_exception_fp_ieee_div_zero 0
		.amdhsa_exception_fp_ieee_overflow 0
		.amdhsa_exception_fp_ieee_underflow 0
		.amdhsa_exception_fp_ieee_inexact 0
		.amdhsa_exception_int_div_zero 0
	.end_amdhsa_kernel
	.section	.text._ZN7rocprim17ROCPRIM_400000_NS6detail17trampoline_kernelINS0_14default_configENS1_25partition_config_selectorILNS1_17partition_subalgoE8ElNS0_10empty_typeEbEEZZNS1_14partition_implILS5_8ELb0ES3_jPlPS6_PKS6_NS0_5tupleIJS9_S6_EEENSD_IJSA_SA_EEENS0_18inequality_wrapperIZN2at6native12_GLOBAL__N_124unique_dim_cuda_templateIjEESt5tupleIJNSH_6TensorESM_SM_EERKSM_lbbbEUlllE0_EEPmJS6_EEE10hipError_tPvRmT3_T4_T5_T6_T7_T9_mT8_P12ihipStream_tbDpT10_ENKUlT_T0_E_clISt17integral_constantIbLb1EES1B_IbLb0EEEEDaS17_S18_EUlS17_E_NS1_11comp_targetILNS1_3genE5ELNS1_11target_archE942ELNS1_3gpuE9ELNS1_3repE0EEENS1_30default_config_static_selectorELNS0_4arch9wavefront6targetE1EEEvT1_,"axG",@progbits,_ZN7rocprim17ROCPRIM_400000_NS6detail17trampoline_kernelINS0_14default_configENS1_25partition_config_selectorILNS1_17partition_subalgoE8ElNS0_10empty_typeEbEEZZNS1_14partition_implILS5_8ELb0ES3_jPlPS6_PKS6_NS0_5tupleIJS9_S6_EEENSD_IJSA_SA_EEENS0_18inequality_wrapperIZN2at6native12_GLOBAL__N_124unique_dim_cuda_templateIjEESt5tupleIJNSH_6TensorESM_SM_EERKSM_lbbbEUlllE0_EEPmJS6_EEE10hipError_tPvRmT3_T4_T5_T6_T7_T9_mT8_P12ihipStream_tbDpT10_ENKUlT_T0_E_clISt17integral_constantIbLb1EES1B_IbLb0EEEEDaS17_S18_EUlS17_E_NS1_11comp_targetILNS1_3genE5ELNS1_11target_archE942ELNS1_3gpuE9ELNS1_3repE0EEENS1_30default_config_static_selectorELNS0_4arch9wavefront6targetE1EEEvT1_,comdat
.Lfunc_end1556:
	.size	_ZN7rocprim17ROCPRIM_400000_NS6detail17trampoline_kernelINS0_14default_configENS1_25partition_config_selectorILNS1_17partition_subalgoE8ElNS0_10empty_typeEbEEZZNS1_14partition_implILS5_8ELb0ES3_jPlPS6_PKS6_NS0_5tupleIJS9_S6_EEENSD_IJSA_SA_EEENS0_18inequality_wrapperIZN2at6native12_GLOBAL__N_124unique_dim_cuda_templateIjEESt5tupleIJNSH_6TensorESM_SM_EERKSM_lbbbEUlllE0_EEPmJS6_EEE10hipError_tPvRmT3_T4_T5_T6_T7_T9_mT8_P12ihipStream_tbDpT10_ENKUlT_T0_E_clISt17integral_constantIbLb1EES1B_IbLb0EEEEDaS17_S18_EUlS17_E_NS1_11comp_targetILNS1_3genE5ELNS1_11target_archE942ELNS1_3gpuE9ELNS1_3repE0EEENS1_30default_config_static_selectorELNS0_4arch9wavefront6targetE1EEEvT1_, .Lfunc_end1556-_ZN7rocprim17ROCPRIM_400000_NS6detail17trampoline_kernelINS0_14default_configENS1_25partition_config_selectorILNS1_17partition_subalgoE8ElNS0_10empty_typeEbEEZZNS1_14partition_implILS5_8ELb0ES3_jPlPS6_PKS6_NS0_5tupleIJS9_S6_EEENSD_IJSA_SA_EEENS0_18inequality_wrapperIZN2at6native12_GLOBAL__N_124unique_dim_cuda_templateIjEESt5tupleIJNSH_6TensorESM_SM_EERKSM_lbbbEUlllE0_EEPmJS6_EEE10hipError_tPvRmT3_T4_T5_T6_T7_T9_mT8_P12ihipStream_tbDpT10_ENKUlT_T0_E_clISt17integral_constantIbLb1EES1B_IbLb0EEEEDaS17_S18_EUlS17_E_NS1_11comp_targetILNS1_3genE5ELNS1_11target_archE942ELNS1_3gpuE9ELNS1_3repE0EEENS1_30default_config_static_selectorELNS0_4arch9wavefront6targetE1EEEvT1_
                                        ; -- End function
	.section	.AMDGPU.csdata,"",@progbits
; Kernel info:
; codeLenInByte = 0
; NumSgprs: 4
; NumVgprs: 0
; NumAgprs: 0
; TotalNumVgprs: 0
; ScratchSize: 0
; MemoryBound: 0
; FloatMode: 240
; IeeeMode: 1
; LDSByteSize: 0 bytes/workgroup (compile time only)
; SGPRBlocks: 0
; VGPRBlocks: 0
; NumSGPRsForWavesPerEU: 4
; NumVGPRsForWavesPerEU: 1
; AccumOffset: 4
; Occupancy: 8
; WaveLimiterHint : 0
; COMPUTE_PGM_RSRC2:SCRATCH_EN: 0
; COMPUTE_PGM_RSRC2:USER_SGPR: 6
; COMPUTE_PGM_RSRC2:TRAP_HANDLER: 0
; COMPUTE_PGM_RSRC2:TGID_X_EN: 1
; COMPUTE_PGM_RSRC2:TGID_Y_EN: 0
; COMPUTE_PGM_RSRC2:TGID_Z_EN: 0
; COMPUTE_PGM_RSRC2:TIDIG_COMP_CNT: 0
; COMPUTE_PGM_RSRC3_GFX90A:ACCUM_OFFSET: 0
; COMPUTE_PGM_RSRC3_GFX90A:TG_SPLIT: 0
	.section	.text._ZN7rocprim17ROCPRIM_400000_NS6detail17trampoline_kernelINS0_14default_configENS1_25partition_config_selectorILNS1_17partition_subalgoE8ElNS0_10empty_typeEbEEZZNS1_14partition_implILS5_8ELb0ES3_jPlPS6_PKS6_NS0_5tupleIJS9_S6_EEENSD_IJSA_SA_EEENS0_18inequality_wrapperIZN2at6native12_GLOBAL__N_124unique_dim_cuda_templateIjEESt5tupleIJNSH_6TensorESM_SM_EERKSM_lbbbEUlllE0_EEPmJS6_EEE10hipError_tPvRmT3_T4_T5_T6_T7_T9_mT8_P12ihipStream_tbDpT10_ENKUlT_T0_E_clISt17integral_constantIbLb1EES1B_IbLb0EEEEDaS17_S18_EUlS17_E_NS1_11comp_targetILNS1_3genE4ELNS1_11target_archE910ELNS1_3gpuE8ELNS1_3repE0EEENS1_30default_config_static_selectorELNS0_4arch9wavefront6targetE1EEEvT1_,"axG",@progbits,_ZN7rocprim17ROCPRIM_400000_NS6detail17trampoline_kernelINS0_14default_configENS1_25partition_config_selectorILNS1_17partition_subalgoE8ElNS0_10empty_typeEbEEZZNS1_14partition_implILS5_8ELb0ES3_jPlPS6_PKS6_NS0_5tupleIJS9_S6_EEENSD_IJSA_SA_EEENS0_18inequality_wrapperIZN2at6native12_GLOBAL__N_124unique_dim_cuda_templateIjEESt5tupleIJNSH_6TensorESM_SM_EERKSM_lbbbEUlllE0_EEPmJS6_EEE10hipError_tPvRmT3_T4_T5_T6_T7_T9_mT8_P12ihipStream_tbDpT10_ENKUlT_T0_E_clISt17integral_constantIbLb1EES1B_IbLb0EEEEDaS17_S18_EUlS17_E_NS1_11comp_targetILNS1_3genE4ELNS1_11target_archE910ELNS1_3gpuE8ELNS1_3repE0EEENS1_30default_config_static_selectorELNS0_4arch9wavefront6targetE1EEEvT1_,comdat
	.globl	_ZN7rocprim17ROCPRIM_400000_NS6detail17trampoline_kernelINS0_14default_configENS1_25partition_config_selectorILNS1_17partition_subalgoE8ElNS0_10empty_typeEbEEZZNS1_14partition_implILS5_8ELb0ES3_jPlPS6_PKS6_NS0_5tupleIJS9_S6_EEENSD_IJSA_SA_EEENS0_18inequality_wrapperIZN2at6native12_GLOBAL__N_124unique_dim_cuda_templateIjEESt5tupleIJNSH_6TensorESM_SM_EERKSM_lbbbEUlllE0_EEPmJS6_EEE10hipError_tPvRmT3_T4_T5_T6_T7_T9_mT8_P12ihipStream_tbDpT10_ENKUlT_T0_E_clISt17integral_constantIbLb1EES1B_IbLb0EEEEDaS17_S18_EUlS17_E_NS1_11comp_targetILNS1_3genE4ELNS1_11target_archE910ELNS1_3gpuE8ELNS1_3repE0EEENS1_30default_config_static_selectorELNS0_4arch9wavefront6targetE1EEEvT1_ ; -- Begin function _ZN7rocprim17ROCPRIM_400000_NS6detail17trampoline_kernelINS0_14default_configENS1_25partition_config_selectorILNS1_17partition_subalgoE8ElNS0_10empty_typeEbEEZZNS1_14partition_implILS5_8ELb0ES3_jPlPS6_PKS6_NS0_5tupleIJS9_S6_EEENSD_IJSA_SA_EEENS0_18inequality_wrapperIZN2at6native12_GLOBAL__N_124unique_dim_cuda_templateIjEESt5tupleIJNSH_6TensorESM_SM_EERKSM_lbbbEUlllE0_EEPmJS6_EEE10hipError_tPvRmT3_T4_T5_T6_T7_T9_mT8_P12ihipStream_tbDpT10_ENKUlT_T0_E_clISt17integral_constantIbLb1EES1B_IbLb0EEEEDaS17_S18_EUlS17_E_NS1_11comp_targetILNS1_3genE4ELNS1_11target_archE910ELNS1_3gpuE8ELNS1_3repE0EEENS1_30default_config_static_selectorELNS0_4arch9wavefront6targetE1EEEvT1_
	.p2align	8
	.type	_ZN7rocprim17ROCPRIM_400000_NS6detail17trampoline_kernelINS0_14default_configENS1_25partition_config_selectorILNS1_17partition_subalgoE8ElNS0_10empty_typeEbEEZZNS1_14partition_implILS5_8ELb0ES3_jPlPS6_PKS6_NS0_5tupleIJS9_S6_EEENSD_IJSA_SA_EEENS0_18inequality_wrapperIZN2at6native12_GLOBAL__N_124unique_dim_cuda_templateIjEESt5tupleIJNSH_6TensorESM_SM_EERKSM_lbbbEUlllE0_EEPmJS6_EEE10hipError_tPvRmT3_T4_T5_T6_T7_T9_mT8_P12ihipStream_tbDpT10_ENKUlT_T0_E_clISt17integral_constantIbLb1EES1B_IbLb0EEEEDaS17_S18_EUlS17_E_NS1_11comp_targetILNS1_3genE4ELNS1_11target_archE910ELNS1_3gpuE8ELNS1_3repE0EEENS1_30default_config_static_selectorELNS0_4arch9wavefront6targetE1EEEvT1_,@function
_ZN7rocprim17ROCPRIM_400000_NS6detail17trampoline_kernelINS0_14default_configENS1_25partition_config_selectorILNS1_17partition_subalgoE8ElNS0_10empty_typeEbEEZZNS1_14partition_implILS5_8ELb0ES3_jPlPS6_PKS6_NS0_5tupleIJS9_S6_EEENSD_IJSA_SA_EEENS0_18inequality_wrapperIZN2at6native12_GLOBAL__N_124unique_dim_cuda_templateIjEESt5tupleIJNSH_6TensorESM_SM_EERKSM_lbbbEUlllE0_EEPmJS6_EEE10hipError_tPvRmT3_T4_T5_T6_T7_T9_mT8_P12ihipStream_tbDpT10_ENKUlT_T0_E_clISt17integral_constantIbLb1EES1B_IbLb0EEEEDaS17_S18_EUlS17_E_NS1_11comp_targetILNS1_3genE4ELNS1_11target_archE910ELNS1_3gpuE8ELNS1_3repE0EEENS1_30default_config_static_selectorELNS0_4arch9wavefront6targetE1EEEvT1_: ; @_ZN7rocprim17ROCPRIM_400000_NS6detail17trampoline_kernelINS0_14default_configENS1_25partition_config_selectorILNS1_17partition_subalgoE8ElNS0_10empty_typeEbEEZZNS1_14partition_implILS5_8ELb0ES3_jPlPS6_PKS6_NS0_5tupleIJS9_S6_EEENSD_IJSA_SA_EEENS0_18inequality_wrapperIZN2at6native12_GLOBAL__N_124unique_dim_cuda_templateIjEESt5tupleIJNSH_6TensorESM_SM_EERKSM_lbbbEUlllE0_EEPmJS6_EEE10hipError_tPvRmT3_T4_T5_T6_T7_T9_mT8_P12ihipStream_tbDpT10_ENKUlT_T0_E_clISt17integral_constantIbLb1EES1B_IbLb0EEEEDaS17_S18_EUlS17_E_NS1_11comp_targetILNS1_3genE4ELNS1_11target_archE910ELNS1_3gpuE8ELNS1_3repE0EEENS1_30default_config_static_selectorELNS0_4arch9wavefront6targetE1EEEvT1_
; %bb.0:
	s_load_dwordx8 s[20:27], s[4:5], 0x40
	s_load_dwordx4 s[0:3], s[4:5], 0x8
	s_load_dwordx4 s[28:31], s[4:5], 0x60
	s_load_dword s7, s[4:5], 0x70
	s_waitcnt lgkmcnt(0)
	v_mov_b32_e32 v2, s24
	s_lshl_b64 s[8:9], s[2:3], 3
	s_add_u32 s12, s0, s8
	s_mul_i32 s8, s7, 0x500
	s_addc_u32 s13, s1, s9
	s_add_i32 s1, s8, s2
	s_add_i32 s10, s7, -1
	s_sub_i32 s7, s24, s1
	s_add_u32 s8, s2, s8
	s_addc_u32 s9, s3, 0
	v_mov_b32_e32 v3, s25
	s_cmp_eq_u32 s6, s10
	s_load_dwordx2 s[22:23], s[22:23], 0x0
	v_cmp_ge_u64_e32 vcc, s[8:9], v[2:3]
	s_cselect_b64 s[24:25], -1, 0
	s_mul_i32 s0, s6, 0x500
	s_mov_b32 s1, 0
	s_and_b64 s[10:11], s[24:25], vcc
	s_xor_b64 s[34:35], s[10:11], -1
	s_lshl_b64 s[0:1], s[0:1], 3
	s_add_u32 s0, s12, s0
	s_mov_b64 s[8:9], -1
	s_addc_u32 s1, s13, s1
	s_and_b64 vcc, exec, s[34:35]
	s_cbranch_vccz .LBB1557_2
; %bb.1:
	v_lshlrev_b32_e32 v1, 3, v0
	v_mov_b32_e32 v2, s1
	v_add_co_u32_e32 v12, vcc, s0, v1
	v_addc_co_u32_e32 v13, vcc, 0, v2, vcc
	v_add_co_u32_e32 v2, vcc, 0x1000, v12
	v_addc_co_u32_e32 v3, vcc, 0, v13, vcc
	global_load_dwordx2 v[4:5], v1, s[0:1]
	global_load_dwordx2 v[6:7], v1, s[0:1] offset:2048
	global_load_dwordx2 v[8:9], v[2:3], off
	global_load_dwordx2 v[10:11], v[2:3], off offset:2048
	v_add_co_u32_e32 v2, vcc, 0x2000, v12
	v_addc_co_u32_e32 v3, vcc, 0, v13, vcc
	global_load_dwordx2 v[2:3], v[2:3], off
	s_mov_b64 s[8:9], 0
	s_waitcnt vmcnt(3)
	ds_write2st64_b64 v1, v[4:5], v[6:7] offset1:4
	s_waitcnt vmcnt(1)
	ds_write2st64_b64 v1, v[8:9], v[10:11] offset0:8 offset1:12
	s_waitcnt vmcnt(0)
	ds_write_b64 v1, v[2:3] offset:8192
	s_waitcnt lgkmcnt(0)
	s_barrier
.LBB1557_2:
	s_andn2_b64 vcc, exec, s[8:9]
	s_addk_i32 s7, 0x500
	s_cbranch_vccnz .LBB1557_14
; %bb.3:
	v_cmp_gt_u32_e32 vcc, s7, v0
                                        ; implicit-def: $vgpr2_vgpr3_vgpr4_vgpr5_vgpr6_vgpr7_vgpr8_vgpr9_vgpr10_vgpr11_vgpr12_vgpr13_vgpr14_vgpr15_vgpr16_vgpr17
	s_and_saveexec_b64 s[8:9], vcc
	s_cbranch_execz .LBB1557_5
; %bb.4:
	v_lshlrev_b32_e32 v1, 3, v0
	global_load_dwordx2 v[2:3], v1, s[0:1]
.LBB1557_5:
	s_or_b64 exec, exec, s[8:9]
	v_or_b32_e32 v1, 0x100, v0
	v_cmp_gt_u32_e32 vcc, s7, v1
	s_and_saveexec_b64 s[8:9], vcc
	s_cbranch_execz .LBB1557_7
; %bb.6:
	v_lshlrev_b32_e32 v1, 3, v0
	global_load_dwordx2 v[4:5], v1, s[0:1] offset:2048
.LBB1557_7:
	s_or_b64 exec, exec, s[8:9]
	v_or_b32_e32 v1, 0x200, v0
	v_cmp_gt_u32_e32 vcc, s7, v1
	s_and_saveexec_b64 s[8:9], vcc
	s_cbranch_execz .LBB1557_9
; %bb.8:
	v_lshlrev_b32_e32 v1, 3, v1
	global_load_dwordx2 v[6:7], v1, s[0:1]
.LBB1557_9:
	s_or_b64 exec, exec, s[8:9]
	v_or_b32_e32 v1, 0x300, v0
	v_cmp_gt_u32_e32 vcc, s7, v1
	s_and_saveexec_b64 s[8:9], vcc
	s_cbranch_execz .LBB1557_11
; %bb.10:
	v_lshlrev_b32_e32 v1, 3, v1
	global_load_dwordx2 v[8:9], v1, s[0:1]
.LBB1557_11:
	;; [unrolled: 9-line block ×3, first 2 shown]
	s_or_b64 exec, exec, s[8:9]
	v_lshlrev_b32_e32 v1, 3, v0
	s_waitcnt vmcnt(0)
	ds_write2st64_b64 v1, v[2:3], v[4:5] offset1:4
	ds_write2st64_b64 v1, v[6:7], v[8:9] offset0:8 offset1:12
	ds_write_b64 v1, v[10:11] offset:8192
	s_waitcnt lgkmcnt(0)
	s_barrier
.LBB1557_14:
	v_mul_u32_u24_e32 v1, 5, v0
	v_lshlrev_b32_e32 v20, 3, v1
	s_waitcnt lgkmcnt(0)
	ds_read2_b64 v[6:9], v20 offset1:1
	ds_read2_b64 v[2:5], v20 offset0:2 offset1:3
	ds_read_b64 v[10:11], v20 offset:32
	s_cmp_lg_u32 s6, 0
	s_cselect_b64 s[16:17], -1, 0
	s_cmp_lg_u64 s[2:3], 0
	s_cselect_b64 s[2:3], -1, 0
	s_or_b64 s[2:3], s[16:17], s[2:3]
	v_mad_u32_u24 v24, v0, 5, 1
	v_mad_u32_u24 v22, v0, 5, 2
	;; [unrolled: 1-line block ×4, first 2 shown]
	s_mov_b64 s[12:13], 0
	s_and_b64 vcc, exec, s[2:3]
	v_cmp_gt_i64_e64 s[2:3], s[26:27], 0
	s_waitcnt lgkmcnt(0)
	s_barrier
	s_cbranch_vccz .LBB1557_23
; %bb.15:
	s_add_u32 s0, s0, -8
	s_addc_u32 s1, s1, -1
	s_load_dwordx2 s[12:13], s[0:1], 0x0
	v_cndmask_b32_e64 v12, 0, 1, s[2:3]
	v_lshlrev_b32_e32 v21, 3, v0
	s_mov_b64 s[14:15], 0
	s_and_b64 vcc, exec, s[34:35]
	v_cmp_ne_u32_e64 s[0:1], 1, v12
	ds_write_b64 v21, v[10:11]
	s_cbranch_vccz .LBB1557_24
; %bb.16:
	v_mul_lo_u32 v14, v5, s26
	v_mul_lo_u32 v15, v4, s27
	v_mad_u64_u32 v[12:13], s[2:3], v4, s26, 0
	v_add3_u32 v13, v13, v15, v14
	s_and_b64 vcc, exec, s[0:1]
	v_lshlrev_b64 v[12:13], 2, v[12:13]
	s_cbranch_vccnz .LBB1557_27
; %bb.17:
	v_mul_lo_u32 v16, v11, s26
	v_mul_lo_u32 v17, v10, s27
	v_mad_u64_u32 v[14:15], s[2:3], v10, s26, 0
	v_add3_u32 v15, v15, v17, v16
	v_mov_b32_e32 v17, s29
	v_add_co_u32_e32 v16, vcc, s28, v12
	v_addc_co_u32_e64 v17, s[2:3], v17, v13, vcc
	v_lshlrev_b64 v[14:15], 2, v[14:15]
	v_mov_b32_e32 v19, s29
	v_add_co_u32_e64 v18, s[2:3], s28, v14
	v_addc_co_u32_e64 v19, s[8:9], v19, v15, s[2:3]
	global_load_dword v14, v[16:17], off
	global_load_dword v26, v[18:19], off
	s_mov_b64 s[14:15], -1
	s_waitcnt vmcnt(0)
	v_cmp_eq_u32_e64 s[8:9], v14, v26
	s_and_saveexec_b64 s[18:19], s[8:9]
	s_cbranch_execz .LBB1557_26
; %bb.18:
	v_mov_b32_e32 v14, s29
	v_addc_co_u32_e64 v15, s[2:3], v15, v14, s[2:3]
	v_add_co_u32_e64 v14, s[2:3], 4, v18
	v_mov_b32_e32 v17, s29
	v_addc_co_u32_e64 v15, s[2:3], 0, v15, s[2:3]
	v_addc_co_u32_e32 v17, vcc, v13, v17, vcc
	v_add_co_u32_e32 v16, vcc, 4, v16
	s_add_u32 s2, s26, -1
	v_addc_co_u32_e32 v17, vcc, 0, v17, vcc
	s_addc_u32 s3, s27, -1
	s_mov_b64 s[8:9], 0
	s_mov_b64 s[36:37], 0
                                        ; implicit-def: $sgpr14_sgpr15
	s_branch .LBB1557_21
.LBB1557_19:                            ;   in Loop: Header=BB1557_21 Depth=1
	global_load_dword v18, v[16:17], off
	global_load_dword v19, v[14:15], off
	v_add_co_u32_e32 v14, vcc, 4, v14
	v_addc_co_u32_e32 v15, vcc, 0, v15, vcc
	v_add_co_u32_e32 v16, vcc, 4, v16
	v_addc_co_u32_e32 v17, vcc, 0, v17, vcc
	s_add_u32 s36, s36, 1
	s_addc_u32 s37, s37, 0
	s_andn2_b64 s[14:15], s[14:15], exec
	s_waitcnt vmcnt(0)
	v_cmp_ne_u32_e32 vcc, v18, v19
	s_and_b64 s[38:39], vcc, exec
	s_or_b64 s[14:15], s[14:15], s[38:39]
.LBB1557_20:                            ;   in Loop: Header=BB1557_21 Depth=1
	s_and_b64 s[38:39], exec, s[14:15]
	s_or_b64 s[8:9], s[38:39], s[8:9]
	v_pk_mov_b32 v[18:19], s[36:37], s[36:37] op_sel:[0,1]
	s_andn2_b64 exec, exec, s[8:9]
	s_cbranch_execz .LBB1557_25
.LBB1557_21:                            ; =>This Inner Loop Header: Depth=1
	s_or_b64 s[14:15], s[14:15], exec
	s_cmp_eq_u64 s[2:3], s[36:37]
	s_cbranch_scc0 .LBB1557_19
; %bb.22:                               ;   in Loop: Header=BB1557_21 Depth=1
                                        ; implicit-def: $vgpr14_vgpr15
                                        ; implicit-def: $vgpr16_vgpr17
	s_mov_b64 s[36:37], s[26:27]
	s_branch .LBB1557_20
.LBB1557_23:
                                        ; implicit-def: $sgpr18_sgpr19
                                        ; implicit-def: $vgpr13
                                        ; implicit-def: $vgpr16
	s_branch .LBB1557_125
.LBB1557_24:
                                        ; implicit-def: $sgpr18_sgpr19
                                        ; implicit-def: $vgpr13
                                        ; implicit-def: $vgpr16
	s_cbranch_execnz .LBB1557_66
	s_branch .LBB1557_124
.LBB1557_25:
	s_or_b64 exec, exec, s[8:9]
	v_cmp_gt_i64_e32 vcc, s[26:27], v[18:19]
	s_orn2_b64 s[14:15], vcc, exec
.LBB1557_26:
	s_or_b64 exec, exec, s[18:19]
.LBB1557_27:
	v_mul_lo_u32 v16, v3, s26
	v_mul_lo_u32 v17, v2, s27
	v_mad_u64_u32 v[14:15], s[2:3], v2, s26, 0
	v_add3_u32 v15, v15, v17, v16
	s_mov_b64 s[18:19], 0
	s_and_b64 vcc, exec, s[0:1]
	v_lshlrev_b64 v[16:17], 2, v[14:15]
	s_mov_b64 s[36:37], 0
	s_cbranch_vccnz .LBB1557_36
; %bb.28:
	v_mov_b32_e32 v15, s29
	v_add_co_u32_e32 v14, vcc, s28, v16
	v_addc_co_u32_e64 v15, s[2:3], v15, v17, vcc
	v_mov_b32_e32 v19, s29
	v_add_co_u32_e64 v18, s[2:3], s28, v12
	v_addc_co_u32_e64 v19, s[8:9], v19, v13, s[2:3]
	global_load_dword v12, v[14:15], off
	global_load_dword v26, v[18:19], off
	s_mov_b64 s[36:37], -1
	s_waitcnt vmcnt(0)
	v_cmp_eq_u32_e64 s[8:9], v12, v26
	s_and_saveexec_b64 s[38:39], s[8:9]
	s_cbranch_execz .LBB1557_35
; %bb.29:
	v_mov_b32_e32 v12, s29
	v_addc_co_u32_e64 v13, s[2:3], v13, v12, s[2:3]
	v_add_co_u32_e64 v12, s[2:3], 4, v18
	v_mov_b32_e32 v15, s29
	v_addc_co_u32_e64 v13, s[2:3], 0, v13, s[2:3]
	v_addc_co_u32_e32 v15, vcc, v17, v15, vcc
	v_add_co_u32_e32 v14, vcc, 4, v14
	s_add_u32 s2, s26, -1
	v_addc_co_u32_e32 v15, vcc, 0, v15, vcc
	s_addc_u32 s3, s27, -1
	s_mov_b64 s[8:9], 0
	s_mov_b64 s[40:41], 0
                                        ; implicit-def: $sgpr36_sgpr37
	s_branch .LBB1557_32
.LBB1557_30:                            ;   in Loop: Header=BB1557_32 Depth=1
	global_load_dword v18, v[14:15], off
	global_load_dword v19, v[12:13], off
	v_add_co_u32_e32 v12, vcc, 4, v12
	v_addc_co_u32_e32 v13, vcc, 0, v13, vcc
	v_add_co_u32_e32 v14, vcc, 4, v14
	v_addc_co_u32_e32 v15, vcc, 0, v15, vcc
	s_add_u32 s40, s40, 1
	s_addc_u32 s41, s41, 0
	s_andn2_b64 s[36:37], s[36:37], exec
	s_waitcnt vmcnt(0)
	v_cmp_ne_u32_e32 vcc, v18, v19
	s_and_b64 s[42:43], vcc, exec
	s_or_b64 s[36:37], s[36:37], s[42:43]
.LBB1557_31:                            ;   in Loop: Header=BB1557_32 Depth=1
	s_and_b64 s[42:43], exec, s[36:37]
	s_or_b64 s[8:9], s[42:43], s[8:9]
	v_pk_mov_b32 v[18:19], s[40:41], s[40:41] op_sel:[0,1]
	s_andn2_b64 exec, exec, s[8:9]
	s_cbranch_execz .LBB1557_34
.LBB1557_32:                            ; =>This Inner Loop Header: Depth=1
	s_or_b64 s[36:37], s[36:37], exec
	s_cmp_eq_u64 s[2:3], s[40:41]
	s_cbranch_scc0 .LBB1557_30
; %bb.33:                               ;   in Loop: Header=BB1557_32 Depth=1
                                        ; implicit-def: $vgpr12_vgpr13
                                        ; implicit-def: $vgpr14_vgpr15
	s_mov_b64 s[40:41], s[26:27]
	s_branch .LBB1557_31
.LBB1557_34:
	s_or_b64 exec, exec, s[8:9]
	v_cmp_gt_i64_e32 vcc, s[26:27], v[18:19]
	s_orn2_b64 s[36:37], vcc, exec
.LBB1557_35:
	s_or_b64 exec, exec, s[38:39]
.LBB1557_36:
	v_mul_lo_u32 v14, v9, s26
	v_mul_lo_u32 v15, v8, s27
	v_mad_u64_u32 v[12:13], s[2:3], v8, s26, 0
	v_add3_u32 v13, v13, v15, v14
	s_and_b64 vcc, exec, s[0:1]
	v_lshlrev_b64 v[14:15], 2, v[12:13]
	s_cbranch_vccnz .LBB1557_45
; %bb.37:
	v_mov_b32_e32 v12, s29
	v_add_co_u32_e32 v18, vcc, s28, v14
	v_addc_co_u32_e64 v19, s[2:3], v12, v15, vcc
	v_mov_b32_e32 v13, s29
	v_add_co_u32_e64 v12, s[2:3], s28, v16
	v_addc_co_u32_e64 v13, s[8:9], v13, v17, s[2:3]
	global_load_dword v16, v[18:19], off
	global_load_dword v26, v[12:13], off
	s_mov_b64 s[18:19], -1
	s_waitcnt vmcnt(0)
	v_cmp_eq_u32_e64 s[8:9], v16, v26
	s_and_saveexec_b64 s[38:39], s[8:9]
	s_cbranch_execz .LBB1557_44
; %bb.38:
	v_mov_b32_e32 v13, s29
	v_addc_co_u32_e64 v13, s[2:3], v17, v13, s[2:3]
	v_add_co_u32_e64 v12, s[2:3], 4, v12
	v_mov_b32_e32 v16, s29
	v_addc_co_u32_e64 v13, s[2:3], 0, v13, s[2:3]
	v_addc_co_u32_e32 v17, vcc, v15, v16, vcc
	v_add_co_u32_e32 v16, vcc, 4, v18
	s_add_u32 s2, s26, -1
	v_addc_co_u32_e32 v17, vcc, 0, v17, vcc
	s_addc_u32 s3, s27, -1
	s_mov_b64 s[8:9], 0
	s_mov_b64 s[40:41], 0
                                        ; implicit-def: $sgpr18_sgpr19
	s_branch .LBB1557_41
.LBB1557_39:                            ;   in Loop: Header=BB1557_41 Depth=1
	global_load_dword v18, v[16:17], off
	global_load_dword v19, v[12:13], off
	v_add_co_u32_e32 v12, vcc, 4, v12
	v_addc_co_u32_e32 v13, vcc, 0, v13, vcc
	v_add_co_u32_e32 v16, vcc, 4, v16
	v_addc_co_u32_e32 v17, vcc, 0, v17, vcc
	s_add_u32 s40, s40, 1
	s_addc_u32 s41, s41, 0
	s_andn2_b64 s[18:19], s[18:19], exec
	s_waitcnt vmcnt(0)
	v_cmp_ne_u32_e32 vcc, v18, v19
	s_and_b64 s[42:43], vcc, exec
	s_or_b64 s[18:19], s[18:19], s[42:43]
.LBB1557_40:                            ;   in Loop: Header=BB1557_41 Depth=1
	s_and_b64 s[42:43], exec, s[18:19]
	s_or_b64 s[8:9], s[42:43], s[8:9]
	v_pk_mov_b32 v[18:19], s[40:41], s[40:41] op_sel:[0,1]
	s_andn2_b64 exec, exec, s[8:9]
	s_cbranch_execz .LBB1557_43
.LBB1557_41:                            ; =>This Inner Loop Header: Depth=1
	s_or_b64 s[18:19], s[18:19], exec
	s_cmp_eq_u64 s[2:3], s[40:41]
	s_cbranch_scc0 .LBB1557_39
; %bb.42:                               ;   in Loop: Header=BB1557_41 Depth=1
                                        ; implicit-def: $vgpr12_vgpr13
                                        ; implicit-def: $vgpr16_vgpr17
	s_mov_b64 s[40:41], s[26:27]
	s_branch .LBB1557_40
.LBB1557_43:
	s_or_b64 exec, exec, s[8:9]
	v_cmp_gt_i64_e32 vcc, s[26:27], v[18:19]
	s_orn2_b64 s[18:19], vcc, exec
.LBB1557_44:
	s_or_b64 exec, exec, s[38:39]
.LBB1557_45:
	v_mul_lo_u32 v16, v7, s26
	v_mul_lo_u32 v17, v6, s27
	v_mad_u64_u32 v[12:13], s[2:3], v6, s26, 0
	v_add3_u32 v13, v13, v17, v16
	s_mov_b64 s[40:41], 0
	s_and_b64 vcc, exec, s[0:1]
	v_lshlrev_b64 v[12:13], 2, v[12:13]
	s_cbranch_vccnz .LBB1557_54
; %bb.46:
	v_mov_b32_e32 v17, s29
	v_add_co_u32_e32 v16, vcc, s28, v12
	v_addc_co_u32_e64 v17, s[2:3], v17, v13, vcc
	v_mov_b32_e32 v19, s29
	v_add_co_u32_e64 v18, s[2:3], s28, v14
	v_addc_co_u32_e64 v19, s[8:9], v19, v15, s[2:3]
	global_load_dword v14, v[16:17], off
	global_load_dword v26, v[18:19], off
	s_mov_b64 s[40:41], -1
	s_waitcnt vmcnt(0)
	v_cmp_eq_u32_e64 s[8:9], v14, v26
	s_and_saveexec_b64 s[38:39], s[8:9]
	s_cbranch_execz .LBB1557_53
; %bb.47:
	v_mov_b32_e32 v14, s29
	v_addc_co_u32_e64 v15, s[2:3], v15, v14, s[2:3]
	v_add_co_u32_e64 v14, s[2:3], 4, v18
	v_mov_b32_e32 v17, s29
	v_addc_co_u32_e64 v15, s[2:3], 0, v15, s[2:3]
	v_addc_co_u32_e32 v17, vcc, v13, v17, vcc
	v_add_co_u32_e32 v16, vcc, 4, v16
	s_add_u32 s2, s26, -1
	v_addc_co_u32_e32 v17, vcc, 0, v17, vcc
	s_addc_u32 s3, s27, -1
	s_mov_b64 s[8:9], 0
	s_mov_b64 s[42:43], 0
                                        ; implicit-def: $sgpr40_sgpr41
	s_branch .LBB1557_50
.LBB1557_48:                            ;   in Loop: Header=BB1557_50 Depth=1
	global_load_dword v18, v[16:17], off
	global_load_dword v19, v[14:15], off
	v_add_co_u32_e32 v14, vcc, 4, v14
	v_addc_co_u32_e32 v15, vcc, 0, v15, vcc
	v_add_co_u32_e32 v16, vcc, 4, v16
	v_addc_co_u32_e32 v17, vcc, 0, v17, vcc
	s_add_u32 s42, s42, 1
	s_addc_u32 s43, s43, 0
	s_andn2_b64 s[40:41], s[40:41], exec
	s_waitcnt vmcnt(0)
	v_cmp_ne_u32_e32 vcc, v18, v19
	s_and_b64 s[44:45], vcc, exec
	s_or_b64 s[40:41], s[40:41], s[44:45]
.LBB1557_49:                            ;   in Loop: Header=BB1557_50 Depth=1
	s_and_b64 s[44:45], exec, s[40:41]
	s_or_b64 s[8:9], s[44:45], s[8:9]
	v_pk_mov_b32 v[18:19], s[42:43], s[42:43] op_sel:[0,1]
	s_andn2_b64 exec, exec, s[8:9]
	s_cbranch_execz .LBB1557_52
.LBB1557_50:                            ; =>This Inner Loop Header: Depth=1
	s_or_b64 s[40:41], s[40:41], exec
	s_cmp_eq_u64 s[2:3], s[42:43]
	s_cbranch_scc0 .LBB1557_48
; %bb.51:                               ;   in Loop: Header=BB1557_50 Depth=1
                                        ; implicit-def: $vgpr14_vgpr15
                                        ; implicit-def: $vgpr16_vgpr17
	s_mov_b64 s[42:43], s[26:27]
	s_branch .LBB1557_49
.LBB1557_52:
	s_or_b64 exec, exec, s[8:9]
	v_cmp_gt_i64_e32 vcc, s[26:27], v[18:19]
	s_orn2_b64 s[40:41], vcc, exec
.LBB1557_53:
	s_or_b64 exec, exec, s[38:39]
.LBB1557_54:
	v_cmp_ne_u32_e32 vcc, 0, v0
	s_waitcnt lgkmcnt(0)
	v_pk_mov_b32 v[14:15], s[12:13], s[12:13] op_sel:[0,1]
	s_barrier
	s_and_saveexec_b64 s[2:3], vcc
	s_cbranch_execz .LBB1557_56
; %bb.55:
	v_add_u32_e32 v14, -8, v21
	ds_read_b64 v[14:15], v14
.LBB1557_56:
	s_or_b64 exec, exec, s[2:3]
	v_cndmask_b32_e64 v17, 0, 1, s[36:37]
	v_cndmask_b32_e64 v16, 0, 1, s[18:19]
	;; [unrolled: 1-line block ×3, first 2 shown]
	v_lshlrev_b16_e32 v17, 8, v17
	v_lshlrev_b16_e32 v26, 8, v18
	v_or_b32_sdwa v27, v16, v17 dst_sel:WORD_1 dst_unused:UNUSED_PAD src0_sel:DWORD src1_sel:DWORD
	s_mov_b64 s[36:37], 0
	s_and_b64 vcc, exec, s[0:1]
	s_mov_b64 s[18:19], 0
	s_cbranch_vccnz .LBB1557_65
; %bb.57:
	s_waitcnt lgkmcnt(0)
	v_mul_lo_u32 v16, v15, s26
	v_mul_lo_u32 v17, v14, s27
	v_mad_u64_u32 v[14:15], s[2:3], v14, s26, 0
	v_add3_u32 v15, v15, v17, v16
	v_lshlrev_b64 v[14:15], 2, v[14:15]
	v_mov_b32_e32 v17, s29
	v_add_co_u32_e32 v16, vcc, s28, v14
	v_addc_co_u32_e64 v17, s[2:3], v17, v15, vcc
	v_mov_b32_e32 v14, s29
	v_add_co_u32_e64 v18, s[2:3], s28, v12
	v_addc_co_u32_e64 v19, s[8:9], v14, v13, s[2:3]
	global_load_dword v12, v[16:17], off
	global_load_dword v14, v[18:19], off
	s_mov_b64 s[18:19], -1
	s_waitcnt vmcnt(0)
	v_cmp_eq_u32_e64 s[8:9], v12, v14
	s_and_saveexec_b64 s[38:39], s[8:9]
	s_cbranch_execz .LBB1557_64
; %bb.58:
	v_mov_b32_e32 v12, s29
	v_addc_co_u32_e64 v13, s[2:3], v13, v12, s[2:3]
	v_add_co_u32_e64 v12, s[2:3], 4, v18
	v_mov_b32_e32 v14, s29
	v_addc_co_u32_e64 v13, s[2:3], 0, v13, s[2:3]
	v_addc_co_u32_e32 v15, vcc, v15, v14, vcc
	v_add_co_u32_e32 v14, vcc, 4, v16
	s_add_u32 s2, s26, -1
	v_addc_co_u32_e32 v15, vcc, 0, v15, vcc
	s_addc_u32 s3, s27, -1
	s_mov_b64 s[8:9], 0
	s_mov_b64 s[40:41], 0
                                        ; implicit-def: $sgpr18_sgpr19
	s_branch .LBB1557_61
.LBB1557_59:                            ;   in Loop: Header=BB1557_61 Depth=1
	global_load_dword v16, v[14:15], off
	global_load_dword v17, v[12:13], off
	v_add_co_u32_e32 v12, vcc, 4, v12
	v_addc_co_u32_e32 v13, vcc, 0, v13, vcc
	v_add_co_u32_e32 v14, vcc, 4, v14
	v_addc_co_u32_e32 v15, vcc, 0, v15, vcc
	s_add_u32 s40, s40, 1
	s_addc_u32 s41, s41, 0
	s_andn2_b64 s[18:19], s[18:19], exec
	s_waitcnt vmcnt(0)
	v_cmp_ne_u32_e32 vcc, v16, v17
	s_and_b64 s[42:43], vcc, exec
	s_or_b64 s[18:19], s[18:19], s[42:43]
.LBB1557_60:                            ;   in Loop: Header=BB1557_61 Depth=1
	s_and_b64 s[42:43], exec, s[18:19]
	s_or_b64 s[8:9], s[42:43], s[8:9]
	v_pk_mov_b32 v[16:17], s[40:41], s[40:41] op_sel:[0,1]
	s_andn2_b64 exec, exec, s[8:9]
	s_cbranch_execz .LBB1557_63
.LBB1557_61:                            ; =>This Inner Loop Header: Depth=1
	s_or_b64 s[18:19], s[18:19], exec
	s_cmp_eq_u64 s[2:3], s[40:41]
	s_cbranch_scc0 .LBB1557_59
; %bb.62:                               ;   in Loop: Header=BB1557_61 Depth=1
                                        ; implicit-def: $vgpr12_vgpr13
                                        ; implicit-def: $vgpr14_vgpr15
	s_mov_b64 s[40:41], s[26:27]
	s_branch .LBB1557_60
.LBB1557_63:
	s_or_b64 exec, exec, s[8:9]
	v_cmp_gt_i64_e32 vcc, s[26:27], v[16:17]
	s_orn2_b64 s[18:19], vcc, exec
.LBB1557_64:
	s_or_b64 exec, exec, s[38:39]
.LBB1557_65:
	v_cndmask_b32_e64 v13, 0, 1, s[14:15]
	v_or_b32_e32 v16, v26, v27
	s_and_b64 vcc, exec, s[36:37]
	s_cbranch_vccz .LBB1557_124
.LBB1557_66:
	v_cmp_gt_u32_e32 vcc, s7, v23
	s_mov_b64 s[18:19], 0
	s_mov_b64 s[14:15], 0
	s_and_saveexec_b64 s[36:37], vcc
	s_cbranch_execz .LBB1557_77
; %bb.67:
	s_and_b64 vcc, exec, s[0:1]
	s_mov_b64 s[38:39], 0
	s_cbranch_vccnz .LBB1557_76
; %bb.68:
	s_waitcnt lgkmcnt(0)
	v_mul_lo_u32 v14, v5, s26
	v_mul_lo_u32 v15, v4, s27
	v_mad_u64_u32 v[12:13], s[2:3], v4, s26, 0
	v_add3_u32 v13, v13, v15, v14
	v_mul_lo_u32 v14, v11, s26
	v_mul_lo_u32 v15, v10, s27
	v_mad_u64_u32 v[18:19], s[2:3], v10, s26, 0
	v_add3_u32 v19, v19, v15, v14
	v_lshlrev_b64 v[14:15], 2, v[12:13]
	v_mov_b32_e32 v12, s29
	v_add_co_u32_e32 v16, vcc, s28, v14
	v_addc_co_u32_e64 v17, s[2:3], v12, v15, vcc
	v_lshlrev_b64 v[12:13], 2, v[18:19]
	v_mov_b32_e32 v14, s29
	v_add_co_u32_e64 v18, s[2:3], s28, v12
	v_addc_co_u32_e64 v19, s[8:9], v14, v13, s[2:3]
	global_load_dword v12, v[16:17], off
	global_load_dword v14, v[18:19], off
	s_mov_b64 s[38:39], -1
	s_waitcnt vmcnt(0)
	v_cmp_eq_u32_e64 s[8:9], v12, v14
	s_and_saveexec_b64 s[14:15], s[8:9]
	s_cbranch_execz .LBB1557_75
; %bb.69:
	v_mov_b32_e32 v12, s29
	v_addc_co_u32_e64 v13, s[2:3], v13, v12, s[2:3]
	v_add_co_u32_e64 v12, s[2:3], 4, v18
	v_mov_b32_e32 v14, s29
	v_addc_co_u32_e64 v13, s[2:3], 0, v13, s[2:3]
	v_addc_co_u32_e32 v15, vcc, v15, v14, vcc
	v_add_co_u32_e32 v14, vcc, 4, v16
	s_add_u32 s2, s26, -1
	v_addc_co_u32_e32 v15, vcc, 0, v15, vcc
	s_addc_u32 s3, s27, -1
	s_mov_b64 s[8:9], 0
	s_mov_b64 s[40:41], 0
                                        ; implicit-def: $sgpr38_sgpr39
	s_branch .LBB1557_72
.LBB1557_70:                            ;   in Loop: Header=BB1557_72 Depth=1
	global_load_dword v16, v[14:15], off
	global_load_dword v17, v[12:13], off
	v_add_co_u32_e32 v12, vcc, 4, v12
	v_addc_co_u32_e32 v13, vcc, 0, v13, vcc
	v_add_co_u32_e32 v14, vcc, 4, v14
	v_addc_co_u32_e32 v15, vcc, 0, v15, vcc
	s_add_u32 s40, s40, 1
	s_addc_u32 s41, s41, 0
	s_andn2_b64 s[38:39], s[38:39], exec
	s_waitcnt vmcnt(0)
	v_cmp_ne_u32_e32 vcc, v16, v17
	s_and_b64 s[42:43], vcc, exec
	s_or_b64 s[38:39], s[38:39], s[42:43]
.LBB1557_71:                            ;   in Loop: Header=BB1557_72 Depth=1
	s_and_b64 s[42:43], exec, s[38:39]
	s_or_b64 s[8:9], s[42:43], s[8:9]
	v_pk_mov_b32 v[16:17], s[40:41], s[40:41] op_sel:[0,1]
	s_andn2_b64 exec, exec, s[8:9]
	s_cbranch_execz .LBB1557_74
.LBB1557_72:                            ; =>This Inner Loop Header: Depth=1
	s_or_b64 s[38:39], s[38:39], exec
	s_cmp_eq_u64 s[2:3], s[40:41]
	s_cbranch_scc0 .LBB1557_70
; %bb.73:                               ;   in Loop: Header=BB1557_72 Depth=1
                                        ; implicit-def: $vgpr12_vgpr13
                                        ; implicit-def: $vgpr14_vgpr15
	s_mov_b64 s[40:41], s[26:27]
	s_branch .LBB1557_71
.LBB1557_74:
	s_or_b64 exec, exec, s[8:9]
	v_cmp_gt_i64_e32 vcc, s[26:27], v[16:17]
	s_orn2_b64 s[38:39], vcc, exec
.LBB1557_75:
	s_or_b64 exec, exec, s[14:15]
.LBB1557_76:
	s_and_b64 s[14:15], s[38:39], exec
.LBB1557_77:
	s_or_b64 exec, exec, s[36:37]
	v_cmp_gt_u32_e32 vcc, s7, v25
	s_and_saveexec_b64 s[36:37], vcc
	s_cbranch_execz .LBB1557_88
; %bb.78:
	s_and_b64 vcc, exec, s[0:1]
	s_mov_b64 s[38:39], 0
	s_cbranch_vccnz .LBB1557_87
; %bb.79:
	s_waitcnt lgkmcnt(0)
	v_mul_lo_u32 v14, v3, s26
	v_mul_lo_u32 v15, v2, s27
	v_mad_u64_u32 v[12:13], s[2:3], v2, s26, 0
	v_add3_u32 v13, v13, v15, v14
	v_mul_lo_u32 v14, v5, s26
	v_mul_lo_u32 v15, v4, s27
	v_mad_u64_u32 v[18:19], s[2:3], v4, s26, 0
	v_add3_u32 v19, v19, v15, v14
	v_lshlrev_b64 v[14:15], 2, v[12:13]
	v_mov_b32_e32 v12, s29
	v_add_co_u32_e32 v16, vcc, s28, v14
	v_addc_co_u32_e64 v17, s[2:3], v12, v15, vcc
	v_lshlrev_b64 v[12:13], 2, v[18:19]
	v_mov_b32_e32 v14, s29
	v_add_co_u32_e64 v18, s[2:3], s28, v12
	v_addc_co_u32_e64 v19, s[8:9], v14, v13, s[2:3]
	global_load_dword v12, v[16:17], off
	global_load_dword v14, v[18:19], off
	s_mov_b64 s[38:39], -1
	s_waitcnt vmcnt(0)
	v_cmp_eq_u32_e64 s[8:9], v12, v14
	s_and_saveexec_b64 s[18:19], s[8:9]
	s_cbranch_execz .LBB1557_86
; %bb.80:
	v_mov_b32_e32 v12, s29
	v_addc_co_u32_e64 v13, s[2:3], v13, v12, s[2:3]
	v_add_co_u32_e64 v12, s[2:3], 4, v18
	v_mov_b32_e32 v14, s29
	v_addc_co_u32_e64 v13, s[2:3], 0, v13, s[2:3]
	v_addc_co_u32_e32 v15, vcc, v15, v14, vcc
	v_add_co_u32_e32 v14, vcc, 4, v16
	s_add_u32 s2, s26, -1
	v_addc_co_u32_e32 v15, vcc, 0, v15, vcc
	s_addc_u32 s3, s27, -1
	s_mov_b64 s[8:9], 0
	s_mov_b64 s[40:41], 0
                                        ; implicit-def: $sgpr38_sgpr39
	s_branch .LBB1557_83
.LBB1557_81:                            ;   in Loop: Header=BB1557_83 Depth=1
	global_load_dword v16, v[14:15], off
	global_load_dword v17, v[12:13], off
	v_add_co_u32_e32 v12, vcc, 4, v12
	v_addc_co_u32_e32 v13, vcc, 0, v13, vcc
	v_add_co_u32_e32 v14, vcc, 4, v14
	v_addc_co_u32_e32 v15, vcc, 0, v15, vcc
	s_add_u32 s40, s40, 1
	s_addc_u32 s41, s41, 0
	s_andn2_b64 s[38:39], s[38:39], exec
	s_waitcnt vmcnt(0)
	v_cmp_ne_u32_e32 vcc, v16, v17
	s_and_b64 s[42:43], vcc, exec
	s_or_b64 s[38:39], s[38:39], s[42:43]
.LBB1557_82:                            ;   in Loop: Header=BB1557_83 Depth=1
	s_and_b64 s[42:43], exec, s[38:39]
	s_or_b64 s[8:9], s[42:43], s[8:9]
	v_pk_mov_b32 v[16:17], s[40:41], s[40:41] op_sel:[0,1]
	s_andn2_b64 exec, exec, s[8:9]
	s_cbranch_execz .LBB1557_85
.LBB1557_83:                            ; =>This Inner Loop Header: Depth=1
	s_or_b64 s[38:39], s[38:39], exec
	s_cmp_eq_u64 s[2:3], s[40:41]
	s_cbranch_scc0 .LBB1557_81
; %bb.84:                               ;   in Loop: Header=BB1557_83 Depth=1
                                        ; implicit-def: $vgpr12_vgpr13
                                        ; implicit-def: $vgpr14_vgpr15
	s_mov_b64 s[40:41], s[26:27]
	s_branch .LBB1557_82
.LBB1557_85:
	s_or_b64 exec, exec, s[8:9]
	v_cmp_gt_i64_e32 vcc, s[26:27], v[16:17]
	s_orn2_b64 s[38:39], vcc, exec
.LBB1557_86:
	s_or_b64 exec, exec, s[18:19]
.LBB1557_87:
	s_and_b64 s[18:19], s[38:39], exec
.LBB1557_88:
	s_or_b64 exec, exec, s[36:37]
	v_cmp_gt_u32_e32 vcc, s7, v22
	s_mov_b64 s[36:37], 0
	s_mov_b64 s[38:39], 0
	s_and_saveexec_b64 s[40:41], vcc
	s_cbranch_execz .LBB1557_99
; %bb.89:
	s_and_b64 vcc, exec, s[0:1]
	s_mov_b64 s[42:43], 0
	s_cbranch_vccnz .LBB1557_98
; %bb.90:
	s_waitcnt lgkmcnt(0)
	v_mul_lo_u32 v14, v9, s26
	v_mul_lo_u32 v15, v8, s27
	v_mad_u64_u32 v[12:13], s[2:3], v8, s26, 0
	v_add3_u32 v13, v13, v15, v14
	v_mul_lo_u32 v14, v3, s26
	v_mul_lo_u32 v15, v2, s27
	v_mad_u64_u32 v[18:19], s[2:3], v2, s26, 0
	v_add3_u32 v19, v19, v15, v14
	v_lshlrev_b64 v[14:15], 2, v[12:13]
	v_mov_b32_e32 v12, s29
	v_add_co_u32_e32 v16, vcc, s28, v14
	v_addc_co_u32_e64 v17, s[2:3], v12, v15, vcc
	v_lshlrev_b64 v[12:13], 2, v[18:19]
	v_mov_b32_e32 v14, s29
	v_add_co_u32_e64 v18, s[2:3], s28, v12
	v_addc_co_u32_e64 v19, s[8:9], v14, v13, s[2:3]
	global_load_dword v12, v[16:17], off
	global_load_dword v14, v[18:19], off
	s_mov_b64 s[42:43], -1
	s_waitcnt vmcnt(0)
	v_cmp_eq_u32_e64 s[8:9], v12, v14
	s_and_saveexec_b64 s[38:39], s[8:9]
	s_cbranch_execz .LBB1557_97
; %bb.91:
	v_mov_b32_e32 v12, s29
	v_addc_co_u32_e64 v13, s[2:3], v13, v12, s[2:3]
	v_add_co_u32_e64 v12, s[2:3], 4, v18
	v_mov_b32_e32 v14, s29
	v_addc_co_u32_e64 v13, s[2:3], 0, v13, s[2:3]
	v_addc_co_u32_e32 v15, vcc, v15, v14, vcc
	v_add_co_u32_e32 v14, vcc, 4, v16
	s_add_u32 s2, s26, -1
	v_addc_co_u32_e32 v15, vcc, 0, v15, vcc
	s_addc_u32 s3, s27, -1
	s_mov_b64 s[8:9], 0
	s_mov_b64 s[44:45], 0
                                        ; implicit-def: $sgpr42_sgpr43
	s_branch .LBB1557_94
.LBB1557_92:                            ;   in Loop: Header=BB1557_94 Depth=1
	global_load_dword v16, v[14:15], off
	global_load_dword v17, v[12:13], off
	v_add_co_u32_e32 v12, vcc, 4, v12
	v_addc_co_u32_e32 v13, vcc, 0, v13, vcc
	v_add_co_u32_e32 v14, vcc, 4, v14
	v_addc_co_u32_e32 v15, vcc, 0, v15, vcc
	s_add_u32 s44, s44, 1
	s_addc_u32 s45, s45, 0
	s_andn2_b64 s[42:43], s[42:43], exec
	s_waitcnt vmcnt(0)
	v_cmp_ne_u32_e32 vcc, v16, v17
	s_and_b64 s[46:47], vcc, exec
	s_or_b64 s[42:43], s[42:43], s[46:47]
.LBB1557_93:                            ;   in Loop: Header=BB1557_94 Depth=1
	s_and_b64 s[46:47], exec, s[42:43]
	s_or_b64 s[8:9], s[46:47], s[8:9]
	v_pk_mov_b32 v[16:17], s[44:45], s[44:45] op_sel:[0,1]
	s_andn2_b64 exec, exec, s[8:9]
	s_cbranch_execz .LBB1557_96
.LBB1557_94:                            ; =>This Inner Loop Header: Depth=1
	s_or_b64 s[42:43], s[42:43], exec
	s_cmp_eq_u64 s[2:3], s[44:45]
	s_cbranch_scc0 .LBB1557_92
; %bb.95:                               ;   in Loop: Header=BB1557_94 Depth=1
                                        ; implicit-def: $vgpr12_vgpr13
                                        ; implicit-def: $vgpr14_vgpr15
	s_mov_b64 s[44:45], s[26:27]
	s_branch .LBB1557_93
.LBB1557_96:
	s_or_b64 exec, exec, s[8:9]
	v_cmp_gt_i64_e32 vcc, s[26:27], v[16:17]
	s_orn2_b64 s[42:43], vcc, exec
.LBB1557_97:
	s_or_b64 exec, exec, s[38:39]
.LBB1557_98:
	s_and_b64 s[38:39], s[42:43], exec
.LBB1557_99:
	s_or_b64 exec, exec, s[40:41]
	v_cmp_gt_u32_e32 vcc, s7, v24
	s_and_saveexec_b64 s[40:41], vcc
	s_cbranch_execz .LBB1557_110
; %bb.100:
	s_and_b64 vcc, exec, s[0:1]
	s_mov_b64 s[42:43], 0
	s_cbranch_vccnz .LBB1557_109
; %bb.101:
	s_waitcnt lgkmcnt(0)
	v_mul_lo_u32 v14, v7, s26
	v_mul_lo_u32 v15, v6, s27
	v_mad_u64_u32 v[12:13], s[2:3], v6, s26, 0
	v_add3_u32 v13, v13, v15, v14
	v_mul_lo_u32 v14, v9, s26
	v_mul_lo_u32 v15, v8, s27
	v_mad_u64_u32 v[18:19], s[2:3], v8, s26, 0
	v_add3_u32 v19, v19, v15, v14
	v_lshlrev_b64 v[14:15], 2, v[12:13]
	v_mov_b32_e32 v12, s29
	v_add_co_u32_e32 v16, vcc, s28, v14
	v_addc_co_u32_e64 v17, s[2:3], v12, v15, vcc
	v_lshlrev_b64 v[12:13], 2, v[18:19]
	v_mov_b32_e32 v14, s29
	v_add_co_u32_e64 v18, s[2:3], s28, v12
	v_addc_co_u32_e64 v19, s[8:9], v14, v13, s[2:3]
	global_load_dword v12, v[16:17], off
	global_load_dword v14, v[18:19], off
	s_mov_b64 s[42:43], -1
	s_waitcnt vmcnt(0)
	v_cmp_eq_u32_e64 s[8:9], v12, v14
	s_and_saveexec_b64 s[36:37], s[8:9]
	s_cbranch_execz .LBB1557_108
; %bb.102:
	v_mov_b32_e32 v12, s29
	v_addc_co_u32_e64 v13, s[2:3], v13, v12, s[2:3]
	v_add_co_u32_e64 v12, s[2:3], 4, v18
	v_mov_b32_e32 v14, s29
	v_addc_co_u32_e64 v13, s[2:3], 0, v13, s[2:3]
	v_addc_co_u32_e32 v15, vcc, v15, v14, vcc
	v_add_co_u32_e32 v14, vcc, 4, v16
	s_add_u32 s2, s26, -1
	v_addc_co_u32_e32 v15, vcc, 0, v15, vcc
	s_addc_u32 s3, s27, -1
	s_mov_b64 s[8:9], 0
	s_mov_b64 s[44:45], 0
                                        ; implicit-def: $sgpr42_sgpr43
	s_branch .LBB1557_105
.LBB1557_103:                           ;   in Loop: Header=BB1557_105 Depth=1
	global_load_dword v16, v[14:15], off
	global_load_dword v17, v[12:13], off
	v_add_co_u32_e32 v12, vcc, 4, v12
	v_addc_co_u32_e32 v13, vcc, 0, v13, vcc
	v_add_co_u32_e32 v14, vcc, 4, v14
	v_addc_co_u32_e32 v15, vcc, 0, v15, vcc
	s_add_u32 s44, s44, 1
	s_addc_u32 s45, s45, 0
	s_andn2_b64 s[42:43], s[42:43], exec
	s_waitcnt vmcnt(0)
	v_cmp_ne_u32_e32 vcc, v16, v17
	s_and_b64 s[46:47], vcc, exec
	s_or_b64 s[42:43], s[42:43], s[46:47]
.LBB1557_104:                           ;   in Loop: Header=BB1557_105 Depth=1
	s_and_b64 s[46:47], exec, s[42:43]
	s_or_b64 s[8:9], s[46:47], s[8:9]
	v_pk_mov_b32 v[16:17], s[44:45], s[44:45] op_sel:[0,1]
	s_andn2_b64 exec, exec, s[8:9]
	s_cbranch_execz .LBB1557_107
.LBB1557_105:                           ; =>This Inner Loop Header: Depth=1
	s_or_b64 s[42:43], s[42:43], exec
	s_cmp_eq_u64 s[2:3], s[44:45]
	s_cbranch_scc0 .LBB1557_103
; %bb.106:                              ;   in Loop: Header=BB1557_105 Depth=1
                                        ; implicit-def: $vgpr12_vgpr13
                                        ; implicit-def: $vgpr14_vgpr15
	s_mov_b64 s[44:45], s[26:27]
	s_branch .LBB1557_104
.LBB1557_107:
	s_or_b64 exec, exec, s[8:9]
	v_cmp_gt_i64_e32 vcc, s[26:27], v[16:17]
	s_orn2_b64 s[42:43], vcc, exec
.LBB1557_108:
	s_or_b64 exec, exec, s[36:37]
.LBB1557_109:
	s_and_b64 s[36:37], s[42:43], exec
.LBB1557_110:
	s_or_b64 exec, exec, s[40:41]
	v_cmp_ne_u32_e32 vcc, 0, v0
	s_waitcnt lgkmcnt(0)
	v_pk_mov_b32 v[12:13], s[12:13], s[12:13] op_sel:[0,1]
	s_barrier
	s_and_saveexec_b64 s[2:3], vcc
	s_cbranch_execz .LBB1557_112
; %bb.111:
	v_add_u32_e32 v12, -8, v21
	ds_read_b64 v[12:13], v12
.LBB1557_112:
	s_or_b64 exec, exec, s[2:3]
	v_cndmask_b32_e64 v15, 0, 1, s[18:19]
	v_cndmask_b32_e64 v14, 0, 1, s[38:39]
	;; [unrolled: 1-line block ×3, first 2 shown]
	v_lshlrev_b16_e32 v15, 8, v15
	v_cmp_gt_u32_e32 vcc, s7, v1
	v_lshlrev_b16_e32 v21, 8, v16
	v_or_b32_sdwa v26, v14, v15 dst_sel:WORD_1 dst_unused:UNUSED_PAD src0_sel:DWORD src1_sel:DWORD
	s_mov_b64 s[18:19], 0
	s_and_saveexec_b64 s[8:9], vcc
	s_cbranch_execz .LBB1557_123
; %bb.113:
	s_and_b64 vcc, exec, s[0:1]
	s_cbranch_vccnz .LBB1557_122
; %bb.114:
	s_waitcnt lgkmcnt(0)
	v_mul_lo_u32 v14, v13, s26
	v_mul_lo_u32 v15, v12, s27
	v_mad_u64_u32 v[12:13], s[0:1], v12, s26, 0
	v_add3_u32 v13, v13, v15, v14
	v_mul_lo_u32 v14, v7, s26
	v_mul_lo_u32 v15, v6, s27
	v_mad_u64_u32 v[18:19], s[0:1], v6, s26, 0
	v_add3_u32 v19, v19, v15, v14
	v_lshlrev_b64 v[14:15], 2, v[12:13]
	v_mov_b32_e32 v12, s29
	v_add_co_u32_e32 v16, vcc, s28, v14
	v_addc_co_u32_e64 v17, s[0:1], v12, v15, vcc
	v_lshlrev_b64 v[12:13], 2, v[18:19]
	v_mov_b32_e32 v14, s29
	v_add_co_u32_e64 v18, s[0:1], s28, v12
	v_addc_co_u32_e64 v19, s[2:3], v14, v13, s[0:1]
	global_load_dword v12, v[16:17], off
	global_load_dword v14, v[18:19], off
	s_mov_b64 s[18:19], -1
	s_waitcnt vmcnt(0)
	v_cmp_eq_u32_e64 s[2:3], v12, v14
	s_and_saveexec_b64 s[12:13], s[2:3]
	s_cbranch_execz .LBB1557_121
; %bb.115:
	v_mov_b32_e32 v12, s29
	v_addc_co_u32_e64 v13, s[0:1], v13, v12, s[0:1]
	v_add_co_u32_e64 v12, s[0:1], 4, v18
	v_mov_b32_e32 v14, s29
	v_addc_co_u32_e64 v13, s[0:1], 0, v13, s[0:1]
	v_addc_co_u32_e32 v15, vcc, v15, v14, vcc
	v_add_co_u32_e32 v14, vcc, 4, v16
	s_add_u32 s0, s26, -1
	v_addc_co_u32_e32 v15, vcc, 0, v15, vcc
	s_addc_u32 s1, s27, -1
	s_mov_b64 s[2:3], 0
	s_mov_b64 s[36:37], 0
                                        ; implicit-def: $sgpr18_sgpr19
	s_branch .LBB1557_118
.LBB1557_116:                           ;   in Loop: Header=BB1557_118 Depth=1
	global_load_dword v16, v[14:15], off
	global_load_dword v17, v[12:13], off
	v_add_co_u32_e32 v12, vcc, 4, v12
	v_addc_co_u32_e32 v13, vcc, 0, v13, vcc
	v_add_co_u32_e32 v14, vcc, 4, v14
	v_addc_co_u32_e32 v15, vcc, 0, v15, vcc
	s_add_u32 s36, s36, 1
	s_addc_u32 s37, s37, 0
	s_andn2_b64 s[18:19], s[18:19], exec
	s_waitcnt vmcnt(0)
	v_cmp_ne_u32_e32 vcc, v16, v17
	s_and_b64 s[38:39], vcc, exec
	s_or_b64 s[18:19], s[18:19], s[38:39]
.LBB1557_117:                           ;   in Loop: Header=BB1557_118 Depth=1
	s_and_b64 s[38:39], exec, s[18:19]
	s_or_b64 s[2:3], s[38:39], s[2:3]
	v_pk_mov_b32 v[16:17], s[36:37], s[36:37] op_sel:[0,1]
	s_andn2_b64 exec, exec, s[2:3]
	s_cbranch_execz .LBB1557_120
.LBB1557_118:                           ; =>This Inner Loop Header: Depth=1
	s_or_b64 s[18:19], s[18:19], exec
	s_cmp_eq_u64 s[0:1], s[36:37]
	s_cbranch_scc0 .LBB1557_116
; %bb.119:                              ;   in Loop: Header=BB1557_118 Depth=1
                                        ; implicit-def: $vgpr12_vgpr13
                                        ; implicit-def: $vgpr14_vgpr15
	s_mov_b64 s[36:37], s[26:27]
	s_branch .LBB1557_117
.LBB1557_120:
	s_or_b64 exec, exec, s[2:3]
	v_cmp_gt_i64_e32 vcc, s[26:27], v[16:17]
	s_orn2_b64 s[18:19], vcc, exec
.LBB1557_121:
	s_or_b64 exec, exec, s[12:13]
.LBB1557_122:
	s_and_b64 s[18:19], s[18:19], exec
.LBB1557_123:
	s_or_b64 exec, exec, s[8:9]
	s_waitcnt lgkmcnt(0)
	v_cndmask_b32_e64 v13, 0, 1, s[14:15]
	v_or_b32_e32 v16, v21, v26
.LBB1557_124:
	s_waitcnt lgkmcnt(0)
	s_mov_b64 s[12:13], -1
	s_cbranch_execnz .LBB1557_233
.LBB1557_125:
	v_lshlrev_b32_e32 v12, 5, v0
	v_sub_u32_e32 v26, v20, v12
	s_mov_b64 s[18:19], 0
	v_cmp_gt_i64_e64 s[14:15], s[26:27], 0
	s_and_b64 vcc, exec, s[34:35]
	ds_write_b64 v26, v[10:11]
	s_cbranch_vccz .LBB1557_133
; %bb.126:
	v_mul_lo_u32 v14, v5, s26
	v_mul_lo_u32 v15, v4, s27
	v_mad_u64_u32 v[12:13], s[0:1], v4, s26, 0
	v_add3_u32 v13, v13, v15, v14
	v_cndmask_b32_e64 v14, 0, 1, s[14:15]
	v_cmp_ne_u32_e64 s[0:1], 1, v14
	s_andn2_b64 vcc, exec, s[14:15]
	v_lshlrev_b64 v[12:13], 2, v[12:13]
	s_cbranch_vccnz .LBB1557_136
; %bb.127:
	v_mul_lo_u32 v16, v11, s26
	v_mul_lo_u32 v17, v10, s27
	v_mad_u64_u32 v[14:15], s[2:3], v10, s26, 0
	v_add3_u32 v15, v15, v17, v16
	v_mov_b32_e32 v17, s29
	v_add_co_u32_e32 v16, vcc, s28, v12
	v_addc_co_u32_e64 v17, s[2:3], v17, v13, vcc
	v_lshlrev_b64 v[14:15], 2, v[14:15]
	v_mov_b32_e32 v19, s29
	v_add_co_u32_e64 v18, s[2:3], s28, v14
	v_addc_co_u32_e64 v19, s[8:9], v19, v15, s[2:3]
	global_load_dword v14, v[16:17], off
	global_load_dword v20, v[18:19], off
	s_mov_b64 s[18:19], -1
	s_waitcnt vmcnt(0)
	v_cmp_eq_u32_e64 s[8:9], v14, v20
	s_and_saveexec_b64 s[36:37], s[8:9]
	s_cbranch_execz .LBB1557_135
; %bb.128:
	v_mov_b32_e32 v14, s29
	v_addc_co_u32_e64 v15, s[2:3], v15, v14, s[2:3]
	v_add_co_u32_e64 v14, s[2:3], 4, v18
	v_mov_b32_e32 v17, s29
	v_addc_co_u32_e64 v15, s[2:3], 0, v15, s[2:3]
	v_addc_co_u32_e32 v17, vcc, v13, v17, vcc
	v_add_co_u32_e32 v16, vcc, 4, v16
	s_add_u32 s2, s26, -1
	v_addc_co_u32_e32 v17, vcc, 0, v17, vcc
	s_addc_u32 s3, s27, -1
	s_mov_b64 s[8:9], 0
	s_mov_b64 s[38:39], 0
                                        ; implicit-def: $sgpr18_sgpr19
	s_branch .LBB1557_131
.LBB1557_129:                           ;   in Loop: Header=BB1557_131 Depth=1
	global_load_dword v18, v[16:17], off
	global_load_dword v19, v[14:15], off
	v_add_co_u32_e32 v14, vcc, 4, v14
	v_addc_co_u32_e32 v15, vcc, 0, v15, vcc
	v_add_co_u32_e32 v16, vcc, 4, v16
	v_addc_co_u32_e32 v17, vcc, 0, v17, vcc
	s_add_u32 s38, s38, 1
	s_addc_u32 s39, s39, 0
	s_andn2_b64 s[18:19], s[18:19], exec
	s_waitcnt vmcnt(0)
	v_cmp_ne_u32_e32 vcc, v18, v19
	s_and_b64 s[40:41], vcc, exec
	s_or_b64 s[18:19], s[18:19], s[40:41]
.LBB1557_130:                           ;   in Loop: Header=BB1557_131 Depth=1
	s_and_b64 s[40:41], exec, s[18:19]
	s_or_b64 s[8:9], s[40:41], s[8:9]
	v_pk_mov_b32 v[18:19], s[38:39], s[38:39] op_sel:[0,1]
	s_andn2_b64 exec, exec, s[8:9]
	s_cbranch_execz .LBB1557_134
.LBB1557_131:                           ; =>This Inner Loop Header: Depth=1
	s_or_b64 s[18:19], s[18:19], exec
	s_cmp_eq_u64 s[2:3], s[38:39]
	s_cbranch_scc0 .LBB1557_129
; %bb.132:                              ;   in Loop: Header=BB1557_131 Depth=1
                                        ; implicit-def: $vgpr14_vgpr15
                                        ; implicit-def: $vgpr16_vgpr17
	s_mov_b64 s[38:39], s[26:27]
	s_branch .LBB1557_130
.LBB1557_133:
                                        ; implicit-def: $sgpr18_sgpr19
                                        ; implicit-def: $vgpr13
                                        ; implicit-def: $vgpr16
	s_cbranch_execnz .LBB1557_175
	s_branch .LBB1557_233
.LBB1557_134:
	s_or_b64 exec, exec, s[8:9]
	v_cmp_gt_i64_e32 vcc, s[26:27], v[18:19]
	s_orn2_b64 s[18:19], vcc, exec
.LBB1557_135:
	s_or_b64 exec, exec, s[36:37]
.LBB1557_136:
	v_mul_lo_u32 v16, v3, s26
	v_mul_lo_u32 v17, v2, s27
	v_mad_u64_u32 v[14:15], s[2:3], v2, s26, 0
	v_add3_u32 v15, v15, v17, v16
	s_mov_b64 s[36:37], 0
	s_and_b64 vcc, exec, s[0:1]
	v_lshlrev_b64 v[14:15], 2, v[14:15]
	s_mov_b64 s[38:39], 0
	s_cbranch_vccnz .LBB1557_145
; %bb.137:
	v_mov_b32_e32 v17, s29
	v_add_co_u32_e32 v16, vcc, s28, v14
	v_addc_co_u32_e64 v17, s[2:3], v17, v15, vcc
	v_mov_b32_e32 v19, s29
	v_add_co_u32_e64 v18, s[2:3], s28, v12
	v_addc_co_u32_e64 v19, s[8:9], v19, v13, s[2:3]
	global_load_dword v12, v[16:17], off
	global_load_dword v20, v[18:19], off
	s_mov_b64 s[38:39], -1
	s_waitcnt vmcnt(0)
	v_cmp_eq_u32_e64 s[8:9], v12, v20
	s_and_saveexec_b64 s[40:41], s[8:9]
	s_cbranch_execz .LBB1557_144
; %bb.138:
	v_mov_b32_e32 v12, s29
	v_addc_co_u32_e64 v13, s[2:3], v13, v12, s[2:3]
	v_add_co_u32_e64 v12, s[2:3], 4, v18
	v_mov_b32_e32 v17, s29
	v_addc_co_u32_e64 v13, s[2:3], 0, v13, s[2:3]
	v_addc_co_u32_e32 v17, vcc, v15, v17, vcc
	v_add_co_u32_e32 v16, vcc, 4, v16
	s_add_u32 s2, s26, -1
	v_addc_co_u32_e32 v17, vcc, 0, v17, vcc
	s_addc_u32 s3, s27, -1
	s_mov_b64 s[8:9], 0
	s_mov_b64 s[42:43], 0
                                        ; implicit-def: $sgpr38_sgpr39
	s_branch .LBB1557_141
.LBB1557_139:                           ;   in Loop: Header=BB1557_141 Depth=1
	global_load_dword v18, v[16:17], off
	global_load_dword v19, v[12:13], off
	v_add_co_u32_e32 v12, vcc, 4, v12
	v_addc_co_u32_e32 v13, vcc, 0, v13, vcc
	v_add_co_u32_e32 v16, vcc, 4, v16
	v_addc_co_u32_e32 v17, vcc, 0, v17, vcc
	s_add_u32 s42, s42, 1
	s_addc_u32 s43, s43, 0
	s_andn2_b64 s[38:39], s[38:39], exec
	s_waitcnt vmcnt(0)
	v_cmp_ne_u32_e32 vcc, v18, v19
	s_and_b64 s[44:45], vcc, exec
	s_or_b64 s[38:39], s[38:39], s[44:45]
.LBB1557_140:                           ;   in Loop: Header=BB1557_141 Depth=1
	s_and_b64 s[44:45], exec, s[38:39]
	s_or_b64 s[8:9], s[44:45], s[8:9]
	v_pk_mov_b32 v[18:19], s[42:43], s[42:43] op_sel:[0,1]
	s_andn2_b64 exec, exec, s[8:9]
	s_cbranch_execz .LBB1557_143
.LBB1557_141:                           ; =>This Inner Loop Header: Depth=1
	s_or_b64 s[38:39], s[38:39], exec
	s_cmp_eq_u64 s[2:3], s[42:43]
	s_cbranch_scc0 .LBB1557_139
; %bb.142:                              ;   in Loop: Header=BB1557_141 Depth=1
                                        ; implicit-def: $vgpr12_vgpr13
                                        ; implicit-def: $vgpr16_vgpr17
	s_mov_b64 s[42:43], s[26:27]
	s_branch .LBB1557_140
.LBB1557_143:
	s_or_b64 exec, exec, s[8:9]
	v_cmp_gt_i64_e32 vcc, s[26:27], v[18:19]
	s_orn2_b64 s[38:39], vcc, exec
.LBB1557_144:
	s_or_b64 exec, exec, s[40:41]
.LBB1557_145:
	v_mul_lo_u32 v16, v9, s26
	v_mul_lo_u32 v17, v8, s27
	v_mad_u64_u32 v[12:13], s[2:3], v8, s26, 0
	v_add3_u32 v13, v13, v17, v16
	s_and_b64 vcc, exec, s[0:1]
	v_lshlrev_b64 v[12:13], 2, v[12:13]
	s_cbranch_vccnz .LBB1557_154
; %bb.146:
	v_mov_b32_e32 v17, s29
	v_add_co_u32_e32 v16, vcc, s28, v12
	v_addc_co_u32_e64 v17, s[2:3], v17, v13, vcc
	v_mov_b32_e32 v19, s29
	v_add_co_u32_e64 v18, s[2:3], s28, v14
	v_addc_co_u32_e64 v19, s[8:9], v19, v15, s[2:3]
	global_load_dword v14, v[16:17], off
	global_load_dword v20, v[18:19], off
	s_mov_b64 s[36:37], -1
	s_waitcnt vmcnt(0)
	v_cmp_eq_u32_e64 s[8:9], v14, v20
	s_and_saveexec_b64 s[40:41], s[8:9]
	s_cbranch_execz .LBB1557_153
; %bb.147:
	v_mov_b32_e32 v14, s29
	v_addc_co_u32_e64 v15, s[2:3], v15, v14, s[2:3]
	v_add_co_u32_e64 v14, s[2:3], 4, v18
	v_mov_b32_e32 v17, s29
	v_addc_co_u32_e64 v15, s[2:3], 0, v15, s[2:3]
	v_addc_co_u32_e32 v17, vcc, v13, v17, vcc
	v_add_co_u32_e32 v16, vcc, 4, v16
	s_add_u32 s2, s26, -1
	v_addc_co_u32_e32 v17, vcc, 0, v17, vcc
	s_addc_u32 s3, s27, -1
	s_mov_b64 s[8:9], 0
	s_mov_b64 s[42:43], 0
                                        ; implicit-def: $sgpr36_sgpr37
	s_branch .LBB1557_150
.LBB1557_148:                           ;   in Loop: Header=BB1557_150 Depth=1
	global_load_dword v18, v[16:17], off
	global_load_dword v19, v[14:15], off
	v_add_co_u32_e32 v14, vcc, 4, v14
	v_addc_co_u32_e32 v15, vcc, 0, v15, vcc
	v_add_co_u32_e32 v16, vcc, 4, v16
	v_addc_co_u32_e32 v17, vcc, 0, v17, vcc
	s_add_u32 s42, s42, 1
	s_addc_u32 s43, s43, 0
	s_andn2_b64 s[36:37], s[36:37], exec
	s_waitcnt vmcnt(0)
	v_cmp_ne_u32_e32 vcc, v18, v19
	s_and_b64 s[44:45], vcc, exec
	s_or_b64 s[36:37], s[36:37], s[44:45]
.LBB1557_149:                           ;   in Loop: Header=BB1557_150 Depth=1
	s_and_b64 s[44:45], exec, s[36:37]
	s_or_b64 s[8:9], s[44:45], s[8:9]
	v_pk_mov_b32 v[18:19], s[42:43], s[42:43] op_sel:[0,1]
	s_andn2_b64 exec, exec, s[8:9]
	s_cbranch_execz .LBB1557_152
.LBB1557_150:                           ; =>This Inner Loop Header: Depth=1
	s_or_b64 s[36:37], s[36:37], exec
	s_cmp_eq_u64 s[2:3], s[42:43]
	s_cbranch_scc0 .LBB1557_148
; %bb.151:                              ;   in Loop: Header=BB1557_150 Depth=1
                                        ; implicit-def: $vgpr14_vgpr15
                                        ; implicit-def: $vgpr16_vgpr17
	s_mov_b64 s[42:43], s[26:27]
	s_branch .LBB1557_149
.LBB1557_152:
	s_or_b64 exec, exec, s[8:9]
	v_cmp_gt_i64_e32 vcc, s[26:27], v[18:19]
	s_orn2_b64 s[36:37], vcc, exec
.LBB1557_153:
	s_or_b64 exec, exec, s[40:41]
.LBB1557_154:
	v_mul_lo_u32 v16, v7, s26
	v_mul_lo_u32 v17, v6, s27
	v_mad_u64_u32 v[14:15], s[2:3], v6, s26, 0
	v_add3_u32 v15, v15, v17, v16
	s_and_b64 vcc, exec, s[0:1]
	s_mov_b64 s[42:43], 0
	s_cbranch_vccnz .LBB1557_163
; %bb.155:
	v_lshlrev_b64 v[16:17], 2, v[14:15]
	v_mov_b32_e32 v19, s29
	v_add_co_u32_e32 v18, vcc, s28, v16
	v_addc_co_u32_e64 v19, s[2:3], v19, v17, vcc
	v_mov_b32_e32 v16, s29
	v_add_co_u32_e64 v20, s[2:3], s28, v12
	v_addc_co_u32_e64 v21, s[8:9], v16, v13, s[2:3]
	global_load_dword v12, v[18:19], off
	global_load_dword v16, v[20:21], off
	s_mov_b64 s[42:43], -1
	s_waitcnt vmcnt(0)
	v_cmp_eq_u32_e64 s[8:9], v12, v16
	s_and_saveexec_b64 s[40:41], s[8:9]
	s_cbranch_execz .LBB1557_162
; %bb.156:
	v_mov_b32_e32 v12, s29
	v_addc_co_u32_e64 v13, s[2:3], v13, v12, s[2:3]
	v_add_co_u32_e64 v12, s[2:3], 4, v20
	v_mov_b32_e32 v16, s29
	v_addc_co_u32_e64 v13, s[2:3], 0, v13, s[2:3]
	v_addc_co_u32_e32 v17, vcc, v17, v16, vcc
	v_add_co_u32_e32 v16, vcc, 4, v18
	s_add_u32 s2, s26, -1
	v_addc_co_u32_e32 v17, vcc, 0, v17, vcc
	s_addc_u32 s3, s27, -1
	s_mov_b64 s[8:9], 0
	s_mov_b64 s[44:45], 0
                                        ; implicit-def: $sgpr42_sgpr43
	s_branch .LBB1557_159
.LBB1557_157:                           ;   in Loop: Header=BB1557_159 Depth=1
	global_load_dword v18, v[16:17], off
	global_load_dword v19, v[12:13], off
	v_add_co_u32_e32 v12, vcc, 4, v12
	v_addc_co_u32_e32 v13, vcc, 0, v13, vcc
	v_add_co_u32_e32 v16, vcc, 4, v16
	v_addc_co_u32_e32 v17, vcc, 0, v17, vcc
	s_add_u32 s44, s44, 1
	s_addc_u32 s45, s45, 0
	s_andn2_b64 s[42:43], s[42:43], exec
	s_waitcnt vmcnt(0)
	v_cmp_ne_u32_e32 vcc, v18, v19
	s_and_b64 s[46:47], vcc, exec
	s_or_b64 s[42:43], s[42:43], s[46:47]
.LBB1557_158:                           ;   in Loop: Header=BB1557_159 Depth=1
	s_and_b64 s[46:47], exec, s[42:43]
	s_or_b64 s[8:9], s[46:47], s[8:9]
	v_pk_mov_b32 v[18:19], s[44:45], s[44:45] op_sel:[0,1]
	s_andn2_b64 exec, exec, s[8:9]
	s_cbranch_execz .LBB1557_161
.LBB1557_159:                           ; =>This Inner Loop Header: Depth=1
	s_or_b64 s[42:43], s[42:43], exec
	s_cmp_eq_u64 s[2:3], s[44:45]
	s_cbranch_scc0 .LBB1557_157
; %bb.160:                              ;   in Loop: Header=BB1557_159 Depth=1
                                        ; implicit-def: $vgpr12_vgpr13
                                        ; implicit-def: $vgpr16_vgpr17
	s_mov_b64 s[44:45], s[26:27]
	s_branch .LBB1557_158
.LBB1557_161:
	s_or_b64 exec, exec, s[8:9]
	v_cmp_gt_i64_e32 vcc, s[26:27], v[18:19]
	s_orn2_b64 s[42:43], vcc, exec
.LBB1557_162:
	s_or_b64 exec, exec, s[40:41]
.LBB1557_163:
	v_cndmask_b32_e64 v13, 0, 1, s[38:39]
	v_cndmask_b32_e64 v16, 0, 1, s[42:43]
	v_cndmask_b32_e64 v12, 0, 1, s[36:37]
	v_lshlrev_b16_e32 v16, 8, v16
	v_lshlrev_b16_e32 v13, 8, v13
	v_or_b32_e32 v16, 1, v16
	v_or_b32_sdwa v12, v12, v13 dst_sel:WORD_1 dst_unused:UNUSED_PAD src0_sel:DWORD src1_sel:DWORD
	v_or_b32_sdwa v12, v16, v12 dst_sel:DWORD dst_unused:UNUSED_PAD src0_sel:WORD_0 src1_sel:DWORD
	v_cndmask_b32_e64 v13, 0, 1, s[18:19]
	v_cmp_ne_u32_e32 vcc, 0, v0
	s_waitcnt lgkmcnt(0)
	s_barrier
	s_waitcnt lgkmcnt(0)
                                        ; implicit-def: $sgpr18_sgpr19
                                        ; implicit-def: $vgpr16
	s_and_saveexec_b64 s[2:3], vcc
	s_xor_b64 s[8:9], exec, s[2:3]
	s_cbranch_execz .LBB1557_174
; %bb.164:
	s_mov_b32 s33, 0x3020104
	s_and_b64 vcc, exec, s[0:1]
	s_mov_b64 s[36:37], 0
	s_cbranch_vccnz .LBB1557_173
; %bb.165:
	v_add_u32_e32 v16, -8, v26
	ds_read_b64 v[16:17], v16
	v_mov_b32_e32 v19, s29
	v_lshlrev_b64 v[14:15], 2, v[14:15]
	s_mov_b64 s[36:37], -1
	s_waitcnt lgkmcnt(0)
	v_mul_lo_u32 v18, v17, s26
	v_mul_lo_u32 v20, v16, s27
	v_mad_u64_u32 v[16:17], s[0:1], v16, s26, 0
	v_add3_u32 v17, v17, v20, v18
	v_lshlrev_b64 v[16:17], 2, v[16:17]
	v_add_co_u32_e32 v18, vcc, s28, v16
	v_addc_co_u32_e64 v19, s[0:1], v19, v17, vcc
	v_mov_b32_e32 v16, s29
	v_add_co_u32_e64 v20, s[0:1], s28, v14
	v_addc_co_u32_e64 v21, s[2:3], v16, v15, s[0:1]
	global_load_dword v14, v[18:19], off
	global_load_dword v16, v[20:21], off
	s_waitcnt vmcnt(0)
	v_cmp_eq_u32_e64 s[2:3], v14, v16
	s_and_saveexec_b64 s[18:19], s[2:3]
	s_cbranch_execz .LBB1557_172
; %bb.166:
	v_mov_b32_e32 v14, s29
	v_addc_co_u32_e64 v15, s[0:1], v15, v14, s[0:1]
	v_add_co_u32_e64 v14, s[0:1], 4, v20
	v_mov_b32_e32 v16, s29
	v_addc_co_u32_e64 v15, s[0:1], 0, v15, s[0:1]
	v_addc_co_u32_e32 v17, vcc, v17, v16, vcc
	v_add_co_u32_e32 v16, vcc, 4, v18
	s_add_u32 s0, s26, -1
	v_addc_co_u32_e32 v17, vcc, 0, v17, vcc
	s_addc_u32 s1, s27, -1
	s_mov_b64 s[2:3], 0
	s_mov_b64 s[38:39], 0
                                        ; implicit-def: $sgpr36_sgpr37
	s_branch .LBB1557_169
.LBB1557_167:                           ;   in Loop: Header=BB1557_169 Depth=1
	global_load_dword v18, v[16:17], off
	global_load_dword v19, v[14:15], off
	v_add_co_u32_e32 v14, vcc, 4, v14
	v_addc_co_u32_e32 v15, vcc, 0, v15, vcc
	v_add_co_u32_e32 v16, vcc, 4, v16
	v_addc_co_u32_e32 v17, vcc, 0, v17, vcc
	s_add_u32 s38, s38, 1
	s_addc_u32 s39, s39, 0
	s_andn2_b64 s[36:37], s[36:37], exec
	s_waitcnt vmcnt(0)
	v_cmp_ne_u32_e32 vcc, v18, v19
	s_and_b64 s[40:41], vcc, exec
	s_or_b64 s[36:37], s[36:37], s[40:41]
.LBB1557_168:                           ;   in Loop: Header=BB1557_169 Depth=1
	s_and_b64 s[40:41], exec, s[36:37]
	s_or_b64 s[2:3], s[40:41], s[2:3]
	v_pk_mov_b32 v[18:19], s[38:39], s[38:39] op_sel:[0,1]
	s_andn2_b64 exec, exec, s[2:3]
	s_cbranch_execz .LBB1557_171
.LBB1557_169:                           ; =>This Inner Loop Header: Depth=1
	s_or_b64 s[36:37], s[36:37], exec
	s_cmp_eq_u64 s[0:1], s[38:39]
	s_cbranch_scc0 .LBB1557_167
; %bb.170:                              ;   in Loop: Header=BB1557_169 Depth=1
                                        ; implicit-def: $vgpr14_vgpr15
                                        ; implicit-def: $vgpr16_vgpr17
	s_mov_b64 s[38:39], s[26:27]
	s_branch .LBB1557_168
.LBB1557_171:
	s_or_b64 exec, exec, s[2:3]
	v_cmp_gt_i64_e32 vcc, s[26:27], v[18:19]
	s_orn2_b64 s[36:37], vcc, exec
.LBB1557_172:
	s_or_b64 exec, exec, s[18:19]
.LBB1557_173:
	v_perm_b32 v16, v12, v12, s33
	s_and_b64 s[18:19], s[36:37], exec
	s_or_b64 s[12:13], s[12:13], exec
.LBB1557_174:
	s_or_b64 exec, exec, s[8:9]
	s_branch .LBB1557_233
.LBB1557_175:
	v_cmp_gt_u32_e32 vcc, s7, v23
	s_mov_b64 s[18:19], 0
	s_mov_b64 s[8:9], 0
	s_and_saveexec_b64 s[36:37], vcc
	s_cbranch_execz .LBB1557_186
; %bb.176:
	s_andn2_b64 vcc, exec, s[14:15]
	s_mov_b64 s[38:39], 0
	s_cbranch_vccnz .LBB1557_185
; %bb.177:
	v_mul_lo_u32 v14, v5, s26
	v_mul_lo_u32 v15, v4, s27
	v_mad_u64_u32 v[12:13], s[0:1], v4, s26, 0
	v_add3_u32 v13, v13, v15, v14
	v_mul_lo_u32 v14, v11, s26
	v_mul_lo_u32 v15, v10, s27
	v_mad_u64_u32 v[18:19], s[0:1], v10, s26, 0
	v_add3_u32 v19, v19, v15, v14
	v_lshlrev_b64 v[14:15], 2, v[12:13]
	v_mov_b32_e32 v12, s29
	v_add_co_u32_e32 v16, vcc, s28, v14
	v_addc_co_u32_e64 v17, s[0:1], v12, v15, vcc
	v_lshlrev_b64 v[12:13], 2, v[18:19]
	v_mov_b32_e32 v14, s29
	v_add_co_u32_e64 v18, s[0:1], s28, v12
	v_addc_co_u32_e64 v19, s[2:3], v14, v13, s[0:1]
	global_load_dword v12, v[16:17], off
	global_load_dword v14, v[18:19], off
	s_mov_b64 s[38:39], -1
	s_waitcnt vmcnt(0)
	v_cmp_eq_u32_e64 s[2:3], v12, v14
	s_and_saveexec_b64 s[8:9], s[2:3]
	s_cbranch_execz .LBB1557_184
; %bb.178:
	v_mov_b32_e32 v12, s29
	v_addc_co_u32_e64 v13, s[0:1], v13, v12, s[0:1]
	v_add_co_u32_e64 v12, s[0:1], 4, v18
	v_mov_b32_e32 v14, s29
	v_addc_co_u32_e64 v13, s[0:1], 0, v13, s[0:1]
	v_addc_co_u32_e32 v15, vcc, v15, v14, vcc
	v_add_co_u32_e32 v14, vcc, 4, v16
	s_add_u32 s0, s26, -1
	v_addc_co_u32_e32 v15, vcc, 0, v15, vcc
	s_addc_u32 s1, s27, -1
	s_mov_b64 s[2:3], 0
	s_mov_b64 s[40:41], 0
                                        ; implicit-def: $sgpr38_sgpr39
	s_branch .LBB1557_181
.LBB1557_179:                           ;   in Loop: Header=BB1557_181 Depth=1
	global_load_dword v16, v[14:15], off
	global_load_dword v17, v[12:13], off
	v_add_co_u32_e32 v12, vcc, 4, v12
	v_addc_co_u32_e32 v13, vcc, 0, v13, vcc
	v_add_co_u32_e32 v14, vcc, 4, v14
	v_addc_co_u32_e32 v15, vcc, 0, v15, vcc
	s_add_u32 s40, s40, 1
	s_addc_u32 s41, s41, 0
	s_andn2_b64 s[38:39], s[38:39], exec
	s_waitcnt vmcnt(0)
	v_cmp_ne_u32_e32 vcc, v16, v17
	s_and_b64 s[42:43], vcc, exec
	s_or_b64 s[38:39], s[38:39], s[42:43]
.LBB1557_180:                           ;   in Loop: Header=BB1557_181 Depth=1
	s_and_b64 s[42:43], exec, s[38:39]
	s_or_b64 s[2:3], s[42:43], s[2:3]
	v_pk_mov_b32 v[16:17], s[40:41], s[40:41] op_sel:[0,1]
	s_andn2_b64 exec, exec, s[2:3]
	s_cbranch_execz .LBB1557_183
.LBB1557_181:                           ; =>This Inner Loop Header: Depth=1
	s_or_b64 s[38:39], s[38:39], exec
	s_cmp_eq_u64 s[0:1], s[40:41]
	s_cbranch_scc0 .LBB1557_179
; %bb.182:                              ;   in Loop: Header=BB1557_181 Depth=1
                                        ; implicit-def: $vgpr12_vgpr13
                                        ; implicit-def: $vgpr14_vgpr15
	s_mov_b64 s[40:41], s[26:27]
	s_branch .LBB1557_180
.LBB1557_183:
	s_or_b64 exec, exec, s[2:3]
	v_cmp_gt_i64_e32 vcc, s[26:27], v[16:17]
	s_orn2_b64 s[38:39], vcc, exec
.LBB1557_184:
	s_or_b64 exec, exec, s[8:9]
.LBB1557_185:
	s_and_b64 s[8:9], s[38:39], exec
.LBB1557_186:
	s_or_b64 exec, exec, s[36:37]
	v_cmp_gt_u32_e32 vcc, s7, v25
	s_and_saveexec_b64 s[36:37], vcc
	s_cbranch_execz .LBB1557_197
; %bb.187:
	s_andn2_b64 vcc, exec, s[14:15]
	s_mov_b64 s[38:39], 0
	s_cbranch_vccnz .LBB1557_196
; %bb.188:
	v_mul_lo_u32 v14, v3, s26
	v_mul_lo_u32 v15, v2, s27
	v_mad_u64_u32 v[12:13], s[0:1], v2, s26, 0
	v_add3_u32 v13, v13, v15, v14
	v_mul_lo_u32 v14, v5, s26
	v_mul_lo_u32 v15, v4, s27
	v_mad_u64_u32 v[18:19], s[0:1], v4, s26, 0
	v_add3_u32 v19, v19, v15, v14
	v_lshlrev_b64 v[14:15], 2, v[12:13]
	v_mov_b32_e32 v12, s29
	v_add_co_u32_e32 v16, vcc, s28, v14
	v_addc_co_u32_e64 v17, s[0:1], v12, v15, vcc
	v_lshlrev_b64 v[12:13], 2, v[18:19]
	v_mov_b32_e32 v14, s29
	v_add_co_u32_e64 v18, s[0:1], s28, v12
	v_addc_co_u32_e64 v19, s[2:3], v14, v13, s[0:1]
	global_load_dword v12, v[16:17], off
	global_load_dword v14, v[18:19], off
	s_mov_b64 s[38:39], -1
	s_waitcnt vmcnt(0)
	v_cmp_eq_u32_e64 s[2:3], v12, v14
	s_and_saveexec_b64 s[18:19], s[2:3]
	s_cbranch_execz .LBB1557_195
; %bb.189:
	v_mov_b32_e32 v12, s29
	v_addc_co_u32_e64 v13, s[0:1], v13, v12, s[0:1]
	v_add_co_u32_e64 v12, s[0:1], 4, v18
	v_mov_b32_e32 v14, s29
	v_addc_co_u32_e64 v13, s[0:1], 0, v13, s[0:1]
	v_addc_co_u32_e32 v15, vcc, v15, v14, vcc
	v_add_co_u32_e32 v14, vcc, 4, v16
	s_add_u32 s0, s26, -1
	v_addc_co_u32_e32 v15, vcc, 0, v15, vcc
	s_addc_u32 s1, s27, -1
	s_mov_b64 s[2:3], 0
	s_mov_b64 s[40:41], 0
                                        ; implicit-def: $sgpr38_sgpr39
	s_branch .LBB1557_192
.LBB1557_190:                           ;   in Loop: Header=BB1557_192 Depth=1
	global_load_dword v16, v[14:15], off
	global_load_dword v17, v[12:13], off
	v_add_co_u32_e32 v12, vcc, 4, v12
	v_addc_co_u32_e32 v13, vcc, 0, v13, vcc
	v_add_co_u32_e32 v14, vcc, 4, v14
	v_addc_co_u32_e32 v15, vcc, 0, v15, vcc
	s_add_u32 s40, s40, 1
	s_addc_u32 s41, s41, 0
	s_andn2_b64 s[38:39], s[38:39], exec
	s_waitcnt vmcnt(0)
	v_cmp_ne_u32_e32 vcc, v16, v17
	s_and_b64 s[42:43], vcc, exec
	s_or_b64 s[38:39], s[38:39], s[42:43]
.LBB1557_191:                           ;   in Loop: Header=BB1557_192 Depth=1
	s_and_b64 s[42:43], exec, s[38:39]
	s_or_b64 s[2:3], s[42:43], s[2:3]
	v_pk_mov_b32 v[16:17], s[40:41], s[40:41] op_sel:[0,1]
	s_andn2_b64 exec, exec, s[2:3]
	s_cbranch_execz .LBB1557_194
.LBB1557_192:                           ; =>This Inner Loop Header: Depth=1
	s_or_b64 s[38:39], s[38:39], exec
	s_cmp_eq_u64 s[0:1], s[40:41]
	s_cbranch_scc0 .LBB1557_190
; %bb.193:                              ;   in Loop: Header=BB1557_192 Depth=1
                                        ; implicit-def: $vgpr12_vgpr13
                                        ; implicit-def: $vgpr14_vgpr15
	s_mov_b64 s[40:41], s[26:27]
	s_branch .LBB1557_191
.LBB1557_194:
	s_or_b64 exec, exec, s[2:3]
	v_cmp_gt_i64_e32 vcc, s[26:27], v[16:17]
	s_orn2_b64 s[38:39], vcc, exec
.LBB1557_195:
	s_or_b64 exec, exec, s[18:19]
.LBB1557_196:
	s_and_b64 s[18:19], s[38:39], exec
.LBB1557_197:
	s_or_b64 exec, exec, s[36:37]
	v_cmp_gt_u32_e32 vcc, s7, v22
	s_mov_b64 s[36:37], 0
	s_mov_b64 s[38:39], 0
	s_and_saveexec_b64 s[40:41], vcc
	s_cbranch_execz .LBB1557_208
; %bb.198:
	s_andn2_b64 vcc, exec, s[14:15]
	s_mov_b64 s[42:43], 0
	s_cbranch_vccnz .LBB1557_207
; %bb.199:
	v_mul_lo_u32 v14, v9, s26
	v_mul_lo_u32 v15, v8, s27
	v_mad_u64_u32 v[12:13], s[0:1], v8, s26, 0
	v_add3_u32 v13, v13, v15, v14
	v_mul_lo_u32 v14, v3, s26
	v_mul_lo_u32 v15, v2, s27
	v_mad_u64_u32 v[18:19], s[0:1], v2, s26, 0
	v_add3_u32 v19, v19, v15, v14
	v_lshlrev_b64 v[14:15], 2, v[12:13]
	v_mov_b32_e32 v12, s29
	v_add_co_u32_e32 v16, vcc, s28, v14
	v_addc_co_u32_e64 v17, s[0:1], v12, v15, vcc
	v_lshlrev_b64 v[12:13], 2, v[18:19]
	v_mov_b32_e32 v14, s29
	v_add_co_u32_e64 v18, s[0:1], s28, v12
	v_addc_co_u32_e64 v19, s[2:3], v14, v13, s[0:1]
	global_load_dword v12, v[16:17], off
	global_load_dword v14, v[18:19], off
	s_mov_b64 s[42:43], -1
	s_waitcnt vmcnt(0)
	v_cmp_eq_u32_e64 s[2:3], v12, v14
	s_and_saveexec_b64 s[38:39], s[2:3]
	s_cbranch_execz .LBB1557_206
; %bb.200:
	v_mov_b32_e32 v12, s29
	v_addc_co_u32_e64 v13, s[0:1], v13, v12, s[0:1]
	v_add_co_u32_e64 v12, s[0:1], 4, v18
	v_mov_b32_e32 v14, s29
	v_addc_co_u32_e64 v13, s[0:1], 0, v13, s[0:1]
	v_addc_co_u32_e32 v15, vcc, v15, v14, vcc
	v_add_co_u32_e32 v14, vcc, 4, v16
	s_add_u32 s0, s26, -1
	v_addc_co_u32_e32 v15, vcc, 0, v15, vcc
	s_addc_u32 s1, s27, -1
	s_mov_b64 s[2:3], 0
	s_mov_b64 s[44:45], 0
                                        ; implicit-def: $sgpr42_sgpr43
	s_branch .LBB1557_203
.LBB1557_201:                           ;   in Loop: Header=BB1557_203 Depth=1
	global_load_dword v16, v[14:15], off
	global_load_dword v17, v[12:13], off
	v_add_co_u32_e32 v12, vcc, 4, v12
	v_addc_co_u32_e32 v13, vcc, 0, v13, vcc
	v_add_co_u32_e32 v14, vcc, 4, v14
	v_addc_co_u32_e32 v15, vcc, 0, v15, vcc
	s_add_u32 s44, s44, 1
	s_addc_u32 s45, s45, 0
	s_andn2_b64 s[42:43], s[42:43], exec
	s_waitcnt vmcnt(0)
	v_cmp_ne_u32_e32 vcc, v16, v17
	s_and_b64 s[46:47], vcc, exec
	s_or_b64 s[42:43], s[42:43], s[46:47]
.LBB1557_202:                           ;   in Loop: Header=BB1557_203 Depth=1
	s_and_b64 s[46:47], exec, s[42:43]
	s_or_b64 s[2:3], s[46:47], s[2:3]
	v_pk_mov_b32 v[16:17], s[44:45], s[44:45] op_sel:[0,1]
	s_andn2_b64 exec, exec, s[2:3]
	s_cbranch_execz .LBB1557_205
.LBB1557_203:                           ; =>This Inner Loop Header: Depth=1
	s_or_b64 s[42:43], s[42:43], exec
	s_cmp_eq_u64 s[0:1], s[44:45]
	s_cbranch_scc0 .LBB1557_201
; %bb.204:                              ;   in Loop: Header=BB1557_203 Depth=1
                                        ; implicit-def: $vgpr12_vgpr13
                                        ; implicit-def: $vgpr14_vgpr15
	s_mov_b64 s[44:45], s[26:27]
	s_branch .LBB1557_202
.LBB1557_205:
	s_or_b64 exec, exec, s[2:3]
	v_cmp_gt_i64_e32 vcc, s[26:27], v[16:17]
	s_orn2_b64 s[42:43], vcc, exec
.LBB1557_206:
	s_or_b64 exec, exec, s[38:39]
.LBB1557_207:
	s_and_b64 s[38:39], s[42:43], exec
.LBB1557_208:
	s_or_b64 exec, exec, s[40:41]
	v_cmp_gt_u32_e32 vcc, s7, v24
	s_and_saveexec_b64 s[40:41], vcc
	s_cbranch_execz .LBB1557_219
; %bb.209:
	s_andn2_b64 vcc, exec, s[14:15]
	s_mov_b64 s[42:43], 0
	s_cbranch_vccnz .LBB1557_218
; %bb.210:
	v_mul_lo_u32 v14, v7, s26
	v_mul_lo_u32 v15, v6, s27
	v_mad_u64_u32 v[12:13], s[0:1], v6, s26, 0
	v_add3_u32 v13, v13, v15, v14
	v_mul_lo_u32 v14, v9, s26
	v_mul_lo_u32 v15, v8, s27
	v_mad_u64_u32 v[18:19], s[0:1], v8, s26, 0
	v_add3_u32 v19, v19, v15, v14
	v_lshlrev_b64 v[14:15], 2, v[12:13]
	v_mov_b32_e32 v12, s29
	v_add_co_u32_e32 v16, vcc, s28, v14
	v_addc_co_u32_e64 v17, s[0:1], v12, v15, vcc
	v_lshlrev_b64 v[12:13], 2, v[18:19]
	v_mov_b32_e32 v14, s29
	v_add_co_u32_e64 v18, s[0:1], s28, v12
	v_addc_co_u32_e64 v19, s[2:3], v14, v13, s[0:1]
	global_load_dword v12, v[16:17], off
	global_load_dword v14, v[18:19], off
	s_mov_b64 s[42:43], -1
	s_waitcnt vmcnt(0)
	v_cmp_eq_u32_e64 s[2:3], v12, v14
	s_and_saveexec_b64 s[36:37], s[2:3]
	s_cbranch_execz .LBB1557_217
; %bb.211:
	v_mov_b32_e32 v12, s29
	v_addc_co_u32_e64 v13, s[0:1], v13, v12, s[0:1]
	v_add_co_u32_e64 v12, s[0:1], 4, v18
	v_mov_b32_e32 v14, s29
	v_addc_co_u32_e64 v13, s[0:1], 0, v13, s[0:1]
	v_addc_co_u32_e32 v15, vcc, v15, v14, vcc
	v_add_co_u32_e32 v14, vcc, 4, v16
	s_add_u32 s0, s26, -1
	v_addc_co_u32_e32 v15, vcc, 0, v15, vcc
	s_addc_u32 s1, s27, -1
	s_mov_b64 s[2:3], 0
	s_mov_b64 s[44:45], 0
                                        ; implicit-def: $sgpr42_sgpr43
	s_branch .LBB1557_214
.LBB1557_212:                           ;   in Loop: Header=BB1557_214 Depth=1
	global_load_dword v16, v[14:15], off
	global_load_dword v17, v[12:13], off
	v_add_co_u32_e32 v12, vcc, 4, v12
	v_addc_co_u32_e32 v13, vcc, 0, v13, vcc
	v_add_co_u32_e32 v14, vcc, 4, v14
	v_addc_co_u32_e32 v15, vcc, 0, v15, vcc
	s_add_u32 s44, s44, 1
	s_addc_u32 s45, s45, 0
	s_andn2_b64 s[42:43], s[42:43], exec
	s_waitcnt vmcnt(0)
	v_cmp_ne_u32_e32 vcc, v16, v17
	s_and_b64 s[46:47], vcc, exec
	s_or_b64 s[42:43], s[42:43], s[46:47]
.LBB1557_213:                           ;   in Loop: Header=BB1557_214 Depth=1
	s_and_b64 s[46:47], exec, s[42:43]
	s_or_b64 s[2:3], s[46:47], s[2:3]
	v_pk_mov_b32 v[16:17], s[44:45], s[44:45] op_sel:[0,1]
	s_andn2_b64 exec, exec, s[2:3]
	s_cbranch_execz .LBB1557_216
.LBB1557_214:                           ; =>This Inner Loop Header: Depth=1
	s_or_b64 s[42:43], s[42:43], exec
	s_cmp_eq_u64 s[0:1], s[44:45]
	s_cbranch_scc0 .LBB1557_212
; %bb.215:                              ;   in Loop: Header=BB1557_214 Depth=1
                                        ; implicit-def: $vgpr12_vgpr13
                                        ; implicit-def: $vgpr14_vgpr15
	s_mov_b64 s[44:45], s[26:27]
	s_branch .LBB1557_213
.LBB1557_216:
	s_or_b64 exec, exec, s[2:3]
	v_cmp_gt_i64_e32 vcc, s[26:27], v[16:17]
	s_orn2_b64 s[42:43], vcc, exec
.LBB1557_217:
	s_or_b64 exec, exec, s[36:37]
.LBB1557_218:
	s_and_b64 s[36:37], s[42:43], exec
.LBB1557_219:
	s_or_b64 exec, exec, s[40:41]
	v_cndmask_b32_e64 v13, 0, 1, s[18:19]
	v_cndmask_b32_e64 v14, 0, 1, s[36:37]
	;; [unrolled: 1-line block ×3, first 2 shown]
	v_lshlrev_b16_e32 v14, 8, v14
	v_lshlrev_b16_e32 v13, 8, v13
	v_or_b32_e32 v14, 1, v14
	v_or_b32_sdwa v12, v12, v13 dst_sel:WORD_1 dst_unused:UNUSED_PAD src0_sel:DWORD src1_sel:DWORD
	v_or_b32_sdwa v12, v14, v12 dst_sel:DWORD dst_unused:UNUSED_PAD src0_sel:WORD_0 src1_sel:DWORD
	v_cndmask_b32_e64 v13, 0, 1, s[8:9]
	v_cmp_ne_u32_e32 vcc, 0, v0
	s_waitcnt lgkmcnt(0)
	s_barrier
	s_waitcnt lgkmcnt(0)
                                        ; implicit-def: $sgpr18_sgpr19
                                        ; implicit-def: $vgpr16
	s_and_saveexec_b64 s[8:9], vcc
	s_cbranch_execz .LBB1557_232
; %bb.220:
	v_cmp_gt_u32_e32 vcc, s7, v1
	s_mov_b32 s33, 0x3020104
	s_mov_b64 s[0:1], 0
	s_and_saveexec_b64 s[18:19], vcc
	s_cbranch_execz .LBB1557_231
; %bb.221:
	s_andn2_b64 vcc, exec, s[14:15]
	s_mov_b64 s[36:37], 0
	s_cbranch_vccnz .LBB1557_230
; %bb.222:
	v_add_u32_e32 v14, -8, v26
	ds_read_b64 v[14:15], v14
	v_mul_lo_u32 v16, v7, s26
	v_mad_u64_u32 v[20:21], s[0:1], v6, s26, 0
	s_mov_b64 s[36:37], -1
	s_waitcnt lgkmcnt(0)
	v_mul_lo_u32 v17, v15, s26
	v_mul_lo_u32 v18, v14, s27
	v_mad_u64_u32 v[14:15], s[0:1], v14, s26, 0
	v_add3_u32 v15, v15, v18, v17
	v_mul_lo_u32 v17, v6, s27
	v_add3_u32 v21, v21, v17, v16
	v_lshlrev_b64 v[16:17], 2, v[14:15]
	v_mov_b32_e32 v14, s29
	v_add_co_u32_e32 v18, vcc, s28, v16
	v_addc_co_u32_e64 v19, s[0:1], v14, v17, vcc
	v_lshlrev_b64 v[14:15], 2, v[20:21]
	v_mov_b32_e32 v16, s29
	v_add_co_u32_e64 v20, s[0:1], s28, v14
	v_addc_co_u32_e64 v21, s[2:3], v16, v15, s[0:1]
	global_load_dword v14, v[18:19], off
	global_load_dword v16, v[20:21], off
	s_waitcnt vmcnt(0)
	v_cmp_eq_u32_e64 s[2:3], v14, v16
	s_and_saveexec_b64 s[14:15], s[2:3]
	s_cbranch_execz .LBB1557_229
; %bb.223:
	v_mov_b32_e32 v14, s29
	v_addc_co_u32_e64 v15, s[0:1], v15, v14, s[0:1]
	v_add_co_u32_e64 v14, s[0:1], 4, v20
	v_mov_b32_e32 v16, s29
	v_addc_co_u32_e64 v15, s[0:1], 0, v15, s[0:1]
	v_addc_co_u32_e32 v17, vcc, v17, v16, vcc
	v_add_co_u32_e32 v16, vcc, 4, v18
	s_add_u32 s0, s26, -1
	v_addc_co_u32_e32 v17, vcc, 0, v17, vcc
	s_addc_u32 s1, s27, -1
	s_mov_b64 s[2:3], 0
	s_mov_b64 s[36:37], 0
                                        ; implicit-def: $sgpr28_sgpr29
	s_branch .LBB1557_226
.LBB1557_224:                           ;   in Loop: Header=BB1557_226 Depth=1
	global_load_dword v18, v[16:17], off
	global_load_dword v19, v[14:15], off
	v_add_co_u32_e32 v14, vcc, 4, v14
	v_addc_co_u32_e32 v15, vcc, 0, v15, vcc
	v_add_co_u32_e32 v16, vcc, 4, v16
	v_addc_co_u32_e32 v17, vcc, 0, v17, vcc
	s_add_u32 s36, s36, 1
	s_addc_u32 s37, s37, 0
	s_andn2_b64 s[28:29], s[28:29], exec
	s_waitcnt vmcnt(0)
	v_cmp_ne_u32_e32 vcc, v18, v19
	s_and_b64 s[38:39], vcc, exec
	s_or_b64 s[28:29], s[28:29], s[38:39]
.LBB1557_225:                           ;   in Loop: Header=BB1557_226 Depth=1
	s_and_b64 s[38:39], exec, s[28:29]
	s_or_b64 s[2:3], s[38:39], s[2:3]
	v_pk_mov_b32 v[18:19], s[36:37], s[36:37] op_sel:[0,1]
	s_andn2_b64 exec, exec, s[2:3]
	s_cbranch_execz .LBB1557_228
.LBB1557_226:                           ; =>This Inner Loop Header: Depth=1
	s_or_b64 s[28:29], s[28:29], exec
	s_cmp_eq_u64 s[0:1], s[36:37]
	s_cbranch_scc0 .LBB1557_224
; %bb.227:                              ;   in Loop: Header=BB1557_226 Depth=1
                                        ; implicit-def: $vgpr14_vgpr15
                                        ; implicit-def: $vgpr16_vgpr17
	s_mov_b64 s[36:37], s[26:27]
	s_branch .LBB1557_225
.LBB1557_228:
	s_or_b64 exec, exec, s[2:3]
	v_cmp_gt_i64_e32 vcc, s[26:27], v[18:19]
	s_orn2_b64 s[36:37], vcc, exec
.LBB1557_229:
	s_or_b64 exec, exec, s[14:15]
.LBB1557_230:
	s_and_b64 s[0:1], s[36:37], exec
.LBB1557_231:
	s_or_b64 exec, exec, s[18:19]
	v_perm_b32 v16, v12, v12, s33
	s_and_b64 s[18:19], s[0:1], exec
	s_or_b64 s[12:13], s[12:13], exec
.LBB1557_232:
	s_or_b64 exec, exec, s[8:9]
.LBB1557_233:
	s_and_saveexec_b64 s[0:1], s[12:13]
	s_cbranch_execz .LBB1557_235
; %bb.234:
	v_lshrrev_b32_e32 v14, 24, v16
	s_movk_i32 s2, 0xff
	v_lshlrev_b16_e32 v14, 8, v14
	v_and_b32_sdwa v15, v16, s2 dst_sel:DWORD dst_unused:UNUSED_PAD src0_sel:WORD_1 src1_sel:DWORD
	v_or_b32_sdwa v14, v15, v14 dst_sel:WORD_1 dst_unused:UNUSED_PAD src0_sel:DWORD src1_sel:DWORD
	v_mov_b32_e32 v15, 8
	v_cndmask_b32_e64 v12, 0, 1, s[18:19]
	v_lshrrev_b32_sdwa v15, v15, v16 dst_sel:BYTE_1 dst_unused:UNUSED_PAD src0_sel:DWORD src1_sel:DWORD
	v_or_b32_e32 v12, v12, v15
	s_mov_b32 s2, 0xffff
	v_or_b32_sdwa v12, v12, v14 dst_sel:DWORD dst_unused:UNUSED_PAD src0_sel:WORD_0 src1_sel:DWORD
	v_and_b32_sdwa v13, s2, v13 dst_sel:DWORD dst_unused:UNUSED_PAD src0_sel:DWORD src1_sel:BYTE_0
.LBB1557_235:
	s_or_b64 exec, exec, s[0:1]
	s_andn2_b64 vcc, exec, s[10:11]
	s_cbranch_vccnz .LBB1557_237
; %bb.236:
	v_cmp_gt_u32_e32 vcc, s7, v1
	v_cndmask_b32_e32 v1, 0, v12, vcc
	v_and_b32_e32 v1, 0xffff00ff, v1
	v_cmp_gt_u32_e64 s[0:1], s7, v24
	v_cndmask_b32_e64 v1, v1, v12, s[0:1]
	v_lshrrev_b32_e32 v14, 24, v1
	s_mov_b32 s2, 0x40c0100
	v_perm_b32 v1, v14, v1, s2
	v_cmp_gt_u32_e64 s[2:3], s7, v22
	v_cmp_gt_u32_e64 s[8:9], s7, v25
	v_cndmask_b32_e64 v1, v1, v12, s[2:3]
	s_or_b64 s[2:3], s[8:9], s[2:3]
	s_or_b64 s[0:1], s[2:3], s[0:1]
	s_or_b64 vcc, s[0:1], vcc
	v_and_b32_e32 v1, 0xffffff, v1
	v_cndmask_b32_e32 v14, 0, v13, vcc
	v_cndmask_b32_e64 v1, v1, v12, s[8:9]
	v_and_b32_e32 v14, 0xffffff00, v14
	v_cmp_gt_u32_e32 vcc, s7, v23
	v_cndmask_b32_e32 v1, v1, v12, vcc
	v_cndmask_b32_e32 v12, v14, v13, vcc
	s_mov_b32 s0, 0x3020104
	v_and_b32_e32 v13, 0xff, v12
	v_perm_b32 v12, v1, v1, s0
.LBB1557_237:
	v_and_b32_e32 v1, 0xff, v12
	v_bfe_u32 v25, v12, 8, 8
	v_bfe_u32 v27, v12, 16, 8
	v_alignbit_b32 v14, v13, v12, 24
	v_and_b32_e32 v28, 0xff, v14
	v_and_b32_e32 v14, 0xff, v13
	v_add3_u32 v15, v25, v1, v27
	v_add3_u32 v31, v15, v28, v14
	v_mbcnt_lo_u32_b32 v14, -1, 0
	v_mbcnt_hi_u32_b32 v29, -1, v14
	v_and_b32_e32 v14, 15, v29
	v_cmp_eq_u32_e64 s[14:15], 0, v14
	v_cmp_lt_u32_e64 s[12:13], 1, v14
	v_cmp_lt_u32_e64 s[10:11], 3, v14
	;; [unrolled: 1-line block ×3, first 2 shown]
	v_and_b32_e32 v14, 16, v29
	v_cmp_eq_u32_e64 s[18:19], 0, v14
	v_or_b32_e32 v14, 63, v0
	v_cmp_lt_u32_e64 s[0:1], 31, v29
	v_lshrrev_b32_e32 v30, 6, v0
	v_cmp_eq_u32_e64 s[2:3], v14, v0
	s_and_b64 vcc, exec, s[16:17]
	s_waitcnt lgkmcnt(0)
	s_barrier
	s_cbranch_vccz .LBB1557_268
; %bb.238:
	v_mov_b32_dpp v14, v31 row_shr:1 row_mask:0xf bank_mask:0xf
	v_cndmask_b32_e64 v14, v14, 0, s[14:15]
	v_add_u32_e32 v14, v14, v31
	s_nop 1
	v_mov_b32_dpp v15, v14 row_shr:2 row_mask:0xf bank_mask:0xf
	v_cndmask_b32_e64 v15, 0, v15, s[12:13]
	v_add_u32_e32 v14, v14, v15
	s_nop 1
	;; [unrolled: 4-line block ×4, first 2 shown]
	v_mov_b32_dpp v15, v14 row_bcast:15 row_mask:0xf bank_mask:0xf
	v_cndmask_b32_e64 v15, v15, 0, s[18:19]
	v_add_u32_e32 v14, v14, v15
	s_nop 1
	v_mov_b32_dpp v15, v14 row_bcast:31 row_mask:0xf bank_mask:0xf
	v_cndmask_b32_e64 v15, 0, v15, s[0:1]
	v_add_u32_e32 v14, v14, v15
	s_and_saveexec_b64 s[16:17], s[2:3]
	s_cbranch_execz .LBB1557_240
; %bb.239:
	v_lshlrev_b32_e32 v15, 2, v30
	ds_write_b32 v15, v14
.LBB1557_240:
	s_or_b64 exec, exec, s[16:17]
	v_cmp_gt_u32_e32 vcc, 4, v0
	s_waitcnt lgkmcnt(0)
	s_barrier
	s_and_saveexec_b64 s[16:17], vcc
	s_cbranch_execz .LBB1557_242
; %bb.241:
	v_lshlrev_b32_e32 v15, 2, v0
	ds_read_b32 v16, v15
	v_and_b32_e32 v17, 3, v29
	v_cmp_ne_u32_e32 vcc, 0, v17
	s_waitcnt lgkmcnt(0)
	v_mov_b32_dpp v18, v16 row_shr:1 row_mask:0xf bank_mask:0xf
	v_cndmask_b32_e32 v18, 0, v18, vcc
	v_add_u32_e32 v16, v18, v16
	v_cmp_lt_u32_e32 vcc, 1, v17
	s_nop 0
	v_mov_b32_dpp v18, v16 row_shr:2 row_mask:0xf bank_mask:0xf
	v_cndmask_b32_e32 v17, 0, v18, vcc
	v_add_u32_e32 v16, v16, v17
	ds_write_b32 v15, v16
.LBB1557_242:
	s_or_b64 exec, exec, s[16:17]
	v_cmp_gt_u32_e32 vcc, 64, v0
	v_cmp_lt_u32_e64 s[16:17], 63, v0
	s_waitcnt lgkmcnt(0)
	s_barrier
	s_waitcnt lgkmcnt(0)
                                        ; implicit-def: $vgpr24
	s_and_saveexec_b64 s[26:27], s[16:17]
	s_cbranch_execz .LBB1557_244
; %bb.243:
	v_lshl_add_u32 v15, v30, 2, -4
	ds_read_b32 v24, v15
	s_waitcnt lgkmcnt(0)
	v_add_u32_e32 v14, v24, v14
.LBB1557_244:
	s_or_b64 exec, exec, s[26:27]
	v_add_u32_e32 v15, -1, v29
	v_and_b32_e32 v16, 64, v29
	v_cmp_lt_i32_e64 s[16:17], v15, v16
	v_cndmask_b32_e64 v15, v15, v29, s[16:17]
	v_lshlrev_b32_e32 v15, 2, v15
	ds_bpermute_b32 v26, v15, v14
	v_cmp_eq_u32_e64 s[16:17], 0, v29
	s_and_saveexec_b64 s[26:27], vcc
	s_cbranch_execz .LBB1557_267
; %bb.245:
	v_mov_b32_e32 v23, 0
	ds_read_b32 v14, v23 offset:12
	s_and_saveexec_b64 s[28:29], s[16:17]
	s_cbranch_execz .LBB1557_247
; %bb.246:
	s_add_i32 s36, s6, 64
	s_mov_b32 s37, 0
	s_lshl_b64 s[36:37], s[36:37], 3
	s_add_u32 s36, s30, s36
	v_mov_b32_e32 v15, 1
	s_addc_u32 s37, s31, s37
	s_waitcnt lgkmcnt(0)
	global_store_dwordx2 v23, v[14:15], s[36:37]
.LBB1557_247:
	s_or_b64 exec, exec, s[28:29]
	v_xad_u32 v16, v29, -1, s6
	v_add_u32_e32 v22, 64, v16
	v_lshlrev_b64 v[18:19], 3, v[22:23]
	v_mov_b32_e32 v15, s31
	v_add_co_u32_e32 v18, vcc, s30, v18
	v_addc_co_u32_e32 v19, vcc, v15, v19, vcc
	global_load_dwordx2 v[20:21], v[18:19], off glc
	s_waitcnt vmcnt(0)
	v_cmp_eq_u16_sdwa s[36:37], v21, v23 src0_sel:BYTE_0 src1_sel:DWORD
	s_and_saveexec_b64 s[28:29], s[36:37]
	s_cbranch_execz .LBB1557_253
; %bb.248:
	s_mov_b32 s7, 1
	s_mov_b64 s[36:37], 0
	v_mov_b32_e32 v15, 0
.LBB1557_249:                           ; =>This Loop Header: Depth=1
                                        ;     Child Loop BB1557_250 Depth 2
	s_max_u32 s33, s7, 1
.LBB1557_250:                           ;   Parent Loop BB1557_249 Depth=1
                                        ; =>  This Inner Loop Header: Depth=2
	s_add_i32 s33, s33, -1
	s_cmp_eq_u32 s33, 0
	s_sleep 1
	s_cbranch_scc0 .LBB1557_250
; %bb.251:                              ;   in Loop: Header=BB1557_249 Depth=1
	global_load_dwordx2 v[20:21], v[18:19], off glc
	s_cmp_lt_u32 s7, 32
	s_cselect_b64 s[38:39], -1, 0
	s_cmp_lg_u64 s[38:39], 0
	s_addc_u32 s7, s7, 0
	s_waitcnt vmcnt(0)
	v_cmp_ne_u16_sdwa s[38:39], v21, v15 src0_sel:BYTE_0 src1_sel:DWORD
	s_or_b64 s[36:37], s[38:39], s[36:37]
	s_andn2_b64 exec, exec, s[36:37]
	s_cbranch_execnz .LBB1557_249
; %bb.252:
	s_or_b64 exec, exec, s[36:37]
.LBB1557_253:
	s_or_b64 exec, exec, s[28:29]
	v_and_b32_e32 v32, 63, v29
	v_mov_b32_e32 v15, 2
	v_cmp_ne_u32_e32 vcc, 63, v32
	v_cmp_eq_u16_sdwa s[28:29], v21, v15 src0_sel:BYTE_0 src1_sel:DWORD
	v_lshlrev_b64 v[18:19], v29, -1
	v_addc_co_u32_e32 v23, vcc, 0, v29, vcc
	v_and_b32_e32 v17, s29, v19
	v_lshlrev_b32_e32 v33, 2, v23
	v_or_b32_e32 v17, 0x80000000, v17
	ds_bpermute_b32 v23, v33, v20
	v_and_b32_e32 v22, s28, v18
	v_ffbl_b32_e32 v17, v17
	v_add_u32_e32 v17, 32, v17
	v_ffbl_b32_e32 v22, v22
	v_min_u32_e32 v17, v22, v17
	v_cmp_lt_u32_e32 vcc, v32, v17
	s_waitcnt lgkmcnt(0)
	v_cndmask_b32_e32 v22, 0, v23, vcc
	v_cmp_gt_u32_e32 vcc, 62, v32
	v_add_u32_e32 v20, v22, v20
	v_cndmask_b32_e64 v22, 0, 1, vcc
	v_lshlrev_b32_e32 v22, 1, v22
	v_add_lshl_u32 v34, v22, v29, 2
	ds_bpermute_b32 v22, v34, v20
	v_add_u32_e32 v35, 2, v32
	v_cmp_le_u32_e32 vcc, v35, v17
	v_add_u32_e32 v37, 4, v32
	v_add_u32_e32 v39, 8, v32
	s_waitcnt lgkmcnt(0)
	v_cndmask_b32_e32 v22, 0, v22, vcc
	v_cmp_gt_u32_e32 vcc, 60, v32
	v_add_u32_e32 v20, v20, v22
	v_cndmask_b32_e64 v22, 0, 1, vcc
	v_lshlrev_b32_e32 v22, 2, v22
	v_add_lshl_u32 v36, v22, v29, 2
	ds_bpermute_b32 v22, v36, v20
	v_cmp_le_u32_e32 vcc, v37, v17
	v_add_u32_e32 v42, 16, v32
	v_add_u32_e32 v44, 32, v32
	s_waitcnt lgkmcnt(0)
	v_cndmask_b32_e32 v22, 0, v22, vcc
	v_cmp_gt_u32_e32 vcc, 56, v32
	v_add_u32_e32 v20, v20, v22
	v_cndmask_b32_e64 v22, 0, 1, vcc
	v_lshlrev_b32_e32 v22, 3, v22
	v_add_lshl_u32 v38, v22, v29, 2
	ds_bpermute_b32 v22, v38, v20
	v_cmp_le_u32_e32 vcc, v39, v17
	s_waitcnt lgkmcnt(0)
	v_cndmask_b32_e32 v22, 0, v22, vcc
	v_cmp_gt_u32_e32 vcc, 48, v32
	v_add_u32_e32 v20, v20, v22
	v_cndmask_b32_e64 v22, 0, 1, vcc
	v_lshlrev_b32_e32 v22, 4, v22
	v_add_lshl_u32 v41, v22, v29, 2
	ds_bpermute_b32 v22, v41, v20
	v_cmp_le_u32_e32 vcc, v42, v17
	;; [unrolled: 9-line block ×3, first 2 shown]
	s_waitcnt lgkmcnt(0)
	v_cndmask_b32_e32 v17, 0, v22, vcc
	v_add_u32_e32 v20, v20, v17
	v_mov_b32_e32 v17, 0
	s_branch .LBB1557_255
.LBB1557_254:                           ;   in Loop: Header=BB1557_255 Depth=1
	s_or_b64 exec, exec, s[28:29]
	v_cmp_eq_u16_sdwa s[28:29], v21, v15 src0_sel:BYTE_0 src1_sel:DWORD
	v_and_b32_e32 v22, s29, v19
	v_or_b32_e32 v22, 0x80000000, v22
	ds_bpermute_b32 v45, v33, v20
	v_and_b32_e32 v23, s28, v18
	v_ffbl_b32_e32 v22, v22
	v_add_u32_e32 v22, 32, v22
	v_ffbl_b32_e32 v23, v23
	v_min_u32_e32 v22, v23, v22
	v_cmp_lt_u32_e32 vcc, v32, v22
	s_waitcnt lgkmcnt(0)
	v_cndmask_b32_e32 v23, 0, v45, vcc
	v_add_u32_e32 v20, v23, v20
	ds_bpermute_b32 v23, v34, v20
	v_cmp_le_u32_e32 vcc, v35, v22
	v_subrev_u32_e32 v16, 64, v16
	s_waitcnt lgkmcnt(0)
	v_cndmask_b32_e32 v23, 0, v23, vcc
	v_add_u32_e32 v20, v20, v23
	ds_bpermute_b32 v23, v36, v20
	v_cmp_le_u32_e32 vcc, v37, v22
	s_waitcnt lgkmcnt(0)
	v_cndmask_b32_e32 v23, 0, v23, vcc
	v_add_u32_e32 v20, v20, v23
	ds_bpermute_b32 v23, v38, v20
	v_cmp_le_u32_e32 vcc, v39, v22
	;; [unrolled: 5-line block ×4, first 2 shown]
	s_waitcnt lgkmcnt(0)
	v_cndmask_b32_e32 v22, 0, v23, vcc
	v_add3_u32 v20, v22, v40, v20
.LBB1557_255:                           ; =>This Loop Header: Depth=1
                                        ;     Child Loop BB1557_258 Depth 2
                                        ;       Child Loop BB1557_259 Depth 3
	v_cmp_ne_u16_sdwa s[28:29], v21, v15 src0_sel:BYTE_0 src1_sel:DWORD
	v_cndmask_b32_e64 v21, 0, 1, s[28:29]
	;;#ASMSTART
	;;#ASMEND
	v_cmp_ne_u32_e32 vcc, 0, v21
	s_cmp_lg_u64 vcc, exec
	v_mov_b32_e32 v40, v20
	s_cbranch_scc1 .LBB1557_262
; %bb.256:                              ;   in Loop: Header=BB1557_255 Depth=1
	v_lshlrev_b64 v[20:21], 3, v[16:17]
	v_mov_b32_e32 v23, s31
	v_add_co_u32_e32 v22, vcc, s30, v20
	v_addc_co_u32_e32 v23, vcc, v23, v21, vcc
	global_load_dwordx2 v[20:21], v[22:23], off glc
	s_waitcnt vmcnt(0)
	v_cmp_eq_u16_sdwa s[36:37], v21, v17 src0_sel:BYTE_0 src1_sel:DWORD
	s_and_saveexec_b64 s[28:29], s[36:37]
	s_cbranch_execz .LBB1557_254
; %bb.257:                              ;   in Loop: Header=BB1557_255 Depth=1
	s_mov_b32 s7, 1
	s_mov_b64 s[36:37], 0
.LBB1557_258:                           ;   Parent Loop BB1557_255 Depth=1
                                        ; =>  This Loop Header: Depth=2
                                        ;       Child Loop BB1557_259 Depth 3
	s_max_u32 s33, s7, 1
.LBB1557_259:                           ;   Parent Loop BB1557_255 Depth=1
                                        ;     Parent Loop BB1557_258 Depth=2
                                        ; =>    This Inner Loop Header: Depth=3
	s_add_i32 s33, s33, -1
	s_cmp_eq_u32 s33, 0
	s_sleep 1
	s_cbranch_scc0 .LBB1557_259
; %bb.260:                              ;   in Loop: Header=BB1557_258 Depth=2
	global_load_dwordx2 v[20:21], v[22:23], off glc
	s_cmp_lt_u32 s7, 32
	s_cselect_b64 s[38:39], -1, 0
	s_cmp_lg_u64 s[38:39], 0
	s_addc_u32 s7, s7, 0
	s_waitcnt vmcnt(0)
	v_cmp_ne_u16_sdwa s[38:39], v21, v17 src0_sel:BYTE_0 src1_sel:DWORD
	s_or_b64 s[36:37], s[38:39], s[36:37]
	s_andn2_b64 exec, exec, s[36:37]
	s_cbranch_execnz .LBB1557_258
; %bb.261:                              ;   in Loop: Header=BB1557_255 Depth=1
	s_or_b64 exec, exec, s[36:37]
	s_branch .LBB1557_254
.LBB1557_262:                           ;   in Loop: Header=BB1557_255 Depth=1
                                        ; implicit-def: $vgpr20
                                        ; implicit-def: $vgpr21
	s_cbranch_execz .LBB1557_255
; %bb.263:
	s_and_saveexec_b64 s[28:29], s[16:17]
	s_cbranch_execz .LBB1557_265
; %bb.264:
	s_add_i32 s6, s6, 64
	s_mov_b32 s7, 0
	s_lshl_b64 s[6:7], s[6:7], 3
	s_add_u32 s6, s30, s6
	v_add_u32_e32 v16, v40, v14
	v_mov_b32_e32 v17, 2
	s_addc_u32 s7, s31, s7
	v_mov_b32_e32 v15, 0
	global_store_dwordx2 v15, v[16:17], s[6:7]
	s_movk_i32 s6, 0x2800
	v_add_u32_e64 v15, s6, 0
	ds_write2_b32 v15, v14, v40 offset1:2
.LBB1557_265:
	s_or_b64 exec, exec, s[28:29]
	v_cmp_eq_u32_e32 vcc, 0, v0
	s_and_b64 exec, exec, vcc
	s_cbranch_execz .LBB1557_267
; %bb.266:
	v_mov_b32_e32 v14, 0
	ds_write_b32 v14, v40 offset:12
.LBB1557_267:
	s_or_b64 exec, exec, s[26:27]
	v_mov_b32_e32 v14, 0
	s_waitcnt lgkmcnt(0)
	s_barrier
	ds_read_b32 v14, v14 offset:12
	v_cndmask_b32_e64 v15, v26, v24, s[16:17]
	v_cmp_ne_u32_e32 vcc, 0, v0
	v_cndmask_b32_e32 v15, 0, v15, vcc
	s_movk_i32 s6, 0x2800
	s_waitcnt lgkmcnt(0)
	v_add_u32_e32 v26, v14, v15
	v_add_u32_e64 v14, s6, 0
	s_barrier
	ds_read2_b32 v[14:15], v14 offset1:2
	v_add_u32_e32 v24, v26, v1
	v_add_u32_e32 v22, v24, v25
	;; [unrolled: 1-line block ×4, first 2 shown]
	s_load_dwordx2 s[4:5], s[4:5], 0x28
	v_lshrrev_b64 v[16:17], 24, v[12:13]
	s_branch .LBB1557_278
.LBB1557_268:
                                        ; implicit-def: $vgpr18
                                        ; implicit-def: $vgpr20
                                        ; implicit-def: $vgpr22
                                        ; implicit-def: $vgpr24
                                        ; implicit-def: $vgpr26
                                        ; implicit-def: $vgpr15
	s_load_dwordx2 s[4:5], s[4:5], 0x28
	v_lshrrev_b64 v[16:17], 24, v[12:13]
	s_cbranch_execz .LBB1557_278
; %bb.269:
	s_waitcnt lgkmcnt(0)
	v_mov_b32_dpp v14, v31 row_shr:1 row_mask:0xf bank_mask:0xf
	v_cndmask_b32_e64 v14, v14, 0, s[14:15]
	v_add_u32_e32 v14, v14, v31
	s_nop 1
	v_mov_b32_dpp v15, v14 row_shr:2 row_mask:0xf bank_mask:0xf
	v_cndmask_b32_e64 v15, 0, v15, s[12:13]
	v_add_u32_e32 v14, v14, v15
	s_nop 1
	v_mov_b32_dpp v15, v14 row_shr:4 row_mask:0xf bank_mask:0xf
	v_cndmask_b32_e64 v15, 0, v15, s[10:11]
	v_add_u32_e32 v14, v14, v15
	s_nop 1
	v_mov_b32_dpp v15, v14 row_shr:8 row_mask:0xf bank_mask:0xf
	v_cndmask_b32_e64 v15, 0, v15, s[8:9]
	v_add_u32_e32 v14, v14, v15
	s_nop 1
	v_mov_b32_dpp v15, v14 row_bcast:15 row_mask:0xf bank_mask:0xf
	v_cndmask_b32_e64 v15, v15, 0, s[18:19]
	v_add_u32_e32 v14, v14, v15
	s_nop 1
	v_mov_b32_dpp v15, v14 row_bcast:31 row_mask:0xf bank_mask:0xf
	v_cndmask_b32_e64 v15, 0, v15, s[0:1]
	v_add_u32_e32 v14, v14, v15
	s_and_saveexec_b64 s[0:1], s[2:3]
	s_cbranch_execz .LBB1557_271
; %bb.270:
	v_lshlrev_b32_e32 v15, 2, v30
	ds_write_b32 v15, v14
.LBB1557_271:
	s_or_b64 exec, exec, s[0:1]
	v_cmp_gt_u32_e32 vcc, 4, v0
	s_waitcnt lgkmcnt(0)
	s_barrier
	s_and_saveexec_b64 s[0:1], vcc
	s_cbranch_execz .LBB1557_273
; %bb.272:
	v_lshlrev_b32_e32 v15, 2, v0
	ds_read_b32 v17, v15
	v_and_b32_e32 v18, 3, v29
	v_cmp_ne_u32_e32 vcc, 0, v18
	s_waitcnt lgkmcnt(0)
	v_mov_b32_dpp v19, v17 row_shr:1 row_mask:0xf bank_mask:0xf
	v_cndmask_b32_e32 v19, 0, v19, vcc
	v_add_u32_e32 v17, v19, v17
	v_cmp_lt_u32_e32 vcc, 1, v18
	s_nop 0
	v_mov_b32_dpp v19, v17 row_shr:2 row_mask:0xf bank_mask:0xf
	v_cndmask_b32_e32 v18, 0, v19, vcc
	v_add_u32_e32 v17, v17, v18
	ds_write_b32 v15, v17
.LBB1557_273:
	s_or_b64 exec, exec, s[0:1]
	v_cmp_lt_u32_e32 vcc, 63, v0
	v_mov_b32_e32 v15, 0
	v_mov_b32_e32 v17, 0
	s_waitcnt lgkmcnt(0)
	s_barrier
	s_and_saveexec_b64 s[0:1], vcc
	s_cbranch_execz .LBB1557_275
; %bb.274:
	v_lshl_add_u32 v17, v30, 2, -4
	ds_read_b32 v17, v17
.LBB1557_275:
	s_or_b64 exec, exec, s[0:1]
	v_add_u32_e32 v18, -1, v29
	v_and_b32_e32 v19, 64, v29
	v_cmp_lt_i32_e32 vcc, v18, v19
	v_cndmask_b32_e32 v18, v18, v29, vcc
	s_waitcnt lgkmcnt(0)
	v_add_u32_e32 v14, v17, v14
	v_lshlrev_b32_e32 v18, 2, v18
	ds_bpermute_b32 v18, v18, v14
	ds_read_b32 v14, v15 offset:12
	v_cmp_eq_u32_e32 vcc, 0, v0
	s_and_saveexec_b64 s[0:1], vcc
	s_cbranch_execz .LBB1557_277
; %bb.276:
	v_mov_b32_e32 v19, 0
	v_mov_b32_e32 v15, 2
	s_waitcnt lgkmcnt(0)
	global_store_dwordx2 v19, v[14:15], s[30:31] offset:512
.LBB1557_277:
	s_or_b64 exec, exec, s[0:1]
	v_cmp_eq_u32_e64 s[0:1], 0, v29
	s_waitcnt lgkmcnt(1)
	v_cndmask_b32_e64 v17, v18, v17, s[0:1]
	v_cndmask_b32_e64 v26, v17, 0, vcc
	v_add_u32_e32 v24, v26, v1
	v_add_u32_e32 v22, v24, v25
	;; [unrolled: 1-line block ×3, first 2 shown]
	v_mov_b32_e32 v15, 0
	v_add_u32_e32 v18, v20, v28
	s_waitcnt lgkmcnt(0)
	s_barrier
.LBB1557_278:
	s_movk_i32 s0, 0x101
	s_waitcnt lgkmcnt(0)
	v_cmp_gt_u32_e32 vcc, s0, v14
	v_lshrrev_b32_e32 v1, 8, v12
	s_mov_b64 s[0:1], -1
	s_cbranch_vccnz .LBB1557_282
; %bb.279:
	s_and_b64 vcc, exec, s[0:1]
	s_cbranch_vccnz .LBB1557_298
.LBB1557_280:
	v_cmp_eq_u32_e32 vcc, 0, v0
	s_and_b64 s[0:1], vcc, s[24:25]
	s_and_saveexec_b64 s[2:3], s[0:1]
	s_cbranch_execnz .LBB1557_312
.LBB1557_281:
	s_endpgm
.LBB1557_282:
	v_add_u32_e32 v17, v15, v14
	v_cmp_lt_u32_e32 vcc, v26, v17
	s_or_b64 s[2:3], s[34:35], vcc
	s_and_saveexec_b64 s[0:1], s[2:3]
	s_cbranch_execz .LBB1557_285
; %bb.283:
	v_and_b32_e32 v19, 1, v12
	v_cmp_eq_u32_e32 vcc, 1, v19
	s_and_b64 exec, exec, vcc
	s_cbranch_execz .LBB1557_285
; %bb.284:
	s_lshl_b64 s[2:3], s[22:23], 3
	s_add_u32 s2, s4, s2
	v_mov_b32_e32 v27, 0
	s_addc_u32 s3, s5, s3
	v_lshlrev_b64 v[28:29], 3, v[26:27]
	v_mov_b32_e32 v19, s3
	v_add_co_u32_e32 v28, vcc, s2, v28
	v_addc_co_u32_e32 v29, vcc, v19, v29, vcc
	global_store_dwordx2 v[28:29], v[6:7], off
.LBB1557_285:
	s_or_b64 exec, exec, s[0:1]
	v_cmp_lt_u32_e32 vcc, v24, v17
	s_or_b64 s[2:3], s[34:35], vcc
	s_and_saveexec_b64 s[0:1], s[2:3]
	s_cbranch_execz .LBB1557_288
; %bb.286:
	v_and_b32_e32 v19, 1, v1
	v_cmp_eq_u32_e32 vcc, 1, v19
	s_and_b64 exec, exec, vcc
	s_cbranch_execz .LBB1557_288
; %bb.287:
	s_lshl_b64 s[2:3], s[22:23], 3
	s_add_u32 s2, s4, s2
	v_mov_b32_e32 v25, 0
	s_addc_u32 s3, s5, s3
	v_lshlrev_b64 v[28:29], 3, v[24:25]
	v_mov_b32_e32 v19, s3
	v_add_co_u32_e32 v28, vcc, s2, v28
	v_addc_co_u32_e32 v29, vcc, v19, v29, vcc
	global_store_dwordx2 v[28:29], v[8:9], off
.LBB1557_288:
	s_or_b64 exec, exec, s[0:1]
	v_cmp_lt_u32_e32 vcc, v22, v17
	s_or_b64 s[2:3], s[34:35], vcc
	s_and_saveexec_b64 s[0:1], s[2:3]
	s_cbranch_execz .LBB1557_291
; %bb.289:
	v_mov_b32_e32 v19, 1
	v_and_b32_sdwa v19, v19, v12 dst_sel:DWORD dst_unused:UNUSED_PAD src0_sel:DWORD src1_sel:WORD_1
	v_cmp_eq_u32_e32 vcc, 1, v19
	s_and_b64 exec, exec, vcc
	s_cbranch_execz .LBB1557_291
; %bb.290:
	s_lshl_b64 s[2:3], s[22:23], 3
	s_add_u32 s2, s4, s2
	v_mov_b32_e32 v23, 0
	s_addc_u32 s3, s5, s3
	v_lshlrev_b64 v[28:29], 3, v[22:23]
	v_mov_b32_e32 v19, s3
	v_add_co_u32_e32 v28, vcc, s2, v28
	v_addc_co_u32_e32 v29, vcc, v19, v29, vcc
	global_store_dwordx2 v[28:29], v[2:3], off
.LBB1557_291:
	s_or_b64 exec, exec, s[0:1]
	v_cmp_lt_u32_e32 vcc, v20, v17
	s_or_b64 s[2:3], s[34:35], vcc
	s_and_saveexec_b64 s[0:1], s[2:3]
	s_cbranch_execz .LBB1557_294
; %bb.292:
	v_and_b32_e32 v19, 1, v16
	v_cmp_eq_u32_e32 vcc, 1, v19
	s_and_b64 exec, exec, vcc
	s_cbranch_execz .LBB1557_294
; %bb.293:
	s_lshl_b64 s[2:3], s[22:23], 3
	s_add_u32 s2, s4, s2
	v_mov_b32_e32 v21, 0
	s_addc_u32 s3, s5, s3
	v_lshlrev_b64 v[28:29], 3, v[20:21]
	v_mov_b32_e32 v19, s3
	v_add_co_u32_e32 v28, vcc, s2, v28
	v_addc_co_u32_e32 v29, vcc, v19, v29, vcc
	global_store_dwordx2 v[28:29], v[4:5], off
.LBB1557_294:
	s_or_b64 exec, exec, s[0:1]
	v_cmp_lt_u32_e32 vcc, v18, v17
	s_or_b64 s[2:3], s[34:35], vcc
	s_and_saveexec_b64 s[0:1], s[2:3]
	s_cbranch_execz .LBB1557_297
; %bb.295:
	v_and_b32_e32 v17, 1, v13
	v_cmp_eq_u32_e32 vcc, 1, v17
	s_and_b64 exec, exec, vcc
	s_cbranch_execz .LBB1557_297
; %bb.296:
	s_lshl_b64 s[2:3], s[22:23], 3
	s_add_u32 s2, s4, s2
	v_mov_b32_e32 v19, 0
	s_addc_u32 s3, s5, s3
	v_lshlrev_b64 v[28:29], 3, v[18:19]
	v_mov_b32_e32 v17, s3
	v_add_co_u32_e32 v28, vcc, s2, v28
	v_addc_co_u32_e32 v29, vcc, v17, v29, vcc
	global_store_dwordx2 v[28:29], v[10:11], off
.LBB1557_297:
	s_or_b64 exec, exec, s[0:1]
	s_branch .LBB1557_280
.LBB1557_298:
	v_and_b32_e32 v17, 1, v12
	v_cmp_eq_u32_e32 vcc, 1, v17
	s_and_saveexec_b64 s[0:1], vcc
	s_cbranch_execz .LBB1557_300
; %bb.299:
	v_sub_u32_e32 v17, v26, v15
	v_lshlrev_b32_e32 v17, 3, v17
	ds_write_b64 v17, v[6:7]
.LBB1557_300:
	s_or_b64 exec, exec, s[0:1]
	v_and_b32_e32 v1, 1, v1
	v_cmp_eq_u32_e32 vcc, 1, v1
	s_and_saveexec_b64 s[0:1], vcc
	s_cbranch_execz .LBB1557_302
; %bb.301:
	v_sub_u32_e32 v1, v24, v15
	v_lshlrev_b32_e32 v1, 3, v1
	ds_write_b64 v1, v[8:9]
.LBB1557_302:
	s_or_b64 exec, exec, s[0:1]
	v_mov_b32_e32 v1, 1
	v_and_b32_sdwa v1, v1, v12 dst_sel:DWORD dst_unused:UNUSED_PAD src0_sel:DWORD src1_sel:WORD_1
	v_cmp_eq_u32_e32 vcc, 1, v1
	s_and_saveexec_b64 s[0:1], vcc
	s_cbranch_execz .LBB1557_304
; %bb.303:
	v_sub_u32_e32 v1, v22, v15
	v_lshlrev_b32_e32 v1, 3, v1
	ds_write_b64 v1, v[2:3]
.LBB1557_304:
	s_or_b64 exec, exec, s[0:1]
	v_and_b32_e32 v1, 1, v16
	v_cmp_eq_u32_e32 vcc, 1, v1
	s_and_saveexec_b64 s[0:1], vcc
	s_cbranch_execz .LBB1557_306
; %bb.305:
	v_sub_u32_e32 v1, v20, v15
	v_lshlrev_b32_e32 v1, 3, v1
	ds_write_b64 v1, v[4:5]
.LBB1557_306:
	s_or_b64 exec, exec, s[0:1]
	v_and_b32_e32 v1, 1, v13
	v_cmp_eq_u32_e32 vcc, 1, v1
	s_and_saveexec_b64 s[0:1], vcc
	s_cbranch_execz .LBB1557_308
; %bb.307:
	v_sub_u32_e32 v1, v18, v15
	v_lshlrev_b32_e32 v1, 3, v1
	ds_write_b64 v1, v[10:11]
.LBB1557_308:
	s_or_b64 exec, exec, s[0:1]
	v_cmp_lt_u32_e32 vcc, v0, v14
	s_waitcnt lgkmcnt(0)
	s_barrier
	s_and_saveexec_b64 s[0:1], vcc
	s_cbranch_execz .LBB1557_311
; %bb.309:
	v_mov_b32_e32 v3, 0
	v_mov_b32_e32 v2, v15
	v_lshlrev_b64 v[4:5], 3, v[2:3]
	v_mov_b32_e32 v1, s5
	v_add_co_u32_e32 v2, vcc, s4, v4
	v_addc_co_u32_e32 v4, vcc, v1, v5, vcc
	s_lshl_b64 s[2:3], s[22:23], 3
	v_mov_b32_e32 v5, s3
	v_add_co_u32_e32 v1, vcc, s2, v2
	v_addc_co_u32_e32 v4, vcc, v4, v5, vcc
	v_lshlrev_b32_e32 v5, 3, v0
	s_mov_b64 s[2:3], 0
	v_mov_b32_e32 v2, v0
.LBB1557_310:                           ; =>This Inner Loop Header: Depth=1
	ds_read_b64 v[6:7], v5
	v_lshlrev_b64 v[8:9], 3, v[2:3]
	v_add_co_u32_e32 v8, vcc, v1, v8
	v_add_u32_e32 v2, 0x100, v2
	v_addc_co_u32_e32 v9, vcc, v4, v9, vcc
	v_cmp_ge_u32_e32 vcc, v2, v14
	v_add_u32_e32 v5, 0x800, v5
	s_or_b64 s[2:3], vcc, s[2:3]
	s_waitcnt lgkmcnt(0)
	global_store_dwordx2 v[8:9], v[6:7], off
	s_andn2_b64 exec, exec, s[2:3]
	s_cbranch_execnz .LBB1557_310
.LBB1557_311:
	s_or_b64 exec, exec, s[0:1]
	v_cmp_eq_u32_e32 vcc, 0, v0
	s_and_b64 s[0:1], vcc, s[24:25]
	s_and_saveexec_b64 s[2:3], s[0:1]
	s_cbranch_execz .LBB1557_281
.LBB1557_312:
	v_mov_b32_e32 v0, s23
	v_add_co_u32_e32 v1, vcc, s22, v14
	v_addc_co_u32_e32 v3, vcc, 0, v0, vcc
	v_add_co_u32_e32 v0, vcc, v1, v15
	v_mov_b32_e32 v2, 0
	v_addc_co_u32_e32 v1, vcc, 0, v3, vcc
	global_store_dwordx2 v2, v[0:1], s[20:21]
	s_endpgm
	.section	.rodata,"a",@progbits
	.p2align	6, 0x0
	.amdhsa_kernel _ZN7rocprim17ROCPRIM_400000_NS6detail17trampoline_kernelINS0_14default_configENS1_25partition_config_selectorILNS1_17partition_subalgoE8ElNS0_10empty_typeEbEEZZNS1_14partition_implILS5_8ELb0ES3_jPlPS6_PKS6_NS0_5tupleIJS9_S6_EEENSD_IJSA_SA_EEENS0_18inequality_wrapperIZN2at6native12_GLOBAL__N_124unique_dim_cuda_templateIjEESt5tupleIJNSH_6TensorESM_SM_EERKSM_lbbbEUlllE0_EEPmJS6_EEE10hipError_tPvRmT3_T4_T5_T6_T7_T9_mT8_P12ihipStream_tbDpT10_ENKUlT_T0_E_clISt17integral_constantIbLb1EES1B_IbLb0EEEEDaS17_S18_EUlS17_E_NS1_11comp_targetILNS1_3genE4ELNS1_11target_archE910ELNS1_3gpuE8ELNS1_3repE0EEENS1_30default_config_static_selectorELNS0_4arch9wavefront6targetE1EEEvT1_
		.amdhsa_group_segment_fixed_size 10252
		.amdhsa_private_segment_fixed_size 0
		.amdhsa_kernarg_size 120
		.amdhsa_user_sgpr_count 6
		.amdhsa_user_sgpr_private_segment_buffer 1
		.amdhsa_user_sgpr_dispatch_ptr 0
		.amdhsa_user_sgpr_queue_ptr 0
		.amdhsa_user_sgpr_kernarg_segment_ptr 1
		.amdhsa_user_sgpr_dispatch_id 0
		.amdhsa_user_sgpr_flat_scratch_init 0
		.amdhsa_user_sgpr_kernarg_preload_length 0
		.amdhsa_user_sgpr_kernarg_preload_offset 0
		.amdhsa_user_sgpr_private_segment_size 0
		.amdhsa_uses_dynamic_stack 0
		.amdhsa_system_sgpr_private_segment_wavefront_offset 0
		.amdhsa_system_sgpr_workgroup_id_x 1
		.amdhsa_system_sgpr_workgroup_id_y 0
		.amdhsa_system_sgpr_workgroup_id_z 0
		.amdhsa_system_sgpr_workgroup_info 0
		.amdhsa_system_vgpr_workitem_id 0
		.amdhsa_next_free_vgpr 46
		.amdhsa_next_free_sgpr 48
		.amdhsa_accum_offset 48
		.amdhsa_reserve_vcc 1
		.amdhsa_reserve_flat_scratch 0
		.amdhsa_float_round_mode_32 0
		.amdhsa_float_round_mode_16_64 0
		.amdhsa_float_denorm_mode_32 3
		.amdhsa_float_denorm_mode_16_64 3
		.amdhsa_dx10_clamp 1
		.amdhsa_ieee_mode 1
		.amdhsa_fp16_overflow 0
		.amdhsa_tg_split 0
		.amdhsa_exception_fp_ieee_invalid_op 0
		.amdhsa_exception_fp_denorm_src 0
		.amdhsa_exception_fp_ieee_div_zero 0
		.amdhsa_exception_fp_ieee_overflow 0
		.amdhsa_exception_fp_ieee_underflow 0
		.amdhsa_exception_fp_ieee_inexact 0
		.amdhsa_exception_int_div_zero 0
	.end_amdhsa_kernel
	.section	.text._ZN7rocprim17ROCPRIM_400000_NS6detail17trampoline_kernelINS0_14default_configENS1_25partition_config_selectorILNS1_17partition_subalgoE8ElNS0_10empty_typeEbEEZZNS1_14partition_implILS5_8ELb0ES3_jPlPS6_PKS6_NS0_5tupleIJS9_S6_EEENSD_IJSA_SA_EEENS0_18inequality_wrapperIZN2at6native12_GLOBAL__N_124unique_dim_cuda_templateIjEESt5tupleIJNSH_6TensorESM_SM_EERKSM_lbbbEUlllE0_EEPmJS6_EEE10hipError_tPvRmT3_T4_T5_T6_T7_T9_mT8_P12ihipStream_tbDpT10_ENKUlT_T0_E_clISt17integral_constantIbLb1EES1B_IbLb0EEEEDaS17_S18_EUlS17_E_NS1_11comp_targetILNS1_3genE4ELNS1_11target_archE910ELNS1_3gpuE8ELNS1_3repE0EEENS1_30default_config_static_selectorELNS0_4arch9wavefront6targetE1EEEvT1_,"axG",@progbits,_ZN7rocprim17ROCPRIM_400000_NS6detail17trampoline_kernelINS0_14default_configENS1_25partition_config_selectorILNS1_17partition_subalgoE8ElNS0_10empty_typeEbEEZZNS1_14partition_implILS5_8ELb0ES3_jPlPS6_PKS6_NS0_5tupleIJS9_S6_EEENSD_IJSA_SA_EEENS0_18inequality_wrapperIZN2at6native12_GLOBAL__N_124unique_dim_cuda_templateIjEESt5tupleIJNSH_6TensorESM_SM_EERKSM_lbbbEUlllE0_EEPmJS6_EEE10hipError_tPvRmT3_T4_T5_T6_T7_T9_mT8_P12ihipStream_tbDpT10_ENKUlT_T0_E_clISt17integral_constantIbLb1EES1B_IbLb0EEEEDaS17_S18_EUlS17_E_NS1_11comp_targetILNS1_3genE4ELNS1_11target_archE910ELNS1_3gpuE8ELNS1_3repE0EEENS1_30default_config_static_selectorELNS0_4arch9wavefront6targetE1EEEvT1_,comdat
.Lfunc_end1557:
	.size	_ZN7rocprim17ROCPRIM_400000_NS6detail17trampoline_kernelINS0_14default_configENS1_25partition_config_selectorILNS1_17partition_subalgoE8ElNS0_10empty_typeEbEEZZNS1_14partition_implILS5_8ELb0ES3_jPlPS6_PKS6_NS0_5tupleIJS9_S6_EEENSD_IJSA_SA_EEENS0_18inequality_wrapperIZN2at6native12_GLOBAL__N_124unique_dim_cuda_templateIjEESt5tupleIJNSH_6TensorESM_SM_EERKSM_lbbbEUlllE0_EEPmJS6_EEE10hipError_tPvRmT3_T4_T5_T6_T7_T9_mT8_P12ihipStream_tbDpT10_ENKUlT_T0_E_clISt17integral_constantIbLb1EES1B_IbLb0EEEEDaS17_S18_EUlS17_E_NS1_11comp_targetILNS1_3genE4ELNS1_11target_archE910ELNS1_3gpuE8ELNS1_3repE0EEENS1_30default_config_static_selectorELNS0_4arch9wavefront6targetE1EEEvT1_, .Lfunc_end1557-_ZN7rocprim17ROCPRIM_400000_NS6detail17trampoline_kernelINS0_14default_configENS1_25partition_config_selectorILNS1_17partition_subalgoE8ElNS0_10empty_typeEbEEZZNS1_14partition_implILS5_8ELb0ES3_jPlPS6_PKS6_NS0_5tupleIJS9_S6_EEENSD_IJSA_SA_EEENS0_18inequality_wrapperIZN2at6native12_GLOBAL__N_124unique_dim_cuda_templateIjEESt5tupleIJNSH_6TensorESM_SM_EERKSM_lbbbEUlllE0_EEPmJS6_EEE10hipError_tPvRmT3_T4_T5_T6_T7_T9_mT8_P12ihipStream_tbDpT10_ENKUlT_T0_E_clISt17integral_constantIbLb1EES1B_IbLb0EEEEDaS17_S18_EUlS17_E_NS1_11comp_targetILNS1_3genE4ELNS1_11target_archE910ELNS1_3gpuE8ELNS1_3repE0EEENS1_30default_config_static_selectorELNS0_4arch9wavefront6targetE1EEEvT1_
                                        ; -- End function
	.section	.AMDGPU.csdata,"",@progbits
; Kernel info:
; codeLenInByte = 11456
; NumSgprs: 52
; NumVgprs: 46
; NumAgprs: 0
; TotalNumVgprs: 46
; ScratchSize: 0
; MemoryBound: 0
; FloatMode: 240
; IeeeMode: 1
; LDSByteSize: 10252 bytes/workgroup (compile time only)
; SGPRBlocks: 6
; VGPRBlocks: 5
; NumSGPRsForWavesPerEU: 52
; NumVGPRsForWavesPerEU: 46
; AccumOffset: 48
; Occupancy: 6
; WaveLimiterHint : 1
; COMPUTE_PGM_RSRC2:SCRATCH_EN: 0
; COMPUTE_PGM_RSRC2:USER_SGPR: 6
; COMPUTE_PGM_RSRC2:TRAP_HANDLER: 0
; COMPUTE_PGM_RSRC2:TGID_X_EN: 1
; COMPUTE_PGM_RSRC2:TGID_Y_EN: 0
; COMPUTE_PGM_RSRC2:TGID_Z_EN: 0
; COMPUTE_PGM_RSRC2:TIDIG_COMP_CNT: 0
; COMPUTE_PGM_RSRC3_GFX90A:ACCUM_OFFSET: 11
; COMPUTE_PGM_RSRC3_GFX90A:TG_SPLIT: 0
	.section	.text._ZN7rocprim17ROCPRIM_400000_NS6detail17trampoline_kernelINS0_14default_configENS1_25partition_config_selectorILNS1_17partition_subalgoE8ElNS0_10empty_typeEbEEZZNS1_14partition_implILS5_8ELb0ES3_jPlPS6_PKS6_NS0_5tupleIJS9_S6_EEENSD_IJSA_SA_EEENS0_18inequality_wrapperIZN2at6native12_GLOBAL__N_124unique_dim_cuda_templateIjEESt5tupleIJNSH_6TensorESM_SM_EERKSM_lbbbEUlllE0_EEPmJS6_EEE10hipError_tPvRmT3_T4_T5_T6_T7_T9_mT8_P12ihipStream_tbDpT10_ENKUlT_T0_E_clISt17integral_constantIbLb1EES1B_IbLb0EEEEDaS17_S18_EUlS17_E_NS1_11comp_targetILNS1_3genE3ELNS1_11target_archE908ELNS1_3gpuE7ELNS1_3repE0EEENS1_30default_config_static_selectorELNS0_4arch9wavefront6targetE1EEEvT1_,"axG",@progbits,_ZN7rocprim17ROCPRIM_400000_NS6detail17trampoline_kernelINS0_14default_configENS1_25partition_config_selectorILNS1_17partition_subalgoE8ElNS0_10empty_typeEbEEZZNS1_14partition_implILS5_8ELb0ES3_jPlPS6_PKS6_NS0_5tupleIJS9_S6_EEENSD_IJSA_SA_EEENS0_18inequality_wrapperIZN2at6native12_GLOBAL__N_124unique_dim_cuda_templateIjEESt5tupleIJNSH_6TensorESM_SM_EERKSM_lbbbEUlllE0_EEPmJS6_EEE10hipError_tPvRmT3_T4_T5_T6_T7_T9_mT8_P12ihipStream_tbDpT10_ENKUlT_T0_E_clISt17integral_constantIbLb1EES1B_IbLb0EEEEDaS17_S18_EUlS17_E_NS1_11comp_targetILNS1_3genE3ELNS1_11target_archE908ELNS1_3gpuE7ELNS1_3repE0EEENS1_30default_config_static_selectorELNS0_4arch9wavefront6targetE1EEEvT1_,comdat
	.globl	_ZN7rocprim17ROCPRIM_400000_NS6detail17trampoline_kernelINS0_14default_configENS1_25partition_config_selectorILNS1_17partition_subalgoE8ElNS0_10empty_typeEbEEZZNS1_14partition_implILS5_8ELb0ES3_jPlPS6_PKS6_NS0_5tupleIJS9_S6_EEENSD_IJSA_SA_EEENS0_18inequality_wrapperIZN2at6native12_GLOBAL__N_124unique_dim_cuda_templateIjEESt5tupleIJNSH_6TensorESM_SM_EERKSM_lbbbEUlllE0_EEPmJS6_EEE10hipError_tPvRmT3_T4_T5_T6_T7_T9_mT8_P12ihipStream_tbDpT10_ENKUlT_T0_E_clISt17integral_constantIbLb1EES1B_IbLb0EEEEDaS17_S18_EUlS17_E_NS1_11comp_targetILNS1_3genE3ELNS1_11target_archE908ELNS1_3gpuE7ELNS1_3repE0EEENS1_30default_config_static_selectorELNS0_4arch9wavefront6targetE1EEEvT1_ ; -- Begin function _ZN7rocprim17ROCPRIM_400000_NS6detail17trampoline_kernelINS0_14default_configENS1_25partition_config_selectorILNS1_17partition_subalgoE8ElNS0_10empty_typeEbEEZZNS1_14partition_implILS5_8ELb0ES3_jPlPS6_PKS6_NS0_5tupleIJS9_S6_EEENSD_IJSA_SA_EEENS0_18inequality_wrapperIZN2at6native12_GLOBAL__N_124unique_dim_cuda_templateIjEESt5tupleIJNSH_6TensorESM_SM_EERKSM_lbbbEUlllE0_EEPmJS6_EEE10hipError_tPvRmT3_T4_T5_T6_T7_T9_mT8_P12ihipStream_tbDpT10_ENKUlT_T0_E_clISt17integral_constantIbLb1EES1B_IbLb0EEEEDaS17_S18_EUlS17_E_NS1_11comp_targetILNS1_3genE3ELNS1_11target_archE908ELNS1_3gpuE7ELNS1_3repE0EEENS1_30default_config_static_selectorELNS0_4arch9wavefront6targetE1EEEvT1_
	.p2align	8
	.type	_ZN7rocprim17ROCPRIM_400000_NS6detail17trampoline_kernelINS0_14default_configENS1_25partition_config_selectorILNS1_17partition_subalgoE8ElNS0_10empty_typeEbEEZZNS1_14partition_implILS5_8ELb0ES3_jPlPS6_PKS6_NS0_5tupleIJS9_S6_EEENSD_IJSA_SA_EEENS0_18inequality_wrapperIZN2at6native12_GLOBAL__N_124unique_dim_cuda_templateIjEESt5tupleIJNSH_6TensorESM_SM_EERKSM_lbbbEUlllE0_EEPmJS6_EEE10hipError_tPvRmT3_T4_T5_T6_T7_T9_mT8_P12ihipStream_tbDpT10_ENKUlT_T0_E_clISt17integral_constantIbLb1EES1B_IbLb0EEEEDaS17_S18_EUlS17_E_NS1_11comp_targetILNS1_3genE3ELNS1_11target_archE908ELNS1_3gpuE7ELNS1_3repE0EEENS1_30default_config_static_selectorELNS0_4arch9wavefront6targetE1EEEvT1_,@function
_ZN7rocprim17ROCPRIM_400000_NS6detail17trampoline_kernelINS0_14default_configENS1_25partition_config_selectorILNS1_17partition_subalgoE8ElNS0_10empty_typeEbEEZZNS1_14partition_implILS5_8ELb0ES3_jPlPS6_PKS6_NS0_5tupleIJS9_S6_EEENSD_IJSA_SA_EEENS0_18inequality_wrapperIZN2at6native12_GLOBAL__N_124unique_dim_cuda_templateIjEESt5tupleIJNSH_6TensorESM_SM_EERKSM_lbbbEUlllE0_EEPmJS6_EEE10hipError_tPvRmT3_T4_T5_T6_T7_T9_mT8_P12ihipStream_tbDpT10_ENKUlT_T0_E_clISt17integral_constantIbLb1EES1B_IbLb0EEEEDaS17_S18_EUlS17_E_NS1_11comp_targetILNS1_3genE3ELNS1_11target_archE908ELNS1_3gpuE7ELNS1_3repE0EEENS1_30default_config_static_selectorELNS0_4arch9wavefront6targetE1EEEvT1_: ; @_ZN7rocprim17ROCPRIM_400000_NS6detail17trampoline_kernelINS0_14default_configENS1_25partition_config_selectorILNS1_17partition_subalgoE8ElNS0_10empty_typeEbEEZZNS1_14partition_implILS5_8ELb0ES3_jPlPS6_PKS6_NS0_5tupleIJS9_S6_EEENSD_IJSA_SA_EEENS0_18inequality_wrapperIZN2at6native12_GLOBAL__N_124unique_dim_cuda_templateIjEESt5tupleIJNSH_6TensorESM_SM_EERKSM_lbbbEUlllE0_EEPmJS6_EEE10hipError_tPvRmT3_T4_T5_T6_T7_T9_mT8_P12ihipStream_tbDpT10_ENKUlT_T0_E_clISt17integral_constantIbLb1EES1B_IbLb0EEEEDaS17_S18_EUlS17_E_NS1_11comp_targetILNS1_3genE3ELNS1_11target_archE908ELNS1_3gpuE7ELNS1_3repE0EEENS1_30default_config_static_selectorELNS0_4arch9wavefront6targetE1EEEvT1_
; %bb.0:
	.section	.rodata,"a",@progbits
	.p2align	6, 0x0
	.amdhsa_kernel _ZN7rocprim17ROCPRIM_400000_NS6detail17trampoline_kernelINS0_14default_configENS1_25partition_config_selectorILNS1_17partition_subalgoE8ElNS0_10empty_typeEbEEZZNS1_14partition_implILS5_8ELb0ES3_jPlPS6_PKS6_NS0_5tupleIJS9_S6_EEENSD_IJSA_SA_EEENS0_18inequality_wrapperIZN2at6native12_GLOBAL__N_124unique_dim_cuda_templateIjEESt5tupleIJNSH_6TensorESM_SM_EERKSM_lbbbEUlllE0_EEPmJS6_EEE10hipError_tPvRmT3_T4_T5_T6_T7_T9_mT8_P12ihipStream_tbDpT10_ENKUlT_T0_E_clISt17integral_constantIbLb1EES1B_IbLb0EEEEDaS17_S18_EUlS17_E_NS1_11comp_targetILNS1_3genE3ELNS1_11target_archE908ELNS1_3gpuE7ELNS1_3repE0EEENS1_30default_config_static_selectorELNS0_4arch9wavefront6targetE1EEEvT1_
		.amdhsa_group_segment_fixed_size 0
		.amdhsa_private_segment_fixed_size 0
		.amdhsa_kernarg_size 120
		.amdhsa_user_sgpr_count 6
		.amdhsa_user_sgpr_private_segment_buffer 1
		.amdhsa_user_sgpr_dispatch_ptr 0
		.amdhsa_user_sgpr_queue_ptr 0
		.amdhsa_user_sgpr_kernarg_segment_ptr 1
		.amdhsa_user_sgpr_dispatch_id 0
		.amdhsa_user_sgpr_flat_scratch_init 0
		.amdhsa_user_sgpr_kernarg_preload_length 0
		.amdhsa_user_sgpr_kernarg_preload_offset 0
		.amdhsa_user_sgpr_private_segment_size 0
		.amdhsa_uses_dynamic_stack 0
		.amdhsa_system_sgpr_private_segment_wavefront_offset 0
		.amdhsa_system_sgpr_workgroup_id_x 1
		.amdhsa_system_sgpr_workgroup_id_y 0
		.amdhsa_system_sgpr_workgroup_id_z 0
		.amdhsa_system_sgpr_workgroup_info 0
		.amdhsa_system_vgpr_workitem_id 0
		.amdhsa_next_free_vgpr 1
		.amdhsa_next_free_sgpr 0
		.amdhsa_accum_offset 4
		.amdhsa_reserve_vcc 0
		.amdhsa_reserve_flat_scratch 0
		.amdhsa_float_round_mode_32 0
		.amdhsa_float_round_mode_16_64 0
		.amdhsa_float_denorm_mode_32 3
		.amdhsa_float_denorm_mode_16_64 3
		.amdhsa_dx10_clamp 1
		.amdhsa_ieee_mode 1
		.amdhsa_fp16_overflow 0
		.amdhsa_tg_split 0
		.amdhsa_exception_fp_ieee_invalid_op 0
		.amdhsa_exception_fp_denorm_src 0
		.amdhsa_exception_fp_ieee_div_zero 0
		.amdhsa_exception_fp_ieee_overflow 0
		.amdhsa_exception_fp_ieee_underflow 0
		.amdhsa_exception_fp_ieee_inexact 0
		.amdhsa_exception_int_div_zero 0
	.end_amdhsa_kernel
	.section	.text._ZN7rocprim17ROCPRIM_400000_NS6detail17trampoline_kernelINS0_14default_configENS1_25partition_config_selectorILNS1_17partition_subalgoE8ElNS0_10empty_typeEbEEZZNS1_14partition_implILS5_8ELb0ES3_jPlPS6_PKS6_NS0_5tupleIJS9_S6_EEENSD_IJSA_SA_EEENS0_18inequality_wrapperIZN2at6native12_GLOBAL__N_124unique_dim_cuda_templateIjEESt5tupleIJNSH_6TensorESM_SM_EERKSM_lbbbEUlllE0_EEPmJS6_EEE10hipError_tPvRmT3_T4_T5_T6_T7_T9_mT8_P12ihipStream_tbDpT10_ENKUlT_T0_E_clISt17integral_constantIbLb1EES1B_IbLb0EEEEDaS17_S18_EUlS17_E_NS1_11comp_targetILNS1_3genE3ELNS1_11target_archE908ELNS1_3gpuE7ELNS1_3repE0EEENS1_30default_config_static_selectorELNS0_4arch9wavefront6targetE1EEEvT1_,"axG",@progbits,_ZN7rocprim17ROCPRIM_400000_NS6detail17trampoline_kernelINS0_14default_configENS1_25partition_config_selectorILNS1_17partition_subalgoE8ElNS0_10empty_typeEbEEZZNS1_14partition_implILS5_8ELb0ES3_jPlPS6_PKS6_NS0_5tupleIJS9_S6_EEENSD_IJSA_SA_EEENS0_18inequality_wrapperIZN2at6native12_GLOBAL__N_124unique_dim_cuda_templateIjEESt5tupleIJNSH_6TensorESM_SM_EERKSM_lbbbEUlllE0_EEPmJS6_EEE10hipError_tPvRmT3_T4_T5_T6_T7_T9_mT8_P12ihipStream_tbDpT10_ENKUlT_T0_E_clISt17integral_constantIbLb1EES1B_IbLb0EEEEDaS17_S18_EUlS17_E_NS1_11comp_targetILNS1_3genE3ELNS1_11target_archE908ELNS1_3gpuE7ELNS1_3repE0EEENS1_30default_config_static_selectorELNS0_4arch9wavefront6targetE1EEEvT1_,comdat
.Lfunc_end1558:
	.size	_ZN7rocprim17ROCPRIM_400000_NS6detail17trampoline_kernelINS0_14default_configENS1_25partition_config_selectorILNS1_17partition_subalgoE8ElNS0_10empty_typeEbEEZZNS1_14partition_implILS5_8ELb0ES3_jPlPS6_PKS6_NS0_5tupleIJS9_S6_EEENSD_IJSA_SA_EEENS0_18inequality_wrapperIZN2at6native12_GLOBAL__N_124unique_dim_cuda_templateIjEESt5tupleIJNSH_6TensorESM_SM_EERKSM_lbbbEUlllE0_EEPmJS6_EEE10hipError_tPvRmT3_T4_T5_T6_T7_T9_mT8_P12ihipStream_tbDpT10_ENKUlT_T0_E_clISt17integral_constantIbLb1EES1B_IbLb0EEEEDaS17_S18_EUlS17_E_NS1_11comp_targetILNS1_3genE3ELNS1_11target_archE908ELNS1_3gpuE7ELNS1_3repE0EEENS1_30default_config_static_selectorELNS0_4arch9wavefront6targetE1EEEvT1_, .Lfunc_end1558-_ZN7rocprim17ROCPRIM_400000_NS6detail17trampoline_kernelINS0_14default_configENS1_25partition_config_selectorILNS1_17partition_subalgoE8ElNS0_10empty_typeEbEEZZNS1_14partition_implILS5_8ELb0ES3_jPlPS6_PKS6_NS0_5tupleIJS9_S6_EEENSD_IJSA_SA_EEENS0_18inequality_wrapperIZN2at6native12_GLOBAL__N_124unique_dim_cuda_templateIjEESt5tupleIJNSH_6TensorESM_SM_EERKSM_lbbbEUlllE0_EEPmJS6_EEE10hipError_tPvRmT3_T4_T5_T6_T7_T9_mT8_P12ihipStream_tbDpT10_ENKUlT_T0_E_clISt17integral_constantIbLb1EES1B_IbLb0EEEEDaS17_S18_EUlS17_E_NS1_11comp_targetILNS1_3genE3ELNS1_11target_archE908ELNS1_3gpuE7ELNS1_3repE0EEENS1_30default_config_static_selectorELNS0_4arch9wavefront6targetE1EEEvT1_
                                        ; -- End function
	.section	.AMDGPU.csdata,"",@progbits
; Kernel info:
; codeLenInByte = 0
; NumSgprs: 4
; NumVgprs: 0
; NumAgprs: 0
; TotalNumVgprs: 0
; ScratchSize: 0
; MemoryBound: 0
; FloatMode: 240
; IeeeMode: 1
; LDSByteSize: 0 bytes/workgroup (compile time only)
; SGPRBlocks: 0
; VGPRBlocks: 0
; NumSGPRsForWavesPerEU: 4
; NumVGPRsForWavesPerEU: 1
; AccumOffset: 4
; Occupancy: 8
; WaveLimiterHint : 0
; COMPUTE_PGM_RSRC2:SCRATCH_EN: 0
; COMPUTE_PGM_RSRC2:USER_SGPR: 6
; COMPUTE_PGM_RSRC2:TRAP_HANDLER: 0
; COMPUTE_PGM_RSRC2:TGID_X_EN: 1
; COMPUTE_PGM_RSRC2:TGID_Y_EN: 0
; COMPUTE_PGM_RSRC2:TGID_Z_EN: 0
; COMPUTE_PGM_RSRC2:TIDIG_COMP_CNT: 0
; COMPUTE_PGM_RSRC3_GFX90A:ACCUM_OFFSET: 0
; COMPUTE_PGM_RSRC3_GFX90A:TG_SPLIT: 0
	.section	.text._ZN7rocprim17ROCPRIM_400000_NS6detail17trampoline_kernelINS0_14default_configENS1_25partition_config_selectorILNS1_17partition_subalgoE8ElNS0_10empty_typeEbEEZZNS1_14partition_implILS5_8ELb0ES3_jPlPS6_PKS6_NS0_5tupleIJS9_S6_EEENSD_IJSA_SA_EEENS0_18inequality_wrapperIZN2at6native12_GLOBAL__N_124unique_dim_cuda_templateIjEESt5tupleIJNSH_6TensorESM_SM_EERKSM_lbbbEUlllE0_EEPmJS6_EEE10hipError_tPvRmT3_T4_T5_T6_T7_T9_mT8_P12ihipStream_tbDpT10_ENKUlT_T0_E_clISt17integral_constantIbLb1EES1B_IbLb0EEEEDaS17_S18_EUlS17_E_NS1_11comp_targetILNS1_3genE2ELNS1_11target_archE906ELNS1_3gpuE6ELNS1_3repE0EEENS1_30default_config_static_selectorELNS0_4arch9wavefront6targetE1EEEvT1_,"axG",@progbits,_ZN7rocprim17ROCPRIM_400000_NS6detail17trampoline_kernelINS0_14default_configENS1_25partition_config_selectorILNS1_17partition_subalgoE8ElNS0_10empty_typeEbEEZZNS1_14partition_implILS5_8ELb0ES3_jPlPS6_PKS6_NS0_5tupleIJS9_S6_EEENSD_IJSA_SA_EEENS0_18inequality_wrapperIZN2at6native12_GLOBAL__N_124unique_dim_cuda_templateIjEESt5tupleIJNSH_6TensorESM_SM_EERKSM_lbbbEUlllE0_EEPmJS6_EEE10hipError_tPvRmT3_T4_T5_T6_T7_T9_mT8_P12ihipStream_tbDpT10_ENKUlT_T0_E_clISt17integral_constantIbLb1EES1B_IbLb0EEEEDaS17_S18_EUlS17_E_NS1_11comp_targetILNS1_3genE2ELNS1_11target_archE906ELNS1_3gpuE6ELNS1_3repE0EEENS1_30default_config_static_selectorELNS0_4arch9wavefront6targetE1EEEvT1_,comdat
	.globl	_ZN7rocprim17ROCPRIM_400000_NS6detail17trampoline_kernelINS0_14default_configENS1_25partition_config_selectorILNS1_17partition_subalgoE8ElNS0_10empty_typeEbEEZZNS1_14partition_implILS5_8ELb0ES3_jPlPS6_PKS6_NS0_5tupleIJS9_S6_EEENSD_IJSA_SA_EEENS0_18inequality_wrapperIZN2at6native12_GLOBAL__N_124unique_dim_cuda_templateIjEESt5tupleIJNSH_6TensorESM_SM_EERKSM_lbbbEUlllE0_EEPmJS6_EEE10hipError_tPvRmT3_T4_T5_T6_T7_T9_mT8_P12ihipStream_tbDpT10_ENKUlT_T0_E_clISt17integral_constantIbLb1EES1B_IbLb0EEEEDaS17_S18_EUlS17_E_NS1_11comp_targetILNS1_3genE2ELNS1_11target_archE906ELNS1_3gpuE6ELNS1_3repE0EEENS1_30default_config_static_selectorELNS0_4arch9wavefront6targetE1EEEvT1_ ; -- Begin function _ZN7rocprim17ROCPRIM_400000_NS6detail17trampoline_kernelINS0_14default_configENS1_25partition_config_selectorILNS1_17partition_subalgoE8ElNS0_10empty_typeEbEEZZNS1_14partition_implILS5_8ELb0ES3_jPlPS6_PKS6_NS0_5tupleIJS9_S6_EEENSD_IJSA_SA_EEENS0_18inequality_wrapperIZN2at6native12_GLOBAL__N_124unique_dim_cuda_templateIjEESt5tupleIJNSH_6TensorESM_SM_EERKSM_lbbbEUlllE0_EEPmJS6_EEE10hipError_tPvRmT3_T4_T5_T6_T7_T9_mT8_P12ihipStream_tbDpT10_ENKUlT_T0_E_clISt17integral_constantIbLb1EES1B_IbLb0EEEEDaS17_S18_EUlS17_E_NS1_11comp_targetILNS1_3genE2ELNS1_11target_archE906ELNS1_3gpuE6ELNS1_3repE0EEENS1_30default_config_static_selectorELNS0_4arch9wavefront6targetE1EEEvT1_
	.p2align	8
	.type	_ZN7rocprim17ROCPRIM_400000_NS6detail17trampoline_kernelINS0_14default_configENS1_25partition_config_selectorILNS1_17partition_subalgoE8ElNS0_10empty_typeEbEEZZNS1_14partition_implILS5_8ELb0ES3_jPlPS6_PKS6_NS0_5tupleIJS9_S6_EEENSD_IJSA_SA_EEENS0_18inequality_wrapperIZN2at6native12_GLOBAL__N_124unique_dim_cuda_templateIjEESt5tupleIJNSH_6TensorESM_SM_EERKSM_lbbbEUlllE0_EEPmJS6_EEE10hipError_tPvRmT3_T4_T5_T6_T7_T9_mT8_P12ihipStream_tbDpT10_ENKUlT_T0_E_clISt17integral_constantIbLb1EES1B_IbLb0EEEEDaS17_S18_EUlS17_E_NS1_11comp_targetILNS1_3genE2ELNS1_11target_archE906ELNS1_3gpuE6ELNS1_3repE0EEENS1_30default_config_static_selectorELNS0_4arch9wavefront6targetE1EEEvT1_,@function
_ZN7rocprim17ROCPRIM_400000_NS6detail17trampoline_kernelINS0_14default_configENS1_25partition_config_selectorILNS1_17partition_subalgoE8ElNS0_10empty_typeEbEEZZNS1_14partition_implILS5_8ELb0ES3_jPlPS6_PKS6_NS0_5tupleIJS9_S6_EEENSD_IJSA_SA_EEENS0_18inequality_wrapperIZN2at6native12_GLOBAL__N_124unique_dim_cuda_templateIjEESt5tupleIJNSH_6TensorESM_SM_EERKSM_lbbbEUlllE0_EEPmJS6_EEE10hipError_tPvRmT3_T4_T5_T6_T7_T9_mT8_P12ihipStream_tbDpT10_ENKUlT_T0_E_clISt17integral_constantIbLb1EES1B_IbLb0EEEEDaS17_S18_EUlS17_E_NS1_11comp_targetILNS1_3genE2ELNS1_11target_archE906ELNS1_3gpuE6ELNS1_3repE0EEENS1_30default_config_static_selectorELNS0_4arch9wavefront6targetE1EEEvT1_: ; @_ZN7rocprim17ROCPRIM_400000_NS6detail17trampoline_kernelINS0_14default_configENS1_25partition_config_selectorILNS1_17partition_subalgoE8ElNS0_10empty_typeEbEEZZNS1_14partition_implILS5_8ELb0ES3_jPlPS6_PKS6_NS0_5tupleIJS9_S6_EEENSD_IJSA_SA_EEENS0_18inequality_wrapperIZN2at6native12_GLOBAL__N_124unique_dim_cuda_templateIjEESt5tupleIJNSH_6TensorESM_SM_EERKSM_lbbbEUlllE0_EEPmJS6_EEE10hipError_tPvRmT3_T4_T5_T6_T7_T9_mT8_P12ihipStream_tbDpT10_ENKUlT_T0_E_clISt17integral_constantIbLb1EES1B_IbLb0EEEEDaS17_S18_EUlS17_E_NS1_11comp_targetILNS1_3genE2ELNS1_11target_archE906ELNS1_3gpuE6ELNS1_3repE0EEENS1_30default_config_static_selectorELNS0_4arch9wavefront6targetE1EEEvT1_
; %bb.0:
	.section	.rodata,"a",@progbits
	.p2align	6, 0x0
	.amdhsa_kernel _ZN7rocprim17ROCPRIM_400000_NS6detail17trampoline_kernelINS0_14default_configENS1_25partition_config_selectorILNS1_17partition_subalgoE8ElNS0_10empty_typeEbEEZZNS1_14partition_implILS5_8ELb0ES3_jPlPS6_PKS6_NS0_5tupleIJS9_S6_EEENSD_IJSA_SA_EEENS0_18inequality_wrapperIZN2at6native12_GLOBAL__N_124unique_dim_cuda_templateIjEESt5tupleIJNSH_6TensorESM_SM_EERKSM_lbbbEUlllE0_EEPmJS6_EEE10hipError_tPvRmT3_T4_T5_T6_T7_T9_mT8_P12ihipStream_tbDpT10_ENKUlT_T0_E_clISt17integral_constantIbLb1EES1B_IbLb0EEEEDaS17_S18_EUlS17_E_NS1_11comp_targetILNS1_3genE2ELNS1_11target_archE906ELNS1_3gpuE6ELNS1_3repE0EEENS1_30default_config_static_selectorELNS0_4arch9wavefront6targetE1EEEvT1_
		.amdhsa_group_segment_fixed_size 0
		.amdhsa_private_segment_fixed_size 0
		.amdhsa_kernarg_size 120
		.amdhsa_user_sgpr_count 6
		.amdhsa_user_sgpr_private_segment_buffer 1
		.amdhsa_user_sgpr_dispatch_ptr 0
		.amdhsa_user_sgpr_queue_ptr 0
		.amdhsa_user_sgpr_kernarg_segment_ptr 1
		.amdhsa_user_sgpr_dispatch_id 0
		.amdhsa_user_sgpr_flat_scratch_init 0
		.amdhsa_user_sgpr_kernarg_preload_length 0
		.amdhsa_user_sgpr_kernarg_preload_offset 0
		.amdhsa_user_sgpr_private_segment_size 0
		.amdhsa_uses_dynamic_stack 0
		.amdhsa_system_sgpr_private_segment_wavefront_offset 0
		.amdhsa_system_sgpr_workgroup_id_x 1
		.amdhsa_system_sgpr_workgroup_id_y 0
		.amdhsa_system_sgpr_workgroup_id_z 0
		.amdhsa_system_sgpr_workgroup_info 0
		.amdhsa_system_vgpr_workitem_id 0
		.amdhsa_next_free_vgpr 1
		.amdhsa_next_free_sgpr 0
		.amdhsa_accum_offset 4
		.amdhsa_reserve_vcc 0
		.amdhsa_reserve_flat_scratch 0
		.amdhsa_float_round_mode_32 0
		.amdhsa_float_round_mode_16_64 0
		.amdhsa_float_denorm_mode_32 3
		.amdhsa_float_denorm_mode_16_64 3
		.amdhsa_dx10_clamp 1
		.amdhsa_ieee_mode 1
		.amdhsa_fp16_overflow 0
		.amdhsa_tg_split 0
		.amdhsa_exception_fp_ieee_invalid_op 0
		.amdhsa_exception_fp_denorm_src 0
		.amdhsa_exception_fp_ieee_div_zero 0
		.amdhsa_exception_fp_ieee_overflow 0
		.amdhsa_exception_fp_ieee_underflow 0
		.amdhsa_exception_fp_ieee_inexact 0
		.amdhsa_exception_int_div_zero 0
	.end_amdhsa_kernel
	.section	.text._ZN7rocprim17ROCPRIM_400000_NS6detail17trampoline_kernelINS0_14default_configENS1_25partition_config_selectorILNS1_17partition_subalgoE8ElNS0_10empty_typeEbEEZZNS1_14partition_implILS5_8ELb0ES3_jPlPS6_PKS6_NS0_5tupleIJS9_S6_EEENSD_IJSA_SA_EEENS0_18inequality_wrapperIZN2at6native12_GLOBAL__N_124unique_dim_cuda_templateIjEESt5tupleIJNSH_6TensorESM_SM_EERKSM_lbbbEUlllE0_EEPmJS6_EEE10hipError_tPvRmT3_T4_T5_T6_T7_T9_mT8_P12ihipStream_tbDpT10_ENKUlT_T0_E_clISt17integral_constantIbLb1EES1B_IbLb0EEEEDaS17_S18_EUlS17_E_NS1_11comp_targetILNS1_3genE2ELNS1_11target_archE906ELNS1_3gpuE6ELNS1_3repE0EEENS1_30default_config_static_selectorELNS0_4arch9wavefront6targetE1EEEvT1_,"axG",@progbits,_ZN7rocprim17ROCPRIM_400000_NS6detail17trampoline_kernelINS0_14default_configENS1_25partition_config_selectorILNS1_17partition_subalgoE8ElNS0_10empty_typeEbEEZZNS1_14partition_implILS5_8ELb0ES3_jPlPS6_PKS6_NS0_5tupleIJS9_S6_EEENSD_IJSA_SA_EEENS0_18inequality_wrapperIZN2at6native12_GLOBAL__N_124unique_dim_cuda_templateIjEESt5tupleIJNSH_6TensorESM_SM_EERKSM_lbbbEUlllE0_EEPmJS6_EEE10hipError_tPvRmT3_T4_T5_T6_T7_T9_mT8_P12ihipStream_tbDpT10_ENKUlT_T0_E_clISt17integral_constantIbLb1EES1B_IbLb0EEEEDaS17_S18_EUlS17_E_NS1_11comp_targetILNS1_3genE2ELNS1_11target_archE906ELNS1_3gpuE6ELNS1_3repE0EEENS1_30default_config_static_selectorELNS0_4arch9wavefront6targetE1EEEvT1_,comdat
.Lfunc_end1559:
	.size	_ZN7rocprim17ROCPRIM_400000_NS6detail17trampoline_kernelINS0_14default_configENS1_25partition_config_selectorILNS1_17partition_subalgoE8ElNS0_10empty_typeEbEEZZNS1_14partition_implILS5_8ELb0ES3_jPlPS6_PKS6_NS0_5tupleIJS9_S6_EEENSD_IJSA_SA_EEENS0_18inequality_wrapperIZN2at6native12_GLOBAL__N_124unique_dim_cuda_templateIjEESt5tupleIJNSH_6TensorESM_SM_EERKSM_lbbbEUlllE0_EEPmJS6_EEE10hipError_tPvRmT3_T4_T5_T6_T7_T9_mT8_P12ihipStream_tbDpT10_ENKUlT_T0_E_clISt17integral_constantIbLb1EES1B_IbLb0EEEEDaS17_S18_EUlS17_E_NS1_11comp_targetILNS1_3genE2ELNS1_11target_archE906ELNS1_3gpuE6ELNS1_3repE0EEENS1_30default_config_static_selectorELNS0_4arch9wavefront6targetE1EEEvT1_, .Lfunc_end1559-_ZN7rocprim17ROCPRIM_400000_NS6detail17trampoline_kernelINS0_14default_configENS1_25partition_config_selectorILNS1_17partition_subalgoE8ElNS0_10empty_typeEbEEZZNS1_14partition_implILS5_8ELb0ES3_jPlPS6_PKS6_NS0_5tupleIJS9_S6_EEENSD_IJSA_SA_EEENS0_18inequality_wrapperIZN2at6native12_GLOBAL__N_124unique_dim_cuda_templateIjEESt5tupleIJNSH_6TensorESM_SM_EERKSM_lbbbEUlllE0_EEPmJS6_EEE10hipError_tPvRmT3_T4_T5_T6_T7_T9_mT8_P12ihipStream_tbDpT10_ENKUlT_T0_E_clISt17integral_constantIbLb1EES1B_IbLb0EEEEDaS17_S18_EUlS17_E_NS1_11comp_targetILNS1_3genE2ELNS1_11target_archE906ELNS1_3gpuE6ELNS1_3repE0EEENS1_30default_config_static_selectorELNS0_4arch9wavefront6targetE1EEEvT1_
                                        ; -- End function
	.section	.AMDGPU.csdata,"",@progbits
; Kernel info:
; codeLenInByte = 0
; NumSgprs: 4
; NumVgprs: 0
; NumAgprs: 0
; TotalNumVgprs: 0
; ScratchSize: 0
; MemoryBound: 0
; FloatMode: 240
; IeeeMode: 1
; LDSByteSize: 0 bytes/workgroup (compile time only)
; SGPRBlocks: 0
; VGPRBlocks: 0
; NumSGPRsForWavesPerEU: 4
; NumVGPRsForWavesPerEU: 1
; AccumOffset: 4
; Occupancy: 8
; WaveLimiterHint : 0
; COMPUTE_PGM_RSRC2:SCRATCH_EN: 0
; COMPUTE_PGM_RSRC2:USER_SGPR: 6
; COMPUTE_PGM_RSRC2:TRAP_HANDLER: 0
; COMPUTE_PGM_RSRC2:TGID_X_EN: 1
; COMPUTE_PGM_RSRC2:TGID_Y_EN: 0
; COMPUTE_PGM_RSRC2:TGID_Z_EN: 0
; COMPUTE_PGM_RSRC2:TIDIG_COMP_CNT: 0
; COMPUTE_PGM_RSRC3_GFX90A:ACCUM_OFFSET: 0
; COMPUTE_PGM_RSRC3_GFX90A:TG_SPLIT: 0
	.section	.text._ZN7rocprim17ROCPRIM_400000_NS6detail17trampoline_kernelINS0_14default_configENS1_25partition_config_selectorILNS1_17partition_subalgoE8ElNS0_10empty_typeEbEEZZNS1_14partition_implILS5_8ELb0ES3_jPlPS6_PKS6_NS0_5tupleIJS9_S6_EEENSD_IJSA_SA_EEENS0_18inequality_wrapperIZN2at6native12_GLOBAL__N_124unique_dim_cuda_templateIjEESt5tupleIJNSH_6TensorESM_SM_EERKSM_lbbbEUlllE0_EEPmJS6_EEE10hipError_tPvRmT3_T4_T5_T6_T7_T9_mT8_P12ihipStream_tbDpT10_ENKUlT_T0_E_clISt17integral_constantIbLb1EES1B_IbLb0EEEEDaS17_S18_EUlS17_E_NS1_11comp_targetILNS1_3genE10ELNS1_11target_archE1200ELNS1_3gpuE4ELNS1_3repE0EEENS1_30default_config_static_selectorELNS0_4arch9wavefront6targetE1EEEvT1_,"axG",@progbits,_ZN7rocprim17ROCPRIM_400000_NS6detail17trampoline_kernelINS0_14default_configENS1_25partition_config_selectorILNS1_17partition_subalgoE8ElNS0_10empty_typeEbEEZZNS1_14partition_implILS5_8ELb0ES3_jPlPS6_PKS6_NS0_5tupleIJS9_S6_EEENSD_IJSA_SA_EEENS0_18inequality_wrapperIZN2at6native12_GLOBAL__N_124unique_dim_cuda_templateIjEESt5tupleIJNSH_6TensorESM_SM_EERKSM_lbbbEUlllE0_EEPmJS6_EEE10hipError_tPvRmT3_T4_T5_T6_T7_T9_mT8_P12ihipStream_tbDpT10_ENKUlT_T0_E_clISt17integral_constantIbLb1EES1B_IbLb0EEEEDaS17_S18_EUlS17_E_NS1_11comp_targetILNS1_3genE10ELNS1_11target_archE1200ELNS1_3gpuE4ELNS1_3repE0EEENS1_30default_config_static_selectorELNS0_4arch9wavefront6targetE1EEEvT1_,comdat
	.globl	_ZN7rocprim17ROCPRIM_400000_NS6detail17trampoline_kernelINS0_14default_configENS1_25partition_config_selectorILNS1_17partition_subalgoE8ElNS0_10empty_typeEbEEZZNS1_14partition_implILS5_8ELb0ES3_jPlPS6_PKS6_NS0_5tupleIJS9_S6_EEENSD_IJSA_SA_EEENS0_18inequality_wrapperIZN2at6native12_GLOBAL__N_124unique_dim_cuda_templateIjEESt5tupleIJNSH_6TensorESM_SM_EERKSM_lbbbEUlllE0_EEPmJS6_EEE10hipError_tPvRmT3_T4_T5_T6_T7_T9_mT8_P12ihipStream_tbDpT10_ENKUlT_T0_E_clISt17integral_constantIbLb1EES1B_IbLb0EEEEDaS17_S18_EUlS17_E_NS1_11comp_targetILNS1_3genE10ELNS1_11target_archE1200ELNS1_3gpuE4ELNS1_3repE0EEENS1_30default_config_static_selectorELNS0_4arch9wavefront6targetE1EEEvT1_ ; -- Begin function _ZN7rocprim17ROCPRIM_400000_NS6detail17trampoline_kernelINS0_14default_configENS1_25partition_config_selectorILNS1_17partition_subalgoE8ElNS0_10empty_typeEbEEZZNS1_14partition_implILS5_8ELb0ES3_jPlPS6_PKS6_NS0_5tupleIJS9_S6_EEENSD_IJSA_SA_EEENS0_18inequality_wrapperIZN2at6native12_GLOBAL__N_124unique_dim_cuda_templateIjEESt5tupleIJNSH_6TensorESM_SM_EERKSM_lbbbEUlllE0_EEPmJS6_EEE10hipError_tPvRmT3_T4_T5_T6_T7_T9_mT8_P12ihipStream_tbDpT10_ENKUlT_T0_E_clISt17integral_constantIbLb1EES1B_IbLb0EEEEDaS17_S18_EUlS17_E_NS1_11comp_targetILNS1_3genE10ELNS1_11target_archE1200ELNS1_3gpuE4ELNS1_3repE0EEENS1_30default_config_static_selectorELNS0_4arch9wavefront6targetE1EEEvT1_
	.p2align	8
	.type	_ZN7rocprim17ROCPRIM_400000_NS6detail17trampoline_kernelINS0_14default_configENS1_25partition_config_selectorILNS1_17partition_subalgoE8ElNS0_10empty_typeEbEEZZNS1_14partition_implILS5_8ELb0ES3_jPlPS6_PKS6_NS0_5tupleIJS9_S6_EEENSD_IJSA_SA_EEENS0_18inequality_wrapperIZN2at6native12_GLOBAL__N_124unique_dim_cuda_templateIjEESt5tupleIJNSH_6TensorESM_SM_EERKSM_lbbbEUlllE0_EEPmJS6_EEE10hipError_tPvRmT3_T4_T5_T6_T7_T9_mT8_P12ihipStream_tbDpT10_ENKUlT_T0_E_clISt17integral_constantIbLb1EES1B_IbLb0EEEEDaS17_S18_EUlS17_E_NS1_11comp_targetILNS1_3genE10ELNS1_11target_archE1200ELNS1_3gpuE4ELNS1_3repE0EEENS1_30default_config_static_selectorELNS0_4arch9wavefront6targetE1EEEvT1_,@function
_ZN7rocprim17ROCPRIM_400000_NS6detail17trampoline_kernelINS0_14default_configENS1_25partition_config_selectorILNS1_17partition_subalgoE8ElNS0_10empty_typeEbEEZZNS1_14partition_implILS5_8ELb0ES3_jPlPS6_PKS6_NS0_5tupleIJS9_S6_EEENSD_IJSA_SA_EEENS0_18inequality_wrapperIZN2at6native12_GLOBAL__N_124unique_dim_cuda_templateIjEESt5tupleIJNSH_6TensorESM_SM_EERKSM_lbbbEUlllE0_EEPmJS6_EEE10hipError_tPvRmT3_T4_T5_T6_T7_T9_mT8_P12ihipStream_tbDpT10_ENKUlT_T0_E_clISt17integral_constantIbLb1EES1B_IbLb0EEEEDaS17_S18_EUlS17_E_NS1_11comp_targetILNS1_3genE10ELNS1_11target_archE1200ELNS1_3gpuE4ELNS1_3repE0EEENS1_30default_config_static_selectorELNS0_4arch9wavefront6targetE1EEEvT1_: ; @_ZN7rocprim17ROCPRIM_400000_NS6detail17trampoline_kernelINS0_14default_configENS1_25partition_config_selectorILNS1_17partition_subalgoE8ElNS0_10empty_typeEbEEZZNS1_14partition_implILS5_8ELb0ES3_jPlPS6_PKS6_NS0_5tupleIJS9_S6_EEENSD_IJSA_SA_EEENS0_18inequality_wrapperIZN2at6native12_GLOBAL__N_124unique_dim_cuda_templateIjEESt5tupleIJNSH_6TensorESM_SM_EERKSM_lbbbEUlllE0_EEPmJS6_EEE10hipError_tPvRmT3_T4_T5_T6_T7_T9_mT8_P12ihipStream_tbDpT10_ENKUlT_T0_E_clISt17integral_constantIbLb1EES1B_IbLb0EEEEDaS17_S18_EUlS17_E_NS1_11comp_targetILNS1_3genE10ELNS1_11target_archE1200ELNS1_3gpuE4ELNS1_3repE0EEENS1_30default_config_static_selectorELNS0_4arch9wavefront6targetE1EEEvT1_
; %bb.0:
	.section	.rodata,"a",@progbits
	.p2align	6, 0x0
	.amdhsa_kernel _ZN7rocprim17ROCPRIM_400000_NS6detail17trampoline_kernelINS0_14default_configENS1_25partition_config_selectorILNS1_17partition_subalgoE8ElNS0_10empty_typeEbEEZZNS1_14partition_implILS5_8ELb0ES3_jPlPS6_PKS6_NS0_5tupleIJS9_S6_EEENSD_IJSA_SA_EEENS0_18inequality_wrapperIZN2at6native12_GLOBAL__N_124unique_dim_cuda_templateIjEESt5tupleIJNSH_6TensorESM_SM_EERKSM_lbbbEUlllE0_EEPmJS6_EEE10hipError_tPvRmT3_T4_T5_T6_T7_T9_mT8_P12ihipStream_tbDpT10_ENKUlT_T0_E_clISt17integral_constantIbLb1EES1B_IbLb0EEEEDaS17_S18_EUlS17_E_NS1_11comp_targetILNS1_3genE10ELNS1_11target_archE1200ELNS1_3gpuE4ELNS1_3repE0EEENS1_30default_config_static_selectorELNS0_4arch9wavefront6targetE1EEEvT1_
		.amdhsa_group_segment_fixed_size 0
		.amdhsa_private_segment_fixed_size 0
		.amdhsa_kernarg_size 120
		.amdhsa_user_sgpr_count 6
		.amdhsa_user_sgpr_private_segment_buffer 1
		.amdhsa_user_sgpr_dispatch_ptr 0
		.amdhsa_user_sgpr_queue_ptr 0
		.amdhsa_user_sgpr_kernarg_segment_ptr 1
		.amdhsa_user_sgpr_dispatch_id 0
		.amdhsa_user_sgpr_flat_scratch_init 0
		.amdhsa_user_sgpr_kernarg_preload_length 0
		.amdhsa_user_sgpr_kernarg_preload_offset 0
		.amdhsa_user_sgpr_private_segment_size 0
		.amdhsa_uses_dynamic_stack 0
		.amdhsa_system_sgpr_private_segment_wavefront_offset 0
		.amdhsa_system_sgpr_workgroup_id_x 1
		.amdhsa_system_sgpr_workgroup_id_y 0
		.amdhsa_system_sgpr_workgroup_id_z 0
		.amdhsa_system_sgpr_workgroup_info 0
		.amdhsa_system_vgpr_workitem_id 0
		.amdhsa_next_free_vgpr 1
		.amdhsa_next_free_sgpr 0
		.amdhsa_accum_offset 4
		.amdhsa_reserve_vcc 0
		.amdhsa_reserve_flat_scratch 0
		.amdhsa_float_round_mode_32 0
		.amdhsa_float_round_mode_16_64 0
		.amdhsa_float_denorm_mode_32 3
		.amdhsa_float_denorm_mode_16_64 3
		.amdhsa_dx10_clamp 1
		.amdhsa_ieee_mode 1
		.amdhsa_fp16_overflow 0
		.amdhsa_tg_split 0
		.amdhsa_exception_fp_ieee_invalid_op 0
		.amdhsa_exception_fp_denorm_src 0
		.amdhsa_exception_fp_ieee_div_zero 0
		.amdhsa_exception_fp_ieee_overflow 0
		.amdhsa_exception_fp_ieee_underflow 0
		.amdhsa_exception_fp_ieee_inexact 0
		.amdhsa_exception_int_div_zero 0
	.end_amdhsa_kernel
	.section	.text._ZN7rocprim17ROCPRIM_400000_NS6detail17trampoline_kernelINS0_14default_configENS1_25partition_config_selectorILNS1_17partition_subalgoE8ElNS0_10empty_typeEbEEZZNS1_14partition_implILS5_8ELb0ES3_jPlPS6_PKS6_NS0_5tupleIJS9_S6_EEENSD_IJSA_SA_EEENS0_18inequality_wrapperIZN2at6native12_GLOBAL__N_124unique_dim_cuda_templateIjEESt5tupleIJNSH_6TensorESM_SM_EERKSM_lbbbEUlllE0_EEPmJS6_EEE10hipError_tPvRmT3_T4_T5_T6_T7_T9_mT8_P12ihipStream_tbDpT10_ENKUlT_T0_E_clISt17integral_constantIbLb1EES1B_IbLb0EEEEDaS17_S18_EUlS17_E_NS1_11comp_targetILNS1_3genE10ELNS1_11target_archE1200ELNS1_3gpuE4ELNS1_3repE0EEENS1_30default_config_static_selectorELNS0_4arch9wavefront6targetE1EEEvT1_,"axG",@progbits,_ZN7rocprim17ROCPRIM_400000_NS6detail17trampoline_kernelINS0_14default_configENS1_25partition_config_selectorILNS1_17partition_subalgoE8ElNS0_10empty_typeEbEEZZNS1_14partition_implILS5_8ELb0ES3_jPlPS6_PKS6_NS0_5tupleIJS9_S6_EEENSD_IJSA_SA_EEENS0_18inequality_wrapperIZN2at6native12_GLOBAL__N_124unique_dim_cuda_templateIjEESt5tupleIJNSH_6TensorESM_SM_EERKSM_lbbbEUlllE0_EEPmJS6_EEE10hipError_tPvRmT3_T4_T5_T6_T7_T9_mT8_P12ihipStream_tbDpT10_ENKUlT_T0_E_clISt17integral_constantIbLb1EES1B_IbLb0EEEEDaS17_S18_EUlS17_E_NS1_11comp_targetILNS1_3genE10ELNS1_11target_archE1200ELNS1_3gpuE4ELNS1_3repE0EEENS1_30default_config_static_selectorELNS0_4arch9wavefront6targetE1EEEvT1_,comdat
.Lfunc_end1560:
	.size	_ZN7rocprim17ROCPRIM_400000_NS6detail17trampoline_kernelINS0_14default_configENS1_25partition_config_selectorILNS1_17partition_subalgoE8ElNS0_10empty_typeEbEEZZNS1_14partition_implILS5_8ELb0ES3_jPlPS6_PKS6_NS0_5tupleIJS9_S6_EEENSD_IJSA_SA_EEENS0_18inequality_wrapperIZN2at6native12_GLOBAL__N_124unique_dim_cuda_templateIjEESt5tupleIJNSH_6TensorESM_SM_EERKSM_lbbbEUlllE0_EEPmJS6_EEE10hipError_tPvRmT3_T4_T5_T6_T7_T9_mT8_P12ihipStream_tbDpT10_ENKUlT_T0_E_clISt17integral_constantIbLb1EES1B_IbLb0EEEEDaS17_S18_EUlS17_E_NS1_11comp_targetILNS1_3genE10ELNS1_11target_archE1200ELNS1_3gpuE4ELNS1_3repE0EEENS1_30default_config_static_selectorELNS0_4arch9wavefront6targetE1EEEvT1_, .Lfunc_end1560-_ZN7rocprim17ROCPRIM_400000_NS6detail17trampoline_kernelINS0_14default_configENS1_25partition_config_selectorILNS1_17partition_subalgoE8ElNS0_10empty_typeEbEEZZNS1_14partition_implILS5_8ELb0ES3_jPlPS6_PKS6_NS0_5tupleIJS9_S6_EEENSD_IJSA_SA_EEENS0_18inequality_wrapperIZN2at6native12_GLOBAL__N_124unique_dim_cuda_templateIjEESt5tupleIJNSH_6TensorESM_SM_EERKSM_lbbbEUlllE0_EEPmJS6_EEE10hipError_tPvRmT3_T4_T5_T6_T7_T9_mT8_P12ihipStream_tbDpT10_ENKUlT_T0_E_clISt17integral_constantIbLb1EES1B_IbLb0EEEEDaS17_S18_EUlS17_E_NS1_11comp_targetILNS1_3genE10ELNS1_11target_archE1200ELNS1_3gpuE4ELNS1_3repE0EEENS1_30default_config_static_selectorELNS0_4arch9wavefront6targetE1EEEvT1_
                                        ; -- End function
	.section	.AMDGPU.csdata,"",@progbits
; Kernel info:
; codeLenInByte = 0
; NumSgprs: 4
; NumVgprs: 0
; NumAgprs: 0
; TotalNumVgprs: 0
; ScratchSize: 0
; MemoryBound: 0
; FloatMode: 240
; IeeeMode: 1
; LDSByteSize: 0 bytes/workgroup (compile time only)
; SGPRBlocks: 0
; VGPRBlocks: 0
; NumSGPRsForWavesPerEU: 4
; NumVGPRsForWavesPerEU: 1
; AccumOffset: 4
; Occupancy: 8
; WaveLimiterHint : 0
; COMPUTE_PGM_RSRC2:SCRATCH_EN: 0
; COMPUTE_PGM_RSRC2:USER_SGPR: 6
; COMPUTE_PGM_RSRC2:TRAP_HANDLER: 0
; COMPUTE_PGM_RSRC2:TGID_X_EN: 1
; COMPUTE_PGM_RSRC2:TGID_Y_EN: 0
; COMPUTE_PGM_RSRC2:TGID_Z_EN: 0
; COMPUTE_PGM_RSRC2:TIDIG_COMP_CNT: 0
; COMPUTE_PGM_RSRC3_GFX90A:ACCUM_OFFSET: 0
; COMPUTE_PGM_RSRC3_GFX90A:TG_SPLIT: 0
	.section	.text._ZN7rocprim17ROCPRIM_400000_NS6detail17trampoline_kernelINS0_14default_configENS1_25partition_config_selectorILNS1_17partition_subalgoE8ElNS0_10empty_typeEbEEZZNS1_14partition_implILS5_8ELb0ES3_jPlPS6_PKS6_NS0_5tupleIJS9_S6_EEENSD_IJSA_SA_EEENS0_18inequality_wrapperIZN2at6native12_GLOBAL__N_124unique_dim_cuda_templateIjEESt5tupleIJNSH_6TensorESM_SM_EERKSM_lbbbEUlllE0_EEPmJS6_EEE10hipError_tPvRmT3_T4_T5_T6_T7_T9_mT8_P12ihipStream_tbDpT10_ENKUlT_T0_E_clISt17integral_constantIbLb1EES1B_IbLb0EEEEDaS17_S18_EUlS17_E_NS1_11comp_targetILNS1_3genE9ELNS1_11target_archE1100ELNS1_3gpuE3ELNS1_3repE0EEENS1_30default_config_static_selectorELNS0_4arch9wavefront6targetE1EEEvT1_,"axG",@progbits,_ZN7rocprim17ROCPRIM_400000_NS6detail17trampoline_kernelINS0_14default_configENS1_25partition_config_selectorILNS1_17partition_subalgoE8ElNS0_10empty_typeEbEEZZNS1_14partition_implILS5_8ELb0ES3_jPlPS6_PKS6_NS0_5tupleIJS9_S6_EEENSD_IJSA_SA_EEENS0_18inequality_wrapperIZN2at6native12_GLOBAL__N_124unique_dim_cuda_templateIjEESt5tupleIJNSH_6TensorESM_SM_EERKSM_lbbbEUlllE0_EEPmJS6_EEE10hipError_tPvRmT3_T4_T5_T6_T7_T9_mT8_P12ihipStream_tbDpT10_ENKUlT_T0_E_clISt17integral_constantIbLb1EES1B_IbLb0EEEEDaS17_S18_EUlS17_E_NS1_11comp_targetILNS1_3genE9ELNS1_11target_archE1100ELNS1_3gpuE3ELNS1_3repE0EEENS1_30default_config_static_selectorELNS0_4arch9wavefront6targetE1EEEvT1_,comdat
	.globl	_ZN7rocprim17ROCPRIM_400000_NS6detail17trampoline_kernelINS0_14default_configENS1_25partition_config_selectorILNS1_17partition_subalgoE8ElNS0_10empty_typeEbEEZZNS1_14partition_implILS5_8ELb0ES3_jPlPS6_PKS6_NS0_5tupleIJS9_S6_EEENSD_IJSA_SA_EEENS0_18inequality_wrapperIZN2at6native12_GLOBAL__N_124unique_dim_cuda_templateIjEESt5tupleIJNSH_6TensorESM_SM_EERKSM_lbbbEUlllE0_EEPmJS6_EEE10hipError_tPvRmT3_T4_T5_T6_T7_T9_mT8_P12ihipStream_tbDpT10_ENKUlT_T0_E_clISt17integral_constantIbLb1EES1B_IbLb0EEEEDaS17_S18_EUlS17_E_NS1_11comp_targetILNS1_3genE9ELNS1_11target_archE1100ELNS1_3gpuE3ELNS1_3repE0EEENS1_30default_config_static_selectorELNS0_4arch9wavefront6targetE1EEEvT1_ ; -- Begin function _ZN7rocprim17ROCPRIM_400000_NS6detail17trampoline_kernelINS0_14default_configENS1_25partition_config_selectorILNS1_17partition_subalgoE8ElNS0_10empty_typeEbEEZZNS1_14partition_implILS5_8ELb0ES3_jPlPS6_PKS6_NS0_5tupleIJS9_S6_EEENSD_IJSA_SA_EEENS0_18inequality_wrapperIZN2at6native12_GLOBAL__N_124unique_dim_cuda_templateIjEESt5tupleIJNSH_6TensorESM_SM_EERKSM_lbbbEUlllE0_EEPmJS6_EEE10hipError_tPvRmT3_T4_T5_T6_T7_T9_mT8_P12ihipStream_tbDpT10_ENKUlT_T0_E_clISt17integral_constantIbLb1EES1B_IbLb0EEEEDaS17_S18_EUlS17_E_NS1_11comp_targetILNS1_3genE9ELNS1_11target_archE1100ELNS1_3gpuE3ELNS1_3repE0EEENS1_30default_config_static_selectorELNS0_4arch9wavefront6targetE1EEEvT1_
	.p2align	8
	.type	_ZN7rocprim17ROCPRIM_400000_NS6detail17trampoline_kernelINS0_14default_configENS1_25partition_config_selectorILNS1_17partition_subalgoE8ElNS0_10empty_typeEbEEZZNS1_14partition_implILS5_8ELb0ES3_jPlPS6_PKS6_NS0_5tupleIJS9_S6_EEENSD_IJSA_SA_EEENS0_18inequality_wrapperIZN2at6native12_GLOBAL__N_124unique_dim_cuda_templateIjEESt5tupleIJNSH_6TensorESM_SM_EERKSM_lbbbEUlllE0_EEPmJS6_EEE10hipError_tPvRmT3_T4_T5_T6_T7_T9_mT8_P12ihipStream_tbDpT10_ENKUlT_T0_E_clISt17integral_constantIbLb1EES1B_IbLb0EEEEDaS17_S18_EUlS17_E_NS1_11comp_targetILNS1_3genE9ELNS1_11target_archE1100ELNS1_3gpuE3ELNS1_3repE0EEENS1_30default_config_static_selectorELNS0_4arch9wavefront6targetE1EEEvT1_,@function
_ZN7rocprim17ROCPRIM_400000_NS6detail17trampoline_kernelINS0_14default_configENS1_25partition_config_selectorILNS1_17partition_subalgoE8ElNS0_10empty_typeEbEEZZNS1_14partition_implILS5_8ELb0ES3_jPlPS6_PKS6_NS0_5tupleIJS9_S6_EEENSD_IJSA_SA_EEENS0_18inequality_wrapperIZN2at6native12_GLOBAL__N_124unique_dim_cuda_templateIjEESt5tupleIJNSH_6TensorESM_SM_EERKSM_lbbbEUlllE0_EEPmJS6_EEE10hipError_tPvRmT3_T4_T5_T6_T7_T9_mT8_P12ihipStream_tbDpT10_ENKUlT_T0_E_clISt17integral_constantIbLb1EES1B_IbLb0EEEEDaS17_S18_EUlS17_E_NS1_11comp_targetILNS1_3genE9ELNS1_11target_archE1100ELNS1_3gpuE3ELNS1_3repE0EEENS1_30default_config_static_selectorELNS0_4arch9wavefront6targetE1EEEvT1_: ; @_ZN7rocprim17ROCPRIM_400000_NS6detail17trampoline_kernelINS0_14default_configENS1_25partition_config_selectorILNS1_17partition_subalgoE8ElNS0_10empty_typeEbEEZZNS1_14partition_implILS5_8ELb0ES3_jPlPS6_PKS6_NS0_5tupleIJS9_S6_EEENSD_IJSA_SA_EEENS0_18inequality_wrapperIZN2at6native12_GLOBAL__N_124unique_dim_cuda_templateIjEESt5tupleIJNSH_6TensorESM_SM_EERKSM_lbbbEUlllE0_EEPmJS6_EEE10hipError_tPvRmT3_T4_T5_T6_T7_T9_mT8_P12ihipStream_tbDpT10_ENKUlT_T0_E_clISt17integral_constantIbLb1EES1B_IbLb0EEEEDaS17_S18_EUlS17_E_NS1_11comp_targetILNS1_3genE9ELNS1_11target_archE1100ELNS1_3gpuE3ELNS1_3repE0EEENS1_30default_config_static_selectorELNS0_4arch9wavefront6targetE1EEEvT1_
; %bb.0:
	.section	.rodata,"a",@progbits
	.p2align	6, 0x0
	.amdhsa_kernel _ZN7rocprim17ROCPRIM_400000_NS6detail17trampoline_kernelINS0_14default_configENS1_25partition_config_selectorILNS1_17partition_subalgoE8ElNS0_10empty_typeEbEEZZNS1_14partition_implILS5_8ELb0ES3_jPlPS6_PKS6_NS0_5tupleIJS9_S6_EEENSD_IJSA_SA_EEENS0_18inequality_wrapperIZN2at6native12_GLOBAL__N_124unique_dim_cuda_templateIjEESt5tupleIJNSH_6TensorESM_SM_EERKSM_lbbbEUlllE0_EEPmJS6_EEE10hipError_tPvRmT3_T4_T5_T6_T7_T9_mT8_P12ihipStream_tbDpT10_ENKUlT_T0_E_clISt17integral_constantIbLb1EES1B_IbLb0EEEEDaS17_S18_EUlS17_E_NS1_11comp_targetILNS1_3genE9ELNS1_11target_archE1100ELNS1_3gpuE3ELNS1_3repE0EEENS1_30default_config_static_selectorELNS0_4arch9wavefront6targetE1EEEvT1_
		.amdhsa_group_segment_fixed_size 0
		.amdhsa_private_segment_fixed_size 0
		.amdhsa_kernarg_size 120
		.amdhsa_user_sgpr_count 6
		.amdhsa_user_sgpr_private_segment_buffer 1
		.amdhsa_user_sgpr_dispatch_ptr 0
		.amdhsa_user_sgpr_queue_ptr 0
		.amdhsa_user_sgpr_kernarg_segment_ptr 1
		.amdhsa_user_sgpr_dispatch_id 0
		.amdhsa_user_sgpr_flat_scratch_init 0
		.amdhsa_user_sgpr_kernarg_preload_length 0
		.amdhsa_user_sgpr_kernarg_preload_offset 0
		.amdhsa_user_sgpr_private_segment_size 0
		.amdhsa_uses_dynamic_stack 0
		.amdhsa_system_sgpr_private_segment_wavefront_offset 0
		.amdhsa_system_sgpr_workgroup_id_x 1
		.amdhsa_system_sgpr_workgroup_id_y 0
		.amdhsa_system_sgpr_workgroup_id_z 0
		.amdhsa_system_sgpr_workgroup_info 0
		.amdhsa_system_vgpr_workitem_id 0
		.amdhsa_next_free_vgpr 1
		.amdhsa_next_free_sgpr 0
		.amdhsa_accum_offset 4
		.amdhsa_reserve_vcc 0
		.amdhsa_reserve_flat_scratch 0
		.amdhsa_float_round_mode_32 0
		.amdhsa_float_round_mode_16_64 0
		.amdhsa_float_denorm_mode_32 3
		.amdhsa_float_denorm_mode_16_64 3
		.amdhsa_dx10_clamp 1
		.amdhsa_ieee_mode 1
		.amdhsa_fp16_overflow 0
		.amdhsa_tg_split 0
		.amdhsa_exception_fp_ieee_invalid_op 0
		.amdhsa_exception_fp_denorm_src 0
		.amdhsa_exception_fp_ieee_div_zero 0
		.amdhsa_exception_fp_ieee_overflow 0
		.amdhsa_exception_fp_ieee_underflow 0
		.amdhsa_exception_fp_ieee_inexact 0
		.amdhsa_exception_int_div_zero 0
	.end_amdhsa_kernel
	.section	.text._ZN7rocprim17ROCPRIM_400000_NS6detail17trampoline_kernelINS0_14default_configENS1_25partition_config_selectorILNS1_17partition_subalgoE8ElNS0_10empty_typeEbEEZZNS1_14partition_implILS5_8ELb0ES3_jPlPS6_PKS6_NS0_5tupleIJS9_S6_EEENSD_IJSA_SA_EEENS0_18inequality_wrapperIZN2at6native12_GLOBAL__N_124unique_dim_cuda_templateIjEESt5tupleIJNSH_6TensorESM_SM_EERKSM_lbbbEUlllE0_EEPmJS6_EEE10hipError_tPvRmT3_T4_T5_T6_T7_T9_mT8_P12ihipStream_tbDpT10_ENKUlT_T0_E_clISt17integral_constantIbLb1EES1B_IbLb0EEEEDaS17_S18_EUlS17_E_NS1_11comp_targetILNS1_3genE9ELNS1_11target_archE1100ELNS1_3gpuE3ELNS1_3repE0EEENS1_30default_config_static_selectorELNS0_4arch9wavefront6targetE1EEEvT1_,"axG",@progbits,_ZN7rocprim17ROCPRIM_400000_NS6detail17trampoline_kernelINS0_14default_configENS1_25partition_config_selectorILNS1_17partition_subalgoE8ElNS0_10empty_typeEbEEZZNS1_14partition_implILS5_8ELb0ES3_jPlPS6_PKS6_NS0_5tupleIJS9_S6_EEENSD_IJSA_SA_EEENS0_18inequality_wrapperIZN2at6native12_GLOBAL__N_124unique_dim_cuda_templateIjEESt5tupleIJNSH_6TensorESM_SM_EERKSM_lbbbEUlllE0_EEPmJS6_EEE10hipError_tPvRmT3_T4_T5_T6_T7_T9_mT8_P12ihipStream_tbDpT10_ENKUlT_T0_E_clISt17integral_constantIbLb1EES1B_IbLb0EEEEDaS17_S18_EUlS17_E_NS1_11comp_targetILNS1_3genE9ELNS1_11target_archE1100ELNS1_3gpuE3ELNS1_3repE0EEENS1_30default_config_static_selectorELNS0_4arch9wavefront6targetE1EEEvT1_,comdat
.Lfunc_end1561:
	.size	_ZN7rocprim17ROCPRIM_400000_NS6detail17trampoline_kernelINS0_14default_configENS1_25partition_config_selectorILNS1_17partition_subalgoE8ElNS0_10empty_typeEbEEZZNS1_14partition_implILS5_8ELb0ES3_jPlPS6_PKS6_NS0_5tupleIJS9_S6_EEENSD_IJSA_SA_EEENS0_18inequality_wrapperIZN2at6native12_GLOBAL__N_124unique_dim_cuda_templateIjEESt5tupleIJNSH_6TensorESM_SM_EERKSM_lbbbEUlllE0_EEPmJS6_EEE10hipError_tPvRmT3_T4_T5_T6_T7_T9_mT8_P12ihipStream_tbDpT10_ENKUlT_T0_E_clISt17integral_constantIbLb1EES1B_IbLb0EEEEDaS17_S18_EUlS17_E_NS1_11comp_targetILNS1_3genE9ELNS1_11target_archE1100ELNS1_3gpuE3ELNS1_3repE0EEENS1_30default_config_static_selectorELNS0_4arch9wavefront6targetE1EEEvT1_, .Lfunc_end1561-_ZN7rocprim17ROCPRIM_400000_NS6detail17trampoline_kernelINS0_14default_configENS1_25partition_config_selectorILNS1_17partition_subalgoE8ElNS0_10empty_typeEbEEZZNS1_14partition_implILS5_8ELb0ES3_jPlPS6_PKS6_NS0_5tupleIJS9_S6_EEENSD_IJSA_SA_EEENS0_18inequality_wrapperIZN2at6native12_GLOBAL__N_124unique_dim_cuda_templateIjEESt5tupleIJNSH_6TensorESM_SM_EERKSM_lbbbEUlllE0_EEPmJS6_EEE10hipError_tPvRmT3_T4_T5_T6_T7_T9_mT8_P12ihipStream_tbDpT10_ENKUlT_T0_E_clISt17integral_constantIbLb1EES1B_IbLb0EEEEDaS17_S18_EUlS17_E_NS1_11comp_targetILNS1_3genE9ELNS1_11target_archE1100ELNS1_3gpuE3ELNS1_3repE0EEENS1_30default_config_static_selectorELNS0_4arch9wavefront6targetE1EEEvT1_
                                        ; -- End function
	.section	.AMDGPU.csdata,"",@progbits
; Kernel info:
; codeLenInByte = 0
; NumSgprs: 4
; NumVgprs: 0
; NumAgprs: 0
; TotalNumVgprs: 0
; ScratchSize: 0
; MemoryBound: 0
; FloatMode: 240
; IeeeMode: 1
; LDSByteSize: 0 bytes/workgroup (compile time only)
; SGPRBlocks: 0
; VGPRBlocks: 0
; NumSGPRsForWavesPerEU: 4
; NumVGPRsForWavesPerEU: 1
; AccumOffset: 4
; Occupancy: 8
; WaveLimiterHint : 0
; COMPUTE_PGM_RSRC2:SCRATCH_EN: 0
; COMPUTE_PGM_RSRC2:USER_SGPR: 6
; COMPUTE_PGM_RSRC2:TRAP_HANDLER: 0
; COMPUTE_PGM_RSRC2:TGID_X_EN: 1
; COMPUTE_PGM_RSRC2:TGID_Y_EN: 0
; COMPUTE_PGM_RSRC2:TGID_Z_EN: 0
; COMPUTE_PGM_RSRC2:TIDIG_COMP_CNT: 0
; COMPUTE_PGM_RSRC3_GFX90A:ACCUM_OFFSET: 0
; COMPUTE_PGM_RSRC3_GFX90A:TG_SPLIT: 0
	.section	.text._ZN7rocprim17ROCPRIM_400000_NS6detail17trampoline_kernelINS0_14default_configENS1_25partition_config_selectorILNS1_17partition_subalgoE8ElNS0_10empty_typeEbEEZZNS1_14partition_implILS5_8ELb0ES3_jPlPS6_PKS6_NS0_5tupleIJS9_S6_EEENSD_IJSA_SA_EEENS0_18inequality_wrapperIZN2at6native12_GLOBAL__N_124unique_dim_cuda_templateIjEESt5tupleIJNSH_6TensorESM_SM_EERKSM_lbbbEUlllE0_EEPmJS6_EEE10hipError_tPvRmT3_T4_T5_T6_T7_T9_mT8_P12ihipStream_tbDpT10_ENKUlT_T0_E_clISt17integral_constantIbLb1EES1B_IbLb0EEEEDaS17_S18_EUlS17_E_NS1_11comp_targetILNS1_3genE8ELNS1_11target_archE1030ELNS1_3gpuE2ELNS1_3repE0EEENS1_30default_config_static_selectorELNS0_4arch9wavefront6targetE1EEEvT1_,"axG",@progbits,_ZN7rocprim17ROCPRIM_400000_NS6detail17trampoline_kernelINS0_14default_configENS1_25partition_config_selectorILNS1_17partition_subalgoE8ElNS0_10empty_typeEbEEZZNS1_14partition_implILS5_8ELb0ES3_jPlPS6_PKS6_NS0_5tupleIJS9_S6_EEENSD_IJSA_SA_EEENS0_18inequality_wrapperIZN2at6native12_GLOBAL__N_124unique_dim_cuda_templateIjEESt5tupleIJNSH_6TensorESM_SM_EERKSM_lbbbEUlllE0_EEPmJS6_EEE10hipError_tPvRmT3_T4_T5_T6_T7_T9_mT8_P12ihipStream_tbDpT10_ENKUlT_T0_E_clISt17integral_constantIbLb1EES1B_IbLb0EEEEDaS17_S18_EUlS17_E_NS1_11comp_targetILNS1_3genE8ELNS1_11target_archE1030ELNS1_3gpuE2ELNS1_3repE0EEENS1_30default_config_static_selectorELNS0_4arch9wavefront6targetE1EEEvT1_,comdat
	.globl	_ZN7rocprim17ROCPRIM_400000_NS6detail17trampoline_kernelINS0_14default_configENS1_25partition_config_selectorILNS1_17partition_subalgoE8ElNS0_10empty_typeEbEEZZNS1_14partition_implILS5_8ELb0ES3_jPlPS6_PKS6_NS0_5tupleIJS9_S6_EEENSD_IJSA_SA_EEENS0_18inequality_wrapperIZN2at6native12_GLOBAL__N_124unique_dim_cuda_templateIjEESt5tupleIJNSH_6TensorESM_SM_EERKSM_lbbbEUlllE0_EEPmJS6_EEE10hipError_tPvRmT3_T4_T5_T6_T7_T9_mT8_P12ihipStream_tbDpT10_ENKUlT_T0_E_clISt17integral_constantIbLb1EES1B_IbLb0EEEEDaS17_S18_EUlS17_E_NS1_11comp_targetILNS1_3genE8ELNS1_11target_archE1030ELNS1_3gpuE2ELNS1_3repE0EEENS1_30default_config_static_selectorELNS0_4arch9wavefront6targetE1EEEvT1_ ; -- Begin function _ZN7rocprim17ROCPRIM_400000_NS6detail17trampoline_kernelINS0_14default_configENS1_25partition_config_selectorILNS1_17partition_subalgoE8ElNS0_10empty_typeEbEEZZNS1_14partition_implILS5_8ELb0ES3_jPlPS6_PKS6_NS0_5tupleIJS9_S6_EEENSD_IJSA_SA_EEENS0_18inequality_wrapperIZN2at6native12_GLOBAL__N_124unique_dim_cuda_templateIjEESt5tupleIJNSH_6TensorESM_SM_EERKSM_lbbbEUlllE0_EEPmJS6_EEE10hipError_tPvRmT3_T4_T5_T6_T7_T9_mT8_P12ihipStream_tbDpT10_ENKUlT_T0_E_clISt17integral_constantIbLb1EES1B_IbLb0EEEEDaS17_S18_EUlS17_E_NS1_11comp_targetILNS1_3genE8ELNS1_11target_archE1030ELNS1_3gpuE2ELNS1_3repE0EEENS1_30default_config_static_selectorELNS0_4arch9wavefront6targetE1EEEvT1_
	.p2align	8
	.type	_ZN7rocprim17ROCPRIM_400000_NS6detail17trampoline_kernelINS0_14default_configENS1_25partition_config_selectorILNS1_17partition_subalgoE8ElNS0_10empty_typeEbEEZZNS1_14partition_implILS5_8ELb0ES3_jPlPS6_PKS6_NS0_5tupleIJS9_S6_EEENSD_IJSA_SA_EEENS0_18inequality_wrapperIZN2at6native12_GLOBAL__N_124unique_dim_cuda_templateIjEESt5tupleIJNSH_6TensorESM_SM_EERKSM_lbbbEUlllE0_EEPmJS6_EEE10hipError_tPvRmT3_T4_T5_T6_T7_T9_mT8_P12ihipStream_tbDpT10_ENKUlT_T0_E_clISt17integral_constantIbLb1EES1B_IbLb0EEEEDaS17_S18_EUlS17_E_NS1_11comp_targetILNS1_3genE8ELNS1_11target_archE1030ELNS1_3gpuE2ELNS1_3repE0EEENS1_30default_config_static_selectorELNS0_4arch9wavefront6targetE1EEEvT1_,@function
_ZN7rocprim17ROCPRIM_400000_NS6detail17trampoline_kernelINS0_14default_configENS1_25partition_config_selectorILNS1_17partition_subalgoE8ElNS0_10empty_typeEbEEZZNS1_14partition_implILS5_8ELb0ES3_jPlPS6_PKS6_NS0_5tupleIJS9_S6_EEENSD_IJSA_SA_EEENS0_18inequality_wrapperIZN2at6native12_GLOBAL__N_124unique_dim_cuda_templateIjEESt5tupleIJNSH_6TensorESM_SM_EERKSM_lbbbEUlllE0_EEPmJS6_EEE10hipError_tPvRmT3_T4_T5_T6_T7_T9_mT8_P12ihipStream_tbDpT10_ENKUlT_T0_E_clISt17integral_constantIbLb1EES1B_IbLb0EEEEDaS17_S18_EUlS17_E_NS1_11comp_targetILNS1_3genE8ELNS1_11target_archE1030ELNS1_3gpuE2ELNS1_3repE0EEENS1_30default_config_static_selectorELNS0_4arch9wavefront6targetE1EEEvT1_: ; @_ZN7rocprim17ROCPRIM_400000_NS6detail17trampoline_kernelINS0_14default_configENS1_25partition_config_selectorILNS1_17partition_subalgoE8ElNS0_10empty_typeEbEEZZNS1_14partition_implILS5_8ELb0ES3_jPlPS6_PKS6_NS0_5tupleIJS9_S6_EEENSD_IJSA_SA_EEENS0_18inequality_wrapperIZN2at6native12_GLOBAL__N_124unique_dim_cuda_templateIjEESt5tupleIJNSH_6TensorESM_SM_EERKSM_lbbbEUlllE0_EEPmJS6_EEE10hipError_tPvRmT3_T4_T5_T6_T7_T9_mT8_P12ihipStream_tbDpT10_ENKUlT_T0_E_clISt17integral_constantIbLb1EES1B_IbLb0EEEEDaS17_S18_EUlS17_E_NS1_11comp_targetILNS1_3genE8ELNS1_11target_archE1030ELNS1_3gpuE2ELNS1_3repE0EEENS1_30default_config_static_selectorELNS0_4arch9wavefront6targetE1EEEvT1_
; %bb.0:
	.section	.rodata,"a",@progbits
	.p2align	6, 0x0
	.amdhsa_kernel _ZN7rocprim17ROCPRIM_400000_NS6detail17trampoline_kernelINS0_14default_configENS1_25partition_config_selectorILNS1_17partition_subalgoE8ElNS0_10empty_typeEbEEZZNS1_14partition_implILS5_8ELb0ES3_jPlPS6_PKS6_NS0_5tupleIJS9_S6_EEENSD_IJSA_SA_EEENS0_18inequality_wrapperIZN2at6native12_GLOBAL__N_124unique_dim_cuda_templateIjEESt5tupleIJNSH_6TensorESM_SM_EERKSM_lbbbEUlllE0_EEPmJS6_EEE10hipError_tPvRmT3_T4_T5_T6_T7_T9_mT8_P12ihipStream_tbDpT10_ENKUlT_T0_E_clISt17integral_constantIbLb1EES1B_IbLb0EEEEDaS17_S18_EUlS17_E_NS1_11comp_targetILNS1_3genE8ELNS1_11target_archE1030ELNS1_3gpuE2ELNS1_3repE0EEENS1_30default_config_static_selectorELNS0_4arch9wavefront6targetE1EEEvT1_
		.amdhsa_group_segment_fixed_size 0
		.amdhsa_private_segment_fixed_size 0
		.amdhsa_kernarg_size 120
		.amdhsa_user_sgpr_count 6
		.amdhsa_user_sgpr_private_segment_buffer 1
		.amdhsa_user_sgpr_dispatch_ptr 0
		.amdhsa_user_sgpr_queue_ptr 0
		.amdhsa_user_sgpr_kernarg_segment_ptr 1
		.amdhsa_user_sgpr_dispatch_id 0
		.amdhsa_user_sgpr_flat_scratch_init 0
		.amdhsa_user_sgpr_kernarg_preload_length 0
		.amdhsa_user_sgpr_kernarg_preload_offset 0
		.amdhsa_user_sgpr_private_segment_size 0
		.amdhsa_uses_dynamic_stack 0
		.amdhsa_system_sgpr_private_segment_wavefront_offset 0
		.amdhsa_system_sgpr_workgroup_id_x 1
		.amdhsa_system_sgpr_workgroup_id_y 0
		.amdhsa_system_sgpr_workgroup_id_z 0
		.amdhsa_system_sgpr_workgroup_info 0
		.amdhsa_system_vgpr_workitem_id 0
		.amdhsa_next_free_vgpr 1
		.amdhsa_next_free_sgpr 0
		.amdhsa_accum_offset 4
		.amdhsa_reserve_vcc 0
		.amdhsa_reserve_flat_scratch 0
		.amdhsa_float_round_mode_32 0
		.amdhsa_float_round_mode_16_64 0
		.amdhsa_float_denorm_mode_32 3
		.amdhsa_float_denorm_mode_16_64 3
		.amdhsa_dx10_clamp 1
		.amdhsa_ieee_mode 1
		.amdhsa_fp16_overflow 0
		.amdhsa_tg_split 0
		.amdhsa_exception_fp_ieee_invalid_op 0
		.amdhsa_exception_fp_denorm_src 0
		.amdhsa_exception_fp_ieee_div_zero 0
		.amdhsa_exception_fp_ieee_overflow 0
		.amdhsa_exception_fp_ieee_underflow 0
		.amdhsa_exception_fp_ieee_inexact 0
		.amdhsa_exception_int_div_zero 0
	.end_amdhsa_kernel
	.section	.text._ZN7rocprim17ROCPRIM_400000_NS6detail17trampoline_kernelINS0_14default_configENS1_25partition_config_selectorILNS1_17partition_subalgoE8ElNS0_10empty_typeEbEEZZNS1_14partition_implILS5_8ELb0ES3_jPlPS6_PKS6_NS0_5tupleIJS9_S6_EEENSD_IJSA_SA_EEENS0_18inequality_wrapperIZN2at6native12_GLOBAL__N_124unique_dim_cuda_templateIjEESt5tupleIJNSH_6TensorESM_SM_EERKSM_lbbbEUlllE0_EEPmJS6_EEE10hipError_tPvRmT3_T4_T5_T6_T7_T9_mT8_P12ihipStream_tbDpT10_ENKUlT_T0_E_clISt17integral_constantIbLb1EES1B_IbLb0EEEEDaS17_S18_EUlS17_E_NS1_11comp_targetILNS1_3genE8ELNS1_11target_archE1030ELNS1_3gpuE2ELNS1_3repE0EEENS1_30default_config_static_selectorELNS0_4arch9wavefront6targetE1EEEvT1_,"axG",@progbits,_ZN7rocprim17ROCPRIM_400000_NS6detail17trampoline_kernelINS0_14default_configENS1_25partition_config_selectorILNS1_17partition_subalgoE8ElNS0_10empty_typeEbEEZZNS1_14partition_implILS5_8ELb0ES3_jPlPS6_PKS6_NS0_5tupleIJS9_S6_EEENSD_IJSA_SA_EEENS0_18inequality_wrapperIZN2at6native12_GLOBAL__N_124unique_dim_cuda_templateIjEESt5tupleIJNSH_6TensorESM_SM_EERKSM_lbbbEUlllE0_EEPmJS6_EEE10hipError_tPvRmT3_T4_T5_T6_T7_T9_mT8_P12ihipStream_tbDpT10_ENKUlT_T0_E_clISt17integral_constantIbLb1EES1B_IbLb0EEEEDaS17_S18_EUlS17_E_NS1_11comp_targetILNS1_3genE8ELNS1_11target_archE1030ELNS1_3gpuE2ELNS1_3repE0EEENS1_30default_config_static_selectorELNS0_4arch9wavefront6targetE1EEEvT1_,comdat
.Lfunc_end1562:
	.size	_ZN7rocprim17ROCPRIM_400000_NS6detail17trampoline_kernelINS0_14default_configENS1_25partition_config_selectorILNS1_17partition_subalgoE8ElNS0_10empty_typeEbEEZZNS1_14partition_implILS5_8ELb0ES3_jPlPS6_PKS6_NS0_5tupleIJS9_S6_EEENSD_IJSA_SA_EEENS0_18inequality_wrapperIZN2at6native12_GLOBAL__N_124unique_dim_cuda_templateIjEESt5tupleIJNSH_6TensorESM_SM_EERKSM_lbbbEUlllE0_EEPmJS6_EEE10hipError_tPvRmT3_T4_T5_T6_T7_T9_mT8_P12ihipStream_tbDpT10_ENKUlT_T0_E_clISt17integral_constantIbLb1EES1B_IbLb0EEEEDaS17_S18_EUlS17_E_NS1_11comp_targetILNS1_3genE8ELNS1_11target_archE1030ELNS1_3gpuE2ELNS1_3repE0EEENS1_30default_config_static_selectorELNS0_4arch9wavefront6targetE1EEEvT1_, .Lfunc_end1562-_ZN7rocprim17ROCPRIM_400000_NS6detail17trampoline_kernelINS0_14default_configENS1_25partition_config_selectorILNS1_17partition_subalgoE8ElNS0_10empty_typeEbEEZZNS1_14partition_implILS5_8ELb0ES3_jPlPS6_PKS6_NS0_5tupleIJS9_S6_EEENSD_IJSA_SA_EEENS0_18inequality_wrapperIZN2at6native12_GLOBAL__N_124unique_dim_cuda_templateIjEESt5tupleIJNSH_6TensorESM_SM_EERKSM_lbbbEUlllE0_EEPmJS6_EEE10hipError_tPvRmT3_T4_T5_T6_T7_T9_mT8_P12ihipStream_tbDpT10_ENKUlT_T0_E_clISt17integral_constantIbLb1EES1B_IbLb0EEEEDaS17_S18_EUlS17_E_NS1_11comp_targetILNS1_3genE8ELNS1_11target_archE1030ELNS1_3gpuE2ELNS1_3repE0EEENS1_30default_config_static_selectorELNS0_4arch9wavefront6targetE1EEEvT1_
                                        ; -- End function
	.section	.AMDGPU.csdata,"",@progbits
; Kernel info:
; codeLenInByte = 0
; NumSgprs: 4
; NumVgprs: 0
; NumAgprs: 0
; TotalNumVgprs: 0
; ScratchSize: 0
; MemoryBound: 0
; FloatMode: 240
; IeeeMode: 1
; LDSByteSize: 0 bytes/workgroup (compile time only)
; SGPRBlocks: 0
; VGPRBlocks: 0
; NumSGPRsForWavesPerEU: 4
; NumVGPRsForWavesPerEU: 1
; AccumOffset: 4
; Occupancy: 8
; WaveLimiterHint : 0
; COMPUTE_PGM_RSRC2:SCRATCH_EN: 0
; COMPUTE_PGM_RSRC2:USER_SGPR: 6
; COMPUTE_PGM_RSRC2:TRAP_HANDLER: 0
; COMPUTE_PGM_RSRC2:TGID_X_EN: 1
; COMPUTE_PGM_RSRC2:TGID_Y_EN: 0
; COMPUTE_PGM_RSRC2:TGID_Z_EN: 0
; COMPUTE_PGM_RSRC2:TIDIG_COMP_CNT: 0
; COMPUTE_PGM_RSRC3_GFX90A:ACCUM_OFFSET: 0
; COMPUTE_PGM_RSRC3_GFX90A:TG_SPLIT: 0
	.section	.text._ZN7rocprim17ROCPRIM_400000_NS6detail17trampoline_kernelINS0_14default_configENS1_25partition_config_selectorILNS1_17partition_subalgoE8ElNS0_10empty_typeEbEEZZNS1_14partition_implILS5_8ELb0ES3_jPlPS6_PKS6_NS0_5tupleIJS9_S6_EEENSD_IJSA_SA_EEENS0_18inequality_wrapperIZN2at6native12_GLOBAL__N_124unique_dim_cuda_templateIjEESt5tupleIJNSH_6TensorESM_SM_EERKSM_lbbbEUlllE0_EEPmJS6_EEE10hipError_tPvRmT3_T4_T5_T6_T7_T9_mT8_P12ihipStream_tbDpT10_ENKUlT_T0_E_clISt17integral_constantIbLb0EES1B_IbLb1EEEEDaS17_S18_EUlS17_E_NS1_11comp_targetILNS1_3genE0ELNS1_11target_archE4294967295ELNS1_3gpuE0ELNS1_3repE0EEENS1_30default_config_static_selectorELNS0_4arch9wavefront6targetE1EEEvT1_,"axG",@progbits,_ZN7rocprim17ROCPRIM_400000_NS6detail17trampoline_kernelINS0_14default_configENS1_25partition_config_selectorILNS1_17partition_subalgoE8ElNS0_10empty_typeEbEEZZNS1_14partition_implILS5_8ELb0ES3_jPlPS6_PKS6_NS0_5tupleIJS9_S6_EEENSD_IJSA_SA_EEENS0_18inequality_wrapperIZN2at6native12_GLOBAL__N_124unique_dim_cuda_templateIjEESt5tupleIJNSH_6TensorESM_SM_EERKSM_lbbbEUlllE0_EEPmJS6_EEE10hipError_tPvRmT3_T4_T5_T6_T7_T9_mT8_P12ihipStream_tbDpT10_ENKUlT_T0_E_clISt17integral_constantIbLb0EES1B_IbLb1EEEEDaS17_S18_EUlS17_E_NS1_11comp_targetILNS1_3genE0ELNS1_11target_archE4294967295ELNS1_3gpuE0ELNS1_3repE0EEENS1_30default_config_static_selectorELNS0_4arch9wavefront6targetE1EEEvT1_,comdat
	.globl	_ZN7rocprim17ROCPRIM_400000_NS6detail17trampoline_kernelINS0_14default_configENS1_25partition_config_selectorILNS1_17partition_subalgoE8ElNS0_10empty_typeEbEEZZNS1_14partition_implILS5_8ELb0ES3_jPlPS6_PKS6_NS0_5tupleIJS9_S6_EEENSD_IJSA_SA_EEENS0_18inequality_wrapperIZN2at6native12_GLOBAL__N_124unique_dim_cuda_templateIjEESt5tupleIJNSH_6TensorESM_SM_EERKSM_lbbbEUlllE0_EEPmJS6_EEE10hipError_tPvRmT3_T4_T5_T6_T7_T9_mT8_P12ihipStream_tbDpT10_ENKUlT_T0_E_clISt17integral_constantIbLb0EES1B_IbLb1EEEEDaS17_S18_EUlS17_E_NS1_11comp_targetILNS1_3genE0ELNS1_11target_archE4294967295ELNS1_3gpuE0ELNS1_3repE0EEENS1_30default_config_static_selectorELNS0_4arch9wavefront6targetE1EEEvT1_ ; -- Begin function _ZN7rocprim17ROCPRIM_400000_NS6detail17trampoline_kernelINS0_14default_configENS1_25partition_config_selectorILNS1_17partition_subalgoE8ElNS0_10empty_typeEbEEZZNS1_14partition_implILS5_8ELb0ES3_jPlPS6_PKS6_NS0_5tupleIJS9_S6_EEENSD_IJSA_SA_EEENS0_18inequality_wrapperIZN2at6native12_GLOBAL__N_124unique_dim_cuda_templateIjEESt5tupleIJNSH_6TensorESM_SM_EERKSM_lbbbEUlllE0_EEPmJS6_EEE10hipError_tPvRmT3_T4_T5_T6_T7_T9_mT8_P12ihipStream_tbDpT10_ENKUlT_T0_E_clISt17integral_constantIbLb0EES1B_IbLb1EEEEDaS17_S18_EUlS17_E_NS1_11comp_targetILNS1_3genE0ELNS1_11target_archE4294967295ELNS1_3gpuE0ELNS1_3repE0EEENS1_30default_config_static_selectorELNS0_4arch9wavefront6targetE1EEEvT1_
	.p2align	8
	.type	_ZN7rocprim17ROCPRIM_400000_NS6detail17trampoline_kernelINS0_14default_configENS1_25partition_config_selectorILNS1_17partition_subalgoE8ElNS0_10empty_typeEbEEZZNS1_14partition_implILS5_8ELb0ES3_jPlPS6_PKS6_NS0_5tupleIJS9_S6_EEENSD_IJSA_SA_EEENS0_18inequality_wrapperIZN2at6native12_GLOBAL__N_124unique_dim_cuda_templateIjEESt5tupleIJNSH_6TensorESM_SM_EERKSM_lbbbEUlllE0_EEPmJS6_EEE10hipError_tPvRmT3_T4_T5_T6_T7_T9_mT8_P12ihipStream_tbDpT10_ENKUlT_T0_E_clISt17integral_constantIbLb0EES1B_IbLb1EEEEDaS17_S18_EUlS17_E_NS1_11comp_targetILNS1_3genE0ELNS1_11target_archE4294967295ELNS1_3gpuE0ELNS1_3repE0EEENS1_30default_config_static_selectorELNS0_4arch9wavefront6targetE1EEEvT1_,@function
_ZN7rocprim17ROCPRIM_400000_NS6detail17trampoline_kernelINS0_14default_configENS1_25partition_config_selectorILNS1_17partition_subalgoE8ElNS0_10empty_typeEbEEZZNS1_14partition_implILS5_8ELb0ES3_jPlPS6_PKS6_NS0_5tupleIJS9_S6_EEENSD_IJSA_SA_EEENS0_18inequality_wrapperIZN2at6native12_GLOBAL__N_124unique_dim_cuda_templateIjEESt5tupleIJNSH_6TensorESM_SM_EERKSM_lbbbEUlllE0_EEPmJS6_EEE10hipError_tPvRmT3_T4_T5_T6_T7_T9_mT8_P12ihipStream_tbDpT10_ENKUlT_T0_E_clISt17integral_constantIbLb0EES1B_IbLb1EEEEDaS17_S18_EUlS17_E_NS1_11comp_targetILNS1_3genE0ELNS1_11target_archE4294967295ELNS1_3gpuE0ELNS1_3repE0EEENS1_30default_config_static_selectorELNS0_4arch9wavefront6targetE1EEEvT1_: ; @_ZN7rocprim17ROCPRIM_400000_NS6detail17trampoline_kernelINS0_14default_configENS1_25partition_config_selectorILNS1_17partition_subalgoE8ElNS0_10empty_typeEbEEZZNS1_14partition_implILS5_8ELb0ES3_jPlPS6_PKS6_NS0_5tupleIJS9_S6_EEENSD_IJSA_SA_EEENS0_18inequality_wrapperIZN2at6native12_GLOBAL__N_124unique_dim_cuda_templateIjEESt5tupleIJNSH_6TensorESM_SM_EERKSM_lbbbEUlllE0_EEPmJS6_EEE10hipError_tPvRmT3_T4_T5_T6_T7_T9_mT8_P12ihipStream_tbDpT10_ENKUlT_T0_E_clISt17integral_constantIbLb0EES1B_IbLb1EEEEDaS17_S18_EUlS17_E_NS1_11comp_targetILNS1_3genE0ELNS1_11target_archE4294967295ELNS1_3gpuE0ELNS1_3repE0EEENS1_30default_config_static_selectorELNS0_4arch9wavefront6targetE1EEEvT1_
; %bb.0:
	.section	.rodata,"a",@progbits
	.p2align	6, 0x0
	.amdhsa_kernel _ZN7rocprim17ROCPRIM_400000_NS6detail17trampoline_kernelINS0_14default_configENS1_25partition_config_selectorILNS1_17partition_subalgoE8ElNS0_10empty_typeEbEEZZNS1_14partition_implILS5_8ELb0ES3_jPlPS6_PKS6_NS0_5tupleIJS9_S6_EEENSD_IJSA_SA_EEENS0_18inequality_wrapperIZN2at6native12_GLOBAL__N_124unique_dim_cuda_templateIjEESt5tupleIJNSH_6TensorESM_SM_EERKSM_lbbbEUlllE0_EEPmJS6_EEE10hipError_tPvRmT3_T4_T5_T6_T7_T9_mT8_P12ihipStream_tbDpT10_ENKUlT_T0_E_clISt17integral_constantIbLb0EES1B_IbLb1EEEEDaS17_S18_EUlS17_E_NS1_11comp_targetILNS1_3genE0ELNS1_11target_archE4294967295ELNS1_3gpuE0ELNS1_3repE0EEENS1_30default_config_static_selectorELNS0_4arch9wavefront6targetE1EEEvT1_
		.amdhsa_group_segment_fixed_size 0
		.amdhsa_private_segment_fixed_size 0
		.amdhsa_kernarg_size 136
		.amdhsa_user_sgpr_count 6
		.amdhsa_user_sgpr_private_segment_buffer 1
		.amdhsa_user_sgpr_dispatch_ptr 0
		.amdhsa_user_sgpr_queue_ptr 0
		.amdhsa_user_sgpr_kernarg_segment_ptr 1
		.amdhsa_user_sgpr_dispatch_id 0
		.amdhsa_user_sgpr_flat_scratch_init 0
		.amdhsa_user_sgpr_kernarg_preload_length 0
		.amdhsa_user_sgpr_kernarg_preload_offset 0
		.amdhsa_user_sgpr_private_segment_size 0
		.amdhsa_uses_dynamic_stack 0
		.amdhsa_system_sgpr_private_segment_wavefront_offset 0
		.amdhsa_system_sgpr_workgroup_id_x 1
		.amdhsa_system_sgpr_workgroup_id_y 0
		.amdhsa_system_sgpr_workgroup_id_z 0
		.amdhsa_system_sgpr_workgroup_info 0
		.amdhsa_system_vgpr_workitem_id 0
		.amdhsa_next_free_vgpr 1
		.amdhsa_next_free_sgpr 0
		.amdhsa_accum_offset 4
		.amdhsa_reserve_vcc 0
		.amdhsa_reserve_flat_scratch 0
		.amdhsa_float_round_mode_32 0
		.amdhsa_float_round_mode_16_64 0
		.amdhsa_float_denorm_mode_32 3
		.amdhsa_float_denorm_mode_16_64 3
		.amdhsa_dx10_clamp 1
		.amdhsa_ieee_mode 1
		.amdhsa_fp16_overflow 0
		.amdhsa_tg_split 0
		.amdhsa_exception_fp_ieee_invalid_op 0
		.amdhsa_exception_fp_denorm_src 0
		.amdhsa_exception_fp_ieee_div_zero 0
		.amdhsa_exception_fp_ieee_overflow 0
		.amdhsa_exception_fp_ieee_underflow 0
		.amdhsa_exception_fp_ieee_inexact 0
		.amdhsa_exception_int_div_zero 0
	.end_amdhsa_kernel
	.section	.text._ZN7rocprim17ROCPRIM_400000_NS6detail17trampoline_kernelINS0_14default_configENS1_25partition_config_selectorILNS1_17partition_subalgoE8ElNS0_10empty_typeEbEEZZNS1_14partition_implILS5_8ELb0ES3_jPlPS6_PKS6_NS0_5tupleIJS9_S6_EEENSD_IJSA_SA_EEENS0_18inequality_wrapperIZN2at6native12_GLOBAL__N_124unique_dim_cuda_templateIjEESt5tupleIJNSH_6TensorESM_SM_EERKSM_lbbbEUlllE0_EEPmJS6_EEE10hipError_tPvRmT3_T4_T5_T6_T7_T9_mT8_P12ihipStream_tbDpT10_ENKUlT_T0_E_clISt17integral_constantIbLb0EES1B_IbLb1EEEEDaS17_S18_EUlS17_E_NS1_11comp_targetILNS1_3genE0ELNS1_11target_archE4294967295ELNS1_3gpuE0ELNS1_3repE0EEENS1_30default_config_static_selectorELNS0_4arch9wavefront6targetE1EEEvT1_,"axG",@progbits,_ZN7rocprim17ROCPRIM_400000_NS6detail17trampoline_kernelINS0_14default_configENS1_25partition_config_selectorILNS1_17partition_subalgoE8ElNS0_10empty_typeEbEEZZNS1_14partition_implILS5_8ELb0ES3_jPlPS6_PKS6_NS0_5tupleIJS9_S6_EEENSD_IJSA_SA_EEENS0_18inequality_wrapperIZN2at6native12_GLOBAL__N_124unique_dim_cuda_templateIjEESt5tupleIJNSH_6TensorESM_SM_EERKSM_lbbbEUlllE0_EEPmJS6_EEE10hipError_tPvRmT3_T4_T5_T6_T7_T9_mT8_P12ihipStream_tbDpT10_ENKUlT_T0_E_clISt17integral_constantIbLb0EES1B_IbLb1EEEEDaS17_S18_EUlS17_E_NS1_11comp_targetILNS1_3genE0ELNS1_11target_archE4294967295ELNS1_3gpuE0ELNS1_3repE0EEENS1_30default_config_static_selectorELNS0_4arch9wavefront6targetE1EEEvT1_,comdat
.Lfunc_end1563:
	.size	_ZN7rocprim17ROCPRIM_400000_NS6detail17trampoline_kernelINS0_14default_configENS1_25partition_config_selectorILNS1_17partition_subalgoE8ElNS0_10empty_typeEbEEZZNS1_14partition_implILS5_8ELb0ES3_jPlPS6_PKS6_NS0_5tupleIJS9_S6_EEENSD_IJSA_SA_EEENS0_18inequality_wrapperIZN2at6native12_GLOBAL__N_124unique_dim_cuda_templateIjEESt5tupleIJNSH_6TensorESM_SM_EERKSM_lbbbEUlllE0_EEPmJS6_EEE10hipError_tPvRmT3_T4_T5_T6_T7_T9_mT8_P12ihipStream_tbDpT10_ENKUlT_T0_E_clISt17integral_constantIbLb0EES1B_IbLb1EEEEDaS17_S18_EUlS17_E_NS1_11comp_targetILNS1_3genE0ELNS1_11target_archE4294967295ELNS1_3gpuE0ELNS1_3repE0EEENS1_30default_config_static_selectorELNS0_4arch9wavefront6targetE1EEEvT1_, .Lfunc_end1563-_ZN7rocprim17ROCPRIM_400000_NS6detail17trampoline_kernelINS0_14default_configENS1_25partition_config_selectorILNS1_17partition_subalgoE8ElNS0_10empty_typeEbEEZZNS1_14partition_implILS5_8ELb0ES3_jPlPS6_PKS6_NS0_5tupleIJS9_S6_EEENSD_IJSA_SA_EEENS0_18inequality_wrapperIZN2at6native12_GLOBAL__N_124unique_dim_cuda_templateIjEESt5tupleIJNSH_6TensorESM_SM_EERKSM_lbbbEUlllE0_EEPmJS6_EEE10hipError_tPvRmT3_T4_T5_T6_T7_T9_mT8_P12ihipStream_tbDpT10_ENKUlT_T0_E_clISt17integral_constantIbLb0EES1B_IbLb1EEEEDaS17_S18_EUlS17_E_NS1_11comp_targetILNS1_3genE0ELNS1_11target_archE4294967295ELNS1_3gpuE0ELNS1_3repE0EEENS1_30default_config_static_selectorELNS0_4arch9wavefront6targetE1EEEvT1_
                                        ; -- End function
	.section	.AMDGPU.csdata,"",@progbits
; Kernel info:
; codeLenInByte = 0
; NumSgprs: 4
; NumVgprs: 0
; NumAgprs: 0
; TotalNumVgprs: 0
; ScratchSize: 0
; MemoryBound: 0
; FloatMode: 240
; IeeeMode: 1
; LDSByteSize: 0 bytes/workgroup (compile time only)
; SGPRBlocks: 0
; VGPRBlocks: 0
; NumSGPRsForWavesPerEU: 4
; NumVGPRsForWavesPerEU: 1
; AccumOffset: 4
; Occupancy: 8
; WaveLimiterHint : 0
; COMPUTE_PGM_RSRC2:SCRATCH_EN: 0
; COMPUTE_PGM_RSRC2:USER_SGPR: 6
; COMPUTE_PGM_RSRC2:TRAP_HANDLER: 0
; COMPUTE_PGM_RSRC2:TGID_X_EN: 1
; COMPUTE_PGM_RSRC2:TGID_Y_EN: 0
; COMPUTE_PGM_RSRC2:TGID_Z_EN: 0
; COMPUTE_PGM_RSRC2:TIDIG_COMP_CNT: 0
; COMPUTE_PGM_RSRC3_GFX90A:ACCUM_OFFSET: 0
; COMPUTE_PGM_RSRC3_GFX90A:TG_SPLIT: 0
	.section	.text._ZN7rocprim17ROCPRIM_400000_NS6detail17trampoline_kernelINS0_14default_configENS1_25partition_config_selectorILNS1_17partition_subalgoE8ElNS0_10empty_typeEbEEZZNS1_14partition_implILS5_8ELb0ES3_jPlPS6_PKS6_NS0_5tupleIJS9_S6_EEENSD_IJSA_SA_EEENS0_18inequality_wrapperIZN2at6native12_GLOBAL__N_124unique_dim_cuda_templateIjEESt5tupleIJNSH_6TensorESM_SM_EERKSM_lbbbEUlllE0_EEPmJS6_EEE10hipError_tPvRmT3_T4_T5_T6_T7_T9_mT8_P12ihipStream_tbDpT10_ENKUlT_T0_E_clISt17integral_constantIbLb0EES1B_IbLb1EEEEDaS17_S18_EUlS17_E_NS1_11comp_targetILNS1_3genE5ELNS1_11target_archE942ELNS1_3gpuE9ELNS1_3repE0EEENS1_30default_config_static_selectorELNS0_4arch9wavefront6targetE1EEEvT1_,"axG",@progbits,_ZN7rocprim17ROCPRIM_400000_NS6detail17trampoline_kernelINS0_14default_configENS1_25partition_config_selectorILNS1_17partition_subalgoE8ElNS0_10empty_typeEbEEZZNS1_14partition_implILS5_8ELb0ES3_jPlPS6_PKS6_NS0_5tupleIJS9_S6_EEENSD_IJSA_SA_EEENS0_18inequality_wrapperIZN2at6native12_GLOBAL__N_124unique_dim_cuda_templateIjEESt5tupleIJNSH_6TensorESM_SM_EERKSM_lbbbEUlllE0_EEPmJS6_EEE10hipError_tPvRmT3_T4_T5_T6_T7_T9_mT8_P12ihipStream_tbDpT10_ENKUlT_T0_E_clISt17integral_constantIbLb0EES1B_IbLb1EEEEDaS17_S18_EUlS17_E_NS1_11comp_targetILNS1_3genE5ELNS1_11target_archE942ELNS1_3gpuE9ELNS1_3repE0EEENS1_30default_config_static_selectorELNS0_4arch9wavefront6targetE1EEEvT1_,comdat
	.globl	_ZN7rocprim17ROCPRIM_400000_NS6detail17trampoline_kernelINS0_14default_configENS1_25partition_config_selectorILNS1_17partition_subalgoE8ElNS0_10empty_typeEbEEZZNS1_14partition_implILS5_8ELb0ES3_jPlPS6_PKS6_NS0_5tupleIJS9_S6_EEENSD_IJSA_SA_EEENS0_18inequality_wrapperIZN2at6native12_GLOBAL__N_124unique_dim_cuda_templateIjEESt5tupleIJNSH_6TensorESM_SM_EERKSM_lbbbEUlllE0_EEPmJS6_EEE10hipError_tPvRmT3_T4_T5_T6_T7_T9_mT8_P12ihipStream_tbDpT10_ENKUlT_T0_E_clISt17integral_constantIbLb0EES1B_IbLb1EEEEDaS17_S18_EUlS17_E_NS1_11comp_targetILNS1_3genE5ELNS1_11target_archE942ELNS1_3gpuE9ELNS1_3repE0EEENS1_30default_config_static_selectorELNS0_4arch9wavefront6targetE1EEEvT1_ ; -- Begin function _ZN7rocprim17ROCPRIM_400000_NS6detail17trampoline_kernelINS0_14default_configENS1_25partition_config_selectorILNS1_17partition_subalgoE8ElNS0_10empty_typeEbEEZZNS1_14partition_implILS5_8ELb0ES3_jPlPS6_PKS6_NS0_5tupleIJS9_S6_EEENSD_IJSA_SA_EEENS0_18inequality_wrapperIZN2at6native12_GLOBAL__N_124unique_dim_cuda_templateIjEESt5tupleIJNSH_6TensorESM_SM_EERKSM_lbbbEUlllE0_EEPmJS6_EEE10hipError_tPvRmT3_T4_T5_T6_T7_T9_mT8_P12ihipStream_tbDpT10_ENKUlT_T0_E_clISt17integral_constantIbLb0EES1B_IbLb1EEEEDaS17_S18_EUlS17_E_NS1_11comp_targetILNS1_3genE5ELNS1_11target_archE942ELNS1_3gpuE9ELNS1_3repE0EEENS1_30default_config_static_selectorELNS0_4arch9wavefront6targetE1EEEvT1_
	.p2align	8
	.type	_ZN7rocprim17ROCPRIM_400000_NS6detail17trampoline_kernelINS0_14default_configENS1_25partition_config_selectorILNS1_17partition_subalgoE8ElNS0_10empty_typeEbEEZZNS1_14partition_implILS5_8ELb0ES3_jPlPS6_PKS6_NS0_5tupleIJS9_S6_EEENSD_IJSA_SA_EEENS0_18inequality_wrapperIZN2at6native12_GLOBAL__N_124unique_dim_cuda_templateIjEESt5tupleIJNSH_6TensorESM_SM_EERKSM_lbbbEUlllE0_EEPmJS6_EEE10hipError_tPvRmT3_T4_T5_T6_T7_T9_mT8_P12ihipStream_tbDpT10_ENKUlT_T0_E_clISt17integral_constantIbLb0EES1B_IbLb1EEEEDaS17_S18_EUlS17_E_NS1_11comp_targetILNS1_3genE5ELNS1_11target_archE942ELNS1_3gpuE9ELNS1_3repE0EEENS1_30default_config_static_selectorELNS0_4arch9wavefront6targetE1EEEvT1_,@function
_ZN7rocprim17ROCPRIM_400000_NS6detail17trampoline_kernelINS0_14default_configENS1_25partition_config_selectorILNS1_17partition_subalgoE8ElNS0_10empty_typeEbEEZZNS1_14partition_implILS5_8ELb0ES3_jPlPS6_PKS6_NS0_5tupleIJS9_S6_EEENSD_IJSA_SA_EEENS0_18inequality_wrapperIZN2at6native12_GLOBAL__N_124unique_dim_cuda_templateIjEESt5tupleIJNSH_6TensorESM_SM_EERKSM_lbbbEUlllE0_EEPmJS6_EEE10hipError_tPvRmT3_T4_T5_T6_T7_T9_mT8_P12ihipStream_tbDpT10_ENKUlT_T0_E_clISt17integral_constantIbLb0EES1B_IbLb1EEEEDaS17_S18_EUlS17_E_NS1_11comp_targetILNS1_3genE5ELNS1_11target_archE942ELNS1_3gpuE9ELNS1_3repE0EEENS1_30default_config_static_selectorELNS0_4arch9wavefront6targetE1EEEvT1_: ; @_ZN7rocprim17ROCPRIM_400000_NS6detail17trampoline_kernelINS0_14default_configENS1_25partition_config_selectorILNS1_17partition_subalgoE8ElNS0_10empty_typeEbEEZZNS1_14partition_implILS5_8ELb0ES3_jPlPS6_PKS6_NS0_5tupleIJS9_S6_EEENSD_IJSA_SA_EEENS0_18inequality_wrapperIZN2at6native12_GLOBAL__N_124unique_dim_cuda_templateIjEESt5tupleIJNSH_6TensorESM_SM_EERKSM_lbbbEUlllE0_EEPmJS6_EEE10hipError_tPvRmT3_T4_T5_T6_T7_T9_mT8_P12ihipStream_tbDpT10_ENKUlT_T0_E_clISt17integral_constantIbLb0EES1B_IbLb1EEEEDaS17_S18_EUlS17_E_NS1_11comp_targetILNS1_3genE5ELNS1_11target_archE942ELNS1_3gpuE9ELNS1_3repE0EEENS1_30default_config_static_selectorELNS0_4arch9wavefront6targetE1EEEvT1_
; %bb.0:
	.section	.rodata,"a",@progbits
	.p2align	6, 0x0
	.amdhsa_kernel _ZN7rocprim17ROCPRIM_400000_NS6detail17trampoline_kernelINS0_14default_configENS1_25partition_config_selectorILNS1_17partition_subalgoE8ElNS0_10empty_typeEbEEZZNS1_14partition_implILS5_8ELb0ES3_jPlPS6_PKS6_NS0_5tupleIJS9_S6_EEENSD_IJSA_SA_EEENS0_18inequality_wrapperIZN2at6native12_GLOBAL__N_124unique_dim_cuda_templateIjEESt5tupleIJNSH_6TensorESM_SM_EERKSM_lbbbEUlllE0_EEPmJS6_EEE10hipError_tPvRmT3_T4_T5_T6_T7_T9_mT8_P12ihipStream_tbDpT10_ENKUlT_T0_E_clISt17integral_constantIbLb0EES1B_IbLb1EEEEDaS17_S18_EUlS17_E_NS1_11comp_targetILNS1_3genE5ELNS1_11target_archE942ELNS1_3gpuE9ELNS1_3repE0EEENS1_30default_config_static_selectorELNS0_4arch9wavefront6targetE1EEEvT1_
		.amdhsa_group_segment_fixed_size 0
		.amdhsa_private_segment_fixed_size 0
		.amdhsa_kernarg_size 136
		.amdhsa_user_sgpr_count 6
		.amdhsa_user_sgpr_private_segment_buffer 1
		.amdhsa_user_sgpr_dispatch_ptr 0
		.amdhsa_user_sgpr_queue_ptr 0
		.amdhsa_user_sgpr_kernarg_segment_ptr 1
		.amdhsa_user_sgpr_dispatch_id 0
		.amdhsa_user_sgpr_flat_scratch_init 0
		.amdhsa_user_sgpr_kernarg_preload_length 0
		.amdhsa_user_sgpr_kernarg_preload_offset 0
		.amdhsa_user_sgpr_private_segment_size 0
		.amdhsa_uses_dynamic_stack 0
		.amdhsa_system_sgpr_private_segment_wavefront_offset 0
		.amdhsa_system_sgpr_workgroup_id_x 1
		.amdhsa_system_sgpr_workgroup_id_y 0
		.amdhsa_system_sgpr_workgroup_id_z 0
		.amdhsa_system_sgpr_workgroup_info 0
		.amdhsa_system_vgpr_workitem_id 0
		.amdhsa_next_free_vgpr 1
		.amdhsa_next_free_sgpr 0
		.amdhsa_accum_offset 4
		.amdhsa_reserve_vcc 0
		.amdhsa_reserve_flat_scratch 0
		.amdhsa_float_round_mode_32 0
		.amdhsa_float_round_mode_16_64 0
		.amdhsa_float_denorm_mode_32 3
		.amdhsa_float_denorm_mode_16_64 3
		.amdhsa_dx10_clamp 1
		.amdhsa_ieee_mode 1
		.amdhsa_fp16_overflow 0
		.amdhsa_tg_split 0
		.amdhsa_exception_fp_ieee_invalid_op 0
		.amdhsa_exception_fp_denorm_src 0
		.amdhsa_exception_fp_ieee_div_zero 0
		.amdhsa_exception_fp_ieee_overflow 0
		.amdhsa_exception_fp_ieee_underflow 0
		.amdhsa_exception_fp_ieee_inexact 0
		.amdhsa_exception_int_div_zero 0
	.end_amdhsa_kernel
	.section	.text._ZN7rocprim17ROCPRIM_400000_NS6detail17trampoline_kernelINS0_14default_configENS1_25partition_config_selectorILNS1_17partition_subalgoE8ElNS0_10empty_typeEbEEZZNS1_14partition_implILS5_8ELb0ES3_jPlPS6_PKS6_NS0_5tupleIJS9_S6_EEENSD_IJSA_SA_EEENS0_18inequality_wrapperIZN2at6native12_GLOBAL__N_124unique_dim_cuda_templateIjEESt5tupleIJNSH_6TensorESM_SM_EERKSM_lbbbEUlllE0_EEPmJS6_EEE10hipError_tPvRmT3_T4_T5_T6_T7_T9_mT8_P12ihipStream_tbDpT10_ENKUlT_T0_E_clISt17integral_constantIbLb0EES1B_IbLb1EEEEDaS17_S18_EUlS17_E_NS1_11comp_targetILNS1_3genE5ELNS1_11target_archE942ELNS1_3gpuE9ELNS1_3repE0EEENS1_30default_config_static_selectorELNS0_4arch9wavefront6targetE1EEEvT1_,"axG",@progbits,_ZN7rocprim17ROCPRIM_400000_NS6detail17trampoline_kernelINS0_14default_configENS1_25partition_config_selectorILNS1_17partition_subalgoE8ElNS0_10empty_typeEbEEZZNS1_14partition_implILS5_8ELb0ES3_jPlPS6_PKS6_NS0_5tupleIJS9_S6_EEENSD_IJSA_SA_EEENS0_18inequality_wrapperIZN2at6native12_GLOBAL__N_124unique_dim_cuda_templateIjEESt5tupleIJNSH_6TensorESM_SM_EERKSM_lbbbEUlllE0_EEPmJS6_EEE10hipError_tPvRmT3_T4_T5_T6_T7_T9_mT8_P12ihipStream_tbDpT10_ENKUlT_T0_E_clISt17integral_constantIbLb0EES1B_IbLb1EEEEDaS17_S18_EUlS17_E_NS1_11comp_targetILNS1_3genE5ELNS1_11target_archE942ELNS1_3gpuE9ELNS1_3repE0EEENS1_30default_config_static_selectorELNS0_4arch9wavefront6targetE1EEEvT1_,comdat
.Lfunc_end1564:
	.size	_ZN7rocprim17ROCPRIM_400000_NS6detail17trampoline_kernelINS0_14default_configENS1_25partition_config_selectorILNS1_17partition_subalgoE8ElNS0_10empty_typeEbEEZZNS1_14partition_implILS5_8ELb0ES3_jPlPS6_PKS6_NS0_5tupleIJS9_S6_EEENSD_IJSA_SA_EEENS0_18inequality_wrapperIZN2at6native12_GLOBAL__N_124unique_dim_cuda_templateIjEESt5tupleIJNSH_6TensorESM_SM_EERKSM_lbbbEUlllE0_EEPmJS6_EEE10hipError_tPvRmT3_T4_T5_T6_T7_T9_mT8_P12ihipStream_tbDpT10_ENKUlT_T0_E_clISt17integral_constantIbLb0EES1B_IbLb1EEEEDaS17_S18_EUlS17_E_NS1_11comp_targetILNS1_3genE5ELNS1_11target_archE942ELNS1_3gpuE9ELNS1_3repE0EEENS1_30default_config_static_selectorELNS0_4arch9wavefront6targetE1EEEvT1_, .Lfunc_end1564-_ZN7rocprim17ROCPRIM_400000_NS6detail17trampoline_kernelINS0_14default_configENS1_25partition_config_selectorILNS1_17partition_subalgoE8ElNS0_10empty_typeEbEEZZNS1_14partition_implILS5_8ELb0ES3_jPlPS6_PKS6_NS0_5tupleIJS9_S6_EEENSD_IJSA_SA_EEENS0_18inequality_wrapperIZN2at6native12_GLOBAL__N_124unique_dim_cuda_templateIjEESt5tupleIJNSH_6TensorESM_SM_EERKSM_lbbbEUlllE0_EEPmJS6_EEE10hipError_tPvRmT3_T4_T5_T6_T7_T9_mT8_P12ihipStream_tbDpT10_ENKUlT_T0_E_clISt17integral_constantIbLb0EES1B_IbLb1EEEEDaS17_S18_EUlS17_E_NS1_11comp_targetILNS1_3genE5ELNS1_11target_archE942ELNS1_3gpuE9ELNS1_3repE0EEENS1_30default_config_static_selectorELNS0_4arch9wavefront6targetE1EEEvT1_
                                        ; -- End function
	.section	.AMDGPU.csdata,"",@progbits
; Kernel info:
; codeLenInByte = 0
; NumSgprs: 4
; NumVgprs: 0
; NumAgprs: 0
; TotalNumVgprs: 0
; ScratchSize: 0
; MemoryBound: 0
; FloatMode: 240
; IeeeMode: 1
; LDSByteSize: 0 bytes/workgroup (compile time only)
; SGPRBlocks: 0
; VGPRBlocks: 0
; NumSGPRsForWavesPerEU: 4
; NumVGPRsForWavesPerEU: 1
; AccumOffset: 4
; Occupancy: 8
; WaveLimiterHint : 0
; COMPUTE_PGM_RSRC2:SCRATCH_EN: 0
; COMPUTE_PGM_RSRC2:USER_SGPR: 6
; COMPUTE_PGM_RSRC2:TRAP_HANDLER: 0
; COMPUTE_PGM_RSRC2:TGID_X_EN: 1
; COMPUTE_PGM_RSRC2:TGID_Y_EN: 0
; COMPUTE_PGM_RSRC2:TGID_Z_EN: 0
; COMPUTE_PGM_RSRC2:TIDIG_COMP_CNT: 0
; COMPUTE_PGM_RSRC3_GFX90A:ACCUM_OFFSET: 0
; COMPUTE_PGM_RSRC3_GFX90A:TG_SPLIT: 0
	.section	.text._ZN7rocprim17ROCPRIM_400000_NS6detail17trampoline_kernelINS0_14default_configENS1_25partition_config_selectorILNS1_17partition_subalgoE8ElNS0_10empty_typeEbEEZZNS1_14partition_implILS5_8ELb0ES3_jPlPS6_PKS6_NS0_5tupleIJS9_S6_EEENSD_IJSA_SA_EEENS0_18inequality_wrapperIZN2at6native12_GLOBAL__N_124unique_dim_cuda_templateIjEESt5tupleIJNSH_6TensorESM_SM_EERKSM_lbbbEUlllE0_EEPmJS6_EEE10hipError_tPvRmT3_T4_T5_T6_T7_T9_mT8_P12ihipStream_tbDpT10_ENKUlT_T0_E_clISt17integral_constantIbLb0EES1B_IbLb1EEEEDaS17_S18_EUlS17_E_NS1_11comp_targetILNS1_3genE4ELNS1_11target_archE910ELNS1_3gpuE8ELNS1_3repE0EEENS1_30default_config_static_selectorELNS0_4arch9wavefront6targetE1EEEvT1_,"axG",@progbits,_ZN7rocprim17ROCPRIM_400000_NS6detail17trampoline_kernelINS0_14default_configENS1_25partition_config_selectorILNS1_17partition_subalgoE8ElNS0_10empty_typeEbEEZZNS1_14partition_implILS5_8ELb0ES3_jPlPS6_PKS6_NS0_5tupleIJS9_S6_EEENSD_IJSA_SA_EEENS0_18inequality_wrapperIZN2at6native12_GLOBAL__N_124unique_dim_cuda_templateIjEESt5tupleIJNSH_6TensorESM_SM_EERKSM_lbbbEUlllE0_EEPmJS6_EEE10hipError_tPvRmT3_T4_T5_T6_T7_T9_mT8_P12ihipStream_tbDpT10_ENKUlT_T0_E_clISt17integral_constantIbLb0EES1B_IbLb1EEEEDaS17_S18_EUlS17_E_NS1_11comp_targetILNS1_3genE4ELNS1_11target_archE910ELNS1_3gpuE8ELNS1_3repE0EEENS1_30default_config_static_selectorELNS0_4arch9wavefront6targetE1EEEvT1_,comdat
	.globl	_ZN7rocprim17ROCPRIM_400000_NS6detail17trampoline_kernelINS0_14default_configENS1_25partition_config_selectorILNS1_17partition_subalgoE8ElNS0_10empty_typeEbEEZZNS1_14partition_implILS5_8ELb0ES3_jPlPS6_PKS6_NS0_5tupleIJS9_S6_EEENSD_IJSA_SA_EEENS0_18inequality_wrapperIZN2at6native12_GLOBAL__N_124unique_dim_cuda_templateIjEESt5tupleIJNSH_6TensorESM_SM_EERKSM_lbbbEUlllE0_EEPmJS6_EEE10hipError_tPvRmT3_T4_T5_T6_T7_T9_mT8_P12ihipStream_tbDpT10_ENKUlT_T0_E_clISt17integral_constantIbLb0EES1B_IbLb1EEEEDaS17_S18_EUlS17_E_NS1_11comp_targetILNS1_3genE4ELNS1_11target_archE910ELNS1_3gpuE8ELNS1_3repE0EEENS1_30default_config_static_selectorELNS0_4arch9wavefront6targetE1EEEvT1_ ; -- Begin function _ZN7rocprim17ROCPRIM_400000_NS6detail17trampoline_kernelINS0_14default_configENS1_25partition_config_selectorILNS1_17partition_subalgoE8ElNS0_10empty_typeEbEEZZNS1_14partition_implILS5_8ELb0ES3_jPlPS6_PKS6_NS0_5tupleIJS9_S6_EEENSD_IJSA_SA_EEENS0_18inequality_wrapperIZN2at6native12_GLOBAL__N_124unique_dim_cuda_templateIjEESt5tupleIJNSH_6TensorESM_SM_EERKSM_lbbbEUlllE0_EEPmJS6_EEE10hipError_tPvRmT3_T4_T5_T6_T7_T9_mT8_P12ihipStream_tbDpT10_ENKUlT_T0_E_clISt17integral_constantIbLb0EES1B_IbLb1EEEEDaS17_S18_EUlS17_E_NS1_11comp_targetILNS1_3genE4ELNS1_11target_archE910ELNS1_3gpuE8ELNS1_3repE0EEENS1_30default_config_static_selectorELNS0_4arch9wavefront6targetE1EEEvT1_
	.p2align	8
	.type	_ZN7rocprim17ROCPRIM_400000_NS6detail17trampoline_kernelINS0_14default_configENS1_25partition_config_selectorILNS1_17partition_subalgoE8ElNS0_10empty_typeEbEEZZNS1_14partition_implILS5_8ELb0ES3_jPlPS6_PKS6_NS0_5tupleIJS9_S6_EEENSD_IJSA_SA_EEENS0_18inequality_wrapperIZN2at6native12_GLOBAL__N_124unique_dim_cuda_templateIjEESt5tupleIJNSH_6TensorESM_SM_EERKSM_lbbbEUlllE0_EEPmJS6_EEE10hipError_tPvRmT3_T4_T5_T6_T7_T9_mT8_P12ihipStream_tbDpT10_ENKUlT_T0_E_clISt17integral_constantIbLb0EES1B_IbLb1EEEEDaS17_S18_EUlS17_E_NS1_11comp_targetILNS1_3genE4ELNS1_11target_archE910ELNS1_3gpuE8ELNS1_3repE0EEENS1_30default_config_static_selectorELNS0_4arch9wavefront6targetE1EEEvT1_,@function
_ZN7rocprim17ROCPRIM_400000_NS6detail17trampoline_kernelINS0_14default_configENS1_25partition_config_selectorILNS1_17partition_subalgoE8ElNS0_10empty_typeEbEEZZNS1_14partition_implILS5_8ELb0ES3_jPlPS6_PKS6_NS0_5tupleIJS9_S6_EEENSD_IJSA_SA_EEENS0_18inequality_wrapperIZN2at6native12_GLOBAL__N_124unique_dim_cuda_templateIjEESt5tupleIJNSH_6TensorESM_SM_EERKSM_lbbbEUlllE0_EEPmJS6_EEE10hipError_tPvRmT3_T4_T5_T6_T7_T9_mT8_P12ihipStream_tbDpT10_ENKUlT_T0_E_clISt17integral_constantIbLb0EES1B_IbLb1EEEEDaS17_S18_EUlS17_E_NS1_11comp_targetILNS1_3genE4ELNS1_11target_archE910ELNS1_3gpuE8ELNS1_3repE0EEENS1_30default_config_static_selectorELNS0_4arch9wavefront6targetE1EEEvT1_: ; @_ZN7rocprim17ROCPRIM_400000_NS6detail17trampoline_kernelINS0_14default_configENS1_25partition_config_selectorILNS1_17partition_subalgoE8ElNS0_10empty_typeEbEEZZNS1_14partition_implILS5_8ELb0ES3_jPlPS6_PKS6_NS0_5tupleIJS9_S6_EEENSD_IJSA_SA_EEENS0_18inequality_wrapperIZN2at6native12_GLOBAL__N_124unique_dim_cuda_templateIjEESt5tupleIJNSH_6TensorESM_SM_EERKSM_lbbbEUlllE0_EEPmJS6_EEE10hipError_tPvRmT3_T4_T5_T6_T7_T9_mT8_P12ihipStream_tbDpT10_ENKUlT_T0_E_clISt17integral_constantIbLb0EES1B_IbLb1EEEEDaS17_S18_EUlS17_E_NS1_11comp_targetILNS1_3genE4ELNS1_11target_archE910ELNS1_3gpuE8ELNS1_3repE0EEENS1_30default_config_static_selectorELNS0_4arch9wavefront6targetE1EEEvT1_
; %bb.0:
	s_load_dwordx2 s[28:29], s[4:5], 0x28
	s_load_dwordx8 s[20:27], s[4:5], 0x40
	s_load_dwordx4 s[16:19], s[4:5], 0x60
	v_cmp_ne_u32_e64 s[2:3], 0, v0
	v_cmp_eq_u32_e64 s[0:1], 0, v0
	s_and_saveexec_b64 s[6:7], s[0:1]
	s_cbranch_execz .LBB1565_4
; %bb.1:
	s_mov_b64 s[10:11], exec
	v_mbcnt_lo_u32_b32 v1, s10, 0
	v_mbcnt_hi_u32_b32 v1, s11, v1
	v_cmp_eq_u32_e32 vcc, 0, v1
                                        ; implicit-def: $vgpr2
	s_and_saveexec_b64 s[8:9], vcc
	s_cbranch_execz .LBB1565_3
; %bb.2:
	s_load_dwordx2 s[12:13], s[4:5], 0x78
	s_bcnt1_i32_b64 s10, s[10:11]
	v_mov_b32_e32 v2, 0
	v_mov_b32_e32 v3, s10
	s_waitcnt lgkmcnt(0)
	global_atomic_add v2, v2, v3, s[12:13] glc
.LBB1565_3:
	s_or_b64 exec, exec, s[8:9]
	s_waitcnt vmcnt(0)
	v_readfirstlane_b32 s8, v2
	v_add_u32_e32 v1, s8, v1
	v_mov_b32_e32 v2, 0
	ds_write_b32 v2, v1
.LBB1565_4:
	s_or_b64 exec, exec, s[6:7]
	v_mov_b32_e32 v3, 0
	s_load_dwordx4 s[8:11], s[4:5], 0x8
	s_load_dword s12, s[4:5], 0x70
	s_waitcnt lgkmcnt(0)
	s_barrier
	ds_read_b32 v1, v3
	s_waitcnt lgkmcnt(0)
	s_barrier
	global_load_dwordx2 v[4:5], v3, s[22:23]
	s_lshl_b64 s[4:5], s[10:11], 3
	s_mul_i32 s14, s12, 0x500
	s_add_u32 s8, s8, s4
	s_addc_u32 s4, s9, s5
	s_add_i32 s5, s14, s10
	s_add_i32 s12, s12, -1
	s_sub_i32 s48, s24, s5
	v_mov_b32_e32 v8, s4
	s_add_u32 s4, s10, s14
	s_addc_u32 s5, s11, 0
	v_readfirstlane_b32 s33, v1
	v_mov_b32_e32 v6, s24
	v_mov_b32_e32 v7, s25
	s_movk_i32 s13, 0x500
	s_cmp_eq_u32 s33, s12
	v_mul_lo_u32 v2, v1, s13
	v_cmp_ge_u64_e32 vcc, s[4:5], v[6:7]
	s_cselect_b64 s[24:25], -1, 0
	v_lshlrev_b64 v[2:3], 3, v[2:3]
	s_and_b64 s[12:13], vcc, s[24:25]
	v_add_co_u32_e64 v18, s[4:5], s8, v2
	s_xor_b64 s[30:31], s[12:13], -1
	s_mov_b64 s[6:7], -1
	v_addc_co_u32_e64 v19, s[4:5], v8, v3, s[4:5]
	s_and_b64 vcc, exec, s[30:31]
	s_waitcnt vmcnt(0)
	v_readfirstlane_b32 s22, v4
	v_readfirstlane_b32 s23, v5
	s_cbranch_vccz .LBB1565_6
; %bb.5:
	v_lshlrev_b32_e32 v1, 3, v0
	v_add_co_u32_e32 v12, vcc, v18, v1
	v_addc_co_u32_e32 v13, vcc, 0, v19, vcc
	v_add_co_u32_e32 v2, vcc, 0x1000, v12
	v_readfirstlane_b32 s4, v18
	v_readfirstlane_b32 s5, v19
	v_addc_co_u32_e32 v3, vcc, 0, v13, vcc
	s_nop 3
	global_load_dwordx2 v[4:5], v1, s[4:5]
	global_load_dwordx2 v[6:7], v1, s[4:5] offset:2048
	global_load_dwordx2 v[8:9], v[2:3], off
	global_load_dwordx2 v[10:11], v[2:3], off offset:2048
	v_add_co_u32_e32 v2, vcc, 0x2000, v12
	v_addc_co_u32_e32 v3, vcc, 0, v13, vcc
	global_load_dwordx2 v[2:3], v[2:3], off
	s_mov_b64 s[6:7], 0
	s_waitcnt vmcnt(3)
	ds_write2st64_b64 v1, v[4:5], v[6:7] offset1:4
	s_waitcnt vmcnt(1)
	ds_write2st64_b64 v1, v[8:9], v[10:11] offset0:8 offset1:12
	s_waitcnt vmcnt(0)
	ds_write_b64 v1, v[2:3] offset:8192
	s_waitcnt lgkmcnt(0)
	s_barrier
.LBB1565_6:
	s_andn2_b64 vcc, exec, s[6:7]
	s_addk_i32 s48, 0x500
	s_cbranch_vccnz .LBB1565_18
; %bb.7:
	v_cmp_gt_u32_e32 vcc, s48, v0
                                        ; implicit-def: $vgpr2_vgpr3_vgpr4_vgpr5_vgpr6_vgpr7_vgpr8_vgpr9_vgpr10_vgpr11_vgpr12_vgpr13_vgpr14_vgpr15_vgpr16_vgpr17
	s_and_saveexec_b64 s[4:5], vcc
	s_cbranch_execz .LBB1565_9
; %bb.8:
	v_lshlrev_b32_e32 v1, 3, v0
	v_readfirstlane_b32 s6, v18
	v_readfirstlane_b32 s7, v19
	s_nop 4
	global_load_dwordx2 v[2:3], v1, s[6:7]
.LBB1565_9:
	s_or_b64 exec, exec, s[4:5]
	v_or_b32_e32 v1, 0x100, v0
	v_cmp_gt_u32_e32 vcc, s48, v1
	s_and_saveexec_b64 s[4:5], vcc
	s_cbranch_execz .LBB1565_11
; %bb.10:
	v_lshlrev_b32_e32 v1, 3, v0
	v_readfirstlane_b32 s6, v18
	v_readfirstlane_b32 s7, v19
	s_nop 4
	global_load_dwordx2 v[4:5], v1, s[6:7] offset:2048
.LBB1565_11:
	s_or_b64 exec, exec, s[4:5]
	v_or_b32_e32 v1, 0x200, v0
	v_cmp_gt_u32_e32 vcc, s48, v1
	s_and_saveexec_b64 s[4:5], vcc
	s_cbranch_execz .LBB1565_13
; %bb.12:
	v_lshlrev_b32_e32 v1, 3, v1
	v_readfirstlane_b32 s6, v18
	v_readfirstlane_b32 s7, v19
	s_nop 4
	global_load_dwordx2 v[6:7], v1, s[6:7]
.LBB1565_13:
	s_or_b64 exec, exec, s[4:5]
	v_or_b32_e32 v1, 0x300, v0
	v_cmp_gt_u32_e32 vcc, s48, v1
	s_and_saveexec_b64 s[4:5], vcc
	s_cbranch_execz .LBB1565_15
; %bb.14:
	v_lshlrev_b32_e32 v1, 3, v1
	v_readfirstlane_b32 s6, v18
	v_readfirstlane_b32 s7, v19
	s_nop 4
	global_load_dwordx2 v[8:9], v1, s[6:7]
.LBB1565_15:
	;; [unrolled: 12-line block ×3, first 2 shown]
	s_or_b64 exec, exec, s[4:5]
	v_lshlrev_b32_e32 v1, 3, v0
	s_waitcnt vmcnt(0)
	ds_write2st64_b64 v1, v[2:3], v[4:5] offset1:4
	ds_write2st64_b64 v1, v[6:7], v[8:9] offset0:8 offset1:12
	ds_write_b64 v1, v[10:11] offset:8192
	s_waitcnt lgkmcnt(0)
	s_barrier
.LBB1565_18:
	v_mul_u32_u24_e32 v1, 5, v0
	v_lshlrev_b32_e32 v26, 3, v1
	ds_read2_b64 v[6:9], v26 offset1:1
	ds_read2_b64 v[2:5], v26 offset0:2 offset1:3
	ds_read_b64 v[10:11], v26 offset:32
	s_cmp_lg_u32 s33, 0
	s_cselect_b64 s[34:35], -1, 0
	s_cmp_lg_u64 s[10:11], 0
	s_cselect_b64 s[4:5], -1, 0
	s_or_b64 s[4:5], s[4:5], s[34:35]
	v_mad_u32_u24 v24, v0, 5, 1
	v_mad_u32_u24 v22, v0, 5, 2
	;; [unrolled: 1-line block ×4, first 2 shown]
	s_mov_b64 s[14:15], 0
	s_and_b64 vcc, exec, s[4:5]
	v_cmp_gt_i64_e64 s[4:5], s[26:27], 0
	s_waitcnt lgkmcnt(0)
	s_barrier
	s_cbranch_vccz .LBB1565_27
; %bb.19:
	global_load_dwordx2 v[14:15], v[18:19], off offset:-8
	v_cndmask_b32_e64 v12, 0, 1, s[4:5]
	v_lshlrev_b32_e32 v27, 3, v0
	s_mov_b64 s[10:11], 0
	s_and_b64 vcc, exec, s[30:31]
	v_cmp_ne_u32_e64 s[4:5], 1, v12
	ds_write_b64 v27, v[10:11]
	s_cbranch_vccz .LBB1565_28
; %bb.20:
	v_mul_lo_u32 v16, v5, s26
	v_mul_lo_u32 v17, v4, s27
	v_mad_u64_u32 v[12:13], s[6:7], v4, s26, 0
	v_add3_u32 v13, v13, v17, v16
	s_and_b64 vcc, exec, s[4:5]
	v_lshlrev_b64 v[12:13], 2, v[12:13]
	s_cbranch_vccnz .LBB1565_31
; %bb.21:
	v_mul_lo_u32 v18, v11, s26
	v_mul_lo_u32 v19, v10, s27
	v_mad_u64_u32 v[16:17], s[6:7], v10, s26, 0
	v_add3_u32 v17, v17, v19, v18
	v_mov_b32_e32 v19, s17
	v_add_co_u32_e32 v18, vcc, s16, v12
	v_addc_co_u32_e64 v19, s[6:7], v19, v13, vcc
	v_lshlrev_b64 v[16:17], 2, v[16:17]
	v_mov_b32_e32 v21, s17
	v_add_co_u32_e64 v20, s[6:7], s16, v16
	v_addc_co_u32_e64 v21, s[8:9], v21, v17, s[6:7]
	global_load_dword v16, v[18:19], off
	global_load_dword v28, v[20:21], off
	s_mov_b64 s[10:11], -1
	s_waitcnt vmcnt(0)
	v_cmp_eq_u32_e64 s[8:9], v16, v28
	s_and_saveexec_b64 s[14:15], s[8:9]
	s_cbranch_execz .LBB1565_30
; %bb.22:
	v_mov_b32_e32 v16, s17
	v_addc_co_u32_e64 v17, s[6:7], v17, v16, s[6:7]
	v_add_co_u32_e64 v16, s[6:7], 4, v20
	v_mov_b32_e32 v19, s17
	v_addc_co_u32_e64 v17, s[6:7], 0, v17, s[6:7]
	v_addc_co_u32_e32 v19, vcc, v13, v19, vcc
	v_add_co_u32_e32 v18, vcc, 4, v18
	s_add_u32 s6, s26, -1
	v_addc_co_u32_e32 v19, vcc, 0, v19, vcc
	s_addc_u32 s7, s27, -1
	s_mov_b64 s[8:9], 0
	s_mov_b64 s[36:37], 0
                                        ; implicit-def: $sgpr10_sgpr11
	s_branch .LBB1565_25
.LBB1565_23:                            ;   in Loop: Header=BB1565_25 Depth=1
	global_load_dword v20, v[18:19], off
	global_load_dword v21, v[16:17], off
	v_add_co_u32_e32 v16, vcc, 4, v16
	v_addc_co_u32_e32 v17, vcc, 0, v17, vcc
	v_add_co_u32_e32 v18, vcc, 4, v18
	v_addc_co_u32_e32 v19, vcc, 0, v19, vcc
	s_add_u32 s36, s36, 1
	s_addc_u32 s37, s37, 0
	s_andn2_b64 s[10:11], s[10:11], exec
	s_waitcnt vmcnt(0)
	v_cmp_ne_u32_e32 vcc, v20, v21
	s_and_b64 s[38:39], vcc, exec
	s_or_b64 s[10:11], s[10:11], s[38:39]
.LBB1565_24:                            ;   in Loop: Header=BB1565_25 Depth=1
	s_and_b64 s[38:39], exec, s[10:11]
	s_or_b64 s[8:9], s[38:39], s[8:9]
	v_pk_mov_b32 v[20:21], s[36:37], s[36:37] op_sel:[0,1]
	s_andn2_b64 exec, exec, s[8:9]
	s_cbranch_execz .LBB1565_29
.LBB1565_25:                            ; =>This Inner Loop Header: Depth=1
	s_or_b64 s[10:11], s[10:11], exec
	s_cmp_eq_u64 s[6:7], s[36:37]
	s_cbranch_scc0 .LBB1565_23
; %bb.26:                               ;   in Loop: Header=BB1565_25 Depth=1
                                        ; implicit-def: $vgpr16_vgpr17
                                        ; implicit-def: $vgpr18_vgpr19
	s_mov_b64 s[36:37], s[26:27]
	s_branch .LBB1565_24
.LBB1565_27:
                                        ; implicit-def: $sgpr36_sgpr37
                                        ; implicit-def: $vgpr13
                                        ; implicit-def: $vgpr16
	s_branch .LBB1565_129
.LBB1565_28:
                                        ; implicit-def: $sgpr36_sgpr37
                                        ; implicit-def: $vgpr13
                                        ; implicit-def: $vgpr16
	s_cbranch_execnz .LBB1565_70
	s_branch .LBB1565_128
.LBB1565_29:
	s_or_b64 exec, exec, s[8:9]
	v_cmp_gt_i64_e32 vcc, s[26:27], v[20:21]
	s_orn2_b64 s[10:11], vcc, exec
.LBB1565_30:
	s_or_b64 exec, exec, s[14:15]
.LBB1565_31:
	v_mul_lo_u32 v18, v3, s26
	v_mul_lo_u32 v19, v2, s27
	v_mad_u64_u32 v[16:17], s[6:7], v2, s26, 0
	v_add3_u32 v17, v17, v19, v18
	s_mov_b64 s[14:15], 0
	s_and_b64 vcc, exec, s[4:5]
	v_lshlrev_b64 v[18:19], 2, v[16:17]
	s_mov_b64 s[36:37], 0
	s_cbranch_vccnz .LBB1565_40
; %bb.32:
	v_mov_b32_e32 v17, s17
	v_add_co_u32_e32 v16, vcc, s16, v18
	v_addc_co_u32_e64 v17, s[6:7], v17, v19, vcc
	v_mov_b32_e32 v21, s17
	v_add_co_u32_e64 v20, s[6:7], s16, v12
	v_addc_co_u32_e64 v21, s[8:9], v21, v13, s[6:7]
	global_load_dword v12, v[16:17], off
	global_load_dword v28, v[20:21], off
	s_mov_b64 s[36:37], -1
	s_waitcnt vmcnt(0)
	v_cmp_eq_u32_e64 s[8:9], v12, v28
	s_and_saveexec_b64 s[38:39], s[8:9]
	s_cbranch_execz .LBB1565_39
; %bb.33:
	v_mov_b32_e32 v12, s17
	v_addc_co_u32_e64 v13, s[6:7], v13, v12, s[6:7]
	v_add_co_u32_e64 v12, s[6:7], 4, v20
	v_mov_b32_e32 v17, s17
	v_addc_co_u32_e64 v13, s[6:7], 0, v13, s[6:7]
	v_addc_co_u32_e32 v17, vcc, v19, v17, vcc
	v_add_co_u32_e32 v16, vcc, 4, v16
	s_add_u32 s6, s26, -1
	v_addc_co_u32_e32 v17, vcc, 0, v17, vcc
	s_addc_u32 s7, s27, -1
	s_mov_b64 s[8:9], 0
	s_mov_b64 s[40:41], 0
                                        ; implicit-def: $sgpr36_sgpr37
	s_branch .LBB1565_36
.LBB1565_34:                            ;   in Loop: Header=BB1565_36 Depth=1
	global_load_dword v20, v[16:17], off
	global_load_dword v21, v[12:13], off
	v_add_co_u32_e32 v12, vcc, 4, v12
	v_addc_co_u32_e32 v13, vcc, 0, v13, vcc
	v_add_co_u32_e32 v16, vcc, 4, v16
	v_addc_co_u32_e32 v17, vcc, 0, v17, vcc
	s_add_u32 s40, s40, 1
	s_addc_u32 s41, s41, 0
	s_andn2_b64 s[36:37], s[36:37], exec
	s_waitcnt vmcnt(0)
	v_cmp_ne_u32_e32 vcc, v20, v21
	s_and_b64 s[42:43], vcc, exec
	s_or_b64 s[36:37], s[36:37], s[42:43]
.LBB1565_35:                            ;   in Loop: Header=BB1565_36 Depth=1
	s_and_b64 s[42:43], exec, s[36:37]
	s_or_b64 s[8:9], s[42:43], s[8:9]
	v_pk_mov_b32 v[20:21], s[40:41], s[40:41] op_sel:[0,1]
	s_andn2_b64 exec, exec, s[8:9]
	s_cbranch_execz .LBB1565_38
.LBB1565_36:                            ; =>This Inner Loop Header: Depth=1
	s_or_b64 s[36:37], s[36:37], exec
	s_cmp_eq_u64 s[6:7], s[40:41]
	s_cbranch_scc0 .LBB1565_34
; %bb.37:                               ;   in Loop: Header=BB1565_36 Depth=1
                                        ; implicit-def: $vgpr12_vgpr13
                                        ; implicit-def: $vgpr16_vgpr17
	s_mov_b64 s[40:41], s[26:27]
	s_branch .LBB1565_35
.LBB1565_38:
	s_or_b64 exec, exec, s[8:9]
	v_cmp_gt_i64_e32 vcc, s[26:27], v[20:21]
	s_orn2_b64 s[36:37], vcc, exec
.LBB1565_39:
	s_or_b64 exec, exec, s[38:39]
.LBB1565_40:
	v_mul_lo_u32 v16, v9, s26
	v_mul_lo_u32 v17, v8, s27
	v_mad_u64_u32 v[12:13], s[6:7], v8, s26, 0
	v_add3_u32 v13, v13, v17, v16
	s_and_b64 vcc, exec, s[4:5]
	v_lshlrev_b64 v[16:17], 2, v[12:13]
	s_cbranch_vccnz .LBB1565_49
; %bb.41:
	v_mov_b32_e32 v12, s17
	v_add_co_u32_e32 v20, vcc, s16, v16
	v_addc_co_u32_e64 v21, s[6:7], v12, v17, vcc
	v_mov_b32_e32 v13, s17
	v_add_co_u32_e64 v12, s[6:7], s16, v18
	v_addc_co_u32_e64 v13, s[8:9], v13, v19, s[6:7]
	global_load_dword v18, v[20:21], off
	global_load_dword v28, v[12:13], off
	s_mov_b64 s[14:15], -1
	s_waitcnt vmcnt(0)
	v_cmp_eq_u32_e64 s[8:9], v18, v28
	s_and_saveexec_b64 s[38:39], s[8:9]
	s_cbranch_execz .LBB1565_48
; %bb.42:
	v_mov_b32_e32 v13, s17
	v_addc_co_u32_e64 v13, s[6:7], v19, v13, s[6:7]
	v_add_co_u32_e64 v12, s[6:7], 4, v12
	v_mov_b32_e32 v18, s17
	v_addc_co_u32_e64 v13, s[6:7], 0, v13, s[6:7]
	v_addc_co_u32_e32 v19, vcc, v17, v18, vcc
	v_add_co_u32_e32 v18, vcc, 4, v20
	s_add_u32 s6, s26, -1
	v_addc_co_u32_e32 v19, vcc, 0, v19, vcc
	s_addc_u32 s7, s27, -1
	s_mov_b64 s[8:9], 0
	s_mov_b64 s[40:41], 0
                                        ; implicit-def: $sgpr14_sgpr15
	s_branch .LBB1565_45
.LBB1565_43:                            ;   in Loop: Header=BB1565_45 Depth=1
	global_load_dword v20, v[18:19], off
	global_load_dword v21, v[12:13], off
	v_add_co_u32_e32 v12, vcc, 4, v12
	v_addc_co_u32_e32 v13, vcc, 0, v13, vcc
	v_add_co_u32_e32 v18, vcc, 4, v18
	v_addc_co_u32_e32 v19, vcc, 0, v19, vcc
	s_add_u32 s40, s40, 1
	s_addc_u32 s41, s41, 0
	s_andn2_b64 s[14:15], s[14:15], exec
	s_waitcnt vmcnt(0)
	v_cmp_ne_u32_e32 vcc, v20, v21
	s_and_b64 s[42:43], vcc, exec
	s_or_b64 s[14:15], s[14:15], s[42:43]
.LBB1565_44:                            ;   in Loop: Header=BB1565_45 Depth=1
	s_and_b64 s[42:43], exec, s[14:15]
	s_or_b64 s[8:9], s[42:43], s[8:9]
	v_pk_mov_b32 v[20:21], s[40:41], s[40:41] op_sel:[0,1]
	s_andn2_b64 exec, exec, s[8:9]
	s_cbranch_execz .LBB1565_47
.LBB1565_45:                            ; =>This Inner Loop Header: Depth=1
	s_or_b64 s[14:15], s[14:15], exec
	s_cmp_eq_u64 s[6:7], s[40:41]
	s_cbranch_scc0 .LBB1565_43
; %bb.46:                               ;   in Loop: Header=BB1565_45 Depth=1
                                        ; implicit-def: $vgpr12_vgpr13
                                        ; implicit-def: $vgpr18_vgpr19
	s_mov_b64 s[40:41], s[26:27]
	s_branch .LBB1565_44
.LBB1565_47:
	s_or_b64 exec, exec, s[8:9]
	v_cmp_gt_i64_e32 vcc, s[26:27], v[20:21]
	s_orn2_b64 s[14:15], vcc, exec
.LBB1565_48:
	s_or_b64 exec, exec, s[38:39]
.LBB1565_49:
	v_mul_lo_u32 v18, v7, s26
	v_mul_lo_u32 v19, v6, s27
	v_mad_u64_u32 v[12:13], s[6:7], v6, s26, 0
	v_add3_u32 v13, v13, v19, v18
	s_mov_b64 s[40:41], 0
	s_and_b64 vcc, exec, s[4:5]
	v_lshlrev_b64 v[12:13], 2, v[12:13]
	s_cbranch_vccnz .LBB1565_58
; %bb.50:
	v_mov_b32_e32 v19, s17
	v_add_co_u32_e32 v18, vcc, s16, v12
	v_addc_co_u32_e64 v19, s[6:7], v19, v13, vcc
	v_mov_b32_e32 v21, s17
	v_add_co_u32_e64 v20, s[6:7], s16, v16
	v_addc_co_u32_e64 v21, s[8:9], v21, v17, s[6:7]
	global_load_dword v16, v[18:19], off
	global_load_dword v28, v[20:21], off
	s_mov_b64 s[40:41], -1
	s_waitcnt vmcnt(0)
	v_cmp_eq_u32_e64 s[8:9], v16, v28
	s_and_saveexec_b64 s[38:39], s[8:9]
	s_cbranch_execz .LBB1565_57
; %bb.51:
	v_mov_b32_e32 v16, s17
	v_addc_co_u32_e64 v17, s[6:7], v17, v16, s[6:7]
	v_add_co_u32_e64 v16, s[6:7], 4, v20
	v_mov_b32_e32 v19, s17
	v_addc_co_u32_e64 v17, s[6:7], 0, v17, s[6:7]
	v_addc_co_u32_e32 v19, vcc, v13, v19, vcc
	v_add_co_u32_e32 v18, vcc, 4, v18
	s_add_u32 s6, s26, -1
	v_addc_co_u32_e32 v19, vcc, 0, v19, vcc
	s_addc_u32 s7, s27, -1
	s_mov_b64 s[8:9], 0
	s_mov_b64 s[42:43], 0
                                        ; implicit-def: $sgpr40_sgpr41
	s_branch .LBB1565_54
.LBB1565_52:                            ;   in Loop: Header=BB1565_54 Depth=1
	global_load_dword v20, v[18:19], off
	global_load_dword v21, v[16:17], off
	v_add_co_u32_e32 v16, vcc, 4, v16
	v_addc_co_u32_e32 v17, vcc, 0, v17, vcc
	v_add_co_u32_e32 v18, vcc, 4, v18
	v_addc_co_u32_e32 v19, vcc, 0, v19, vcc
	s_add_u32 s42, s42, 1
	s_addc_u32 s43, s43, 0
	s_andn2_b64 s[40:41], s[40:41], exec
	s_waitcnt vmcnt(0)
	v_cmp_ne_u32_e32 vcc, v20, v21
	s_and_b64 s[44:45], vcc, exec
	s_or_b64 s[40:41], s[40:41], s[44:45]
.LBB1565_53:                            ;   in Loop: Header=BB1565_54 Depth=1
	s_and_b64 s[44:45], exec, s[40:41]
	s_or_b64 s[8:9], s[44:45], s[8:9]
	v_pk_mov_b32 v[20:21], s[42:43], s[42:43] op_sel:[0,1]
	s_andn2_b64 exec, exec, s[8:9]
	s_cbranch_execz .LBB1565_56
.LBB1565_54:                            ; =>This Inner Loop Header: Depth=1
	s_or_b64 s[40:41], s[40:41], exec
	s_cmp_eq_u64 s[6:7], s[42:43]
	s_cbranch_scc0 .LBB1565_52
; %bb.55:                               ;   in Loop: Header=BB1565_54 Depth=1
                                        ; implicit-def: $vgpr16_vgpr17
                                        ; implicit-def: $vgpr18_vgpr19
	s_mov_b64 s[42:43], s[26:27]
	s_branch .LBB1565_53
.LBB1565_56:
	s_or_b64 exec, exec, s[8:9]
	v_cmp_gt_i64_e32 vcc, s[26:27], v[20:21]
	s_orn2_b64 s[40:41], vcc, exec
.LBB1565_57:
	s_or_b64 exec, exec, s[38:39]
.LBB1565_58:
	s_waitcnt vmcnt(0)
	v_pk_mov_b32 v[16:17], v[14:15], v[14:15] op_sel:[0,1]
	s_waitcnt lgkmcnt(0)
	s_barrier
	s_and_saveexec_b64 s[6:7], s[2:3]
	s_cbranch_execz .LBB1565_60
; %bb.59:
	v_add_u32_e32 v16, -8, v27
	ds_read_b64 v[16:17], v16
.LBB1565_60:
	s_or_b64 exec, exec, s[6:7]
	v_cndmask_b32_e64 v19, 0, 1, s[36:37]
	v_cndmask_b32_e64 v18, 0, 1, s[14:15]
	;; [unrolled: 1-line block ×3, first 2 shown]
	v_lshlrev_b16_e32 v19, 8, v19
	v_lshlrev_b16_e32 v28, 8, v20
	v_or_b32_sdwa v29, v18, v19 dst_sel:WORD_1 dst_unused:UNUSED_PAD src0_sel:DWORD src1_sel:DWORD
	s_mov_b64 s[14:15], 0
	s_and_b64 vcc, exec, s[4:5]
	s_mov_b64 s[36:37], 0
	s_cbranch_vccnz .LBB1565_69
; %bb.61:
	s_waitcnt lgkmcnt(0)
	v_mul_lo_u32 v18, v17, s26
	v_mul_lo_u32 v19, v16, s27
	v_mad_u64_u32 v[16:17], s[6:7], v16, s26, 0
	v_add3_u32 v17, v17, v19, v18
	v_lshlrev_b64 v[16:17], 2, v[16:17]
	v_mov_b32_e32 v19, s17
	v_add_co_u32_e32 v18, vcc, s16, v16
	v_addc_co_u32_e64 v19, s[6:7], v19, v17, vcc
	v_mov_b32_e32 v16, s17
	v_add_co_u32_e64 v20, s[6:7], s16, v12
	v_addc_co_u32_e64 v21, s[8:9], v16, v13, s[6:7]
	global_load_dword v12, v[18:19], off
	global_load_dword v16, v[20:21], off
	s_mov_b64 s[36:37], -1
	s_waitcnt vmcnt(0)
	v_cmp_eq_u32_e64 s[8:9], v12, v16
	s_and_saveexec_b64 s[38:39], s[8:9]
	s_cbranch_execz .LBB1565_68
; %bb.62:
	v_mov_b32_e32 v12, s17
	v_addc_co_u32_e64 v13, s[6:7], v13, v12, s[6:7]
	v_add_co_u32_e64 v12, s[6:7], 4, v20
	v_mov_b32_e32 v16, s17
	v_addc_co_u32_e64 v13, s[6:7], 0, v13, s[6:7]
	v_addc_co_u32_e32 v17, vcc, v17, v16, vcc
	v_add_co_u32_e32 v16, vcc, 4, v18
	s_add_u32 s6, s26, -1
	v_addc_co_u32_e32 v17, vcc, 0, v17, vcc
	s_addc_u32 s7, s27, -1
	s_mov_b64 s[8:9], 0
	s_mov_b64 s[40:41], 0
                                        ; implicit-def: $sgpr36_sgpr37
	s_branch .LBB1565_65
.LBB1565_63:                            ;   in Loop: Header=BB1565_65 Depth=1
	global_load_dword v18, v[16:17], off
	global_load_dword v19, v[12:13], off
	v_add_co_u32_e32 v12, vcc, 4, v12
	v_addc_co_u32_e32 v13, vcc, 0, v13, vcc
	v_add_co_u32_e32 v16, vcc, 4, v16
	v_addc_co_u32_e32 v17, vcc, 0, v17, vcc
	s_add_u32 s40, s40, 1
	s_addc_u32 s41, s41, 0
	s_andn2_b64 s[36:37], s[36:37], exec
	s_waitcnt vmcnt(0)
	v_cmp_ne_u32_e32 vcc, v18, v19
	s_and_b64 s[42:43], vcc, exec
	s_or_b64 s[36:37], s[36:37], s[42:43]
.LBB1565_64:                            ;   in Loop: Header=BB1565_65 Depth=1
	s_and_b64 s[42:43], exec, s[36:37]
	s_or_b64 s[8:9], s[42:43], s[8:9]
	v_pk_mov_b32 v[18:19], s[40:41], s[40:41] op_sel:[0,1]
	s_andn2_b64 exec, exec, s[8:9]
	s_cbranch_execz .LBB1565_67
.LBB1565_65:                            ; =>This Inner Loop Header: Depth=1
	s_or_b64 s[36:37], s[36:37], exec
	s_cmp_eq_u64 s[6:7], s[40:41]
	s_cbranch_scc0 .LBB1565_63
; %bb.66:                               ;   in Loop: Header=BB1565_65 Depth=1
                                        ; implicit-def: $vgpr12_vgpr13
                                        ; implicit-def: $vgpr16_vgpr17
	s_mov_b64 s[40:41], s[26:27]
	s_branch .LBB1565_64
.LBB1565_67:
	s_or_b64 exec, exec, s[8:9]
	v_cmp_gt_i64_e32 vcc, s[26:27], v[18:19]
	s_orn2_b64 s[36:37], vcc, exec
.LBB1565_68:
	s_or_b64 exec, exec, s[38:39]
.LBB1565_69:
	v_cndmask_b32_e64 v13, 0, 1, s[10:11]
	s_waitcnt lgkmcnt(0)
	v_or_b32_e32 v16, v28, v29
	s_and_b64 vcc, exec, s[14:15]
	s_cbranch_vccz .LBB1565_128
.LBB1565_70:
	v_cmp_gt_u32_e32 vcc, s48, v23
	s_mov_b64 s[14:15], 0
	s_mov_b64 s[10:11], 0
	s_and_saveexec_b64 s[36:37], vcc
	s_cbranch_execz .LBB1565_81
; %bb.71:
	s_and_b64 vcc, exec, s[4:5]
	s_mov_b64 s[38:39], 0
	s_cbranch_vccnz .LBB1565_80
; %bb.72:
	v_mul_lo_u32 v16, v5, s26
	v_mul_lo_u32 v17, v4, s27
	v_mad_u64_u32 v[12:13], s[6:7], v4, s26, 0
	v_add3_u32 v13, v13, v17, v16
	v_mul_lo_u32 v16, v11, s26
	v_mul_lo_u32 v17, v10, s27
	v_mad_u64_u32 v[20:21], s[6:7], v10, s26, 0
	v_add3_u32 v21, v21, v17, v16
	v_lshlrev_b64 v[16:17], 2, v[12:13]
	v_mov_b32_e32 v12, s17
	v_add_co_u32_e32 v18, vcc, s16, v16
	v_addc_co_u32_e64 v19, s[6:7], v12, v17, vcc
	v_lshlrev_b64 v[12:13], 2, v[20:21]
	v_mov_b32_e32 v16, s17
	v_add_co_u32_e64 v20, s[6:7], s16, v12
	v_addc_co_u32_e64 v21, s[8:9], v16, v13, s[6:7]
	global_load_dword v12, v[18:19], off
	global_load_dword v16, v[20:21], off
	s_mov_b64 s[38:39], -1
	s_waitcnt vmcnt(0)
	v_cmp_eq_u32_e64 s[8:9], v12, v16
	s_and_saveexec_b64 s[10:11], s[8:9]
	s_cbranch_execz .LBB1565_79
; %bb.73:
	v_mov_b32_e32 v12, s17
	v_addc_co_u32_e64 v13, s[6:7], v13, v12, s[6:7]
	v_add_co_u32_e64 v12, s[6:7], 4, v20
	v_mov_b32_e32 v16, s17
	v_addc_co_u32_e64 v13, s[6:7], 0, v13, s[6:7]
	v_addc_co_u32_e32 v17, vcc, v17, v16, vcc
	v_add_co_u32_e32 v16, vcc, 4, v18
	s_add_u32 s6, s26, -1
	v_addc_co_u32_e32 v17, vcc, 0, v17, vcc
	s_addc_u32 s7, s27, -1
	s_mov_b64 s[8:9], 0
	s_mov_b64 s[40:41], 0
                                        ; implicit-def: $sgpr38_sgpr39
	s_branch .LBB1565_76
.LBB1565_74:                            ;   in Loop: Header=BB1565_76 Depth=1
	global_load_dword v18, v[16:17], off
	global_load_dword v19, v[12:13], off
	v_add_co_u32_e32 v12, vcc, 4, v12
	v_addc_co_u32_e32 v13, vcc, 0, v13, vcc
	v_add_co_u32_e32 v16, vcc, 4, v16
	v_addc_co_u32_e32 v17, vcc, 0, v17, vcc
	s_add_u32 s40, s40, 1
	s_addc_u32 s41, s41, 0
	s_andn2_b64 s[38:39], s[38:39], exec
	s_waitcnt vmcnt(0)
	v_cmp_ne_u32_e32 vcc, v18, v19
	s_and_b64 s[42:43], vcc, exec
	s_or_b64 s[38:39], s[38:39], s[42:43]
.LBB1565_75:                            ;   in Loop: Header=BB1565_76 Depth=1
	s_and_b64 s[42:43], exec, s[38:39]
	s_or_b64 s[8:9], s[42:43], s[8:9]
	v_pk_mov_b32 v[18:19], s[40:41], s[40:41] op_sel:[0,1]
	s_andn2_b64 exec, exec, s[8:9]
	s_cbranch_execz .LBB1565_78
.LBB1565_76:                            ; =>This Inner Loop Header: Depth=1
	s_or_b64 s[38:39], s[38:39], exec
	s_cmp_eq_u64 s[6:7], s[40:41]
	s_cbranch_scc0 .LBB1565_74
; %bb.77:                               ;   in Loop: Header=BB1565_76 Depth=1
                                        ; implicit-def: $vgpr12_vgpr13
                                        ; implicit-def: $vgpr16_vgpr17
	s_mov_b64 s[40:41], s[26:27]
	s_branch .LBB1565_75
.LBB1565_78:
	s_or_b64 exec, exec, s[8:9]
	v_cmp_gt_i64_e32 vcc, s[26:27], v[18:19]
	s_orn2_b64 s[38:39], vcc, exec
.LBB1565_79:
	s_or_b64 exec, exec, s[10:11]
.LBB1565_80:
	s_and_b64 s[10:11], s[38:39], exec
.LBB1565_81:
	s_or_b64 exec, exec, s[36:37]
	v_cmp_gt_u32_e32 vcc, s48, v25
	s_and_saveexec_b64 s[36:37], vcc
	s_cbranch_execz .LBB1565_92
; %bb.82:
	s_and_b64 vcc, exec, s[4:5]
	s_mov_b64 s[38:39], 0
	s_cbranch_vccnz .LBB1565_91
; %bb.83:
	v_mul_lo_u32 v16, v3, s26
	v_mul_lo_u32 v17, v2, s27
	v_mad_u64_u32 v[12:13], s[6:7], v2, s26, 0
	v_add3_u32 v13, v13, v17, v16
	v_mul_lo_u32 v16, v5, s26
	v_mul_lo_u32 v17, v4, s27
	v_mad_u64_u32 v[20:21], s[6:7], v4, s26, 0
	v_add3_u32 v21, v21, v17, v16
	v_lshlrev_b64 v[16:17], 2, v[12:13]
	v_mov_b32_e32 v12, s17
	v_add_co_u32_e32 v18, vcc, s16, v16
	v_addc_co_u32_e64 v19, s[6:7], v12, v17, vcc
	v_lshlrev_b64 v[12:13], 2, v[20:21]
	v_mov_b32_e32 v16, s17
	v_add_co_u32_e64 v20, s[6:7], s16, v12
	v_addc_co_u32_e64 v21, s[8:9], v16, v13, s[6:7]
	global_load_dword v12, v[18:19], off
	global_load_dword v16, v[20:21], off
	s_mov_b64 s[38:39], -1
	s_waitcnt vmcnt(0)
	v_cmp_eq_u32_e64 s[8:9], v12, v16
	s_and_saveexec_b64 s[14:15], s[8:9]
	s_cbranch_execz .LBB1565_90
; %bb.84:
	v_mov_b32_e32 v12, s17
	v_addc_co_u32_e64 v13, s[6:7], v13, v12, s[6:7]
	v_add_co_u32_e64 v12, s[6:7], 4, v20
	v_mov_b32_e32 v16, s17
	v_addc_co_u32_e64 v13, s[6:7], 0, v13, s[6:7]
	v_addc_co_u32_e32 v17, vcc, v17, v16, vcc
	v_add_co_u32_e32 v16, vcc, 4, v18
	s_add_u32 s6, s26, -1
	v_addc_co_u32_e32 v17, vcc, 0, v17, vcc
	s_addc_u32 s7, s27, -1
	s_mov_b64 s[8:9], 0
	s_mov_b64 s[40:41], 0
                                        ; implicit-def: $sgpr38_sgpr39
	s_branch .LBB1565_87
.LBB1565_85:                            ;   in Loop: Header=BB1565_87 Depth=1
	global_load_dword v18, v[16:17], off
	global_load_dword v19, v[12:13], off
	v_add_co_u32_e32 v12, vcc, 4, v12
	v_addc_co_u32_e32 v13, vcc, 0, v13, vcc
	v_add_co_u32_e32 v16, vcc, 4, v16
	v_addc_co_u32_e32 v17, vcc, 0, v17, vcc
	s_add_u32 s40, s40, 1
	s_addc_u32 s41, s41, 0
	s_andn2_b64 s[38:39], s[38:39], exec
	s_waitcnt vmcnt(0)
	v_cmp_ne_u32_e32 vcc, v18, v19
	s_and_b64 s[42:43], vcc, exec
	s_or_b64 s[38:39], s[38:39], s[42:43]
.LBB1565_86:                            ;   in Loop: Header=BB1565_87 Depth=1
	s_and_b64 s[42:43], exec, s[38:39]
	s_or_b64 s[8:9], s[42:43], s[8:9]
	v_pk_mov_b32 v[18:19], s[40:41], s[40:41] op_sel:[0,1]
	s_andn2_b64 exec, exec, s[8:9]
	s_cbranch_execz .LBB1565_89
.LBB1565_87:                            ; =>This Inner Loop Header: Depth=1
	s_or_b64 s[38:39], s[38:39], exec
	s_cmp_eq_u64 s[6:7], s[40:41]
	s_cbranch_scc0 .LBB1565_85
; %bb.88:                               ;   in Loop: Header=BB1565_87 Depth=1
                                        ; implicit-def: $vgpr12_vgpr13
                                        ; implicit-def: $vgpr16_vgpr17
	s_mov_b64 s[40:41], s[26:27]
	s_branch .LBB1565_86
.LBB1565_89:
	s_or_b64 exec, exec, s[8:9]
	v_cmp_gt_i64_e32 vcc, s[26:27], v[18:19]
	s_orn2_b64 s[38:39], vcc, exec
.LBB1565_90:
	s_or_b64 exec, exec, s[14:15]
.LBB1565_91:
	s_and_b64 s[14:15], s[38:39], exec
.LBB1565_92:
	s_or_b64 exec, exec, s[36:37]
	v_cmp_gt_u32_e32 vcc, s48, v22
	s_mov_b64 s[36:37], 0
	s_mov_b64 s[38:39], 0
	s_and_saveexec_b64 s[40:41], vcc
	s_cbranch_execz .LBB1565_103
; %bb.93:
	s_and_b64 vcc, exec, s[4:5]
	s_mov_b64 s[42:43], 0
	s_cbranch_vccnz .LBB1565_102
; %bb.94:
	v_mul_lo_u32 v16, v9, s26
	v_mul_lo_u32 v17, v8, s27
	v_mad_u64_u32 v[12:13], s[6:7], v8, s26, 0
	v_add3_u32 v13, v13, v17, v16
	v_mul_lo_u32 v16, v3, s26
	v_mul_lo_u32 v17, v2, s27
	v_mad_u64_u32 v[20:21], s[6:7], v2, s26, 0
	v_add3_u32 v21, v21, v17, v16
	v_lshlrev_b64 v[16:17], 2, v[12:13]
	v_mov_b32_e32 v12, s17
	v_add_co_u32_e32 v18, vcc, s16, v16
	v_addc_co_u32_e64 v19, s[6:7], v12, v17, vcc
	v_lshlrev_b64 v[12:13], 2, v[20:21]
	v_mov_b32_e32 v16, s17
	v_add_co_u32_e64 v20, s[6:7], s16, v12
	v_addc_co_u32_e64 v21, s[8:9], v16, v13, s[6:7]
	global_load_dword v12, v[18:19], off
	global_load_dword v16, v[20:21], off
	s_mov_b64 s[42:43], -1
	s_waitcnt vmcnt(0)
	v_cmp_eq_u32_e64 s[8:9], v12, v16
	s_and_saveexec_b64 s[38:39], s[8:9]
	s_cbranch_execz .LBB1565_101
; %bb.95:
	v_mov_b32_e32 v12, s17
	v_addc_co_u32_e64 v13, s[6:7], v13, v12, s[6:7]
	v_add_co_u32_e64 v12, s[6:7], 4, v20
	v_mov_b32_e32 v16, s17
	v_addc_co_u32_e64 v13, s[6:7], 0, v13, s[6:7]
	v_addc_co_u32_e32 v17, vcc, v17, v16, vcc
	v_add_co_u32_e32 v16, vcc, 4, v18
	s_add_u32 s6, s26, -1
	v_addc_co_u32_e32 v17, vcc, 0, v17, vcc
	s_addc_u32 s7, s27, -1
	s_mov_b64 s[8:9], 0
	s_mov_b64 s[44:45], 0
                                        ; implicit-def: $sgpr42_sgpr43
	s_branch .LBB1565_98
.LBB1565_96:                            ;   in Loop: Header=BB1565_98 Depth=1
	global_load_dword v18, v[16:17], off
	global_load_dword v19, v[12:13], off
	v_add_co_u32_e32 v12, vcc, 4, v12
	v_addc_co_u32_e32 v13, vcc, 0, v13, vcc
	v_add_co_u32_e32 v16, vcc, 4, v16
	v_addc_co_u32_e32 v17, vcc, 0, v17, vcc
	s_add_u32 s44, s44, 1
	s_addc_u32 s45, s45, 0
	s_andn2_b64 s[42:43], s[42:43], exec
	s_waitcnt vmcnt(0)
	v_cmp_ne_u32_e32 vcc, v18, v19
	s_and_b64 s[46:47], vcc, exec
	s_or_b64 s[42:43], s[42:43], s[46:47]
.LBB1565_97:                            ;   in Loop: Header=BB1565_98 Depth=1
	s_and_b64 s[46:47], exec, s[42:43]
	s_or_b64 s[8:9], s[46:47], s[8:9]
	v_pk_mov_b32 v[18:19], s[44:45], s[44:45] op_sel:[0,1]
	s_andn2_b64 exec, exec, s[8:9]
	s_cbranch_execz .LBB1565_100
.LBB1565_98:                            ; =>This Inner Loop Header: Depth=1
	s_or_b64 s[42:43], s[42:43], exec
	s_cmp_eq_u64 s[6:7], s[44:45]
	s_cbranch_scc0 .LBB1565_96
; %bb.99:                               ;   in Loop: Header=BB1565_98 Depth=1
                                        ; implicit-def: $vgpr12_vgpr13
                                        ; implicit-def: $vgpr16_vgpr17
	s_mov_b64 s[44:45], s[26:27]
	s_branch .LBB1565_97
.LBB1565_100:
	s_or_b64 exec, exec, s[8:9]
	v_cmp_gt_i64_e32 vcc, s[26:27], v[18:19]
	s_orn2_b64 s[42:43], vcc, exec
.LBB1565_101:
	s_or_b64 exec, exec, s[38:39]
.LBB1565_102:
	s_and_b64 s[38:39], s[42:43], exec
.LBB1565_103:
	s_or_b64 exec, exec, s[40:41]
	v_cmp_gt_u32_e32 vcc, s48, v24
	s_and_saveexec_b64 s[40:41], vcc
	s_cbranch_execz .LBB1565_114
; %bb.104:
	s_and_b64 vcc, exec, s[4:5]
	s_mov_b64 s[42:43], 0
	s_cbranch_vccnz .LBB1565_113
; %bb.105:
	v_mul_lo_u32 v16, v7, s26
	v_mul_lo_u32 v17, v6, s27
	v_mad_u64_u32 v[12:13], s[6:7], v6, s26, 0
	v_add3_u32 v13, v13, v17, v16
	v_mul_lo_u32 v16, v9, s26
	v_mul_lo_u32 v17, v8, s27
	v_mad_u64_u32 v[20:21], s[6:7], v8, s26, 0
	v_add3_u32 v21, v21, v17, v16
	v_lshlrev_b64 v[16:17], 2, v[12:13]
	v_mov_b32_e32 v12, s17
	v_add_co_u32_e32 v18, vcc, s16, v16
	v_addc_co_u32_e64 v19, s[6:7], v12, v17, vcc
	v_lshlrev_b64 v[12:13], 2, v[20:21]
	v_mov_b32_e32 v16, s17
	v_add_co_u32_e64 v20, s[6:7], s16, v12
	v_addc_co_u32_e64 v21, s[8:9], v16, v13, s[6:7]
	global_load_dword v12, v[18:19], off
	global_load_dword v16, v[20:21], off
	s_mov_b64 s[42:43], -1
	s_waitcnt vmcnt(0)
	v_cmp_eq_u32_e64 s[8:9], v12, v16
	s_and_saveexec_b64 s[36:37], s[8:9]
	s_cbranch_execz .LBB1565_112
; %bb.106:
	v_mov_b32_e32 v12, s17
	v_addc_co_u32_e64 v13, s[6:7], v13, v12, s[6:7]
	v_add_co_u32_e64 v12, s[6:7], 4, v20
	v_mov_b32_e32 v16, s17
	v_addc_co_u32_e64 v13, s[6:7], 0, v13, s[6:7]
	v_addc_co_u32_e32 v17, vcc, v17, v16, vcc
	v_add_co_u32_e32 v16, vcc, 4, v18
	s_add_u32 s6, s26, -1
	v_addc_co_u32_e32 v17, vcc, 0, v17, vcc
	s_addc_u32 s7, s27, -1
	s_mov_b64 s[8:9], 0
	s_mov_b64 s[44:45], 0
                                        ; implicit-def: $sgpr42_sgpr43
	s_branch .LBB1565_109
.LBB1565_107:                           ;   in Loop: Header=BB1565_109 Depth=1
	global_load_dword v18, v[16:17], off
	global_load_dword v19, v[12:13], off
	v_add_co_u32_e32 v12, vcc, 4, v12
	v_addc_co_u32_e32 v13, vcc, 0, v13, vcc
	v_add_co_u32_e32 v16, vcc, 4, v16
	v_addc_co_u32_e32 v17, vcc, 0, v17, vcc
	s_add_u32 s44, s44, 1
	s_addc_u32 s45, s45, 0
	s_andn2_b64 s[42:43], s[42:43], exec
	s_waitcnt vmcnt(0)
	v_cmp_ne_u32_e32 vcc, v18, v19
	s_and_b64 s[46:47], vcc, exec
	s_or_b64 s[42:43], s[42:43], s[46:47]
.LBB1565_108:                           ;   in Loop: Header=BB1565_109 Depth=1
	s_and_b64 s[46:47], exec, s[42:43]
	s_or_b64 s[8:9], s[46:47], s[8:9]
	v_pk_mov_b32 v[18:19], s[44:45], s[44:45] op_sel:[0,1]
	s_andn2_b64 exec, exec, s[8:9]
	s_cbranch_execz .LBB1565_111
.LBB1565_109:                           ; =>This Inner Loop Header: Depth=1
	s_or_b64 s[42:43], s[42:43], exec
	s_cmp_eq_u64 s[6:7], s[44:45]
	s_cbranch_scc0 .LBB1565_107
; %bb.110:                              ;   in Loop: Header=BB1565_109 Depth=1
                                        ; implicit-def: $vgpr12_vgpr13
                                        ; implicit-def: $vgpr16_vgpr17
	s_mov_b64 s[44:45], s[26:27]
	s_branch .LBB1565_108
.LBB1565_111:
	s_or_b64 exec, exec, s[8:9]
	v_cmp_gt_i64_e32 vcc, s[26:27], v[18:19]
	s_orn2_b64 s[42:43], vcc, exec
.LBB1565_112:
	s_or_b64 exec, exec, s[36:37]
.LBB1565_113:
	s_and_b64 s[36:37], s[42:43], exec
.LBB1565_114:
	s_or_b64 exec, exec, s[40:41]
	s_waitcnt lgkmcnt(0)
	s_barrier
	s_and_saveexec_b64 s[6:7], s[2:3]
	s_cbranch_execz .LBB1565_116
; %bb.115:
	v_add_u32_e32 v12, -8, v27
	s_waitcnt vmcnt(0)
	ds_read_b64 v[14:15], v12
.LBB1565_116:
	s_or_b64 exec, exec, s[6:7]
	v_cndmask_b32_e64 v13, 0, 1, s[14:15]
	v_cndmask_b32_e64 v12, 0, 1, s[38:39]
	;; [unrolled: 1-line block ×3, first 2 shown]
	v_lshlrev_b16_e32 v13, 8, v13
	v_cmp_gt_u32_e32 vcc, s48, v1
	v_lshlrev_b16_e32 v20, 8, v16
	v_or_b32_sdwa v21, v12, v13 dst_sel:WORD_1 dst_unused:UNUSED_PAD src0_sel:DWORD src1_sel:DWORD
	s_mov_b64 s[36:37], 0
	s_and_saveexec_b64 s[8:9], vcc
	s_cbranch_execz .LBB1565_127
; %bb.117:
	s_and_b64 vcc, exec, s[4:5]
	s_cbranch_vccnz .LBB1565_126
; %bb.118:
	s_waitcnt vmcnt(0) lgkmcnt(0)
	v_mul_lo_u32 v15, v15, s26
	v_mul_lo_u32 v16, v14, s27
	v_mad_u64_u32 v[12:13], s[4:5], v14, s26, 0
	v_add3_u32 v13, v13, v16, v15
	v_mul_lo_u32 v14, v7, s26
	v_mul_lo_u32 v15, v6, s27
	v_mad_u64_u32 v[18:19], s[4:5], v6, s26, 0
	v_add3_u32 v19, v19, v15, v14
	v_lshlrev_b64 v[14:15], 2, v[12:13]
	v_mov_b32_e32 v12, s17
	v_add_co_u32_e32 v16, vcc, s16, v14
	v_addc_co_u32_e64 v17, s[4:5], v12, v15, vcc
	v_lshlrev_b64 v[12:13], 2, v[18:19]
	v_mov_b32_e32 v14, s17
	v_add_co_u32_e64 v18, s[4:5], s16, v12
	v_addc_co_u32_e64 v19, s[6:7], v14, v13, s[4:5]
	global_load_dword v12, v[16:17], off
	global_load_dword v14, v[18:19], off
	s_mov_b64 s[36:37], -1
	s_waitcnt vmcnt(0)
	v_cmp_eq_u32_e64 s[6:7], v12, v14
	s_and_saveexec_b64 s[14:15], s[6:7]
	s_cbranch_execz .LBB1565_125
; %bb.119:
	v_mov_b32_e32 v12, s17
	v_addc_co_u32_e64 v13, s[4:5], v13, v12, s[4:5]
	v_add_co_u32_e64 v12, s[4:5], 4, v18
	v_mov_b32_e32 v14, s17
	v_addc_co_u32_e64 v13, s[4:5], 0, v13, s[4:5]
	v_addc_co_u32_e32 v15, vcc, v15, v14, vcc
	v_add_co_u32_e32 v14, vcc, 4, v16
	s_add_u32 s4, s26, -1
	v_addc_co_u32_e32 v15, vcc, 0, v15, vcc
	s_addc_u32 s5, s27, -1
	s_mov_b64 s[6:7], 0
	s_mov_b64 s[38:39], 0
                                        ; implicit-def: $sgpr36_sgpr37
	s_branch .LBB1565_122
.LBB1565_120:                           ;   in Loop: Header=BB1565_122 Depth=1
	global_load_dword v16, v[14:15], off
	global_load_dword v17, v[12:13], off
	v_add_co_u32_e32 v12, vcc, 4, v12
	v_addc_co_u32_e32 v13, vcc, 0, v13, vcc
	v_add_co_u32_e32 v14, vcc, 4, v14
	v_addc_co_u32_e32 v15, vcc, 0, v15, vcc
	s_add_u32 s38, s38, 1
	s_addc_u32 s39, s39, 0
	s_andn2_b64 s[36:37], s[36:37], exec
	s_waitcnt vmcnt(0)
	v_cmp_ne_u32_e32 vcc, v16, v17
	s_and_b64 s[40:41], vcc, exec
	s_or_b64 s[36:37], s[36:37], s[40:41]
.LBB1565_121:                           ;   in Loop: Header=BB1565_122 Depth=1
	s_and_b64 s[40:41], exec, s[36:37]
	s_or_b64 s[6:7], s[40:41], s[6:7]
	v_pk_mov_b32 v[16:17], s[38:39], s[38:39] op_sel:[0,1]
	s_andn2_b64 exec, exec, s[6:7]
	s_cbranch_execz .LBB1565_124
.LBB1565_122:                           ; =>This Inner Loop Header: Depth=1
	s_or_b64 s[36:37], s[36:37], exec
	s_cmp_eq_u64 s[4:5], s[38:39]
	s_cbranch_scc0 .LBB1565_120
; %bb.123:                              ;   in Loop: Header=BB1565_122 Depth=1
                                        ; implicit-def: $vgpr12_vgpr13
                                        ; implicit-def: $vgpr14_vgpr15
	s_mov_b64 s[38:39], s[26:27]
	s_branch .LBB1565_121
.LBB1565_124:
	s_or_b64 exec, exec, s[6:7]
	v_cmp_gt_i64_e32 vcc, s[26:27], v[16:17]
	s_orn2_b64 s[36:37], vcc, exec
.LBB1565_125:
	s_or_b64 exec, exec, s[14:15]
.LBB1565_126:
	s_and_b64 s[36:37], s[36:37], exec
.LBB1565_127:
	s_or_b64 exec, exec, s[8:9]
	v_cndmask_b32_e64 v13, 0, 1, s[10:11]
	v_or_b32_e32 v16, v20, v21
.LBB1565_128:
	s_mov_b64 s[14:15], -1
	s_cbranch_execnz .LBB1565_237
.LBB1565_129:
	v_lshlrev_b32_e32 v12, 5, v0
	v_sub_u32_e32 v26, v26, v12
	s_mov_b64 s[36:37], 0
	v_cmp_gt_i64_e64 s[10:11], s[26:27], 0
	s_and_b64 vcc, exec, s[30:31]
	ds_write_b64 v26, v[10:11]
	s_cbranch_vccz .LBB1565_137
; %bb.130:
	s_waitcnt vmcnt(0) lgkmcnt(1)
	v_mul_lo_u32 v14, v5, s26
	v_mul_lo_u32 v15, v4, s27
	v_mad_u64_u32 v[12:13], s[4:5], v4, s26, 0
	v_add3_u32 v13, v13, v15, v14
	v_cndmask_b32_e64 v14, 0, 1, s[10:11]
	v_cmp_ne_u32_e64 s[4:5], 1, v14
	s_andn2_b64 vcc, exec, s[10:11]
	v_lshlrev_b64 v[12:13], 2, v[12:13]
	s_cbranch_vccnz .LBB1565_140
; %bb.131:
	v_mul_lo_u32 v16, v11, s26
	v_mul_lo_u32 v17, v10, s27
	v_mad_u64_u32 v[14:15], s[6:7], v10, s26, 0
	v_add3_u32 v15, v15, v17, v16
	v_mov_b32_e32 v17, s17
	v_add_co_u32_e32 v16, vcc, s16, v12
	v_addc_co_u32_e64 v17, s[6:7], v17, v13, vcc
	v_lshlrev_b64 v[14:15], 2, v[14:15]
	v_mov_b32_e32 v19, s17
	v_add_co_u32_e64 v18, s[6:7], s16, v14
	v_addc_co_u32_e64 v19, s[8:9], v19, v15, s[6:7]
	global_load_dword v14, v[16:17], off
	global_load_dword v20, v[18:19], off
	s_mov_b64 s[36:37], -1
	s_waitcnt vmcnt(0)
	v_cmp_eq_u32_e64 s[8:9], v14, v20
	s_and_saveexec_b64 s[38:39], s[8:9]
	s_cbranch_execz .LBB1565_139
; %bb.132:
	v_mov_b32_e32 v14, s17
	v_addc_co_u32_e64 v15, s[6:7], v15, v14, s[6:7]
	v_add_co_u32_e64 v14, s[6:7], 4, v18
	v_mov_b32_e32 v17, s17
	v_addc_co_u32_e64 v15, s[6:7], 0, v15, s[6:7]
	v_addc_co_u32_e32 v17, vcc, v13, v17, vcc
	v_add_co_u32_e32 v16, vcc, 4, v16
	s_add_u32 s6, s26, -1
	v_addc_co_u32_e32 v17, vcc, 0, v17, vcc
	s_addc_u32 s7, s27, -1
	s_mov_b64 s[8:9], 0
	s_mov_b64 s[40:41], 0
                                        ; implicit-def: $sgpr36_sgpr37
	s_branch .LBB1565_135
.LBB1565_133:                           ;   in Loop: Header=BB1565_135 Depth=1
	global_load_dword v18, v[16:17], off
	global_load_dword v19, v[14:15], off
	v_add_co_u32_e32 v14, vcc, 4, v14
	v_addc_co_u32_e32 v15, vcc, 0, v15, vcc
	v_add_co_u32_e32 v16, vcc, 4, v16
	v_addc_co_u32_e32 v17, vcc, 0, v17, vcc
	s_add_u32 s40, s40, 1
	s_addc_u32 s41, s41, 0
	s_andn2_b64 s[36:37], s[36:37], exec
	s_waitcnt vmcnt(0)
	v_cmp_ne_u32_e32 vcc, v18, v19
	s_and_b64 s[42:43], vcc, exec
	s_or_b64 s[36:37], s[36:37], s[42:43]
.LBB1565_134:                           ;   in Loop: Header=BB1565_135 Depth=1
	s_and_b64 s[42:43], exec, s[36:37]
	s_or_b64 s[8:9], s[42:43], s[8:9]
	v_pk_mov_b32 v[18:19], s[40:41], s[40:41] op_sel:[0,1]
	s_andn2_b64 exec, exec, s[8:9]
	s_cbranch_execz .LBB1565_138
.LBB1565_135:                           ; =>This Inner Loop Header: Depth=1
	s_or_b64 s[36:37], s[36:37], exec
	s_cmp_eq_u64 s[6:7], s[40:41]
	s_cbranch_scc0 .LBB1565_133
; %bb.136:                              ;   in Loop: Header=BB1565_135 Depth=1
                                        ; implicit-def: $vgpr14_vgpr15
                                        ; implicit-def: $vgpr16_vgpr17
	s_mov_b64 s[40:41], s[26:27]
	s_branch .LBB1565_134
.LBB1565_137:
                                        ; implicit-def: $sgpr36_sgpr37
                                        ; implicit-def: $vgpr13
                                        ; implicit-def: $vgpr16
	s_cbranch_execnz .LBB1565_179
	s_branch .LBB1565_237
.LBB1565_138:
	s_or_b64 exec, exec, s[8:9]
	v_cmp_gt_i64_e32 vcc, s[26:27], v[18:19]
	s_orn2_b64 s[36:37], vcc, exec
.LBB1565_139:
	s_or_b64 exec, exec, s[38:39]
.LBB1565_140:
	v_mul_lo_u32 v16, v3, s26
	v_mul_lo_u32 v17, v2, s27
	v_mad_u64_u32 v[14:15], s[6:7], v2, s26, 0
	v_add3_u32 v15, v15, v17, v16
	s_mov_b64 s[38:39], 0
	s_and_b64 vcc, exec, s[4:5]
	v_lshlrev_b64 v[14:15], 2, v[14:15]
	s_mov_b64 s[40:41], 0
	s_cbranch_vccnz .LBB1565_149
; %bb.141:
	v_mov_b32_e32 v17, s17
	v_add_co_u32_e32 v16, vcc, s16, v14
	v_addc_co_u32_e64 v17, s[6:7], v17, v15, vcc
	v_mov_b32_e32 v19, s17
	v_add_co_u32_e64 v18, s[6:7], s16, v12
	v_addc_co_u32_e64 v19, s[8:9], v19, v13, s[6:7]
	global_load_dword v12, v[16:17], off
	global_load_dword v20, v[18:19], off
	s_mov_b64 s[40:41], -1
	s_waitcnt vmcnt(0)
	v_cmp_eq_u32_e64 s[8:9], v12, v20
	s_and_saveexec_b64 s[42:43], s[8:9]
	s_cbranch_execz .LBB1565_148
; %bb.142:
	v_mov_b32_e32 v12, s17
	v_addc_co_u32_e64 v13, s[6:7], v13, v12, s[6:7]
	v_add_co_u32_e64 v12, s[6:7], 4, v18
	v_mov_b32_e32 v17, s17
	v_addc_co_u32_e64 v13, s[6:7], 0, v13, s[6:7]
	v_addc_co_u32_e32 v17, vcc, v15, v17, vcc
	v_add_co_u32_e32 v16, vcc, 4, v16
	s_add_u32 s6, s26, -1
	v_addc_co_u32_e32 v17, vcc, 0, v17, vcc
	s_addc_u32 s7, s27, -1
	s_mov_b64 s[8:9], 0
	s_mov_b64 s[44:45], 0
                                        ; implicit-def: $sgpr40_sgpr41
	s_branch .LBB1565_145
.LBB1565_143:                           ;   in Loop: Header=BB1565_145 Depth=1
	global_load_dword v18, v[16:17], off
	global_load_dword v19, v[12:13], off
	v_add_co_u32_e32 v12, vcc, 4, v12
	v_addc_co_u32_e32 v13, vcc, 0, v13, vcc
	v_add_co_u32_e32 v16, vcc, 4, v16
	v_addc_co_u32_e32 v17, vcc, 0, v17, vcc
	s_add_u32 s44, s44, 1
	s_addc_u32 s45, s45, 0
	s_andn2_b64 s[40:41], s[40:41], exec
	s_waitcnt vmcnt(0)
	v_cmp_ne_u32_e32 vcc, v18, v19
	s_and_b64 s[46:47], vcc, exec
	s_or_b64 s[40:41], s[40:41], s[46:47]
.LBB1565_144:                           ;   in Loop: Header=BB1565_145 Depth=1
	s_and_b64 s[46:47], exec, s[40:41]
	s_or_b64 s[8:9], s[46:47], s[8:9]
	v_pk_mov_b32 v[18:19], s[44:45], s[44:45] op_sel:[0,1]
	s_andn2_b64 exec, exec, s[8:9]
	s_cbranch_execz .LBB1565_147
.LBB1565_145:                           ; =>This Inner Loop Header: Depth=1
	s_or_b64 s[40:41], s[40:41], exec
	s_cmp_eq_u64 s[6:7], s[44:45]
	s_cbranch_scc0 .LBB1565_143
; %bb.146:                              ;   in Loop: Header=BB1565_145 Depth=1
                                        ; implicit-def: $vgpr12_vgpr13
                                        ; implicit-def: $vgpr16_vgpr17
	s_mov_b64 s[44:45], s[26:27]
	s_branch .LBB1565_144
.LBB1565_147:
	s_or_b64 exec, exec, s[8:9]
	v_cmp_gt_i64_e32 vcc, s[26:27], v[18:19]
	s_orn2_b64 s[40:41], vcc, exec
.LBB1565_148:
	s_or_b64 exec, exec, s[42:43]
.LBB1565_149:
	v_mul_lo_u32 v16, v9, s26
	v_mul_lo_u32 v17, v8, s27
	v_mad_u64_u32 v[12:13], s[6:7], v8, s26, 0
	v_add3_u32 v13, v13, v17, v16
	s_and_b64 vcc, exec, s[4:5]
	v_lshlrev_b64 v[12:13], 2, v[12:13]
	s_cbranch_vccnz .LBB1565_158
; %bb.150:
	v_mov_b32_e32 v17, s17
	v_add_co_u32_e32 v16, vcc, s16, v12
	v_addc_co_u32_e64 v17, s[6:7], v17, v13, vcc
	v_mov_b32_e32 v19, s17
	v_add_co_u32_e64 v18, s[6:7], s16, v14
	v_addc_co_u32_e64 v19, s[8:9], v19, v15, s[6:7]
	global_load_dword v14, v[16:17], off
	global_load_dword v20, v[18:19], off
	s_mov_b64 s[38:39], -1
	s_waitcnt vmcnt(0)
	v_cmp_eq_u32_e64 s[8:9], v14, v20
	s_and_saveexec_b64 s[42:43], s[8:9]
	s_cbranch_execz .LBB1565_157
; %bb.151:
	v_mov_b32_e32 v14, s17
	v_addc_co_u32_e64 v15, s[6:7], v15, v14, s[6:7]
	v_add_co_u32_e64 v14, s[6:7], 4, v18
	v_mov_b32_e32 v17, s17
	v_addc_co_u32_e64 v15, s[6:7], 0, v15, s[6:7]
	v_addc_co_u32_e32 v17, vcc, v13, v17, vcc
	v_add_co_u32_e32 v16, vcc, 4, v16
	s_add_u32 s6, s26, -1
	v_addc_co_u32_e32 v17, vcc, 0, v17, vcc
	s_addc_u32 s7, s27, -1
	s_mov_b64 s[8:9], 0
	s_mov_b64 s[44:45], 0
                                        ; implicit-def: $sgpr38_sgpr39
	s_branch .LBB1565_154
.LBB1565_152:                           ;   in Loop: Header=BB1565_154 Depth=1
	global_load_dword v18, v[16:17], off
	global_load_dword v19, v[14:15], off
	v_add_co_u32_e32 v14, vcc, 4, v14
	v_addc_co_u32_e32 v15, vcc, 0, v15, vcc
	v_add_co_u32_e32 v16, vcc, 4, v16
	v_addc_co_u32_e32 v17, vcc, 0, v17, vcc
	s_add_u32 s44, s44, 1
	s_addc_u32 s45, s45, 0
	s_andn2_b64 s[38:39], s[38:39], exec
	s_waitcnt vmcnt(0)
	v_cmp_ne_u32_e32 vcc, v18, v19
	s_and_b64 s[46:47], vcc, exec
	s_or_b64 s[38:39], s[38:39], s[46:47]
.LBB1565_153:                           ;   in Loop: Header=BB1565_154 Depth=1
	s_and_b64 s[46:47], exec, s[38:39]
	s_or_b64 s[8:9], s[46:47], s[8:9]
	v_pk_mov_b32 v[18:19], s[44:45], s[44:45] op_sel:[0,1]
	s_andn2_b64 exec, exec, s[8:9]
	s_cbranch_execz .LBB1565_156
.LBB1565_154:                           ; =>This Inner Loop Header: Depth=1
	s_or_b64 s[38:39], s[38:39], exec
	s_cmp_eq_u64 s[6:7], s[44:45]
	s_cbranch_scc0 .LBB1565_152
; %bb.155:                              ;   in Loop: Header=BB1565_154 Depth=1
                                        ; implicit-def: $vgpr14_vgpr15
                                        ; implicit-def: $vgpr16_vgpr17
	s_mov_b64 s[44:45], s[26:27]
	s_branch .LBB1565_153
.LBB1565_156:
	s_or_b64 exec, exec, s[8:9]
	v_cmp_gt_i64_e32 vcc, s[26:27], v[18:19]
	s_orn2_b64 s[38:39], vcc, exec
.LBB1565_157:
	s_or_b64 exec, exec, s[42:43]
.LBB1565_158:
	v_mul_lo_u32 v16, v7, s26
	v_mul_lo_u32 v17, v6, s27
	v_mad_u64_u32 v[14:15], s[6:7], v6, s26, 0
	v_add3_u32 v15, v15, v17, v16
	s_and_b64 vcc, exec, s[4:5]
	s_mov_b64 s[44:45], 0
	s_cbranch_vccnz .LBB1565_167
; %bb.159:
	v_lshlrev_b64 v[16:17], 2, v[14:15]
	v_mov_b32_e32 v19, s17
	v_add_co_u32_e32 v18, vcc, s16, v16
	v_addc_co_u32_e64 v19, s[6:7], v19, v17, vcc
	v_mov_b32_e32 v16, s17
	v_add_co_u32_e64 v20, s[6:7], s16, v12
	v_addc_co_u32_e64 v21, s[8:9], v16, v13, s[6:7]
	global_load_dword v12, v[18:19], off
	global_load_dword v16, v[20:21], off
	s_mov_b64 s[44:45], -1
	s_waitcnt vmcnt(0)
	v_cmp_eq_u32_e64 s[8:9], v12, v16
	s_and_saveexec_b64 s[42:43], s[8:9]
	s_cbranch_execz .LBB1565_166
; %bb.160:
	v_mov_b32_e32 v12, s17
	v_addc_co_u32_e64 v13, s[6:7], v13, v12, s[6:7]
	v_add_co_u32_e64 v12, s[6:7], 4, v20
	v_mov_b32_e32 v16, s17
	v_addc_co_u32_e64 v13, s[6:7], 0, v13, s[6:7]
	v_addc_co_u32_e32 v17, vcc, v17, v16, vcc
	v_add_co_u32_e32 v16, vcc, 4, v18
	s_add_u32 s6, s26, -1
	v_addc_co_u32_e32 v17, vcc, 0, v17, vcc
	s_addc_u32 s7, s27, -1
	s_mov_b64 s[8:9], 0
	s_mov_b64 s[46:47], 0
                                        ; implicit-def: $sgpr44_sgpr45
	s_branch .LBB1565_163
.LBB1565_161:                           ;   in Loop: Header=BB1565_163 Depth=1
	global_load_dword v18, v[16:17], off
	global_load_dword v19, v[12:13], off
	v_add_co_u32_e32 v12, vcc, 4, v12
	v_addc_co_u32_e32 v13, vcc, 0, v13, vcc
	v_add_co_u32_e32 v16, vcc, 4, v16
	v_addc_co_u32_e32 v17, vcc, 0, v17, vcc
	s_add_u32 s46, s46, 1
	s_addc_u32 s47, s47, 0
	s_andn2_b64 s[44:45], s[44:45], exec
	s_waitcnt vmcnt(0)
	v_cmp_ne_u32_e32 vcc, v18, v19
	s_and_b64 s[50:51], vcc, exec
	s_or_b64 s[44:45], s[44:45], s[50:51]
.LBB1565_162:                           ;   in Loop: Header=BB1565_163 Depth=1
	s_and_b64 s[50:51], exec, s[44:45]
	s_or_b64 s[8:9], s[50:51], s[8:9]
	v_pk_mov_b32 v[18:19], s[46:47], s[46:47] op_sel:[0,1]
	s_andn2_b64 exec, exec, s[8:9]
	s_cbranch_execz .LBB1565_165
.LBB1565_163:                           ; =>This Inner Loop Header: Depth=1
	s_or_b64 s[44:45], s[44:45], exec
	s_cmp_eq_u64 s[6:7], s[46:47]
	s_cbranch_scc0 .LBB1565_161
; %bb.164:                              ;   in Loop: Header=BB1565_163 Depth=1
                                        ; implicit-def: $vgpr12_vgpr13
                                        ; implicit-def: $vgpr16_vgpr17
	s_mov_b64 s[46:47], s[26:27]
	s_branch .LBB1565_162
.LBB1565_165:
	s_or_b64 exec, exec, s[8:9]
	v_cmp_gt_i64_e32 vcc, s[26:27], v[18:19]
	s_orn2_b64 s[44:45], vcc, exec
.LBB1565_166:
	s_or_b64 exec, exec, s[42:43]
.LBB1565_167:
	v_cndmask_b32_e64 v13, 0, 1, s[40:41]
	v_cndmask_b32_e64 v16, 0, 1, s[44:45]
	;; [unrolled: 1-line block ×3, first 2 shown]
	v_lshlrev_b16_e32 v16, 8, v16
	v_lshlrev_b16_e32 v13, 8, v13
	v_or_b32_e32 v16, 1, v16
	v_or_b32_sdwa v12, v12, v13 dst_sel:WORD_1 dst_unused:UNUSED_PAD src0_sel:DWORD src1_sel:DWORD
	v_or_b32_sdwa v12, v16, v12 dst_sel:DWORD dst_unused:UNUSED_PAD src0_sel:WORD_0 src1_sel:DWORD
	v_cndmask_b32_e64 v13, 0, 1, s[36:37]
	s_waitcnt lgkmcnt(0)
	s_barrier
	s_waitcnt lgkmcnt(0)
                                        ; implicit-def: $sgpr36_sgpr37
                                        ; implicit-def: $vgpr16
	s_and_saveexec_b64 s[6:7], s[2:3]
	s_xor_b64 s[8:9], exec, s[6:7]
	s_cbranch_execz .LBB1565_178
; %bb.168:
	s_mov_b32 s42, 0x3020104
	s_and_b64 vcc, exec, s[4:5]
	s_mov_b64 s[38:39], 0
	s_cbranch_vccnz .LBB1565_177
; %bb.169:
	v_add_u32_e32 v16, -8, v26
	ds_read_b64 v[16:17], v16
	v_mov_b32_e32 v19, s17
	v_lshlrev_b64 v[14:15], 2, v[14:15]
	s_mov_b64 s[38:39], -1
	s_waitcnt lgkmcnt(0)
	v_mul_lo_u32 v18, v17, s26
	v_mul_lo_u32 v20, v16, s27
	v_mad_u64_u32 v[16:17], s[4:5], v16, s26, 0
	v_add3_u32 v17, v17, v20, v18
	v_lshlrev_b64 v[16:17], 2, v[16:17]
	v_add_co_u32_e32 v18, vcc, s16, v16
	v_addc_co_u32_e64 v19, s[4:5], v19, v17, vcc
	v_mov_b32_e32 v16, s17
	v_add_co_u32_e64 v20, s[4:5], s16, v14
	v_addc_co_u32_e64 v21, s[6:7], v16, v15, s[4:5]
	global_load_dword v14, v[18:19], off
	global_load_dword v16, v[20:21], off
	s_waitcnt vmcnt(0)
	v_cmp_eq_u32_e64 s[6:7], v14, v16
	s_and_saveexec_b64 s[36:37], s[6:7]
	s_cbranch_execz .LBB1565_176
; %bb.170:
	v_mov_b32_e32 v14, s17
	v_addc_co_u32_e64 v15, s[4:5], v15, v14, s[4:5]
	v_add_co_u32_e64 v14, s[4:5], 4, v20
	v_mov_b32_e32 v16, s17
	v_addc_co_u32_e64 v15, s[4:5], 0, v15, s[4:5]
	v_addc_co_u32_e32 v17, vcc, v17, v16, vcc
	v_add_co_u32_e32 v16, vcc, 4, v18
	s_add_u32 s4, s26, -1
	v_addc_co_u32_e32 v17, vcc, 0, v17, vcc
	s_addc_u32 s5, s27, -1
	s_mov_b64 s[6:7], 0
	s_mov_b64 s[40:41], 0
                                        ; implicit-def: $sgpr38_sgpr39
	s_branch .LBB1565_173
.LBB1565_171:                           ;   in Loop: Header=BB1565_173 Depth=1
	global_load_dword v18, v[16:17], off
	global_load_dword v19, v[14:15], off
	v_add_co_u32_e32 v14, vcc, 4, v14
	v_addc_co_u32_e32 v15, vcc, 0, v15, vcc
	v_add_co_u32_e32 v16, vcc, 4, v16
	v_addc_co_u32_e32 v17, vcc, 0, v17, vcc
	s_add_u32 s40, s40, 1
	s_addc_u32 s41, s41, 0
	s_andn2_b64 s[38:39], s[38:39], exec
	s_waitcnt vmcnt(0)
	v_cmp_ne_u32_e32 vcc, v18, v19
	s_and_b64 s[44:45], vcc, exec
	s_or_b64 s[38:39], s[38:39], s[44:45]
.LBB1565_172:                           ;   in Loop: Header=BB1565_173 Depth=1
	s_and_b64 s[44:45], exec, s[38:39]
	s_or_b64 s[6:7], s[44:45], s[6:7]
	v_pk_mov_b32 v[18:19], s[40:41], s[40:41] op_sel:[0,1]
	s_andn2_b64 exec, exec, s[6:7]
	s_cbranch_execz .LBB1565_175
.LBB1565_173:                           ; =>This Inner Loop Header: Depth=1
	s_or_b64 s[38:39], s[38:39], exec
	s_cmp_eq_u64 s[4:5], s[40:41]
	s_cbranch_scc0 .LBB1565_171
; %bb.174:                              ;   in Loop: Header=BB1565_173 Depth=1
                                        ; implicit-def: $vgpr14_vgpr15
                                        ; implicit-def: $vgpr16_vgpr17
	s_mov_b64 s[40:41], s[26:27]
	s_branch .LBB1565_172
.LBB1565_175:
	s_or_b64 exec, exec, s[6:7]
	v_cmp_gt_i64_e32 vcc, s[26:27], v[18:19]
	s_orn2_b64 s[38:39], vcc, exec
.LBB1565_176:
	s_or_b64 exec, exec, s[36:37]
.LBB1565_177:
	v_perm_b32 v16, v12, v12, s42
	s_and_b64 s[36:37], s[38:39], exec
	s_or_b64 s[14:15], s[14:15], exec
.LBB1565_178:
	s_or_b64 exec, exec, s[8:9]
	s_branch .LBB1565_237
.LBB1565_179:
	v_cmp_gt_u32_e32 vcc, s48, v23
	s_mov_b64 s[36:37], 0
	s_mov_b64 s[8:9], 0
	s_and_saveexec_b64 s[38:39], vcc
	s_cbranch_execz .LBB1565_190
; %bb.180:
	s_andn2_b64 vcc, exec, s[10:11]
	s_mov_b64 s[40:41], 0
	s_cbranch_vccnz .LBB1565_189
; %bb.181:
	s_waitcnt vmcnt(0) lgkmcnt(1)
	v_mul_lo_u32 v14, v5, s26
	v_mul_lo_u32 v15, v4, s27
	v_mad_u64_u32 v[12:13], s[4:5], v4, s26, 0
	v_add3_u32 v13, v13, v15, v14
	v_mul_lo_u32 v14, v11, s26
	v_mul_lo_u32 v15, v10, s27
	v_mad_u64_u32 v[18:19], s[4:5], v10, s26, 0
	v_add3_u32 v19, v19, v15, v14
	v_lshlrev_b64 v[14:15], 2, v[12:13]
	v_mov_b32_e32 v12, s17
	v_add_co_u32_e32 v16, vcc, s16, v14
	v_addc_co_u32_e64 v17, s[4:5], v12, v15, vcc
	v_lshlrev_b64 v[12:13], 2, v[18:19]
	v_mov_b32_e32 v14, s17
	v_add_co_u32_e64 v18, s[4:5], s16, v12
	v_addc_co_u32_e64 v19, s[6:7], v14, v13, s[4:5]
	global_load_dword v12, v[16:17], off
	global_load_dword v14, v[18:19], off
	s_mov_b64 s[40:41], -1
	s_waitcnt vmcnt(0)
	v_cmp_eq_u32_e64 s[6:7], v12, v14
	s_and_saveexec_b64 s[8:9], s[6:7]
	s_cbranch_execz .LBB1565_188
; %bb.182:
	v_mov_b32_e32 v12, s17
	v_addc_co_u32_e64 v13, s[4:5], v13, v12, s[4:5]
	v_add_co_u32_e64 v12, s[4:5], 4, v18
	v_mov_b32_e32 v14, s17
	v_addc_co_u32_e64 v13, s[4:5], 0, v13, s[4:5]
	v_addc_co_u32_e32 v15, vcc, v15, v14, vcc
	v_add_co_u32_e32 v14, vcc, 4, v16
	s_add_u32 s4, s26, -1
	v_addc_co_u32_e32 v15, vcc, 0, v15, vcc
	s_addc_u32 s5, s27, -1
	s_mov_b64 s[6:7], 0
	s_mov_b64 s[42:43], 0
                                        ; implicit-def: $sgpr40_sgpr41
	s_branch .LBB1565_185
.LBB1565_183:                           ;   in Loop: Header=BB1565_185 Depth=1
	global_load_dword v16, v[14:15], off
	global_load_dword v17, v[12:13], off
	v_add_co_u32_e32 v12, vcc, 4, v12
	v_addc_co_u32_e32 v13, vcc, 0, v13, vcc
	v_add_co_u32_e32 v14, vcc, 4, v14
	v_addc_co_u32_e32 v15, vcc, 0, v15, vcc
	s_add_u32 s42, s42, 1
	s_addc_u32 s43, s43, 0
	s_andn2_b64 s[40:41], s[40:41], exec
	s_waitcnt vmcnt(0)
	v_cmp_ne_u32_e32 vcc, v16, v17
	s_and_b64 s[44:45], vcc, exec
	s_or_b64 s[40:41], s[40:41], s[44:45]
.LBB1565_184:                           ;   in Loop: Header=BB1565_185 Depth=1
	s_and_b64 s[44:45], exec, s[40:41]
	s_or_b64 s[6:7], s[44:45], s[6:7]
	v_pk_mov_b32 v[16:17], s[42:43], s[42:43] op_sel:[0,1]
	s_andn2_b64 exec, exec, s[6:7]
	s_cbranch_execz .LBB1565_187
.LBB1565_185:                           ; =>This Inner Loop Header: Depth=1
	s_or_b64 s[40:41], s[40:41], exec
	s_cmp_eq_u64 s[4:5], s[42:43]
	s_cbranch_scc0 .LBB1565_183
; %bb.186:                              ;   in Loop: Header=BB1565_185 Depth=1
                                        ; implicit-def: $vgpr12_vgpr13
                                        ; implicit-def: $vgpr14_vgpr15
	s_mov_b64 s[42:43], s[26:27]
	s_branch .LBB1565_184
.LBB1565_187:
	s_or_b64 exec, exec, s[6:7]
	v_cmp_gt_i64_e32 vcc, s[26:27], v[16:17]
	s_orn2_b64 s[40:41], vcc, exec
.LBB1565_188:
	s_or_b64 exec, exec, s[8:9]
.LBB1565_189:
	s_and_b64 s[8:9], s[40:41], exec
.LBB1565_190:
	s_or_b64 exec, exec, s[38:39]
	v_cmp_gt_u32_e32 vcc, s48, v25
	s_and_saveexec_b64 s[38:39], vcc
	s_cbranch_execz .LBB1565_201
; %bb.191:
	s_andn2_b64 vcc, exec, s[10:11]
	s_mov_b64 s[40:41], 0
	s_cbranch_vccnz .LBB1565_200
; %bb.192:
	s_waitcnt vmcnt(0) lgkmcnt(1)
	v_mul_lo_u32 v14, v3, s26
	v_mul_lo_u32 v15, v2, s27
	v_mad_u64_u32 v[12:13], s[4:5], v2, s26, 0
	v_add3_u32 v13, v13, v15, v14
	v_mul_lo_u32 v14, v5, s26
	v_mul_lo_u32 v15, v4, s27
	v_mad_u64_u32 v[18:19], s[4:5], v4, s26, 0
	v_add3_u32 v19, v19, v15, v14
	v_lshlrev_b64 v[14:15], 2, v[12:13]
	v_mov_b32_e32 v12, s17
	v_add_co_u32_e32 v16, vcc, s16, v14
	v_addc_co_u32_e64 v17, s[4:5], v12, v15, vcc
	v_lshlrev_b64 v[12:13], 2, v[18:19]
	v_mov_b32_e32 v14, s17
	v_add_co_u32_e64 v18, s[4:5], s16, v12
	v_addc_co_u32_e64 v19, s[6:7], v14, v13, s[4:5]
	global_load_dword v12, v[16:17], off
	global_load_dword v14, v[18:19], off
	s_mov_b64 s[40:41], -1
	s_waitcnt vmcnt(0)
	v_cmp_eq_u32_e64 s[6:7], v12, v14
	s_and_saveexec_b64 s[36:37], s[6:7]
	s_cbranch_execz .LBB1565_199
; %bb.193:
	v_mov_b32_e32 v12, s17
	v_addc_co_u32_e64 v13, s[4:5], v13, v12, s[4:5]
	v_add_co_u32_e64 v12, s[4:5], 4, v18
	v_mov_b32_e32 v14, s17
	v_addc_co_u32_e64 v13, s[4:5], 0, v13, s[4:5]
	v_addc_co_u32_e32 v15, vcc, v15, v14, vcc
	v_add_co_u32_e32 v14, vcc, 4, v16
	s_add_u32 s4, s26, -1
	v_addc_co_u32_e32 v15, vcc, 0, v15, vcc
	s_addc_u32 s5, s27, -1
	s_mov_b64 s[6:7], 0
	s_mov_b64 s[42:43], 0
                                        ; implicit-def: $sgpr40_sgpr41
	s_branch .LBB1565_196
.LBB1565_194:                           ;   in Loop: Header=BB1565_196 Depth=1
	global_load_dword v16, v[14:15], off
	global_load_dword v17, v[12:13], off
	v_add_co_u32_e32 v12, vcc, 4, v12
	v_addc_co_u32_e32 v13, vcc, 0, v13, vcc
	v_add_co_u32_e32 v14, vcc, 4, v14
	v_addc_co_u32_e32 v15, vcc, 0, v15, vcc
	s_add_u32 s42, s42, 1
	s_addc_u32 s43, s43, 0
	s_andn2_b64 s[40:41], s[40:41], exec
	s_waitcnt vmcnt(0)
	v_cmp_ne_u32_e32 vcc, v16, v17
	s_and_b64 s[44:45], vcc, exec
	s_or_b64 s[40:41], s[40:41], s[44:45]
.LBB1565_195:                           ;   in Loop: Header=BB1565_196 Depth=1
	s_and_b64 s[44:45], exec, s[40:41]
	s_or_b64 s[6:7], s[44:45], s[6:7]
	v_pk_mov_b32 v[16:17], s[42:43], s[42:43] op_sel:[0,1]
	s_andn2_b64 exec, exec, s[6:7]
	s_cbranch_execz .LBB1565_198
.LBB1565_196:                           ; =>This Inner Loop Header: Depth=1
	s_or_b64 s[40:41], s[40:41], exec
	s_cmp_eq_u64 s[4:5], s[42:43]
	s_cbranch_scc0 .LBB1565_194
; %bb.197:                              ;   in Loop: Header=BB1565_196 Depth=1
                                        ; implicit-def: $vgpr12_vgpr13
                                        ; implicit-def: $vgpr14_vgpr15
	s_mov_b64 s[42:43], s[26:27]
	s_branch .LBB1565_195
.LBB1565_198:
	s_or_b64 exec, exec, s[6:7]
	v_cmp_gt_i64_e32 vcc, s[26:27], v[16:17]
	s_orn2_b64 s[40:41], vcc, exec
.LBB1565_199:
	s_or_b64 exec, exec, s[36:37]
.LBB1565_200:
	s_and_b64 s[36:37], s[40:41], exec
.LBB1565_201:
	s_or_b64 exec, exec, s[38:39]
	v_cmp_gt_u32_e32 vcc, s48, v22
	s_mov_b64 s[38:39], 0
	s_mov_b64 s[40:41], 0
	s_and_saveexec_b64 s[42:43], vcc
	s_cbranch_execz .LBB1565_212
; %bb.202:
	s_andn2_b64 vcc, exec, s[10:11]
	s_mov_b64 s[44:45], 0
	s_cbranch_vccnz .LBB1565_211
; %bb.203:
	s_waitcnt vmcnt(0) lgkmcnt(1)
	v_mul_lo_u32 v14, v9, s26
	v_mul_lo_u32 v15, v8, s27
	v_mad_u64_u32 v[12:13], s[4:5], v8, s26, 0
	v_add3_u32 v13, v13, v15, v14
	v_mul_lo_u32 v14, v3, s26
	v_mul_lo_u32 v15, v2, s27
	v_mad_u64_u32 v[18:19], s[4:5], v2, s26, 0
	v_add3_u32 v19, v19, v15, v14
	v_lshlrev_b64 v[14:15], 2, v[12:13]
	v_mov_b32_e32 v12, s17
	v_add_co_u32_e32 v16, vcc, s16, v14
	v_addc_co_u32_e64 v17, s[4:5], v12, v15, vcc
	v_lshlrev_b64 v[12:13], 2, v[18:19]
	v_mov_b32_e32 v14, s17
	v_add_co_u32_e64 v18, s[4:5], s16, v12
	v_addc_co_u32_e64 v19, s[6:7], v14, v13, s[4:5]
	global_load_dword v12, v[16:17], off
	global_load_dword v14, v[18:19], off
	s_mov_b64 s[44:45], -1
	s_waitcnt vmcnt(0)
	v_cmp_eq_u32_e64 s[6:7], v12, v14
	s_and_saveexec_b64 s[40:41], s[6:7]
	s_cbranch_execz .LBB1565_210
; %bb.204:
	v_mov_b32_e32 v12, s17
	v_addc_co_u32_e64 v13, s[4:5], v13, v12, s[4:5]
	v_add_co_u32_e64 v12, s[4:5], 4, v18
	v_mov_b32_e32 v14, s17
	v_addc_co_u32_e64 v13, s[4:5], 0, v13, s[4:5]
	v_addc_co_u32_e32 v15, vcc, v15, v14, vcc
	v_add_co_u32_e32 v14, vcc, 4, v16
	s_add_u32 s4, s26, -1
	v_addc_co_u32_e32 v15, vcc, 0, v15, vcc
	s_addc_u32 s5, s27, -1
	s_mov_b64 s[6:7], 0
	s_mov_b64 s[46:47], 0
                                        ; implicit-def: $sgpr44_sgpr45
	s_branch .LBB1565_207
.LBB1565_205:                           ;   in Loop: Header=BB1565_207 Depth=1
	global_load_dword v16, v[14:15], off
	global_load_dword v17, v[12:13], off
	v_add_co_u32_e32 v12, vcc, 4, v12
	v_addc_co_u32_e32 v13, vcc, 0, v13, vcc
	v_add_co_u32_e32 v14, vcc, 4, v14
	v_addc_co_u32_e32 v15, vcc, 0, v15, vcc
	s_add_u32 s46, s46, 1
	s_addc_u32 s47, s47, 0
	s_andn2_b64 s[44:45], s[44:45], exec
	s_waitcnt vmcnt(0)
	v_cmp_ne_u32_e32 vcc, v16, v17
	s_and_b64 s[50:51], vcc, exec
	s_or_b64 s[44:45], s[44:45], s[50:51]
.LBB1565_206:                           ;   in Loop: Header=BB1565_207 Depth=1
	s_and_b64 s[50:51], exec, s[44:45]
	s_or_b64 s[6:7], s[50:51], s[6:7]
	v_pk_mov_b32 v[16:17], s[46:47], s[46:47] op_sel:[0,1]
	s_andn2_b64 exec, exec, s[6:7]
	s_cbranch_execz .LBB1565_209
.LBB1565_207:                           ; =>This Inner Loop Header: Depth=1
	s_or_b64 s[44:45], s[44:45], exec
	s_cmp_eq_u64 s[4:5], s[46:47]
	s_cbranch_scc0 .LBB1565_205
; %bb.208:                              ;   in Loop: Header=BB1565_207 Depth=1
                                        ; implicit-def: $vgpr12_vgpr13
                                        ; implicit-def: $vgpr14_vgpr15
	s_mov_b64 s[46:47], s[26:27]
	s_branch .LBB1565_206
.LBB1565_209:
	s_or_b64 exec, exec, s[6:7]
	v_cmp_gt_i64_e32 vcc, s[26:27], v[16:17]
	s_orn2_b64 s[44:45], vcc, exec
.LBB1565_210:
	s_or_b64 exec, exec, s[40:41]
.LBB1565_211:
	s_and_b64 s[40:41], s[44:45], exec
.LBB1565_212:
	s_or_b64 exec, exec, s[42:43]
	v_cmp_gt_u32_e32 vcc, s48, v24
	s_and_saveexec_b64 s[42:43], vcc
	s_cbranch_execz .LBB1565_223
; %bb.213:
	s_andn2_b64 vcc, exec, s[10:11]
	s_mov_b64 s[44:45], 0
	s_cbranch_vccnz .LBB1565_222
; %bb.214:
	s_waitcnt vmcnt(0) lgkmcnt(1)
	v_mul_lo_u32 v14, v7, s26
	v_mul_lo_u32 v15, v6, s27
	v_mad_u64_u32 v[12:13], s[4:5], v6, s26, 0
	v_add3_u32 v13, v13, v15, v14
	v_mul_lo_u32 v14, v9, s26
	v_mul_lo_u32 v15, v8, s27
	v_mad_u64_u32 v[18:19], s[4:5], v8, s26, 0
	v_add3_u32 v19, v19, v15, v14
	v_lshlrev_b64 v[14:15], 2, v[12:13]
	v_mov_b32_e32 v12, s17
	v_add_co_u32_e32 v16, vcc, s16, v14
	v_addc_co_u32_e64 v17, s[4:5], v12, v15, vcc
	v_lshlrev_b64 v[12:13], 2, v[18:19]
	v_mov_b32_e32 v14, s17
	v_add_co_u32_e64 v18, s[4:5], s16, v12
	v_addc_co_u32_e64 v19, s[6:7], v14, v13, s[4:5]
	global_load_dword v12, v[16:17], off
	global_load_dword v14, v[18:19], off
	s_mov_b64 s[44:45], -1
	s_waitcnt vmcnt(0)
	v_cmp_eq_u32_e64 s[6:7], v12, v14
	s_and_saveexec_b64 s[38:39], s[6:7]
	s_cbranch_execz .LBB1565_221
; %bb.215:
	v_mov_b32_e32 v12, s17
	v_addc_co_u32_e64 v13, s[4:5], v13, v12, s[4:5]
	v_add_co_u32_e64 v12, s[4:5], 4, v18
	v_mov_b32_e32 v14, s17
	v_addc_co_u32_e64 v13, s[4:5], 0, v13, s[4:5]
	v_addc_co_u32_e32 v15, vcc, v15, v14, vcc
	v_add_co_u32_e32 v14, vcc, 4, v16
	s_add_u32 s4, s26, -1
	v_addc_co_u32_e32 v15, vcc, 0, v15, vcc
	s_addc_u32 s5, s27, -1
	s_mov_b64 s[6:7], 0
	s_mov_b64 s[46:47], 0
                                        ; implicit-def: $sgpr44_sgpr45
	s_branch .LBB1565_218
.LBB1565_216:                           ;   in Loop: Header=BB1565_218 Depth=1
	global_load_dword v16, v[14:15], off
	global_load_dword v17, v[12:13], off
	v_add_co_u32_e32 v12, vcc, 4, v12
	v_addc_co_u32_e32 v13, vcc, 0, v13, vcc
	v_add_co_u32_e32 v14, vcc, 4, v14
	v_addc_co_u32_e32 v15, vcc, 0, v15, vcc
	s_add_u32 s46, s46, 1
	s_addc_u32 s47, s47, 0
	s_andn2_b64 s[44:45], s[44:45], exec
	s_waitcnt vmcnt(0)
	v_cmp_ne_u32_e32 vcc, v16, v17
	s_and_b64 s[50:51], vcc, exec
	s_or_b64 s[44:45], s[44:45], s[50:51]
.LBB1565_217:                           ;   in Loop: Header=BB1565_218 Depth=1
	s_and_b64 s[50:51], exec, s[44:45]
	s_or_b64 s[6:7], s[50:51], s[6:7]
	v_pk_mov_b32 v[16:17], s[46:47], s[46:47] op_sel:[0,1]
	s_andn2_b64 exec, exec, s[6:7]
	s_cbranch_execz .LBB1565_220
.LBB1565_218:                           ; =>This Inner Loop Header: Depth=1
	s_or_b64 s[44:45], s[44:45], exec
	s_cmp_eq_u64 s[4:5], s[46:47]
	s_cbranch_scc0 .LBB1565_216
; %bb.219:                              ;   in Loop: Header=BB1565_218 Depth=1
                                        ; implicit-def: $vgpr12_vgpr13
                                        ; implicit-def: $vgpr14_vgpr15
	s_mov_b64 s[46:47], s[26:27]
	s_branch .LBB1565_217
.LBB1565_220:
	s_or_b64 exec, exec, s[6:7]
	v_cmp_gt_i64_e32 vcc, s[26:27], v[16:17]
	s_orn2_b64 s[44:45], vcc, exec
.LBB1565_221:
	s_or_b64 exec, exec, s[38:39]
.LBB1565_222:
	s_and_b64 s[38:39], s[44:45], exec
.LBB1565_223:
	s_or_b64 exec, exec, s[42:43]
	v_cndmask_b32_e64 v13, 0, 1, s[36:37]
	s_waitcnt vmcnt(0) lgkmcnt(1)
	v_cndmask_b32_e64 v14, 0, 1, s[38:39]
	v_cndmask_b32_e64 v12, 0, 1, s[40:41]
	v_lshlrev_b16_e32 v14, 8, v14
	v_lshlrev_b16_e32 v13, 8, v13
	v_or_b32_e32 v14, 1, v14
	v_or_b32_sdwa v12, v12, v13 dst_sel:WORD_1 dst_unused:UNUSED_PAD src0_sel:DWORD src1_sel:DWORD
	v_or_b32_sdwa v12, v14, v12 dst_sel:DWORD dst_unused:UNUSED_PAD src0_sel:WORD_0 src1_sel:DWORD
	v_cndmask_b32_e64 v13, 0, 1, s[8:9]
	s_waitcnt lgkmcnt(0)
	s_barrier
	s_waitcnt lgkmcnt(0)
                                        ; implicit-def: $sgpr36_sgpr37
                                        ; implicit-def: $vgpr16
	s_and_saveexec_b64 s[6:7], s[2:3]
	s_cbranch_execz .LBB1565_236
; %bb.224:
	v_cmp_gt_u32_e32 vcc, s48, v1
	s_mov_b32 s38, 0x3020104
	s_mov_b64 s[2:3], 0
	s_and_saveexec_b64 s[8:9], vcc
	s_cbranch_execz .LBB1565_235
; %bb.225:
	s_andn2_b64 vcc, exec, s[10:11]
	s_mov_b64 s[36:37], 0
	s_cbranch_vccnz .LBB1565_234
; %bb.226:
	v_add_u32_e32 v14, -8, v26
	ds_read_b64 v[14:15], v14
	v_mul_lo_u32 v16, v7, s26
	v_mad_u64_u32 v[20:21], s[2:3], v6, s26, 0
	s_mov_b64 s[36:37], -1
	s_waitcnt lgkmcnt(0)
	v_mul_lo_u32 v17, v15, s26
	v_mul_lo_u32 v18, v14, s27
	v_mad_u64_u32 v[14:15], s[2:3], v14, s26, 0
	v_add3_u32 v15, v15, v18, v17
	v_mul_lo_u32 v17, v6, s27
	v_add3_u32 v21, v21, v17, v16
	v_lshlrev_b64 v[16:17], 2, v[14:15]
	v_mov_b32_e32 v14, s17
	v_add_co_u32_e32 v18, vcc, s16, v16
	v_addc_co_u32_e64 v19, s[2:3], v14, v17, vcc
	v_lshlrev_b64 v[14:15], 2, v[20:21]
	v_mov_b32_e32 v16, s17
	v_add_co_u32_e64 v20, s[2:3], s16, v14
	v_addc_co_u32_e64 v21, s[4:5], v16, v15, s[2:3]
	global_load_dword v14, v[18:19], off
	global_load_dword v16, v[20:21], off
	s_waitcnt vmcnt(0)
	v_cmp_eq_u32_e64 s[4:5], v14, v16
	s_and_saveexec_b64 s[10:11], s[4:5]
	s_cbranch_execz .LBB1565_233
; %bb.227:
	v_mov_b32_e32 v14, s17
	v_addc_co_u32_e64 v15, s[2:3], v15, v14, s[2:3]
	v_add_co_u32_e64 v14, s[2:3], 4, v20
	v_mov_b32_e32 v16, s17
	v_addc_co_u32_e64 v15, s[2:3], 0, v15, s[2:3]
	v_addc_co_u32_e32 v17, vcc, v17, v16, vcc
	v_add_co_u32_e32 v16, vcc, 4, v18
	s_add_u32 s2, s26, -1
	v_addc_co_u32_e32 v17, vcc, 0, v17, vcc
	s_addc_u32 s3, s27, -1
	s_mov_b64 s[4:5], 0
	s_mov_b64 s[36:37], 0
                                        ; implicit-def: $sgpr16_sgpr17
	s_branch .LBB1565_230
.LBB1565_228:                           ;   in Loop: Header=BB1565_230 Depth=1
	global_load_dword v18, v[16:17], off
	global_load_dword v19, v[14:15], off
	v_add_co_u32_e32 v14, vcc, 4, v14
	v_addc_co_u32_e32 v15, vcc, 0, v15, vcc
	v_add_co_u32_e32 v16, vcc, 4, v16
	v_addc_co_u32_e32 v17, vcc, 0, v17, vcc
	s_add_u32 s36, s36, 1
	s_addc_u32 s37, s37, 0
	s_andn2_b64 s[16:17], s[16:17], exec
	s_waitcnt vmcnt(0)
	v_cmp_ne_u32_e32 vcc, v18, v19
	s_and_b64 s[40:41], vcc, exec
	s_or_b64 s[16:17], s[16:17], s[40:41]
.LBB1565_229:                           ;   in Loop: Header=BB1565_230 Depth=1
	s_and_b64 s[40:41], exec, s[16:17]
	s_or_b64 s[4:5], s[40:41], s[4:5]
	v_pk_mov_b32 v[18:19], s[36:37], s[36:37] op_sel:[0,1]
	s_andn2_b64 exec, exec, s[4:5]
	s_cbranch_execz .LBB1565_232
.LBB1565_230:                           ; =>This Inner Loop Header: Depth=1
	s_or_b64 s[16:17], s[16:17], exec
	s_cmp_eq_u64 s[2:3], s[36:37]
	s_cbranch_scc0 .LBB1565_228
; %bb.231:                              ;   in Loop: Header=BB1565_230 Depth=1
                                        ; implicit-def: $vgpr14_vgpr15
                                        ; implicit-def: $vgpr16_vgpr17
	s_mov_b64 s[36:37], s[26:27]
	s_branch .LBB1565_229
.LBB1565_232:
	s_or_b64 exec, exec, s[4:5]
	v_cmp_gt_i64_e32 vcc, s[26:27], v[18:19]
	s_orn2_b64 s[36:37], vcc, exec
.LBB1565_233:
	s_or_b64 exec, exec, s[10:11]
.LBB1565_234:
	s_and_b64 s[2:3], s[36:37], exec
.LBB1565_235:
	s_or_b64 exec, exec, s[8:9]
	v_perm_b32 v16, v12, v12, s38
	s_and_b64 s[36:37], s[2:3], exec
	s_or_b64 s[14:15], s[14:15], exec
.LBB1565_236:
	s_or_b64 exec, exec, s[6:7]
.LBB1565_237:
	s_and_saveexec_b64 s[2:3], s[14:15]
	s_cbranch_execz .LBB1565_239
; %bb.238:
	s_waitcnt vmcnt(0) lgkmcnt(0)
	v_lshrrev_b32_e32 v14, 24, v16
	s_movk_i32 s4, 0xff
	v_lshlrev_b16_e32 v14, 8, v14
	v_and_b32_sdwa v15, v16, s4 dst_sel:DWORD dst_unused:UNUSED_PAD src0_sel:WORD_1 src1_sel:DWORD
	v_or_b32_sdwa v14, v15, v14 dst_sel:WORD_1 dst_unused:UNUSED_PAD src0_sel:DWORD src1_sel:DWORD
	v_mov_b32_e32 v15, 8
	v_cndmask_b32_e64 v12, 0, 1, s[36:37]
	v_lshrrev_b32_sdwa v15, v15, v16 dst_sel:BYTE_1 dst_unused:UNUSED_PAD src0_sel:DWORD src1_sel:DWORD
	v_or_b32_e32 v12, v12, v15
	s_mov_b32 s4, 0xffff
	v_or_b32_sdwa v12, v12, v14 dst_sel:DWORD dst_unused:UNUSED_PAD src0_sel:WORD_0 src1_sel:DWORD
	v_and_b32_sdwa v13, s4, v13 dst_sel:DWORD dst_unused:UNUSED_PAD src0_sel:DWORD src1_sel:BYTE_0
.LBB1565_239:
	s_or_b64 exec, exec, s[2:3]
	s_andn2_b64 vcc, exec, s[12:13]
	s_cbranch_vccnz .LBB1565_241
; %bb.240:
	v_cmp_gt_u32_e32 vcc, s48, v1
	v_cndmask_b32_e32 v1, 0, v12, vcc
	v_and_b32_e32 v1, 0xffff00ff, v1
	v_cmp_gt_u32_e64 s[2:3], s48, v24
	v_cndmask_b32_e64 v1, v1, v12, s[2:3]
	s_waitcnt vmcnt(0) lgkmcnt(0)
	v_lshrrev_b32_e32 v14, 24, v1
	s_mov_b32 s4, 0x40c0100
	v_perm_b32 v1, v14, v1, s4
	v_cmp_gt_u32_e64 s[4:5], s48, v22
	v_cmp_gt_u32_e64 s[6:7], s48, v25
	v_cndmask_b32_e64 v1, v1, v12, s[4:5]
	s_or_b64 s[4:5], s[6:7], s[4:5]
	s_or_b64 s[2:3], s[4:5], s[2:3]
	s_or_b64 vcc, s[2:3], vcc
	v_and_b32_e32 v1, 0xffffff, v1
	v_cndmask_b32_e32 v14, 0, v13, vcc
	v_cndmask_b32_e64 v1, v1, v12, s[6:7]
	v_and_b32_e32 v14, 0xffffff00, v14
	v_cmp_gt_u32_e32 vcc, s48, v23
	v_cndmask_b32_e32 v1, v1, v12, vcc
	v_cndmask_b32_e32 v12, v14, v13, vcc
	s_mov_b32 s2, 0x3020104
	v_and_b32_e32 v13, 0xff, v12
	v_perm_b32 v12, v1, v1, s2
.LBB1565_241:
	v_and_b32_e32 v1, 0xff, v12
	v_bfe_u32 v25, v12, 8, 8
	v_bfe_u32 v27, v12, 16, 8
	s_waitcnt vmcnt(0) lgkmcnt(0)
	v_alignbit_b32 v14, v13, v12, 24
	v_and_b32_e32 v28, 0xff, v14
	v_and_b32_e32 v14, 0xff, v13
	v_add3_u32 v15, v25, v1, v27
	v_add3_u32 v31, v15, v28, v14
	v_mbcnt_lo_u32_b32 v14, -1, 0
	v_mbcnt_hi_u32_b32 v29, -1, v14
	v_and_b32_e32 v14, 15, v29
	v_cmp_eq_u32_e64 s[14:15], 0, v14
	v_cmp_lt_u32_e64 s[12:13], 1, v14
	v_cmp_lt_u32_e64 s[10:11], 3, v14
	;; [unrolled: 1-line block ×3, first 2 shown]
	v_and_b32_e32 v14, 16, v29
	v_cmp_eq_u32_e64 s[6:7], 0, v14
	v_or_b32_e32 v14, 63, v0
	v_cmp_lt_u32_e64 s[2:3], 31, v29
	v_lshrrev_b32_e32 v30, 6, v0
	v_cmp_eq_u32_e64 s[4:5], v14, v0
	s_and_b64 vcc, exec, s[34:35]
	s_barrier
	s_cbranch_vccz .LBB1565_268
; %bb.242:
	v_mov_b32_dpp v14, v31 row_shr:1 row_mask:0xf bank_mask:0xf
	v_cndmask_b32_e64 v14, v14, 0, s[14:15]
	v_add_u32_e32 v14, v14, v31
	s_nop 1
	v_mov_b32_dpp v15, v14 row_shr:2 row_mask:0xf bank_mask:0xf
	v_cndmask_b32_e64 v15, 0, v15, s[12:13]
	v_add_u32_e32 v14, v14, v15
	s_nop 1
	;; [unrolled: 4-line block ×4, first 2 shown]
	v_mov_b32_dpp v15, v14 row_bcast:15 row_mask:0xf bank_mask:0xf
	v_cndmask_b32_e64 v15, v15, 0, s[6:7]
	v_add_u32_e32 v14, v14, v15
	s_nop 1
	v_mov_b32_dpp v15, v14 row_bcast:31 row_mask:0xf bank_mask:0xf
	v_cndmask_b32_e64 v15, 0, v15, s[2:3]
	v_add_u32_e32 v14, v14, v15
	s_and_saveexec_b64 s[16:17], s[4:5]
	s_cbranch_execz .LBB1565_244
; %bb.243:
	v_lshlrev_b32_e32 v15, 2, v30
	ds_write_b32 v15, v14
.LBB1565_244:
	s_or_b64 exec, exec, s[16:17]
	v_cmp_gt_u32_e32 vcc, 4, v0
	s_waitcnt lgkmcnt(0)
	s_barrier
	s_and_saveexec_b64 s[16:17], vcc
	s_cbranch_execz .LBB1565_246
; %bb.245:
	v_lshlrev_b32_e32 v15, 2, v0
	ds_read_b32 v16, v15
	v_and_b32_e32 v17, 3, v29
	v_cmp_ne_u32_e32 vcc, 0, v17
	s_waitcnt lgkmcnt(0)
	v_mov_b32_dpp v18, v16 row_shr:1 row_mask:0xf bank_mask:0xf
	v_cndmask_b32_e32 v18, 0, v18, vcc
	v_add_u32_e32 v16, v18, v16
	v_cmp_lt_u32_e32 vcc, 1, v17
	s_nop 0
	v_mov_b32_dpp v18, v16 row_shr:2 row_mask:0xf bank_mask:0xf
	v_cndmask_b32_e32 v17, 0, v18, vcc
	v_add_u32_e32 v16, v16, v17
	ds_write_b32 v15, v16
.LBB1565_246:
	s_or_b64 exec, exec, s[16:17]
	v_cmp_gt_u32_e32 vcc, 64, v0
	v_cmp_lt_u32_e64 s[16:17], 63, v0
	s_waitcnt lgkmcnt(0)
	s_barrier
	s_waitcnt lgkmcnt(0)
                                        ; implicit-def: $vgpr24
	s_and_saveexec_b64 s[26:27], s[16:17]
	s_cbranch_execz .LBB1565_248
; %bb.247:
	v_lshl_add_u32 v15, v30, 2, -4
	ds_read_b32 v24, v15
	s_waitcnt lgkmcnt(0)
	v_add_u32_e32 v14, v24, v14
.LBB1565_248:
	s_or_b64 exec, exec, s[26:27]
	v_add_u32_e32 v15, -1, v29
	v_and_b32_e32 v16, 64, v29
	v_cmp_lt_i32_e64 s[16:17], v15, v16
	v_cndmask_b32_e64 v15, v15, v29, s[16:17]
	v_lshlrev_b32_e32 v15, 2, v15
	ds_bpermute_b32 v26, v15, v14
	v_cmp_eq_u32_e64 s[16:17], 0, v29
	s_and_saveexec_b64 s[26:27], vcc
	s_cbranch_execz .LBB1565_267
; %bb.249:
	v_mov_b32_e32 v21, 0
	ds_read_b32 v14, v21 offset:12
	s_and_saveexec_b64 s[34:35], s[16:17]
	s_cbranch_execz .LBB1565_251
; %bb.250:
	s_add_i32 s36, s33, 64
	s_mov_b32 s37, 0
	s_lshl_b64 s[36:37], s[36:37], 3
	s_add_u32 s36, s18, s36
	v_mov_b32_e32 v15, 1
	s_addc_u32 s37, s19, s37
	s_waitcnt lgkmcnt(0)
	global_store_dwordx2 v21, v[14:15], s[36:37]
.LBB1565_251:
	s_or_b64 exec, exec, s[34:35]
	v_xad_u32 v16, v29, -1, s33
	v_add_u32_e32 v20, 64, v16
	v_lshlrev_b64 v[18:19], 3, v[20:21]
	v_mov_b32_e32 v15, s19
	v_add_co_u32_e32 v22, vcc, s18, v18
	v_addc_co_u32_e32 v23, vcc, v15, v19, vcc
	global_load_dwordx2 v[18:19], v[22:23], off glc
	s_waitcnt vmcnt(0)
	v_cmp_eq_u16_sdwa s[36:37], v19, v21 src0_sel:BYTE_0 src1_sel:DWORD
	s_and_saveexec_b64 s[34:35], s[36:37]
	s_cbranch_execz .LBB1565_255
; %bb.252:
	s_mov_b64 s[36:37], 0
	v_mov_b32_e32 v15, 0
.LBB1565_253:                           ; =>This Inner Loop Header: Depth=1
	global_load_dwordx2 v[18:19], v[22:23], off glc
	s_waitcnt vmcnt(0)
	v_cmp_ne_u16_sdwa s[38:39], v19, v15 src0_sel:BYTE_0 src1_sel:DWORD
	s_or_b64 s[36:37], s[38:39], s[36:37]
	s_andn2_b64 exec, exec, s[36:37]
	s_cbranch_execnz .LBB1565_253
; %bb.254:
	s_or_b64 exec, exec, s[36:37]
.LBB1565_255:
	s_or_b64 exec, exec, s[34:35]
	v_and_b32_e32 v32, 63, v29
	v_mov_b32_e32 v15, 2
	v_cmp_ne_u32_e32 vcc, 63, v32
	v_cmp_eq_u16_sdwa s[34:35], v19, v15 src0_sel:BYTE_0 src1_sel:DWORD
	v_lshlrev_b64 v[20:21], v29, -1
	v_addc_co_u32_e32 v23, vcc, 0, v29, vcc
	v_and_b32_e32 v17, s35, v21
	v_lshlrev_b32_e32 v33, 2, v23
	v_or_b32_e32 v17, 0x80000000, v17
	ds_bpermute_b32 v23, v33, v18
	v_and_b32_e32 v22, s34, v20
	v_ffbl_b32_e32 v17, v17
	v_add_u32_e32 v17, 32, v17
	v_ffbl_b32_e32 v22, v22
	v_min_u32_e32 v17, v22, v17
	v_cmp_lt_u32_e32 vcc, v32, v17
	s_waitcnt lgkmcnt(0)
	v_cndmask_b32_e32 v22, 0, v23, vcc
	v_cmp_gt_u32_e32 vcc, 62, v32
	v_add_u32_e32 v18, v22, v18
	v_cndmask_b32_e64 v22, 0, 1, vcc
	v_lshlrev_b32_e32 v22, 1, v22
	v_add_lshl_u32 v34, v22, v29, 2
	ds_bpermute_b32 v22, v34, v18
	v_add_u32_e32 v35, 2, v32
	v_cmp_le_u32_e32 vcc, v35, v17
	v_add_u32_e32 v37, 4, v32
	v_add_u32_e32 v39, 8, v32
	s_waitcnt lgkmcnt(0)
	v_cndmask_b32_e32 v22, 0, v22, vcc
	v_cmp_gt_u32_e32 vcc, 60, v32
	v_add_u32_e32 v18, v18, v22
	v_cndmask_b32_e64 v22, 0, 1, vcc
	v_lshlrev_b32_e32 v22, 2, v22
	v_add_lshl_u32 v36, v22, v29, 2
	ds_bpermute_b32 v22, v36, v18
	v_cmp_le_u32_e32 vcc, v37, v17
	v_add_u32_e32 v42, 16, v32
	v_add_u32_e32 v44, 32, v32
	s_waitcnt lgkmcnt(0)
	v_cndmask_b32_e32 v22, 0, v22, vcc
	v_cmp_gt_u32_e32 vcc, 56, v32
	v_add_u32_e32 v18, v18, v22
	v_cndmask_b32_e64 v22, 0, 1, vcc
	v_lshlrev_b32_e32 v22, 3, v22
	v_add_lshl_u32 v38, v22, v29, 2
	ds_bpermute_b32 v22, v38, v18
	v_cmp_le_u32_e32 vcc, v39, v17
	s_waitcnt lgkmcnt(0)
	v_cndmask_b32_e32 v22, 0, v22, vcc
	v_cmp_gt_u32_e32 vcc, 48, v32
	v_add_u32_e32 v18, v18, v22
	v_cndmask_b32_e64 v22, 0, 1, vcc
	v_lshlrev_b32_e32 v22, 4, v22
	v_add_lshl_u32 v41, v22, v29, 2
	ds_bpermute_b32 v22, v41, v18
	v_cmp_le_u32_e32 vcc, v42, v17
	;; [unrolled: 9-line block ×3, first 2 shown]
	s_waitcnt lgkmcnt(0)
	v_cndmask_b32_e32 v17, 0, v22, vcc
	v_add_u32_e32 v18, v18, v17
	v_mov_b32_e32 v17, 0
	s_branch .LBB1565_257
.LBB1565_256:                           ;   in Loop: Header=BB1565_257 Depth=1
	s_or_b64 exec, exec, s[34:35]
	v_cmp_eq_u16_sdwa s[34:35], v19, v15 src0_sel:BYTE_0 src1_sel:DWORD
	v_and_b32_e32 v22, s35, v21
	v_or_b32_e32 v22, 0x80000000, v22
	ds_bpermute_b32 v45, v33, v18
	v_and_b32_e32 v23, s34, v20
	v_ffbl_b32_e32 v22, v22
	v_add_u32_e32 v22, 32, v22
	v_ffbl_b32_e32 v23, v23
	v_min_u32_e32 v22, v23, v22
	v_cmp_lt_u32_e32 vcc, v32, v22
	s_waitcnt lgkmcnt(0)
	v_cndmask_b32_e32 v23, 0, v45, vcc
	v_add_u32_e32 v18, v23, v18
	ds_bpermute_b32 v23, v34, v18
	v_cmp_le_u32_e32 vcc, v35, v22
	v_subrev_u32_e32 v16, 64, v16
	s_waitcnt lgkmcnt(0)
	v_cndmask_b32_e32 v23, 0, v23, vcc
	v_add_u32_e32 v18, v18, v23
	ds_bpermute_b32 v23, v36, v18
	v_cmp_le_u32_e32 vcc, v37, v22
	s_waitcnt lgkmcnt(0)
	v_cndmask_b32_e32 v23, 0, v23, vcc
	v_add_u32_e32 v18, v18, v23
	ds_bpermute_b32 v23, v38, v18
	v_cmp_le_u32_e32 vcc, v39, v22
	;; [unrolled: 5-line block ×4, first 2 shown]
	s_waitcnt lgkmcnt(0)
	v_cndmask_b32_e32 v22, 0, v23, vcc
	v_add3_u32 v18, v22, v40, v18
.LBB1565_257:                           ; =>This Loop Header: Depth=1
                                        ;     Child Loop BB1565_260 Depth 2
	v_cmp_ne_u16_sdwa s[34:35], v19, v15 src0_sel:BYTE_0 src1_sel:DWORD
	v_cndmask_b32_e64 v19, 0, 1, s[34:35]
	;;#ASMSTART
	;;#ASMEND
	v_cmp_ne_u32_e32 vcc, 0, v19
	s_cmp_lg_u64 vcc, exec
	v_mov_b32_e32 v40, v18
	s_cbranch_scc1 .LBB1565_262
; %bb.258:                              ;   in Loop: Header=BB1565_257 Depth=1
	v_lshlrev_b64 v[18:19], 3, v[16:17]
	v_mov_b32_e32 v23, s19
	v_add_co_u32_e32 v22, vcc, s18, v18
	v_addc_co_u32_e32 v23, vcc, v23, v19, vcc
	global_load_dwordx2 v[18:19], v[22:23], off glc
	s_waitcnt vmcnt(0)
	v_cmp_eq_u16_sdwa s[36:37], v19, v17 src0_sel:BYTE_0 src1_sel:DWORD
	s_and_saveexec_b64 s[34:35], s[36:37]
	s_cbranch_execz .LBB1565_256
; %bb.259:                              ;   in Loop: Header=BB1565_257 Depth=1
	s_mov_b64 s[36:37], 0
.LBB1565_260:                           ;   Parent Loop BB1565_257 Depth=1
                                        ; =>  This Inner Loop Header: Depth=2
	global_load_dwordx2 v[18:19], v[22:23], off glc
	s_waitcnt vmcnt(0)
	v_cmp_ne_u16_sdwa s[38:39], v19, v17 src0_sel:BYTE_0 src1_sel:DWORD
	s_or_b64 s[36:37], s[38:39], s[36:37]
	s_andn2_b64 exec, exec, s[36:37]
	s_cbranch_execnz .LBB1565_260
; %bb.261:                              ;   in Loop: Header=BB1565_257 Depth=1
	s_or_b64 exec, exec, s[36:37]
	s_branch .LBB1565_256
.LBB1565_262:                           ;   in Loop: Header=BB1565_257 Depth=1
                                        ; implicit-def: $vgpr18
                                        ; implicit-def: $vgpr19
	s_cbranch_execz .LBB1565_257
; %bb.263:
	s_and_saveexec_b64 s[34:35], s[16:17]
	s_cbranch_execz .LBB1565_265
; %bb.264:
	s_add_i32 s36, s33, 64
	s_mov_b32 s37, 0
	s_lshl_b64 s[36:37], s[36:37], 3
	s_add_u32 s36, s18, s36
	v_add_u32_e32 v16, v40, v14
	v_mov_b32_e32 v17, 2
	s_addc_u32 s37, s19, s37
	v_mov_b32_e32 v15, 0
	s_movk_i32 s33, 0x2800
	global_store_dwordx2 v15, v[16:17], s[36:37]
	v_add_u32_e64 v15, s33, 0
	ds_write2_b32 v15, v14, v40 offset1:2
.LBB1565_265:
	s_or_b64 exec, exec, s[34:35]
	s_and_b64 exec, exec, s[0:1]
	s_cbranch_execz .LBB1565_267
; %bb.266:
	v_mov_b32_e32 v14, 0
	ds_write_b32 v14, v40 offset:12
.LBB1565_267:
	s_or_b64 exec, exec, s[26:27]
	v_mov_b32_e32 v14, 0
	s_waitcnt lgkmcnt(0)
	s_barrier
	ds_read_b32 v14, v14 offset:12
	v_cndmask_b32_e64 v15, v26, v24, s[16:17]
	v_cndmask_b32_e64 v15, v15, 0, s[0:1]
	s_movk_i32 s16, 0x2800
	s_waitcnt lgkmcnt(0)
	v_add_u32_e32 v26, v14, v15
	v_add_u32_e64 v14, s16, 0
	s_barrier
	ds_read2_b32 v[14:15], v14 offset1:2
	v_add_u32_e32 v24, v26, v1
	v_add_u32_e32 v22, v24, v25
	;; [unrolled: 1-line block ×4, first 2 shown]
	v_lshrrev_b64 v[16:17], 24, v[12:13]
	s_branch .LBB1565_278
.LBB1565_268:
                                        ; implicit-def: $vgpr18
                                        ; implicit-def: $vgpr20
                                        ; implicit-def: $vgpr22
                                        ; implicit-def: $vgpr24
                                        ; implicit-def: $vgpr26
                                        ; implicit-def: $vgpr15
	v_lshrrev_b64 v[16:17], 24, v[12:13]
	s_cbranch_execz .LBB1565_278
; %bb.269:
	s_waitcnt lgkmcnt(0)
	v_mov_b32_dpp v14, v31 row_shr:1 row_mask:0xf bank_mask:0xf
	v_cndmask_b32_e64 v14, v14, 0, s[14:15]
	v_add_u32_e32 v14, v14, v31
	s_nop 1
	v_mov_b32_dpp v15, v14 row_shr:2 row_mask:0xf bank_mask:0xf
	v_cndmask_b32_e64 v15, 0, v15, s[12:13]
	v_add_u32_e32 v14, v14, v15
	s_nop 1
	;; [unrolled: 4-line block ×4, first 2 shown]
	v_mov_b32_dpp v15, v14 row_bcast:15 row_mask:0xf bank_mask:0xf
	v_cndmask_b32_e64 v15, v15, 0, s[6:7]
	v_add_u32_e32 v14, v14, v15
	s_nop 1
	v_mov_b32_dpp v15, v14 row_bcast:31 row_mask:0xf bank_mask:0xf
	v_cndmask_b32_e64 v15, 0, v15, s[2:3]
	v_add_u32_e32 v14, v14, v15
	s_and_saveexec_b64 s[2:3], s[4:5]
	s_cbranch_execz .LBB1565_271
; %bb.270:
	v_lshlrev_b32_e32 v15, 2, v30
	ds_write_b32 v15, v14
.LBB1565_271:
	s_or_b64 exec, exec, s[2:3]
	v_cmp_gt_u32_e32 vcc, 4, v0
	s_waitcnt lgkmcnt(0)
	s_barrier
	s_and_saveexec_b64 s[2:3], vcc
	s_cbranch_execz .LBB1565_273
; %bb.272:
	v_lshlrev_b32_e32 v15, 2, v0
	ds_read_b32 v17, v15
	v_and_b32_e32 v18, 3, v29
	v_cmp_ne_u32_e32 vcc, 0, v18
	s_waitcnt lgkmcnt(0)
	v_mov_b32_dpp v19, v17 row_shr:1 row_mask:0xf bank_mask:0xf
	v_cndmask_b32_e32 v19, 0, v19, vcc
	v_add_u32_e32 v17, v19, v17
	v_cmp_lt_u32_e32 vcc, 1, v18
	s_nop 0
	v_mov_b32_dpp v19, v17 row_shr:2 row_mask:0xf bank_mask:0xf
	v_cndmask_b32_e32 v18, 0, v19, vcc
	v_add_u32_e32 v17, v17, v18
	ds_write_b32 v15, v17
.LBB1565_273:
	s_or_b64 exec, exec, s[2:3]
	v_cmp_lt_u32_e32 vcc, 63, v0
	v_mov_b32_e32 v15, 0
	v_mov_b32_e32 v17, 0
	s_waitcnt lgkmcnt(0)
	s_barrier
	s_and_saveexec_b64 s[2:3], vcc
	s_cbranch_execz .LBB1565_275
; %bb.274:
	v_lshl_add_u32 v17, v30, 2, -4
	ds_read_b32 v17, v17
.LBB1565_275:
	s_or_b64 exec, exec, s[2:3]
	v_add_u32_e32 v18, -1, v29
	v_and_b32_e32 v19, 64, v29
	v_cmp_lt_i32_e32 vcc, v18, v19
	v_cndmask_b32_e32 v18, v18, v29, vcc
	s_waitcnt lgkmcnt(0)
	v_add_u32_e32 v14, v17, v14
	v_lshlrev_b32_e32 v18, 2, v18
	ds_bpermute_b32 v18, v18, v14
	ds_read_b32 v14, v15 offset:12
	s_and_saveexec_b64 s[2:3], s[0:1]
	s_cbranch_execz .LBB1565_277
; %bb.276:
	v_mov_b32_e32 v19, 0
	v_mov_b32_e32 v15, 2
	s_waitcnt lgkmcnt(0)
	global_store_dwordx2 v19, v[14:15], s[18:19] offset:512
.LBB1565_277:
	s_or_b64 exec, exec, s[2:3]
	v_cmp_eq_u32_e32 vcc, 0, v29
	s_waitcnt lgkmcnt(1)
	v_cndmask_b32_e32 v17, v18, v17, vcc
	v_cndmask_b32_e64 v26, v17, 0, s[0:1]
	v_add_u32_e32 v24, v26, v1
	v_add_u32_e32 v22, v24, v25
	;; [unrolled: 1-line block ×3, first 2 shown]
	v_mov_b32_e32 v15, 0
	v_add_u32_e32 v18, v20, v28
	s_waitcnt lgkmcnt(0)
	s_barrier
.LBB1565_278:
	s_movk_i32 s2, 0x101
	s_waitcnt lgkmcnt(0)
	v_cmp_gt_u32_e32 vcc, s2, v14
	v_lshrrev_b32_e32 v1, 8, v12
	s_mov_b64 s[2:3], -1
	s_cbranch_vccnz .LBB1565_282
; %bb.279:
	s_and_b64 vcc, exec, s[2:3]
	s_cbranch_vccnz .LBB1565_298
.LBB1565_280:
	s_and_b64 s[0:1], s[0:1], s[24:25]
	s_and_saveexec_b64 s[2:3], s[0:1]
	s_cbranch_execnz .LBB1565_312
.LBB1565_281:
	s_endpgm
.LBB1565_282:
	v_add_u32_e32 v17, v15, v14
	v_cmp_lt_u32_e32 vcc, v26, v17
	s_or_b64 s[4:5], s[30:31], vcc
	s_and_saveexec_b64 s[2:3], s[4:5]
	s_cbranch_execz .LBB1565_285
; %bb.283:
	v_and_b32_e32 v19, 1, v12
	v_cmp_eq_u32_e32 vcc, 1, v19
	s_and_b64 exec, exec, vcc
	s_cbranch_execz .LBB1565_285
; %bb.284:
	s_lshl_b64 s[4:5], s[22:23], 3
	s_add_u32 s4, s28, s4
	v_mov_b32_e32 v27, 0
	s_addc_u32 s5, s29, s5
	v_lshlrev_b64 v[28:29], 3, v[26:27]
	v_mov_b32_e32 v19, s5
	v_add_co_u32_e32 v28, vcc, s4, v28
	v_addc_co_u32_e32 v29, vcc, v19, v29, vcc
	global_store_dwordx2 v[28:29], v[6:7], off
.LBB1565_285:
	s_or_b64 exec, exec, s[2:3]
	v_cmp_lt_u32_e32 vcc, v24, v17
	s_or_b64 s[4:5], s[30:31], vcc
	s_and_saveexec_b64 s[2:3], s[4:5]
	s_cbranch_execz .LBB1565_288
; %bb.286:
	v_and_b32_e32 v19, 1, v1
	v_cmp_eq_u32_e32 vcc, 1, v19
	s_and_b64 exec, exec, vcc
	s_cbranch_execz .LBB1565_288
; %bb.287:
	s_lshl_b64 s[4:5], s[22:23], 3
	s_add_u32 s4, s28, s4
	v_mov_b32_e32 v25, 0
	s_addc_u32 s5, s29, s5
	v_lshlrev_b64 v[28:29], 3, v[24:25]
	v_mov_b32_e32 v19, s5
	v_add_co_u32_e32 v28, vcc, s4, v28
	v_addc_co_u32_e32 v29, vcc, v19, v29, vcc
	global_store_dwordx2 v[28:29], v[8:9], off
.LBB1565_288:
	s_or_b64 exec, exec, s[2:3]
	v_cmp_lt_u32_e32 vcc, v22, v17
	s_or_b64 s[4:5], s[30:31], vcc
	s_and_saveexec_b64 s[2:3], s[4:5]
	s_cbranch_execz .LBB1565_291
; %bb.289:
	v_mov_b32_e32 v19, 1
	v_and_b32_sdwa v19, v19, v12 dst_sel:DWORD dst_unused:UNUSED_PAD src0_sel:DWORD src1_sel:WORD_1
	v_cmp_eq_u32_e32 vcc, 1, v19
	s_and_b64 exec, exec, vcc
	s_cbranch_execz .LBB1565_291
; %bb.290:
	s_lshl_b64 s[4:5], s[22:23], 3
	s_add_u32 s4, s28, s4
	v_mov_b32_e32 v23, 0
	s_addc_u32 s5, s29, s5
	v_lshlrev_b64 v[28:29], 3, v[22:23]
	v_mov_b32_e32 v19, s5
	v_add_co_u32_e32 v28, vcc, s4, v28
	v_addc_co_u32_e32 v29, vcc, v19, v29, vcc
	global_store_dwordx2 v[28:29], v[2:3], off
.LBB1565_291:
	s_or_b64 exec, exec, s[2:3]
	v_cmp_lt_u32_e32 vcc, v20, v17
	s_or_b64 s[4:5], s[30:31], vcc
	s_and_saveexec_b64 s[2:3], s[4:5]
	s_cbranch_execz .LBB1565_294
; %bb.292:
	v_and_b32_e32 v19, 1, v16
	v_cmp_eq_u32_e32 vcc, 1, v19
	s_and_b64 exec, exec, vcc
	s_cbranch_execz .LBB1565_294
; %bb.293:
	s_lshl_b64 s[4:5], s[22:23], 3
	s_add_u32 s4, s28, s4
	v_mov_b32_e32 v21, 0
	s_addc_u32 s5, s29, s5
	v_lshlrev_b64 v[28:29], 3, v[20:21]
	v_mov_b32_e32 v19, s5
	v_add_co_u32_e32 v28, vcc, s4, v28
	v_addc_co_u32_e32 v29, vcc, v19, v29, vcc
	global_store_dwordx2 v[28:29], v[4:5], off
.LBB1565_294:
	s_or_b64 exec, exec, s[2:3]
	v_cmp_lt_u32_e32 vcc, v18, v17
	s_or_b64 s[4:5], s[30:31], vcc
	s_and_saveexec_b64 s[2:3], s[4:5]
	s_cbranch_execz .LBB1565_297
; %bb.295:
	v_and_b32_e32 v17, 1, v13
	v_cmp_eq_u32_e32 vcc, 1, v17
	s_and_b64 exec, exec, vcc
	s_cbranch_execz .LBB1565_297
; %bb.296:
	s_lshl_b64 s[4:5], s[22:23], 3
	s_add_u32 s4, s28, s4
	v_mov_b32_e32 v19, 0
	s_addc_u32 s5, s29, s5
	v_lshlrev_b64 v[28:29], 3, v[18:19]
	v_mov_b32_e32 v17, s5
	v_add_co_u32_e32 v28, vcc, s4, v28
	v_addc_co_u32_e32 v29, vcc, v17, v29, vcc
	global_store_dwordx2 v[28:29], v[10:11], off
.LBB1565_297:
	s_or_b64 exec, exec, s[2:3]
	s_branch .LBB1565_280
.LBB1565_298:
	v_and_b32_e32 v17, 1, v12
	v_cmp_eq_u32_e32 vcc, 1, v17
	s_and_saveexec_b64 s[2:3], vcc
	s_cbranch_execz .LBB1565_300
; %bb.299:
	v_sub_u32_e32 v17, v26, v15
	v_lshlrev_b32_e32 v17, 3, v17
	ds_write_b64 v17, v[6:7]
.LBB1565_300:
	s_or_b64 exec, exec, s[2:3]
	v_and_b32_e32 v1, 1, v1
	v_cmp_eq_u32_e32 vcc, 1, v1
	s_and_saveexec_b64 s[2:3], vcc
	s_cbranch_execz .LBB1565_302
; %bb.301:
	v_sub_u32_e32 v1, v24, v15
	v_lshlrev_b32_e32 v1, 3, v1
	ds_write_b64 v1, v[8:9]
.LBB1565_302:
	s_or_b64 exec, exec, s[2:3]
	v_mov_b32_e32 v1, 1
	v_and_b32_sdwa v1, v1, v12 dst_sel:DWORD dst_unused:UNUSED_PAD src0_sel:DWORD src1_sel:WORD_1
	v_cmp_eq_u32_e32 vcc, 1, v1
	s_and_saveexec_b64 s[2:3], vcc
	s_cbranch_execz .LBB1565_304
; %bb.303:
	v_sub_u32_e32 v1, v22, v15
	v_lshlrev_b32_e32 v1, 3, v1
	ds_write_b64 v1, v[2:3]
.LBB1565_304:
	s_or_b64 exec, exec, s[2:3]
	v_and_b32_e32 v1, 1, v16
	v_cmp_eq_u32_e32 vcc, 1, v1
	s_and_saveexec_b64 s[2:3], vcc
	s_cbranch_execz .LBB1565_306
; %bb.305:
	v_sub_u32_e32 v1, v20, v15
	v_lshlrev_b32_e32 v1, 3, v1
	ds_write_b64 v1, v[4:5]
.LBB1565_306:
	s_or_b64 exec, exec, s[2:3]
	v_and_b32_e32 v1, 1, v13
	v_cmp_eq_u32_e32 vcc, 1, v1
	s_and_saveexec_b64 s[2:3], vcc
	s_cbranch_execz .LBB1565_308
; %bb.307:
	v_sub_u32_e32 v1, v18, v15
	v_lshlrev_b32_e32 v1, 3, v1
	ds_write_b64 v1, v[10:11]
.LBB1565_308:
	s_or_b64 exec, exec, s[2:3]
	v_cmp_lt_u32_e32 vcc, v0, v14
	s_waitcnt lgkmcnt(0)
	s_barrier
	s_and_saveexec_b64 s[2:3], vcc
	s_cbranch_execz .LBB1565_311
; %bb.309:
	v_mov_b32_e32 v1, 0
	v_mov_b32_e32 v2, v15
	;; [unrolled: 1-line block ×3, first 2 shown]
	v_lshlrev_b64 v[2:3], 3, v[2:3]
	v_mov_b32_e32 v4, s29
	v_add_co_u32_e32 v2, vcc, s28, v2
	v_addc_co_u32_e32 v3, vcc, v4, v3, vcc
	s_lshl_b64 s[4:5], s[22:23], 3
	v_mov_b32_e32 v4, s5
	v_add_co_u32_e32 v2, vcc, s4, v2
	v_addc_co_u32_e32 v3, vcc, v3, v4, vcc
	v_lshlrev_b32_e32 v4, 3, v0
	s_mov_b64 s[4:5], 0
.LBB1565_310:                           ; =>This Inner Loop Header: Depth=1
	ds_read_b64 v[6:7], v4
	v_lshlrev_b64 v[8:9], 3, v[0:1]
	v_add_co_u32_e32 v8, vcc, v2, v8
	v_add_u32_e32 v0, 0x100, v0
	v_addc_co_u32_e32 v9, vcc, v3, v9, vcc
	v_cmp_ge_u32_e32 vcc, v0, v14
	v_add_u32_e32 v4, 0x800, v4
	s_or_b64 s[4:5], vcc, s[4:5]
	s_waitcnt lgkmcnt(0)
	global_store_dwordx2 v[8:9], v[6:7], off
	s_andn2_b64 exec, exec, s[4:5]
	s_cbranch_execnz .LBB1565_310
.LBB1565_311:
	s_or_b64 exec, exec, s[2:3]
	s_and_b64 s[0:1], s[0:1], s[24:25]
	s_and_saveexec_b64 s[2:3], s[0:1]
	s_cbranch_execz .LBB1565_281
.LBB1565_312:
	v_mov_b32_e32 v0, s23
	v_add_co_u32_e32 v1, vcc, s22, v14
	v_addc_co_u32_e32 v3, vcc, 0, v0, vcc
	v_add_co_u32_e32 v0, vcc, v1, v15
	v_mov_b32_e32 v2, 0
	v_addc_co_u32_e32 v1, vcc, 0, v3, vcc
	global_store_dwordx2 v2, v[0:1], s[20:21]
	s_endpgm
	.section	.rodata,"a",@progbits
	.p2align	6, 0x0
	.amdhsa_kernel _ZN7rocprim17ROCPRIM_400000_NS6detail17trampoline_kernelINS0_14default_configENS1_25partition_config_selectorILNS1_17partition_subalgoE8ElNS0_10empty_typeEbEEZZNS1_14partition_implILS5_8ELb0ES3_jPlPS6_PKS6_NS0_5tupleIJS9_S6_EEENSD_IJSA_SA_EEENS0_18inequality_wrapperIZN2at6native12_GLOBAL__N_124unique_dim_cuda_templateIjEESt5tupleIJNSH_6TensorESM_SM_EERKSM_lbbbEUlllE0_EEPmJS6_EEE10hipError_tPvRmT3_T4_T5_T6_T7_T9_mT8_P12ihipStream_tbDpT10_ENKUlT_T0_E_clISt17integral_constantIbLb0EES1B_IbLb1EEEEDaS17_S18_EUlS17_E_NS1_11comp_targetILNS1_3genE4ELNS1_11target_archE910ELNS1_3gpuE8ELNS1_3repE0EEENS1_30default_config_static_selectorELNS0_4arch9wavefront6targetE1EEEvT1_
		.amdhsa_group_segment_fixed_size 10252
		.amdhsa_private_segment_fixed_size 0
		.amdhsa_kernarg_size 136
		.amdhsa_user_sgpr_count 6
		.amdhsa_user_sgpr_private_segment_buffer 1
		.amdhsa_user_sgpr_dispatch_ptr 0
		.amdhsa_user_sgpr_queue_ptr 0
		.amdhsa_user_sgpr_kernarg_segment_ptr 1
		.amdhsa_user_sgpr_dispatch_id 0
		.amdhsa_user_sgpr_flat_scratch_init 0
		.amdhsa_user_sgpr_kernarg_preload_length 0
		.amdhsa_user_sgpr_kernarg_preload_offset 0
		.amdhsa_user_sgpr_private_segment_size 0
		.amdhsa_uses_dynamic_stack 0
		.amdhsa_system_sgpr_private_segment_wavefront_offset 0
		.amdhsa_system_sgpr_workgroup_id_x 1
		.amdhsa_system_sgpr_workgroup_id_y 0
		.amdhsa_system_sgpr_workgroup_id_z 0
		.amdhsa_system_sgpr_workgroup_info 0
		.amdhsa_system_vgpr_workitem_id 0
		.amdhsa_next_free_vgpr 46
		.amdhsa_next_free_sgpr 52
		.amdhsa_accum_offset 48
		.amdhsa_reserve_vcc 1
		.amdhsa_reserve_flat_scratch 0
		.amdhsa_float_round_mode_32 0
		.amdhsa_float_round_mode_16_64 0
		.amdhsa_float_denorm_mode_32 3
		.amdhsa_float_denorm_mode_16_64 3
		.amdhsa_dx10_clamp 1
		.amdhsa_ieee_mode 1
		.amdhsa_fp16_overflow 0
		.amdhsa_tg_split 0
		.amdhsa_exception_fp_ieee_invalid_op 0
		.amdhsa_exception_fp_denorm_src 0
		.amdhsa_exception_fp_ieee_div_zero 0
		.amdhsa_exception_fp_ieee_overflow 0
		.amdhsa_exception_fp_ieee_underflow 0
		.amdhsa_exception_fp_ieee_inexact 0
		.amdhsa_exception_int_div_zero 0
	.end_amdhsa_kernel
	.section	.text._ZN7rocprim17ROCPRIM_400000_NS6detail17trampoline_kernelINS0_14default_configENS1_25partition_config_selectorILNS1_17partition_subalgoE8ElNS0_10empty_typeEbEEZZNS1_14partition_implILS5_8ELb0ES3_jPlPS6_PKS6_NS0_5tupleIJS9_S6_EEENSD_IJSA_SA_EEENS0_18inequality_wrapperIZN2at6native12_GLOBAL__N_124unique_dim_cuda_templateIjEESt5tupleIJNSH_6TensorESM_SM_EERKSM_lbbbEUlllE0_EEPmJS6_EEE10hipError_tPvRmT3_T4_T5_T6_T7_T9_mT8_P12ihipStream_tbDpT10_ENKUlT_T0_E_clISt17integral_constantIbLb0EES1B_IbLb1EEEEDaS17_S18_EUlS17_E_NS1_11comp_targetILNS1_3genE4ELNS1_11target_archE910ELNS1_3gpuE8ELNS1_3repE0EEENS1_30default_config_static_selectorELNS0_4arch9wavefront6targetE1EEEvT1_,"axG",@progbits,_ZN7rocprim17ROCPRIM_400000_NS6detail17trampoline_kernelINS0_14default_configENS1_25partition_config_selectorILNS1_17partition_subalgoE8ElNS0_10empty_typeEbEEZZNS1_14partition_implILS5_8ELb0ES3_jPlPS6_PKS6_NS0_5tupleIJS9_S6_EEENSD_IJSA_SA_EEENS0_18inequality_wrapperIZN2at6native12_GLOBAL__N_124unique_dim_cuda_templateIjEESt5tupleIJNSH_6TensorESM_SM_EERKSM_lbbbEUlllE0_EEPmJS6_EEE10hipError_tPvRmT3_T4_T5_T6_T7_T9_mT8_P12ihipStream_tbDpT10_ENKUlT_T0_E_clISt17integral_constantIbLb0EES1B_IbLb1EEEEDaS17_S18_EUlS17_E_NS1_11comp_targetILNS1_3genE4ELNS1_11target_archE910ELNS1_3gpuE8ELNS1_3repE0EEENS1_30default_config_static_selectorELNS0_4arch9wavefront6targetE1EEEvT1_,comdat
.Lfunc_end1565:
	.size	_ZN7rocprim17ROCPRIM_400000_NS6detail17trampoline_kernelINS0_14default_configENS1_25partition_config_selectorILNS1_17partition_subalgoE8ElNS0_10empty_typeEbEEZZNS1_14partition_implILS5_8ELb0ES3_jPlPS6_PKS6_NS0_5tupleIJS9_S6_EEENSD_IJSA_SA_EEENS0_18inequality_wrapperIZN2at6native12_GLOBAL__N_124unique_dim_cuda_templateIjEESt5tupleIJNSH_6TensorESM_SM_EERKSM_lbbbEUlllE0_EEPmJS6_EEE10hipError_tPvRmT3_T4_T5_T6_T7_T9_mT8_P12ihipStream_tbDpT10_ENKUlT_T0_E_clISt17integral_constantIbLb0EES1B_IbLb1EEEEDaS17_S18_EUlS17_E_NS1_11comp_targetILNS1_3genE4ELNS1_11target_archE910ELNS1_3gpuE8ELNS1_3repE0EEENS1_30default_config_static_selectorELNS0_4arch9wavefront6targetE1EEEvT1_, .Lfunc_end1565-_ZN7rocprim17ROCPRIM_400000_NS6detail17trampoline_kernelINS0_14default_configENS1_25partition_config_selectorILNS1_17partition_subalgoE8ElNS0_10empty_typeEbEEZZNS1_14partition_implILS5_8ELb0ES3_jPlPS6_PKS6_NS0_5tupleIJS9_S6_EEENSD_IJSA_SA_EEENS0_18inequality_wrapperIZN2at6native12_GLOBAL__N_124unique_dim_cuda_templateIjEESt5tupleIJNSH_6TensorESM_SM_EERKSM_lbbbEUlllE0_EEPmJS6_EEE10hipError_tPvRmT3_T4_T5_T6_T7_T9_mT8_P12ihipStream_tbDpT10_ENKUlT_T0_E_clISt17integral_constantIbLb0EES1B_IbLb1EEEEDaS17_S18_EUlS17_E_NS1_11comp_targetILNS1_3genE4ELNS1_11target_archE910ELNS1_3gpuE8ELNS1_3repE0EEENS1_30default_config_static_selectorELNS0_4arch9wavefront6targetE1EEEvT1_
                                        ; -- End function
	.section	.AMDGPU.csdata,"",@progbits
; Kernel info:
; codeLenInByte = 11572
; NumSgprs: 56
; NumVgprs: 46
; NumAgprs: 0
; TotalNumVgprs: 46
; ScratchSize: 0
; MemoryBound: 0
; FloatMode: 240
; IeeeMode: 1
; LDSByteSize: 10252 bytes/workgroup (compile time only)
; SGPRBlocks: 6
; VGPRBlocks: 5
; NumSGPRsForWavesPerEU: 56
; NumVGPRsForWavesPerEU: 46
; AccumOffset: 48
; Occupancy: 6
; WaveLimiterHint : 1
; COMPUTE_PGM_RSRC2:SCRATCH_EN: 0
; COMPUTE_PGM_RSRC2:USER_SGPR: 6
; COMPUTE_PGM_RSRC2:TRAP_HANDLER: 0
; COMPUTE_PGM_RSRC2:TGID_X_EN: 1
; COMPUTE_PGM_RSRC2:TGID_Y_EN: 0
; COMPUTE_PGM_RSRC2:TGID_Z_EN: 0
; COMPUTE_PGM_RSRC2:TIDIG_COMP_CNT: 0
; COMPUTE_PGM_RSRC3_GFX90A:ACCUM_OFFSET: 11
; COMPUTE_PGM_RSRC3_GFX90A:TG_SPLIT: 0
	.section	.text._ZN7rocprim17ROCPRIM_400000_NS6detail17trampoline_kernelINS0_14default_configENS1_25partition_config_selectorILNS1_17partition_subalgoE8ElNS0_10empty_typeEbEEZZNS1_14partition_implILS5_8ELb0ES3_jPlPS6_PKS6_NS0_5tupleIJS9_S6_EEENSD_IJSA_SA_EEENS0_18inequality_wrapperIZN2at6native12_GLOBAL__N_124unique_dim_cuda_templateIjEESt5tupleIJNSH_6TensorESM_SM_EERKSM_lbbbEUlllE0_EEPmJS6_EEE10hipError_tPvRmT3_T4_T5_T6_T7_T9_mT8_P12ihipStream_tbDpT10_ENKUlT_T0_E_clISt17integral_constantIbLb0EES1B_IbLb1EEEEDaS17_S18_EUlS17_E_NS1_11comp_targetILNS1_3genE3ELNS1_11target_archE908ELNS1_3gpuE7ELNS1_3repE0EEENS1_30default_config_static_selectorELNS0_4arch9wavefront6targetE1EEEvT1_,"axG",@progbits,_ZN7rocprim17ROCPRIM_400000_NS6detail17trampoline_kernelINS0_14default_configENS1_25partition_config_selectorILNS1_17partition_subalgoE8ElNS0_10empty_typeEbEEZZNS1_14partition_implILS5_8ELb0ES3_jPlPS6_PKS6_NS0_5tupleIJS9_S6_EEENSD_IJSA_SA_EEENS0_18inequality_wrapperIZN2at6native12_GLOBAL__N_124unique_dim_cuda_templateIjEESt5tupleIJNSH_6TensorESM_SM_EERKSM_lbbbEUlllE0_EEPmJS6_EEE10hipError_tPvRmT3_T4_T5_T6_T7_T9_mT8_P12ihipStream_tbDpT10_ENKUlT_T0_E_clISt17integral_constantIbLb0EES1B_IbLb1EEEEDaS17_S18_EUlS17_E_NS1_11comp_targetILNS1_3genE3ELNS1_11target_archE908ELNS1_3gpuE7ELNS1_3repE0EEENS1_30default_config_static_selectorELNS0_4arch9wavefront6targetE1EEEvT1_,comdat
	.globl	_ZN7rocprim17ROCPRIM_400000_NS6detail17trampoline_kernelINS0_14default_configENS1_25partition_config_selectorILNS1_17partition_subalgoE8ElNS0_10empty_typeEbEEZZNS1_14partition_implILS5_8ELb0ES3_jPlPS6_PKS6_NS0_5tupleIJS9_S6_EEENSD_IJSA_SA_EEENS0_18inequality_wrapperIZN2at6native12_GLOBAL__N_124unique_dim_cuda_templateIjEESt5tupleIJNSH_6TensorESM_SM_EERKSM_lbbbEUlllE0_EEPmJS6_EEE10hipError_tPvRmT3_T4_T5_T6_T7_T9_mT8_P12ihipStream_tbDpT10_ENKUlT_T0_E_clISt17integral_constantIbLb0EES1B_IbLb1EEEEDaS17_S18_EUlS17_E_NS1_11comp_targetILNS1_3genE3ELNS1_11target_archE908ELNS1_3gpuE7ELNS1_3repE0EEENS1_30default_config_static_selectorELNS0_4arch9wavefront6targetE1EEEvT1_ ; -- Begin function _ZN7rocprim17ROCPRIM_400000_NS6detail17trampoline_kernelINS0_14default_configENS1_25partition_config_selectorILNS1_17partition_subalgoE8ElNS0_10empty_typeEbEEZZNS1_14partition_implILS5_8ELb0ES3_jPlPS6_PKS6_NS0_5tupleIJS9_S6_EEENSD_IJSA_SA_EEENS0_18inequality_wrapperIZN2at6native12_GLOBAL__N_124unique_dim_cuda_templateIjEESt5tupleIJNSH_6TensorESM_SM_EERKSM_lbbbEUlllE0_EEPmJS6_EEE10hipError_tPvRmT3_T4_T5_T6_T7_T9_mT8_P12ihipStream_tbDpT10_ENKUlT_T0_E_clISt17integral_constantIbLb0EES1B_IbLb1EEEEDaS17_S18_EUlS17_E_NS1_11comp_targetILNS1_3genE3ELNS1_11target_archE908ELNS1_3gpuE7ELNS1_3repE0EEENS1_30default_config_static_selectorELNS0_4arch9wavefront6targetE1EEEvT1_
	.p2align	8
	.type	_ZN7rocprim17ROCPRIM_400000_NS6detail17trampoline_kernelINS0_14default_configENS1_25partition_config_selectorILNS1_17partition_subalgoE8ElNS0_10empty_typeEbEEZZNS1_14partition_implILS5_8ELb0ES3_jPlPS6_PKS6_NS0_5tupleIJS9_S6_EEENSD_IJSA_SA_EEENS0_18inequality_wrapperIZN2at6native12_GLOBAL__N_124unique_dim_cuda_templateIjEESt5tupleIJNSH_6TensorESM_SM_EERKSM_lbbbEUlllE0_EEPmJS6_EEE10hipError_tPvRmT3_T4_T5_T6_T7_T9_mT8_P12ihipStream_tbDpT10_ENKUlT_T0_E_clISt17integral_constantIbLb0EES1B_IbLb1EEEEDaS17_S18_EUlS17_E_NS1_11comp_targetILNS1_3genE3ELNS1_11target_archE908ELNS1_3gpuE7ELNS1_3repE0EEENS1_30default_config_static_selectorELNS0_4arch9wavefront6targetE1EEEvT1_,@function
_ZN7rocprim17ROCPRIM_400000_NS6detail17trampoline_kernelINS0_14default_configENS1_25partition_config_selectorILNS1_17partition_subalgoE8ElNS0_10empty_typeEbEEZZNS1_14partition_implILS5_8ELb0ES3_jPlPS6_PKS6_NS0_5tupleIJS9_S6_EEENSD_IJSA_SA_EEENS0_18inequality_wrapperIZN2at6native12_GLOBAL__N_124unique_dim_cuda_templateIjEESt5tupleIJNSH_6TensorESM_SM_EERKSM_lbbbEUlllE0_EEPmJS6_EEE10hipError_tPvRmT3_T4_T5_T6_T7_T9_mT8_P12ihipStream_tbDpT10_ENKUlT_T0_E_clISt17integral_constantIbLb0EES1B_IbLb1EEEEDaS17_S18_EUlS17_E_NS1_11comp_targetILNS1_3genE3ELNS1_11target_archE908ELNS1_3gpuE7ELNS1_3repE0EEENS1_30default_config_static_selectorELNS0_4arch9wavefront6targetE1EEEvT1_: ; @_ZN7rocprim17ROCPRIM_400000_NS6detail17trampoline_kernelINS0_14default_configENS1_25partition_config_selectorILNS1_17partition_subalgoE8ElNS0_10empty_typeEbEEZZNS1_14partition_implILS5_8ELb0ES3_jPlPS6_PKS6_NS0_5tupleIJS9_S6_EEENSD_IJSA_SA_EEENS0_18inequality_wrapperIZN2at6native12_GLOBAL__N_124unique_dim_cuda_templateIjEESt5tupleIJNSH_6TensorESM_SM_EERKSM_lbbbEUlllE0_EEPmJS6_EEE10hipError_tPvRmT3_T4_T5_T6_T7_T9_mT8_P12ihipStream_tbDpT10_ENKUlT_T0_E_clISt17integral_constantIbLb0EES1B_IbLb1EEEEDaS17_S18_EUlS17_E_NS1_11comp_targetILNS1_3genE3ELNS1_11target_archE908ELNS1_3gpuE7ELNS1_3repE0EEENS1_30default_config_static_selectorELNS0_4arch9wavefront6targetE1EEEvT1_
; %bb.0:
	.section	.rodata,"a",@progbits
	.p2align	6, 0x0
	.amdhsa_kernel _ZN7rocprim17ROCPRIM_400000_NS6detail17trampoline_kernelINS0_14default_configENS1_25partition_config_selectorILNS1_17partition_subalgoE8ElNS0_10empty_typeEbEEZZNS1_14partition_implILS5_8ELb0ES3_jPlPS6_PKS6_NS0_5tupleIJS9_S6_EEENSD_IJSA_SA_EEENS0_18inequality_wrapperIZN2at6native12_GLOBAL__N_124unique_dim_cuda_templateIjEESt5tupleIJNSH_6TensorESM_SM_EERKSM_lbbbEUlllE0_EEPmJS6_EEE10hipError_tPvRmT3_T4_T5_T6_T7_T9_mT8_P12ihipStream_tbDpT10_ENKUlT_T0_E_clISt17integral_constantIbLb0EES1B_IbLb1EEEEDaS17_S18_EUlS17_E_NS1_11comp_targetILNS1_3genE3ELNS1_11target_archE908ELNS1_3gpuE7ELNS1_3repE0EEENS1_30default_config_static_selectorELNS0_4arch9wavefront6targetE1EEEvT1_
		.amdhsa_group_segment_fixed_size 0
		.amdhsa_private_segment_fixed_size 0
		.amdhsa_kernarg_size 136
		.amdhsa_user_sgpr_count 6
		.amdhsa_user_sgpr_private_segment_buffer 1
		.amdhsa_user_sgpr_dispatch_ptr 0
		.amdhsa_user_sgpr_queue_ptr 0
		.amdhsa_user_sgpr_kernarg_segment_ptr 1
		.amdhsa_user_sgpr_dispatch_id 0
		.amdhsa_user_sgpr_flat_scratch_init 0
		.amdhsa_user_sgpr_kernarg_preload_length 0
		.amdhsa_user_sgpr_kernarg_preload_offset 0
		.amdhsa_user_sgpr_private_segment_size 0
		.amdhsa_uses_dynamic_stack 0
		.amdhsa_system_sgpr_private_segment_wavefront_offset 0
		.amdhsa_system_sgpr_workgroup_id_x 1
		.amdhsa_system_sgpr_workgroup_id_y 0
		.amdhsa_system_sgpr_workgroup_id_z 0
		.amdhsa_system_sgpr_workgroup_info 0
		.amdhsa_system_vgpr_workitem_id 0
		.amdhsa_next_free_vgpr 1
		.amdhsa_next_free_sgpr 0
		.amdhsa_accum_offset 4
		.amdhsa_reserve_vcc 0
		.amdhsa_reserve_flat_scratch 0
		.amdhsa_float_round_mode_32 0
		.amdhsa_float_round_mode_16_64 0
		.amdhsa_float_denorm_mode_32 3
		.amdhsa_float_denorm_mode_16_64 3
		.amdhsa_dx10_clamp 1
		.amdhsa_ieee_mode 1
		.amdhsa_fp16_overflow 0
		.amdhsa_tg_split 0
		.amdhsa_exception_fp_ieee_invalid_op 0
		.amdhsa_exception_fp_denorm_src 0
		.amdhsa_exception_fp_ieee_div_zero 0
		.amdhsa_exception_fp_ieee_overflow 0
		.amdhsa_exception_fp_ieee_underflow 0
		.amdhsa_exception_fp_ieee_inexact 0
		.amdhsa_exception_int_div_zero 0
	.end_amdhsa_kernel
	.section	.text._ZN7rocprim17ROCPRIM_400000_NS6detail17trampoline_kernelINS0_14default_configENS1_25partition_config_selectorILNS1_17partition_subalgoE8ElNS0_10empty_typeEbEEZZNS1_14partition_implILS5_8ELb0ES3_jPlPS6_PKS6_NS0_5tupleIJS9_S6_EEENSD_IJSA_SA_EEENS0_18inequality_wrapperIZN2at6native12_GLOBAL__N_124unique_dim_cuda_templateIjEESt5tupleIJNSH_6TensorESM_SM_EERKSM_lbbbEUlllE0_EEPmJS6_EEE10hipError_tPvRmT3_T4_T5_T6_T7_T9_mT8_P12ihipStream_tbDpT10_ENKUlT_T0_E_clISt17integral_constantIbLb0EES1B_IbLb1EEEEDaS17_S18_EUlS17_E_NS1_11comp_targetILNS1_3genE3ELNS1_11target_archE908ELNS1_3gpuE7ELNS1_3repE0EEENS1_30default_config_static_selectorELNS0_4arch9wavefront6targetE1EEEvT1_,"axG",@progbits,_ZN7rocprim17ROCPRIM_400000_NS6detail17trampoline_kernelINS0_14default_configENS1_25partition_config_selectorILNS1_17partition_subalgoE8ElNS0_10empty_typeEbEEZZNS1_14partition_implILS5_8ELb0ES3_jPlPS6_PKS6_NS0_5tupleIJS9_S6_EEENSD_IJSA_SA_EEENS0_18inequality_wrapperIZN2at6native12_GLOBAL__N_124unique_dim_cuda_templateIjEESt5tupleIJNSH_6TensorESM_SM_EERKSM_lbbbEUlllE0_EEPmJS6_EEE10hipError_tPvRmT3_T4_T5_T6_T7_T9_mT8_P12ihipStream_tbDpT10_ENKUlT_T0_E_clISt17integral_constantIbLb0EES1B_IbLb1EEEEDaS17_S18_EUlS17_E_NS1_11comp_targetILNS1_3genE3ELNS1_11target_archE908ELNS1_3gpuE7ELNS1_3repE0EEENS1_30default_config_static_selectorELNS0_4arch9wavefront6targetE1EEEvT1_,comdat
.Lfunc_end1566:
	.size	_ZN7rocprim17ROCPRIM_400000_NS6detail17trampoline_kernelINS0_14default_configENS1_25partition_config_selectorILNS1_17partition_subalgoE8ElNS0_10empty_typeEbEEZZNS1_14partition_implILS5_8ELb0ES3_jPlPS6_PKS6_NS0_5tupleIJS9_S6_EEENSD_IJSA_SA_EEENS0_18inequality_wrapperIZN2at6native12_GLOBAL__N_124unique_dim_cuda_templateIjEESt5tupleIJNSH_6TensorESM_SM_EERKSM_lbbbEUlllE0_EEPmJS6_EEE10hipError_tPvRmT3_T4_T5_T6_T7_T9_mT8_P12ihipStream_tbDpT10_ENKUlT_T0_E_clISt17integral_constantIbLb0EES1B_IbLb1EEEEDaS17_S18_EUlS17_E_NS1_11comp_targetILNS1_3genE3ELNS1_11target_archE908ELNS1_3gpuE7ELNS1_3repE0EEENS1_30default_config_static_selectorELNS0_4arch9wavefront6targetE1EEEvT1_, .Lfunc_end1566-_ZN7rocprim17ROCPRIM_400000_NS6detail17trampoline_kernelINS0_14default_configENS1_25partition_config_selectorILNS1_17partition_subalgoE8ElNS0_10empty_typeEbEEZZNS1_14partition_implILS5_8ELb0ES3_jPlPS6_PKS6_NS0_5tupleIJS9_S6_EEENSD_IJSA_SA_EEENS0_18inequality_wrapperIZN2at6native12_GLOBAL__N_124unique_dim_cuda_templateIjEESt5tupleIJNSH_6TensorESM_SM_EERKSM_lbbbEUlllE0_EEPmJS6_EEE10hipError_tPvRmT3_T4_T5_T6_T7_T9_mT8_P12ihipStream_tbDpT10_ENKUlT_T0_E_clISt17integral_constantIbLb0EES1B_IbLb1EEEEDaS17_S18_EUlS17_E_NS1_11comp_targetILNS1_3genE3ELNS1_11target_archE908ELNS1_3gpuE7ELNS1_3repE0EEENS1_30default_config_static_selectorELNS0_4arch9wavefront6targetE1EEEvT1_
                                        ; -- End function
	.section	.AMDGPU.csdata,"",@progbits
; Kernel info:
; codeLenInByte = 0
; NumSgprs: 4
; NumVgprs: 0
; NumAgprs: 0
; TotalNumVgprs: 0
; ScratchSize: 0
; MemoryBound: 0
; FloatMode: 240
; IeeeMode: 1
; LDSByteSize: 0 bytes/workgroup (compile time only)
; SGPRBlocks: 0
; VGPRBlocks: 0
; NumSGPRsForWavesPerEU: 4
; NumVGPRsForWavesPerEU: 1
; AccumOffset: 4
; Occupancy: 8
; WaveLimiterHint : 0
; COMPUTE_PGM_RSRC2:SCRATCH_EN: 0
; COMPUTE_PGM_RSRC2:USER_SGPR: 6
; COMPUTE_PGM_RSRC2:TRAP_HANDLER: 0
; COMPUTE_PGM_RSRC2:TGID_X_EN: 1
; COMPUTE_PGM_RSRC2:TGID_Y_EN: 0
; COMPUTE_PGM_RSRC2:TGID_Z_EN: 0
; COMPUTE_PGM_RSRC2:TIDIG_COMP_CNT: 0
; COMPUTE_PGM_RSRC3_GFX90A:ACCUM_OFFSET: 0
; COMPUTE_PGM_RSRC3_GFX90A:TG_SPLIT: 0
	.section	.text._ZN7rocprim17ROCPRIM_400000_NS6detail17trampoline_kernelINS0_14default_configENS1_25partition_config_selectorILNS1_17partition_subalgoE8ElNS0_10empty_typeEbEEZZNS1_14partition_implILS5_8ELb0ES3_jPlPS6_PKS6_NS0_5tupleIJS9_S6_EEENSD_IJSA_SA_EEENS0_18inequality_wrapperIZN2at6native12_GLOBAL__N_124unique_dim_cuda_templateIjEESt5tupleIJNSH_6TensorESM_SM_EERKSM_lbbbEUlllE0_EEPmJS6_EEE10hipError_tPvRmT3_T4_T5_T6_T7_T9_mT8_P12ihipStream_tbDpT10_ENKUlT_T0_E_clISt17integral_constantIbLb0EES1B_IbLb1EEEEDaS17_S18_EUlS17_E_NS1_11comp_targetILNS1_3genE2ELNS1_11target_archE906ELNS1_3gpuE6ELNS1_3repE0EEENS1_30default_config_static_selectorELNS0_4arch9wavefront6targetE1EEEvT1_,"axG",@progbits,_ZN7rocprim17ROCPRIM_400000_NS6detail17trampoline_kernelINS0_14default_configENS1_25partition_config_selectorILNS1_17partition_subalgoE8ElNS0_10empty_typeEbEEZZNS1_14partition_implILS5_8ELb0ES3_jPlPS6_PKS6_NS0_5tupleIJS9_S6_EEENSD_IJSA_SA_EEENS0_18inequality_wrapperIZN2at6native12_GLOBAL__N_124unique_dim_cuda_templateIjEESt5tupleIJNSH_6TensorESM_SM_EERKSM_lbbbEUlllE0_EEPmJS6_EEE10hipError_tPvRmT3_T4_T5_T6_T7_T9_mT8_P12ihipStream_tbDpT10_ENKUlT_T0_E_clISt17integral_constantIbLb0EES1B_IbLb1EEEEDaS17_S18_EUlS17_E_NS1_11comp_targetILNS1_3genE2ELNS1_11target_archE906ELNS1_3gpuE6ELNS1_3repE0EEENS1_30default_config_static_selectorELNS0_4arch9wavefront6targetE1EEEvT1_,comdat
	.globl	_ZN7rocprim17ROCPRIM_400000_NS6detail17trampoline_kernelINS0_14default_configENS1_25partition_config_selectorILNS1_17partition_subalgoE8ElNS0_10empty_typeEbEEZZNS1_14partition_implILS5_8ELb0ES3_jPlPS6_PKS6_NS0_5tupleIJS9_S6_EEENSD_IJSA_SA_EEENS0_18inequality_wrapperIZN2at6native12_GLOBAL__N_124unique_dim_cuda_templateIjEESt5tupleIJNSH_6TensorESM_SM_EERKSM_lbbbEUlllE0_EEPmJS6_EEE10hipError_tPvRmT3_T4_T5_T6_T7_T9_mT8_P12ihipStream_tbDpT10_ENKUlT_T0_E_clISt17integral_constantIbLb0EES1B_IbLb1EEEEDaS17_S18_EUlS17_E_NS1_11comp_targetILNS1_3genE2ELNS1_11target_archE906ELNS1_3gpuE6ELNS1_3repE0EEENS1_30default_config_static_selectorELNS0_4arch9wavefront6targetE1EEEvT1_ ; -- Begin function _ZN7rocprim17ROCPRIM_400000_NS6detail17trampoline_kernelINS0_14default_configENS1_25partition_config_selectorILNS1_17partition_subalgoE8ElNS0_10empty_typeEbEEZZNS1_14partition_implILS5_8ELb0ES3_jPlPS6_PKS6_NS0_5tupleIJS9_S6_EEENSD_IJSA_SA_EEENS0_18inequality_wrapperIZN2at6native12_GLOBAL__N_124unique_dim_cuda_templateIjEESt5tupleIJNSH_6TensorESM_SM_EERKSM_lbbbEUlllE0_EEPmJS6_EEE10hipError_tPvRmT3_T4_T5_T6_T7_T9_mT8_P12ihipStream_tbDpT10_ENKUlT_T0_E_clISt17integral_constantIbLb0EES1B_IbLb1EEEEDaS17_S18_EUlS17_E_NS1_11comp_targetILNS1_3genE2ELNS1_11target_archE906ELNS1_3gpuE6ELNS1_3repE0EEENS1_30default_config_static_selectorELNS0_4arch9wavefront6targetE1EEEvT1_
	.p2align	8
	.type	_ZN7rocprim17ROCPRIM_400000_NS6detail17trampoline_kernelINS0_14default_configENS1_25partition_config_selectorILNS1_17partition_subalgoE8ElNS0_10empty_typeEbEEZZNS1_14partition_implILS5_8ELb0ES3_jPlPS6_PKS6_NS0_5tupleIJS9_S6_EEENSD_IJSA_SA_EEENS0_18inequality_wrapperIZN2at6native12_GLOBAL__N_124unique_dim_cuda_templateIjEESt5tupleIJNSH_6TensorESM_SM_EERKSM_lbbbEUlllE0_EEPmJS6_EEE10hipError_tPvRmT3_T4_T5_T6_T7_T9_mT8_P12ihipStream_tbDpT10_ENKUlT_T0_E_clISt17integral_constantIbLb0EES1B_IbLb1EEEEDaS17_S18_EUlS17_E_NS1_11comp_targetILNS1_3genE2ELNS1_11target_archE906ELNS1_3gpuE6ELNS1_3repE0EEENS1_30default_config_static_selectorELNS0_4arch9wavefront6targetE1EEEvT1_,@function
_ZN7rocprim17ROCPRIM_400000_NS6detail17trampoline_kernelINS0_14default_configENS1_25partition_config_selectorILNS1_17partition_subalgoE8ElNS0_10empty_typeEbEEZZNS1_14partition_implILS5_8ELb0ES3_jPlPS6_PKS6_NS0_5tupleIJS9_S6_EEENSD_IJSA_SA_EEENS0_18inequality_wrapperIZN2at6native12_GLOBAL__N_124unique_dim_cuda_templateIjEESt5tupleIJNSH_6TensorESM_SM_EERKSM_lbbbEUlllE0_EEPmJS6_EEE10hipError_tPvRmT3_T4_T5_T6_T7_T9_mT8_P12ihipStream_tbDpT10_ENKUlT_T0_E_clISt17integral_constantIbLb0EES1B_IbLb1EEEEDaS17_S18_EUlS17_E_NS1_11comp_targetILNS1_3genE2ELNS1_11target_archE906ELNS1_3gpuE6ELNS1_3repE0EEENS1_30default_config_static_selectorELNS0_4arch9wavefront6targetE1EEEvT1_: ; @_ZN7rocprim17ROCPRIM_400000_NS6detail17trampoline_kernelINS0_14default_configENS1_25partition_config_selectorILNS1_17partition_subalgoE8ElNS0_10empty_typeEbEEZZNS1_14partition_implILS5_8ELb0ES3_jPlPS6_PKS6_NS0_5tupleIJS9_S6_EEENSD_IJSA_SA_EEENS0_18inequality_wrapperIZN2at6native12_GLOBAL__N_124unique_dim_cuda_templateIjEESt5tupleIJNSH_6TensorESM_SM_EERKSM_lbbbEUlllE0_EEPmJS6_EEE10hipError_tPvRmT3_T4_T5_T6_T7_T9_mT8_P12ihipStream_tbDpT10_ENKUlT_T0_E_clISt17integral_constantIbLb0EES1B_IbLb1EEEEDaS17_S18_EUlS17_E_NS1_11comp_targetILNS1_3genE2ELNS1_11target_archE906ELNS1_3gpuE6ELNS1_3repE0EEENS1_30default_config_static_selectorELNS0_4arch9wavefront6targetE1EEEvT1_
; %bb.0:
	.section	.rodata,"a",@progbits
	.p2align	6, 0x0
	.amdhsa_kernel _ZN7rocprim17ROCPRIM_400000_NS6detail17trampoline_kernelINS0_14default_configENS1_25partition_config_selectorILNS1_17partition_subalgoE8ElNS0_10empty_typeEbEEZZNS1_14partition_implILS5_8ELb0ES3_jPlPS6_PKS6_NS0_5tupleIJS9_S6_EEENSD_IJSA_SA_EEENS0_18inequality_wrapperIZN2at6native12_GLOBAL__N_124unique_dim_cuda_templateIjEESt5tupleIJNSH_6TensorESM_SM_EERKSM_lbbbEUlllE0_EEPmJS6_EEE10hipError_tPvRmT3_T4_T5_T6_T7_T9_mT8_P12ihipStream_tbDpT10_ENKUlT_T0_E_clISt17integral_constantIbLb0EES1B_IbLb1EEEEDaS17_S18_EUlS17_E_NS1_11comp_targetILNS1_3genE2ELNS1_11target_archE906ELNS1_3gpuE6ELNS1_3repE0EEENS1_30default_config_static_selectorELNS0_4arch9wavefront6targetE1EEEvT1_
		.amdhsa_group_segment_fixed_size 0
		.amdhsa_private_segment_fixed_size 0
		.amdhsa_kernarg_size 136
		.amdhsa_user_sgpr_count 6
		.amdhsa_user_sgpr_private_segment_buffer 1
		.amdhsa_user_sgpr_dispatch_ptr 0
		.amdhsa_user_sgpr_queue_ptr 0
		.amdhsa_user_sgpr_kernarg_segment_ptr 1
		.amdhsa_user_sgpr_dispatch_id 0
		.amdhsa_user_sgpr_flat_scratch_init 0
		.amdhsa_user_sgpr_kernarg_preload_length 0
		.amdhsa_user_sgpr_kernarg_preload_offset 0
		.amdhsa_user_sgpr_private_segment_size 0
		.amdhsa_uses_dynamic_stack 0
		.amdhsa_system_sgpr_private_segment_wavefront_offset 0
		.amdhsa_system_sgpr_workgroup_id_x 1
		.amdhsa_system_sgpr_workgroup_id_y 0
		.amdhsa_system_sgpr_workgroup_id_z 0
		.amdhsa_system_sgpr_workgroup_info 0
		.amdhsa_system_vgpr_workitem_id 0
		.amdhsa_next_free_vgpr 1
		.amdhsa_next_free_sgpr 0
		.amdhsa_accum_offset 4
		.amdhsa_reserve_vcc 0
		.amdhsa_reserve_flat_scratch 0
		.amdhsa_float_round_mode_32 0
		.amdhsa_float_round_mode_16_64 0
		.amdhsa_float_denorm_mode_32 3
		.amdhsa_float_denorm_mode_16_64 3
		.amdhsa_dx10_clamp 1
		.amdhsa_ieee_mode 1
		.amdhsa_fp16_overflow 0
		.amdhsa_tg_split 0
		.amdhsa_exception_fp_ieee_invalid_op 0
		.amdhsa_exception_fp_denorm_src 0
		.amdhsa_exception_fp_ieee_div_zero 0
		.amdhsa_exception_fp_ieee_overflow 0
		.amdhsa_exception_fp_ieee_underflow 0
		.amdhsa_exception_fp_ieee_inexact 0
		.amdhsa_exception_int_div_zero 0
	.end_amdhsa_kernel
	.section	.text._ZN7rocprim17ROCPRIM_400000_NS6detail17trampoline_kernelINS0_14default_configENS1_25partition_config_selectorILNS1_17partition_subalgoE8ElNS0_10empty_typeEbEEZZNS1_14partition_implILS5_8ELb0ES3_jPlPS6_PKS6_NS0_5tupleIJS9_S6_EEENSD_IJSA_SA_EEENS0_18inequality_wrapperIZN2at6native12_GLOBAL__N_124unique_dim_cuda_templateIjEESt5tupleIJNSH_6TensorESM_SM_EERKSM_lbbbEUlllE0_EEPmJS6_EEE10hipError_tPvRmT3_T4_T5_T6_T7_T9_mT8_P12ihipStream_tbDpT10_ENKUlT_T0_E_clISt17integral_constantIbLb0EES1B_IbLb1EEEEDaS17_S18_EUlS17_E_NS1_11comp_targetILNS1_3genE2ELNS1_11target_archE906ELNS1_3gpuE6ELNS1_3repE0EEENS1_30default_config_static_selectorELNS0_4arch9wavefront6targetE1EEEvT1_,"axG",@progbits,_ZN7rocprim17ROCPRIM_400000_NS6detail17trampoline_kernelINS0_14default_configENS1_25partition_config_selectorILNS1_17partition_subalgoE8ElNS0_10empty_typeEbEEZZNS1_14partition_implILS5_8ELb0ES3_jPlPS6_PKS6_NS0_5tupleIJS9_S6_EEENSD_IJSA_SA_EEENS0_18inequality_wrapperIZN2at6native12_GLOBAL__N_124unique_dim_cuda_templateIjEESt5tupleIJNSH_6TensorESM_SM_EERKSM_lbbbEUlllE0_EEPmJS6_EEE10hipError_tPvRmT3_T4_T5_T6_T7_T9_mT8_P12ihipStream_tbDpT10_ENKUlT_T0_E_clISt17integral_constantIbLb0EES1B_IbLb1EEEEDaS17_S18_EUlS17_E_NS1_11comp_targetILNS1_3genE2ELNS1_11target_archE906ELNS1_3gpuE6ELNS1_3repE0EEENS1_30default_config_static_selectorELNS0_4arch9wavefront6targetE1EEEvT1_,comdat
.Lfunc_end1567:
	.size	_ZN7rocprim17ROCPRIM_400000_NS6detail17trampoline_kernelINS0_14default_configENS1_25partition_config_selectorILNS1_17partition_subalgoE8ElNS0_10empty_typeEbEEZZNS1_14partition_implILS5_8ELb0ES3_jPlPS6_PKS6_NS0_5tupleIJS9_S6_EEENSD_IJSA_SA_EEENS0_18inequality_wrapperIZN2at6native12_GLOBAL__N_124unique_dim_cuda_templateIjEESt5tupleIJNSH_6TensorESM_SM_EERKSM_lbbbEUlllE0_EEPmJS6_EEE10hipError_tPvRmT3_T4_T5_T6_T7_T9_mT8_P12ihipStream_tbDpT10_ENKUlT_T0_E_clISt17integral_constantIbLb0EES1B_IbLb1EEEEDaS17_S18_EUlS17_E_NS1_11comp_targetILNS1_3genE2ELNS1_11target_archE906ELNS1_3gpuE6ELNS1_3repE0EEENS1_30default_config_static_selectorELNS0_4arch9wavefront6targetE1EEEvT1_, .Lfunc_end1567-_ZN7rocprim17ROCPRIM_400000_NS6detail17trampoline_kernelINS0_14default_configENS1_25partition_config_selectorILNS1_17partition_subalgoE8ElNS0_10empty_typeEbEEZZNS1_14partition_implILS5_8ELb0ES3_jPlPS6_PKS6_NS0_5tupleIJS9_S6_EEENSD_IJSA_SA_EEENS0_18inequality_wrapperIZN2at6native12_GLOBAL__N_124unique_dim_cuda_templateIjEESt5tupleIJNSH_6TensorESM_SM_EERKSM_lbbbEUlllE0_EEPmJS6_EEE10hipError_tPvRmT3_T4_T5_T6_T7_T9_mT8_P12ihipStream_tbDpT10_ENKUlT_T0_E_clISt17integral_constantIbLb0EES1B_IbLb1EEEEDaS17_S18_EUlS17_E_NS1_11comp_targetILNS1_3genE2ELNS1_11target_archE906ELNS1_3gpuE6ELNS1_3repE0EEENS1_30default_config_static_selectorELNS0_4arch9wavefront6targetE1EEEvT1_
                                        ; -- End function
	.section	.AMDGPU.csdata,"",@progbits
; Kernel info:
; codeLenInByte = 0
; NumSgprs: 4
; NumVgprs: 0
; NumAgprs: 0
; TotalNumVgprs: 0
; ScratchSize: 0
; MemoryBound: 0
; FloatMode: 240
; IeeeMode: 1
; LDSByteSize: 0 bytes/workgroup (compile time only)
; SGPRBlocks: 0
; VGPRBlocks: 0
; NumSGPRsForWavesPerEU: 4
; NumVGPRsForWavesPerEU: 1
; AccumOffset: 4
; Occupancy: 8
; WaveLimiterHint : 0
; COMPUTE_PGM_RSRC2:SCRATCH_EN: 0
; COMPUTE_PGM_RSRC2:USER_SGPR: 6
; COMPUTE_PGM_RSRC2:TRAP_HANDLER: 0
; COMPUTE_PGM_RSRC2:TGID_X_EN: 1
; COMPUTE_PGM_RSRC2:TGID_Y_EN: 0
; COMPUTE_PGM_RSRC2:TGID_Z_EN: 0
; COMPUTE_PGM_RSRC2:TIDIG_COMP_CNT: 0
; COMPUTE_PGM_RSRC3_GFX90A:ACCUM_OFFSET: 0
; COMPUTE_PGM_RSRC3_GFX90A:TG_SPLIT: 0
	.section	.text._ZN7rocprim17ROCPRIM_400000_NS6detail17trampoline_kernelINS0_14default_configENS1_25partition_config_selectorILNS1_17partition_subalgoE8ElNS0_10empty_typeEbEEZZNS1_14partition_implILS5_8ELb0ES3_jPlPS6_PKS6_NS0_5tupleIJS9_S6_EEENSD_IJSA_SA_EEENS0_18inequality_wrapperIZN2at6native12_GLOBAL__N_124unique_dim_cuda_templateIjEESt5tupleIJNSH_6TensorESM_SM_EERKSM_lbbbEUlllE0_EEPmJS6_EEE10hipError_tPvRmT3_T4_T5_T6_T7_T9_mT8_P12ihipStream_tbDpT10_ENKUlT_T0_E_clISt17integral_constantIbLb0EES1B_IbLb1EEEEDaS17_S18_EUlS17_E_NS1_11comp_targetILNS1_3genE10ELNS1_11target_archE1200ELNS1_3gpuE4ELNS1_3repE0EEENS1_30default_config_static_selectorELNS0_4arch9wavefront6targetE1EEEvT1_,"axG",@progbits,_ZN7rocprim17ROCPRIM_400000_NS6detail17trampoline_kernelINS0_14default_configENS1_25partition_config_selectorILNS1_17partition_subalgoE8ElNS0_10empty_typeEbEEZZNS1_14partition_implILS5_8ELb0ES3_jPlPS6_PKS6_NS0_5tupleIJS9_S6_EEENSD_IJSA_SA_EEENS0_18inequality_wrapperIZN2at6native12_GLOBAL__N_124unique_dim_cuda_templateIjEESt5tupleIJNSH_6TensorESM_SM_EERKSM_lbbbEUlllE0_EEPmJS6_EEE10hipError_tPvRmT3_T4_T5_T6_T7_T9_mT8_P12ihipStream_tbDpT10_ENKUlT_T0_E_clISt17integral_constantIbLb0EES1B_IbLb1EEEEDaS17_S18_EUlS17_E_NS1_11comp_targetILNS1_3genE10ELNS1_11target_archE1200ELNS1_3gpuE4ELNS1_3repE0EEENS1_30default_config_static_selectorELNS0_4arch9wavefront6targetE1EEEvT1_,comdat
	.globl	_ZN7rocprim17ROCPRIM_400000_NS6detail17trampoline_kernelINS0_14default_configENS1_25partition_config_selectorILNS1_17partition_subalgoE8ElNS0_10empty_typeEbEEZZNS1_14partition_implILS5_8ELb0ES3_jPlPS6_PKS6_NS0_5tupleIJS9_S6_EEENSD_IJSA_SA_EEENS0_18inequality_wrapperIZN2at6native12_GLOBAL__N_124unique_dim_cuda_templateIjEESt5tupleIJNSH_6TensorESM_SM_EERKSM_lbbbEUlllE0_EEPmJS6_EEE10hipError_tPvRmT3_T4_T5_T6_T7_T9_mT8_P12ihipStream_tbDpT10_ENKUlT_T0_E_clISt17integral_constantIbLb0EES1B_IbLb1EEEEDaS17_S18_EUlS17_E_NS1_11comp_targetILNS1_3genE10ELNS1_11target_archE1200ELNS1_3gpuE4ELNS1_3repE0EEENS1_30default_config_static_selectorELNS0_4arch9wavefront6targetE1EEEvT1_ ; -- Begin function _ZN7rocprim17ROCPRIM_400000_NS6detail17trampoline_kernelINS0_14default_configENS1_25partition_config_selectorILNS1_17partition_subalgoE8ElNS0_10empty_typeEbEEZZNS1_14partition_implILS5_8ELb0ES3_jPlPS6_PKS6_NS0_5tupleIJS9_S6_EEENSD_IJSA_SA_EEENS0_18inequality_wrapperIZN2at6native12_GLOBAL__N_124unique_dim_cuda_templateIjEESt5tupleIJNSH_6TensorESM_SM_EERKSM_lbbbEUlllE0_EEPmJS6_EEE10hipError_tPvRmT3_T4_T5_T6_T7_T9_mT8_P12ihipStream_tbDpT10_ENKUlT_T0_E_clISt17integral_constantIbLb0EES1B_IbLb1EEEEDaS17_S18_EUlS17_E_NS1_11comp_targetILNS1_3genE10ELNS1_11target_archE1200ELNS1_3gpuE4ELNS1_3repE0EEENS1_30default_config_static_selectorELNS0_4arch9wavefront6targetE1EEEvT1_
	.p2align	8
	.type	_ZN7rocprim17ROCPRIM_400000_NS6detail17trampoline_kernelINS0_14default_configENS1_25partition_config_selectorILNS1_17partition_subalgoE8ElNS0_10empty_typeEbEEZZNS1_14partition_implILS5_8ELb0ES3_jPlPS6_PKS6_NS0_5tupleIJS9_S6_EEENSD_IJSA_SA_EEENS0_18inequality_wrapperIZN2at6native12_GLOBAL__N_124unique_dim_cuda_templateIjEESt5tupleIJNSH_6TensorESM_SM_EERKSM_lbbbEUlllE0_EEPmJS6_EEE10hipError_tPvRmT3_T4_T5_T6_T7_T9_mT8_P12ihipStream_tbDpT10_ENKUlT_T0_E_clISt17integral_constantIbLb0EES1B_IbLb1EEEEDaS17_S18_EUlS17_E_NS1_11comp_targetILNS1_3genE10ELNS1_11target_archE1200ELNS1_3gpuE4ELNS1_3repE0EEENS1_30default_config_static_selectorELNS0_4arch9wavefront6targetE1EEEvT1_,@function
_ZN7rocprim17ROCPRIM_400000_NS6detail17trampoline_kernelINS0_14default_configENS1_25partition_config_selectorILNS1_17partition_subalgoE8ElNS0_10empty_typeEbEEZZNS1_14partition_implILS5_8ELb0ES3_jPlPS6_PKS6_NS0_5tupleIJS9_S6_EEENSD_IJSA_SA_EEENS0_18inequality_wrapperIZN2at6native12_GLOBAL__N_124unique_dim_cuda_templateIjEESt5tupleIJNSH_6TensorESM_SM_EERKSM_lbbbEUlllE0_EEPmJS6_EEE10hipError_tPvRmT3_T4_T5_T6_T7_T9_mT8_P12ihipStream_tbDpT10_ENKUlT_T0_E_clISt17integral_constantIbLb0EES1B_IbLb1EEEEDaS17_S18_EUlS17_E_NS1_11comp_targetILNS1_3genE10ELNS1_11target_archE1200ELNS1_3gpuE4ELNS1_3repE0EEENS1_30default_config_static_selectorELNS0_4arch9wavefront6targetE1EEEvT1_: ; @_ZN7rocprim17ROCPRIM_400000_NS6detail17trampoline_kernelINS0_14default_configENS1_25partition_config_selectorILNS1_17partition_subalgoE8ElNS0_10empty_typeEbEEZZNS1_14partition_implILS5_8ELb0ES3_jPlPS6_PKS6_NS0_5tupleIJS9_S6_EEENSD_IJSA_SA_EEENS0_18inequality_wrapperIZN2at6native12_GLOBAL__N_124unique_dim_cuda_templateIjEESt5tupleIJNSH_6TensorESM_SM_EERKSM_lbbbEUlllE0_EEPmJS6_EEE10hipError_tPvRmT3_T4_T5_T6_T7_T9_mT8_P12ihipStream_tbDpT10_ENKUlT_T0_E_clISt17integral_constantIbLb0EES1B_IbLb1EEEEDaS17_S18_EUlS17_E_NS1_11comp_targetILNS1_3genE10ELNS1_11target_archE1200ELNS1_3gpuE4ELNS1_3repE0EEENS1_30default_config_static_selectorELNS0_4arch9wavefront6targetE1EEEvT1_
; %bb.0:
	.section	.rodata,"a",@progbits
	.p2align	6, 0x0
	.amdhsa_kernel _ZN7rocprim17ROCPRIM_400000_NS6detail17trampoline_kernelINS0_14default_configENS1_25partition_config_selectorILNS1_17partition_subalgoE8ElNS0_10empty_typeEbEEZZNS1_14partition_implILS5_8ELb0ES3_jPlPS6_PKS6_NS0_5tupleIJS9_S6_EEENSD_IJSA_SA_EEENS0_18inequality_wrapperIZN2at6native12_GLOBAL__N_124unique_dim_cuda_templateIjEESt5tupleIJNSH_6TensorESM_SM_EERKSM_lbbbEUlllE0_EEPmJS6_EEE10hipError_tPvRmT3_T4_T5_T6_T7_T9_mT8_P12ihipStream_tbDpT10_ENKUlT_T0_E_clISt17integral_constantIbLb0EES1B_IbLb1EEEEDaS17_S18_EUlS17_E_NS1_11comp_targetILNS1_3genE10ELNS1_11target_archE1200ELNS1_3gpuE4ELNS1_3repE0EEENS1_30default_config_static_selectorELNS0_4arch9wavefront6targetE1EEEvT1_
		.amdhsa_group_segment_fixed_size 0
		.amdhsa_private_segment_fixed_size 0
		.amdhsa_kernarg_size 136
		.amdhsa_user_sgpr_count 6
		.amdhsa_user_sgpr_private_segment_buffer 1
		.amdhsa_user_sgpr_dispatch_ptr 0
		.amdhsa_user_sgpr_queue_ptr 0
		.amdhsa_user_sgpr_kernarg_segment_ptr 1
		.amdhsa_user_sgpr_dispatch_id 0
		.amdhsa_user_sgpr_flat_scratch_init 0
		.amdhsa_user_sgpr_kernarg_preload_length 0
		.amdhsa_user_sgpr_kernarg_preload_offset 0
		.amdhsa_user_sgpr_private_segment_size 0
		.amdhsa_uses_dynamic_stack 0
		.amdhsa_system_sgpr_private_segment_wavefront_offset 0
		.amdhsa_system_sgpr_workgroup_id_x 1
		.amdhsa_system_sgpr_workgroup_id_y 0
		.amdhsa_system_sgpr_workgroup_id_z 0
		.amdhsa_system_sgpr_workgroup_info 0
		.amdhsa_system_vgpr_workitem_id 0
		.amdhsa_next_free_vgpr 1
		.amdhsa_next_free_sgpr 0
		.amdhsa_accum_offset 4
		.amdhsa_reserve_vcc 0
		.amdhsa_reserve_flat_scratch 0
		.amdhsa_float_round_mode_32 0
		.amdhsa_float_round_mode_16_64 0
		.amdhsa_float_denorm_mode_32 3
		.amdhsa_float_denorm_mode_16_64 3
		.amdhsa_dx10_clamp 1
		.amdhsa_ieee_mode 1
		.amdhsa_fp16_overflow 0
		.amdhsa_tg_split 0
		.amdhsa_exception_fp_ieee_invalid_op 0
		.amdhsa_exception_fp_denorm_src 0
		.amdhsa_exception_fp_ieee_div_zero 0
		.amdhsa_exception_fp_ieee_overflow 0
		.amdhsa_exception_fp_ieee_underflow 0
		.amdhsa_exception_fp_ieee_inexact 0
		.amdhsa_exception_int_div_zero 0
	.end_amdhsa_kernel
	.section	.text._ZN7rocprim17ROCPRIM_400000_NS6detail17trampoline_kernelINS0_14default_configENS1_25partition_config_selectorILNS1_17partition_subalgoE8ElNS0_10empty_typeEbEEZZNS1_14partition_implILS5_8ELb0ES3_jPlPS6_PKS6_NS0_5tupleIJS9_S6_EEENSD_IJSA_SA_EEENS0_18inequality_wrapperIZN2at6native12_GLOBAL__N_124unique_dim_cuda_templateIjEESt5tupleIJNSH_6TensorESM_SM_EERKSM_lbbbEUlllE0_EEPmJS6_EEE10hipError_tPvRmT3_T4_T5_T6_T7_T9_mT8_P12ihipStream_tbDpT10_ENKUlT_T0_E_clISt17integral_constantIbLb0EES1B_IbLb1EEEEDaS17_S18_EUlS17_E_NS1_11comp_targetILNS1_3genE10ELNS1_11target_archE1200ELNS1_3gpuE4ELNS1_3repE0EEENS1_30default_config_static_selectorELNS0_4arch9wavefront6targetE1EEEvT1_,"axG",@progbits,_ZN7rocprim17ROCPRIM_400000_NS6detail17trampoline_kernelINS0_14default_configENS1_25partition_config_selectorILNS1_17partition_subalgoE8ElNS0_10empty_typeEbEEZZNS1_14partition_implILS5_8ELb0ES3_jPlPS6_PKS6_NS0_5tupleIJS9_S6_EEENSD_IJSA_SA_EEENS0_18inequality_wrapperIZN2at6native12_GLOBAL__N_124unique_dim_cuda_templateIjEESt5tupleIJNSH_6TensorESM_SM_EERKSM_lbbbEUlllE0_EEPmJS6_EEE10hipError_tPvRmT3_T4_T5_T6_T7_T9_mT8_P12ihipStream_tbDpT10_ENKUlT_T0_E_clISt17integral_constantIbLb0EES1B_IbLb1EEEEDaS17_S18_EUlS17_E_NS1_11comp_targetILNS1_3genE10ELNS1_11target_archE1200ELNS1_3gpuE4ELNS1_3repE0EEENS1_30default_config_static_selectorELNS0_4arch9wavefront6targetE1EEEvT1_,comdat
.Lfunc_end1568:
	.size	_ZN7rocprim17ROCPRIM_400000_NS6detail17trampoline_kernelINS0_14default_configENS1_25partition_config_selectorILNS1_17partition_subalgoE8ElNS0_10empty_typeEbEEZZNS1_14partition_implILS5_8ELb0ES3_jPlPS6_PKS6_NS0_5tupleIJS9_S6_EEENSD_IJSA_SA_EEENS0_18inequality_wrapperIZN2at6native12_GLOBAL__N_124unique_dim_cuda_templateIjEESt5tupleIJNSH_6TensorESM_SM_EERKSM_lbbbEUlllE0_EEPmJS6_EEE10hipError_tPvRmT3_T4_T5_T6_T7_T9_mT8_P12ihipStream_tbDpT10_ENKUlT_T0_E_clISt17integral_constantIbLb0EES1B_IbLb1EEEEDaS17_S18_EUlS17_E_NS1_11comp_targetILNS1_3genE10ELNS1_11target_archE1200ELNS1_3gpuE4ELNS1_3repE0EEENS1_30default_config_static_selectorELNS0_4arch9wavefront6targetE1EEEvT1_, .Lfunc_end1568-_ZN7rocprim17ROCPRIM_400000_NS6detail17trampoline_kernelINS0_14default_configENS1_25partition_config_selectorILNS1_17partition_subalgoE8ElNS0_10empty_typeEbEEZZNS1_14partition_implILS5_8ELb0ES3_jPlPS6_PKS6_NS0_5tupleIJS9_S6_EEENSD_IJSA_SA_EEENS0_18inequality_wrapperIZN2at6native12_GLOBAL__N_124unique_dim_cuda_templateIjEESt5tupleIJNSH_6TensorESM_SM_EERKSM_lbbbEUlllE0_EEPmJS6_EEE10hipError_tPvRmT3_T4_T5_T6_T7_T9_mT8_P12ihipStream_tbDpT10_ENKUlT_T0_E_clISt17integral_constantIbLb0EES1B_IbLb1EEEEDaS17_S18_EUlS17_E_NS1_11comp_targetILNS1_3genE10ELNS1_11target_archE1200ELNS1_3gpuE4ELNS1_3repE0EEENS1_30default_config_static_selectorELNS0_4arch9wavefront6targetE1EEEvT1_
                                        ; -- End function
	.section	.AMDGPU.csdata,"",@progbits
; Kernel info:
; codeLenInByte = 0
; NumSgprs: 4
; NumVgprs: 0
; NumAgprs: 0
; TotalNumVgprs: 0
; ScratchSize: 0
; MemoryBound: 0
; FloatMode: 240
; IeeeMode: 1
; LDSByteSize: 0 bytes/workgroup (compile time only)
; SGPRBlocks: 0
; VGPRBlocks: 0
; NumSGPRsForWavesPerEU: 4
; NumVGPRsForWavesPerEU: 1
; AccumOffset: 4
; Occupancy: 8
; WaveLimiterHint : 0
; COMPUTE_PGM_RSRC2:SCRATCH_EN: 0
; COMPUTE_PGM_RSRC2:USER_SGPR: 6
; COMPUTE_PGM_RSRC2:TRAP_HANDLER: 0
; COMPUTE_PGM_RSRC2:TGID_X_EN: 1
; COMPUTE_PGM_RSRC2:TGID_Y_EN: 0
; COMPUTE_PGM_RSRC2:TGID_Z_EN: 0
; COMPUTE_PGM_RSRC2:TIDIG_COMP_CNT: 0
; COMPUTE_PGM_RSRC3_GFX90A:ACCUM_OFFSET: 0
; COMPUTE_PGM_RSRC3_GFX90A:TG_SPLIT: 0
	.section	.text._ZN7rocprim17ROCPRIM_400000_NS6detail17trampoline_kernelINS0_14default_configENS1_25partition_config_selectorILNS1_17partition_subalgoE8ElNS0_10empty_typeEbEEZZNS1_14partition_implILS5_8ELb0ES3_jPlPS6_PKS6_NS0_5tupleIJS9_S6_EEENSD_IJSA_SA_EEENS0_18inequality_wrapperIZN2at6native12_GLOBAL__N_124unique_dim_cuda_templateIjEESt5tupleIJNSH_6TensorESM_SM_EERKSM_lbbbEUlllE0_EEPmJS6_EEE10hipError_tPvRmT3_T4_T5_T6_T7_T9_mT8_P12ihipStream_tbDpT10_ENKUlT_T0_E_clISt17integral_constantIbLb0EES1B_IbLb1EEEEDaS17_S18_EUlS17_E_NS1_11comp_targetILNS1_3genE9ELNS1_11target_archE1100ELNS1_3gpuE3ELNS1_3repE0EEENS1_30default_config_static_selectorELNS0_4arch9wavefront6targetE1EEEvT1_,"axG",@progbits,_ZN7rocprim17ROCPRIM_400000_NS6detail17trampoline_kernelINS0_14default_configENS1_25partition_config_selectorILNS1_17partition_subalgoE8ElNS0_10empty_typeEbEEZZNS1_14partition_implILS5_8ELb0ES3_jPlPS6_PKS6_NS0_5tupleIJS9_S6_EEENSD_IJSA_SA_EEENS0_18inequality_wrapperIZN2at6native12_GLOBAL__N_124unique_dim_cuda_templateIjEESt5tupleIJNSH_6TensorESM_SM_EERKSM_lbbbEUlllE0_EEPmJS6_EEE10hipError_tPvRmT3_T4_T5_T6_T7_T9_mT8_P12ihipStream_tbDpT10_ENKUlT_T0_E_clISt17integral_constantIbLb0EES1B_IbLb1EEEEDaS17_S18_EUlS17_E_NS1_11comp_targetILNS1_3genE9ELNS1_11target_archE1100ELNS1_3gpuE3ELNS1_3repE0EEENS1_30default_config_static_selectorELNS0_4arch9wavefront6targetE1EEEvT1_,comdat
	.globl	_ZN7rocprim17ROCPRIM_400000_NS6detail17trampoline_kernelINS0_14default_configENS1_25partition_config_selectorILNS1_17partition_subalgoE8ElNS0_10empty_typeEbEEZZNS1_14partition_implILS5_8ELb0ES3_jPlPS6_PKS6_NS0_5tupleIJS9_S6_EEENSD_IJSA_SA_EEENS0_18inequality_wrapperIZN2at6native12_GLOBAL__N_124unique_dim_cuda_templateIjEESt5tupleIJNSH_6TensorESM_SM_EERKSM_lbbbEUlllE0_EEPmJS6_EEE10hipError_tPvRmT3_T4_T5_T6_T7_T9_mT8_P12ihipStream_tbDpT10_ENKUlT_T0_E_clISt17integral_constantIbLb0EES1B_IbLb1EEEEDaS17_S18_EUlS17_E_NS1_11comp_targetILNS1_3genE9ELNS1_11target_archE1100ELNS1_3gpuE3ELNS1_3repE0EEENS1_30default_config_static_selectorELNS0_4arch9wavefront6targetE1EEEvT1_ ; -- Begin function _ZN7rocprim17ROCPRIM_400000_NS6detail17trampoline_kernelINS0_14default_configENS1_25partition_config_selectorILNS1_17partition_subalgoE8ElNS0_10empty_typeEbEEZZNS1_14partition_implILS5_8ELb0ES3_jPlPS6_PKS6_NS0_5tupleIJS9_S6_EEENSD_IJSA_SA_EEENS0_18inequality_wrapperIZN2at6native12_GLOBAL__N_124unique_dim_cuda_templateIjEESt5tupleIJNSH_6TensorESM_SM_EERKSM_lbbbEUlllE0_EEPmJS6_EEE10hipError_tPvRmT3_T4_T5_T6_T7_T9_mT8_P12ihipStream_tbDpT10_ENKUlT_T0_E_clISt17integral_constantIbLb0EES1B_IbLb1EEEEDaS17_S18_EUlS17_E_NS1_11comp_targetILNS1_3genE9ELNS1_11target_archE1100ELNS1_3gpuE3ELNS1_3repE0EEENS1_30default_config_static_selectorELNS0_4arch9wavefront6targetE1EEEvT1_
	.p2align	8
	.type	_ZN7rocprim17ROCPRIM_400000_NS6detail17trampoline_kernelINS0_14default_configENS1_25partition_config_selectorILNS1_17partition_subalgoE8ElNS0_10empty_typeEbEEZZNS1_14partition_implILS5_8ELb0ES3_jPlPS6_PKS6_NS0_5tupleIJS9_S6_EEENSD_IJSA_SA_EEENS0_18inequality_wrapperIZN2at6native12_GLOBAL__N_124unique_dim_cuda_templateIjEESt5tupleIJNSH_6TensorESM_SM_EERKSM_lbbbEUlllE0_EEPmJS6_EEE10hipError_tPvRmT3_T4_T5_T6_T7_T9_mT8_P12ihipStream_tbDpT10_ENKUlT_T0_E_clISt17integral_constantIbLb0EES1B_IbLb1EEEEDaS17_S18_EUlS17_E_NS1_11comp_targetILNS1_3genE9ELNS1_11target_archE1100ELNS1_3gpuE3ELNS1_3repE0EEENS1_30default_config_static_selectorELNS0_4arch9wavefront6targetE1EEEvT1_,@function
_ZN7rocprim17ROCPRIM_400000_NS6detail17trampoline_kernelINS0_14default_configENS1_25partition_config_selectorILNS1_17partition_subalgoE8ElNS0_10empty_typeEbEEZZNS1_14partition_implILS5_8ELb0ES3_jPlPS6_PKS6_NS0_5tupleIJS9_S6_EEENSD_IJSA_SA_EEENS0_18inequality_wrapperIZN2at6native12_GLOBAL__N_124unique_dim_cuda_templateIjEESt5tupleIJNSH_6TensorESM_SM_EERKSM_lbbbEUlllE0_EEPmJS6_EEE10hipError_tPvRmT3_T4_T5_T6_T7_T9_mT8_P12ihipStream_tbDpT10_ENKUlT_T0_E_clISt17integral_constantIbLb0EES1B_IbLb1EEEEDaS17_S18_EUlS17_E_NS1_11comp_targetILNS1_3genE9ELNS1_11target_archE1100ELNS1_3gpuE3ELNS1_3repE0EEENS1_30default_config_static_selectorELNS0_4arch9wavefront6targetE1EEEvT1_: ; @_ZN7rocprim17ROCPRIM_400000_NS6detail17trampoline_kernelINS0_14default_configENS1_25partition_config_selectorILNS1_17partition_subalgoE8ElNS0_10empty_typeEbEEZZNS1_14partition_implILS5_8ELb0ES3_jPlPS6_PKS6_NS0_5tupleIJS9_S6_EEENSD_IJSA_SA_EEENS0_18inequality_wrapperIZN2at6native12_GLOBAL__N_124unique_dim_cuda_templateIjEESt5tupleIJNSH_6TensorESM_SM_EERKSM_lbbbEUlllE0_EEPmJS6_EEE10hipError_tPvRmT3_T4_T5_T6_T7_T9_mT8_P12ihipStream_tbDpT10_ENKUlT_T0_E_clISt17integral_constantIbLb0EES1B_IbLb1EEEEDaS17_S18_EUlS17_E_NS1_11comp_targetILNS1_3genE9ELNS1_11target_archE1100ELNS1_3gpuE3ELNS1_3repE0EEENS1_30default_config_static_selectorELNS0_4arch9wavefront6targetE1EEEvT1_
; %bb.0:
	.section	.rodata,"a",@progbits
	.p2align	6, 0x0
	.amdhsa_kernel _ZN7rocprim17ROCPRIM_400000_NS6detail17trampoline_kernelINS0_14default_configENS1_25partition_config_selectorILNS1_17partition_subalgoE8ElNS0_10empty_typeEbEEZZNS1_14partition_implILS5_8ELb0ES3_jPlPS6_PKS6_NS0_5tupleIJS9_S6_EEENSD_IJSA_SA_EEENS0_18inequality_wrapperIZN2at6native12_GLOBAL__N_124unique_dim_cuda_templateIjEESt5tupleIJNSH_6TensorESM_SM_EERKSM_lbbbEUlllE0_EEPmJS6_EEE10hipError_tPvRmT3_T4_T5_T6_T7_T9_mT8_P12ihipStream_tbDpT10_ENKUlT_T0_E_clISt17integral_constantIbLb0EES1B_IbLb1EEEEDaS17_S18_EUlS17_E_NS1_11comp_targetILNS1_3genE9ELNS1_11target_archE1100ELNS1_3gpuE3ELNS1_3repE0EEENS1_30default_config_static_selectorELNS0_4arch9wavefront6targetE1EEEvT1_
		.amdhsa_group_segment_fixed_size 0
		.amdhsa_private_segment_fixed_size 0
		.amdhsa_kernarg_size 136
		.amdhsa_user_sgpr_count 6
		.amdhsa_user_sgpr_private_segment_buffer 1
		.amdhsa_user_sgpr_dispatch_ptr 0
		.amdhsa_user_sgpr_queue_ptr 0
		.amdhsa_user_sgpr_kernarg_segment_ptr 1
		.amdhsa_user_sgpr_dispatch_id 0
		.amdhsa_user_sgpr_flat_scratch_init 0
		.amdhsa_user_sgpr_kernarg_preload_length 0
		.amdhsa_user_sgpr_kernarg_preload_offset 0
		.amdhsa_user_sgpr_private_segment_size 0
		.amdhsa_uses_dynamic_stack 0
		.amdhsa_system_sgpr_private_segment_wavefront_offset 0
		.amdhsa_system_sgpr_workgroup_id_x 1
		.amdhsa_system_sgpr_workgroup_id_y 0
		.amdhsa_system_sgpr_workgroup_id_z 0
		.amdhsa_system_sgpr_workgroup_info 0
		.amdhsa_system_vgpr_workitem_id 0
		.amdhsa_next_free_vgpr 1
		.amdhsa_next_free_sgpr 0
		.amdhsa_accum_offset 4
		.amdhsa_reserve_vcc 0
		.amdhsa_reserve_flat_scratch 0
		.amdhsa_float_round_mode_32 0
		.amdhsa_float_round_mode_16_64 0
		.amdhsa_float_denorm_mode_32 3
		.amdhsa_float_denorm_mode_16_64 3
		.amdhsa_dx10_clamp 1
		.amdhsa_ieee_mode 1
		.amdhsa_fp16_overflow 0
		.amdhsa_tg_split 0
		.amdhsa_exception_fp_ieee_invalid_op 0
		.amdhsa_exception_fp_denorm_src 0
		.amdhsa_exception_fp_ieee_div_zero 0
		.amdhsa_exception_fp_ieee_overflow 0
		.amdhsa_exception_fp_ieee_underflow 0
		.amdhsa_exception_fp_ieee_inexact 0
		.amdhsa_exception_int_div_zero 0
	.end_amdhsa_kernel
	.section	.text._ZN7rocprim17ROCPRIM_400000_NS6detail17trampoline_kernelINS0_14default_configENS1_25partition_config_selectorILNS1_17partition_subalgoE8ElNS0_10empty_typeEbEEZZNS1_14partition_implILS5_8ELb0ES3_jPlPS6_PKS6_NS0_5tupleIJS9_S6_EEENSD_IJSA_SA_EEENS0_18inequality_wrapperIZN2at6native12_GLOBAL__N_124unique_dim_cuda_templateIjEESt5tupleIJNSH_6TensorESM_SM_EERKSM_lbbbEUlllE0_EEPmJS6_EEE10hipError_tPvRmT3_T4_T5_T6_T7_T9_mT8_P12ihipStream_tbDpT10_ENKUlT_T0_E_clISt17integral_constantIbLb0EES1B_IbLb1EEEEDaS17_S18_EUlS17_E_NS1_11comp_targetILNS1_3genE9ELNS1_11target_archE1100ELNS1_3gpuE3ELNS1_3repE0EEENS1_30default_config_static_selectorELNS0_4arch9wavefront6targetE1EEEvT1_,"axG",@progbits,_ZN7rocprim17ROCPRIM_400000_NS6detail17trampoline_kernelINS0_14default_configENS1_25partition_config_selectorILNS1_17partition_subalgoE8ElNS0_10empty_typeEbEEZZNS1_14partition_implILS5_8ELb0ES3_jPlPS6_PKS6_NS0_5tupleIJS9_S6_EEENSD_IJSA_SA_EEENS0_18inequality_wrapperIZN2at6native12_GLOBAL__N_124unique_dim_cuda_templateIjEESt5tupleIJNSH_6TensorESM_SM_EERKSM_lbbbEUlllE0_EEPmJS6_EEE10hipError_tPvRmT3_T4_T5_T6_T7_T9_mT8_P12ihipStream_tbDpT10_ENKUlT_T0_E_clISt17integral_constantIbLb0EES1B_IbLb1EEEEDaS17_S18_EUlS17_E_NS1_11comp_targetILNS1_3genE9ELNS1_11target_archE1100ELNS1_3gpuE3ELNS1_3repE0EEENS1_30default_config_static_selectorELNS0_4arch9wavefront6targetE1EEEvT1_,comdat
.Lfunc_end1569:
	.size	_ZN7rocprim17ROCPRIM_400000_NS6detail17trampoline_kernelINS0_14default_configENS1_25partition_config_selectorILNS1_17partition_subalgoE8ElNS0_10empty_typeEbEEZZNS1_14partition_implILS5_8ELb0ES3_jPlPS6_PKS6_NS0_5tupleIJS9_S6_EEENSD_IJSA_SA_EEENS0_18inequality_wrapperIZN2at6native12_GLOBAL__N_124unique_dim_cuda_templateIjEESt5tupleIJNSH_6TensorESM_SM_EERKSM_lbbbEUlllE0_EEPmJS6_EEE10hipError_tPvRmT3_T4_T5_T6_T7_T9_mT8_P12ihipStream_tbDpT10_ENKUlT_T0_E_clISt17integral_constantIbLb0EES1B_IbLb1EEEEDaS17_S18_EUlS17_E_NS1_11comp_targetILNS1_3genE9ELNS1_11target_archE1100ELNS1_3gpuE3ELNS1_3repE0EEENS1_30default_config_static_selectorELNS0_4arch9wavefront6targetE1EEEvT1_, .Lfunc_end1569-_ZN7rocprim17ROCPRIM_400000_NS6detail17trampoline_kernelINS0_14default_configENS1_25partition_config_selectorILNS1_17partition_subalgoE8ElNS0_10empty_typeEbEEZZNS1_14partition_implILS5_8ELb0ES3_jPlPS6_PKS6_NS0_5tupleIJS9_S6_EEENSD_IJSA_SA_EEENS0_18inequality_wrapperIZN2at6native12_GLOBAL__N_124unique_dim_cuda_templateIjEESt5tupleIJNSH_6TensorESM_SM_EERKSM_lbbbEUlllE0_EEPmJS6_EEE10hipError_tPvRmT3_T4_T5_T6_T7_T9_mT8_P12ihipStream_tbDpT10_ENKUlT_T0_E_clISt17integral_constantIbLb0EES1B_IbLb1EEEEDaS17_S18_EUlS17_E_NS1_11comp_targetILNS1_3genE9ELNS1_11target_archE1100ELNS1_3gpuE3ELNS1_3repE0EEENS1_30default_config_static_selectorELNS0_4arch9wavefront6targetE1EEEvT1_
                                        ; -- End function
	.section	.AMDGPU.csdata,"",@progbits
; Kernel info:
; codeLenInByte = 0
; NumSgprs: 4
; NumVgprs: 0
; NumAgprs: 0
; TotalNumVgprs: 0
; ScratchSize: 0
; MemoryBound: 0
; FloatMode: 240
; IeeeMode: 1
; LDSByteSize: 0 bytes/workgroup (compile time only)
; SGPRBlocks: 0
; VGPRBlocks: 0
; NumSGPRsForWavesPerEU: 4
; NumVGPRsForWavesPerEU: 1
; AccumOffset: 4
; Occupancy: 8
; WaveLimiterHint : 0
; COMPUTE_PGM_RSRC2:SCRATCH_EN: 0
; COMPUTE_PGM_RSRC2:USER_SGPR: 6
; COMPUTE_PGM_RSRC2:TRAP_HANDLER: 0
; COMPUTE_PGM_RSRC2:TGID_X_EN: 1
; COMPUTE_PGM_RSRC2:TGID_Y_EN: 0
; COMPUTE_PGM_RSRC2:TGID_Z_EN: 0
; COMPUTE_PGM_RSRC2:TIDIG_COMP_CNT: 0
; COMPUTE_PGM_RSRC3_GFX90A:ACCUM_OFFSET: 0
; COMPUTE_PGM_RSRC3_GFX90A:TG_SPLIT: 0
	.section	.text._ZN7rocprim17ROCPRIM_400000_NS6detail17trampoline_kernelINS0_14default_configENS1_25partition_config_selectorILNS1_17partition_subalgoE8ElNS0_10empty_typeEbEEZZNS1_14partition_implILS5_8ELb0ES3_jPlPS6_PKS6_NS0_5tupleIJS9_S6_EEENSD_IJSA_SA_EEENS0_18inequality_wrapperIZN2at6native12_GLOBAL__N_124unique_dim_cuda_templateIjEESt5tupleIJNSH_6TensorESM_SM_EERKSM_lbbbEUlllE0_EEPmJS6_EEE10hipError_tPvRmT3_T4_T5_T6_T7_T9_mT8_P12ihipStream_tbDpT10_ENKUlT_T0_E_clISt17integral_constantIbLb0EES1B_IbLb1EEEEDaS17_S18_EUlS17_E_NS1_11comp_targetILNS1_3genE8ELNS1_11target_archE1030ELNS1_3gpuE2ELNS1_3repE0EEENS1_30default_config_static_selectorELNS0_4arch9wavefront6targetE1EEEvT1_,"axG",@progbits,_ZN7rocprim17ROCPRIM_400000_NS6detail17trampoline_kernelINS0_14default_configENS1_25partition_config_selectorILNS1_17partition_subalgoE8ElNS0_10empty_typeEbEEZZNS1_14partition_implILS5_8ELb0ES3_jPlPS6_PKS6_NS0_5tupleIJS9_S6_EEENSD_IJSA_SA_EEENS0_18inequality_wrapperIZN2at6native12_GLOBAL__N_124unique_dim_cuda_templateIjEESt5tupleIJNSH_6TensorESM_SM_EERKSM_lbbbEUlllE0_EEPmJS6_EEE10hipError_tPvRmT3_T4_T5_T6_T7_T9_mT8_P12ihipStream_tbDpT10_ENKUlT_T0_E_clISt17integral_constantIbLb0EES1B_IbLb1EEEEDaS17_S18_EUlS17_E_NS1_11comp_targetILNS1_3genE8ELNS1_11target_archE1030ELNS1_3gpuE2ELNS1_3repE0EEENS1_30default_config_static_selectorELNS0_4arch9wavefront6targetE1EEEvT1_,comdat
	.globl	_ZN7rocprim17ROCPRIM_400000_NS6detail17trampoline_kernelINS0_14default_configENS1_25partition_config_selectorILNS1_17partition_subalgoE8ElNS0_10empty_typeEbEEZZNS1_14partition_implILS5_8ELb0ES3_jPlPS6_PKS6_NS0_5tupleIJS9_S6_EEENSD_IJSA_SA_EEENS0_18inequality_wrapperIZN2at6native12_GLOBAL__N_124unique_dim_cuda_templateIjEESt5tupleIJNSH_6TensorESM_SM_EERKSM_lbbbEUlllE0_EEPmJS6_EEE10hipError_tPvRmT3_T4_T5_T6_T7_T9_mT8_P12ihipStream_tbDpT10_ENKUlT_T0_E_clISt17integral_constantIbLb0EES1B_IbLb1EEEEDaS17_S18_EUlS17_E_NS1_11comp_targetILNS1_3genE8ELNS1_11target_archE1030ELNS1_3gpuE2ELNS1_3repE0EEENS1_30default_config_static_selectorELNS0_4arch9wavefront6targetE1EEEvT1_ ; -- Begin function _ZN7rocprim17ROCPRIM_400000_NS6detail17trampoline_kernelINS0_14default_configENS1_25partition_config_selectorILNS1_17partition_subalgoE8ElNS0_10empty_typeEbEEZZNS1_14partition_implILS5_8ELb0ES3_jPlPS6_PKS6_NS0_5tupleIJS9_S6_EEENSD_IJSA_SA_EEENS0_18inequality_wrapperIZN2at6native12_GLOBAL__N_124unique_dim_cuda_templateIjEESt5tupleIJNSH_6TensorESM_SM_EERKSM_lbbbEUlllE0_EEPmJS6_EEE10hipError_tPvRmT3_T4_T5_T6_T7_T9_mT8_P12ihipStream_tbDpT10_ENKUlT_T0_E_clISt17integral_constantIbLb0EES1B_IbLb1EEEEDaS17_S18_EUlS17_E_NS1_11comp_targetILNS1_3genE8ELNS1_11target_archE1030ELNS1_3gpuE2ELNS1_3repE0EEENS1_30default_config_static_selectorELNS0_4arch9wavefront6targetE1EEEvT1_
	.p2align	8
	.type	_ZN7rocprim17ROCPRIM_400000_NS6detail17trampoline_kernelINS0_14default_configENS1_25partition_config_selectorILNS1_17partition_subalgoE8ElNS0_10empty_typeEbEEZZNS1_14partition_implILS5_8ELb0ES3_jPlPS6_PKS6_NS0_5tupleIJS9_S6_EEENSD_IJSA_SA_EEENS0_18inequality_wrapperIZN2at6native12_GLOBAL__N_124unique_dim_cuda_templateIjEESt5tupleIJNSH_6TensorESM_SM_EERKSM_lbbbEUlllE0_EEPmJS6_EEE10hipError_tPvRmT3_T4_T5_T6_T7_T9_mT8_P12ihipStream_tbDpT10_ENKUlT_T0_E_clISt17integral_constantIbLb0EES1B_IbLb1EEEEDaS17_S18_EUlS17_E_NS1_11comp_targetILNS1_3genE8ELNS1_11target_archE1030ELNS1_3gpuE2ELNS1_3repE0EEENS1_30default_config_static_selectorELNS0_4arch9wavefront6targetE1EEEvT1_,@function
_ZN7rocprim17ROCPRIM_400000_NS6detail17trampoline_kernelINS0_14default_configENS1_25partition_config_selectorILNS1_17partition_subalgoE8ElNS0_10empty_typeEbEEZZNS1_14partition_implILS5_8ELb0ES3_jPlPS6_PKS6_NS0_5tupleIJS9_S6_EEENSD_IJSA_SA_EEENS0_18inequality_wrapperIZN2at6native12_GLOBAL__N_124unique_dim_cuda_templateIjEESt5tupleIJNSH_6TensorESM_SM_EERKSM_lbbbEUlllE0_EEPmJS6_EEE10hipError_tPvRmT3_T4_T5_T6_T7_T9_mT8_P12ihipStream_tbDpT10_ENKUlT_T0_E_clISt17integral_constantIbLb0EES1B_IbLb1EEEEDaS17_S18_EUlS17_E_NS1_11comp_targetILNS1_3genE8ELNS1_11target_archE1030ELNS1_3gpuE2ELNS1_3repE0EEENS1_30default_config_static_selectorELNS0_4arch9wavefront6targetE1EEEvT1_: ; @_ZN7rocprim17ROCPRIM_400000_NS6detail17trampoline_kernelINS0_14default_configENS1_25partition_config_selectorILNS1_17partition_subalgoE8ElNS0_10empty_typeEbEEZZNS1_14partition_implILS5_8ELb0ES3_jPlPS6_PKS6_NS0_5tupleIJS9_S6_EEENSD_IJSA_SA_EEENS0_18inequality_wrapperIZN2at6native12_GLOBAL__N_124unique_dim_cuda_templateIjEESt5tupleIJNSH_6TensorESM_SM_EERKSM_lbbbEUlllE0_EEPmJS6_EEE10hipError_tPvRmT3_T4_T5_T6_T7_T9_mT8_P12ihipStream_tbDpT10_ENKUlT_T0_E_clISt17integral_constantIbLb0EES1B_IbLb1EEEEDaS17_S18_EUlS17_E_NS1_11comp_targetILNS1_3genE8ELNS1_11target_archE1030ELNS1_3gpuE2ELNS1_3repE0EEENS1_30default_config_static_selectorELNS0_4arch9wavefront6targetE1EEEvT1_
; %bb.0:
	.section	.rodata,"a",@progbits
	.p2align	6, 0x0
	.amdhsa_kernel _ZN7rocprim17ROCPRIM_400000_NS6detail17trampoline_kernelINS0_14default_configENS1_25partition_config_selectorILNS1_17partition_subalgoE8ElNS0_10empty_typeEbEEZZNS1_14partition_implILS5_8ELb0ES3_jPlPS6_PKS6_NS0_5tupleIJS9_S6_EEENSD_IJSA_SA_EEENS0_18inequality_wrapperIZN2at6native12_GLOBAL__N_124unique_dim_cuda_templateIjEESt5tupleIJNSH_6TensorESM_SM_EERKSM_lbbbEUlllE0_EEPmJS6_EEE10hipError_tPvRmT3_T4_T5_T6_T7_T9_mT8_P12ihipStream_tbDpT10_ENKUlT_T0_E_clISt17integral_constantIbLb0EES1B_IbLb1EEEEDaS17_S18_EUlS17_E_NS1_11comp_targetILNS1_3genE8ELNS1_11target_archE1030ELNS1_3gpuE2ELNS1_3repE0EEENS1_30default_config_static_selectorELNS0_4arch9wavefront6targetE1EEEvT1_
		.amdhsa_group_segment_fixed_size 0
		.amdhsa_private_segment_fixed_size 0
		.amdhsa_kernarg_size 136
		.amdhsa_user_sgpr_count 6
		.amdhsa_user_sgpr_private_segment_buffer 1
		.amdhsa_user_sgpr_dispatch_ptr 0
		.amdhsa_user_sgpr_queue_ptr 0
		.amdhsa_user_sgpr_kernarg_segment_ptr 1
		.amdhsa_user_sgpr_dispatch_id 0
		.amdhsa_user_sgpr_flat_scratch_init 0
		.amdhsa_user_sgpr_kernarg_preload_length 0
		.amdhsa_user_sgpr_kernarg_preload_offset 0
		.amdhsa_user_sgpr_private_segment_size 0
		.amdhsa_uses_dynamic_stack 0
		.amdhsa_system_sgpr_private_segment_wavefront_offset 0
		.amdhsa_system_sgpr_workgroup_id_x 1
		.amdhsa_system_sgpr_workgroup_id_y 0
		.amdhsa_system_sgpr_workgroup_id_z 0
		.amdhsa_system_sgpr_workgroup_info 0
		.amdhsa_system_vgpr_workitem_id 0
		.amdhsa_next_free_vgpr 1
		.amdhsa_next_free_sgpr 0
		.amdhsa_accum_offset 4
		.amdhsa_reserve_vcc 0
		.amdhsa_reserve_flat_scratch 0
		.amdhsa_float_round_mode_32 0
		.amdhsa_float_round_mode_16_64 0
		.amdhsa_float_denorm_mode_32 3
		.amdhsa_float_denorm_mode_16_64 3
		.amdhsa_dx10_clamp 1
		.amdhsa_ieee_mode 1
		.amdhsa_fp16_overflow 0
		.amdhsa_tg_split 0
		.amdhsa_exception_fp_ieee_invalid_op 0
		.amdhsa_exception_fp_denorm_src 0
		.amdhsa_exception_fp_ieee_div_zero 0
		.amdhsa_exception_fp_ieee_overflow 0
		.amdhsa_exception_fp_ieee_underflow 0
		.amdhsa_exception_fp_ieee_inexact 0
		.amdhsa_exception_int_div_zero 0
	.end_amdhsa_kernel
	.section	.text._ZN7rocprim17ROCPRIM_400000_NS6detail17trampoline_kernelINS0_14default_configENS1_25partition_config_selectorILNS1_17partition_subalgoE8ElNS0_10empty_typeEbEEZZNS1_14partition_implILS5_8ELb0ES3_jPlPS6_PKS6_NS0_5tupleIJS9_S6_EEENSD_IJSA_SA_EEENS0_18inequality_wrapperIZN2at6native12_GLOBAL__N_124unique_dim_cuda_templateIjEESt5tupleIJNSH_6TensorESM_SM_EERKSM_lbbbEUlllE0_EEPmJS6_EEE10hipError_tPvRmT3_T4_T5_T6_T7_T9_mT8_P12ihipStream_tbDpT10_ENKUlT_T0_E_clISt17integral_constantIbLb0EES1B_IbLb1EEEEDaS17_S18_EUlS17_E_NS1_11comp_targetILNS1_3genE8ELNS1_11target_archE1030ELNS1_3gpuE2ELNS1_3repE0EEENS1_30default_config_static_selectorELNS0_4arch9wavefront6targetE1EEEvT1_,"axG",@progbits,_ZN7rocprim17ROCPRIM_400000_NS6detail17trampoline_kernelINS0_14default_configENS1_25partition_config_selectorILNS1_17partition_subalgoE8ElNS0_10empty_typeEbEEZZNS1_14partition_implILS5_8ELb0ES3_jPlPS6_PKS6_NS0_5tupleIJS9_S6_EEENSD_IJSA_SA_EEENS0_18inequality_wrapperIZN2at6native12_GLOBAL__N_124unique_dim_cuda_templateIjEESt5tupleIJNSH_6TensorESM_SM_EERKSM_lbbbEUlllE0_EEPmJS6_EEE10hipError_tPvRmT3_T4_T5_T6_T7_T9_mT8_P12ihipStream_tbDpT10_ENKUlT_T0_E_clISt17integral_constantIbLb0EES1B_IbLb1EEEEDaS17_S18_EUlS17_E_NS1_11comp_targetILNS1_3genE8ELNS1_11target_archE1030ELNS1_3gpuE2ELNS1_3repE0EEENS1_30default_config_static_selectorELNS0_4arch9wavefront6targetE1EEEvT1_,comdat
.Lfunc_end1570:
	.size	_ZN7rocprim17ROCPRIM_400000_NS6detail17trampoline_kernelINS0_14default_configENS1_25partition_config_selectorILNS1_17partition_subalgoE8ElNS0_10empty_typeEbEEZZNS1_14partition_implILS5_8ELb0ES3_jPlPS6_PKS6_NS0_5tupleIJS9_S6_EEENSD_IJSA_SA_EEENS0_18inequality_wrapperIZN2at6native12_GLOBAL__N_124unique_dim_cuda_templateIjEESt5tupleIJNSH_6TensorESM_SM_EERKSM_lbbbEUlllE0_EEPmJS6_EEE10hipError_tPvRmT3_T4_T5_T6_T7_T9_mT8_P12ihipStream_tbDpT10_ENKUlT_T0_E_clISt17integral_constantIbLb0EES1B_IbLb1EEEEDaS17_S18_EUlS17_E_NS1_11comp_targetILNS1_3genE8ELNS1_11target_archE1030ELNS1_3gpuE2ELNS1_3repE0EEENS1_30default_config_static_selectorELNS0_4arch9wavefront6targetE1EEEvT1_, .Lfunc_end1570-_ZN7rocprim17ROCPRIM_400000_NS6detail17trampoline_kernelINS0_14default_configENS1_25partition_config_selectorILNS1_17partition_subalgoE8ElNS0_10empty_typeEbEEZZNS1_14partition_implILS5_8ELb0ES3_jPlPS6_PKS6_NS0_5tupleIJS9_S6_EEENSD_IJSA_SA_EEENS0_18inequality_wrapperIZN2at6native12_GLOBAL__N_124unique_dim_cuda_templateIjEESt5tupleIJNSH_6TensorESM_SM_EERKSM_lbbbEUlllE0_EEPmJS6_EEE10hipError_tPvRmT3_T4_T5_T6_T7_T9_mT8_P12ihipStream_tbDpT10_ENKUlT_T0_E_clISt17integral_constantIbLb0EES1B_IbLb1EEEEDaS17_S18_EUlS17_E_NS1_11comp_targetILNS1_3genE8ELNS1_11target_archE1030ELNS1_3gpuE2ELNS1_3repE0EEENS1_30default_config_static_selectorELNS0_4arch9wavefront6targetE1EEEvT1_
                                        ; -- End function
	.section	.AMDGPU.csdata,"",@progbits
; Kernel info:
; codeLenInByte = 0
; NumSgprs: 4
; NumVgprs: 0
; NumAgprs: 0
; TotalNumVgprs: 0
; ScratchSize: 0
; MemoryBound: 0
; FloatMode: 240
; IeeeMode: 1
; LDSByteSize: 0 bytes/workgroup (compile time only)
; SGPRBlocks: 0
; VGPRBlocks: 0
; NumSGPRsForWavesPerEU: 4
; NumVGPRsForWavesPerEU: 1
; AccumOffset: 4
; Occupancy: 8
; WaveLimiterHint : 0
; COMPUTE_PGM_RSRC2:SCRATCH_EN: 0
; COMPUTE_PGM_RSRC2:USER_SGPR: 6
; COMPUTE_PGM_RSRC2:TRAP_HANDLER: 0
; COMPUTE_PGM_RSRC2:TGID_X_EN: 1
; COMPUTE_PGM_RSRC2:TGID_Y_EN: 0
; COMPUTE_PGM_RSRC2:TGID_Z_EN: 0
; COMPUTE_PGM_RSRC2:TIDIG_COMP_CNT: 0
; COMPUTE_PGM_RSRC3_GFX90A:ACCUM_OFFSET: 0
; COMPUTE_PGM_RSRC3_GFX90A:TG_SPLIT: 0
	.section	.text._ZN7rocprim17ROCPRIM_400000_NS6detail17trampoline_kernelINS0_14default_configENS1_25partition_config_selectorILNS1_17partition_subalgoE9EllbEEZZNS1_14partition_implILS5_9ELb0ES3_jPlS8_PNS0_10empty_typeENS0_5tupleIJS8_S9_EEENSB_IJS8_SA_EEENS0_18inequality_wrapperIZN2at6native12_GLOBAL__N_124unique_dim_cuda_templateIjEESt5tupleIJNSF_6TensorESK_SK_EERKSK_lbbbEUlllE0_EEPmJS9_EEE10hipError_tPvRmT3_T4_T5_T6_T7_T9_mT8_P12ihipStream_tbDpT10_ENKUlT_T0_E_clISt17integral_constantIbLb0EES1A_EEDaS15_S16_EUlS15_E_NS1_11comp_targetILNS1_3genE0ELNS1_11target_archE4294967295ELNS1_3gpuE0ELNS1_3repE0EEENS1_30default_config_static_selectorELNS0_4arch9wavefront6targetE1EEEvT1_,"axG",@progbits,_ZN7rocprim17ROCPRIM_400000_NS6detail17trampoline_kernelINS0_14default_configENS1_25partition_config_selectorILNS1_17partition_subalgoE9EllbEEZZNS1_14partition_implILS5_9ELb0ES3_jPlS8_PNS0_10empty_typeENS0_5tupleIJS8_S9_EEENSB_IJS8_SA_EEENS0_18inequality_wrapperIZN2at6native12_GLOBAL__N_124unique_dim_cuda_templateIjEESt5tupleIJNSF_6TensorESK_SK_EERKSK_lbbbEUlllE0_EEPmJS9_EEE10hipError_tPvRmT3_T4_T5_T6_T7_T9_mT8_P12ihipStream_tbDpT10_ENKUlT_T0_E_clISt17integral_constantIbLb0EES1A_EEDaS15_S16_EUlS15_E_NS1_11comp_targetILNS1_3genE0ELNS1_11target_archE4294967295ELNS1_3gpuE0ELNS1_3repE0EEENS1_30default_config_static_selectorELNS0_4arch9wavefront6targetE1EEEvT1_,comdat
	.globl	_ZN7rocprim17ROCPRIM_400000_NS6detail17trampoline_kernelINS0_14default_configENS1_25partition_config_selectorILNS1_17partition_subalgoE9EllbEEZZNS1_14partition_implILS5_9ELb0ES3_jPlS8_PNS0_10empty_typeENS0_5tupleIJS8_S9_EEENSB_IJS8_SA_EEENS0_18inequality_wrapperIZN2at6native12_GLOBAL__N_124unique_dim_cuda_templateIjEESt5tupleIJNSF_6TensorESK_SK_EERKSK_lbbbEUlllE0_EEPmJS9_EEE10hipError_tPvRmT3_T4_T5_T6_T7_T9_mT8_P12ihipStream_tbDpT10_ENKUlT_T0_E_clISt17integral_constantIbLb0EES1A_EEDaS15_S16_EUlS15_E_NS1_11comp_targetILNS1_3genE0ELNS1_11target_archE4294967295ELNS1_3gpuE0ELNS1_3repE0EEENS1_30default_config_static_selectorELNS0_4arch9wavefront6targetE1EEEvT1_ ; -- Begin function _ZN7rocprim17ROCPRIM_400000_NS6detail17trampoline_kernelINS0_14default_configENS1_25partition_config_selectorILNS1_17partition_subalgoE9EllbEEZZNS1_14partition_implILS5_9ELb0ES3_jPlS8_PNS0_10empty_typeENS0_5tupleIJS8_S9_EEENSB_IJS8_SA_EEENS0_18inequality_wrapperIZN2at6native12_GLOBAL__N_124unique_dim_cuda_templateIjEESt5tupleIJNSF_6TensorESK_SK_EERKSK_lbbbEUlllE0_EEPmJS9_EEE10hipError_tPvRmT3_T4_T5_T6_T7_T9_mT8_P12ihipStream_tbDpT10_ENKUlT_T0_E_clISt17integral_constantIbLb0EES1A_EEDaS15_S16_EUlS15_E_NS1_11comp_targetILNS1_3genE0ELNS1_11target_archE4294967295ELNS1_3gpuE0ELNS1_3repE0EEENS1_30default_config_static_selectorELNS0_4arch9wavefront6targetE1EEEvT1_
	.p2align	8
	.type	_ZN7rocprim17ROCPRIM_400000_NS6detail17trampoline_kernelINS0_14default_configENS1_25partition_config_selectorILNS1_17partition_subalgoE9EllbEEZZNS1_14partition_implILS5_9ELb0ES3_jPlS8_PNS0_10empty_typeENS0_5tupleIJS8_S9_EEENSB_IJS8_SA_EEENS0_18inequality_wrapperIZN2at6native12_GLOBAL__N_124unique_dim_cuda_templateIjEESt5tupleIJNSF_6TensorESK_SK_EERKSK_lbbbEUlllE0_EEPmJS9_EEE10hipError_tPvRmT3_T4_T5_T6_T7_T9_mT8_P12ihipStream_tbDpT10_ENKUlT_T0_E_clISt17integral_constantIbLb0EES1A_EEDaS15_S16_EUlS15_E_NS1_11comp_targetILNS1_3genE0ELNS1_11target_archE4294967295ELNS1_3gpuE0ELNS1_3repE0EEENS1_30default_config_static_selectorELNS0_4arch9wavefront6targetE1EEEvT1_,@function
_ZN7rocprim17ROCPRIM_400000_NS6detail17trampoline_kernelINS0_14default_configENS1_25partition_config_selectorILNS1_17partition_subalgoE9EllbEEZZNS1_14partition_implILS5_9ELb0ES3_jPlS8_PNS0_10empty_typeENS0_5tupleIJS8_S9_EEENSB_IJS8_SA_EEENS0_18inequality_wrapperIZN2at6native12_GLOBAL__N_124unique_dim_cuda_templateIjEESt5tupleIJNSF_6TensorESK_SK_EERKSK_lbbbEUlllE0_EEPmJS9_EEE10hipError_tPvRmT3_T4_T5_T6_T7_T9_mT8_P12ihipStream_tbDpT10_ENKUlT_T0_E_clISt17integral_constantIbLb0EES1A_EEDaS15_S16_EUlS15_E_NS1_11comp_targetILNS1_3genE0ELNS1_11target_archE4294967295ELNS1_3gpuE0ELNS1_3repE0EEENS1_30default_config_static_selectorELNS0_4arch9wavefront6targetE1EEEvT1_: ; @_ZN7rocprim17ROCPRIM_400000_NS6detail17trampoline_kernelINS0_14default_configENS1_25partition_config_selectorILNS1_17partition_subalgoE9EllbEEZZNS1_14partition_implILS5_9ELb0ES3_jPlS8_PNS0_10empty_typeENS0_5tupleIJS8_S9_EEENSB_IJS8_SA_EEENS0_18inequality_wrapperIZN2at6native12_GLOBAL__N_124unique_dim_cuda_templateIjEESt5tupleIJNSF_6TensorESK_SK_EERKSK_lbbbEUlllE0_EEPmJS9_EEE10hipError_tPvRmT3_T4_T5_T6_T7_T9_mT8_P12ihipStream_tbDpT10_ENKUlT_T0_E_clISt17integral_constantIbLb0EES1A_EEDaS15_S16_EUlS15_E_NS1_11comp_targetILNS1_3genE0ELNS1_11target_archE4294967295ELNS1_3gpuE0ELNS1_3repE0EEENS1_30default_config_static_selectorELNS0_4arch9wavefront6targetE1EEEvT1_
; %bb.0:
	.section	.rodata,"a",@progbits
	.p2align	6, 0x0
	.amdhsa_kernel _ZN7rocprim17ROCPRIM_400000_NS6detail17trampoline_kernelINS0_14default_configENS1_25partition_config_selectorILNS1_17partition_subalgoE9EllbEEZZNS1_14partition_implILS5_9ELb0ES3_jPlS8_PNS0_10empty_typeENS0_5tupleIJS8_S9_EEENSB_IJS8_SA_EEENS0_18inequality_wrapperIZN2at6native12_GLOBAL__N_124unique_dim_cuda_templateIjEESt5tupleIJNSF_6TensorESK_SK_EERKSK_lbbbEUlllE0_EEPmJS9_EEE10hipError_tPvRmT3_T4_T5_T6_T7_T9_mT8_P12ihipStream_tbDpT10_ENKUlT_T0_E_clISt17integral_constantIbLb0EES1A_EEDaS15_S16_EUlS15_E_NS1_11comp_targetILNS1_3genE0ELNS1_11target_archE4294967295ELNS1_3gpuE0ELNS1_3repE0EEENS1_30default_config_static_selectorELNS0_4arch9wavefront6targetE1EEEvT1_
		.amdhsa_group_segment_fixed_size 0
		.amdhsa_private_segment_fixed_size 0
		.amdhsa_kernarg_size 120
		.amdhsa_user_sgpr_count 6
		.amdhsa_user_sgpr_private_segment_buffer 1
		.amdhsa_user_sgpr_dispatch_ptr 0
		.amdhsa_user_sgpr_queue_ptr 0
		.amdhsa_user_sgpr_kernarg_segment_ptr 1
		.amdhsa_user_sgpr_dispatch_id 0
		.amdhsa_user_sgpr_flat_scratch_init 0
		.amdhsa_user_sgpr_kernarg_preload_length 0
		.amdhsa_user_sgpr_kernarg_preload_offset 0
		.amdhsa_user_sgpr_private_segment_size 0
		.amdhsa_uses_dynamic_stack 0
		.amdhsa_system_sgpr_private_segment_wavefront_offset 0
		.amdhsa_system_sgpr_workgroup_id_x 1
		.amdhsa_system_sgpr_workgroup_id_y 0
		.amdhsa_system_sgpr_workgroup_id_z 0
		.amdhsa_system_sgpr_workgroup_info 0
		.amdhsa_system_vgpr_workitem_id 0
		.amdhsa_next_free_vgpr 1
		.amdhsa_next_free_sgpr 0
		.amdhsa_accum_offset 4
		.amdhsa_reserve_vcc 0
		.amdhsa_reserve_flat_scratch 0
		.amdhsa_float_round_mode_32 0
		.amdhsa_float_round_mode_16_64 0
		.amdhsa_float_denorm_mode_32 3
		.amdhsa_float_denorm_mode_16_64 3
		.amdhsa_dx10_clamp 1
		.amdhsa_ieee_mode 1
		.amdhsa_fp16_overflow 0
		.amdhsa_tg_split 0
		.amdhsa_exception_fp_ieee_invalid_op 0
		.amdhsa_exception_fp_denorm_src 0
		.amdhsa_exception_fp_ieee_div_zero 0
		.amdhsa_exception_fp_ieee_overflow 0
		.amdhsa_exception_fp_ieee_underflow 0
		.amdhsa_exception_fp_ieee_inexact 0
		.amdhsa_exception_int_div_zero 0
	.end_amdhsa_kernel
	.section	.text._ZN7rocprim17ROCPRIM_400000_NS6detail17trampoline_kernelINS0_14default_configENS1_25partition_config_selectorILNS1_17partition_subalgoE9EllbEEZZNS1_14partition_implILS5_9ELb0ES3_jPlS8_PNS0_10empty_typeENS0_5tupleIJS8_S9_EEENSB_IJS8_SA_EEENS0_18inequality_wrapperIZN2at6native12_GLOBAL__N_124unique_dim_cuda_templateIjEESt5tupleIJNSF_6TensorESK_SK_EERKSK_lbbbEUlllE0_EEPmJS9_EEE10hipError_tPvRmT3_T4_T5_T6_T7_T9_mT8_P12ihipStream_tbDpT10_ENKUlT_T0_E_clISt17integral_constantIbLb0EES1A_EEDaS15_S16_EUlS15_E_NS1_11comp_targetILNS1_3genE0ELNS1_11target_archE4294967295ELNS1_3gpuE0ELNS1_3repE0EEENS1_30default_config_static_selectorELNS0_4arch9wavefront6targetE1EEEvT1_,"axG",@progbits,_ZN7rocprim17ROCPRIM_400000_NS6detail17trampoline_kernelINS0_14default_configENS1_25partition_config_selectorILNS1_17partition_subalgoE9EllbEEZZNS1_14partition_implILS5_9ELb0ES3_jPlS8_PNS0_10empty_typeENS0_5tupleIJS8_S9_EEENSB_IJS8_SA_EEENS0_18inequality_wrapperIZN2at6native12_GLOBAL__N_124unique_dim_cuda_templateIjEESt5tupleIJNSF_6TensorESK_SK_EERKSK_lbbbEUlllE0_EEPmJS9_EEE10hipError_tPvRmT3_T4_T5_T6_T7_T9_mT8_P12ihipStream_tbDpT10_ENKUlT_T0_E_clISt17integral_constantIbLb0EES1A_EEDaS15_S16_EUlS15_E_NS1_11comp_targetILNS1_3genE0ELNS1_11target_archE4294967295ELNS1_3gpuE0ELNS1_3repE0EEENS1_30default_config_static_selectorELNS0_4arch9wavefront6targetE1EEEvT1_,comdat
.Lfunc_end1571:
	.size	_ZN7rocprim17ROCPRIM_400000_NS6detail17trampoline_kernelINS0_14default_configENS1_25partition_config_selectorILNS1_17partition_subalgoE9EllbEEZZNS1_14partition_implILS5_9ELb0ES3_jPlS8_PNS0_10empty_typeENS0_5tupleIJS8_S9_EEENSB_IJS8_SA_EEENS0_18inequality_wrapperIZN2at6native12_GLOBAL__N_124unique_dim_cuda_templateIjEESt5tupleIJNSF_6TensorESK_SK_EERKSK_lbbbEUlllE0_EEPmJS9_EEE10hipError_tPvRmT3_T4_T5_T6_T7_T9_mT8_P12ihipStream_tbDpT10_ENKUlT_T0_E_clISt17integral_constantIbLb0EES1A_EEDaS15_S16_EUlS15_E_NS1_11comp_targetILNS1_3genE0ELNS1_11target_archE4294967295ELNS1_3gpuE0ELNS1_3repE0EEENS1_30default_config_static_selectorELNS0_4arch9wavefront6targetE1EEEvT1_, .Lfunc_end1571-_ZN7rocprim17ROCPRIM_400000_NS6detail17trampoline_kernelINS0_14default_configENS1_25partition_config_selectorILNS1_17partition_subalgoE9EllbEEZZNS1_14partition_implILS5_9ELb0ES3_jPlS8_PNS0_10empty_typeENS0_5tupleIJS8_S9_EEENSB_IJS8_SA_EEENS0_18inequality_wrapperIZN2at6native12_GLOBAL__N_124unique_dim_cuda_templateIjEESt5tupleIJNSF_6TensorESK_SK_EERKSK_lbbbEUlllE0_EEPmJS9_EEE10hipError_tPvRmT3_T4_T5_T6_T7_T9_mT8_P12ihipStream_tbDpT10_ENKUlT_T0_E_clISt17integral_constantIbLb0EES1A_EEDaS15_S16_EUlS15_E_NS1_11comp_targetILNS1_3genE0ELNS1_11target_archE4294967295ELNS1_3gpuE0ELNS1_3repE0EEENS1_30default_config_static_selectorELNS0_4arch9wavefront6targetE1EEEvT1_
                                        ; -- End function
	.section	.AMDGPU.csdata,"",@progbits
; Kernel info:
; codeLenInByte = 0
; NumSgprs: 4
; NumVgprs: 0
; NumAgprs: 0
; TotalNumVgprs: 0
; ScratchSize: 0
; MemoryBound: 0
; FloatMode: 240
; IeeeMode: 1
; LDSByteSize: 0 bytes/workgroup (compile time only)
; SGPRBlocks: 0
; VGPRBlocks: 0
; NumSGPRsForWavesPerEU: 4
; NumVGPRsForWavesPerEU: 1
; AccumOffset: 4
; Occupancy: 8
; WaveLimiterHint : 0
; COMPUTE_PGM_RSRC2:SCRATCH_EN: 0
; COMPUTE_PGM_RSRC2:USER_SGPR: 6
; COMPUTE_PGM_RSRC2:TRAP_HANDLER: 0
; COMPUTE_PGM_RSRC2:TGID_X_EN: 1
; COMPUTE_PGM_RSRC2:TGID_Y_EN: 0
; COMPUTE_PGM_RSRC2:TGID_Z_EN: 0
; COMPUTE_PGM_RSRC2:TIDIG_COMP_CNT: 0
; COMPUTE_PGM_RSRC3_GFX90A:ACCUM_OFFSET: 0
; COMPUTE_PGM_RSRC3_GFX90A:TG_SPLIT: 0
	.section	.text._ZN7rocprim17ROCPRIM_400000_NS6detail17trampoline_kernelINS0_14default_configENS1_25partition_config_selectorILNS1_17partition_subalgoE9EllbEEZZNS1_14partition_implILS5_9ELb0ES3_jPlS8_PNS0_10empty_typeENS0_5tupleIJS8_S9_EEENSB_IJS8_SA_EEENS0_18inequality_wrapperIZN2at6native12_GLOBAL__N_124unique_dim_cuda_templateIjEESt5tupleIJNSF_6TensorESK_SK_EERKSK_lbbbEUlllE0_EEPmJS9_EEE10hipError_tPvRmT3_T4_T5_T6_T7_T9_mT8_P12ihipStream_tbDpT10_ENKUlT_T0_E_clISt17integral_constantIbLb0EES1A_EEDaS15_S16_EUlS15_E_NS1_11comp_targetILNS1_3genE5ELNS1_11target_archE942ELNS1_3gpuE9ELNS1_3repE0EEENS1_30default_config_static_selectorELNS0_4arch9wavefront6targetE1EEEvT1_,"axG",@progbits,_ZN7rocprim17ROCPRIM_400000_NS6detail17trampoline_kernelINS0_14default_configENS1_25partition_config_selectorILNS1_17partition_subalgoE9EllbEEZZNS1_14partition_implILS5_9ELb0ES3_jPlS8_PNS0_10empty_typeENS0_5tupleIJS8_S9_EEENSB_IJS8_SA_EEENS0_18inequality_wrapperIZN2at6native12_GLOBAL__N_124unique_dim_cuda_templateIjEESt5tupleIJNSF_6TensorESK_SK_EERKSK_lbbbEUlllE0_EEPmJS9_EEE10hipError_tPvRmT3_T4_T5_T6_T7_T9_mT8_P12ihipStream_tbDpT10_ENKUlT_T0_E_clISt17integral_constantIbLb0EES1A_EEDaS15_S16_EUlS15_E_NS1_11comp_targetILNS1_3genE5ELNS1_11target_archE942ELNS1_3gpuE9ELNS1_3repE0EEENS1_30default_config_static_selectorELNS0_4arch9wavefront6targetE1EEEvT1_,comdat
	.globl	_ZN7rocprim17ROCPRIM_400000_NS6detail17trampoline_kernelINS0_14default_configENS1_25partition_config_selectorILNS1_17partition_subalgoE9EllbEEZZNS1_14partition_implILS5_9ELb0ES3_jPlS8_PNS0_10empty_typeENS0_5tupleIJS8_S9_EEENSB_IJS8_SA_EEENS0_18inequality_wrapperIZN2at6native12_GLOBAL__N_124unique_dim_cuda_templateIjEESt5tupleIJNSF_6TensorESK_SK_EERKSK_lbbbEUlllE0_EEPmJS9_EEE10hipError_tPvRmT3_T4_T5_T6_T7_T9_mT8_P12ihipStream_tbDpT10_ENKUlT_T0_E_clISt17integral_constantIbLb0EES1A_EEDaS15_S16_EUlS15_E_NS1_11comp_targetILNS1_3genE5ELNS1_11target_archE942ELNS1_3gpuE9ELNS1_3repE0EEENS1_30default_config_static_selectorELNS0_4arch9wavefront6targetE1EEEvT1_ ; -- Begin function _ZN7rocprim17ROCPRIM_400000_NS6detail17trampoline_kernelINS0_14default_configENS1_25partition_config_selectorILNS1_17partition_subalgoE9EllbEEZZNS1_14partition_implILS5_9ELb0ES3_jPlS8_PNS0_10empty_typeENS0_5tupleIJS8_S9_EEENSB_IJS8_SA_EEENS0_18inequality_wrapperIZN2at6native12_GLOBAL__N_124unique_dim_cuda_templateIjEESt5tupleIJNSF_6TensorESK_SK_EERKSK_lbbbEUlllE0_EEPmJS9_EEE10hipError_tPvRmT3_T4_T5_T6_T7_T9_mT8_P12ihipStream_tbDpT10_ENKUlT_T0_E_clISt17integral_constantIbLb0EES1A_EEDaS15_S16_EUlS15_E_NS1_11comp_targetILNS1_3genE5ELNS1_11target_archE942ELNS1_3gpuE9ELNS1_3repE0EEENS1_30default_config_static_selectorELNS0_4arch9wavefront6targetE1EEEvT1_
	.p2align	8
	.type	_ZN7rocprim17ROCPRIM_400000_NS6detail17trampoline_kernelINS0_14default_configENS1_25partition_config_selectorILNS1_17partition_subalgoE9EllbEEZZNS1_14partition_implILS5_9ELb0ES3_jPlS8_PNS0_10empty_typeENS0_5tupleIJS8_S9_EEENSB_IJS8_SA_EEENS0_18inequality_wrapperIZN2at6native12_GLOBAL__N_124unique_dim_cuda_templateIjEESt5tupleIJNSF_6TensorESK_SK_EERKSK_lbbbEUlllE0_EEPmJS9_EEE10hipError_tPvRmT3_T4_T5_T6_T7_T9_mT8_P12ihipStream_tbDpT10_ENKUlT_T0_E_clISt17integral_constantIbLb0EES1A_EEDaS15_S16_EUlS15_E_NS1_11comp_targetILNS1_3genE5ELNS1_11target_archE942ELNS1_3gpuE9ELNS1_3repE0EEENS1_30default_config_static_selectorELNS0_4arch9wavefront6targetE1EEEvT1_,@function
_ZN7rocprim17ROCPRIM_400000_NS6detail17trampoline_kernelINS0_14default_configENS1_25partition_config_selectorILNS1_17partition_subalgoE9EllbEEZZNS1_14partition_implILS5_9ELb0ES3_jPlS8_PNS0_10empty_typeENS0_5tupleIJS8_S9_EEENSB_IJS8_SA_EEENS0_18inequality_wrapperIZN2at6native12_GLOBAL__N_124unique_dim_cuda_templateIjEESt5tupleIJNSF_6TensorESK_SK_EERKSK_lbbbEUlllE0_EEPmJS9_EEE10hipError_tPvRmT3_T4_T5_T6_T7_T9_mT8_P12ihipStream_tbDpT10_ENKUlT_T0_E_clISt17integral_constantIbLb0EES1A_EEDaS15_S16_EUlS15_E_NS1_11comp_targetILNS1_3genE5ELNS1_11target_archE942ELNS1_3gpuE9ELNS1_3repE0EEENS1_30default_config_static_selectorELNS0_4arch9wavefront6targetE1EEEvT1_: ; @_ZN7rocprim17ROCPRIM_400000_NS6detail17trampoline_kernelINS0_14default_configENS1_25partition_config_selectorILNS1_17partition_subalgoE9EllbEEZZNS1_14partition_implILS5_9ELb0ES3_jPlS8_PNS0_10empty_typeENS0_5tupleIJS8_S9_EEENSB_IJS8_SA_EEENS0_18inequality_wrapperIZN2at6native12_GLOBAL__N_124unique_dim_cuda_templateIjEESt5tupleIJNSF_6TensorESK_SK_EERKSK_lbbbEUlllE0_EEPmJS9_EEE10hipError_tPvRmT3_T4_T5_T6_T7_T9_mT8_P12ihipStream_tbDpT10_ENKUlT_T0_E_clISt17integral_constantIbLb0EES1A_EEDaS15_S16_EUlS15_E_NS1_11comp_targetILNS1_3genE5ELNS1_11target_archE942ELNS1_3gpuE9ELNS1_3repE0EEENS1_30default_config_static_selectorELNS0_4arch9wavefront6targetE1EEEvT1_
; %bb.0:
	.section	.rodata,"a",@progbits
	.p2align	6, 0x0
	.amdhsa_kernel _ZN7rocprim17ROCPRIM_400000_NS6detail17trampoline_kernelINS0_14default_configENS1_25partition_config_selectorILNS1_17partition_subalgoE9EllbEEZZNS1_14partition_implILS5_9ELb0ES3_jPlS8_PNS0_10empty_typeENS0_5tupleIJS8_S9_EEENSB_IJS8_SA_EEENS0_18inequality_wrapperIZN2at6native12_GLOBAL__N_124unique_dim_cuda_templateIjEESt5tupleIJNSF_6TensorESK_SK_EERKSK_lbbbEUlllE0_EEPmJS9_EEE10hipError_tPvRmT3_T4_T5_T6_T7_T9_mT8_P12ihipStream_tbDpT10_ENKUlT_T0_E_clISt17integral_constantIbLb0EES1A_EEDaS15_S16_EUlS15_E_NS1_11comp_targetILNS1_3genE5ELNS1_11target_archE942ELNS1_3gpuE9ELNS1_3repE0EEENS1_30default_config_static_selectorELNS0_4arch9wavefront6targetE1EEEvT1_
		.amdhsa_group_segment_fixed_size 0
		.amdhsa_private_segment_fixed_size 0
		.amdhsa_kernarg_size 120
		.amdhsa_user_sgpr_count 6
		.amdhsa_user_sgpr_private_segment_buffer 1
		.amdhsa_user_sgpr_dispatch_ptr 0
		.amdhsa_user_sgpr_queue_ptr 0
		.amdhsa_user_sgpr_kernarg_segment_ptr 1
		.amdhsa_user_sgpr_dispatch_id 0
		.amdhsa_user_sgpr_flat_scratch_init 0
		.amdhsa_user_sgpr_kernarg_preload_length 0
		.amdhsa_user_sgpr_kernarg_preload_offset 0
		.amdhsa_user_sgpr_private_segment_size 0
		.amdhsa_uses_dynamic_stack 0
		.amdhsa_system_sgpr_private_segment_wavefront_offset 0
		.amdhsa_system_sgpr_workgroup_id_x 1
		.amdhsa_system_sgpr_workgroup_id_y 0
		.amdhsa_system_sgpr_workgroup_id_z 0
		.amdhsa_system_sgpr_workgroup_info 0
		.amdhsa_system_vgpr_workitem_id 0
		.amdhsa_next_free_vgpr 1
		.amdhsa_next_free_sgpr 0
		.amdhsa_accum_offset 4
		.amdhsa_reserve_vcc 0
		.amdhsa_reserve_flat_scratch 0
		.amdhsa_float_round_mode_32 0
		.amdhsa_float_round_mode_16_64 0
		.amdhsa_float_denorm_mode_32 3
		.amdhsa_float_denorm_mode_16_64 3
		.amdhsa_dx10_clamp 1
		.amdhsa_ieee_mode 1
		.amdhsa_fp16_overflow 0
		.amdhsa_tg_split 0
		.amdhsa_exception_fp_ieee_invalid_op 0
		.amdhsa_exception_fp_denorm_src 0
		.amdhsa_exception_fp_ieee_div_zero 0
		.amdhsa_exception_fp_ieee_overflow 0
		.amdhsa_exception_fp_ieee_underflow 0
		.amdhsa_exception_fp_ieee_inexact 0
		.amdhsa_exception_int_div_zero 0
	.end_amdhsa_kernel
	.section	.text._ZN7rocprim17ROCPRIM_400000_NS6detail17trampoline_kernelINS0_14default_configENS1_25partition_config_selectorILNS1_17partition_subalgoE9EllbEEZZNS1_14partition_implILS5_9ELb0ES3_jPlS8_PNS0_10empty_typeENS0_5tupleIJS8_S9_EEENSB_IJS8_SA_EEENS0_18inequality_wrapperIZN2at6native12_GLOBAL__N_124unique_dim_cuda_templateIjEESt5tupleIJNSF_6TensorESK_SK_EERKSK_lbbbEUlllE0_EEPmJS9_EEE10hipError_tPvRmT3_T4_T5_T6_T7_T9_mT8_P12ihipStream_tbDpT10_ENKUlT_T0_E_clISt17integral_constantIbLb0EES1A_EEDaS15_S16_EUlS15_E_NS1_11comp_targetILNS1_3genE5ELNS1_11target_archE942ELNS1_3gpuE9ELNS1_3repE0EEENS1_30default_config_static_selectorELNS0_4arch9wavefront6targetE1EEEvT1_,"axG",@progbits,_ZN7rocprim17ROCPRIM_400000_NS6detail17trampoline_kernelINS0_14default_configENS1_25partition_config_selectorILNS1_17partition_subalgoE9EllbEEZZNS1_14partition_implILS5_9ELb0ES3_jPlS8_PNS0_10empty_typeENS0_5tupleIJS8_S9_EEENSB_IJS8_SA_EEENS0_18inequality_wrapperIZN2at6native12_GLOBAL__N_124unique_dim_cuda_templateIjEESt5tupleIJNSF_6TensorESK_SK_EERKSK_lbbbEUlllE0_EEPmJS9_EEE10hipError_tPvRmT3_T4_T5_T6_T7_T9_mT8_P12ihipStream_tbDpT10_ENKUlT_T0_E_clISt17integral_constantIbLb0EES1A_EEDaS15_S16_EUlS15_E_NS1_11comp_targetILNS1_3genE5ELNS1_11target_archE942ELNS1_3gpuE9ELNS1_3repE0EEENS1_30default_config_static_selectorELNS0_4arch9wavefront6targetE1EEEvT1_,comdat
.Lfunc_end1572:
	.size	_ZN7rocprim17ROCPRIM_400000_NS6detail17trampoline_kernelINS0_14default_configENS1_25partition_config_selectorILNS1_17partition_subalgoE9EllbEEZZNS1_14partition_implILS5_9ELb0ES3_jPlS8_PNS0_10empty_typeENS0_5tupleIJS8_S9_EEENSB_IJS8_SA_EEENS0_18inequality_wrapperIZN2at6native12_GLOBAL__N_124unique_dim_cuda_templateIjEESt5tupleIJNSF_6TensorESK_SK_EERKSK_lbbbEUlllE0_EEPmJS9_EEE10hipError_tPvRmT3_T4_T5_T6_T7_T9_mT8_P12ihipStream_tbDpT10_ENKUlT_T0_E_clISt17integral_constantIbLb0EES1A_EEDaS15_S16_EUlS15_E_NS1_11comp_targetILNS1_3genE5ELNS1_11target_archE942ELNS1_3gpuE9ELNS1_3repE0EEENS1_30default_config_static_selectorELNS0_4arch9wavefront6targetE1EEEvT1_, .Lfunc_end1572-_ZN7rocprim17ROCPRIM_400000_NS6detail17trampoline_kernelINS0_14default_configENS1_25partition_config_selectorILNS1_17partition_subalgoE9EllbEEZZNS1_14partition_implILS5_9ELb0ES3_jPlS8_PNS0_10empty_typeENS0_5tupleIJS8_S9_EEENSB_IJS8_SA_EEENS0_18inequality_wrapperIZN2at6native12_GLOBAL__N_124unique_dim_cuda_templateIjEESt5tupleIJNSF_6TensorESK_SK_EERKSK_lbbbEUlllE0_EEPmJS9_EEE10hipError_tPvRmT3_T4_T5_T6_T7_T9_mT8_P12ihipStream_tbDpT10_ENKUlT_T0_E_clISt17integral_constantIbLb0EES1A_EEDaS15_S16_EUlS15_E_NS1_11comp_targetILNS1_3genE5ELNS1_11target_archE942ELNS1_3gpuE9ELNS1_3repE0EEENS1_30default_config_static_selectorELNS0_4arch9wavefront6targetE1EEEvT1_
                                        ; -- End function
	.section	.AMDGPU.csdata,"",@progbits
; Kernel info:
; codeLenInByte = 0
; NumSgprs: 4
; NumVgprs: 0
; NumAgprs: 0
; TotalNumVgprs: 0
; ScratchSize: 0
; MemoryBound: 0
; FloatMode: 240
; IeeeMode: 1
; LDSByteSize: 0 bytes/workgroup (compile time only)
; SGPRBlocks: 0
; VGPRBlocks: 0
; NumSGPRsForWavesPerEU: 4
; NumVGPRsForWavesPerEU: 1
; AccumOffset: 4
; Occupancy: 8
; WaveLimiterHint : 0
; COMPUTE_PGM_RSRC2:SCRATCH_EN: 0
; COMPUTE_PGM_RSRC2:USER_SGPR: 6
; COMPUTE_PGM_RSRC2:TRAP_HANDLER: 0
; COMPUTE_PGM_RSRC2:TGID_X_EN: 1
; COMPUTE_PGM_RSRC2:TGID_Y_EN: 0
; COMPUTE_PGM_RSRC2:TGID_Z_EN: 0
; COMPUTE_PGM_RSRC2:TIDIG_COMP_CNT: 0
; COMPUTE_PGM_RSRC3_GFX90A:ACCUM_OFFSET: 0
; COMPUTE_PGM_RSRC3_GFX90A:TG_SPLIT: 0
	.section	.text._ZN7rocprim17ROCPRIM_400000_NS6detail17trampoline_kernelINS0_14default_configENS1_25partition_config_selectorILNS1_17partition_subalgoE9EllbEEZZNS1_14partition_implILS5_9ELb0ES3_jPlS8_PNS0_10empty_typeENS0_5tupleIJS8_S9_EEENSB_IJS8_SA_EEENS0_18inequality_wrapperIZN2at6native12_GLOBAL__N_124unique_dim_cuda_templateIjEESt5tupleIJNSF_6TensorESK_SK_EERKSK_lbbbEUlllE0_EEPmJS9_EEE10hipError_tPvRmT3_T4_T5_T6_T7_T9_mT8_P12ihipStream_tbDpT10_ENKUlT_T0_E_clISt17integral_constantIbLb0EES1A_EEDaS15_S16_EUlS15_E_NS1_11comp_targetILNS1_3genE4ELNS1_11target_archE910ELNS1_3gpuE8ELNS1_3repE0EEENS1_30default_config_static_selectorELNS0_4arch9wavefront6targetE1EEEvT1_,"axG",@progbits,_ZN7rocprim17ROCPRIM_400000_NS6detail17trampoline_kernelINS0_14default_configENS1_25partition_config_selectorILNS1_17partition_subalgoE9EllbEEZZNS1_14partition_implILS5_9ELb0ES3_jPlS8_PNS0_10empty_typeENS0_5tupleIJS8_S9_EEENSB_IJS8_SA_EEENS0_18inequality_wrapperIZN2at6native12_GLOBAL__N_124unique_dim_cuda_templateIjEESt5tupleIJNSF_6TensorESK_SK_EERKSK_lbbbEUlllE0_EEPmJS9_EEE10hipError_tPvRmT3_T4_T5_T6_T7_T9_mT8_P12ihipStream_tbDpT10_ENKUlT_T0_E_clISt17integral_constantIbLb0EES1A_EEDaS15_S16_EUlS15_E_NS1_11comp_targetILNS1_3genE4ELNS1_11target_archE910ELNS1_3gpuE8ELNS1_3repE0EEENS1_30default_config_static_selectorELNS0_4arch9wavefront6targetE1EEEvT1_,comdat
	.globl	_ZN7rocprim17ROCPRIM_400000_NS6detail17trampoline_kernelINS0_14default_configENS1_25partition_config_selectorILNS1_17partition_subalgoE9EllbEEZZNS1_14partition_implILS5_9ELb0ES3_jPlS8_PNS0_10empty_typeENS0_5tupleIJS8_S9_EEENSB_IJS8_SA_EEENS0_18inequality_wrapperIZN2at6native12_GLOBAL__N_124unique_dim_cuda_templateIjEESt5tupleIJNSF_6TensorESK_SK_EERKSK_lbbbEUlllE0_EEPmJS9_EEE10hipError_tPvRmT3_T4_T5_T6_T7_T9_mT8_P12ihipStream_tbDpT10_ENKUlT_T0_E_clISt17integral_constantIbLb0EES1A_EEDaS15_S16_EUlS15_E_NS1_11comp_targetILNS1_3genE4ELNS1_11target_archE910ELNS1_3gpuE8ELNS1_3repE0EEENS1_30default_config_static_selectorELNS0_4arch9wavefront6targetE1EEEvT1_ ; -- Begin function _ZN7rocprim17ROCPRIM_400000_NS6detail17trampoline_kernelINS0_14default_configENS1_25partition_config_selectorILNS1_17partition_subalgoE9EllbEEZZNS1_14partition_implILS5_9ELb0ES3_jPlS8_PNS0_10empty_typeENS0_5tupleIJS8_S9_EEENSB_IJS8_SA_EEENS0_18inequality_wrapperIZN2at6native12_GLOBAL__N_124unique_dim_cuda_templateIjEESt5tupleIJNSF_6TensorESK_SK_EERKSK_lbbbEUlllE0_EEPmJS9_EEE10hipError_tPvRmT3_T4_T5_T6_T7_T9_mT8_P12ihipStream_tbDpT10_ENKUlT_T0_E_clISt17integral_constantIbLb0EES1A_EEDaS15_S16_EUlS15_E_NS1_11comp_targetILNS1_3genE4ELNS1_11target_archE910ELNS1_3gpuE8ELNS1_3repE0EEENS1_30default_config_static_selectorELNS0_4arch9wavefront6targetE1EEEvT1_
	.p2align	8
	.type	_ZN7rocprim17ROCPRIM_400000_NS6detail17trampoline_kernelINS0_14default_configENS1_25partition_config_selectorILNS1_17partition_subalgoE9EllbEEZZNS1_14partition_implILS5_9ELb0ES3_jPlS8_PNS0_10empty_typeENS0_5tupleIJS8_S9_EEENSB_IJS8_SA_EEENS0_18inequality_wrapperIZN2at6native12_GLOBAL__N_124unique_dim_cuda_templateIjEESt5tupleIJNSF_6TensorESK_SK_EERKSK_lbbbEUlllE0_EEPmJS9_EEE10hipError_tPvRmT3_T4_T5_T6_T7_T9_mT8_P12ihipStream_tbDpT10_ENKUlT_T0_E_clISt17integral_constantIbLb0EES1A_EEDaS15_S16_EUlS15_E_NS1_11comp_targetILNS1_3genE4ELNS1_11target_archE910ELNS1_3gpuE8ELNS1_3repE0EEENS1_30default_config_static_selectorELNS0_4arch9wavefront6targetE1EEEvT1_,@function
_ZN7rocprim17ROCPRIM_400000_NS6detail17trampoline_kernelINS0_14default_configENS1_25partition_config_selectorILNS1_17partition_subalgoE9EllbEEZZNS1_14partition_implILS5_9ELb0ES3_jPlS8_PNS0_10empty_typeENS0_5tupleIJS8_S9_EEENSB_IJS8_SA_EEENS0_18inequality_wrapperIZN2at6native12_GLOBAL__N_124unique_dim_cuda_templateIjEESt5tupleIJNSF_6TensorESK_SK_EERKSK_lbbbEUlllE0_EEPmJS9_EEE10hipError_tPvRmT3_T4_T5_T6_T7_T9_mT8_P12ihipStream_tbDpT10_ENKUlT_T0_E_clISt17integral_constantIbLb0EES1A_EEDaS15_S16_EUlS15_E_NS1_11comp_targetILNS1_3genE4ELNS1_11target_archE910ELNS1_3gpuE8ELNS1_3repE0EEENS1_30default_config_static_selectorELNS0_4arch9wavefront6targetE1EEEvT1_: ; @_ZN7rocprim17ROCPRIM_400000_NS6detail17trampoline_kernelINS0_14default_configENS1_25partition_config_selectorILNS1_17partition_subalgoE9EllbEEZZNS1_14partition_implILS5_9ELb0ES3_jPlS8_PNS0_10empty_typeENS0_5tupleIJS8_S9_EEENSB_IJS8_SA_EEENS0_18inequality_wrapperIZN2at6native12_GLOBAL__N_124unique_dim_cuda_templateIjEESt5tupleIJNSF_6TensorESK_SK_EERKSK_lbbbEUlllE0_EEPmJS9_EEE10hipError_tPvRmT3_T4_T5_T6_T7_T9_mT8_P12ihipStream_tbDpT10_ENKUlT_T0_E_clISt17integral_constantIbLb0EES1A_EEDaS15_S16_EUlS15_E_NS1_11comp_targetILNS1_3genE4ELNS1_11target_archE910ELNS1_3gpuE8ELNS1_3repE0EEENS1_30default_config_static_selectorELNS0_4arch9wavefront6targetE1EEEvT1_
; %bb.0:
	s_load_dwordx8 s[20:27], s[4:5], 0x40
	s_load_dwordx4 s[0:3], s[4:5], 0x8
	s_load_dwordx2 s[12:13], s[4:5], 0x18
	s_load_dword s9, s[4:5], 0x70
	v_lshrrev_b32_e32 v18, 2, v0
	s_waitcnt lgkmcnt(0)
	v_mov_b32_e32 v2, s24
	s_lshl_b64 s[14:15], s[2:3], 3
	s_add_u32 s18, s0, s14
	s_addc_u32 s19, s1, s15
	s_add_i32 s10, s9, -1
	s_lshl_b32 s0, s10, 9
	s_add_i32 s0, s2, s0
	s_lshl_b32 s8, s6, 9
	s_sub_i32 s7, s24, s0
	s_lshl_b32 s0, s9, 9
	s_add_u32 s0, s2, s0
	s_addc_u32 s1, s3, 0
	v_mov_b32_e32 v3, s25
	s_cmp_eq_u32 s6, s10
	s_load_dwordx2 s[22:23], s[22:23], 0x0
	v_cmp_ge_u64_e32 vcc, s[0:1], v[2:3]
	s_cselect_b64 s[24:25], -1, 0
	s_mov_b32 s9, 0
	s_and_b64 s[10:11], s[24:25], vcc
	s_xor_b64 s[34:35], s[10:11], -1
	s_lshl_b64 s[16:17], s[8:9], 3
	s_add_u32 s8, s18, s16
	s_mov_b64 s[0:1], -1
	s_addc_u32 s9, s19, s17
	s_and_b64 vcc, exec, s[34:35]
	s_cbranch_vccz .LBB1573_2
; %bb.1:
	v_lshlrev_b32_e32 v1, 3, v0
	global_load_dwordx2 v[2:3], v1, s[8:9]
	global_load_dwordx2 v[4:5], v1, s[8:9] offset:1024
	global_load_dwordx2 v[6:7], v1, s[8:9] offset:2048
	;; [unrolled: 1-line block ×3, first 2 shown]
	v_or_b32_e32 v11, 0x80, v0
	v_or_b32_e32 v12, 0x100, v0
	;; [unrolled: 1-line block ×3, first 2 shown]
	v_and_b32_e32 v10, 24, v18
	v_lshrrev_b32_e32 v11, 2, v11
	v_lshrrev_b32_e32 v12, 2, v12
	;; [unrolled: 1-line block ×3, first 2 shown]
	v_add_u32_e32 v10, v10, v1
	v_and_b32_e32 v11, 56, v11
	v_and_b32_e32 v12, 0x58, v12
	;; [unrolled: 1-line block ×3, first 2 shown]
	v_add_u32_e32 v11, v11, v1
	v_add_u32_e32 v12, v12, v1
	;; [unrolled: 1-line block ×3, first 2 shown]
	s_mov_b64 s[0:1], 0
	s_waitcnt vmcnt(3)
	ds_write_b64 v10, v[2:3]
	s_waitcnt vmcnt(2)
	ds_write_b64 v11, v[4:5] offset:1024
	s_waitcnt vmcnt(1)
	ds_write_b64 v12, v[6:7] offset:2048
	;; [unrolled: 2-line block ×3, first 2 shown]
	s_waitcnt lgkmcnt(0)
	s_barrier
.LBB1573_2:
	s_load_dwordx4 s[28:31], s[4:5], 0x60
	s_andn2_b64 vcc, exec, s[0:1]
	v_cmp_gt_u32_e64 s[0:1], s7, v0
	s_cbranch_vccnz .LBB1573_12
; %bb.3:
                                        ; implicit-def: $vgpr2_vgpr3_vgpr4_vgpr5_vgpr6_vgpr7_vgpr8_vgpr9
	s_and_saveexec_b64 s[18:19], s[0:1]
	s_cbranch_execz .LBB1573_5
; %bb.4:
	v_lshlrev_b32_e32 v1, 3, v0
	global_load_dwordx2 v[2:3], v1, s[8:9]
.LBB1573_5:
	s_or_b64 exec, exec, s[18:19]
	v_or_b32_e32 v1, 0x80, v0
	v_cmp_gt_u32_e32 vcc, s7, v1
	s_and_saveexec_b64 s[0:1], vcc
	s_cbranch_execz .LBB1573_7
; %bb.6:
	v_lshlrev_b32_e32 v4, 3, v0
	global_load_dwordx2 v[4:5], v4, s[8:9] offset:1024
.LBB1573_7:
	s_or_b64 exec, exec, s[0:1]
	v_or_b32_e32 v10, 0x100, v0
	v_cmp_gt_u32_e32 vcc, s7, v10
	s_and_saveexec_b64 s[0:1], vcc
	s_cbranch_execz .LBB1573_9
; %bb.8:
	v_lshlrev_b32_e32 v6, 3, v0
	global_load_dwordx2 v[6:7], v6, s[8:9] offset:2048
.LBB1573_9:
	;; [unrolled: 9-line block ×3, first 2 shown]
	s_or_b64 exec, exec, s[0:1]
	v_lshrrev_b32_e32 v1, 2, v1
	v_lshlrev_b32_e32 v13, 3, v0
	v_and_b32_e32 v1, 56, v1
	v_add_u32_e32 v1, v1, v13
	s_waitcnt vmcnt(0)
	ds_write_b64 v1, v[4:5] offset:1024
	v_lshrrev_b32_e32 v1, 2, v10
	v_and_b32_e32 v1, 0x78, v1
	v_add_u32_e32 v1, v1, v13
	ds_write_b64 v1, v[6:7] offset:2048
	v_lshrrev_b32_e32 v1, 2, v11
	v_and_b32_e32 v12, 24, v18
	v_and_b32_e32 v1, 0x78, v1
	v_add_u32_e32 v12, v12, v13
	v_add_u32_e32 v1, v1, v13
	ds_write_b64 v12, v[2:3]
	ds_write_b64 v1, v[8:9] offset:3072
	s_waitcnt lgkmcnt(0)
	s_barrier
.LBB1573_12:
	v_lshlrev_b32_e32 v1, 2, v0
	v_lshrrev_b32_e32 v2, 3, v0
	v_add_lshl_u32 v19, v2, v1, 3
	s_waitcnt lgkmcnt(0)
	ds_read2_b64 v[14:17], v19 offset1:1
	ds_read2_b64 v[10:13], v19 offset0:2 offset1:3
	s_add_u32 s0, s12, s14
	s_addc_u32 s1, s13, s15
	s_add_u32 s0, s0, s16
	s_addc_u32 s1, s1, s17
	s_mov_b64 s[12:13], -1
	s_and_b64 vcc, exec, s[34:35]
	s_waitcnt lgkmcnt(0)
	s_barrier
	s_cbranch_vccz .LBB1573_14
; %bb.13:
	v_lshlrev_b32_e32 v20, 3, v0
	global_load_dwordx2 v[2:3], v20, s[0:1]
	global_load_dwordx2 v[4:5], v20, s[0:1] offset:1024
	global_load_dwordx2 v[6:7], v20, s[0:1] offset:2048
	;; [unrolled: 1-line block ×3, first 2 shown]
	v_or_b32_e32 v22, 0x80, v0
	v_or_b32_e32 v23, 0x100, v0
	;; [unrolled: 1-line block ×3, first 2 shown]
	v_and_b32_e32 v21, 24, v18
	v_lshrrev_b32_e32 v22, 2, v22
	v_lshrrev_b32_e32 v23, 2, v23
	;; [unrolled: 1-line block ×3, first 2 shown]
	v_add_u32_e32 v21, v21, v20
	v_and_b32_e32 v22, 56, v22
	v_and_b32_e32 v23, 0x58, v23
	;; [unrolled: 1-line block ×3, first 2 shown]
	v_add_u32_e32 v22, v22, v20
	v_add_u32_e32 v23, v23, v20
	;; [unrolled: 1-line block ×3, first 2 shown]
	s_mov_b64 s[12:13], 0
	s_waitcnt vmcnt(3)
	ds_write_b64 v21, v[2:3]
	s_waitcnt vmcnt(2)
	ds_write_b64 v22, v[4:5] offset:1024
	s_waitcnt vmcnt(1)
	ds_write_b64 v23, v[6:7] offset:2048
	;; [unrolled: 2-line block ×3, first 2 shown]
	s_waitcnt lgkmcnt(0)
	s_barrier
.LBB1573_14:
	s_andn2_b64 vcc, exec, s[12:13]
	s_cbranch_vccnz .LBB1573_24
; %bb.15:
	v_cmp_gt_u32_e32 vcc, s7, v0
                                        ; implicit-def: $vgpr2_vgpr3
	s_and_saveexec_b64 s[12:13], vcc
	s_cbranch_execz .LBB1573_17
; %bb.16:
	v_lshlrev_b32_e32 v2, 3, v0
	global_load_dwordx2 v[2:3], v2, s[0:1]
.LBB1573_17:
	s_or_b64 exec, exec, s[12:13]
	v_or_b32_e32 v20, 0x80, v0
	v_cmp_gt_u32_e32 vcc, s7, v20
                                        ; implicit-def: $vgpr4_vgpr5
	s_and_saveexec_b64 s[12:13], vcc
	s_cbranch_execz .LBB1573_19
; %bb.18:
	v_lshlrev_b32_e32 v4, 3, v0
	global_load_dwordx2 v[4:5], v4, s[0:1] offset:1024
.LBB1573_19:
	s_or_b64 exec, exec, s[12:13]
	v_or_b32_e32 v21, 0x100, v0
	v_cmp_gt_u32_e32 vcc, s7, v21
                                        ; implicit-def: $vgpr6_vgpr7
	s_and_saveexec_b64 s[12:13], vcc
	s_cbranch_execz .LBB1573_21
; %bb.20:
	v_lshlrev_b32_e32 v6, 3, v0
	global_load_dwordx2 v[6:7], v6, s[0:1] offset:2048
.LBB1573_21:
	s_or_b64 exec, exec, s[12:13]
	v_or_b32_e32 v22, 0x180, v0
	v_cmp_gt_u32_e32 vcc, s7, v22
                                        ; implicit-def: $vgpr8_vgpr9
	s_and_saveexec_b64 s[12:13], vcc
	s_cbranch_execz .LBB1573_23
; %bb.22:
	v_lshlrev_b32_e32 v8, 3, v0
	global_load_dwordx2 v[8:9], v8, s[0:1] offset:3072
.LBB1573_23:
	s_or_b64 exec, exec, s[12:13]
	v_and_b32_e32 v18, 24, v18
	v_lshlrev_b32_e32 v23, 3, v0
	v_add_u32_e32 v18, v18, v23
	s_waitcnt vmcnt(0)
	ds_write_b64 v18, v[2:3]
	v_lshrrev_b32_e32 v2, 2, v20
	v_and_b32_e32 v2, 56, v2
	v_add_u32_e32 v2, v2, v23
	ds_write_b64 v2, v[4:5] offset:1024
	v_lshrrev_b32_e32 v2, 2, v21
	v_and_b32_e32 v2, 0x78, v2
	v_add_u32_e32 v2, v2, v23
	ds_write_b64 v2, v[6:7] offset:2048
	;; [unrolled: 4-line block ×3, first 2 shown]
	s_waitcnt lgkmcnt(0)
	s_barrier
.LBB1573_24:
	ds_read2_b64 v[6:9], v19 offset1:1
	ds_read2_b64 v[2:5], v19 offset0:2 offset1:3
	s_cmp_lg_u32 s6, 0
	s_cselect_b64 s[16:17], -1, 0
	s_cmp_lg_u64 s[2:3], 0
	s_cselect_b64 s[0:1], -1, 0
	s_or_b64 s[0:1], s[16:17], s[0:1]
	s_mov_b64 s[12:13], 0
	s_and_b64 vcc, exec, s[0:1]
	v_cmp_gt_i64_e64 s[0:1], s[26:27], 0
	s_waitcnt lgkmcnt(0)
	s_barrier
	s_cbranch_vccz .LBB1573_33
; %bb.25:
	s_add_u32 s2, s8, -8
	s_addc_u32 s3, s9, -1
	s_load_dwordx2 s[12:13], s[2:3], 0x0
	v_cndmask_b32_e64 v18, 0, 1, s[0:1]
	v_lshlrev_b32_e32 v26, 3, v0
	s_mov_b64 s[14:15], 0
	s_and_b64 vcc, exec, s[34:35]
	v_cmp_ne_u32_e64 s[0:1], 1, v18
	ds_write_b64 v26, v[12:13]
	s_cbranch_vccz .LBB1573_34
; %bb.26:
	v_mul_lo_u32 v20, v11, s26
	v_mul_lo_u32 v21, v10, s27
	v_mad_u64_u32 v[18:19], s[2:3], v10, s26, 0
	v_add3_u32 v19, v19, v21, v20
	s_and_b64 vcc, exec, s[0:1]
	v_lshlrev_b64 v[18:19], 2, v[18:19]
	s_cbranch_vccnz .LBB1573_37
; %bb.27:
	v_mul_lo_u32 v22, v13, s26
	v_mul_lo_u32 v23, v12, s27
	v_mad_u64_u32 v[20:21], s[2:3], v12, s26, 0
	v_add3_u32 v21, v21, v23, v22
	v_mov_b32_e32 v23, s29
	v_add_co_u32_e32 v22, vcc, s28, v18
	v_addc_co_u32_e64 v23, s[2:3], v23, v19, vcc
	v_lshlrev_b64 v[20:21], 2, v[20:21]
	v_mov_b32_e32 v25, s29
	v_add_co_u32_e64 v24, s[2:3], s28, v20
	v_addc_co_u32_e64 v25, s[8:9], v25, v21, s[2:3]
	global_load_dword v20, v[22:23], off
	global_load_dword v27, v[24:25], off
	s_mov_b64 s[14:15], -1
	s_waitcnt vmcnt(0)
	v_cmp_eq_u32_e64 s[8:9], v20, v27
	s_and_saveexec_b64 s[18:19], s[8:9]
	s_cbranch_execz .LBB1573_36
; %bb.28:
	v_mov_b32_e32 v20, s29
	v_addc_co_u32_e64 v21, s[2:3], v21, v20, s[2:3]
	v_add_co_u32_e64 v20, s[2:3], 4, v24
	v_mov_b32_e32 v23, s29
	v_addc_co_u32_e64 v21, s[2:3], 0, v21, s[2:3]
	v_addc_co_u32_e32 v23, vcc, v19, v23, vcc
	v_add_co_u32_e32 v22, vcc, 4, v22
	s_add_u32 s2, s26, -1
	v_addc_co_u32_e32 v23, vcc, 0, v23, vcc
	s_addc_u32 s3, s27, -1
	s_mov_b64 s[8:9], 0
	s_mov_b64 s[36:37], 0
                                        ; implicit-def: $sgpr14_sgpr15
	s_branch .LBB1573_31
.LBB1573_29:                            ;   in Loop: Header=BB1573_31 Depth=1
	global_load_dword v24, v[22:23], off
	global_load_dword v25, v[20:21], off
	v_add_co_u32_e32 v20, vcc, 4, v20
	v_addc_co_u32_e32 v21, vcc, 0, v21, vcc
	v_add_co_u32_e32 v22, vcc, 4, v22
	v_addc_co_u32_e32 v23, vcc, 0, v23, vcc
	s_add_u32 s36, s36, 1
	s_addc_u32 s37, s37, 0
	s_andn2_b64 s[14:15], s[14:15], exec
	s_waitcnt vmcnt(0)
	v_cmp_ne_u32_e32 vcc, v24, v25
	s_and_b64 s[38:39], vcc, exec
	s_or_b64 s[14:15], s[14:15], s[38:39]
.LBB1573_30:                            ;   in Loop: Header=BB1573_31 Depth=1
	s_and_b64 s[38:39], exec, s[14:15]
	s_or_b64 s[8:9], s[38:39], s[8:9]
	v_pk_mov_b32 v[24:25], s[36:37], s[36:37] op_sel:[0,1]
	s_andn2_b64 exec, exec, s[8:9]
	s_cbranch_execz .LBB1573_35
.LBB1573_31:                            ; =>This Inner Loop Header: Depth=1
	s_or_b64 s[14:15], s[14:15], exec
	s_cmp_eq_u64 s[2:3], s[36:37]
	s_cbranch_scc0 .LBB1573_29
; %bb.32:                               ;   in Loop: Header=BB1573_31 Depth=1
                                        ; implicit-def: $vgpr20_vgpr21
                                        ; implicit-def: $vgpr22_vgpr23
	s_mov_b64 s[36:37], s[26:27]
	s_branch .LBB1573_30
.LBB1573_33:
                                        ; implicit-def: $sgpr18_sgpr19
                                        ; implicit-def: $vgpr28
	s_branch .LBB1573_115
.LBB1573_34:
                                        ; implicit-def: $sgpr18_sgpr19
                                        ; implicit-def: $vgpr28
	s_cbranch_execnz .LBB1573_67
	s_branch .LBB1573_114
.LBB1573_35:
	s_or_b64 exec, exec, s[8:9]
	v_cmp_gt_i64_e32 vcc, s[26:27], v[24:25]
	s_orn2_b64 s[14:15], vcc, exec
.LBB1573_36:
	s_or_b64 exec, exec, s[18:19]
.LBB1573_37:
	v_mul_lo_u32 v22, v17, s26
	v_mul_lo_u32 v23, v16, s27
	v_mad_u64_u32 v[20:21], s[2:3], v16, s26, 0
	v_add3_u32 v21, v21, v23, v22
	s_mov_b64 s[18:19], 0
	s_and_b64 vcc, exec, s[0:1]
	v_lshlrev_b64 v[20:21], 2, v[20:21]
	s_mov_b64 s[36:37], 0
	s_cbranch_vccnz .LBB1573_46
; %bb.38:
	v_mov_b32_e32 v23, s29
	v_add_co_u32_e32 v22, vcc, s28, v20
	v_addc_co_u32_e64 v23, s[2:3], v23, v21, vcc
	v_mov_b32_e32 v25, s29
	v_add_co_u32_e64 v24, s[2:3], s28, v18
	v_addc_co_u32_e64 v25, s[8:9], v25, v19, s[2:3]
	global_load_dword v18, v[22:23], off
	global_load_dword v27, v[24:25], off
	s_mov_b64 s[36:37], -1
	s_waitcnt vmcnt(0)
	v_cmp_eq_u32_e64 s[8:9], v18, v27
	s_and_saveexec_b64 s[38:39], s[8:9]
	s_cbranch_execz .LBB1573_45
; %bb.39:
	v_mov_b32_e32 v18, s29
	v_addc_co_u32_e64 v19, s[2:3], v19, v18, s[2:3]
	v_add_co_u32_e64 v18, s[2:3], 4, v24
	v_mov_b32_e32 v23, s29
	v_addc_co_u32_e64 v19, s[2:3], 0, v19, s[2:3]
	v_addc_co_u32_e32 v23, vcc, v21, v23, vcc
	v_add_co_u32_e32 v22, vcc, 4, v22
	s_add_u32 s2, s26, -1
	v_addc_co_u32_e32 v23, vcc, 0, v23, vcc
	s_addc_u32 s3, s27, -1
	s_mov_b64 s[8:9], 0
	s_mov_b64 s[40:41], 0
                                        ; implicit-def: $sgpr36_sgpr37
	s_branch .LBB1573_42
.LBB1573_40:                            ;   in Loop: Header=BB1573_42 Depth=1
	global_load_dword v24, v[22:23], off
	global_load_dword v25, v[18:19], off
	v_add_co_u32_e32 v18, vcc, 4, v18
	v_addc_co_u32_e32 v19, vcc, 0, v19, vcc
	v_add_co_u32_e32 v22, vcc, 4, v22
	v_addc_co_u32_e32 v23, vcc, 0, v23, vcc
	s_add_u32 s40, s40, 1
	s_addc_u32 s41, s41, 0
	s_andn2_b64 s[36:37], s[36:37], exec
	s_waitcnt vmcnt(0)
	v_cmp_ne_u32_e32 vcc, v24, v25
	s_and_b64 s[42:43], vcc, exec
	s_or_b64 s[36:37], s[36:37], s[42:43]
.LBB1573_41:                            ;   in Loop: Header=BB1573_42 Depth=1
	s_and_b64 s[42:43], exec, s[36:37]
	s_or_b64 s[8:9], s[42:43], s[8:9]
	v_pk_mov_b32 v[24:25], s[40:41], s[40:41] op_sel:[0,1]
	s_andn2_b64 exec, exec, s[8:9]
	s_cbranch_execz .LBB1573_44
.LBB1573_42:                            ; =>This Inner Loop Header: Depth=1
	s_or_b64 s[36:37], s[36:37], exec
	s_cmp_eq_u64 s[2:3], s[40:41]
	s_cbranch_scc0 .LBB1573_40
; %bb.43:                               ;   in Loop: Header=BB1573_42 Depth=1
                                        ; implicit-def: $vgpr18_vgpr19
                                        ; implicit-def: $vgpr22_vgpr23
	s_mov_b64 s[40:41], s[26:27]
	s_branch .LBB1573_41
.LBB1573_44:
	s_or_b64 exec, exec, s[8:9]
	v_cmp_gt_i64_e32 vcc, s[26:27], v[24:25]
	s_orn2_b64 s[36:37], vcc, exec
.LBB1573_45:
	s_or_b64 exec, exec, s[38:39]
.LBB1573_46:
	v_mul_lo_u32 v22, v15, s26
	v_mul_lo_u32 v23, v14, s27
	v_mad_u64_u32 v[18:19], s[2:3], v14, s26, 0
	v_add3_u32 v19, v19, v23, v22
	s_and_b64 vcc, exec, s[0:1]
	v_lshlrev_b64 v[18:19], 2, v[18:19]
	s_cbranch_vccnz .LBB1573_55
; %bb.47:
	v_mov_b32_e32 v23, s29
	v_add_co_u32_e32 v22, vcc, s28, v18
	v_addc_co_u32_e64 v23, s[2:3], v23, v19, vcc
	v_mov_b32_e32 v25, s29
	v_add_co_u32_e64 v24, s[2:3], s28, v20
	v_addc_co_u32_e64 v25, s[8:9], v25, v21, s[2:3]
	global_load_dword v20, v[22:23], off
	global_load_dword v27, v[24:25], off
	s_mov_b64 s[18:19], -1
	s_waitcnt vmcnt(0)
	v_cmp_eq_u32_e64 s[8:9], v20, v27
	s_and_saveexec_b64 s[38:39], s[8:9]
	s_cbranch_execz .LBB1573_54
; %bb.48:
	v_mov_b32_e32 v20, s29
	v_addc_co_u32_e64 v21, s[2:3], v21, v20, s[2:3]
	v_add_co_u32_e64 v20, s[2:3], 4, v24
	v_mov_b32_e32 v23, s29
	v_addc_co_u32_e64 v21, s[2:3], 0, v21, s[2:3]
	v_addc_co_u32_e32 v23, vcc, v19, v23, vcc
	v_add_co_u32_e32 v22, vcc, 4, v22
	s_add_u32 s2, s26, -1
	v_addc_co_u32_e32 v23, vcc, 0, v23, vcc
	s_addc_u32 s3, s27, -1
	s_mov_b64 s[8:9], 0
	s_mov_b64 s[40:41], 0
                                        ; implicit-def: $sgpr18_sgpr19
	s_branch .LBB1573_51
.LBB1573_49:                            ;   in Loop: Header=BB1573_51 Depth=1
	global_load_dword v24, v[22:23], off
	global_load_dword v25, v[20:21], off
	v_add_co_u32_e32 v20, vcc, 4, v20
	v_addc_co_u32_e32 v21, vcc, 0, v21, vcc
	v_add_co_u32_e32 v22, vcc, 4, v22
	v_addc_co_u32_e32 v23, vcc, 0, v23, vcc
	s_add_u32 s40, s40, 1
	s_addc_u32 s41, s41, 0
	s_andn2_b64 s[18:19], s[18:19], exec
	s_waitcnt vmcnt(0)
	v_cmp_ne_u32_e32 vcc, v24, v25
	s_and_b64 s[42:43], vcc, exec
	s_or_b64 s[18:19], s[18:19], s[42:43]
.LBB1573_50:                            ;   in Loop: Header=BB1573_51 Depth=1
	s_and_b64 s[42:43], exec, s[18:19]
	s_or_b64 s[8:9], s[42:43], s[8:9]
	v_pk_mov_b32 v[24:25], s[40:41], s[40:41] op_sel:[0,1]
	s_andn2_b64 exec, exec, s[8:9]
	s_cbranch_execz .LBB1573_53
.LBB1573_51:                            ; =>This Inner Loop Header: Depth=1
	s_or_b64 s[18:19], s[18:19], exec
	s_cmp_eq_u64 s[2:3], s[40:41]
	s_cbranch_scc0 .LBB1573_49
; %bb.52:                               ;   in Loop: Header=BB1573_51 Depth=1
                                        ; implicit-def: $vgpr20_vgpr21
                                        ; implicit-def: $vgpr22_vgpr23
	s_mov_b64 s[40:41], s[26:27]
	s_branch .LBB1573_50
.LBB1573_53:
	s_or_b64 exec, exec, s[8:9]
	v_cmp_gt_i64_e32 vcc, s[26:27], v[24:25]
	s_orn2_b64 s[18:19], vcc, exec
.LBB1573_54:
	s_or_b64 exec, exec, s[38:39]
.LBB1573_55:
	v_cmp_ne_u32_e32 vcc, 0, v0
	s_waitcnt lgkmcnt(0)
	v_pk_mov_b32 v[20:21], s[12:13], s[12:13] op_sel:[0,1]
	s_barrier
	s_and_saveexec_b64 s[2:3], vcc
	s_cbranch_execz .LBB1573_57
; %bb.56:
	v_add_u32_e32 v20, -8, v26
	ds_read_b64 v[20:21], v20
.LBB1573_57:
	s_or_b64 exec, exec, s[2:3]
	v_cndmask_b32_e64 v23, 0, 1, s[14:15]
	v_cndmask_b32_e64 v22, 0, 1, s[36:37]
	v_cndmask_b32_e64 v24, 0, 1, s[18:19]
	v_lshlrev_b16_e32 v23, 8, v23
	v_lshlrev_b16_e32 v27, 8, v24
	v_or_b32_sdwa v28, v22, v23 dst_sel:WORD_1 dst_unused:UNUSED_PAD src0_sel:DWORD src1_sel:DWORD
	s_mov_b64 s[14:15], 0
	s_and_b64 vcc, exec, s[0:1]
	s_mov_b64 s[18:19], 0
	s_cbranch_vccnz .LBB1573_66
; %bb.58:
	s_waitcnt lgkmcnt(0)
	v_mul_lo_u32 v22, v21, s26
	v_mul_lo_u32 v23, v20, s27
	v_mad_u64_u32 v[20:21], s[2:3], v20, s26, 0
	v_add3_u32 v21, v21, v23, v22
	v_lshlrev_b64 v[20:21], 2, v[20:21]
	v_mov_b32_e32 v23, s29
	v_add_co_u32_e32 v22, vcc, s28, v20
	v_addc_co_u32_e64 v23, s[2:3], v23, v21, vcc
	v_mov_b32_e32 v20, s29
	v_add_co_u32_e64 v24, s[2:3], s28, v18
	v_addc_co_u32_e64 v25, s[8:9], v20, v19, s[2:3]
	global_load_dword v18, v[22:23], off
	global_load_dword v20, v[24:25], off
	s_mov_b64 s[18:19], -1
	s_waitcnt vmcnt(0)
	v_cmp_eq_u32_e64 s[8:9], v18, v20
	s_and_saveexec_b64 s[36:37], s[8:9]
	s_cbranch_execz .LBB1573_65
; %bb.59:
	v_mov_b32_e32 v18, s29
	v_addc_co_u32_e64 v19, s[2:3], v19, v18, s[2:3]
	v_add_co_u32_e64 v18, s[2:3], 4, v24
	v_mov_b32_e32 v20, s29
	v_addc_co_u32_e64 v19, s[2:3], 0, v19, s[2:3]
	v_addc_co_u32_e32 v21, vcc, v21, v20, vcc
	v_add_co_u32_e32 v20, vcc, 4, v22
	s_add_u32 s2, s26, -1
	v_addc_co_u32_e32 v21, vcc, 0, v21, vcc
	s_addc_u32 s3, s27, -1
	s_mov_b64 s[8:9], 0
	s_mov_b64 s[38:39], 0
                                        ; implicit-def: $sgpr18_sgpr19
	s_branch .LBB1573_62
.LBB1573_60:                            ;   in Loop: Header=BB1573_62 Depth=1
	global_load_dword v22, v[20:21], off
	global_load_dword v23, v[18:19], off
	v_add_co_u32_e32 v18, vcc, 4, v18
	v_addc_co_u32_e32 v19, vcc, 0, v19, vcc
	v_add_co_u32_e32 v20, vcc, 4, v20
	v_addc_co_u32_e32 v21, vcc, 0, v21, vcc
	s_add_u32 s38, s38, 1
	s_addc_u32 s39, s39, 0
	s_andn2_b64 s[18:19], s[18:19], exec
	s_waitcnt vmcnt(0)
	v_cmp_ne_u32_e32 vcc, v22, v23
	s_and_b64 s[40:41], vcc, exec
	s_or_b64 s[18:19], s[18:19], s[40:41]
.LBB1573_61:                            ;   in Loop: Header=BB1573_62 Depth=1
	s_and_b64 s[40:41], exec, s[18:19]
	s_or_b64 s[8:9], s[40:41], s[8:9]
	v_pk_mov_b32 v[22:23], s[38:39], s[38:39] op_sel:[0,1]
	s_andn2_b64 exec, exec, s[8:9]
	s_cbranch_execz .LBB1573_64
.LBB1573_62:                            ; =>This Inner Loop Header: Depth=1
	s_or_b64 s[18:19], s[18:19], exec
	s_cmp_eq_u64 s[2:3], s[38:39]
	s_cbranch_scc0 .LBB1573_60
; %bb.63:                               ;   in Loop: Header=BB1573_62 Depth=1
                                        ; implicit-def: $vgpr18_vgpr19
                                        ; implicit-def: $vgpr20_vgpr21
	s_mov_b64 s[38:39], s[26:27]
	s_branch .LBB1573_61
.LBB1573_64:
	s_or_b64 exec, exec, s[8:9]
	v_cmp_gt_i64_e32 vcc, s[26:27], v[22:23]
	s_orn2_b64 s[18:19], vcc, exec
.LBB1573_65:
	s_or_b64 exec, exec, s[36:37]
.LBB1573_66:
	v_or_b32_e32 v28, v27, v28
	s_and_b64 vcc, exec, s[14:15]
	s_cbranch_vccz .LBB1573_114
.LBB1573_67:
	v_or_b32_e32 v18, 3, v1
	v_cmp_gt_u32_e32 vcc, s7, v18
	s_mov_b64 s[18:19], 0
	s_mov_b64 s[14:15], 0
	s_and_saveexec_b64 s[36:37], vcc
	s_cbranch_execz .LBB1573_78
; %bb.68:
	s_and_b64 vcc, exec, s[0:1]
	s_mov_b64 s[38:39], 0
	s_cbranch_vccnz .LBB1573_77
; %bb.69:
	s_waitcnt lgkmcnt(0)
	v_mul_lo_u32 v20, v11, s26
	v_mul_lo_u32 v21, v10, s27
	v_mad_u64_u32 v[18:19], s[2:3], v10, s26, 0
	v_add3_u32 v19, v19, v21, v20
	v_mul_lo_u32 v20, v13, s26
	v_mul_lo_u32 v21, v12, s27
	v_mad_u64_u32 v[24:25], s[2:3], v12, s26, 0
	v_add3_u32 v25, v25, v21, v20
	v_lshlrev_b64 v[20:21], 2, v[18:19]
	v_mov_b32_e32 v18, s29
	v_add_co_u32_e32 v22, vcc, s28, v20
	v_addc_co_u32_e64 v23, s[2:3], v18, v21, vcc
	v_lshlrev_b64 v[18:19], 2, v[24:25]
	v_mov_b32_e32 v20, s29
	v_add_co_u32_e64 v24, s[2:3], s28, v18
	v_addc_co_u32_e64 v25, s[8:9], v20, v19, s[2:3]
	global_load_dword v18, v[22:23], off
	global_load_dword v20, v[24:25], off
	s_mov_b64 s[38:39], -1
	s_waitcnt vmcnt(0)
	v_cmp_eq_u32_e64 s[8:9], v18, v20
	s_and_saveexec_b64 s[14:15], s[8:9]
	s_cbranch_execz .LBB1573_76
; %bb.70:
	v_mov_b32_e32 v18, s29
	v_addc_co_u32_e64 v19, s[2:3], v19, v18, s[2:3]
	v_add_co_u32_e64 v18, s[2:3], 4, v24
	v_mov_b32_e32 v20, s29
	v_addc_co_u32_e64 v19, s[2:3], 0, v19, s[2:3]
	v_addc_co_u32_e32 v21, vcc, v21, v20, vcc
	v_add_co_u32_e32 v20, vcc, 4, v22
	s_add_u32 s2, s26, -1
	v_addc_co_u32_e32 v21, vcc, 0, v21, vcc
	s_addc_u32 s3, s27, -1
	s_mov_b64 s[8:9], 0
	s_mov_b64 s[40:41], 0
                                        ; implicit-def: $sgpr38_sgpr39
	s_branch .LBB1573_73
.LBB1573_71:                            ;   in Loop: Header=BB1573_73 Depth=1
	global_load_dword v22, v[20:21], off
	global_load_dword v23, v[18:19], off
	v_add_co_u32_e32 v18, vcc, 4, v18
	v_addc_co_u32_e32 v19, vcc, 0, v19, vcc
	v_add_co_u32_e32 v20, vcc, 4, v20
	v_addc_co_u32_e32 v21, vcc, 0, v21, vcc
	s_add_u32 s40, s40, 1
	s_addc_u32 s41, s41, 0
	s_andn2_b64 s[38:39], s[38:39], exec
	s_waitcnt vmcnt(0)
	v_cmp_ne_u32_e32 vcc, v22, v23
	s_and_b64 s[42:43], vcc, exec
	s_or_b64 s[38:39], s[38:39], s[42:43]
.LBB1573_72:                            ;   in Loop: Header=BB1573_73 Depth=1
	s_and_b64 s[42:43], exec, s[38:39]
	s_or_b64 s[8:9], s[42:43], s[8:9]
	v_pk_mov_b32 v[22:23], s[40:41], s[40:41] op_sel:[0,1]
	s_andn2_b64 exec, exec, s[8:9]
	s_cbranch_execz .LBB1573_75
.LBB1573_73:                            ; =>This Inner Loop Header: Depth=1
	s_or_b64 s[38:39], s[38:39], exec
	s_cmp_eq_u64 s[2:3], s[40:41]
	s_cbranch_scc0 .LBB1573_71
; %bb.74:                               ;   in Loop: Header=BB1573_73 Depth=1
                                        ; implicit-def: $vgpr18_vgpr19
                                        ; implicit-def: $vgpr20_vgpr21
	s_mov_b64 s[40:41], s[26:27]
	s_branch .LBB1573_72
.LBB1573_75:
	s_or_b64 exec, exec, s[8:9]
	v_cmp_gt_i64_e32 vcc, s[26:27], v[22:23]
	s_orn2_b64 s[38:39], vcc, exec
.LBB1573_76:
	s_or_b64 exec, exec, s[14:15]
.LBB1573_77:
	s_and_b64 s[14:15], s[38:39], exec
.LBB1573_78:
	s_or_b64 exec, exec, s[36:37]
	v_or_b32_e32 v18, 2, v1
	v_cmp_gt_u32_e32 vcc, s7, v18
	s_and_saveexec_b64 s[36:37], vcc
	s_cbranch_execz .LBB1573_89
; %bb.79:
	s_and_b64 vcc, exec, s[0:1]
	s_mov_b64 s[38:39], 0
	s_cbranch_vccnz .LBB1573_88
; %bb.80:
	s_waitcnt lgkmcnt(0)
	v_mul_lo_u32 v20, v17, s26
	v_mul_lo_u32 v21, v16, s27
	v_mad_u64_u32 v[18:19], s[2:3], v16, s26, 0
	v_add3_u32 v19, v19, v21, v20
	v_mul_lo_u32 v20, v11, s26
	v_mul_lo_u32 v21, v10, s27
	v_mad_u64_u32 v[24:25], s[2:3], v10, s26, 0
	v_add3_u32 v25, v25, v21, v20
	v_lshlrev_b64 v[20:21], 2, v[18:19]
	v_mov_b32_e32 v18, s29
	v_add_co_u32_e32 v22, vcc, s28, v20
	v_addc_co_u32_e64 v23, s[2:3], v18, v21, vcc
	v_lshlrev_b64 v[18:19], 2, v[24:25]
	v_mov_b32_e32 v20, s29
	v_add_co_u32_e64 v24, s[2:3], s28, v18
	v_addc_co_u32_e64 v25, s[8:9], v20, v19, s[2:3]
	global_load_dword v18, v[22:23], off
	global_load_dword v20, v[24:25], off
	s_mov_b64 s[38:39], -1
	s_waitcnt vmcnt(0)
	v_cmp_eq_u32_e64 s[8:9], v18, v20
	s_and_saveexec_b64 s[18:19], s[8:9]
	s_cbranch_execz .LBB1573_87
; %bb.81:
	v_mov_b32_e32 v18, s29
	v_addc_co_u32_e64 v19, s[2:3], v19, v18, s[2:3]
	v_add_co_u32_e64 v18, s[2:3], 4, v24
	v_mov_b32_e32 v20, s29
	v_addc_co_u32_e64 v19, s[2:3], 0, v19, s[2:3]
	v_addc_co_u32_e32 v21, vcc, v21, v20, vcc
	v_add_co_u32_e32 v20, vcc, 4, v22
	s_add_u32 s2, s26, -1
	v_addc_co_u32_e32 v21, vcc, 0, v21, vcc
	s_addc_u32 s3, s27, -1
	s_mov_b64 s[8:9], 0
	s_mov_b64 s[40:41], 0
                                        ; implicit-def: $sgpr38_sgpr39
	s_branch .LBB1573_84
.LBB1573_82:                            ;   in Loop: Header=BB1573_84 Depth=1
	global_load_dword v22, v[20:21], off
	global_load_dword v23, v[18:19], off
	v_add_co_u32_e32 v18, vcc, 4, v18
	v_addc_co_u32_e32 v19, vcc, 0, v19, vcc
	v_add_co_u32_e32 v20, vcc, 4, v20
	v_addc_co_u32_e32 v21, vcc, 0, v21, vcc
	s_add_u32 s40, s40, 1
	s_addc_u32 s41, s41, 0
	s_andn2_b64 s[38:39], s[38:39], exec
	s_waitcnt vmcnt(0)
	v_cmp_ne_u32_e32 vcc, v22, v23
	s_and_b64 s[42:43], vcc, exec
	s_or_b64 s[38:39], s[38:39], s[42:43]
.LBB1573_83:                            ;   in Loop: Header=BB1573_84 Depth=1
	s_and_b64 s[42:43], exec, s[38:39]
	s_or_b64 s[8:9], s[42:43], s[8:9]
	v_pk_mov_b32 v[22:23], s[40:41], s[40:41] op_sel:[0,1]
	s_andn2_b64 exec, exec, s[8:9]
	s_cbranch_execz .LBB1573_86
.LBB1573_84:                            ; =>This Inner Loop Header: Depth=1
	s_or_b64 s[38:39], s[38:39], exec
	s_cmp_eq_u64 s[2:3], s[40:41]
	s_cbranch_scc0 .LBB1573_82
; %bb.85:                               ;   in Loop: Header=BB1573_84 Depth=1
                                        ; implicit-def: $vgpr18_vgpr19
                                        ; implicit-def: $vgpr20_vgpr21
	s_mov_b64 s[40:41], s[26:27]
	s_branch .LBB1573_83
.LBB1573_86:
	s_or_b64 exec, exec, s[8:9]
	v_cmp_gt_i64_e32 vcc, s[26:27], v[22:23]
	s_orn2_b64 s[38:39], vcc, exec
.LBB1573_87:
	s_or_b64 exec, exec, s[18:19]
.LBB1573_88:
	s_and_b64 s[18:19], s[38:39], exec
.LBB1573_89:
	s_or_b64 exec, exec, s[36:37]
	v_or_b32_e32 v18, 1, v1
	v_cmp_gt_u32_e32 vcc, s7, v18
	s_mov_b64 s[2:3], 0
	s_and_saveexec_b64 s[36:37], vcc
	s_cbranch_execz .LBB1573_100
; %bb.90:
	s_and_b64 vcc, exec, s[0:1]
	s_mov_b64 s[40:41], 0
	s_cbranch_vccnz .LBB1573_99
; %bb.91:
	s_waitcnt lgkmcnt(0)
	v_mul_lo_u32 v20, v15, s26
	v_mul_lo_u32 v21, v14, s27
	v_mad_u64_u32 v[18:19], s[2:3], v14, s26, 0
	v_add3_u32 v19, v19, v21, v20
	v_mul_lo_u32 v20, v17, s26
	v_mul_lo_u32 v21, v16, s27
	v_mad_u64_u32 v[24:25], s[2:3], v16, s26, 0
	v_add3_u32 v25, v25, v21, v20
	v_lshlrev_b64 v[20:21], 2, v[18:19]
	v_mov_b32_e32 v18, s29
	v_add_co_u32_e32 v22, vcc, s28, v20
	v_addc_co_u32_e64 v23, s[2:3], v18, v21, vcc
	v_lshlrev_b64 v[18:19], 2, v[24:25]
	v_mov_b32_e32 v20, s29
	v_add_co_u32_e64 v24, s[2:3], s28, v18
	v_addc_co_u32_e64 v25, s[8:9], v20, v19, s[2:3]
	global_load_dword v18, v[22:23], off
	global_load_dword v20, v[24:25], off
	s_mov_b64 s[40:41], -1
	s_waitcnt vmcnt(0)
	v_cmp_eq_u32_e64 s[8:9], v18, v20
	s_and_saveexec_b64 s[38:39], s[8:9]
	s_cbranch_execz .LBB1573_98
; %bb.92:
	v_mov_b32_e32 v18, s29
	v_addc_co_u32_e64 v19, s[2:3], v19, v18, s[2:3]
	v_add_co_u32_e64 v18, s[2:3], 4, v24
	v_mov_b32_e32 v20, s29
	v_addc_co_u32_e64 v19, s[2:3], 0, v19, s[2:3]
	v_addc_co_u32_e32 v21, vcc, v21, v20, vcc
	v_add_co_u32_e32 v20, vcc, 4, v22
	s_add_u32 s2, s26, -1
	v_addc_co_u32_e32 v21, vcc, 0, v21, vcc
	s_addc_u32 s3, s27, -1
	s_mov_b64 s[8:9], 0
	s_mov_b64 s[42:43], 0
                                        ; implicit-def: $sgpr40_sgpr41
	s_branch .LBB1573_95
.LBB1573_93:                            ;   in Loop: Header=BB1573_95 Depth=1
	global_load_dword v22, v[20:21], off
	global_load_dword v23, v[18:19], off
	v_add_co_u32_e32 v18, vcc, 4, v18
	v_addc_co_u32_e32 v19, vcc, 0, v19, vcc
	v_add_co_u32_e32 v20, vcc, 4, v20
	v_addc_co_u32_e32 v21, vcc, 0, v21, vcc
	s_add_u32 s42, s42, 1
	s_addc_u32 s43, s43, 0
	s_andn2_b64 s[40:41], s[40:41], exec
	s_waitcnt vmcnt(0)
	v_cmp_ne_u32_e32 vcc, v22, v23
	s_and_b64 s[44:45], vcc, exec
	s_or_b64 s[40:41], s[40:41], s[44:45]
.LBB1573_94:                            ;   in Loop: Header=BB1573_95 Depth=1
	s_and_b64 s[44:45], exec, s[40:41]
	s_or_b64 s[8:9], s[44:45], s[8:9]
	v_pk_mov_b32 v[22:23], s[42:43], s[42:43] op_sel:[0,1]
	s_andn2_b64 exec, exec, s[8:9]
	s_cbranch_execz .LBB1573_97
.LBB1573_95:                            ; =>This Inner Loop Header: Depth=1
	s_or_b64 s[40:41], s[40:41], exec
	s_cmp_eq_u64 s[2:3], s[42:43]
	s_cbranch_scc0 .LBB1573_93
; %bb.96:                               ;   in Loop: Header=BB1573_95 Depth=1
                                        ; implicit-def: $vgpr18_vgpr19
                                        ; implicit-def: $vgpr20_vgpr21
	s_mov_b64 s[42:43], s[26:27]
	s_branch .LBB1573_94
.LBB1573_97:
	s_or_b64 exec, exec, s[8:9]
	v_cmp_gt_i64_e32 vcc, s[26:27], v[22:23]
	s_orn2_b64 s[40:41], vcc, exec
.LBB1573_98:
	s_or_b64 exec, exec, s[38:39]
.LBB1573_99:
	s_and_b64 s[2:3], s[40:41], exec
.LBB1573_100:
	s_or_b64 exec, exec, s[36:37]
	v_cmp_ne_u32_e32 vcc, 0, v0
	s_waitcnt lgkmcnt(0)
	v_pk_mov_b32 v[18:19], s[12:13], s[12:13] op_sel:[0,1]
	s_barrier
	s_and_saveexec_b64 s[8:9], vcc
	s_cbranch_execz .LBB1573_102
; %bb.101:
	v_add_u32_e32 v18, -8, v26
	ds_read_b64 v[18:19], v18
.LBB1573_102:
	s_or_b64 exec, exec, s[8:9]
	v_cndmask_b32_e64 v21, 0, 1, s[14:15]
	v_cndmask_b32_e64 v20, 0, 1, s[18:19]
	;; [unrolled: 1-line block ×3, first 2 shown]
	v_lshlrev_b16_e32 v21, 8, v21
	v_lshlrev_b16_e32 v26, 8, v22
	v_or_b32_sdwa v27, v20, v21 dst_sel:WORD_1 dst_unused:UNUSED_PAD src0_sel:DWORD src1_sel:DWORD
	v_cmp_gt_u32_e32 vcc, s7, v1
	s_mov_b64 s[18:19], 0
	s_and_saveexec_b64 s[8:9], vcc
	s_cbranch_execz .LBB1573_113
; %bb.103:
	s_and_b64 vcc, exec, s[0:1]
	s_mov_b64 s[14:15], 0
	s_cbranch_vccnz .LBB1573_112
; %bb.104:
	s_waitcnt lgkmcnt(0)
	v_mul_lo_u32 v20, v19, s26
	v_mul_lo_u32 v21, v18, s27
	v_mad_u64_u32 v[18:19], s[0:1], v18, s26, 0
	v_add3_u32 v19, v19, v21, v20
	v_mul_lo_u32 v20, v15, s26
	v_mul_lo_u32 v21, v14, s27
	v_mad_u64_u32 v[24:25], s[0:1], v14, s26, 0
	v_add3_u32 v25, v25, v21, v20
	v_lshlrev_b64 v[20:21], 2, v[18:19]
	v_mov_b32_e32 v18, s29
	v_add_co_u32_e32 v22, vcc, s28, v20
	v_addc_co_u32_e64 v23, s[0:1], v18, v21, vcc
	v_lshlrev_b64 v[18:19], 2, v[24:25]
	v_mov_b32_e32 v20, s29
	v_add_co_u32_e64 v24, s[0:1], s28, v18
	v_addc_co_u32_e64 v25, s[2:3], v20, v19, s[0:1]
	global_load_dword v18, v[22:23], off
	global_load_dword v20, v[24:25], off
	s_mov_b64 s[14:15], -1
	s_waitcnt vmcnt(0)
	v_cmp_eq_u32_e64 s[2:3], v18, v20
	s_and_saveexec_b64 s[12:13], s[2:3]
	s_cbranch_execz .LBB1573_111
; %bb.105:
	v_mov_b32_e32 v18, s29
	v_addc_co_u32_e64 v19, s[0:1], v19, v18, s[0:1]
	v_add_co_u32_e64 v18, s[0:1], 4, v24
	v_mov_b32_e32 v20, s29
	v_addc_co_u32_e64 v19, s[0:1], 0, v19, s[0:1]
	v_addc_co_u32_e32 v21, vcc, v21, v20, vcc
	v_add_co_u32_e32 v20, vcc, 4, v22
	s_add_u32 s0, s26, -1
	v_addc_co_u32_e32 v21, vcc, 0, v21, vcc
	s_addc_u32 s1, s27, -1
	s_mov_b64 s[2:3], 0
                                        ; implicit-def: $sgpr14_sgpr15
	s_branch .LBB1573_108
.LBB1573_106:                           ;   in Loop: Header=BB1573_108 Depth=1
	global_load_dword v22, v[20:21], off
	global_load_dword v23, v[18:19], off
	v_add_co_u32_e32 v18, vcc, 4, v18
	v_addc_co_u32_e32 v19, vcc, 0, v19, vcc
	v_add_co_u32_e32 v20, vcc, 4, v20
	v_addc_co_u32_e32 v21, vcc, 0, v21, vcc
	s_add_u32 s18, s18, 1
	s_addc_u32 s19, s19, 0
	s_andn2_b64 s[14:15], s[14:15], exec
	s_waitcnt vmcnt(0)
	v_cmp_ne_u32_e32 vcc, v22, v23
	s_and_b64 s[36:37], vcc, exec
	s_or_b64 s[14:15], s[14:15], s[36:37]
.LBB1573_107:                           ;   in Loop: Header=BB1573_108 Depth=1
	s_and_b64 s[36:37], exec, s[14:15]
	s_or_b64 s[2:3], s[36:37], s[2:3]
	v_pk_mov_b32 v[22:23], s[18:19], s[18:19] op_sel:[0,1]
	s_andn2_b64 exec, exec, s[2:3]
	s_cbranch_execz .LBB1573_110
.LBB1573_108:                           ; =>This Inner Loop Header: Depth=1
	s_or_b64 s[14:15], s[14:15], exec
	s_cmp_eq_u64 s[0:1], s[18:19]
	s_cbranch_scc0 .LBB1573_106
; %bb.109:                              ;   in Loop: Header=BB1573_108 Depth=1
                                        ; implicit-def: $vgpr18_vgpr19
                                        ; implicit-def: $vgpr20_vgpr21
	s_mov_b64 s[18:19], s[26:27]
	s_branch .LBB1573_107
.LBB1573_110:
	s_or_b64 exec, exec, s[2:3]
	v_cmp_gt_i64_e32 vcc, s[26:27], v[22:23]
	s_orn2_b64 s[14:15], vcc, exec
.LBB1573_111:
	s_or_b64 exec, exec, s[12:13]
.LBB1573_112:
	s_and_b64 s[18:19], s[14:15], exec
.LBB1573_113:
	s_or_b64 exec, exec, s[8:9]
	v_or_b32_e32 v28, v26, v27
.LBB1573_114:
	s_waitcnt lgkmcnt(0)
	s_mov_b64 s[12:13], -1
	s_cbranch_execnz .LBB1573_203
.LBB1573_115:
	v_lshlrev_b32_e32 v29, 3, v0
	s_mov_b64 s[18:19], 0
	v_cmp_gt_i64_e64 s[14:15], s[26:27], 0
	s_and_b64 vcc, exec, s[34:35]
	ds_write_b64 v29, v[12:13]
	s_cbranch_vccz .LBB1573_123
; %bb.116:
	v_mul_lo_u32 v20, v11, s26
	v_mul_lo_u32 v21, v10, s27
	v_mad_u64_u32 v[18:19], s[0:1], v10, s26, 0
	v_add3_u32 v19, v19, v21, v20
	v_cndmask_b32_e64 v20, 0, 1, s[14:15]
	v_cmp_ne_u32_e64 s[0:1], 1, v20
	s_andn2_b64 vcc, exec, s[14:15]
	v_lshlrev_b64 v[18:19], 2, v[18:19]
	s_cbranch_vccnz .LBB1573_126
; %bb.117:
	v_mul_lo_u32 v22, v13, s26
	v_mul_lo_u32 v23, v12, s27
	v_mad_u64_u32 v[20:21], s[2:3], v12, s26, 0
	v_add3_u32 v21, v21, v23, v22
	v_mov_b32_e32 v23, s29
	v_add_co_u32_e32 v22, vcc, s28, v18
	v_addc_co_u32_e64 v23, s[2:3], v23, v19, vcc
	v_lshlrev_b64 v[20:21], 2, v[20:21]
	v_mov_b32_e32 v25, s29
	v_add_co_u32_e64 v24, s[2:3], s28, v20
	v_addc_co_u32_e64 v25, s[8:9], v25, v21, s[2:3]
	global_load_dword v20, v[22:23], off
	global_load_dword v26, v[24:25], off
	s_mov_b64 s[18:19], -1
	s_waitcnt vmcnt(0)
	v_cmp_eq_u32_e64 s[8:9], v20, v26
	s_and_saveexec_b64 s[36:37], s[8:9]
	s_cbranch_execz .LBB1573_125
; %bb.118:
	v_mov_b32_e32 v20, s29
	v_addc_co_u32_e64 v21, s[2:3], v21, v20, s[2:3]
	v_add_co_u32_e64 v20, s[2:3], 4, v24
	v_mov_b32_e32 v23, s29
	v_addc_co_u32_e64 v21, s[2:3], 0, v21, s[2:3]
	v_addc_co_u32_e32 v23, vcc, v19, v23, vcc
	v_add_co_u32_e32 v22, vcc, 4, v22
	s_add_u32 s2, s26, -1
	v_addc_co_u32_e32 v23, vcc, 0, v23, vcc
	s_addc_u32 s3, s27, -1
	s_mov_b64 s[8:9], 0
	s_mov_b64 s[38:39], 0
                                        ; implicit-def: $sgpr18_sgpr19
	s_branch .LBB1573_121
.LBB1573_119:                           ;   in Loop: Header=BB1573_121 Depth=1
	global_load_dword v24, v[22:23], off
	global_load_dword v25, v[20:21], off
	v_add_co_u32_e32 v20, vcc, 4, v20
	v_addc_co_u32_e32 v21, vcc, 0, v21, vcc
	v_add_co_u32_e32 v22, vcc, 4, v22
	v_addc_co_u32_e32 v23, vcc, 0, v23, vcc
	s_add_u32 s38, s38, 1
	s_addc_u32 s39, s39, 0
	s_andn2_b64 s[18:19], s[18:19], exec
	s_waitcnt vmcnt(0)
	v_cmp_ne_u32_e32 vcc, v24, v25
	s_and_b64 s[40:41], vcc, exec
	s_or_b64 s[18:19], s[18:19], s[40:41]
.LBB1573_120:                           ;   in Loop: Header=BB1573_121 Depth=1
	s_and_b64 s[40:41], exec, s[18:19]
	s_or_b64 s[8:9], s[40:41], s[8:9]
	v_pk_mov_b32 v[24:25], s[38:39], s[38:39] op_sel:[0,1]
	s_andn2_b64 exec, exec, s[8:9]
	s_cbranch_execz .LBB1573_124
.LBB1573_121:                           ; =>This Inner Loop Header: Depth=1
	s_or_b64 s[18:19], s[18:19], exec
	s_cmp_eq_u64 s[2:3], s[38:39]
	s_cbranch_scc0 .LBB1573_119
; %bb.122:                              ;   in Loop: Header=BB1573_121 Depth=1
                                        ; implicit-def: $vgpr20_vgpr21
                                        ; implicit-def: $vgpr22_vgpr23
	s_mov_b64 s[38:39], s[26:27]
	s_branch .LBB1573_120
.LBB1573_123:
                                        ; implicit-def: $sgpr18_sgpr19
                                        ; implicit-def: $vgpr28
	s_cbranch_execnz .LBB1573_156
	s_branch .LBB1573_203
.LBB1573_124:
	s_or_b64 exec, exec, s[8:9]
	v_cmp_gt_i64_e32 vcc, s[26:27], v[24:25]
	s_orn2_b64 s[18:19], vcc, exec
.LBB1573_125:
	s_or_b64 exec, exec, s[36:37]
.LBB1573_126:
	v_mul_lo_u32 v22, v17, s26
	v_mul_lo_u32 v23, v16, s27
	v_mad_u64_u32 v[20:21], s[2:3], v16, s26, 0
	v_add3_u32 v21, v21, v23, v22
	s_mov_b64 s[36:37], 0
	s_and_b64 vcc, exec, s[0:1]
	v_lshlrev_b64 v[20:21], 2, v[20:21]
	s_mov_b64 s[38:39], 0
	s_cbranch_vccnz .LBB1573_135
; %bb.127:
	v_mov_b32_e32 v23, s29
	v_add_co_u32_e32 v22, vcc, s28, v20
	v_addc_co_u32_e64 v23, s[2:3], v23, v21, vcc
	v_mov_b32_e32 v25, s29
	v_add_co_u32_e64 v24, s[2:3], s28, v18
	v_addc_co_u32_e64 v25, s[8:9], v25, v19, s[2:3]
	global_load_dword v18, v[22:23], off
	global_load_dword v26, v[24:25], off
	s_mov_b64 s[38:39], -1
	s_waitcnt vmcnt(0)
	v_cmp_eq_u32_e64 s[8:9], v18, v26
	s_and_saveexec_b64 s[40:41], s[8:9]
	s_cbranch_execz .LBB1573_134
; %bb.128:
	v_mov_b32_e32 v18, s29
	v_addc_co_u32_e64 v19, s[2:3], v19, v18, s[2:3]
	v_add_co_u32_e64 v18, s[2:3], 4, v24
	v_mov_b32_e32 v23, s29
	v_addc_co_u32_e64 v19, s[2:3], 0, v19, s[2:3]
	v_addc_co_u32_e32 v23, vcc, v21, v23, vcc
	v_add_co_u32_e32 v22, vcc, 4, v22
	s_add_u32 s2, s26, -1
	v_addc_co_u32_e32 v23, vcc, 0, v23, vcc
	s_addc_u32 s3, s27, -1
	s_mov_b64 s[8:9], 0
	s_mov_b64 s[42:43], 0
                                        ; implicit-def: $sgpr38_sgpr39
	s_branch .LBB1573_131
.LBB1573_129:                           ;   in Loop: Header=BB1573_131 Depth=1
	global_load_dword v24, v[22:23], off
	global_load_dword v25, v[18:19], off
	v_add_co_u32_e32 v18, vcc, 4, v18
	v_addc_co_u32_e32 v19, vcc, 0, v19, vcc
	v_add_co_u32_e32 v22, vcc, 4, v22
	v_addc_co_u32_e32 v23, vcc, 0, v23, vcc
	s_add_u32 s42, s42, 1
	s_addc_u32 s43, s43, 0
	s_andn2_b64 s[38:39], s[38:39], exec
	s_waitcnt vmcnt(0)
	v_cmp_ne_u32_e32 vcc, v24, v25
	s_and_b64 s[44:45], vcc, exec
	s_or_b64 s[38:39], s[38:39], s[44:45]
.LBB1573_130:                           ;   in Loop: Header=BB1573_131 Depth=1
	s_and_b64 s[44:45], exec, s[38:39]
	s_or_b64 s[8:9], s[44:45], s[8:9]
	v_pk_mov_b32 v[24:25], s[42:43], s[42:43] op_sel:[0,1]
	s_andn2_b64 exec, exec, s[8:9]
	s_cbranch_execz .LBB1573_133
.LBB1573_131:                           ; =>This Inner Loop Header: Depth=1
	s_or_b64 s[38:39], s[38:39], exec
	s_cmp_eq_u64 s[2:3], s[42:43]
	s_cbranch_scc0 .LBB1573_129
; %bb.132:                              ;   in Loop: Header=BB1573_131 Depth=1
                                        ; implicit-def: $vgpr18_vgpr19
                                        ; implicit-def: $vgpr22_vgpr23
	s_mov_b64 s[42:43], s[26:27]
	s_branch .LBB1573_130
.LBB1573_133:
	s_or_b64 exec, exec, s[8:9]
	v_cmp_gt_i64_e32 vcc, s[26:27], v[24:25]
	s_orn2_b64 s[38:39], vcc, exec
.LBB1573_134:
	s_or_b64 exec, exec, s[40:41]
.LBB1573_135:
	v_mul_lo_u32 v22, v15, s26
	v_mul_lo_u32 v23, v14, s27
	v_mad_u64_u32 v[18:19], s[2:3], v14, s26, 0
	s_and_b64 vcc, exec, s[0:1]
	v_add3_u32 v19, v19, v23, v22
	s_cbranch_vccnz .LBB1573_144
; %bb.136:
	v_lshlrev_b64 v[22:23], 2, v[18:19]
	v_mov_b32_e32 v25, s29
	v_add_co_u32_e32 v24, vcc, s28, v22
	v_addc_co_u32_e64 v25, s[2:3], v25, v23, vcc
	v_mov_b32_e32 v22, s29
	v_add_co_u32_e64 v26, s[2:3], s28, v20
	v_addc_co_u32_e64 v27, s[8:9], v22, v21, s[2:3]
	global_load_dword v20, v[24:25], off
	global_load_dword v22, v[26:27], off
	s_mov_b64 s[36:37], -1
	s_waitcnt vmcnt(0)
	v_cmp_eq_u32_e64 s[8:9], v20, v22
	s_and_saveexec_b64 s[40:41], s[8:9]
	s_cbranch_execz .LBB1573_143
; %bb.137:
	v_mov_b32_e32 v20, s29
	v_addc_co_u32_e64 v21, s[2:3], v21, v20, s[2:3]
	v_add_co_u32_e64 v20, s[2:3], 4, v26
	v_mov_b32_e32 v22, s29
	v_addc_co_u32_e64 v21, s[2:3], 0, v21, s[2:3]
	v_addc_co_u32_e32 v23, vcc, v23, v22, vcc
	v_add_co_u32_e32 v22, vcc, 4, v24
	s_add_u32 s2, s26, -1
	v_addc_co_u32_e32 v23, vcc, 0, v23, vcc
	s_addc_u32 s3, s27, -1
	s_mov_b64 s[8:9], 0
	s_mov_b64 s[42:43], 0
                                        ; implicit-def: $sgpr36_sgpr37
	s_branch .LBB1573_140
.LBB1573_138:                           ;   in Loop: Header=BB1573_140 Depth=1
	global_load_dword v24, v[22:23], off
	global_load_dword v25, v[20:21], off
	v_add_co_u32_e32 v20, vcc, 4, v20
	v_addc_co_u32_e32 v21, vcc, 0, v21, vcc
	v_add_co_u32_e32 v22, vcc, 4, v22
	v_addc_co_u32_e32 v23, vcc, 0, v23, vcc
	s_add_u32 s42, s42, 1
	s_addc_u32 s43, s43, 0
	s_andn2_b64 s[36:37], s[36:37], exec
	s_waitcnt vmcnt(0)
	v_cmp_ne_u32_e32 vcc, v24, v25
	s_and_b64 s[44:45], vcc, exec
	s_or_b64 s[36:37], s[36:37], s[44:45]
.LBB1573_139:                           ;   in Loop: Header=BB1573_140 Depth=1
	s_and_b64 s[44:45], exec, s[36:37]
	s_or_b64 s[8:9], s[44:45], s[8:9]
	v_pk_mov_b32 v[24:25], s[42:43], s[42:43] op_sel:[0,1]
	s_andn2_b64 exec, exec, s[8:9]
	s_cbranch_execz .LBB1573_142
.LBB1573_140:                           ; =>This Inner Loop Header: Depth=1
	s_or_b64 s[36:37], s[36:37], exec
	s_cmp_eq_u64 s[2:3], s[42:43]
	s_cbranch_scc0 .LBB1573_138
; %bb.141:                              ;   in Loop: Header=BB1573_140 Depth=1
                                        ; implicit-def: $vgpr20_vgpr21
                                        ; implicit-def: $vgpr22_vgpr23
	s_mov_b64 s[42:43], s[26:27]
	s_branch .LBB1573_139
.LBB1573_142:
	s_or_b64 exec, exec, s[8:9]
	v_cmp_gt_i64_e32 vcc, s[26:27], v[24:25]
	s_orn2_b64 s[36:37], vcc, exec
.LBB1573_143:
	s_or_b64 exec, exec, s[40:41]
.LBB1573_144:
	v_cndmask_b32_e64 v21, 0, 1, s[18:19]
	v_cndmask_b32_e64 v22, 0, 1, s[36:37]
	;; [unrolled: 1-line block ×3, first 2 shown]
	v_lshlrev_b16_e32 v22, 8, v22
	v_lshlrev_b16_e32 v21, 8, v21
	v_or_b32_e32 v22, 1, v22
	v_or_b32_sdwa v20, v20, v21 dst_sel:WORD_1 dst_unused:UNUSED_PAD src0_sel:DWORD src1_sel:DWORD
	v_or_b32_sdwa v28, v22, v20 dst_sel:DWORD dst_unused:UNUSED_PAD src0_sel:WORD_0 src1_sel:DWORD
	v_cmp_ne_u32_e32 vcc, 0, v0
	s_waitcnt lgkmcnt(0)
	s_barrier
	s_waitcnt lgkmcnt(0)
                                        ; implicit-def: $sgpr18_sgpr19
	s_and_saveexec_b64 s[2:3], vcc
	s_xor_b64 s[8:9], exec, s[2:3]
	s_cbranch_execz .LBB1573_155
; %bb.145:
	s_and_b64 vcc, exec, s[0:1]
	s_mov_b64 s[36:37], 0
	s_cbranch_vccnz .LBB1573_154
; %bb.146:
	v_add_u32_e32 v20, -8, v29
	ds_read_b64 v[20:21], v20
	v_mov_b32_e32 v23, s29
	v_lshlrev_b64 v[18:19], 2, v[18:19]
	s_mov_b64 s[36:37], -1
	s_waitcnt lgkmcnt(0)
	v_mul_lo_u32 v22, v21, s26
	v_mul_lo_u32 v24, v20, s27
	v_mad_u64_u32 v[20:21], s[0:1], v20, s26, 0
	v_add3_u32 v21, v21, v24, v22
	v_lshlrev_b64 v[20:21], 2, v[20:21]
	v_add_co_u32_e32 v22, vcc, s28, v20
	v_addc_co_u32_e64 v23, s[0:1], v23, v21, vcc
	v_mov_b32_e32 v20, s29
	v_add_co_u32_e64 v24, s[0:1], s28, v18
	v_addc_co_u32_e64 v25, s[2:3], v20, v19, s[0:1]
	global_load_dword v18, v[22:23], off
	global_load_dword v20, v[24:25], off
	s_waitcnt vmcnt(0)
	v_cmp_eq_u32_e64 s[2:3], v18, v20
	s_and_saveexec_b64 s[18:19], s[2:3]
	s_cbranch_execz .LBB1573_153
; %bb.147:
	v_mov_b32_e32 v18, s29
	v_addc_co_u32_e64 v19, s[0:1], v19, v18, s[0:1]
	v_add_co_u32_e64 v18, s[0:1], 4, v24
	v_mov_b32_e32 v20, s29
	v_addc_co_u32_e64 v19, s[0:1], 0, v19, s[0:1]
	v_addc_co_u32_e32 v21, vcc, v21, v20, vcc
	v_add_co_u32_e32 v20, vcc, 4, v22
	s_add_u32 s0, s26, -1
	v_addc_co_u32_e32 v21, vcc, 0, v21, vcc
	s_addc_u32 s1, s27, -1
	s_mov_b64 s[2:3], 0
	s_mov_b64 s[38:39], 0
                                        ; implicit-def: $sgpr36_sgpr37
	s_branch .LBB1573_150
.LBB1573_148:                           ;   in Loop: Header=BB1573_150 Depth=1
	global_load_dword v22, v[20:21], off
	global_load_dword v23, v[18:19], off
	v_add_co_u32_e32 v18, vcc, 4, v18
	v_addc_co_u32_e32 v19, vcc, 0, v19, vcc
	v_add_co_u32_e32 v20, vcc, 4, v20
	v_addc_co_u32_e32 v21, vcc, 0, v21, vcc
	s_add_u32 s38, s38, 1
	s_addc_u32 s39, s39, 0
	s_andn2_b64 s[36:37], s[36:37], exec
	s_waitcnt vmcnt(0)
	v_cmp_ne_u32_e32 vcc, v22, v23
	s_and_b64 s[40:41], vcc, exec
	s_or_b64 s[36:37], s[36:37], s[40:41]
.LBB1573_149:                           ;   in Loop: Header=BB1573_150 Depth=1
	s_and_b64 s[40:41], exec, s[36:37]
	s_or_b64 s[2:3], s[40:41], s[2:3]
	v_pk_mov_b32 v[22:23], s[38:39], s[38:39] op_sel:[0,1]
	s_andn2_b64 exec, exec, s[2:3]
	s_cbranch_execz .LBB1573_152
.LBB1573_150:                           ; =>This Inner Loop Header: Depth=1
	s_or_b64 s[36:37], s[36:37], exec
	s_cmp_eq_u64 s[0:1], s[38:39]
	s_cbranch_scc0 .LBB1573_148
; %bb.151:                              ;   in Loop: Header=BB1573_150 Depth=1
                                        ; implicit-def: $vgpr18_vgpr19
                                        ; implicit-def: $vgpr20_vgpr21
	s_mov_b64 s[38:39], s[26:27]
	s_branch .LBB1573_149
.LBB1573_152:
	s_or_b64 exec, exec, s[2:3]
	v_cmp_gt_i64_e32 vcc, s[26:27], v[22:23]
	s_orn2_b64 s[36:37], vcc, exec
.LBB1573_153:
	s_or_b64 exec, exec, s[18:19]
.LBB1573_154:
	s_and_b64 s[18:19], s[36:37], exec
	s_or_b64 s[12:13], s[12:13], exec
.LBB1573_155:
	s_or_b64 exec, exec, s[8:9]
	s_branch .LBB1573_203
.LBB1573_156:
	v_or_b32_e32 v18, 3, v1
	v_cmp_gt_u32_e32 vcc, s7, v18
	s_mov_b64 s[18:19], 0
	s_mov_b64 s[8:9], 0
	s_and_saveexec_b64 s[36:37], vcc
	s_cbranch_execz .LBB1573_167
; %bb.157:
	s_andn2_b64 vcc, exec, s[14:15]
	s_mov_b64 s[38:39], 0
	s_cbranch_vccnz .LBB1573_166
; %bb.158:
	v_mul_lo_u32 v20, v11, s26
	v_mul_lo_u32 v21, v10, s27
	v_mad_u64_u32 v[18:19], s[0:1], v10, s26, 0
	v_add3_u32 v19, v19, v21, v20
	v_mul_lo_u32 v20, v13, s26
	v_mul_lo_u32 v21, v12, s27
	v_mad_u64_u32 v[24:25], s[0:1], v12, s26, 0
	v_add3_u32 v25, v25, v21, v20
	v_lshlrev_b64 v[20:21], 2, v[18:19]
	v_mov_b32_e32 v18, s29
	v_add_co_u32_e32 v22, vcc, s28, v20
	v_addc_co_u32_e64 v23, s[0:1], v18, v21, vcc
	v_lshlrev_b64 v[18:19], 2, v[24:25]
	v_mov_b32_e32 v20, s29
	v_add_co_u32_e64 v24, s[0:1], s28, v18
	v_addc_co_u32_e64 v25, s[2:3], v20, v19, s[0:1]
	global_load_dword v18, v[22:23], off
	global_load_dword v20, v[24:25], off
	s_mov_b64 s[38:39], -1
	s_waitcnt vmcnt(0)
	v_cmp_eq_u32_e64 s[2:3], v18, v20
	s_and_saveexec_b64 s[8:9], s[2:3]
	s_cbranch_execz .LBB1573_165
; %bb.159:
	v_mov_b32_e32 v18, s29
	v_addc_co_u32_e64 v19, s[0:1], v19, v18, s[0:1]
	v_add_co_u32_e64 v18, s[0:1], 4, v24
	v_mov_b32_e32 v20, s29
	v_addc_co_u32_e64 v19, s[0:1], 0, v19, s[0:1]
	v_addc_co_u32_e32 v21, vcc, v21, v20, vcc
	v_add_co_u32_e32 v20, vcc, 4, v22
	s_add_u32 s0, s26, -1
	v_addc_co_u32_e32 v21, vcc, 0, v21, vcc
	s_addc_u32 s1, s27, -1
	s_mov_b64 s[2:3], 0
	s_mov_b64 s[40:41], 0
                                        ; implicit-def: $sgpr38_sgpr39
	s_branch .LBB1573_162
.LBB1573_160:                           ;   in Loop: Header=BB1573_162 Depth=1
	global_load_dword v22, v[20:21], off
	global_load_dword v23, v[18:19], off
	v_add_co_u32_e32 v18, vcc, 4, v18
	v_addc_co_u32_e32 v19, vcc, 0, v19, vcc
	v_add_co_u32_e32 v20, vcc, 4, v20
	v_addc_co_u32_e32 v21, vcc, 0, v21, vcc
	s_add_u32 s40, s40, 1
	s_addc_u32 s41, s41, 0
	s_andn2_b64 s[38:39], s[38:39], exec
	s_waitcnt vmcnt(0)
	v_cmp_ne_u32_e32 vcc, v22, v23
	s_and_b64 s[42:43], vcc, exec
	s_or_b64 s[38:39], s[38:39], s[42:43]
.LBB1573_161:                           ;   in Loop: Header=BB1573_162 Depth=1
	s_and_b64 s[42:43], exec, s[38:39]
	s_or_b64 s[2:3], s[42:43], s[2:3]
	v_pk_mov_b32 v[22:23], s[40:41], s[40:41] op_sel:[0,1]
	s_andn2_b64 exec, exec, s[2:3]
	s_cbranch_execz .LBB1573_164
.LBB1573_162:                           ; =>This Inner Loop Header: Depth=1
	s_or_b64 s[38:39], s[38:39], exec
	s_cmp_eq_u64 s[0:1], s[40:41]
	s_cbranch_scc0 .LBB1573_160
; %bb.163:                              ;   in Loop: Header=BB1573_162 Depth=1
                                        ; implicit-def: $vgpr18_vgpr19
                                        ; implicit-def: $vgpr20_vgpr21
	s_mov_b64 s[40:41], s[26:27]
	s_branch .LBB1573_161
.LBB1573_164:
	s_or_b64 exec, exec, s[2:3]
	v_cmp_gt_i64_e32 vcc, s[26:27], v[22:23]
	s_orn2_b64 s[38:39], vcc, exec
.LBB1573_165:
	s_or_b64 exec, exec, s[8:9]
.LBB1573_166:
	s_and_b64 s[8:9], s[38:39], exec
.LBB1573_167:
	s_or_b64 exec, exec, s[36:37]
	v_or_b32_e32 v18, 2, v1
	v_cmp_gt_u32_e32 vcc, s7, v18
	s_and_saveexec_b64 s[36:37], vcc
	s_cbranch_execz .LBB1573_178
; %bb.168:
	s_andn2_b64 vcc, exec, s[14:15]
	s_mov_b64 s[38:39], 0
	s_cbranch_vccnz .LBB1573_177
; %bb.169:
	v_mul_lo_u32 v20, v17, s26
	v_mul_lo_u32 v21, v16, s27
	v_mad_u64_u32 v[18:19], s[0:1], v16, s26, 0
	v_add3_u32 v19, v19, v21, v20
	v_mul_lo_u32 v20, v11, s26
	v_mul_lo_u32 v21, v10, s27
	v_mad_u64_u32 v[24:25], s[0:1], v10, s26, 0
	v_add3_u32 v25, v25, v21, v20
	v_lshlrev_b64 v[20:21], 2, v[18:19]
	v_mov_b32_e32 v18, s29
	v_add_co_u32_e32 v22, vcc, s28, v20
	v_addc_co_u32_e64 v23, s[0:1], v18, v21, vcc
	v_lshlrev_b64 v[18:19], 2, v[24:25]
	v_mov_b32_e32 v20, s29
	v_add_co_u32_e64 v24, s[0:1], s28, v18
	v_addc_co_u32_e64 v25, s[2:3], v20, v19, s[0:1]
	global_load_dword v18, v[22:23], off
	global_load_dword v20, v[24:25], off
	s_mov_b64 s[38:39], -1
	s_waitcnt vmcnt(0)
	v_cmp_eq_u32_e64 s[2:3], v18, v20
	s_and_saveexec_b64 s[18:19], s[2:3]
	s_cbranch_execz .LBB1573_176
; %bb.170:
	v_mov_b32_e32 v18, s29
	v_addc_co_u32_e64 v19, s[0:1], v19, v18, s[0:1]
	v_add_co_u32_e64 v18, s[0:1], 4, v24
	v_mov_b32_e32 v20, s29
	v_addc_co_u32_e64 v19, s[0:1], 0, v19, s[0:1]
	v_addc_co_u32_e32 v21, vcc, v21, v20, vcc
	v_add_co_u32_e32 v20, vcc, 4, v22
	s_add_u32 s0, s26, -1
	v_addc_co_u32_e32 v21, vcc, 0, v21, vcc
	s_addc_u32 s1, s27, -1
	s_mov_b64 s[2:3], 0
	s_mov_b64 s[40:41], 0
                                        ; implicit-def: $sgpr38_sgpr39
	s_branch .LBB1573_173
.LBB1573_171:                           ;   in Loop: Header=BB1573_173 Depth=1
	global_load_dword v22, v[20:21], off
	global_load_dword v23, v[18:19], off
	v_add_co_u32_e32 v18, vcc, 4, v18
	v_addc_co_u32_e32 v19, vcc, 0, v19, vcc
	v_add_co_u32_e32 v20, vcc, 4, v20
	v_addc_co_u32_e32 v21, vcc, 0, v21, vcc
	s_add_u32 s40, s40, 1
	s_addc_u32 s41, s41, 0
	s_andn2_b64 s[38:39], s[38:39], exec
	s_waitcnt vmcnt(0)
	v_cmp_ne_u32_e32 vcc, v22, v23
	s_and_b64 s[42:43], vcc, exec
	s_or_b64 s[38:39], s[38:39], s[42:43]
.LBB1573_172:                           ;   in Loop: Header=BB1573_173 Depth=1
	s_and_b64 s[42:43], exec, s[38:39]
	s_or_b64 s[2:3], s[42:43], s[2:3]
	v_pk_mov_b32 v[22:23], s[40:41], s[40:41] op_sel:[0,1]
	s_andn2_b64 exec, exec, s[2:3]
	s_cbranch_execz .LBB1573_175
.LBB1573_173:                           ; =>This Inner Loop Header: Depth=1
	s_or_b64 s[38:39], s[38:39], exec
	s_cmp_eq_u64 s[0:1], s[40:41]
	s_cbranch_scc0 .LBB1573_171
; %bb.174:                              ;   in Loop: Header=BB1573_173 Depth=1
                                        ; implicit-def: $vgpr18_vgpr19
                                        ; implicit-def: $vgpr20_vgpr21
	s_mov_b64 s[40:41], s[26:27]
	s_branch .LBB1573_172
.LBB1573_175:
	s_or_b64 exec, exec, s[2:3]
	v_cmp_gt_i64_e32 vcc, s[26:27], v[22:23]
	s_orn2_b64 s[38:39], vcc, exec
.LBB1573_176:
	s_or_b64 exec, exec, s[18:19]
.LBB1573_177:
	s_and_b64 s[18:19], s[38:39], exec
.LBB1573_178:
	s_or_b64 exec, exec, s[36:37]
	v_or_b32_e32 v18, 1, v1
	v_cmp_gt_u32_e32 vcc, s7, v18
	s_mov_b64 s[0:1], 0
	s_and_saveexec_b64 s[36:37], vcc
	s_cbranch_execz .LBB1573_189
; %bb.179:
	s_andn2_b64 vcc, exec, s[14:15]
	s_mov_b64 s[40:41], 0
	s_cbranch_vccnz .LBB1573_188
; %bb.180:
	v_mul_lo_u32 v20, v15, s26
	v_mul_lo_u32 v21, v14, s27
	v_mad_u64_u32 v[18:19], s[0:1], v14, s26, 0
	v_add3_u32 v19, v19, v21, v20
	v_mul_lo_u32 v20, v17, s26
	v_mul_lo_u32 v21, v16, s27
	v_mad_u64_u32 v[24:25], s[0:1], v16, s26, 0
	v_add3_u32 v25, v25, v21, v20
	v_lshlrev_b64 v[20:21], 2, v[18:19]
	v_mov_b32_e32 v18, s29
	v_add_co_u32_e32 v22, vcc, s28, v20
	v_addc_co_u32_e64 v23, s[0:1], v18, v21, vcc
	v_lshlrev_b64 v[18:19], 2, v[24:25]
	v_mov_b32_e32 v20, s29
	v_add_co_u32_e64 v24, s[0:1], s28, v18
	v_addc_co_u32_e64 v25, s[2:3], v20, v19, s[0:1]
	global_load_dword v18, v[22:23], off
	global_load_dword v20, v[24:25], off
	s_mov_b64 s[40:41], -1
	s_waitcnt vmcnt(0)
	v_cmp_eq_u32_e64 s[2:3], v18, v20
	s_and_saveexec_b64 s[38:39], s[2:3]
	s_cbranch_execz .LBB1573_187
; %bb.181:
	v_mov_b32_e32 v18, s29
	v_addc_co_u32_e64 v19, s[0:1], v19, v18, s[0:1]
	v_add_co_u32_e64 v18, s[0:1], 4, v24
	v_mov_b32_e32 v20, s29
	v_addc_co_u32_e64 v19, s[0:1], 0, v19, s[0:1]
	v_addc_co_u32_e32 v21, vcc, v21, v20, vcc
	v_add_co_u32_e32 v20, vcc, 4, v22
	s_add_u32 s0, s26, -1
	v_addc_co_u32_e32 v21, vcc, 0, v21, vcc
	s_addc_u32 s1, s27, -1
	s_mov_b64 s[2:3], 0
	s_mov_b64 s[42:43], 0
                                        ; implicit-def: $sgpr40_sgpr41
	s_branch .LBB1573_184
.LBB1573_182:                           ;   in Loop: Header=BB1573_184 Depth=1
	global_load_dword v22, v[20:21], off
	global_load_dword v23, v[18:19], off
	v_add_co_u32_e32 v18, vcc, 4, v18
	v_addc_co_u32_e32 v19, vcc, 0, v19, vcc
	v_add_co_u32_e32 v20, vcc, 4, v20
	v_addc_co_u32_e32 v21, vcc, 0, v21, vcc
	s_add_u32 s42, s42, 1
	s_addc_u32 s43, s43, 0
	s_andn2_b64 s[40:41], s[40:41], exec
	s_waitcnt vmcnt(0)
	v_cmp_ne_u32_e32 vcc, v22, v23
	s_and_b64 s[44:45], vcc, exec
	s_or_b64 s[40:41], s[40:41], s[44:45]
.LBB1573_183:                           ;   in Loop: Header=BB1573_184 Depth=1
	s_and_b64 s[44:45], exec, s[40:41]
	s_or_b64 s[2:3], s[44:45], s[2:3]
	v_pk_mov_b32 v[22:23], s[42:43], s[42:43] op_sel:[0,1]
	s_andn2_b64 exec, exec, s[2:3]
	s_cbranch_execz .LBB1573_186
.LBB1573_184:                           ; =>This Inner Loop Header: Depth=1
	s_or_b64 s[40:41], s[40:41], exec
	s_cmp_eq_u64 s[0:1], s[42:43]
	s_cbranch_scc0 .LBB1573_182
; %bb.185:                              ;   in Loop: Header=BB1573_184 Depth=1
                                        ; implicit-def: $vgpr18_vgpr19
                                        ; implicit-def: $vgpr20_vgpr21
	s_mov_b64 s[42:43], s[26:27]
	s_branch .LBB1573_183
.LBB1573_186:
	s_or_b64 exec, exec, s[2:3]
	v_cmp_gt_i64_e32 vcc, s[26:27], v[22:23]
	s_orn2_b64 s[40:41], vcc, exec
.LBB1573_187:
	s_or_b64 exec, exec, s[38:39]
.LBB1573_188:
	s_and_b64 s[0:1], s[40:41], exec
.LBB1573_189:
	s_or_b64 exec, exec, s[36:37]
	v_cndmask_b32_e64 v19, 0, 1, s[8:9]
	v_cndmask_b32_e64 v20, 0, 1, s[0:1]
	;; [unrolled: 1-line block ×3, first 2 shown]
	v_lshlrev_b16_e32 v20, 8, v20
	v_lshlrev_b16_e32 v19, 8, v19
	v_or_b32_e32 v20, 1, v20
	v_or_b32_sdwa v18, v18, v19 dst_sel:WORD_1 dst_unused:UNUSED_PAD src0_sel:DWORD src1_sel:DWORD
	v_or_b32_sdwa v28, v20, v18 dst_sel:DWORD dst_unused:UNUSED_PAD src0_sel:WORD_0 src1_sel:DWORD
	v_cmp_ne_u32_e32 vcc, 0, v0
	s_waitcnt lgkmcnt(0)
	s_barrier
	s_waitcnt lgkmcnt(0)
                                        ; implicit-def: $sgpr18_sgpr19
	s_and_saveexec_b64 s[8:9], vcc
	s_cbranch_execz .LBB1573_202
; %bb.190:
	v_cmp_gt_u32_e32 vcc, s7, v1
	s_mov_b64 s[0:1], 0
	s_and_saveexec_b64 s[18:19], vcc
	s_cbranch_execz .LBB1573_201
; %bb.191:
	s_andn2_b64 vcc, exec, s[14:15]
	s_mov_b64 s[36:37], 0
	s_cbranch_vccnz .LBB1573_200
; %bb.192:
	v_add_u32_e32 v18, -8, v29
	ds_read_b64 v[18:19], v18
	v_mul_lo_u32 v20, v15, s26
	v_mad_u64_u32 v[24:25], s[0:1], v14, s26, 0
	s_mov_b64 s[36:37], -1
	s_waitcnt lgkmcnt(0)
	v_mul_lo_u32 v21, v19, s26
	v_mul_lo_u32 v22, v18, s27
	v_mad_u64_u32 v[18:19], s[0:1], v18, s26, 0
	v_add3_u32 v19, v19, v22, v21
	v_mul_lo_u32 v21, v14, s27
	v_add3_u32 v25, v25, v21, v20
	v_lshlrev_b64 v[20:21], 2, v[18:19]
	v_mov_b32_e32 v18, s29
	v_add_co_u32_e32 v22, vcc, s28, v20
	v_addc_co_u32_e64 v23, s[0:1], v18, v21, vcc
	v_lshlrev_b64 v[18:19], 2, v[24:25]
	v_mov_b32_e32 v20, s29
	v_add_co_u32_e64 v24, s[0:1], s28, v18
	v_addc_co_u32_e64 v25, s[2:3], v20, v19, s[0:1]
	global_load_dword v18, v[22:23], off
	global_load_dword v20, v[24:25], off
	s_waitcnt vmcnt(0)
	v_cmp_eq_u32_e64 s[2:3], v18, v20
	s_and_saveexec_b64 s[14:15], s[2:3]
	s_cbranch_execz .LBB1573_199
; %bb.193:
	v_mov_b32_e32 v18, s29
	v_addc_co_u32_e64 v19, s[0:1], v19, v18, s[0:1]
	v_add_co_u32_e64 v18, s[0:1], 4, v24
	v_mov_b32_e32 v20, s29
	v_addc_co_u32_e64 v19, s[0:1], 0, v19, s[0:1]
	v_addc_co_u32_e32 v21, vcc, v21, v20, vcc
	v_add_co_u32_e32 v20, vcc, 4, v22
	s_add_u32 s0, s26, -1
	v_addc_co_u32_e32 v21, vcc, 0, v21, vcc
	s_addc_u32 s1, s27, -1
	s_mov_b64 s[2:3], 0
	s_mov_b64 s[36:37], 0
                                        ; implicit-def: $sgpr28_sgpr29
	s_branch .LBB1573_196
.LBB1573_194:                           ;   in Loop: Header=BB1573_196 Depth=1
	global_load_dword v22, v[20:21], off
	global_load_dword v23, v[18:19], off
	v_add_co_u32_e32 v18, vcc, 4, v18
	v_addc_co_u32_e32 v19, vcc, 0, v19, vcc
	v_add_co_u32_e32 v20, vcc, 4, v20
	v_addc_co_u32_e32 v21, vcc, 0, v21, vcc
	s_add_u32 s36, s36, 1
	s_addc_u32 s37, s37, 0
	s_andn2_b64 s[28:29], s[28:29], exec
	s_waitcnt vmcnt(0)
	v_cmp_ne_u32_e32 vcc, v22, v23
	s_and_b64 s[38:39], vcc, exec
	s_or_b64 s[28:29], s[28:29], s[38:39]
.LBB1573_195:                           ;   in Loop: Header=BB1573_196 Depth=1
	s_and_b64 s[38:39], exec, s[28:29]
	s_or_b64 s[2:3], s[38:39], s[2:3]
	v_pk_mov_b32 v[22:23], s[36:37], s[36:37] op_sel:[0,1]
	s_andn2_b64 exec, exec, s[2:3]
	s_cbranch_execz .LBB1573_198
.LBB1573_196:                           ; =>This Inner Loop Header: Depth=1
	s_or_b64 s[28:29], s[28:29], exec
	s_cmp_eq_u64 s[0:1], s[36:37]
	s_cbranch_scc0 .LBB1573_194
; %bb.197:                              ;   in Loop: Header=BB1573_196 Depth=1
                                        ; implicit-def: $vgpr18_vgpr19
                                        ; implicit-def: $vgpr20_vgpr21
	s_mov_b64 s[36:37], s[26:27]
	s_branch .LBB1573_195
.LBB1573_198:
	s_or_b64 exec, exec, s[2:3]
	v_cmp_gt_i64_e32 vcc, s[26:27], v[22:23]
	s_orn2_b64 s[36:37], vcc, exec
.LBB1573_199:
	s_or_b64 exec, exec, s[14:15]
.LBB1573_200:
	s_and_b64 s[0:1], s[36:37], exec
.LBB1573_201:
	s_or_b64 exec, exec, s[18:19]
	s_and_b64 s[18:19], s[0:1], exec
	s_or_b64 s[12:13], s[12:13], exec
.LBB1573_202:
	s_or_b64 exec, exec, s[8:9]
.LBB1573_203:
	s_and_saveexec_b64 s[0:1], s[12:13]
; %bb.204:
	v_and_b32_e32 v18, 0xffffff00, v28
	v_cndmask_b32_e64 v19, 0, 1, s[18:19]
	v_or_b32_e32 v18, v19, v18
	v_and_b32_e32 v18, 0xffff, v18
	s_mov_b32 s2, 0xffff0000
	v_and_or_b32 v28, v28, s2, v18
; %bb.205:
	s_or_b64 exec, exec, s[0:1]
	s_andn2_b64 vcc, exec, s[10:11]
	s_cbranch_vccnz .LBB1573_207
; %bb.206:
	v_cmp_gt_u32_e32 vcc, s7, v1
	v_cndmask_b32_e32 v18, 0, v28, vcc
	v_or_b32_e32 v19, 1, v1
	v_and_b32_e32 v18, 0xff, v18
	v_cmp_gt_u32_e32 vcc, s7, v19
	v_cndmask_b32_e32 v18, v18, v28, vcc
	v_or_b32_e32 v19, 2, v1
	v_and_b32_e32 v18, 0xffff, v18
	;; [unrolled: 4-line block ×3, first 2 shown]
	v_cmp_gt_u32_e32 vcc, s7, v19
	v_cndmask_b32_e32 v28, v18, v28, vcc
.LBB1573_207:
	v_bfe_u32 v30, v28, 16, 8
	v_lshrrev_b32_e32 v29, 24, v28
	v_add_u32_sdwa v18, v28, v28 dst_sel:DWORD dst_unused:UNUSED_PAD src0_sel:BYTE_1 src1_sel:BYTE_0
	v_add3_u32 v33, v18, v30, v29
	v_mbcnt_lo_u32_b32 v18, -1, 0
	v_mbcnt_hi_u32_b32 v31, -1, v18
	v_and_b32_e32 v18, 15, v31
	v_cmp_eq_u32_e64 s[14:15], 0, v18
	v_cmp_lt_u32_e64 s[12:13], 1, v18
	v_cmp_lt_u32_e64 s[10:11], 3, v18
	;; [unrolled: 1-line block ×3, first 2 shown]
	v_and_b32_e32 v18, 16, v31
	v_cmp_eq_u32_e64 s[18:19], 0, v18
	v_or_b32_e32 v18, 63, v0
	v_cmp_lt_u32_e64 s[0:1], 31, v31
	v_lshrrev_b32_e32 v32, 6, v0
	v_cmp_eq_u32_e64 s[2:3], v18, v0
	s_and_b64 vcc, exec, s[16:17]
	s_waitcnt lgkmcnt(0)
	s_barrier
	s_cbranch_vccz .LBB1573_234
; %bb.208:
	v_mov_b32_dpp v18, v33 row_shr:1 row_mask:0xf bank_mask:0xf
	v_cndmask_b32_e64 v18, v18, 0, s[14:15]
	v_add_u32_e32 v18, v18, v33
	s_nop 1
	v_mov_b32_dpp v19, v18 row_shr:2 row_mask:0xf bank_mask:0xf
	v_cndmask_b32_e64 v19, 0, v19, s[12:13]
	v_add_u32_e32 v18, v18, v19
	s_nop 1
	;; [unrolled: 4-line block ×4, first 2 shown]
	v_mov_b32_dpp v19, v18 row_bcast:15 row_mask:0xf bank_mask:0xf
	v_cndmask_b32_e64 v19, v19, 0, s[18:19]
	v_add_u32_e32 v18, v18, v19
	s_nop 1
	v_mov_b32_dpp v19, v18 row_bcast:31 row_mask:0xf bank_mask:0xf
	v_cndmask_b32_e64 v19, 0, v19, s[0:1]
	v_add_u32_e32 v18, v18, v19
	s_and_saveexec_b64 s[16:17], s[2:3]
	s_cbranch_execz .LBB1573_210
; %bb.209:
	v_lshlrev_b32_e32 v19, 2, v32
	ds_write_b32 v19, v18
.LBB1573_210:
	s_or_b64 exec, exec, s[16:17]
	v_cmp_gt_u32_e32 vcc, 2, v0
	s_waitcnt lgkmcnt(0)
	s_barrier
	s_and_saveexec_b64 s[16:17], vcc
	s_cbranch_execz .LBB1573_212
; %bb.211:
	ds_read_b32 v19, v1
	v_bfe_i32 v20, v31, 0, 1
	s_waitcnt lgkmcnt(0)
	v_mov_b32_dpp v21, v19 row_shr:1 row_mask:0xf bank_mask:0xf
	v_and_b32_e32 v20, v20, v21
	v_add_u32_e32 v19, v20, v19
	ds_write_b32 v1, v19
.LBB1573_212:
	s_or_b64 exec, exec, s[16:17]
	v_cmp_gt_u32_e32 vcc, 64, v0
	v_cmp_lt_u32_e64 s[16:17], 63, v0
	s_waitcnt lgkmcnt(0)
	s_barrier
	s_waitcnt lgkmcnt(0)
                                        ; implicit-def: $vgpr34
	s_and_saveexec_b64 s[26:27], s[16:17]
	s_cbranch_execz .LBB1573_214
; %bb.213:
	v_lshl_add_u32 v19, v32, 2, -4
	ds_read_b32 v34, v19
	s_waitcnt lgkmcnt(0)
	v_add_u32_e32 v18, v34, v18
.LBB1573_214:
	s_or_b64 exec, exec, s[26:27]
	v_add_u32_e32 v19, -1, v31
	v_and_b32_e32 v20, 64, v31
	v_cmp_lt_i32_e64 s[16:17], v19, v20
	v_cndmask_b32_e64 v19, v19, v31, s[16:17]
	v_lshlrev_b32_e32 v19, 2, v19
	ds_bpermute_b32 v35, v19, v18
	v_cmp_eq_u32_e64 s[16:17], 0, v31
	s_and_saveexec_b64 s[26:27], vcc
	s_cbranch_execz .LBB1573_233
; %bb.215:
	v_mov_b32_e32 v25, 0
	ds_read_b32 v18, v25 offset:4
	s_and_saveexec_b64 s[28:29], s[16:17]
	s_cbranch_execz .LBB1573_217
; %bb.216:
	s_add_i32 s36, s6, 64
	s_mov_b32 s37, 0
	s_lshl_b64 s[36:37], s[36:37], 3
	s_add_u32 s36, s30, s36
	v_mov_b32_e32 v19, 1
	s_addc_u32 s37, s31, s37
	s_waitcnt lgkmcnt(0)
	global_store_dwordx2 v25, v[18:19], s[36:37]
.LBB1573_217:
	s_or_b64 exec, exec, s[28:29]
	v_xad_u32 v20, v31, -1, s6
	v_add_u32_e32 v24, 64, v20
	v_lshlrev_b64 v[22:23], 3, v[24:25]
	v_mov_b32_e32 v19, s31
	v_add_co_u32_e32 v26, vcc, s30, v22
	v_addc_co_u32_e32 v27, vcc, v19, v23, vcc
	global_load_dwordx2 v[22:23], v[26:27], off glc
	s_waitcnt vmcnt(0)
	v_cmp_eq_u16_sdwa s[36:37], v23, v25 src0_sel:BYTE_0 src1_sel:DWORD
	s_and_saveexec_b64 s[28:29], s[36:37]
	s_cbranch_execz .LBB1573_221
; %bb.218:
	s_mov_b64 s[36:37], 0
	v_mov_b32_e32 v19, 0
.LBB1573_219:                           ; =>This Inner Loop Header: Depth=1
	global_load_dwordx2 v[22:23], v[26:27], off glc
	s_waitcnt vmcnt(0)
	v_cmp_ne_u16_sdwa s[38:39], v23, v19 src0_sel:BYTE_0 src1_sel:DWORD
	s_or_b64 s[36:37], s[38:39], s[36:37]
	s_andn2_b64 exec, exec, s[36:37]
	s_cbranch_execnz .LBB1573_219
; %bb.220:
	s_or_b64 exec, exec, s[36:37]
.LBB1573_221:
	s_or_b64 exec, exec, s[28:29]
	v_and_b32_e32 v36, 63, v31
	v_mov_b32_e32 v19, 2
	v_cmp_ne_u32_e32 vcc, 63, v36
	v_cmp_eq_u16_sdwa s[28:29], v23, v19 src0_sel:BYTE_0 src1_sel:DWORD
	v_lshlrev_b64 v[24:25], v31, -1
	v_addc_co_u32_e32 v27, vcc, 0, v31, vcc
	v_and_b32_e32 v21, s29, v25
	v_lshlrev_b32_e32 v37, 2, v27
	v_or_b32_e32 v21, 0x80000000, v21
	ds_bpermute_b32 v27, v37, v22
	v_and_b32_e32 v26, s28, v24
	v_ffbl_b32_e32 v21, v21
	v_add_u32_e32 v21, 32, v21
	v_ffbl_b32_e32 v26, v26
	v_min_u32_e32 v21, v26, v21
	v_cmp_lt_u32_e32 vcc, v36, v21
	s_waitcnt lgkmcnt(0)
	v_cndmask_b32_e32 v26, 0, v27, vcc
	v_cmp_gt_u32_e32 vcc, 62, v36
	v_add_u32_e32 v22, v26, v22
	v_cndmask_b32_e64 v26, 0, 1, vcc
	v_lshlrev_b32_e32 v26, 1, v26
	v_add_lshl_u32 v38, v26, v31, 2
	ds_bpermute_b32 v26, v38, v22
	v_add_u32_e32 v39, 2, v36
	v_cmp_le_u32_e32 vcc, v39, v21
	v_add_u32_e32 v41, 4, v36
	v_add_u32_e32 v43, 8, v36
	s_waitcnt lgkmcnt(0)
	v_cndmask_b32_e32 v26, 0, v26, vcc
	v_cmp_gt_u32_e32 vcc, 60, v36
	v_add_u32_e32 v22, v22, v26
	v_cndmask_b32_e64 v26, 0, 1, vcc
	v_lshlrev_b32_e32 v26, 2, v26
	v_add_lshl_u32 v40, v26, v31, 2
	ds_bpermute_b32 v26, v40, v22
	v_cmp_le_u32_e32 vcc, v41, v21
	v_add_u32_e32 v46, 16, v36
	v_add_u32_e32 v48, 32, v36
	s_waitcnt lgkmcnt(0)
	v_cndmask_b32_e32 v26, 0, v26, vcc
	v_cmp_gt_u32_e32 vcc, 56, v36
	v_add_u32_e32 v22, v22, v26
	v_cndmask_b32_e64 v26, 0, 1, vcc
	v_lshlrev_b32_e32 v26, 3, v26
	v_add_lshl_u32 v42, v26, v31, 2
	ds_bpermute_b32 v26, v42, v22
	v_cmp_le_u32_e32 vcc, v43, v21
	s_waitcnt lgkmcnt(0)
	v_cndmask_b32_e32 v26, 0, v26, vcc
	v_cmp_gt_u32_e32 vcc, 48, v36
	v_add_u32_e32 v22, v22, v26
	v_cndmask_b32_e64 v26, 0, 1, vcc
	v_lshlrev_b32_e32 v26, 4, v26
	v_add_lshl_u32 v45, v26, v31, 2
	ds_bpermute_b32 v26, v45, v22
	v_cmp_le_u32_e32 vcc, v46, v21
	;; [unrolled: 9-line block ×3, first 2 shown]
	s_waitcnt lgkmcnt(0)
	v_cndmask_b32_e32 v21, 0, v26, vcc
	v_add_u32_e32 v22, v22, v21
	v_mov_b32_e32 v21, 0
	s_branch .LBB1573_223
.LBB1573_222:                           ;   in Loop: Header=BB1573_223 Depth=1
	s_or_b64 exec, exec, s[28:29]
	v_cmp_eq_u16_sdwa s[28:29], v23, v19 src0_sel:BYTE_0 src1_sel:DWORD
	v_and_b32_e32 v26, s29, v25
	v_or_b32_e32 v26, 0x80000000, v26
	ds_bpermute_b32 v49, v37, v22
	v_and_b32_e32 v27, s28, v24
	v_ffbl_b32_e32 v26, v26
	v_add_u32_e32 v26, 32, v26
	v_ffbl_b32_e32 v27, v27
	v_min_u32_e32 v26, v27, v26
	v_cmp_lt_u32_e32 vcc, v36, v26
	s_waitcnt lgkmcnt(0)
	v_cndmask_b32_e32 v27, 0, v49, vcc
	v_add_u32_e32 v22, v27, v22
	ds_bpermute_b32 v27, v38, v22
	v_cmp_le_u32_e32 vcc, v39, v26
	v_subrev_u32_e32 v20, 64, v20
	s_waitcnt lgkmcnt(0)
	v_cndmask_b32_e32 v27, 0, v27, vcc
	v_add_u32_e32 v22, v22, v27
	ds_bpermute_b32 v27, v40, v22
	v_cmp_le_u32_e32 vcc, v41, v26
	s_waitcnt lgkmcnt(0)
	v_cndmask_b32_e32 v27, 0, v27, vcc
	v_add_u32_e32 v22, v22, v27
	ds_bpermute_b32 v27, v42, v22
	v_cmp_le_u32_e32 vcc, v43, v26
	;; [unrolled: 5-line block ×4, first 2 shown]
	s_waitcnt lgkmcnt(0)
	v_cndmask_b32_e32 v26, 0, v27, vcc
	v_add3_u32 v22, v26, v44, v22
.LBB1573_223:                           ; =>This Loop Header: Depth=1
                                        ;     Child Loop BB1573_226 Depth 2
	v_cmp_ne_u16_sdwa s[28:29], v23, v19 src0_sel:BYTE_0 src1_sel:DWORD
	v_cndmask_b32_e64 v23, 0, 1, s[28:29]
	;;#ASMSTART
	;;#ASMEND
	v_cmp_ne_u32_e32 vcc, 0, v23
	s_cmp_lg_u64 vcc, exec
	v_mov_b32_e32 v44, v22
	s_cbranch_scc1 .LBB1573_228
; %bb.224:                              ;   in Loop: Header=BB1573_223 Depth=1
	v_lshlrev_b64 v[22:23], 3, v[20:21]
	v_mov_b32_e32 v27, s31
	v_add_co_u32_e32 v26, vcc, s30, v22
	v_addc_co_u32_e32 v27, vcc, v27, v23, vcc
	global_load_dwordx2 v[22:23], v[26:27], off glc
	s_waitcnt vmcnt(0)
	v_cmp_eq_u16_sdwa s[36:37], v23, v21 src0_sel:BYTE_0 src1_sel:DWORD
	s_and_saveexec_b64 s[28:29], s[36:37]
	s_cbranch_execz .LBB1573_222
; %bb.225:                              ;   in Loop: Header=BB1573_223 Depth=1
	s_mov_b64 s[36:37], 0
.LBB1573_226:                           ;   Parent Loop BB1573_223 Depth=1
                                        ; =>  This Inner Loop Header: Depth=2
	global_load_dwordx2 v[22:23], v[26:27], off glc
	s_waitcnt vmcnt(0)
	v_cmp_ne_u16_sdwa s[38:39], v23, v21 src0_sel:BYTE_0 src1_sel:DWORD
	s_or_b64 s[36:37], s[38:39], s[36:37]
	s_andn2_b64 exec, exec, s[36:37]
	s_cbranch_execnz .LBB1573_226
; %bb.227:                              ;   in Loop: Header=BB1573_223 Depth=1
	s_or_b64 exec, exec, s[36:37]
	s_branch .LBB1573_222
.LBB1573_228:                           ;   in Loop: Header=BB1573_223 Depth=1
                                        ; implicit-def: $vgpr22
                                        ; implicit-def: $vgpr23
	s_cbranch_execz .LBB1573_223
; %bb.229:
	s_and_saveexec_b64 s[28:29], s[16:17]
	s_cbranch_execz .LBB1573_231
; %bb.230:
	s_add_i32 s6, s6, 64
	s_mov_b32 s7, 0
	s_lshl_b64 s[6:7], s[6:7], 3
	s_add_u32 s6, s30, s6
	v_add_u32_e32 v20, v44, v18
	v_mov_b32_e32 v21, 2
	s_addc_u32 s7, s31, s7
	v_mov_b32_e32 v19, 0
	global_store_dwordx2 v19, v[20:21], s[6:7]
	s_movk_i32 s6, 0x1000
	v_add_u32_e64 v19, s6, 0
	ds_write2_b32 v19, v18, v44 offset0:32 offset1:34
.LBB1573_231:
	s_or_b64 exec, exec, s[28:29]
	v_cmp_eq_u32_e32 vcc, 0, v0
	s_and_b64 exec, exec, vcc
	s_cbranch_execz .LBB1573_233
; %bb.232:
	v_mov_b32_e32 v18, 0
	ds_write_b32 v18, v44 offset:4
.LBB1573_233:
	s_or_b64 exec, exec, s[26:27]
	v_mov_b32_e32 v19, 0
	s_waitcnt lgkmcnt(0)
	s_barrier
	ds_read_b32 v19, v19 offset:4
	s_movk_i32 s6, 0x1000
	v_add_u32_e64 v20, s6, 0
	v_cndmask_b32_e64 v18, v35, v34, s[16:17]
	v_cmp_ne_u32_e32 vcc, 0, v0
	s_waitcnt lgkmcnt(0)
	s_barrier
	ds_read2_b32 v[26:27], v20 offset0:32 offset1:34
	v_cndmask_b32_e32 v18, 0, v18, vcc
	v_add_u32_e32 v24, v19, v18
	v_add_u32_sdwa v22, v24, v28 dst_sel:DWORD dst_unused:UNUSED_PAD src0_sel:DWORD src1_sel:BYTE_0
	v_add_u32_sdwa v20, v22, v28 dst_sel:DWORD dst_unused:UNUSED_PAD src0_sel:DWORD src1_sel:BYTE_1
	v_add_u32_e32 v18, v20, v30
	s_waitcnt lgkmcnt(0)
	v_readfirstlane_b32 s26, v26
	v_readfirstlane_b32 s16, v27
	s_branch .LBB1573_244
.LBB1573_234:
                                        ; implicit-def: $vgpr18
                                        ; implicit-def: $vgpr20
                                        ; implicit-def: $vgpr22
                                        ; implicit-def: $vgpr24
                                        ; implicit-def: $sgpr16
                                        ; implicit-def: $sgpr26
	s_cbranch_execz .LBB1573_244
; %bb.235:
	s_nop 0
	v_mov_b32_dpp v18, v33 row_shr:1 row_mask:0xf bank_mask:0xf
	v_cndmask_b32_e64 v18, v18, 0, s[14:15]
	v_add_u32_e32 v18, v18, v33
	s_nop 1
	v_mov_b32_dpp v19, v18 row_shr:2 row_mask:0xf bank_mask:0xf
	v_cndmask_b32_e64 v19, 0, v19, s[12:13]
	v_add_u32_e32 v18, v18, v19
	;; [unrolled: 4-line block ×4, first 2 shown]
	s_nop 1
	v_mov_b32_dpp v19, v18 row_bcast:15 row_mask:0xf bank_mask:0xf
	v_cndmask_b32_e64 v19, v19, 0, s[18:19]
	v_add_u32_e32 v18, v18, v19
	s_nop 1
	v_mov_b32_dpp v19, v18 row_bcast:31 row_mask:0xf bank_mask:0xf
	v_cndmask_b32_e64 v19, 0, v19, s[0:1]
	v_add_u32_e32 v18, v18, v19
	s_and_saveexec_b64 s[0:1], s[2:3]
	s_cbranch_execz .LBB1573_237
; %bb.236:
	v_lshlrev_b32_e32 v19, 2, v32
	ds_write_b32 v19, v18
.LBB1573_237:
	s_or_b64 exec, exec, s[0:1]
	v_cmp_gt_u32_e32 vcc, 2, v0
	s_waitcnt lgkmcnt(0)
	s_barrier
	s_and_saveexec_b64 s[0:1], vcc
	s_cbranch_execz .LBB1573_239
; %bb.238:
	ds_read_b32 v19, v1
	v_bfe_i32 v20, v31, 0, 1
	s_waitcnt lgkmcnt(0)
	v_mov_b32_dpp v21, v19 row_shr:1 row_mask:0xf bank_mask:0xf
	v_and_b32_e32 v20, v20, v21
	v_add_u32_e32 v19, v20, v19
	ds_write_b32 v1, v19
.LBB1573_239:
	s_or_b64 exec, exec, s[0:1]
	v_cmp_lt_u32_e32 vcc, 63, v0
	v_mov_b32_e32 v19, 0
	v_mov_b32_e32 v1, 0
	s_waitcnt lgkmcnt(0)
	s_barrier
	s_and_saveexec_b64 s[0:1], vcc
	s_cbranch_execz .LBB1573_241
; %bb.240:
	v_lshl_add_u32 v1, v32, 2, -4
	ds_read_b32 v1, v1
.LBB1573_241:
	s_or_b64 exec, exec, s[0:1]
	v_add_u32_e32 v20, -1, v31
	v_and_b32_e32 v21, 64, v31
	v_cmp_lt_i32_e32 vcc, v20, v21
	v_cndmask_b32_e32 v20, v20, v31, vcc
	s_waitcnt lgkmcnt(0)
	v_add_u32_e32 v18, v1, v18
	v_lshlrev_b32_e32 v20, 2, v20
	ds_read_b32 v19, v19 offset:4
	ds_bpermute_b32 v18, v20, v18
	s_mov_b32 s16, 0
	v_cmp_eq_u32_e32 vcc, 0, v0
	s_waitcnt lgkmcnt(1)
	v_readfirstlane_b32 s26, v19
	s_and_saveexec_b64 s[0:1], vcc
	s_cbranch_execz .LBB1573_243
; %bb.242:
	v_mov_b32_e32 v19, 0
	v_mov_b32_e32 v20, s26
	;; [unrolled: 1-line block ×3, first 2 shown]
	global_store_dwordx2 v19, v[20:21], s[30:31] offset:512
.LBB1573_243:
	s_or_b64 exec, exec, s[0:1]
	v_cmp_eq_u32_e64 s[0:1], 0, v31
	s_waitcnt lgkmcnt(0)
	v_cndmask_b32_e64 v1, v18, v1, s[0:1]
	v_cndmask_b32_e64 v24, v1, 0, vcc
	v_add_u32_sdwa v22, v24, v28 dst_sel:DWORD dst_unused:UNUSED_PAD src0_sel:DWORD src1_sel:BYTE_0
	v_add_u32_sdwa v20, v22, v28 dst_sel:DWORD dst_unused:UNUSED_PAD src0_sel:DWORD src1_sel:BYTE_1
	v_add_u32_e32 v18, v20, v30
	s_barrier
.LBB1573_244:
	s_load_dwordx4 s[4:7], s[4:5], 0x28
	s_cmpk_lt_u32 s26, 0x81
	s_cselect_b64 s[2:3], -1, 0
	v_lshrrev_b32_e32 v1, 8, v28
	s_mov_b64 s[0:1], -1
	s_and_b64 vcc, exec, s[2:3]
	s_cbranch_vccz .LBB1573_258
; %bb.245:
	s_add_i32 s8, s16, s26
	v_cmp_gt_u32_e32 vcc, s8, v24
	s_or_b64 s[10:11], s[34:35], vcc
	s_and_saveexec_b64 s[0:1], s[10:11]
	s_cbranch_execz .LBB1573_248
; %bb.246:
	v_and_b32_e32 v19, 1, v28
	v_cmp_eq_u32_e32 vcc, 1, v19
	s_and_b64 exec, exec, vcc
	s_cbranch_execz .LBB1573_248
; %bb.247:
	s_lshl_b64 s[10:11], s[22:23], 3
	s_waitcnt lgkmcnt(0)
	s_add_u32 s9, s4, s10
	v_mov_b32_e32 v25, 0
	s_addc_u32 s10, s5, s11
	v_lshlrev_b64 v[26:27], 3, v[24:25]
	v_mov_b32_e32 v19, s10
	v_add_co_u32_e32 v26, vcc, s9, v26
	v_addc_co_u32_e32 v27, vcc, v19, v27, vcc
	global_store_dwordx2 v[26:27], v[14:15], off
.LBB1573_248:
	s_or_b64 exec, exec, s[0:1]
	v_cmp_gt_u32_e32 vcc, s8, v22
	s_or_b64 s[10:11], s[34:35], vcc
	s_and_saveexec_b64 s[0:1], s[10:11]
	s_cbranch_execz .LBB1573_251
; %bb.249:
	v_and_b32_e32 v19, 1, v1
	v_cmp_eq_u32_e32 vcc, 1, v19
	s_and_b64 exec, exec, vcc
	s_cbranch_execz .LBB1573_251
; %bb.250:
	s_lshl_b64 s[10:11], s[22:23], 3
	s_waitcnt lgkmcnt(0)
	s_add_u32 s9, s4, s10
	v_mov_b32_e32 v23, 0
	s_addc_u32 s10, s5, s11
	v_lshlrev_b64 v[26:27], 3, v[22:23]
	v_mov_b32_e32 v19, s10
	v_add_co_u32_e32 v26, vcc, s9, v26
	v_addc_co_u32_e32 v27, vcc, v19, v27, vcc
	global_store_dwordx2 v[26:27], v[16:17], off
.LBB1573_251:
	s_or_b64 exec, exec, s[0:1]
	v_cmp_gt_u32_e32 vcc, s8, v20
	s_or_b64 s[10:11], s[34:35], vcc
	s_and_saveexec_b64 s[0:1], s[10:11]
	s_cbranch_execz .LBB1573_254
; %bb.252:
	v_mov_b32_e32 v19, 1
	v_and_b32_sdwa v19, v19, v28 dst_sel:DWORD dst_unused:UNUSED_PAD src0_sel:DWORD src1_sel:WORD_1
	v_cmp_eq_u32_e32 vcc, 1, v19
	s_and_b64 exec, exec, vcc
	s_cbranch_execz .LBB1573_254
; %bb.253:
	s_lshl_b64 s[10:11], s[22:23], 3
	s_waitcnt lgkmcnt(0)
	s_add_u32 s9, s4, s10
	v_mov_b32_e32 v21, 0
	s_addc_u32 s10, s5, s11
	v_lshlrev_b64 v[26:27], 3, v[20:21]
	v_mov_b32_e32 v19, s10
	v_add_co_u32_e32 v26, vcc, s9, v26
	v_addc_co_u32_e32 v27, vcc, v19, v27, vcc
	global_store_dwordx2 v[26:27], v[10:11], off
.LBB1573_254:
	s_or_b64 exec, exec, s[0:1]
	v_cmp_gt_u32_e32 vcc, s8, v18
	s_or_b64 s[8:9], s[34:35], vcc
	s_and_saveexec_b64 s[0:1], s[8:9]
	s_cbranch_execz .LBB1573_257
; %bb.255:
	v_and_b32_e32 v19, 1, v29
	v_cmp_eq_u32_e32 vcc, 1, v19
	s_and_b64 exec, exec, vcc
	s_cbranch_execz .LBB1573_257
; %bb.256:
	s_lshl_b64 s[8:9], s[22:23], 3
	s_waitcnt lgkmcnt(0)
	s_add_u32 s8, s4, s8
	v_mov_b32_e32 v19, 0
	s_addc_u32 s9, s5, s9
	v_lshlrev_b64 v[26:27], 3, v[18:19]
	v_mov_b32_e32 v19, s9
	v_add_co_u32_e32 v26, vcc, s8, v26
	v_addc_co_u32_e32 v27, vcc, v19, v27, vcc
	global_store_dwordx2 v[26:27], v[12:13], off
.LBB1573_257:
	s_or_b64 exec, exec, s[0:1]
	s_mov_b64 s[0:1], 0
.LBB1573_258:
	v_and_b32_e32 v26, 1, v28
	s_and_b64 vcc, exec, s[0:1]
	v_cmp_eq_u32_e64 s[0:1], 1, v26
	s_cbranch_vccz .LBB1573_271
; %bb.259:
	s_and_saveexec_b64 s[8:9], s[0:1]
	s_cbranch_execz .LBB1573_261
; %bb.260:
	v_subrev_u32_e32 v19, s16, v24
	v_lshlrev_b32_e32 v19, 3, v19
	ds_write_b64 v19, v[14:15]
.LBB1573_261:
	s_or_b64 exec, exec, s[8:9]
	v_and_b32_e32 v14, 1, v1
	v_cmp_eq_u32_e32 vcc, 1, v14
	s_and_saveexec_b64 s[0:1], vcc
	s_cbranch_execz .LBB1573_263
; %bb.262:
	v_subrev_u32_e32 v14, s16, v22
	v_lshlrev_b32_e32 v14, 3, v14
	ds_write_b64 v14, v[16:17]
.LBB1573_263:
	s_or_b64 exec, exec, s[0:1]
	v_mov_b32_e32 v14, 1
	v_and_b32_sdwa v14, v14, v28 dst_sel:DWORD dst_unused:UNUSED_PAD src0_sel:DWORD src1_sel:WORD_1
	v_cmp_eq_u32_e32 vcc, 1, v14
	s_and_saveexec_b64 s[0:1], vcc
	s_cbranch_execz .LBB1573_265
; %bb.264:
	v_subrev_u32_e32 v14, s16, v20
	v_lshlrev_b32_e32 v14, 3, v14
	ds_write_b64 v14, v[10:11]
.LBB1573_265:
	s_or_b64 exec, exec, s[0:1]
	v_and_b32_e32 v10, 1, v29
	v_cmp_eq_u32_e32 vcc, 1, v10
	s_and_saveexec_b64 s[0:1], vcc
	s_cbranch_execz .LBB1573_267
; %bb.266:
	v_subrev_u32_e32 v10, s16, v18
	v_lshlrev_b32_e32 v10, 3, v10
	ds_write_b64 v10, v[12:13]
.LBB1573_267:
	s_or_b64 exec, exec, s[0:1]
	v_cmp_gt_u32_e32 vcc, s26, v0
	s_waitcnt lgkmcnt(0)
	s_barrier
	s_and_saveexec_b64 s[0:1], vcc
	s_cbranch_execz .LBB1573_270
; %bb.268:
	s_mov_b32 s17, 0
	s_lshl_b64 s[8:9], s[16:17], 3
	s_add_u32 s8, s4, s8
	s_addc_u32 s9, s5, s9
	s_lshl_b64 s[4:5], s[22:23], 3
	s_add_u32 s8, s8, s4
	s_addc_u32 s9, s9, s5
	v_lshlrev_b32_e32 v12, 3, v0
	s_mov_b64 s[4:5], 0
	v_mov_b32_e32 v11, 0
	v_mov_b32_e32 v13, s9
	;; [unrolled: 1-line block ×3, first 2 shown]
.LBB1573_269:                           ; =>This Inner Loop Header: Depth=1
	ds_read_b64 v[14:15], v12
	v_lshlrev_b64 v[16:17], 3, v[10:11]
	v_add_co_u32_e32 v16, vcc, s8, v16
	v_add_u32_e32 v10, 0x80, v10
	v_addc_co_u32_e32 v17, vcc, v13, v17, vcc
	v_cmp_le_u32_e32 vcc, s26, v10
	v_add_u32_e32 v12, 0x400, v12
	s_or_b64 s[4:5], vcc, s[4:5]
	s_waitcnt lgkmcnt(0)
	global_store_dwordx2 v[16:17], v[14:15], off
	s_andn2_b64 exec, exec, s[4:5]
	s_cbranch_execnz .LBB1573_269
.LBB1573_270:
	s_or_b64 exec, exec, s[0:1]
.LBB1573_271:
	s_mov_b64 s[0:1], -1
	s_and_b64 vcc, exec, s[2:3]
	s_waitcnt lgkmcnt(0)
	s_barrier
	s_cbranch_vccnz .LBB1573_275
; %bb.272:
	s_and_b64 vcc, exec, s[0:1]
	s_cbranch_vccnz .LBB1573_288
.LBB1573_273:
	v_cmp_eq_u32_e32 vcc, 0, v0
	s_and_b64 s[0:1], vcc, s[24:25]
	s_and_saveexec_b64 s[2:3], s[0:1]
	s_cbranch_execnz .LBB1573_300
.LBB1573_274:
	s_endpgm
.LBB1573_275:
	s_add_i32 s2, s16, s26
	v_cmp_gt_u32_e32 vcc, s2, v24
	s_or_b64 s[4:5], s[34:35], vcc
	s_and_saveexec_b64 s[0:1], s[4:5]
	s_cbranch_execz .LBB1573_278
; %bb.276:
	v_cmp_eq_u32_e32 vcc, 1, v26
	s_and_b64 exec, exec, vcc
	s_cbranch_execz .LBB1573_278
; %bb.277:
	s_lshl_b64 s[4:5], s[22:23], 3
	s_add_u32 s3, s6, s4
	v_mov_b32_e32 v25, 0
	s_addc_u32 s4, s7, s5
	v_lshlrev_b64 v[10:11], 3, v[24:25]
	v_mov_b32_e32 v12, s4
	v_add_co_u32_e32 v10, vcc, s3, v10
	v_addc_co_u32_e32 v11, vcc, v12, v11, vcc
	global_store_dwordx2 v[10:11], v[6:7], off
.LBB1573_278:
	s_or_b64 exec, exec, s[0:1]
	v_cmp_gt_u32_e32 vcc, s2, v22
	s_or_b64 s[4:5], s[34:35], vcc
	s_and_saveexec_b64 s[0:1], s[4:5]
	s_cbranch_execz .LBB1573_281
; %bb.279:
	v_and_b32_e32 v10, 1, v1
	v_cmp_eq_u32_e32 vcc, 1, v10
	s_and_b64 exec, exec, vcc
	s_cbranch_execz .LBB1573_281
; %bb.280:
	s_lshl_b64 s[4:5], s[22:23], 3
	s_add_u32 s3, s6, s4
	v_mov_b32_e32 v23, 0
	s_addc_u32 s4, s7, s5
	v_lshlrev_b64 v[10:11], 3, v[22:23]
	v_mov_b32_e32 v12, s4
	v_add_co_u32_e32 v10, vcc, s3, v10
	v_addc_co_u32_e32 v11, vcc, v12, v11, vcc
	global_store_dwordx2 v[10:11], v[8:9], off
.LBB1573_281:
	s_or_b64 exec, exec, s[0:1]
	v_cmp_gt_u32_e32 vcc, s2, v20
	s_or_b64 s[4:5], s[34:35], vcc
	s_and_saveexec_b64 s[0:1], s[4:5]
	s_cbranch_execz .LBB1573_284
; %bb.282:
	v_mov_b32_e32 v10, 1
	v_and_b32_sdwa v10, v10, v28 dst_sel:DWORD dst_unused:UNUSED_PAD src0_sel:DWORD src1_sel:WORD_1
	v_cmp_eq_u32_e32 vcc, 1, v10
	s_and_b64 exec, exec, vcc
	s_cbranch_execz .LBB1573_284
; %bb.283:
	s_lshl_b64 s[4:5], s[22:23], 3
	s_add_u32 s3, s6, s4
	v_mov_b32_e32 v21, 0
	s_addc_u32 s4, s7, s5
	v_lshlrev_b64 v[10:11], 3, v[20:21]
	v_mov_b32_e32 v12, s4
	v_add_co_u32_e32 v10, vcc, s3, v10
	v_addc_co_u32_e32 v11, vcc, v12, v11, vcc
	global_store_dwordx2 v[10:11], v[2:3], off
.LBB1573_284:
	s_or_b64 exec, exec, s[0:1]
	v_cmp_gt_u32_e32 vcc, s2, v18
	s_or_b64 s[2:3], s[34:35], vcc
	s_and_saveexec_b64 s[0:1], s[2:3]
	s_cbranch_execz .LBB1573_287
; %bb.285:
	v_and_b32_e32 v10, 1, v29
	v_cmp_eq_u32_e32 vcc, 1, v10
	s_and_b64 exec, exec, vcc
	s_cbranch_execz .LBB1573_287
; %bb.286:
	s_lshl_b64 s[2:3], s[22:23], 3
	s_add_u32 s2, s6, s2
	v_mov_b32_e32 v19, 0
	s_addc_u32 s3, s7, s3
	v_lshlrev_b64 v[10:11], 3, v[18:19]
	v_mov_b32_e32 v12, s3
	v_add_co_u32_e32 v10, vcc, s2, v10
	v_addc_co_u32_e32 v11, vcc, v12, v11, vcc
	global_store_dwordx2 v[10:11], v[4:5], off
.LBB1573_287:
	s_or_b64 exec, exec, s[0:1]
	s_branch .LBB1573_273
.LBB1573_288:
	v_cmp_eq_u32_e32 vcc, 1, v26
	s_and_saveexec_b64 s[0:1], vcc
	s_cbranch_execz .LBB1573_290
; %bb.289:
	v_subrev_u32_e32 v10, s16, v24
	v_lshlrev_b32_e32 v10, 3, v10
	ds_write_b64 v10, v[6:7]
.LBB1573_290:
	s_or_b64 exec, exec, s[0:1]
	v_and_b32_e32 v1, 1, v1
	v_cmp_eq_u32_e32 vcc, 1, v1
	s_and_saveexec_b64 s[0:1], vcc
	s_cbranch_execz .LBB1573_292
; %bb.291:
	v_subrev_u32_e32 v1, s16, v22
	v_lshlrev_b32_e32 v1, 3, v1
	ds_write_b64 v1, v[8:9]
.LBB1573_292:
	s_or_b64 exec, exec, s[0:1]
	v_mov_b32_e32 v1, 1
	v_and_b32_sdwa v1, v1, v28 dst_sel:DWORD dst_unused:UNUSED_PAD src0_sel:DWORD src1_sel:WORD_1
	v_cmp_eq_u32_e32 vcc, 1, v1
	s_and_saveexec_b64 s[0:1], vcc
	s_cbranch_execz .LBB1573_294
; %bb.293:
	v_subrev_u32_e32 v1, s16, v20
	v_lshlrev_b32_e32 v1, 3, v1
	ds_write_b64 v1, v[2:3]
.LBB1573_294:
	s_or_b64 exec, exec, s[0:1]
	v_and_b32_e32 v1, 1, v29
	v_cmp_eq_u32_e32 vcc, 1, v1
	s_and_saveexec_b64 s[0:1], vcc
	s_cbranch_execz .LBB1573_296
; %bb.295:
	v_subrev_u32_e32 v1, s16, v18
	v_lshlrev_b32_e32 v1, 3, v1
	ds_write_b64 v1, v[4:5]
.LBB1573_296:
	s_or_b64 exec, exec, s[0:1]
	v_cmp_gt_u32_e32 vcc, s26, v0
	s_waitcnt lgkmcnt(0)
	s_barrier
	s_and_saveexec_b64 s[0:1], vcc
	s_cbranch_execz .LBB1573_299
; %bb.297:
	s_mov_b32 s17, 0
	s_lshl_b64 s[2:3], s[16:17], 3
	s_add_u32 s4, s6, s2
	s_addc_u32 s5, s7, s3
	s_lshl_b64 s[2:3], s[22:23], 3
	s_add_u32 s4, s4, s2
	s_addc_u32 s5, s5, s3
	v_lshlrev_b32_e32 v1, 3, v0
	s_mov_b64 s[2:3], 0
	v_mov_b32_e32 v3, 0
	v_mov_b32_e32 v4, s5
	;; [unrolled: 1-line block ×3, first 2 shown]
.LBB1573_298:                           ; =>This Inner Loop Header: Depth=1
	ds_read_b64 v[6:7], v1
	v_lshlrev_b64 v[8:9], 3, v[2:3]
	v_add_co_u32_e32 v8, vcc, s4, v8
	v_add_u32_e32 v2, 0x80, v2
	v_addc_co_u32_e32 v9, vcc, v4, v9, vcc
	v_cmp_le_u32_e32 vcc, s26, v2
	v_add_u32_e32 v1, 0x400, v1
	s_or_b64 s[2:3], vcc, s[2:3]
	s_waitcnt lgkmcnt(0)
	global_store_dwordx2 v[8:9], v[6:7], off
	s_andn2_b64 exec, exec, s[2:3]
	s_cbranch_execnz .LBB1573_298
.LBB1573_299:
	s_or_b64 exec, exec, s[0:1]
	v_cmp_eq_u32_e32 vcc, 0, v0
	s_and_b64 s[0:1], vcc, s[24:25]
	s_and_saveexec_b64 s[2:3], s[0:1]
	s_cbranch_execz .LBB1573_274
.LBB1573_300:
	s_add_u32 s0, s22, s26
	s_addc_u32 s1, s23, 0
	s_add_u32 s0, s0, s16
	s_addc_u32 s1, s1, 0
	v_mov_b32_e32 v2, 0
	v_pk_mov_b32 v[0:1], s[0:1], s[0:1] op_sel:[0,1]
	global_store_dwordx2 v2, v[0:1], s[20:21]
	s_endpgm
	.section	.rodata,"a",@progbits
	.p2align	6, 0x0
	.amdhsa_kernel _ZN7rocprim17ROCPRIM_400000_NS6detail17trampoline_kernelINS0_14default_configENS1_25partition_config_selectorILNS1_17partition_subalgoE9EllbEEZZNS1_14partition_implILS5_9ELb0ES3_jPlS8_PNS0_10empty_typeENS0_5tupleIJS8_S9_EEENSB_IJS8_SA_EEENS0_18inequality_wrapperIZN2at6native12_GLOBAL__N_124unique_dim_cuda_templateIjEESt5tupleIJNSF_6TensorESK_SK_EERKSK_lbbbEUlllE0_EEPmJS9_EEE10hipError_tPvRmT3_T4_T5_T6_T7_T9_mT8_P12ihipStream_tbDpT10_ENKUlT_T0_E_clISt17integral_constantIbLb0EES1A_EEDaS15_S16_EUlS15_E_NS1_11comp_targetILNS1_3genE4ELNS1_11target_archE910ELNS1_3gpuE8ELNS1_3repE0EEENS1_30default_config_static_selectorELNS0_4arch9wavefront6targetE1EEEvT1_
		.amdhsa_group_segment_fixed_size 4236
		.amdhsa_private_segment_fixed_size 0
		.amdhsa_kernarg_size 120
		.amdhsa_user_sgpr_count 6
		.amdhsa_user_sgpr_private_segment_buffer 1
		.amdhsa_user_sgpr_dispatch_ptr 0
		.amdhsa_user_sgpr_queue_ptr 0
		.amdhsa_user_sgpr_kernarg_segment_ptr 1
		.amdhsa_user_sgpr_dispatch_id 0
		.amdhsa_user_sgpr_flat_scratch_init 0
		.amdhsa_user_sgpr_kernarg_preload_length 0
		.amdhsa_user_sgpr_kernarg_preload_offset 0
		.amdhsa_user_sgpr_private_segment_size 0
		.amdhsa_uses_dynamic_stack 0
		.amdhsa_system_sgpr_private_segment_wavefront_offset 0
		.amdhsa_system_sgpr_workgroup_id_x 1
		.amdhsa_system_sgpr_workgroup_id_y 0
		.amdhsa_system_sgpr_workgroup_id_z 0
		.amdhsa_system_sgpr_workgroup_info 0
		.amdhsa_system_vgpr_workitem_id 0
		.amdhsa_next_free_vgpr 50
		.amdhsa_next_free_sgpr 46
		.amdhsa_accum_offset 52
		.amdhsa_reserve_vcc 1
		.amdhsa_reserve_flat_scratch 0
		.amdhsa_float_round_mode_32 0
		.amdhsa_float_round_mode_16_64 0
		.amdhsa_float_denorm_mode_32 3
		.amdhsa_float_denorm_mode_16_64 3
		.amdhsa_dx10_clamp 1
		.amdhsa_ieee_mode 1
		.amdhsa_fp16_overflow 0
		.amdhsa_tg_split 0
		.amdhsa_exception_fp_ieee_invalid_op 0
		.amdhsa_exception_fp_denorm_src 0
		.amdhsa_exception_fp_ieee_div_zero 0
		.amdhsa_exception_fp_ieee_overflow 0
		.amdhsa_exception_fp_ieee_underflow 0
		.amdhsa_exception_fp_ieee_inexact 0
		.amdhsa_exception_int_div_zero 0
	.end_amdhsa_kernel
	.section	.text._ZN7rocprim17ROCPRIM_400000_NS6detail17trampoline_kernelINS0_14default_configENS1_25partition_config_selectorILNS1_17partition_subalgoE9EllbEEZZNS1_14partition_implILS5_9ELb0ES3_jPlS8_PNS0_10empty_typeENS0_5tupleIJS8_S9_EEENSB_IJS8_SA_EEENS0_18inequality_wrapperIZN2at6native12_GLOBAL__N_124unique_dim_cuda_templateIjEESt5tupleIJNSF_6TensorESK_SK_EERKSK_lbbbEUlllE0_EEPmJS9_EEE10hipError_tPvRmT3_T4_T5_T6_T7_T9_mT8_P12ihipStream_tbDpT10_ENKUlT_T0_E_clISt17integral_constantIbLb0EES1A_EEDaS15_S16_EUlS15_E_NS1_11comp_targetILNS1_3genE4ELNS1_11target_archE910ELNS1_3gpuE8ELNS1_3repE0EEENS1_30default_config_static_selectorELNS0_4arch9wavefront6targetE1EEEvT1_,"axG",@progbits,_ZN7rocprim17ROCPRIM_400000_NS6detail17trampoline_kernelINS0_14default_configENS1_25partition_config_selectorILNS1_17partition_subalgoE9EllbEEZZNS1_14partition_implILS5_9ELb0ES3_jPlS8_PNS0_10empty_typeENS0_5tupleIJS8_S9_EEENSB_IJS8_SA_EEENS0_18inequality_wrapperIZN2at6native12_GLOBAL__N_124unique_dim_cuda_templateIjEESt5tupleIJNSF_6TensorESK_SK_EERKSK_lbbbEUlllE0_EEPmJS9_EEE10hipError_tPvRmT3_T4_T5_T6_T7_T9_mT8_P12ihipStream_tbDpT10_ENKUlT_T0_E_clISt17integral_constantIbLb0EES1A_EEDaS15_S16_EUlS15_E_NS1_11comp_targetILNS1_3genE4ELNS1_11target_archE910ELNS1_3gpuE8ELNS1_3repE0EEENS1_30default_config_static_selectorELNS0_4arch9wavefront6targetE1EEEvT1_,comdat
.Lfunc_end1573:
	.size	_ZN7rocprim17ROCPRIM_400000_NS6detail17trampoline_kernelINS0_14default_configENS1_25partition_config_selectorILNS1_17partition_subalgoE9EllbEEZZNS1_14partition_implILS5_9ELb0ES3_jPlS8_PNS0_10empty_typeENS0_5tupleIJS8_S9_EEENSB_IJS8_SA_EEENS0_18inequality_wrapperIZN2at6native12_GLOBAL__N_124unique_dim_cuda_templateIjEESt5tupleIJNSF_6TensorESK_SK_EERKSK_lbbbEUlllE0_EEPmJS9_EEE10hipError_tPvRmT3_T4_T5_T6_T7_T9_mT8_P12ihipStream_tbDpT10_ENKUlT_T0_E_clISt17integral_constantIbLb0EES1A_EEDaS15_S16_EUlS15_E_NS1_11comp_targetILNS1_3genE4ELNS1_11target_archE910ELNS1_3gpuE8ELNS1_3repE0EEENS1_30default_config_static_selectorELNS0_4arch9wavefront6targetE1EEEvT1_, .Lfunc_end1573-_ZN7rocprim17ROCPRIM_400000_NS6detail17trampoline_kernelINS0_14default_configENS1_25partition_config_selectorILNS1_17partition_subalgoE9EllbEEZZNS1_14partition_implILS5_9ELb0ES3_jPlS8_PNS0_10empty_typeENS0_5tupleIJS8_S9_EEENSB_IJS8_SA_EEENS0_18inequality_wrapperIZN2at6native12_GLOBAL__N_124unique_dim_cuda_templateIjEESt5tupleIJNSF_6TensorESK_SK_EERKSK_lbbbEUlllE0_EEPmJS9_EEE10hipError_tPvRmT3_T4_T5_T6_T7_T9_mT8_P12ihipStream_tbDpT10_ENKUlT_T0_E_clISt17integral_constantIbLb0EES1A_EEDaS15_S16_EUlS15_E_NS1_11comp_targetILNS1_3genE4ELNS1_11target_archE910ELNS1_3gpuE8ELNS1_3repE0EEENS1_30default_config_static_selectorELNS0_4arch9wavefront6targetE1EEEvT1_
                                        ; -- End function
	.section	.AMDGPU.csdata,"",@progbits
; Kernel info:
; codeLenInByte = 10796
; NumSgprs: 50
; NumVgprs: 50
; NumAgprs: 0
; TotalNumVgprs: 50
; ScratchSize: 0
; MemoryBound: 0
; FloatMode: 240
; IeeeMode: 1
; LDSByteSize: 4236 bytes/workgroup (compile time only)
; SGPRBlocks: 6
; VGPRBlocks: 6
; NumSGPRsForWavesPerEU: 50
; NumVGPRsForWavesPerEU: 50
; AccumOffset: 52
; Occupancy: 8
; WaveLimiterHint : 1
; COMPUTE_PGM_RSRC2:SCRATCH_EN: 0
; COMPUTE_PGM_RSRC2:USER_SGPR: 6
; COMPUTE_PGM_RSRC2:TRAP_HANDLER: 0
; COMPUTE_PGM_RSRC2:TGID_X_EN: 1
; COMPUTE_PGM_RSRC2:TGID_Y_EN: 0
; COMPUTE_PGM_RSRC2:TGID_Z_EN: 0
; COMPUTE_PGM_RSRC2:TIDIG_COMP_CNT: 0
; COMPUTE_PGM_RSRC3_GFX90A:ACCUM_OFFSET: 12
; COMPUTE_PGM_RSRC3_GFX90A:TG_SPLIT: 0
	.section	.text._ZN7rocprim17ROCPRIM_400000_NS6detail17trampoline_kernelINS0_14default_configENS1_25partition_config_selectorILNS1_17partition_subalgoE9EllbEEZZNS1_14partition_implILS5_9ELb0ES3_jPlS8_PNS0_10empty_typeENS0_5tupleIJS8_S9_EEENSB_IJS8_SA_EEENS0_18inequality_wrapperIZN2at6native12_GLOBAL__N_124unique_dim_cuda_templateIjEESt5tupleIJNSF_6TensorESK_SK_EERKSK_lbbbEUlllE0_EEPmJS9_EEE10hipError_tPvRmT3_T4_T5_T6_T7_T9_mT8_P12ihipStream_tbDpT10_ENKUlT_T0_E_clISt17integral_constantIbLb0EES1A_EEDaS15_S16_EUlS15_E_NS1_11comp_targetILNS1_3genE3ELNS1_11target_archE908ELNS1_3gpuE7ELNS1_3repE0EEENS1_30default_config_static_selectorELNS0_4arch9wavefront6targetE1EEEvT1_,"axG",@progbits,_ZN7rocprim17ROCPRIM_400000_NS6detail17trampoline_kernelINS0_14default_configENS1_25partition_config_selectorILNS1_17partition_subalgoE9EllbEEZZNS1_14partition_implILS5_9ELb0ES3_jPlS8_PNS0_10empty_typeENS0_5tupleIJS8_S9_EEENSB_IJS8_SA_EEENS0_18inequality_wrapperIZN2at6native12_GLOBAL__N_124unique_dim_cuda_templateIjEESt5tupleIJNSF_6TensorESK_SK_EERKSK_lbbbEUlllE0_EEPmJS9_EEE10hipError_tPvRmT3_T4_T5_T6_T7_T9_mT8_P12ihipStream_tbDpT10_ENKUlT_T0_E_clISt17integral_constantIbLb0EES1A_EEDaS15_S16_EUlS15_E_NS1_11comp_targetILNS1_3genE3ELNS1_11target_archE908ELNS1_3gpuE7ELNS1_3repE0EEENS1_30default_config_static_selectorELNS0_4arch9wavefront6targetE1EEEvT1_,comdat
	.globl	_ZN7rocprim17ROCPRIM_400000_NS6detail17trampoline_kernelINS0_14default_configENS1_25partition_config_selectorILNS1_17partition_subalgoE9EllbEEZZNS1_14partition_implILS5_9ELb0ES3_jPlS8_PNS0_10empty_typeENS0_5tupleIJS8_S9_EEENSB_IJS8_SA_EEENS0_18inequality_wrapperIZN2at6native12_GLOBAL__N_124unique_dim_cuda_templateIjEESt5tupleIJNSF_6TensorESK_SK_EERKSK_lbbbEUlllE0_EEPmJS9_EEE10hipError_tPvRmT3_T4_T5_T6_T7_T9_mT8_P12ihipStream_tbDpT10_ENKUlT_T0_E_clISt17integral_constantIbLb0EES1A_EEDaS15_S16_EUlS15_E_NS1_11comp_targetILNS1_3genE3ELNS1_11target_archE908ELNS1_3gpuE7ELNS1_3repE0EEENS1_30default_config_static_selectorELNS0_4arch9wavefront6targetE1EEEvT1_ ; -- Begin function _ZN7rocprim17ROCPRIM_400000_NS6detail17trampoline_kernelINS0_14default_configENS1_25partition_config_selectorILNS1_17partition_subalgoE9EllbEEZZNS1_14partition_implILS5_9ELb0ES3_jPlS8_PNS0_10empty_typeENS0_5tupleIJS8_S9_EEENSB_IJS8_SA_EEENS0_18inequality_wrapperIZN2at6native12_GLOBAL__N_124unique_dim_cuda_templateIjEESt5tupleIJNSF_6TensorESK_SK_EERKSK_lbbbEUlllE0_EEPmJS9_EEE10hipError_tPvRmT3_T4_T5_T6_T7_T9_mT8_P12ihipStream_tbDpT10_ENKUlT_T0_E_clISt17integral_constantIbLb0EES1A_EEDaS15_S16_EUlS15_E_NS1_11comp_targetILNS1_3genE3ELNS1_11target_archE908ELNS1_3gpuE7ELNS1_3repE0EEENS1_30default_config_static_selectorELNS0_4arch9wavefront6targetE1EEEvT1_
	.p2align	8
	.type	_ZN7rocprim17ROCPRIM_400000_NS6detail17trampoline_kernelINS0_14default_configENS1_25partition_config_selectorILNS1_17partition_subalgoE9EllbEEZZNS1_14partition_implILS5_9ELb0ES3_jPlS8_PNS0_10empty_typeENS0_5tupleIJS8_S9_EEENSB_IJS8_SA_EEENS0_18inequality_wrapperIZN2at6native12_GLOBAL__N_124unique_dim_cuda_templateIjEESt5tupleIJNSF_6TensorESK_SK_EERKSK_lbbbEUlllE0_EEPmJS9_EEE10hipError_tPvRmT3_T4_T5_T6_T7_T9_mT8_P12ihipStream_tbDpT10_ENKUlT_T0_E_clISt17integral_constantIbLb0EES1A_EEDaS15_S16_EUlS15_E_NS1_11comp_targetILNS1_3genE3ELNS1_11target_archE908ELNS1_3gpuE7ELNS1_3repE0EEENS1_30default_config_static_selectorELNS0_4arch9wavefront6targetE1EEEvT1_,@function
_ZN7rocprim17ROCPRIM_400000_NS6detail17trampoline_kernelINS0_14default_configENS1_25partition_config_selectorILNS1_17partition_subalgoE9EllbEEZZNS1_14partition_implILS5_9ELb0ES3_jPlS8_PNS0_10empty_typeENS0_5tupleIJS8_S9_EEENSB_IJS8_SA_EEENS0_18inequality_wrapperIZN2at6native12_GLOBAL__N_124unique_dim_cuda_templateIjEESt5tupleIJNSF_6TensorESK_SK_EERKSK_lbbbEUlllE0_EEPmJS9_EEE10hipError_tPvRmT3_T4_T5_T6_T7_T9_mT8_P12ihipStream_tbDpT10_ENKUlT_T0_E_clISt17integral_constantIbLb0EES1A_EEDaS15_S16_EUlS15_E_NS1_11comp_targetILNS1_3genE3ELNS1_11target_archE908ELNS1_3gpuE7ELNS1_3repE0EEENS1_30default_config_static_selectorELNS0_4arch9wavefront6targetE1EEEvT1_: ; @_ZN7rocprim17ROCPRIM_400000_NS6detail17trampoline_kernelINS0_14default_configENS1_25partition_config_selectorILNS1_17partition_subalgoE9EllbEEZZNS1_14partition_implILS5_9ELb0ES3_jPlS8_PNS0_10empty_typeENS0_5tupleIJS8_S9_EEENSB_IJS8_SA_EEENS0_18inequality_wrapperIZN2at6native12_GLOBAL__N_124unique_dim_cuda_templateIjEESt5tupleIJNSF_6TensorESK_SK_EERKSK_lbbbEUlllE0_EEPmJS9_EEE10hipError_tPvRmT3_T4_T5_T6_T7_T9_mT8_P12ihipStream_tbDpT10_ENKUlT_T0_E_clISt17integral_constantIbLb0EES1A_EEDaS15_S16_EUlS15_E_NS1_11comp_targetILNS1_3genE3ELNS1_11target_archE908ELNS1_3gpuE7ELNS1_3repE0EEENS1_30default_config_static_selectorELNS0_4arch9wavefront6targetE1EEEvT1_
; %bb.0:
	.section	.rodata,"a",@progbits
	.p2align	6, 0x0
	.amdhsa_kernel _ZN7rocprim17ROCPRIM_400000_NS6detail17trampoline_kernelINS0_14default_configENS1_25partition_config_selectorILNS1_17partition_subalgoE9EllbEEZZNS1_14partition_implILS5_9ELb0ES3_jPlS8_PNS0_10empty_typeENS0_5tupleIJS8_S9_EEENSB_IJS8_SA_EEENS0_18inequality_wrapperIZN2at6native12_GLOBAL__N_124unique_dim_cuda_templateIjEESt5tupleIJNSF_6TensorESK_SK_EERKSK_lbbbEUlllE0_EEPmJS9_EEE10hipError_tPvRmT3_T4_T5_T6_T7_T9_mT8_P12ihipStream_tbDpT10_ENKUlT_T0_E_clISt17integral_constantIbLb0EES1A_EEDaS15_S16_EUlS15_E_NS1_11comp_targetILNS1_3genE3ELNS1_11target_archE908ELNS1_3gpuE7ELNS1_3repE0EEENS1_30default_config_static_selectorELNS0_4arch9wavefront6targetE1EEEvT1_
		.amdhsa_group_segment_fixed_size 0
		.amdhsa_private_segment_fixed_size 0
		.amdhsa_kernarg_size 120
		.amdhsa_user_sgpr_count 6
		.amdhsa_user_sgpr_private_segment_buffer 1
		.amdhsa_user_sgpr_dispatch_ptr 0
		.amdhsa_user_sgpr_queue_ptr 0
		.amdhsa_user_sgpr_kernarg_segment_ptr 1
		.amdhsa_user_sgpr_dispatch_id 0
		.amdhsa_user_sgpr_flat_scratch_init 0
		.amdhsa_user_sgpr_kernarg_preload_length 0
		.amdhsa_user_sgpr_kernarg_preload_offset 0
		.amdhsa_user_sgpr_private_segment_size 0
		.amdhsa_uses_dynamic_stack 0
		.amdhsa_system_sgpr_private_segment_wavefront_offset 0
		.amdhsa_system_sgpr_workgroup_id_x 1
		.amdhsa_system_sgpr_workgroup_id_y 0
		.amdhsa_system_sgpr_workgroup_id_z 0
		.amdhsa_system_sgpr_workgroup_info 0
		.amdhsa_system_vgpr_workitem_id 0
		.amdhsa_next_free_vgpr 1
		.amdhsa_next_free_sgpr 0
		.amdhsa_accum_offset 4
		.amdhsa_reserve_vcc 0
		.amdhsa_reserve_flat_scratch 0
		.amdhsa_float_round_mode_32 0
		.amdhsa_float_round_mode_16_64 0
		.amdhsa_float_denorm_mode_32 3
		.amdhsa_float_denorm_mode_16_64 3
		.amdhsa_dx10_clamp 1
		.amdhsa_ieee_mode 1
		.amdhsa_fp16_overflow 0
		.amdhsa_tg_split 0
		.amdhsa_exception_fp_ieee_invalid_op 0
		.amdhsa_exception_fp_denorm_src 0
		.amdhsa_exception_fp_ieee_div_zero 0
		.amdhsa_exception_fp_ieee_overflow 0
		.amdhsa_exception_fp_ieee_underflow 0
		.amdhsa_exception_fp_ieee_inexact 0
		.amdhsa_exception_int_div_zero 0
	.end_amdhsa_kernel
	.section	.text._ZN7rocprim17ROCPRIM_400000_NS6detail17trampoline_kernelINS0_14default_configENS1_25partition_config_selectorILNS1_17partition_subalgoE9EllbEEZZNS1_14partition_implILS5_9ELb0ES3_jPlS8_PNS0_10empty_typeENS0_5tupleIJS8_S9_EEENSB_IJS8_SA_EEENS0_18inequality_wrapperIZN2at6native12_GLOBAL__N_124unique_dim_cuda_templateIjEESt5tupleIJNSF_6TensorESK_SK_EERKSK_lbbbEUlllE0_EEPmJS9_EEE10hipError_tPvRmT3_T4_T5_T6_T7_T9_mT8_P12ihipStream_tbDpT10_ENKUlT_T0_E_clISt17integral_constantIbLb0EES1A_EEDaS15_S16_EUlS15_E_NS1_11comp_targetILNS1_3genE3ELNS1_11target_archE908ELNS1_3gpuE7ELNS1_3repE0EEENS1_30default_config_static_selectorELNS0_4arch9wavefront6targetE1EEEvT1_,"axG",@progbits,_ZN7rocprim17ROCPRIM_400000_NS6detail17trampoline_kernelINS0_14default_configENS1_25partition_config_selectorILNS1_17partition_subalgoE9EllbEEZZNS1_14partition_implILS5_9ELb0ES3_jPlS8_PNS0_10empty_typeENS0_5tupleIJS8_S9_EEENSB_IJS8_SA_EEENS0_18inequality_wrapperIZN2at6native12_GLOBAL__N_124unique_dim_cuda_templateIjEESt5tupleIJNSF_6TensorESK_SK_EERKSK_lbbbEUlllE0_EEPmJS9_EEE10hipError_tPvRmT3_T4_T5_T6_T7_T9_mT8_P12ihipStream_tbDpT10_ENKUlT_T0_E_clISt17integral_constantIbLb0EES1A_EEDaS15_S16_EUlS15_E_NS1_11comp_targetILNS1_3genE3ELNS1_11target_archE908ELNS1_3gpuE7ELNS1_3repE0EEENS1_30default_config_static_selectorELNS0_4arch9wavefront6targetE1EEEvT1_,comdat
.Lfunc_end1574:
	.size	_ZN7rocprim17ROCPRIM_400000_NS6detail17trampoline_kernelINS0_14default_configENS1_25partition_config_selectorILNS1_17partition_subalgoE9EllbEEZZNS1_14partition_implILS5_9ELb0ES3_jPlS8_PNS0_10empty_typeENS0_5tupleIJS8_S9_EEENSB_IJS8_SA_EEENS0_18inequality_wrapperIZN2at6native12_GLOBAL__N_124unique_dim_cuda_templateIjEESt5tupleIJNSF_6TensorESK_SK_EERKSK_lbbbEUlllE0_EEPmJS9_EEE10hipError_tPvRmT3_T4_T5_T6_T7_T9_mT8_P12ihipStream_tbDpT10_ENKUlT_T0_E_clISt17integral_constantIbLb0EES1A_EEDaS15_S16_EUlS15_E_NS1_11comp_targetILNS1_3genE3ELNS1_11target_archE908ELNS1_3gpuE7ELNS1_3repE0EEENS1_30default_config_static_selectorELNS0_4arch9wavefront6targetE1EEEvT1_, .Lfunc_end1574-_ZN7rocprim17ROCPRIM_400000_NS6detail17trampoline_kernelINS0_14default_configENS1_25partition_config_selectorILNS1_17partition_subalgoE9EllbEEZZNS1_14partition_implILS5_9ELb0ES3_jPlS8_PNS0_10empty_typeENS0_5tupleIJS8_S9_EEENSB_IJS8_SA_EEENS0_18inequality_wrapperIZN2at6native12_GLOBAL__N_124unique_dim_cuda_templateIjEESt5tupleIJNSF_6TensorESK_SK_EERKSK_lbbbEUlllE0_EEPmJS9_EEE10hipError_tPvRmT3_T4_T5_T6_T7_T9_mT8_P12ihipStream_tbDpT10_ENKUlT_T0_E_clISt17integral_constantIbLb0EES1A_EEDaS15_S16_EUlS15_E_NS1_11comp_targetILNS1_3genE3ELNS1_11target_archE908ELNS1_3gpuE7ELNS1_3repE0EEENS1_30default_config_static_selectorELNS0_4arch9wavefront6targetE1EEEvT1_
                                        ; -- End function
	.section	.AMDGPU.csdata,"",@progbits
; Kernel info:
; codeLenInByte = 0
; NumSgprs: 4
; NumVgprs: 0
; NumAgprs: 0
; TotalNumVgprs: 0
; ScratchSize: 0
; MemoryBound: 0
; FloatMode: 240
; IeeeMode: 1
; LDSByteSize: 0 bytes/workgroup (compile time only)
; SGPRBlocks: 0
; VGPRBlocks: 0
; NumSGPRsForWavesPerEU: 4
; NumVGPRsForWavesPerEU: 1
; AccumOffset: 4
; Occupancy: 8
; WaveLimiterHint : 0
; COMPUTE_PGM_RSRC2:SCRATCH_EN: 0
; COMPUTE_PGM_RSRC2:USER_SGPR: 6
; COMPUTE_PGM_RSRC2:TRAP_HANDLER: 0
; COMPUTE_PGM_RSRC2:TGID_X_EN: 1
; COMPUTE_PGM_RSRC2:TGID_Y_EN: 0
; COMPUTE_PGM_RSRC2:TGID_Z_EN: 0
; COMPUTE_PGM_RSRC2:TIDIG_COMP_CNT: 0
; COMPUTE_PGM_RSRC3_GFX90A:ACCUM_OFFSET: 0
; COMPUTE_PGM_RSRC3_GFX90A:TG_SPLIT: 0
	.section	.text._ZN7rocprim17ROCPRIM_400000_NS6detail17trampoline_kernelINS0_14default_configENS1_25partition_config_selectorILNS1_17partition_subalgoE9EllbEEZZNS1_14partition_implILS5_9ELb0ES3_jPlS8_PNS0_10empty_typeENS0_5tupleIJS8_S9_EEENSB_IJS8_SA_EEENS0_18inequality_wrapperIZN2at6native12_GLOBAL__N_124unique_dim_cuda_templateIjEESt5tupleIJNSF_6TensorESK_SK_EERKSK_lbbbEUlllE0_EEPmJS9_EEE10hipError_tPvRmT3_T4_T5_T6_T7_T9_mT8_P12ihipStream_tbDpT10_ENKUlT_T0_E_clISt17integral_constantIbLb0EES1A_EEDaS15_S16_EUlS15_E_NS1_11comp_targetILNS1_3genE2ELNS1_11target_archE906ELNS1_3gpuE6ELNS1_3repE0EEENS1_30default_config_static_selectorELNS0_4arch9wavefront6targetE1EEEvT1_,"axG",@progbits,_ZN7rocprim17ROCPRIM_400000_NS6detail17trampoline_kernelINS0_14default_configENS1_25partition_config_selectorILNS1_17partition_subalgoE9EllbEEZZNS1_14partition_implILS5_9ELb0ES3_jPlS8_PNS0_10empty_typeENS0_5tupleIJS8_S9_EEENSB_IJS8_SA_EEENS0_18inequality_wrapperIZN2at6native12_GLOBAL__N_124unique_dim_cuda_templateIjEESt5tupleIJNSF_6TensorESK_SK_EERKSK_lbbbEUlllE0_EEPmJS9_EEE10hipError_tPvRmT3_T4_T5_T6_T7_T9_mT8_P12ihipStream_tbDpT10_ENKUlT_T0_E_clISt17integral_constantIbLb0EES1A_EEDaS15_S16_EUlS15_E_NS1_11comp_targetILNS1_3genE2ELNS1_11target_archE906ELNS1_3gpuE6ELNS1_3repE0EEENS1_30default_config_static_selectorELNS0_4arch9wavefront6targetE1EEEvT1_,comdat
	.globl	_ZN7rocprim17ROCPRIM_400000_NS6detail17trampoline_kernelINS0_14default_configENS1_25partition_config_selectorILNS1_17partition_subalgoE9EllbEEZZNS1_14partition_implILS5_9ELb0ES3_jPlS8_PNS0_10empty_typeENS0_5tupleIJS8_S9_EEENSB_IJS8_SA_EEENS0_18inequality_wrapperIZN2at6native12_GLOBAL__N_124unique_dim_cuda_templateIjEESt5tupleIJNSF_6TensorESK_SK_EERKSK_lbbbEUlllE0_EEPmJS9_EEE10hipError_tPvRmT3_T4_T5_T6_T7_T9_mT8_P12ihipStream_tbDpT10_ENKUlT_T0_E_clISt17integral_constantIbLb0EES1A_EEDaS15_S16_EUlS15_E_NS1_11comp_targetILNS1_3genE2ELNS1_11target_archE906ELNS1_3gpuE6ELNS1_3repE0EEENS1_30default_config_static_selectorELNS0_4arch9wavefront6targetE1EEEvT1_ ; -- Begin function _ZN7rocprim17ROCPRIM_400000_NS6detail17trampoline_kernelINS0_14default_configENS1_25partition_config_selectorILNS1_17partition_subalgoE9EllbEEZZNS1_14partition_implILS5_9ELb0ES3_jPlS8_PNS0_10empty_typeENS0_5tupleIJS8_S9_EEENSB_IJS8_SA_EEENS0_18inequality_wrapperIZN2at6native12_GLOBAL__N_124unique_dim_cuda_templateIjEESt5tupleIJNSF_6TensorESK_SK_EERKSK_lbbbEUlllE0_EEPmJS9_EEE10hipError_tPvRmT3_T4_T5_T6_T7_T9_mT8_P12ihipStream_tbDpT10_ENKUlT_T0_E_clISt17integral_constantIbLb0EES1A_EEDaS15_S16_EUlS15_E_NS1_11comp_targetILNS1_3genE2ELNS1_11target_archE906ELNS1_3gpuE6ELNS1_3repE0EEENS1_30default_config_static_selectorELNS0_4arch9wavefront6targetE1EEEvT1_
	.p2align	8
	.type	_ZN7rocprim17ROCPRIM_400000_NS6detail17trampoline_kernelINS0_14default_configENS1_25partition_config_selectorILNS1_17partition_subalgoE9EllbEEZZNS1_14partition_implILS5_9ELb0ES3_jPlS8_PNS0_10empty_typeENS0_5tupleIJS8_S9_EEENSB_IJS8_SA_EEENS0_18inequality_wrapperIZN2at6native12_GLOBAL__N_124unique_dim_cuda_templateIjEESt5tupleIJNSF_6TensorESK_SK_EERKSK_lbbbEUlllE0_EEPmJS9_EEE10hipError_tPvRmT3_T4_T5_T6_T7_T9_mT8_P12ihipStream_tbDpT10_ENKUlT_T0_E_clISt17integral_constantIbLb0EES1A_EEDaS15_S16_EUlS15_E_NS1_11comp_targetILNS1_3genE2ELNS1_11target_archE906ELNS1_3gpuE6ELNS1_3repE0EEENS1_30default_config_static_selectorELNS0_4arch9wavefront6targetE1EEEvT1_,@function
_ZN7rocprim17ROCPRIM_400000_NS6detail17trampoline_kernelINS0_14default_configENS1_25partition_config_selectorILNS1_17partition_subalgoE9EllbEEZZNS1_14partition_implILS5_9ELb0ES3_jPlS8_PNS0_10empty_typeENS0_5tupleIJS8_S9_EEENSB_IJS8_SA_EEENS0_18inequality_wrapperIZN2at6native12_GLOBAL__N_124unique_dim_cuda_templateIjEESt5tupleIJNSF_6TensorESK_SK_EERKSK_lbbbEUlllE0_EEPmJS9_EEE10hipError_tPvRmT3_T4_T5_T6_T7_T9_mT8_P12ihipStream_tbDpT10_ENKUlT_T0_E_clISt17integral_constantIbLb0EES1A_EEDaS15_S16_EUlS15_E_NS1_11comp_targetILNS1_3genE2ELNS1_11target_archE906ELNS1_3gpuE6ELNS1_3repE0EEENS1_30default_config_static_selectorELNS0_4arch9wavefront6targetE1EEEvT1_: ; @_ZN7rocprim17ROCPRIM_400000_NS6detail17trampoline_kernelINS0_14default_configENS1_25partition_config_selectorILNS1_17partition_subalgoE9EllbEEZZNS1_14partition_implILS5_9ELb0ES3_jPlS8_PNS0_10empty_typeENS0_5tupleIJS8_S9_EEENSB_IJS8_SA_EEENS0_18inequality_wrapperIZN2at6native12_GLOBAL__N_124unique_dim_cuda_templateIjEESt5tupleIJNSF_6TensorESK_SK_EERKSK_lbbbEUlllE0_EEPmJS9_EEE10hipError_tPvRmT3_T4_T5_T6_T7_T9_mT8_P12ihipStream_tbDpT10_ENKUlT_T0_E_clISt17integral_constantIbLb0EES1A_EEDaS15_S16_EUlS15_E_NS1_11comp_targetILNS1_3genE2ELNS1_11target_archE906ELNS1_3gpuE6ELNS1_3repE0EEENS1_30default_config_static_selectorELNS0_4arch9wavefront6targetE1EEEvT1_
; %bb.0:
	.section	.rodata,"a",@progbits
	.p2align	6, 0x0
	.amdhsa_kernel _ZN7rocprim17ROCPRIM_400000_NS6detail17trampoline_kernelINS0_14default_configENS1_25partition_config_selectorILNS1_17partition_subalgoE9EllbEEZZNS1_14partition_implILS5_9ELb0ES3_jPlS8_PNS0_10empty_typeENS0_5tupleIJS8_S9_EEENSB_IJS8_SA_EEENS0_18inequality_wrapperIZN2at6native12_GLOBAL__N_124unique_dim_cuda_templateIjEESt5tupleIJNSF_6TensorESK_SK_EERKSK_lbbbEUlllE0_EEPmJS9_EEE10hipError_tPvRmT3_T4_T5_T6_T7_T9_mT8_P12ihipStream_tbDpT10_ENKUlT_T0_E_clISt17integral_constantIbLb0EES1A_EEDaS15_S16_EUlS15_E_NS1_11comp_targetILNS1_3genE2ELNS1_11target_archE906ELNS1_3gpuE6ELNS1_3repE0EEENS1_30default_config_static_selectorELNS0_4arch9wavefront6targetE1EEEvT1_
		.amdhsa_group_segment_fixed_size 0
		.amdhsa_private_segment_fixed_size 0
		.amdhsa_kernarg_size 120
		.amdhsa_user_sgpr_count 6
		.amdhsa_user_sgpr_private_segment_buffer 1
		.amdhsa_user_sgpr_dispatch_ptr 0
		.amdhsa_user_sgpr_queue_ptr 0
		.amdhsa_user_sgpr_kernarg_segment_ptr 1
		.amdhsa_user_sgpr_dispatch_id 0
		.amdhsa_user_sgpr_flat_scratch_init 0
		.amdhsa_user_sgpr_kernarg_preload_length 0
		.amdhsa_user_sgpr_kernarg_preload_offset 0
		.amdhsa_user_sgpr_private_segment_size 0
		.amdhsa_uses_dynamic_stack 0
		.amdhsa_system_sgpr_private_segment_wavefront_offset 0
		.amdhsa_system_sgpr_workgroup_id_x 1
		.amdhsa_system_sgpr_workgroup_id_y 0
		.amdhsa_system_sgpr_workgroup_id_z 0
		.amdhsa_system_sgpr_workgroup_info 0
		.amdhsa_system_vgpr_workitem_id 0
		.amdhsa_next_free_vgpr 1
		.amdhsa_next_free_sgpr 0
		.amdhsa_accum_offset 4
		.amdhsa_reserve_vcc 0
		.amdhsa_reserve_flat_scratch 0
		.amdhsa_float_round_mode_32 0
		.amdhsa_float_round_mode_16_64 0
		.amdhsa_float_denorm_mode_32 3
		.amdhsa_float_denorm_mode_16_64 3
		.amdhsa_dx10_clamp 1
		.amdhsa_ieee_mode 1
		.amdhsa_fp16_overflow 0
		.amdhsa_tg_split 0
		.amdhsa_exception_fp_ieee_invalid_op 0
		.amdhsa_exception_fp_denorm_src 0
		.amdhsa_exception_fp_ieee_div_zero 0
		.amdhsa_exception_fp_ieee_overflow 0
		.amdhsa_exception_fp_ieee_underflow 0
		.amdhsa_exception_fp_ieee_inexact 0
		.amdhsa_exception_int_div_zero 0
	.end_amdhsa_kernel
	.section	.text._ZN7rocprim17ROCPRIM_400000_NS6detail17trampoline_kernelINS0_14default_configENS1_25partition_config_selectorILNS1_17partition_subalgoE9EllbEEZZNS1_14partition_implILS5_9ELb0ES3_jPlS8_PNS0_10empty_typeENS0_5tupleIJS8_S9_EEENSB_IJS8_SA_EEENS0_18inequality_wrapperIZN2at6native12_GLOBAL__N_124unique_dim_cuda_templateIjEESt5tupleIJNSF_6TensorESK_SK_EERKSK_lbbbEUlllE0_EEPmJS9_EEE10hipError_tPvRmT3_T4_T5_T6_T7_T9_mT8_P12ihipStream_tbDpT10_ENKUlT_T0_E_clISt17integral_constantIbLb0EES1A_EEDaS15_S16_EUlS15_E_NS1_11comp_targetILNS1_3genE2ELNS1_11target_archE906ELNS1_3gpuE6ELNS1_3repE0EEENS1_30default_config_static_selectorELNS0_4arch9wavefront6targetE1EEEvT1_,"axG",@progbits,_ZN7rocprim17ROCPRIM_400000_NS6detail17trampoline_kernelINS0_14default_configENS1_25partition_config_selectorILNS1_17partition_subalgoE9EllbEEZZNS1_14partition_implILS5_9ELb0ES3_jPlS8_PNS0_10empty_typeENS0_5tupleIJS8_S9_EEENSB_IJS8_SA_EEENS0_18inequality_wrapperIZN2at6native12_GLOBAL__N_124unique_dim_cuda_templateIjEESt5tupleIJNSF_6TensorESK_SK_EERKSK_lbbbEUlllE0_EEPmJS9_EEE10hipError_tPvRmT3_T4_T5_T6_T7_T9_mT8_P12ihipStream_tbDpT10_ENKUlT_T0_E_clISt17integral_constantIbLb0EES1A_EEDaS15_S16_EUlS15_E_NS1_11comp_targetILNS1_3genE2ELNS1_11target_archE906ELNS1_3gpuE6ELNS1_3repE0EEENS1_30default_config_static_selectorELNS0_4arch9wavefront6targetE1EEEvT1_,comdat
.Lfunc_end1575:
	.size	_ZN7rocprim17ROCPRIM_400000_NS6detail17trampoline_kernelINS0_14default_configENS1_25partition_config_selectorILNS1_17partition_subalgoE9EllbEEZZNS1_14partition_implILS5_9ELb0ES3_jPlS8_PNS0_10empty_typeENS0_5tupleIJS8_S9_EEENSB_IJS8_SA_EEENS0_18inequality_wrapperIZN2at6native12_GLOBAL__N_124unique_dim_cuda_templateIjEESt5tupleIJNSF_6TensorESK_SK_EERKSK_lbbbEUlllE0_EEPmJS9_EEE10hipError_tPvRmT3_T4_T5_T6_T7_T9_mT8_P12ihipStream_tbDpT10_ENKUlT_T0_E_clISt17integral_constantIbLb0EES1A_EEDaS15_S16_EUlS15_E_NS1_11comp_targetILNS1_3genE2ELNS1_11target_archE906ELNS1_3gpuE6ELNS1_3repE0EEENS1_30default_config_static_selectorELNS0_4arch9wavefront6targetE1EEEvT1_, .Lfunc_end1575-_ZN7rocprim17ROCPRIM_400000_NS6detail17trampoline_kernelINS0_14default_configENS1_25partition_config_selectorILNS1_17partition_subalgoE9EllbEEZZNS1_14partition_implILS5_9ELb0ES3_jPlS8_PNS0_10empty_typeENS0_5tupleIJS8_S9_EEENSB_IJS8_SA_EEENS0_18inequality_wrapperIZN2at6native12_GLOBAL__N_124unique_dim_cuda_templateIjEESt5tupleIJNSF_6TensorESK_SK_EERKSK_lbbbEUlllE0_EEPmJS9_EEE10hipError_tPvRmT3_T4_T5_T6_T7_T9_mT8_P12ihipStream_tbDpT10_ENKUlT_T0_E_clISt17integral_constantIbLb0EES1A_EEDaS15_S16_EUlS15_E_NS1_11comp_targetILNS1_3genE2ELNS1_11target_archE906ELNS1_3gpuE6ELNS1_3repE0EEENS1_30default_config_static_selectorELNS0_4arch9wavefront6targetE1EEEvT1_
                                        ; -- End function
	.section	.AMDGPU.csdata,"",@progbits
; Kernel info:
; codeLenInByte = 0
; NumSgprs: 4
; NumVgprs: 0
; NumAgprs: 0
; TotalNumVgprs: 0
; ScratchSize: 0
; MemoryBound: 0
; FloatMode: 240
; IeeeMode: 1
; LDSByteSize: 0 bytes/workgroup (compile time only)
; SGPRBlocks: 0
; VGPRBlocks: 0
; NumSGPRsForWavesPerEU: 4
; NumVGPRsForWavesPerEU: 1
; AccumOffset: 4
; Occupancy: 8
; WaveLimiterHint : 0
; COMPUTE_PGM_RSRC2:SCRATCH_EN: 0
; COMPUTE_PGM_RSRC2:USER_SGPR: 6
; COMPUTE_PGM_RSRC2:TRAP_HANDLER: 0
; COMPUTE_PGM_RSRC2:TGID_X_EN: 1
; COMPUTE_PGM_RSRC2:TGID_Y_EN: 0
; COMPUTE_PGM_RSRC2:TGID_Z_EN: 0
; COMPUTE_PGM_RSRC2:TIDIG_COMP_CNT: 0
; COMPUTE_PGM_RSRC3_GFX90A:ACCUM_OFFSET: 0
; COMPUTE_PGM_RSRC3_GFX90A:TG_SPLIT: 0
	.section	.text._ZN7rocprim17ROCPRIM_400000_NS6detail17trampoline_kernelINS0_14default_configENS1_25partition_config_selectorILNS1_17partition_subalgoE9EllbEEZZNS1_14partition_implILS5_9ELb0ES3_jPlS8_PNS0_10empty_typeENS0_5tupleIJS8_S9_EEENSB_IJS8_SA_EEENS0_18inequality_wrapperIZN2at6native12_GLOBAL__N_124unique_dim_cuda_templateIjEESt5tupleIJNSF_6TensorESK_SK_EERKSK_lbbbEUlllE0_EEPmJS9_EEE10hipError_tPvRmT3_T4_T5_T6_T7_T9_mT8_P12ihipStream_tbDpT10_ENKUlT_T0_E_clISt17integral_constantIbLb0EES1A_EEDaS15_S16_EUlS15_E_NS1_11comp_targetILNS1_3genE10ELNS1_11target_archE1200ELNS1_3gpuE4ELNS1_3repE0EEENS1_30default_config_static_selectorELNS0_4arch9wavefront6targetE1EEEvT1_,"axG",@progbits,_ZN7rocprim17ROCPRIM_400000_NS6detail17trampoline_kernelINS0_14default_configENS1_25partition_config_selectorILNS1_17partition_subalgoE9EllbEEZZNS1_14partition_implILS5_9ELb0ES3_jPlS8_PNS0_10empty_typeENS0_5tupleIJS8_S9_EEENSB_IJS8_SA_EEENS0_18inequality_wrapperIZN2at6native12_GLOBAL__N_124unique_dim_cuda_templateIjEESt5tupleIJNSF_6TensorESK_SK_EERKSK_lbbbEUlllE0_EEPmJS9_EEE10hipError_tPvRmT3_T4_T5_T6_T7_T9_mT8_P12ihipStream_tbDpT10_ENKUlT_T0_E_clISt17integral_constantIbLb0EES1A_EEDaS15_S16_EUlS15_E_NS1_11comp_targetILNS1_3genE10ELNS1_11target_archE1200ELNS1_3gpuE4ELNS1_3repE0EEENS1_30default_config_static_selectorELNS0_4arch9wavefront6targetE1EEEvT1_,comdat
	.globl	_ZN7rocprim17ROCPRIM_400000_NS6detail17trampoline_kernelINS0_14default_configENS1_25partition_config_selectorILNS1_17partition_subalgoE9EllbEEZZNS1_14partition_implILS5_9ELb0ES3_jPlS8_PNS0_10empty_typeENS0_5tupleIJS8_S9_EEENSB_IJS8_SA_EEENS0_18inequality_wrapperIZN2at6native12_GLOBAL__N_124unique_dim_cuda_templateIjEESt5tupleIJNSF_6TensorESK_SK_EERKSK_lbbbEUlllE0_EEPmJS9_EEE10hipError_tPvRmT3_T4_T5_T6_T7_T9_mT8_P12ihipStream_tbDpT10_ENKUlT_T0_E_clISt17integral_constantIbLb0EES1A_EEDaS15_S16_EUlS15_E_NS1_11comp_targetILNS1_3genE10ELNS1_11target_archE1200ELNS1_3gpuE4ELNS1_3repE0EEENS1_30default_config_static_selectorELNS0_4arch9wavefront6targetE1EEEvT1_ ; -- Begin function _ZN7rocprim17ROCPRIM_400000_NS6detail17trampoline_kernelINS0_14default_configENS1_25partition_config_selectorILNS1_17partition_subalgoE9EllbEEZZNS1_14partition_implILS5_9ELb0ES3_jPlS8_PNS0_10empty_typeENS0_5tupleIJS8_S9_EEENSB_IJS8_SA_EEENS0_18inequality_wrapperIZN2at6native12_GLOBAL__N_124unique_dim_cuda_templateIjEESt5tupleIJNSF_6TensorESK_SK_EERKSK_lbbbEUlllE0_EEPmJS9_EEE10hipError_tPvRmT3_T4_T5_T6_T7_T9_mT8_P12ihipStream_tbDpT10_ENKUlT_T0_E_clISt17integral_constantIbLb0EES1A_EEDaS15_S16_EUlS15_E_NS1_11comp_targetILNS1_3genE10ELNS1_11target_archE1200ELNS1_3gpuE4ELNS1_3repE0EEENS1_30default_config_static_selectorELNS0_4arch9wavefront6targetE1EEEvT1_
	.p2align	8
	.type	_ZN7rocprim17ROCPRIM_400000_NS6detail17trampoline_kernelINS0_14default_configENS1_25partition_config_selectorILNS1_17partition_subalgoE9EllbEEZZNS1_14partition_implILS5_9ELb0ES3_jPlS8_PNS0_10empty_typeENS0_5tupleIJS8_S9_EEENSB_IJS8_SA_EEENS0_18inequality_wrapperIZN2at6native12_GLOBAL__N_124unique_dim_cuda_templateIjEESt5tupleIJNSF_6TensorESK_SK_EERKSK_lbbbEUlllE0_EEPmJS9_EEE10hipError_tPvRmT3_T4_T5_T6_T7_T9_mT8_P12ihipStream_tbDpT10_ENKUlT_T0_E_clISt17integral_constantIbLb0EES1A_EEDaS15_S16_EUlS15_E_NS1_11comp_targetILNS1_3genE10ELNS1_11target_archE1200ELNS1_3gpuE4ELNS1_3repE0EEENS1_30default_config_static_selectorELNS0_4arch9wavefront6targetE1EEEvT1_,@function
_ZN7rocprim17ROCPRIM_400000_NS6detail17trampoline_kernelINS0_14default_configENS1_25partition_config_selectorILNS1_17partition_subalgoE9EllbEEZZNS1_14partition_implILS5_9ELb0ES3_jPlS8_PNS0_10empty_typeENS0_5tupleIJS8_S9_EEENSB_IJS8_SA_EEENS0_18inequality_wrapperIZN2at6native12_GLOBAL__N_124unique_dim_cuda_templateIjEESt5tupleIJNSF_6TensorESK_SK_EERKSK_lbbbEUlllE0_EEPmJS9_EEE10hipError_tPvRmT3_T4_T5_T6_T7_T9_mT8_P12ihipStream_tbDpT10_ENKUlT_T0_E_clISt17integral_constantIbLb0EES1A_EEDaS15_S16_EUlS15_E_NS1_11comp_targetILNS1_3genE10ELNS1_11target_archE1200ELNS1_3gpuE4ELNS1_3repE0EEENS1_30default_config_static_selectorELNS0_4arch9wavefront6targetE1EEEvT1_: ; @_ZN7rocprim17ROCPRIM_400000_NS6detail17trampoline_kernelINS0_14default_configENS1_25partition_config_selectorILNS1_17partition_subalgoE9EllbEEZZNS1_14partition_implILS5_9ELb0ES3_jPlS8_PNS0_10empty_typeENS0_5tupleIJS8_S9_EEENSB_IJS8_SA_EEENS0_18inequality_wrapperIZN2at6native12_GLOBAL__N_124unique_dim_cuda_templateIjEESt5tupleIJNSF_6TensorESK_SK_EERKSK_lbbbEUlllE0_EEPmJS9_EEE10hipError_tPvRmT3_T4_T5_T6_T7_T9_mT8_P12ihipStream_tbDpT10_ENKUlT_T0_E_clISt17integral_constantIbLb0EES1A_EEDaS15_S16_EUlS15_E_NS1_11comp_targetILNS1_3genE10ELNS1_11target_archE1200ELNS1_3gpuE4ELNS1_3repE0EEENS1_30default_config_static_selectorELNS0_4arch9wavefront6targetE1EEEvT1_
; %bb.0:
	.section	.rodata,"a",@progbits
	.p2align	6, 0x0
	.amdhsa_kernel _ZN7rocprim17ROCPRIM_400000_NS6detail17trampoline_kernelINS0_14default_configENS1_25partition_config_selectorILNS1_17partition_subalgoE9EllbEEZZNS1_14partition_implILS5_9ELb0ES3_jPlS8_PNS0_10empty_typeENS0_5tupleIJS8_S9_EEENSB_IJS8_SA_EEENS0_18inequality_wrapperIZN2at6native12_GLOBAL__N_124unique_dim_cuda_templateIjEESt5tupleIJNSF_6TensorESK_SK_EERKSK_lbbbEUlllE0_EEPmJS9_EEE10hipError_tPvRmT3_T4_T5_T6_T7_T9_mT8_P12ihipStream_tbDpT10_ENKUlT_T0_E_clISt17integral_constantIbLb0EES1A_EEDaS15_S16_EUlS15_E_NS1_11comp_targetILNS1_3genE10ELNS1_11target_archE1200ELNS1_3gpuE4ELNS1_3repE0EEENS1_30default_config_static_selectorELNS0_4arch9wavefront6targetE1EEEvT1_
		.amdhsa_group_segment_fixed_size 0
		.amdhsa_private_segment_fixed_size 0
		.amdhsa_kernarg_size 120
		.amdhsa_user_sgpr_count 6
		.amdhsa_user_sgpr_private_segment_buffer 1
		.amdhsa_user_sgpr_dispatch_ptr 0
		.amdhsa_user_sgpr_queue_ptr 0
		.amdhsa_user_sgpr_kernarg_segment_ptr 1
		.amdhsa_user_sgpr_dispatch_id 0
		.amdhsa_user_sgpr_flat_scratch_init 0
		.amdhsa_user_sgpr_kernarg_preload_length 0
		.amdhsa_user_sgpr_kernarg_preload_offset 0
		.amdhsa_user_sgpr_private_segment_size 0
		.amdhsa_uses_dynamic_stack 0
		.amdhsa_system_sgpr_private_segment_wavefront_offset 0
		.amdhsa_system_sgpr_workgroup_id_x 1
		.amdhsa_system_sgpr_workgroup_id_y 0
		.amdhsa_system_sgpr_workgroup_id_z 0
		.amdhsa_system_sgpr_workgroup_info 0
		.amdhsa_system_vgpr_workitem_id 0
		.amdhsa_next_free_vgpr 1
		.amdhsa_next_free_sgpr 0
		.amdhsa_accum_offset 4
		.amdhsa_reserve_vcc 0
		.amdhsa_reserve_flat_scratch 0
		.amdhsa_float_round_mode_32 0
		.amdhsa_float_round_mode_16_64 0
		.amdhsa_float_denorm_mode_32 3
		.amdhsa_float_denorm_mode_16_64 3
		.amdhsa_dx10_clamp 1
		.amdhsa_ieee_mode 1
		.amdhsa_fp16_overflow 0
		.amdhsa_tg_split 0
		.amdhsa_exception_fp_ieee_invalid_op 0
		.amdhsa_exception_fp_denorm_src 0
		.amdhsa_exception_fp_ieee_div_zero 0
		.amdhsa_exception_fp_ieee_overflow 0
		.amdhsa_exception_fp_ieee_underflow 0
		.amdhsa_exception_fp_ieee_inexact 0
		.amdhsa_exception_int_div_zero 0
	.end_amdhsa_kernel
	.section	.text._ZN7rocprim17ROCPRIM_400000_NS6detail17trampoline_kernelINS0_14default_configENS1_25partition_config_selectorILNS1_17partition_subalgoE9EllbEEZZNS1_14partition_implILS5_9ELb0ES3_jPlS8_PNS0_10empty_typeENS0_5tupleIJS8_S9_EEENSB_IJS8_SA_EEENS0_18inequality_wrapperIZN2at6native12_GLOBAL__N_124unique_dim_cuda_templateIjEESt5tupleIJNSF_6TensorESK_SK_EERKSK_lbbbEUlllE0_EEPmJS9_EEE10hipError_tPvRmT3_T4_T5_T6_T7_T9_mT8_P12ihipStream_tbDpT10_ENKUlT_T0_E_clISt17integral_constantIbLb0EES1A_EEDaS15_S16_EUlS15_E_NS1_11comp_targetILNS1_3genE10ELNS1_11target_archE1200ELNS1_3gpuE4ELNS1_3repE0EEENS1_30default_config_static_selectorELNS0_4arch9wavefront6targetE1EEEvT1_,"axG",@progbits,_ZN7rocprim17ROCPRIM_400000_NS6detail17trampoline_kernelINS0_14default_configENS1_25partition_config_selectorILNS1_17partition_subalgoE9EllbEEZZNS1_14partition_implILS5_9ELb0ES3_jPlS8_PNS0_10empty_typeENS0_5tupleIJS8_S9_EEENSB_IJS8_SA_EEENS0_18inequality_wrapperIZN2at6native12_GLOBAL__N_124unique_dim_cuda_templateIjEESt5tupleIJNSF_6TensorESK_SK_EERKSK_lbbbEUlllE0_EEPmJS9_EEE10hipError_tPvRmT3_T4_T5_T6_T7_T9_mT8_P12ihipStream_tbDpT10_ENKUlT_T0_E_clISt17integral_constantIbLb0EES1A_EEDaS15_S16_EUlS15_E_NS1_11comp_targetILNS1_3genE10ELNS1_11target_archE1200ELNS1_3gpuE4ELNS1_3repE0EEENS1_30default_config_static_selectorELNS0_4arch9wavefront6targetE1EEEvT1_,comdat
.Lfunc_end1576:
	.size	_ZN7rocprim17ROCPRIM_400000_NS6detail17trampoline_kernelINS0_14default_configENS1_25partition_config_selectorILNS1_17partition_subalgoE9EllbEEZZNS1_14partition_implILS5_9ELb0ES3_jPlS8_PNS0_10empty_typeENS0_5tupleIJS8_S9_EEENSB_IJS8_SA_EEENS0_18inequality_wrapperIZN2at6native12_GLOBAL__N_124unique_dim_cuda_templateIjEESt5tupleIJNSF_6TensorESK_SK_EERKSK_lbbbEUlllE0_EEPmJS9_EEE10hipError_tPvRmT3_T4_T5_T6_T7_T9_mT8_P12ihipStream_tbDpT10_ENKUlT_T0_E_clISt17integral_constantIbLb0EES1A_EEDaS15_S16_EUlS15_E_NS1_11comp_targetILNS1_3genE10ELNS1_11target_archE1200ELNS1_3gpuE4ELNS1_3repE0EEENS1_30default_config_static_selectorELNS0_4arch9wavefront6targetE1EEEvT1_, .Lfunc_end1576-_ZN7rocprim17ROCPRIM_400000_NS6detail17trampoline_kernelINS0_14default_configENS1_25partition_config_selectorILNS1_17partition_subalgoE9EllbEEZZNS1_14partition_implILS5_9ELb0ES3_jPlS8_PNS0_10empty_typeENS0_5tupleIJS8_S9_EEENSB_IJS8_SA_EEENS0_18inequality_wrapperIZN2at6native12_GLOBAL__N_124unique_dim_cuda_templateIjEESt5tupleIJNSF_6TensorESK_SK_EERKSK_lbbbEUlllE0_EEPmJS9_EEE10hipError_tPvRmT3_T4_T5_T6_T7_T9_mT8_P12ihipStream_tbDpT10_ENKUlT_T0_E_clISt17integral_constantIbLb0EES1A_EEDaS15_S16_EUlS15_E_NS1_11comp_targetILNS1_3genE10ELNS1_11target_archE1200ELNS1_3gpuE4ELNS1_3repE0EEENS1_30default_config_static_selectorELNS0_4arch9wavefront6targetE1EEEvT1_
                                        ; -- End function
	.section	.AMDGPU.csdata,"",@progbits
; Kernel info:
; codeLenInByte = 0
; NumSgprs: 4
; NumVgprs: 0
; NumAgprs: 0
; TotalNumVgprs: 0
; ScratchSize: 0
; MemoryBound: 0
; FloatMode: 240
; IeeeMode: 1
; LDSByteSize: 0 bytes/workgroup (compile time only)
; SGPRBlocks: 0
; VGPRBlocks: 0
; NumSGPRsForWavesPerEU: 4
; NumVGPRsForWavesPerEU: 1
; AccumOffset: 4
; Occupancy: 8
; WaveLimiterHint : 0
; COMPUTE_PGM_RSRC2:SCRATCH_EN: 0
; COMPUTE_PGM_RSRC2:USER_SGPR: 6
; COMPUTE_PGM_RSRC2:TRAP_HANDLER: 0
; COMPUTE_PGM_RSRC2:TGID_X_EN: 1
; COMPUTE_PGM_RSRC2:TGID_Y_EN: 0
; COMPUTE_PGM_RSRC2:TGID_Z_EN: 0
; COMPUTE_PGM_RSRC2:TIDIG_COMP_CNT: 0
; COMPUTE_PGM_RSRC3_GFX90A:ACCUM_OFFSET: 0
; COMPUTE_PGM_RSRC3_GFX90A:TG_SPLIT: 0
	.section	.text._ZN7rocprim17ROCPRIM_400000_NS6detail17trampoline_kernelINS0_14default_configENS1_25partition_config_selectorILNS1_17partition_subalgoE9EllbEEZZNS1_14partition_implILS5_9ELb0ES3_jPlS8_PNS0_10empty_typeENS0_5tupleIJS8_S9_EEENSB_IJS8_SA_EEENS0_18inequality_wrapperIZN2at6native12_GLOBAL__N_124unique_dim_cuda_templateIjEESt5tupleIJNSF_6TensorESK_SK_EERKSK_lbbbEUlllE0_EEPmJS9_EEE10hipError_tPvRmT3_T4_T5_T6_T7_T9_mT8_P12ihipStream_tbDpT10_ENKUlT_T0_E_clISt17integral_constantIbLb0EES1A_EEDaS15_S16_EUlS15_E_NS1_11comp_targetILNS1_3genE9ELNS1_11target_archE1100ELNS1_3gpuE3ELNS1_3repE0EEENS1_30default_config_static_selectorELNS0_4arch9wavefront6targetE1EEEvT1_,"axG",@progbits,_ZN7rocprim17ROCPRIM_400000_NS6detail17trampoline_kernelINS0_14default_configENS1_25partition_config_selectorILNS1_17partition_subalgoE9EllbEEZZNS1_14partition_implILS5_9ELb0ES3_jPlS8_PNS0_10empty_typeENS0_5tupleIJS8_S9_EEENSB_IJS8_SA_EEENS0_18inequality_wrapperIZN2at6native12_GLOBAL__N_124unique_dim_cuda_templateIjEESt5tupleIJNSF_6TensorESK_SK_EERKSK_lbbbEUlllE0_EEPmJS9_EEE10hipError_tPvRmT3_T4_T5_T6_T7_T9_mT8_P12ihipStream_tbDpT10_ENKUlT_T0_E_clISt17integral_constantIbLb0EES1A_EEDaS15_S16_EUlS15_E_NS1_11comp_targetILNS1_3genE9ELNS1_11target_archE1100ELNS1_3gpuE3ELNS1_3repE0EEENS1_30default_config_static_selectorELNS0_4arch9wavefront6targetE1EEEvT1_,comdat
	.globl	_ZN7rocprim17ROCPRIM_400000_NS6detail17trampoline_kernelINS0_14default_configENS1_25partition_config_selectorILNS1_17partition_subalgoE9EllbEEZZNS1_14partition_implILS5_9ELb0ES3_jPlS8_PNS0_10empty_typeENS0_5tupleIJS8_S9_EEENSB_IJS8_SA_EEENS0_18inequality_wrapperIZN2at6native12_GLOBAL__N_124unique_dim_cuda_templateIjEESt5tupleIJNSF_6TensorESK_SK_EERKSK_lbbbEUlllE0_EEPmJS9_EEE10hipError_tPvRmT3_T4_T5_T6_T7_T9_mT8_P12ihipStream_tbDpT10_ENKUlT_T0_E_clISt17integral_constantIbLb0EES1A_EEDaS15_S16_EUlS15_E_NS1_11comp_targetILNS1_3genE9ELNS1_11target_archE1100ELNS1_3gpuE3ELNS1_3repE0EEENS1_30default_config_static_selectorELNS0_4arch9wavefront6targetE1EEEvT1_ ; -- Begin function _ZN7rocprim17ROCPRIM_400000_NS6detail17trampoline_kernelINS0_14default_configENS1_25partition_config_selectorILNS1_17partition_subalgoE9EllbEEZZNS1_14partition_implILS5_9ELb0ES3_jPlS8_PNS0_10empty_typeENS0_5tupleIJS8_S9_EEENSB_IJS8_SA_EEENS0_18inequality_wrapperIZN2at6native12_GLOBAL__N_124unique_dim_cuda_templateIjEESt5tupleIJNSF_6TensorESK_SK_EERKSK_lbbbEUlllE0_EEPmJS9_EEE10hipError_tPvRmT3_T4_T5_T6_T7_T9_mT8_P12ihipStream_tbDpT10_ENKUlT_T0_E_clISt17integral_constantIbLb0EES1A_EEDaS15_S16_EUlS15_E_NS1_11comp_targetILNS1_3genE9ELNS1_11target_archE1100ELNS1_3gpuE3ELNS1_3repE0EEENS1_30default_config_static_selectorELNS0_4arch9wavefront6targetE1EEEvT1_
	.p2align	8
	.type	_ZN7rocprim17ROCPRIM_400000_NS6detail17trampoline_kernelINS0_14default_configENS1_25partition_config_selectorILNS1_17partition_subalgoE9EllbEEZZNS1_14partition_implILS5_9ELb0ES3_jPlS8_PNS0_10empty_typeENS0_5tupleIJS8_S9_EEENSB_IJS8_SA_EEENS0_18inequality_wrapperIZN2at6native12_GLOBAL__N_124unique_dim_cuda_templateIjEESt5tupleIJNSF_6TensorESK_SK_EERKSK_lbbbEUlllE0_EEPmJS9_EEE10hipError_tPvRmT3_T4_T5_T6_T7_T9_mT8_P12ihipStream_tbDpT10_ENKUlT_T0_E_clISt17integral_constantIbLb0EES1A_EEDaS15_S16_EUlS15_E_NS1_11comp_targetILNS1_3genE9ELNS1_11target_archE1100ELNS1_3gpuE3ELNS1_3repE0EEENS1_30default_config_static_selectorELNS0_4arch9wavefront6targetE1EEEvT1_,@function
_ZN7rocprim17ROCPRIM_400000_NS6detail17trampoline_kernelINS0_14default_configENS1_25partition_config_selectorILNS1_17partition_subalgoE9EllbEEZZNS1_14partition_implILS5_9ELb0ES3_jPlS8_PNS0_10empty_typeENS0_5tupleIJS8_S9_EEENSB_IJS8_SA_EEENS0_18inequality_wrapperIZN2at6native12_GLOBAL__N_124unique_dim_cuda_templateIjEESt5tupleIJNSF_6TensorESK_SK_EERKSK_lbbbEUlllE0_EEPmJS9_EEE10hipError_tPvRmT3_T4_T5_T6_T7_T9_mT8_P12ihipStream_tbDpT10_ENKUlT_T0_E_clISt17integral_constantIbLb0EES1A_EEDaS15_S16_EUlS15_E_NS1_11comp_targetILNS1_3genE9ELNS1_11target_archE1100ELNS1_3gpuE3ELNS1_3repE0EEENS1_30default_config_static_selectorELNS0_4arch9wavefront6targetE1EEEvT1_: ; @_ZN7rocprim17ROCPRIM_400000_NS6detail17trampoline_kernelINS0_14default_configENS1_25partition_config_selectorILNS1_17partition_subalgoE9EllbEEZZNS1_14partition_implILS5_9ELb0ES3_jPlS8_PNS0_10empty_typeENS0_5tupleIJS8_S9_EEENSB_IJS8_SA_EEENS0_18inequality_wrapperIZN2at6native12_GLOBAL__N_124unique_dim_cuda_templateIjEESt5tupleIJNSF_6TensorESK_SK_EERKSK_lbbbEUlllE0_EEPmJS9_EEE10hipError_tPvRmT3_T4_T5_T6_T7_T9_mT8_P12ihipStream_tbDpT10_ENKUlT_T0_E_clISt17integral_constantIbLb0EES1A_EEDaS15_S16_EUlS15_E_NS1_11comp_targetILNS1_3genE9ELNS1_11target_archE1100ELNS1_3gpuE3ELNS1_3repE0EEENS1_30default_config_static_selectorELNS0_4arch9wavefront6targetE1EEEvT1_
; %bb.0:
	.section	.rodata,"a",@progbits
	.p2align	6, 0x0
	.amdhsa_kernel _ZN7rocprim17ROCPRIM_400000_NS6detail17trampoline_kernelINS0_14default_configENS1_25partition_config_selectorILNS1_17partition_subalgoE9EllbEEZZNS1_14partition_implILS5_9ELb0ES3_jPlS8_PNS0_10empty_typeENS0_5tupleIJS8_S9_EEENSB_IJS8_SA_EEENS0_18inequality_wrapperIZN2at6native12_GLOBAL__N_124unique_dim_cuda_templateIjEESt5tupleIJNSF_6TensorESK_SK_EERKSK_lbbbEUlllE0_EEPmJS9_EEE10hipError_tPvRmT3_T4_T5_T6_T7_T9_mT8_P12ihipStream_tbDpT10_ENKUlT_T0_E_clISt17integral_constantIbLb0EES1A_EEDaS15_S16_EUlS15_E_NS1_11comp_targetILNS1_3genE9ELNS1_11target_archE1100ELNS1_3gpuE3ELNS1_3repE0EEENS1_30default_config_static_selectorELNS0_4arch9wavefront6targetE1EEEvT1_
		.amdhsa_group_segment_fixed_size 0
		.amdhsa_private_segment_fixed_size 0
		.amdhsa_kernarg_size 120
		.amdhsa_user_sgpr_count 6
		.amdhsa_user_sgpr_private_segment_buffer 1
		.amdhsa_user_sgpr_dispatch_ptr 0
		.amdhsa_user_sgpr_queue_ptr 0
		.amdhsa_user_sgpr_kernarg_segment_ptr 1
		.amdhsa_user_sgpr_dispatch_id 0
		.amdhsa_user_sgpr_flat_scratch_init 0
		.amdhsa_user_sgpr_kernarg_preload_length 0
		.amdhsa_user_sgpr_kernarg_preload_offset 0
		.amdhsa_user_sgpr_private_segment_size 0
		.amdhsa_uses_dynamic_stack 0
		.amdhsa_system_sgpr_private_segment_wavefront_offset 0
		.amdhsa_system_sgpr_workgroup_id_x 1
		.amdhsa_system_sgpr_workgroup_id_y 0
		.amdhsa_system_sgpr_workgroup_id_z 0
		.amdhsa_system_sgpr_workgroup_info 0
		.amdhsa_system_vgpr_workitem_id 0
		.amdhsa_next_free_vgpr 1
		.amdhsa_next_free_sgpr 0
		.amdhsa_accum_offset 4
		.amdhsa_reserve_vcc 0
		.amdhsa_reserve_flat_scratch 0
		.amdhsa_float_round_mode_32 0
		.amdhsa_float_round_mode_16_64 0
		.amdhsa_float_denorm_mode_32 3
		.amdhsa_float_denorm_mode_16_64 3
		.amdhsa_dx10_clamp 1
		.amdhsa_ieee_mode 1
		.amdhsa_fp16_overflow 0
		.amdhsa_tg_split 0
		.amdhsa_exception_fp_ieee_invalid_op 0
		.amdhsa_exception_fp_denorm_src 0
		.amdhsa_exception_fp_ieee_div_zero 0
		.amdhsa_exception_fp_ieee_overflow 0
		.amdhsa_exception_fp_ieee_underflow 0
		.amdhsa_exception_fp_ieee_inexact 0
		.amdhsa_exception_int_div_zero 0
	.end_amdhsa_kernel
	.section	.text._ZN7rocprim17ROCPRIM_400000_NS6detail17trampoline_kernelINS0_14default_configENS1_25partition_config_selectorILNS1_17partition_subalgoE9EllbEEZZNS1_14partition_implILS5_9ELb0ES3_jPlS8_PNS0_10empty_typeENS0_5tupleIJS8_S9_EEENSB_IJS8_SA_EEENS0_18inequality_wrapperIZN2at6native12_GLOBAL__N_124unique_dim_cuda_templateIjEESt5tupleIJNSF_6TensorESK_SK_EERKSK_lbbbEUlllE0_EEPmJS9_EEE10hipError_tPvRmT3_T4_T5_T6_T7_T9_mT8_P12ihipStream_tbDpT10_ENKUlT_T0_E_clISt17integral_constantIbLb0EES1A_EEDaS15_S16_EUlS15_E_NS1_11comp_targetILNS1_3genE9ELNS1_11target_archE1100ELNS1_3gpuE3ELNS1_3repE0EEENS1_30default_config_static_selectorELNS0_4arch9wavefront6targetE1EEEvT1_,"axG",@progbits,_ZN7rocprim17ROCPRIM_400000_NS6detail17trampoline_kernelINS0_14default_configENS1_25partition_config_selectorILNS1_17partition_subalgoE9EllbEEZZNS1_14partition_implILS5_9ELb0ES3_jPlS8_PNS0_10empty_typeENS0_5tupleIJS8_S9_EEENSB_IJS8_SA_EEENS0_18inequality_wrapperIZN2at6native12_GLOBAL__N_124unique_dim_cuda_templateIjEESt5tupleIJNSF_6TensorESK_SK_EERKSK_lbbbEUlllE0_EEPmJS9_EEE10hipError_tPvRmT3_T4_T5_T6_T7_T9_mT8_P12ihipStream_tbDpT10_ENKUlT_T0_E_clISt17integral_constantIbLb0EES1A_EEDaS15_S16_EUlS15_E_NS1_11comp_targetILNS1_3genE9ELNS1_11target_archE1100ELNS1_3gpuE3ELNS1_3repE0EEENS1_30default_config_static_selectorELNS0_4arch9wavefront6targetE1EEEvT1_,comdat
.Lfunc_end1577:
	.size	_ZN7rocprim17ROCPRIM_400000_NS6detail17trampoline_kernelINS0_14default_configENS1_25partition_config_selectorILNS1_17partition_subalgoE9EllbEEZZNS1_14partition_implILS5_9ELb0ES3_jPlS8_PNS0_10empty_typeENS0_5tupleIJS8_S9_EEENSB_IJS8_SA_EEENS0_18inequality_wrapperIZN2at6native12_GLOBAL__N_124unique_dim_cuda_templateIjEESt5tupleIJNSF_6TensorESK_SK_EERKSK_lbbbEUlllE0_EEPmJS9_EEE10hipError_tPvRmT3_T4_T5_T6_T7_T9_mT8_P12ihipStream_tbDpT10_ENKUlT_T0_E_clISt17integral_constantIbLb0EES1A_EEDaS15_S16_EUlS15_E_NS1_11comp_targetILNS1_3genE9ELNS1_11target_archE1100ELNS1_3gpuE3ELNS1_3repE0EEENS1_30default_config_static_selectorELNS0_4arch9wavefront6targetE1EEEvT1_, .Lfunc_end1577-_ZN7rocprim17ROCPRIM_400000_NS6detail17trampoline_kernelINS0_14default_configENS1_25partition_config_selectorILNS1_17partition_subalgoE9EllbEEZZNS1_14partition_implILS5_9ELb0ES3_jPlS8_PNS0_10empty_typeENS0_5tupleIJS8_S9_EEENSB_IJS8_SA_EEENS0_18inequality_wrapperIZN2at6native12_GLOBAL__N_124unique_dim_cuda_templateIjEESt5tupleIJNSF_6TensorESK_SK_EERKSK_lbbbEUlllE0_EEPmJS9_EEE10hipError_tPvRmT3_T4_T5_T6_T7_T9_mT8_P12ihipStream_tbDpT10_ENKUlT_T0_E_clISt17integral_constantIbLb0EES1A_EEDaS15_S16_EUlS15_E_NS1_11comp_targetILNS1_3genE9ELNS1_11target_archE1100ELNS1_3gpuE3ELNS1_3repE0EEENS1_30default_config_static_selectorELNS0_4arch9wavefront6targetE1EEEvT1_
                                        ; -- End function
	.section	.AMDGPU.csdata,"",@progbits
; Kernel info:
; codeLenInByte = 0
; NumSgprs: 4
; NumVgprs: 0
; NumAgprs: 0
; TotalNumVgprs: 0
; ScratchSize: 0
; MemoryBound: 0
; FloatMode: 240
; IeeeMode: 1
; LDSByteSize: 0 bytes/workgroup (compile time only)
; SGPRBlocks: 0
; VGPRBlocks: 0
; NumSGPRsForWavesPerEU: 4
; NumVGPRsForWavesPerEU: 1
; AccumOffset: 4
; Occupancy: 8
; WaveLimiterHint : 0
; COMPUTE_PGM_RSRC2:SCRATCH_EN: 0
; COMPUTE_PGM_RSRC2:USER_SGPR: 6
; COMPUTE_PGM_RSRC2:TRAP_HANDLER: 0
; COMPUTE_PGM_RSRC2:TGID_X_EN: 1
; COMPUTE_PGM_RSRC2:TGID_Y_EN: 0
; COMPUTE_PGM_RSRC2:TGID_Z_EN: 0
; COMPUTE_PGM_RSRC2:TIDIG_COMP_CNT: 0
; COMPUTE_PGM_RSRC3_GFX90A:ACCUM_OFFSET: 0
; COMPUTE_PGM_RSRC3_GFX90A:TG_SPLIT: 0
	.section	.text._ZN7rocprim17ROCPRIM_400000_NS6detail17trampoline_kernelINS0_14default_configENS1_25partition_config_selectorILNS1_17partition_subalgoE9EllbEEZZNS1_14partition_implILS5_9ELb0ES3_jPlS8_PNS0_10empty_typeENS0_5tupleIJS8_S9_EEENSB_IJS8_SA_EEENS0_18inequality_wrapperIZN2at6native12_GLOBAL__N_124unique_dim_cuda_templateIjEESt5tupleIJNSF_6TensorESK_SK_EERKSK_lbbbEUlllE0_EEPmJS9_EEE10hipError_tPvRmT3_T4_T5_T6_T7_T9_mT8_P12ihipStream_tbDpT10_ENKUlT_T0_E_clISt17integral_constantIbLb0EES1A_EEDaS15_S16_EUlS15_E_NS1_11comp_targetILNS1_3genE8ELNS1_11target_archE1030ELNS1_3gpuE2ELNS1_3repE0EEENS1_30default_config_static_selectorELNS0_4arch9wavefront6targetE1EEEvT1_,"axG",@progbits,_ZN7rocprim17ROCPRIM_400000_NS6detail17trampoline_kernelINS0_14default_configENS1_25partition_config_selectorILNS1_17partition_subalgoE9EllbEEZZNS1_14partition_implILS5_9ELb0ES3_jPlS8_PNS0_10empty_typeENS0_5tupleIJS8_S9_EEENSB_IJS8_SA_EEENS0_18inequality_wrapperIZN2at6native12_GLOBAL__N_124unique_dim_cuda_templateIjEESt5tupleIJNSF_6TensorESK_SK_EERKSK_lbbbEUlllE0_EEPmJS9_EEE10hipError_tPvRmT3_T4_T5_T6_T7_T9_mT8_P12ihipStream_tbDpT10_ENKUlT_T0_E_clISt17integral_constantIbLb0EES1A_EEDaS15_S16_EUlS15_E_NS1_11comp_targetILNS1_3genE8ELNS1_11target_archE1030ELNS1_3gpuE2ELNS1_3repE0EEENS1_30default_config_static_selectorELNS0_4arch9wavefront6targetE1EEEvT1_,comdat
	.globl	_ZN7rocprim17ROCPRIM_400000_NS6detail17trampoline_kernelINS0_14default_configENS1_25partition_config_selectorILNS1_17partition_subalgoE9EllbEEZZNS1_14partition_implILS5_9ELb0ES3_jPlS8_PNS0_10empty_typeENS0_5tupleIJS8_S9_EEENSB_IJS8_SA_EEENS0_18inequality_wrapperIZN2at6native12_GLOBAL__N_124unique_dim_cuda_templateIjEESt5tupleIJNSF_6TensorESK_SK_EERKSK_lbbbEUlllE0_EEPmJS9_EEE10hipError_tPvRmT3_T4_T5_T6_T7_T9_mT8_P12ihipStream_tbDpT10_ENKUlT_T0_E_clISt17integral_constantIbLb0EES1A_EEDaS15_S16_EUlS15_E_NS1_11comp_targetILNS1_3genE8ELNS1_11target_archE1030ELNS1_3gpuE2ELNS1_3repE0EEENS1_30default_config_static_selectorELNS0_4arch9wavefront6targetE1EEEvT1_ ; -- Begin function _ZN7rocprim17ROCPRIM_400000_NS6detail17trampoline_kernelINS0_14default_configENS1_25partition_config_selectorILNS1_17partition_subalgoE9EllbEEZZNS1_14partition_implILS5_9ELb0ES3_jPlS8_PNS0_10empty_typeENS0_5tupleIJS8_S9_EEENSB_IJS8_SA_EEENS0_18inequality_wrapperIZN2at6native12_GLOBAL__N_124unique_dim_cuda_templateIjEESt5tupleIJNSF_6TensorESK_SK_EERKSK_lbbbEUlllE0_EEPmJS9_EEE10hipError_tPvRmT3_T4_T5_T6_T7_T9_mT8_P12ihipStream_tbDpT10_ENKUlT_T0_E_clISt17integral_constantIbLb0EES1A_EEDaS15_S16_EUlS15_E_NS1_11comp_targetILNS1_3genE8ELNS1_11target_archE1030ELNS1_3gpuE2ELNS1_3repE0EEENS1_30default_config_static_selectorELNS0_4arch9wavefront6targetE1EEEvT1_
	.p2align	8
	.type	_ZN7rocprim17ROCPRIM_400000_NS6detail17trampoline_kernelINS0_14default_configENS1_25partition_config_selectorILNS1_17partition_subalgoE9EllbEEZZNS1_14partition_implILS5_9ELb0ES3_jPlS8_PNS0_10empty_typeENS0_5tupleIJS8_S9_EEENSB_IJS8_SA_EEENS0_18inequality_wrapperIZN2at6native12_GLOBAL__N_124unique_dim_cuda_templateIjEESt5tupleIJNSF_6TensorESK_SK_EERKSK_lbbbEUlllE0_EEPmJS9_EEE10hipError_tPvRmT3_T4_T5_T6_T7_T9_mT8_P12ihipStream_tbDpT10_ENKUlT_T0_E_clISt17integral_constantIbLb0EES1A_EEDaS15_S16_EUlS15_E_NS1_11comp_targetILNS1_3genE8ELNS1_11target_archE1030ELNS1_3gpuE2ELNS1_3repE0EEENS1_30default_config_static_selectorELNS0_4arch9wavefront6targetE1EEEvT1_,@function
_ZN7rocprim17ROCPRIM_400000_NS6detail17trampoline_kernelINS0_14default_configENS1_25partition_config_selectorILNS1_17partition_subalgoE9EllbEEZZNS1_14partition_implILS5_9ELb0ES3_jPlS8_PNS0_10empty_typeENS0_5tupleIJS8_S9_EEENSB_IJS8_SA_EEENS0_18inequality_wrapperIZN2at6native12_GLOBAL__N_124unique_dim_cuda_templateIjEESt5tupleIJNSF_6TensorESK_SK_EERKSK_lbbbEUlllE0_EEPmJS9_EEE10hipError_tPvRmT3_T4_T5_T6_T7_T9_mT8_P12ihipStream_tbDpT10_ENKUlT_T0_E_clISt17integral_constantIbLb0EES1A_EEDaS15_S16_EUlS15_E_NS1_11comp_targetILNS1_3genE8ELNS1_11target_archE1030ELNS1_3gpuE2ELNS1_3repE0EEENS1_30default_config_static_selectorELNS0_4arch9wavefront6targetE1EEEvT1_: ; @_ZN7rocprim17ROCPRIM_400000_NS6detail17trampoline_kernelINS0_14default_configENS1_25partition_config_selectorILNS1_17partition_subalgoE9EllbEEZZNS1_14partition_implILS5_9ELb0ES3_jPlS8_PNS0_10empty_typeENS0_5tupleIJS8_S9_EEENSB_IJS8_SA_EEENS0_18inequality_wrapperIZN2at6native12_GLOBAL__N_124unique_dim_cuda_templateIjEESt5tupleIJNSF_6TensorESK_SK_EERKSK_lbbbEUlllE0_EEPmJS9_EEE10hipError_tPvRmT3_T4_T5_T6_T7_T9_mT8_P12ihipStream_tbDpT10_ENKUlT_T0_E_clISt17integral_constantIbLb0EES1A_EEDaS15_S16_EUlS15_E_NS1_11comp_targetILNS1_3genE8ELNS1_11target_archE1030ELNS1_3gpuE2ELNS1_3repE0EEENS1_30default_config_static_selectorELNS0_4arch9wavefront6targetE1EEEvT1_
; %bb.0:
	.section	.rodata,"a",@progbits
	.p2align	6, 0x0
	.amdhsa_kernel _ZN7rocprim17ROCPRIM_400000_NS6detail17trampoline_kernelINS0_14default_configENS1_25partition_config_selectorILNS1_17partition_subalgoE9EllbEEZZNS1_14partition_implILS5_9ELb0ES3_jPlS8_PNS0_10empty_typeENS0_5tupleIJS8_S9_EEENSB_IJS8_SA_EEENS0_18inequality_wrapperIZN2at6native12_GLOBAL__N_124unique_dim_cuda_templateIjEESt5tupleIJNSF_6TensorESK_SK_EERKSK_lbbbEUlllE0_EEPmJS9_EEE10hipError_tPvRmT3_T4_T5_T6_T7_T9_mT8_P12ihipStream_tbDpT10_ENKUlT_T0_E_clISt17integral_constantIbLb0EES1A_EEDaS15_S16_EUlS15_E_NS1_11comp_targetILNS1_3genE8ELNS1_11target_archE1030ELNS1_3gpuE2ELNS1_3repE0EEENS1_30default_config_static_selectorELNS0_4arch9wavefront6targetE1EEEvT1_
		.amdhsa_group_segment_fixed_size 0
		.amdhsa_private_segment_fixed_size 0
		.amdhsa_kernarg_size 120
		.amdhsa_user_sgpr_count 6
		.amdhsa_user_sgpr_private_segment_buffer 1
		.amdhsa_user_sgpr_dispatch_ptr 0
		.amdhsa_user_sgpr_queue_ptr 0
		.amdhsa_user_sgpr_kernarg_segment_ptr 1
		.amdhsa_user_sgpr_dispatch_id 0
		.amdhsa_user_sgpr_flat_scratch_init 0
		.amdhsa_user_sgpr_kernarg_preload_length 0
		.amdhsa_user_sgpr_kernarg_preload_offset 0
		.amdhsa_user_sgpr_private_segment_size 0
		.amdhsa_uses_dynamic_stack 0
		.amdhsa_system_sgpr_private_segment_wavefront_offset 0
		.amdhsa_system_sgpr_workgroup_id_x 1
		.amdhsa_system_sgpr_workgroup_id_y 0
		.amdhsa_system_sgpr_workgroup_id_z 0
		.amdhsa_system_sgpr_workgroup_info 0
		.amdhsa_system_vgpr_workitem_id 0
		.amdhsa_next_free_vgpr 1
		.amdhsa_next_free_sgpr 0
		.amdhsa_accum_offset 4
		.amdhsa_reserve_vcc 0
		.amdhsa_reserve_flat_scratch 0
		.amdhsa_float_round_mode_32 0
		.amdhsa_float_round_mode_16_64 0
		.amdhsa_float_denorm_mode_32 3
		.amdhsa_float_denorm_mode_16_64 3
		.amdhsa_dx10_clamp 1
		.amdhsa_ieee_mode 1
		.amdhsa_fp16_overflow 0
		.amdhsa_tg_split 0
		.amdhsa_exception_fp_ieee_invalid_op 0
		.amdhsa_exception_fp_denorm_src 0
		.amdhsa_exception_fp_ieee_div_zero 0
		.amdhsa_exception_fp_ieee_overflow 0
		.amdhsa_exception_fp_ieee_underflow 0
		.amdhsa_exception_fp_ieee_inexact 0
		.amdhsa_exception_int_div_zero 0
	.end_amdhsa_kernel
	.section	.text._ZN7rocprim17ROCPRIM_400000_NS6detail17trampoline_kernelINS0_14default_configENS1_25partition_config_selectorILNS1_17partition_subalgoE9EllbEEZZNS1_14partition_implILS5_9ELb0ES3_jPlS8_PNS0_10empty_typeENS0_5tupleIJS8_S9_EEENSB_IJS8_SA_EEENS0_18inequality_wrapperIZN2at6native12_GLOBAL__N_124unique_dim_cuda_templateIjEESt5tupleIJNSF_6TensorESK_SK_EERKSK_lbbbEUlllE0_EEPmJS9_EEE10hipError_tPvRmT3_T4_T5_T6_T7_T9_mT8_P12ihipStream_tbDpT10_ENKUlT_T0_E_clISt17integral_constantIbLb0EES1A_EEDaS15_S16_EUlS15_E_NS1_11comp_targetILNS1_3genE8ELNS1_11target_archE1030ELNS1_3gpuE2ELNS1_3repE0EEENS1_30default_config_static_selectorELNS0_4arch9wavefront6targetE1EEEvT1_,"axG",@progbits,_ZN7rocprim17ROCPRIM_400000_NS6detail17trampoline_kernelINS0_14default_configENS1_25partition_config_selectorILNS1_17partition_subalgoE9EllbEEZZNS1_14partition_implILS5_9ELb0ES3_jPlS8_PNS0_10empty_typeENS0_5tupleIJS8_S9_EEENSB_IJS8_SA_EEENS0_18inequality_wrapperIZN2at6native12_GLOBAL__N_124unique_dim_cuda_templateIjEESt5tupleIJNSF_6TensorESK_SK_EERKSK_lbbbEUlllE0_EEPmJS9_EEE10hipError_tPvRmT3_T4_T5_T6_T7_T9_mT8_P12ihipStream_tbDpT10_ENKUlT_T0_E_clISt17integral_constantIbLb0EES1A_EEDaS15_S16_EUlS15_E_NS1_11comp_targetILNS1_3genE8ELNS1_11target_archE1030ELNS1_3gpuE2ELNS1_3repE0EEENS1_30default_config_static_selectorELNS0_4arch9wavefront6targetE1EEEvT1_,comdat
.Lfunc_end1578:
	.size	_ZN7rocprim17ROCPRIM_400000_NS6detail17trampoline_kernelINS0_14default_configENS1_25partition_config_selectorILNS1_17partition_subalgoE9EllbEEZZNS1_14partition_implILS5_9ELb0ES3_jPlS8_PNS0_10empty_typeENS0_5tupleIJS8_S9_EEENSB_IJS8_SA_EEENS0_18inequality_wrapperIZN2at6native12_GLOBAL__N_124unique_dim_cuda_templateIjEESt5tupleIJNSF_6TensorESK_SK_EERKSK_lbbbEUlllE0_EEPmJS9_EEE10hipError_tPvRmT3_T4_T5_T6_T7_T9_mT8_P12ihipStream_tbDpT10_ENKUlT_T0_E_clISt17integral_constantIbLb0EES1A_EEDaS15_S16_EUlS15_E_NS1_11comp_targetILNS1_3genE8ELNS1_11target_archE1030ELNS1_3gpuE2ELNS1_3repE0EEENS1_30default_config_static_selectorELNS0_4arch9wavefront6targetE1EEEvT1_, .Lfunc_end1578-_ZN7rocprim17ROCPRIM_400000_NS6detail17trampoline_kernelINS0_14default_configENS1_25partition_config_selectorILNS1_17partition_subalgoE9EllbEEZZNS1_14partition_implILS5_9ELb0ES3_jPlS8_PNS0_10empty_typeENS0_5tupleIJS8_S9_EEENSB_IJS8_SA_EEENS0_18inequality_wrapperIZN2at6native12_GLOBAL__N_124unique_dim_cuda_templateIjEESt5tupleIJNSF_6TensorESK_SK_EERKSK_lbbbEUlllE0_EEPmJS9_EEE10hipError_tPvRmT3_T4_T5_T6_T7_T9_mT8_P12ihipStream_tbDpT10_ENKUlT_T0_E_clISt17integral_constantIbLb0EES1A_EEDaS15_S16_EUlS15_E_NS1_11comp_targetILNS1_3genE8ELNS1_11target_archE1030ELNS1_3gpuE2ELNS1_3repE0EEENS1_30default_config_static_selectorELNS0_4arch9wavefront6targetE1EEEvT1_
                                        ; -- End function
	.section	.AMDGPU.csdata,"",@progbits
; Kernel info:
; codeLenInByte = 0
; NumSgprs: 4
; NumVgprs: 0
; NumAgprs: 0
; TotalNumVgprs: 0
; ScratchSize: 0
; MemoryBound: 0
; FloatMode: 240
; IeeeMode: 1
; LDSByteSize: 0 bytes/workgroup (compile time only)
; SGPRBlocks: 0
; VGPRBlocks: 0
; NumSGPRsForWavesPerEU: 4
; NumVGPRsForWavesPerEU: 1
; AccumOffset: 4
; Occupancy: 8
; WaveLimiterHint : 0
; COMPUTE_PGM_RSRC2:SCRATCH_EN: 0
; COMPUTE_PGM_RSRC2:USER_SGPR: 6
; COMPUTE_PGM_RSRC2:TRAP_HANDLER: 0
; COMPUTE_PGM_RSRC2:TGID_X_EN: 1
; COMPUTE_PGM_RSRC2:TGID_Y_EN: 0
; COMPUTE_PGM_RSRC2:TGID_Z_EN: 0
; COMPUTE_PGM_RSRC2:TIDIG_COMP_CNT: 0
; COMPUTE_PGM_RSRC3_GFX90A:ACCUM_OFFSET: 0
; COMPUTE_PGM_RSRC3_GFX90A:TG_SPLIT: 0
	.section	.text._ZN7rocprim17ROCPRIM_400000_NS6detail17trampoline_kernelINS0_14default_configENS1_25partition_config_selectorILNS1_17partition_subalgoE9EllbEEZZNS1_14partition_implILS5_9ELb0ES3_jPlS8_PNS0_10empty_typeENS0_5tupleIJS8_S9_EEENSB_IJS8_SA_EEENS0_18inequality_wrapperIZN2at6native12_GLOBAL__N_124unique_dim_cuda_templateIjEESt5tupleIJNSF_6TensorESK_SK_EERKSK_lbbbEUlllE0_EEPmJS9_EEE10hipError_tPvRmT3_T4_T5_T6_T7_T9_mT8_P12ihipStream_tbDpT10_ENKUlT_T0_E_clISt17integral_constantIbLb1EES1A_EEDaS15_S16_EUlS15_E_NS1_11comp_targetILNS1_3genE0ELNS1_11target_archE4294967295ELNS1_3gpuE0ELNS1_3repE0EEENS1_30default_config_static_selectorELNS0_4arch9wavefront6targetE1EEEvT1_,"axG",@progbits,_ZN7rocprim17ROCPRIM_400000_NS6detail17trampoline_kernelINS0_14default_configENS1_25partition_config_selectorILNS1_17partition_subalgoE9EllbEEZZNS1_14partition_implILS5_9ELb0ES3_jPlS8_PNS0_10empty_typeENS0_5tupleIJS8_S9_EEENSB_IJS8_SA_EEENS0_18inequality_wrapperIZN2at6native12_GLOBAL__N_124unique_dim_cuda_templateIjEESt5tupleIJNSF_6TensorESK_SK_EERKSK_lbbbEUlllE0_EEPmJS9_EEE10hipError_tPvRmT3_T4_T5_T6_T7_T9_mT8_P12ihipStream_tbDpT10_ENKUlT_T0_E_clISt17integral_constantIbLb1EES1A_EEDaS15_S16_EUlS15_E_NS1_11comp_targetILNS1_3genE0ELNS1_11target_archE4294967295ELNS1_3gpuE0ELNS1_3repE0EEENS1_30default_config_static_selectorELNS0_4arch9wavefront6targetE1EEEvT1_,comdat
	.globl	_ZN7rocprim17ROCPRIM_400000_NS6detail17trampoline_kernelINS0_14default_configENS1_25partition_config_selectorILNS1_17partition_subalgoE9EllbEEZZNS1_14partition_implILS5_9ELb0ES3_jPlS8_PNS0_10empty_typeENS0_5tupleIJS8_S9_EEENSB_IJS8_SA_EEENS0_18inequality_wrapperIZN2at6native12_GLOBAL__N_124unique_dim_cuda_templateIjEESt5tupleIJNSF_6TensorESK_SK_EERKSK_lbbbEUlllE0_EEPmJS9_EEE10hipError_tPvRmT3_T4_T5_T6_T7_T9_mT8_P12ihipStream_tbDpT10_ENKUlT_T0_E_clISt17integral_constantIbLb1EES1A_EEDaS15_S16_EUlS15_E_NS1_11comp_targetILNS1_3genE0ELNS1_11target_archE4294967295ELNS1_3gpuE0ELNS1_3repE0EEENS1_30default_config_static_selectorELNS0_4arch9wavefront6targetE1EEEvT1_ ; -- Begin function _ZN7rocprim17ROCPRIM_400000_NS6detail17trampoline_kernelINS0_14default_configENS1_25partition_config_selectorILNS1_17partition_subalgoE9EllbEEZZNS1_14partition_implILS5_9ELb0ES3_jPlS8_PNS0_10empty_typeENS0_5tupleIJS8_S9_EEENSB_IJS8_SA_EEENS0_18inequality_wrapperIZN2at6native12_GLOBAL__N_124unique_dim_cuda_templateIjEESt5tupleIJNSF_6TensorESK_SK_EERKSK_lbbbEUlllE0_EEPmJS9_EEE10hipError_tPvRmT3_T4_T5_T6_T7_T9_mT8_P12ihipStream_tbDpT10_ENKUlT_T0_E_clISt17integral_constantIbLb1EES1A_EEDaS15_S16_EUlS15_E_NS1_11comp_targetILNS1_3genE0ELNS1_11target_archE4294967295ELNS1_3gpuE0ELNS1_3repE0EEENS1_30default_config_static_selectorELNS0_4arch9wavefront6targetE1EEEvT1_
	.p2align	8
	.type	_ZN7rocprim17ROCPRIM_400000_NS6detail17trampoline_kernelINS0_14default_configENS1_25partition_config_selectorILNS1_17partition_subalgoE9EllbEEZZNS1_14partition_implILS5_9ELb0ES3_jPlS8_PNS0_10empty_typeENS0_5tupleIJS8_S9_EEENSB_IJS8_SA_EEENS0_18inequality_wrapperIZN2at6native12_GLOBAL__N_124unique_dim_cuda_templateIjEESt5tupleIJNSF_6TensorESK_SK_EERKSK_lbbbEUlllE0_EEPmJS9_EEE10hipError_tPvRmT3_T4_T5_T6_T7_T9_mT8_P12ihipStream_tbDpT10_ENKUlT_T0_E_clISt17integral_constantIbLb1EES1A_EEDaS15_S16_EUlS15_E_NS1_11comp_targetILNS1_3genE0ELNS1_11target_archE4294967295ELNS1_3gpuE0ELNS1_3repE0EEENS1_30default_config_static_selectorELNS0_4arch9wavefront6targetE1EEEvT1_,@function
_ZN7rocprim17ROCPRIM_400000_NS6detail17trampoline_kernelINS0_14default_configENS1_25partition_config_selectorILNS1_17partition_subalgoE9EllbEEZZNS1_14partition_implILS5_9ELb0ES3_jPlS8_PNS0_10empty_typeENS0_5tupleIJS8_S9_EEENSB_IJS8_SA_EEENS0_18inequality_wrapperIZN2at6native12_GLOBAL__N_124unique_dim_cuda_templateIjEESt5tupleIJNSF_6TensorESK_SK_EERKSK_lbbbEUlllE0_EEPmJS9_EEE10hipError_tPvRmT3_T4_T5_T6_T7_T9_mT8_P12ihipStream_tbDpT10_ENKUlT_T0_E_clISt17integral_constantIbLb1EES1A_EEDaS15_S16_EUlS15_E_NS1_11comp_targetILNS1_3genE0ELNS1_11target_archE4294967295ELNS1_3gpuE0ELNS1_3repE0EEENS1_30default_config_static_selectorELNS0_4arch9wavefront6targetE1EEEvT1_: ; @_ZN7rocprim17ROCPRIM_400000_NS6detail17trampoline_kernelINS0_14default_configENS1_25partition_config_selectorILNS1_17partition_subalgoE9EllbEEZZNS1_14partition_implILS5_9ELb0ES3_jPlS8_PNS0_10empty_typeENS0_5tupleIJS8_S9_EEENSB_IJS8_SA_EEENS0_18inequality_wrapperIZN2at6native12_GLOBAL__N_124unique_dim_cuda_templateIjEESt5tupleIJNSF_6TensorESK_SK_EERKSK_lbbbEUlllE0_EEPmJS9_EEE10hipError_tPvRmT3_T4_T5_T6_T7_T9_mT8_P12ihipStream_tbDpT10_ENKUlT_T0_E_clISt17integral_constantIbLb1EES1A_EEDaS15_S16_EUlS15_E_NS1_11comp_targetILNS1_3genE0ELNS1_11target_archE4294967295ELNS1_3gpuE0ELNS1_3repE0EEENS1_30default_config_static_selectorELNS0_4arch9wavefront6targetE1EEEvT1_
; %bb.0:
	.section	.rodata,"a",@progbits
	.p2align	6, 0x0
	.amdhsa_kernel _ZN7rocprim17ROCPRIM_400000_NS6detail17trampoline_kernelINS0_14default_configENS1_25partition_config_selectorILNS1_17partition_subalgoE9EllbEEZZNS1_14partition_implILS5_9ELb0ES3_jPlS8_PNS0_10empty_typeENS0_5tupleIJS8_S9_EEENSB_IJS8_SA_EEENS0_18inequality_wrapperIZN2at6native12_GLOBAL__N_124unique_dim_cuda_templateIjEESt5tupleIJNSF_6TensorESK_SK_EERKSK_lbbbEUlllE0_EEPmJS9_EEE10hipError_tPvRmT3_T4_T5_T6_T7_T9_mT8_P12ihipStream_tbDpT10_ENKUlT_T0_E_clISt17integral_constantIbLb1EES1A_EEDaS15_S16_EUlS15_E_NS1_11comp_targetILNS1_3genE0ELNS1_11target_archE4294967295ELNS1_3gpuE0ELNS1_3repE0EEENS1_30default_config_static_selectorELNS0_4arch9wavefront6targetE1EEEvT1_
		.amdhsa_group_segment_fixed_size 0
		.amdhsa_private_segment_fixed_size 0
		.amdhsa_kernarg_size 136
		.amdhsa_user_sgpr_count 6
		.amdhsa_user_sgpr_private_segment_buffer 1
		.amdhsa_user_sgpr_dispatch_ptr 0
		.amdhsa_user_sgpr_queue_ptr 0
		.amdhsa_user_sgpr_kernarg_segment_ptr 1
		.amdhsa_user_sgpr_dispatch_id 0
		.amdhsa_user_sgpr_flat_scratch_init 0
		.amdhsa_user_sgpr_kernarg_preload_length 0
		.amdhsa_user_sgpr_kernarg_preload_offset 0
		.amdhsa_user_sgpr_private_segment_size 0
		.amdhsa_uses_dynamic_stack 0
		.amdhsa_system_sgpr_private_segment_wavefront_offset 0
		.amdhsa_system_sgpr_workgroup_id_x 1
		.amdhsa_system_sgpr_workgroup_id_y 0
		.amdhsa_system_sgpr_workgroup_id_z 0
		.amdhsa_system_sgpr_workgroup_info 0
		.amdhsa_system_vgpr_workitem_id 0
		.amdhsa_next_free_vgpr 1
		.amdhsa_next_free_sgpr 0
		.amdhsa_accum_offset 4
		.amdhsa_reserve_vcc 0
		.amdhsa_reserve_flat_scratch 0
		.amdhsa_float_round_mode_32 0
		.amdhsa_float_round_mode_16_64 0
		.amdhsa_float_denorm_mode_32 3
		.amdhsa_float_denorm_mode_16_64 3
		.amdhsa_dx10_clamp 1
		.amdhsa_ieee_mode 1
		.amdhsa_fp16_overflow 0
		.amdhsa_tg_split 0
		.amdhsa_exception_fp_ieee_invalid_op 0
		.amdhsa_exception_fp_denorm_src 0
		.amdhsa_exception_fp_ieee_div_zero 0
		.amdhsa_exception_fp_ieee_overflow 0
		.amdhsa_exception_fp_ieee_underflow 0
		.amdhsa_exception_fp_ieee_inexact 0
		.amdhsa_exception_int_div_zero 0
	.end_amdhsa_kernel
	.section	.text._ZN7rocprim17ROCPRIM_400000_NS6detail17trampoline_kernelINS0_14default_configENS1_25partition_config_selectorILNS1_17partition_subalgoE9EllbEEZZNS1_14partition_implILS5_9ELb0ES3_jPlS8_PNS0_10empty_typeENS0_5tupleIJS8_S9_EEENSB_IJS8_SA_EEENS0_18inequality_wrapperIZN2at6native12_GLOBAL__N_124unique_dim_cuda_templateIjEESt5tupleIJNSF_6TensorESK_SK_EERKSK_lbbbEUlllE0_EEPmJS9_EEE10hipError_tPvRmT3_T4_T5_T6_T7_T9_mT8_P12ihipStream_tbDpT10_ENKUlT_T0_E_clISt17integral_constantIbLb1EES1A_EEDaS15_S16_EUlS15_E_NS1_11comp_targetILNS1_3genE0ELNS1_11target_archE4294967295ELNS1_3gpuE0ELNS1_3repE0EEENS1_30default_config_static_selectorELNS0_4arch9wavefront6targetE1EEEvT1_,"axG",@progbits,_ZN7rocprim17ROCPRIM_400000_NS6detail17trampoline_kernelINS0_14default_configENS1_25partition_config_selectorILNS1_17partition_subalgoE9EllbEEZZNS1_14partition_implILS5_9ELb0ES3_jPlS8_PNS0_10empty_typeENS0_5tupleIJS8_S9_EEENSB_IJS8_SA_EEENS0_18inequality_wrapperIZN2at6native12_GLOBAL__N_124unique_dim_cuda_templateIjEESt5tupleIJNSF_6TensorESK_SK_EERKSK_lbbbEUlllE0_EEPmJS9_EEE10hipError_tPvRmT3_T4_T5_T6_T7_T9_mT8_P12ihipStream_tbDpT10_ENKUlT_T0_E_clISt17integral_constantIbLb1EES1A_EEDaS15_S16_EUlS15_E_NS1_11comp_targetILNS1_3genE0ELNS1_11target_archE4294967295ELNS1_3gpuE0ELNS1_3repE0EEENS1_30default_config_static_selectorELNS0_4arch9wavefront6targetE1EEEvT1_,comdat
.Lfunc_end1579:
	.size	_ZN7rocprim17ROCPRIM_400000_NS6detail17trampoline_kernelINS0_14default_configENS1_25partition_config_selectorILNS1_17partition_subalgoE9EllbEEZZNS1_14partition_implILS5_9ELb0ES3_jPlS8_PNS0_10empty_typeENS0_5tupleIJS8_S9_EEENSB_IJS8_SA_EEENS0_18inequality_wrapperIZN2at6native12_GLOBAL__N_124unique_dim_cuda_templateIjEESt5tupleIJNSF_6TensorESK_SK_EERKSK_lbbbEUlllE0_EEPmJS9_EEE10hipError_tPvRmT3_T4_T5_T6_T7_T9_mT8_P12ihipStream_tbDpT10_ENKUlT_T0_E_clISt17integral_constantIbLb1EES1A_EEDaS15_S16_EUlS15_E_NS1_11comp_targetILNS1_3genE0ELNS1_11target_archE4294967295ELNS1_3gpuE0ELNS1_3repE0EEENS1_30default_config_static_selectorELNS0_4arch9wavefront6targetE1EEEvT1_, .Lfunc_end1579-_ZN7rocprim17ROCPRIM_400000_NS6detail17trampoline_kernelINS0_14default_configENS1_25partition_config_selectorILNS1_17partition_subalgoE9EllbEEZZNS1_14partition_implILS5_9ELb0ES3_jPlS8_PNS0_10empty_typeENS0_5tupleIJS8_S9_EEENSB_IJS8_SA_EEENS0_18inequality_wrapperIZN2at6native12_GLOBAL__N_124unique_dim_cuda_templateIjEESt5tupleIJNSF_6TensorESK_SK_EERKSK_lbbbEUlllE0_EEPmJS9_EEE10hipError_tPvRmT3_T4_T5_T6_T7_T9_mT8_P12ihipStream_tbDpT10_ENKUlT_T0_E_clISt17integral_constantIbLb1EES1A_EEDaS15_S16_EUlS15_E_NS1_11comp_targetILNS1_3genE0ELNS1_11target_archE4294967295ELNS1_3gpuE0ELNS1_3repE0EEENS1_30default_config_static_selectorELNS0_4arch9wavefront6targetE1EEEvT1_
                                        ; -- End function
	.section	.AMDGPU.csdata,"",@progbits
; Kernel info:
; codeLenInByte = 0
; NumSgprs: 4
; NumVgprs: 0
; NumAgprs: 0
; TotalNumVgprs: 0
; ScratchSize: 0
; MemoryBound: 0
; FloatMode: 240
; IeeeMode: 1
; LDSByteSize: 0 bytes/workgroup (compile time only)
; SGPRBlocks: 0
; VGPRBlocks: 0
; NumSGPRsForWavesPerEU: 4
; NumVGPRsForWavesPerEU: 1
; AccumOffset: 4
; Occupancy: 8
; WaveLimiterHint : 0
; COMPUTE_PGM_RSRC2:SCRATCH_EN: 0
; COMPUTE_PGM_RSRC2:USER_SGPR: 6
; COMPUTE_PGM_RSRC2:TRAP_HANDLER: 0
; COMPUTE_PGM_RSRC2:TGID_X_EN: 1
; COMPUTE_PGM_RSRC2:TGID_Y_EN: 0
; COMPUTE_PGM_RSRC2:TGID_Z_EN: 0
; COMPUTE_PGM_RSRC2:TIDIG_COMP_CNT: 0
; COMPUTE_PGM_RSRC3_GFX90A:ACCUM_OFFSET: 0
; COMPUTE_PGM_RSRC3_GFX90A:TG_SPLIT: 0
	.section	.text._ZN7rocprim17ROCPRIM_400000_NS6detail17trampoline_kernelINS0_14default_configENS1_25partition_config_selectorILNS1_17partition_subalgoE9EllbEEZZNS1_14partition_implILS5_9ELb0ES3_jPlS8_PNS0_10empty_typeENS0_5tupleIJS8_S9_EEENSB_IJS8_SA_EEENS0_18inequality_wrapperIZN2at6native12_GLOBAL__N_124unique_dim_cuda_templateIjEESt5tupleIJNSF_6TensorESK_SK_EERKSK_lbbbEUlllE0_EEPmJS9_EEE10hipError_tPvRmT3_T4_T5_T6_T7_T9_mT8_P12ihipStream_tbDpT10_ENKUlT_T0_E_clISt17integral_constantIbLb1EES1A_EEDaS15_S16_EUlS15_E_NS1_11comp_targetILNS1_3genE5ELNS1_11target_archE942ELNS1_3gpuE9ELNS1_3repE0EEENS1_30default_config_static_selectorELNS0_4arch9wavefront6targetE1EEEvT1_,"axG",@progbits,_ZN7rocprim17ROCPRIM_400000_NS6detail17trampoline_kernelINS0_14default_configENS1_25partition_config_selectorILNS1_17partition_subalgoE9EllbEEZZNS1_14partition_implILS5_9ELb0ES3_jPlS8_PNS0_10empty_typeENS0_5tupleIJS8_S9_EEENSB_IJS8_SA_EEENS0_18inequality_wrapperIZN2at6native12_GLOBAL__N_124unique_dim_cuda_templateIjEESt5tupleIJNSF_6TensorESK_SK_EERKSK_lbbbEUlllE0_EEPmJS9_EEE10hipError_tPvRmT3_T4_T5_T6_T7_T9_mT8_P12ihipStream_tbDpT10_ENKUlT_T0_E_clISt17integral_constantIbLb1EES1A_EEDaS15_S16_EUlS15_E_NS1_11comp_targetILNS1_3genE5ELNS1_11target_archE942ELNS1_3gpuE9ELNS1_3repE0EEENS1_30default_config_static_selectorELNS0_4arch9wavefront6targetE1EEEvT1_,comdat
	.globl	_ZN7rocprim17ROCPRIM_400000_NS6detail17trampoline_kernelINS0_14default_configENS1_25partition_config_selectorILNS1_17partition_subalgoE9EllbEEZZNS1_14partition_implILS5_9ELb0ES3_jPlS8_PNS0_10empty_typeENS0_5tupleIJS8_S9_EEENSB_IJS8_SA_EEENS0_18inequality_wrapperIZN2at6native12_GLOBAL__N_124unique_dim_cuda_templateIjEESt5tupleIJNSF_6TensorESK_SK_EERKSK_lbbbEUlllE0_EEPmJS9_EEE10hipError_tPvRmT3_T4_T5_T6_T7_T9_mT8_P12ihipStream_tbDpT10_ENKUlT_T0_E_clISt17integral_constantIbLb1EES1A_EEDaS15_S16_EUlS15_E_NS1_11comp_targetILNS1_3genE5ELNS1_11target_archE942ELNS1_3gpuE9ELNS1_3repE0EEENS1_30default_config_static_selectorELNS0_4arch9wavefront6targetE1EEEvT1_ ; -- Begin function _ZN7rocprim17ROCPRIM_400000_NS6detail17trampoline_kernelINS0_14default_configENS1_25partition_config_selectorILNS1_17partition_subalgoE9EllbEEZZNS1_14partition_implILS5_9ELb0ES3_jPlS8_PNS0_10empty_typeENS0_5tupleIJS8_S9_EEENSB_IJS8_SA_EEENS0_18inequality_wrapperIZN2at6native12_GLOBAL__N_124unique_dim_cuda_templateIjEESt5tupleIJNSF_6TensorESK_SK_EERKSK_lbbbEUlllE0_EEPmJS9_EEE10hipError_tPvRmT3_T4_T5_T6_T7_T9_mT8_P12ihipStream_tbDpT10_ENKUlT_T0_E_clISt17integral_constantIbLb1EES1A_EEDaS15_S16_EUlS15_E_NS1_11comp_targetILNS1_3genE5ELNS1_11target_archE942ELNS1_3gpuE9ELNS1_3repE0EEENS1_30default_config_static_selectorELNS0_4arch9wavefront6targetE1EEEvT1_
	.p2align	8
	.type	_ZN7rocprim17ROCPRIM_400000_NS6detail17trampoline_kernelINS0_14default_configENS1_25partition_config_selectorILNS1_17partition_subalgoE9EllbEEZZNS1_14partition_implILS5_9ELb0ES3_jPlS8_PNS0_10empty_typeENS0_5tupleIJS8_S9_EEENSB_IJS8_SA_EEENS0_18inequality_wrapperIZN2at6native12_GLOBAL__N_124unique_dim_cuda_templateIjEESt5tupleIJNSF_6TensorESK_SK_EERKSK_lbbbEUlllE0_EEPmJS9_EEE10hipError_tPvRmT3_T4_T5_T6_T7_T9_mT8_P12ihipStream_tbDpT10_ENKUlT_T0_E_clISt17integral_constantIbLb1EES1A_EEDaS15_S16_EUlS15_E_NS1_11comp_targetILNS1_3genE5ELNS1_11target_archE942ELNS1_3gpuE9ELNS1_3repE0EEENS1_30default_config_static_selectorELNS0_4arch9wavefront6targetE1EEEvT1_,@function
_ZN7rocprim17ROCPRIM_400000_NS6detail17trampoline_kernelINS0_14default_configENS1_25partition_config_selectorILNS1_17partition_subalgoE9EllbEEZZNS1_14partition_implILS5_9ELb0ES3_jPlS8_PNS0_10empty_typeENS0_5tupleIJS8_S9_EEENSB_IJS8_SA_EEENS0_18inequality_wrapperIZN2at6native12_GLOBAL__N_124unique_dim_cuda_templateIjEESt5tupleIJNSF_6TensorESK_SK_EERKSK_lbbbEUlllE0_EEPmJS9_EEE10hipError_tPvRmT3_T4_T5_T6_T7_T9_mT8_P12ihipStream_tbDpT10_ENKUlT_T0_E_clISt17integral_constantIbLb1EES1A_EEDaS15_S16_EUlS15_E_NS1_11comp_targetILNS1_3genE5ELNS1_11target_archE942ELNS1_3gpuE9ELNS1_3repE0EEENS1_30default_config_static_selectorELNS0_4arch9wavefront6targetE1EEEvT1_: ; @_ZN7rocprim17ROCPRIM_400000_NS6detail17trampoline_kernelINS0_14default_configENS1_25partition_config_selectorILNS1_17partition_subalgoE9EllbEEZZNS1_14partition_implILS5_9ELb0ES3_jPlS8_PNS0_10empty_typeENS0_5tupleIJS8_S9_EEENSB_IJS8_SA_EEENS0_18inequality_wrapperIZN2at6native12_GLOBAL__N_124unique_dim_cuda_templateIjEESt5tupleIJNSF_6TensorESK_SK_EERKSK_lbbbEUlllE0_EEPmJS9_EEE10hipError_tPvRmT3_T4_T5_T6_T7_T9_mT8_P12ihipStream_tbDpT10_ENKUlT_T0_E_clISt17integral_constantIbLb1EES1A_EEDaS15_S16_EUlS15_E_NS1_11comp_targetILNS1_3genE5ELNS1_11target_archE942ELNS1_3gpuE9ELNS1_3repE0EEENS1_30default_config_static_selectorELNS0_4arch9wavefront6targetE1EEEvT1_
; %bb.0:
	.section	.rodata,"a",@progbits
	.p2align	6, 0x0
	.amdhsa_kernel _ZN7rocprim17ROCPRIM_400000_NS6detail17trampoline_kernelINS0_14default_configENS1_25partition_config_selectorILNS1_17partition_subalgoE9EllbEEZZNS1_14partition_implILS5_9ELb0ES3_jPlS8_PNS0_10empty_typeENS0_5tupleIJS8_S9_EEENSB_IJS8_SA_EEENS0_18inequality_wrapperIZN2at6native12_GLOBAL__N_124unique_dim_cuda_templateIjEESt5tupleIJNSF_6TensorESK_SK_EERKSK_lbbbEUlllE0_EEPmJS9_EEE10hipError_tPvRmT3_T4_T5_T6_T7_T9_mT8_P12ihipStream_tbDpT10_ENKUlT_T0_E_clISt17integral_constantIbLb1EES1A_EEDaS15_S16_EUlS15_E_NS1_11comp_targetILNS1_3genE5ELNS1_11target_archE942ELNS1_3gpuE9ELNS1_3repE0EEENS1_30default_config_static_selectorELNS0_4arch9wavefront6targetE1EEEvT1_
		.amdhsa_group_segment_fixed_size 0
		.amdhsa_private_segment_fixed_size 0
		.amdhsa_kernarg_size 136
		.amdhsa_user_sgpr_count 6
		.amdhsa_user_sgpr_private_segment_buffer 1
		.amdhsa_user_sgpr_dispatch_ptr 0
		.amdhsa_user_sgpr_queue_ptr 0
		.amdhsa_user_sgpr_kernarg_segment_ptr 1
		.amdhsa_user_sgpr_dispatch_id 0
		.amdhsa_user_sgpr_flat_scratch_init 0
		.amdhsa_user_sgpr_kernarg_preload_length 0
		.amdhsa_user_sgpr_kernarg_preload_offset 0
		.amdhsa_user_sgpr_private_segment_size 0
		.amdhsa_uses_dynamic_stack 0
		.amdhsa_system_sgpr_private_segment_wavefront_offset 0
		.amdhsa_system_sgpr_workgroup_id_x 1
		.amdhsa_system_sgpr_workgroup_id_y 0
		.amdhsa_system_sgpr_workgroup_id_z 0
		.amdhsa_system_sgpr_workgroup_info 0
		.amdhsa_system_vgpr_workitem_id 0
		.amdhsa_next_free_vgpr 1
		.amdhsa_next_free_sgpr 0
		.amdhsa_accum_offset 4
		.amdhsa_reserve_vcc 0
		.amdhsa_reserve_flat_scratch 0
		.amdhsa_float_round_mode_32 0
		.amdhsa_float_round_mode_16_64 0
		.amdhsa_float_denorm_mode_32 3
		.amdhsa_float_denorm_mode_16_64 3
		.amdhsa_dx10_clamp 1
		.amdhsa_ieee_mode 1
		.amdhsa_fp16_overflow 0
		.amdhsa_tg_split 0
		.amdhsa_exception_fp_ieee_invalid_op 0
		.amdhsa_exception_fp_denorm_src 0
		.amdhsa_exception_fp_ieee_div_zero 0
		.amdhsa_exception_fp_ieee_overflow 0
		.amdhsa_exception_fp_ieee_underflow 0
		.amdhsa_exception_fp_ieee_inexact 0
		.amdhsa_exception_int_div_zero 0
	.end_amdhsa_kernel
	.section	.text._ZN7rocprim17ROCPRIM_400000_NS6detail17trampoline_kernelINS0_14default_configENS1_25partition_config_selectorILNS1_17partition_subalgoE9EllbEEZZNS1_14partition_implILS5_9ELb0ES3_jPlS8_PNS0_10empty_typeENS0_5tupleIJS8_S9_EEENSB_IJS8_SA_EEENS0_18inequality_wrapperIZN2at6native12_GLOBAL__N_124unique_dim_cuda_templateIjEESt5tupleIJNSF_6TensorESK_SK_EERKSK_lbbbEUlllE0_EEPmJS9_EEE10hipError_tPvRmT3_T4_T5_T6_T7_T9_mT8_P12ihipStream_tbDpT10_ENKUlT_T0_E_clISt17integral_constantIbLb1EES1A_EEDaS15_S16_EUlS15_E_NS1_11comp_targetILNS1_3genE5ELNS1_11target_archE942ELNS1_3gpuE9ELNS1_3repE0EEENS1_30default_config_static_selectorELNS0_4arch9wavefront6targetE1EEEvT1_,"axG",@progbits,_ZN7rocprim17ROCPRIM_400000_NS6detail17trampoline_kernelINS0_14default_configENS1_25partition_config_selectorILNS1_17partition_subalgoE9EllbEEZZNS1_14partition_implILS5_9ELb0ES3_jPlS8_PNS0_10empty_typeENS0_5tupleIJS8_S9_EEENSB_IJS8_SA_EEENS0_18inequality_wrapperIZN2at6native12_GLOBAL__N_124unique_dim_cuda_templateIjEESt5tupleIJNSF_6TensorESK_SK_EERKSK_lbbbEUlllE0_EEPmJS9_EEE10hipError_tPvRmT3_T4_T5_T6_T7_T9_mT8_P12ihipStream_tbDpT10_ENKUlT_T0_E_clISt17integral_constantIbLb1EES1A_EEDaS15_S16_EUlS15_E_NS1_11comp_targetILNS1_3genE5ELNS1_11target_archE942ELNS1_3gpuE9ELNS1_3repE0EEENS1_30default_config_static_selectorELNS0_4arch9wavefront6targetE1EEEvT1_,comdat
.Lfunc_end1580:
	.size	_ZN7rocprim17ROCPRIM_400000_NS6detail17trampoline_kernelINS0_14default_configENS1_25partition_config_selectorILNS1_17partition_subalgoE9EllbEEZZNS1_14partition_implILS5_9ELb0ES3_jPlS8_PNS0_10empty_typeENS0_5tupleIJS8_S9_EEENSB_IJS8_SA_EEENS0_18inequality_wrapperIZN2at6native12_GLOBAL__N_124unique_dim_cuda_templateIjEESt5tupleIJNSF_6TensorESK_SK_EERKSK_lbbbEUlllE0_EEPmJS9_EEE10hipError_tPvRmT3_T4_T5_T6_T7_T9_mT8_P12ihipStream_tbDpT10_ENKUlT_T0_E_clISt17integral_constantIbLb1EES1A_EEDaS15_S16_EUlS15_E_NS1_11comp_targetILNS1_3genE5ELNS1_11target_archE942ELNS1_3gpuE9ELNS1_3repE0EEENS1_30default_config_static_selectorELNS0_4arch9wavefront6targetE1EEEvT1_, .Lfunc_end1580-_ZN7rocprim17ROCPRIM_400000_NS6detail17trampoline_kernelINS0_14default_configENS1_25partition_config_selectorILNS1_17partition_subalgoE9EllbEEZZNS1_14partition_implILS5_9ELb0ES3_jPlS8_PNS0_10empty_typeENS0_5tupleIJS8_S9_EEENSB_IJS8_SA_EEENS0_18inequality_wrapperIZN2at6native12_GLOBAL__N_124unique_dim_cuda_templateIjEESt5tupleIJNSF_6TensorESK_SK_EERKSK_lbbbEUlllE0_EEPmJS9_EEE10hipError_tPvRmT3_T4_T5_T6_T7_T9_mT8_P12ihipStream_tbDpT10_ENKUlT_T0_E_clISt17integral_constantIbLb1EES1A_EEDaS15_S16_EUlS15_E_NS1_11comp_targetILNS1_3genE5ELNS1_11target_archE942ELNS1_3gpuE9ELNS1_3repE0EEENS1_30default_config_static_selectorELNS0_4arch9wavefront6targetE1EEEvT1_
                                        ; -- End function
	.section	.AMDGPU.csdata,"",@progbits
; Kernel info:
; codeLenInByte = 0
; NumSgprs: 4
; NumVgprs: 0
; NumAgprs: 0
; TotalNumVgprs: 0
; ScratchSize: 0
; MemoryBound: 0
; FloatMode: 240
; IeeeMode: 1
; LDSByteSize: 0 bytes/workgroup (compile time only)
; SGPRBlocks: 0
; VGPRBlocks: 0
; NumSGPRsForWavesPerEU: 4
; NumVGPRsForWavesPerEU: 1
; AccumOffset: 4
; Occupancy: 8
; WaveLimiterHint : 0
; COMPUTE_PGM_RSRC2:SCRATCH_EN: 0
; COMPUTE_PGM_RSRC2:USER_SGPR: 6
; COMPUTE_PGM_RSRC2:TRAP_HANDLER: 0
; COMPUTE_PGM_RSRC2:TGID_X_EN: 1
; COMPUTE_PGM_RSRC2:TGID_Y_EN: 0
; COMPUTE_PGM_RSRC2:TGID_Z_EN: 0
; COMPUTE_PGM_RSRC2:TIDIG_COMP_CNT: 0
; COMPUTE_PGM_RSRC3_GFX90A:ACCUM_OFFSET: 0
; COMPUTE_PGM_RSRC3_GFX90A:TG_SPLIT: 0
	.section	.text._ZN7rocprim17ROCPRIM_400000_NS6detail17trampoline_kernelINS0_14default_configENS1_25partition_config_selectorILNS1_17partition_subalgoE9EllbEEZZNS1_14partition_implILS5_9ELb0ES3_jPlS8_PNS0_10empty_typeENS0_5tupleIJS8_S9_EEENSB_IJS8_SA_EEENS0_18inequality_wrapperIZN2at6native12_GLOBAL__N_124unique_dim_cuda_templateIjEESt5tupleIJNSF_6TensorESK_SK_EERKSK_lbbbEUlllE0_EEPmJS9_EEE10hipError_tPvRmT3_T4_T5_T6_T7_T9_mT8_P12ihipStream_tbDpT10_ENKUlT_T0_E_clISt17integral_constantIbLb1EES1A_EEDaS15_S16_EUlS15_E_NS1_11comp_targetILNS1_3genE4ELNS1_11target_archE910ELNS1_3gpuE8ELNS1_3repE0EEENS1_30default_config_static_selectorELNS0_4arch9wavefront6targetE1EEEvT1_,"axG",@progbits,_ZN7rocprim17ROCPRIM_400000_NS6detail17trampoline_kernelINS0_14default_configENS1_25partition_config_selectorILNS1_17partition_subalgoE9EllbEEZZNS1_14partition_implILS5_9ELb0ES3_jPlS8_PNS0_10empty_typeENS0_5tupleIJS8_S9_EEENSB_IJS8_SA_EEENS0_18inequality_wrapperIZN2at6native12_GLOBAL__N_124unique_dim_cuda_templateIjEESt5tupleIJNSF_6TensorESK_SK_EERKSK_lbbbEUlllE0_EEPmJS9_EEE10hipError_tPvRmT3_T4_T5_T6_T7_T9_mT8_P12ihipStream_tbDpT10_ENKUlT_T0_E_clISt17integral_constantIbLb1EES1A_EEDaS15_S16_EUlS15_E_NS1_11comp_targetILNS1_3genE4ELNS1_11target_archE910ELNS1_3gpuE8ELNS1_3repE0EEENS1_30default_config_static_selectorELNS0_4arch9wavefront6targetE1EEEvT1_,comdat
	.globl	_ZN7rocprim17ROCPRIM_400000_NS6detail17trampoline_kernelINS0_14default_configENS1_25partition_config_selectorILNS1_17partition_subalgoE9EllbEEZZNS1_14partition_implILS5_9ELb0ES3_jPlS8_PNS0_10empty_typeENS0_5tupleIJS8_S9_EEENSB_IJS8_SA_EEENS0_18inequality_wrapperIZN2at6native12_GLOBAL__N_124unique_dim_cuda_templateIjEESt5tupleIJNSF_6TensorESK_SK_EERKSK_lbbbEUlllE0_EEPmJS9_EEE10hipError_tPvRmT3_T4_T5_T6_T7_T9_mT8_P12ihipStream_tbDpT10_ENKUlT_T0_E_clISt17integral_constantIbLb1EES1A_EEDaS15_S16_EUlS15_E_NS1_11comp_targetILNS1_3genE4ELNS1_11target_archE910ELNS1_3gpuE8ELNS1_3repE0EEENS1_30default_config_static_selectorELNS0_4arch9wavefront6targetE1EEEvT1_ ; -- Begin function _ZN7rocprim17ROCPRIM_400000_NS6detail17trampoline_kernelINS0_14default_configENS1_25partition_config_selectorILNS1_17partition_subalgoE9EllbEEZZNS1_14partition_implILS5_9ELb0ES3_jPlS8_PNS0_10empty_typeENS0_5tupleIJS8_S9_EEENSB_IJS8_SA_EEENS0_18inequality_wrapperIZN2at6native12_GLOBAL__N_124unique_dim_cuda_templateIjEESt5tupleIJNSF_6TensorESK_SK_EERKSK_lbbbEUlllE0_EEPmJS9_EEE10hipError_tPvRmT3_T4_T5_T6_T7_T9_mT8_P12ihipStream_tbDpT10_ENKUlT_T0_E_clISt17integral_constantIbLb1EES1A_EEDaS15_S16_EUlS15_E_NS1_11comp_targetILNS1_3genE4ELNS1_11target_archE910ELNS1_3gpuE8ELNS1_3repE0EEENS1_30default_config_static_selectorELNS0_4arch9wavefront6targetE1EEEvT1_
	.p2align	8
	.type	_ZN7rocprim17ROCPRIM_400000_NS6detail17trampoline_kernelINS0_14default_configENS1_25partition_config_selectorILNS1_17partition_subalgoE9EllbEEZZNS1_14partition_implILS5_9ELb0ES3_jPlS8_PNS0_10empty_typeENS0_5tupleIJS8_S9_EEENSB_IJS8_SA_EEENS0_18inequality_wrapperIZN2at6native12_GLOBAL__N_124unique_dim_cuda_templateIjEESt5tupleIJNSF_6TensorESK_SK_EERKSK_lbbbEUlllE0_EEPmJS9_EEE10hipError_tPvRmT3_T4_T5_T6_T7_T9_mT8_P12ihipStream_tbDpT10_ENKUlT_T0_E_clISt17integral_constantIbLb1EES1A_EEDaS15_S16_EUlS15_E_NS1_11comp_targetILNS1_3genE4ELNS1_11target_archE910ELNS1_3gpuE8ELNS1_3repE0EEENS1_30default_config_static_selectorELNS0_4arch9wavefront6targetE1EEEvT1_,@function
_ZN7rocprim17ROCPRIM_400000_NS6detail17trampoline_kernelINS0_14default_configENS1_25partition_config_selectorILNS1_17partition_subalgoE9EllbEEZZNS1_14partition_implILS5_9ELb0ES3_jPlS8_PNS0_10empty_typeENS0_5tupleIJS8_S9_EEENSB_IJS8_SA_EEENS0_18inequality_wrapperIZN2at6native12_GLOBAL__N_124unique_dim_cuda_templateIjEESt5tupleIJNSF_6TensorESK_SK_EERKSK_lbbbEUlllE0_EEPmJS9_EEE10hipError_tPvRmT3_T4_T5_T6_T7_T9_mT8_P12ihipStream_tbDpT10_ENKUlT_T0_E_clISt17integral_constantIbLb1EES1A_EEDaS15_S16_EUlS15_E_NS1_11comp_targetILNS1_3genE4ELNS1_11target_archE910ELNS1_3gpuE8ELNS1_3repE0EEENS1_30default_config_static_selectorELNS0_4arch9wavefront6targetE1EEEvT1_: ; @_ZN7rocprim17ROCPRIM_400000_NS6detail17trampoline_kernelINS0_14default_configENS1_25partition_config_selectorILNS1_17partition_subalgoE9EllbEEZZNS1_14partition_implILS5_9ELb0ES3_jPlS8_PNS0_10empty_typeENS0_5tupleIJS8_S9_EEENSB_IJS8_SA_EEENS0_18inequality_wrapperIZN2at6native12_GLOBAL__N_124unique_dim_cuda_templateIjEESt5tupleIJNSF_6TensorESK_SK_EERKSK_lbbbEUlllE0_EEPmJS9_EEE10hipError_tPvRmT3_T4_T5_T6_T7_T9_mT8_P12ihipStream_tbDpT10_ENKUlT_T0_E_clISt17integral_constantIbLb1EES1A_EEDaS15_S16_EUlS15_E_NS1_11comp_targetILNS1_3genE4ELNS1_11target_archE910ELNS1_3gpuE8ELNS1_3repE0EEENS1_30default_config_static_selectorELNS0_4arch9wavefront6targetE1EEEvT1_
; %bb.0:
	s_load_dwordx4 s[8:11], s[4:5], 0x8
	s_load_dwordx2 s[14:15], s[4:5], 0x18
	s_load_dwordx8 s[20:27], s[4:5], 0x40
	s_load_dwordx4 s[16:19], s[4:5], 0x60
	v_cmp_ne_u32_e64 s[2:3], 0, v0
	v_cmp_eq_u32_e64 s[0:1], 0, v0
	s_and_saveexec_b64 s[6:7], s[0:1]
	s_cbranch_execz .LBB1581_4
; %bb.1:
	s_mov_b64 s[28:29], exec
	v_mbcnt_lo_u32_b32 v1, s28, 0
	v_mbcnt_hi_u32_b32 v1, s29, v1
	v_cmp_eq_u32_e32 vcc, 0, v1
                                        ; implicit-def: $vgpr2
	s_and_saveexec_b64 s[12:13], vcc
	s_cbranch_execz .LBB1581_3
; %bb.2:
	s_load_dwordx2 s[30:31], s[4:5], 0x78
	s_bcnt1_i32_b64 s28, s[28:29]
	v_mov_b32_e32 v2, 0
	v_mov_b32_e32 v3, s28
	s_waitcnt lgkmcnt(0)
	global_atomic_add v2, v2, v3, s[30:31] glc
.LBB1581_3:
	s_or_b64 exec, exec, s[12:13]
	s_waitcnt vmcnt(0)
	v_readfirstlane_b32 s12, v2
	v_add_u32_e32 v1, s12, v1
	v_mov_b32_e32 v2, 0
	ds_write_b32 v2, v1
.LBB1581_4:
	s_or_b64 exec, exec, s[6:7]
	v_mov_b32_e32 v1, 0
	s_load_dwordx4 s[28:31], s[4:5], 0x28
	s_load_dword s6, s[4:5], 0x70
	s_waitcnt lgkmcnt(0)
	s_barrier
	ds_read_b32 v6, v1
	s_waitcnt lgkmcnt(0)
	s_barrier
	global_load_dwordx2 v[2:3], v1, s[22:23]
	s_lshl_b64 s[36:37], s[10:11], 3
	s_add_u32 s22, s8, s36
	s_addc_u32 s23, s9, s37
	s_add_i32 s12, s6, -1
	s_lshl_b32 s8, s6, 9
	s_lshl_b32 s6, s12, 9
	s_add_i32 s6, s10, s6
	v_readfirstlane_b32 s33, v6
	s_sub_i32 s48, s24, s6
	s_lshl_b32 s6, s33, 9
	s_add_u32 s8, s10, s8
	s_addc_u32 s9, s11, 0
	v_mov_b32_e32 v4, s24
	v_mov_b32_e32 v5, s25
	s_cmp_eq_u32 s33, s12
	v_cmp_ge_u64_e32 vcc, s[8:9], v[4:5]
	s_cselect_b64 s[24:25], -1, 0
	s_mov_b32 s7, 0
	s_and_b64 s[12:13], vcc, s[24:25]
	s_lshl_b64 s[8:9], s[6:7], 3
	s_xor_b64 s[34:35], s[12:13], -1
	s_add_u32 s6, s22, s8
	s_mov_b64 s[4:5], -1
	v_lshrrev_b32_e32 v18, 2, v0
	s_addc_u32 s7, s23, s9
	s_and_b64 vcc, exec, s[34:35]
	s_waitcnt vmcnt(0)
	v_readfirstlane_b32 s22, v2
	v_readfirstlane_b32 s23, v3
	s_cbranch_vccz .LBB1581_6
; %bb.5:
	v_lshlrev_b32_e32 v1, 3, v0
	global_load_dwordx2 v[2:3], v1, s[6:7]
	global_load_dwordx2 v[4:5], v1, s[6:7] offset:1024
	global_load_dwordx2 v[6:7], v1, s[6:7] offset:2048
	global_load_dwordx2 v[8:9], v1, s[6:7] offset:3072
	v_or_b32_e32 v11, 0x80, v0
	v_or_b32_e32 v12, 0x100, v0
	;; [unrolled: 1-line block ×3, first 2 shown]
	v_and_b32_e32 v10, 24, v18
	v_lshrrev_b32_e32 v11, 2, v11
	v_lshrrev_b32_e32 v12, 2, v12
	;; [unrolled: 1-line block ×3, first 2 shown]
	v_add_u32_e32 v10, v10, v1
	v_and_b32_e32 v11, 56, v11
	v_and_b32_e32 v12, 0x58, v12
	;; [unrolled: 1-line block ×3, first 2 shown]
	v_add_u32_e32 v11, v11, v1
	v_add_u32_e32 v12, v12, v1
	;; [unrolled: 1-line block ×3, first 2 shown]
	s_mov_b64 s[4:5], 0
	s_waitcnt vmcnt(3)
	ds_write_b64 v10, v[2:3]
	s_waitcnt vmcnt(2)
	ds_write_b64 v11, v[4:5] offset:1024
	s_waitcnt vmcnt(1)
	ds_write_b64 v12, v[6:7] offset:2048
	;; [unrolled: 2-line block ×3, first 2 shown]
	s_waitcnt lgkmcnt(0)
	s_barrier
.LBB1581_6:
	s_andn2_b64 vcc, exec, s[4:5]
	v_cmp_gt_u32_e64 s[4:5], s48, v0
	s_cbranch_vccnz .LBB1581_16
; %bb.7:
                                        ; implicit-def: $vgpr2_vgpr3_vgpr4_vgpr5_vgpr6_vgpr7_vgpr8_vgpr9
	s_and_saveexec_b64 s[38:39], s[4:5]
	s_cbranch_execz .LBB1581_9
; %bb.8:
	v_lshlrev_b32_e32 v1, 3, v0
	global_load_dwordx2 v[2:3], v1, s[6:7]
.LBB1581_9:
	s_or_b64 exec, exec, s[38:39]
	v_or_b32_e32 v1, 0x80, v0
	v_cmp_gt_u32_e32 vcc, s48, v1
	s_and_saveexec_b64 s[4:5], vcc
	s_cbranch_execz .LBB1581_11
; %bb.10:
	v_lshlrev_b32_e32 v4, 3, v0
	global_load_dwordx2 v[4:5], v4, s[6:7] offset:1024
.LBB1581_11:
	s_or_b64 exec, exec, s[4:5]
	v_or_b32_e32 v10, 0x100, v0
	v_cmp_gt_u32_e32 vcc, s48, v10
	s_and_saveexec_b64 s[4:5], vcc
	s_cbranch_execz .LBB1581_13
; %bb.12:
	v_lshlrev_b32_e32 v6, 3, v0
	global_load_dwordx2 v[6:7], v6, s[6:7] offset:2048
.LBB1581_13:
	;; [unrolled: 9-line block ×3, first 2 shown]
	s_or_b64 exec, exec, s[4:5]
	v_lshrrev_b32_e32 v1, 2, v1
	v_lshlrev_b32_e32 v13, 3, v0
	v_and_b32_e32 v1, 56, v1
	v_add_u32_e32 v1, v1, v13
	s_waitcnt vmcnt(0)
	ds_write_b64 v1, v[4:5] offset:1024
	v_lshrrev_b32_e32 v1, 2, v10
	v_and_b32_e32 v1, 0x78, v1
	v_add_u32_e32 v1, v1, v13
	ds_write_b64 v1, v[6:7] offset:2048
	v_lshrrev_b32_e32 v1, 2, v11
	v_and_b32_e32 v12, 24, v18
	v_and_b32_e32 v1, 0x78, v1
	v_add_u32_e32 v12, v12, v13
	v_add_u32_e32 v1, v1, v13
	ds_write_b64 v12, v[2:3]
	ds_write_b64 v1, v[8:9] offset:3072
	s_waitcnt lgkmcnt(0)
	s_barrier
.LBB1581_16:
	v_lshlrev_b32_e32 v1, 2, v0
	v_lshrrev_b32_e32 v2, 3, v0
	v_add_lshl_u32 v19, v2, v1, 3
	ds_read2_b64 v[14:17], v19 offset1:1
	ds_read2_b64 v[10:13], v19 offset0:2 offset1:3
	s_add_u32 s4, s14, s36
	s_addc_u32 s5, s15, s37
	s_add_u32 s4, s4, s8
	s_addc_u32 s5, s5, s9
	s_mov_b64 s[8:9], -1
	s_and_b64 vcc, exec, s[34:35]
	s_waitcnt lgkmcnt(0)
	s_barrier
	s_cbranch_vccz .LBB1581_18
; %bb.17:
	v_lshlrev_b32_e32 v20, 3, v0
	global_load_dwordx2 v[2:3], v20, s[4:5]
	global_load_dwordx2 v[4:5], v20, s[4:5] offset:1024
	global_load_dwordx2 v[6:7], v20, s[4:5] offset:2048
	;; [unrolled: 1-line block ×3, first 2 shown]
	v_or_b32_e32 v22, 0x80, v0
	v_or_b32_e32 v23, 0x100, v0
	;; [unrolled: 1-line block ×3, first 2 shown]
	v_and_b32_e32 v21, 24, v18
	v_lshrrev_b32_e32 v22, 2, v22
	v_lshrrev_b32_e32 v23, 2, v23
	;; [unrolled: 1-line block ×3, first 2 shown]
	v_add_u32_e32 v21, v21, v20
	v_and_b32_e32 v22, 56, v22
	v_and_b32_e32 v23, 0x58, v23
	;; [unrolled: 1-line block ×3, first 2 shown]
	v_add_u32_e32 v22, v22, v20
	v_add_u32_e32 v23, v23, v20
	;; [unrolled: 1-line block ×3, first 2 shown]
	s_mov_b64 s[8:9], 0
	s_waitcnt vmcnt(3)
	ds_write_b64 v21, v[2:3]
	s_waitcnt vmcnt(2)
	ds_write_b64 v22, v[4:5] offset:1024
	s_waitcnt vmcnt(1)
	ds_write_b64 v23, v[6:7] offset:2048
	;; [unrolled: 2-line block ×3, first 2 shown]
	s_waitcnt lgkmcnt(0)
	s_barrier
.LBB1581_18:
	s_andn2_b64 vcc, exec, s[8:9]
	s_cbranch_vccnz .LBB1581_28
; %bb.19:
	v_cmp_gt_u32_e32 vcc, s48, v0
                                        ; implicit-def: $vgpr2_vgpr3
	s_and_saveexec_b64 s[8:9], vcc
	s_cbranch_execz .LBB1581_21
; %bb.20:
	v_lshlrev_b32_e32 v2, 3, v0
	global_load_dwordx2 v[2:3], v2, s[4:5]
.LBB1581_21:
	s_or_b64 exec, exec, s[8:9]
	v_or_b32_e32 v20, 0x80, v0
	v_cmp_gt_u32_e32 vcc, s48, v20
                                        ; implicit-def: $vgpr4_vgpr5
	s_and_saveexec_b64 s[8:9], vcc
	s_cbranch_execz .LBB1581_23
; %bb.22:
	v_lshlrev_b32_e32 v4, 3, v0
	global_load_dwordx2 v[4:5], v4, s[4:5] offset:1024
.LBB1581_23:
	s_or_b64 exec, exec, s[8:9]
	v_or_b32_e32 v21, 0x100, v0
	v_cmp_gt_u32_e32 vcc, s48, v21
                                        ; implicit-def: $vgpr6_vgpr7
	s_and_saveexec_b64 s[8:9], vcc
	s_cbranch_execz .LBB1581_25
; %bb.24:
	v_lshlrev_b32_e32 v6, 3, v0
	global_load_dwordx2 v[6:7], v6, s[4:5] offset:2048
.LBB1581_25:
	s_or_b64 exec, exec, s[8:9]
	v_or_b32_e32 v22, 0x180, v0
	v_cmp_gt_u32_e32 vcc, s48, v22
                                        ; implicit-def: $vgpr8_vgpr9
	s_and_saveexec_b64 s[8:9], vcc
	s_cbranch_execz .LBB1581_27
; %bb.26:
	v_lshlrev_b32_e32 v8, 3, v0
	global_load_dwordx2 v[8:9], v8, s[4:5] offset:3072
.LBB1581_27:
	s_or_b64 exec, exec, s[8:9]
	v_and_b32_e32 v18, 24, v18
	v_lshlrev_b32_e32 v23, 3, v0
	v_add_u32_e32 v18, v18, v23
	s_waitcnt vmcnt(0)
	ds_write_b64 v18, v[2:3]
	v_lshrrev_b32_e32 v2, 2, v20
	v_and_b32_e32 v2, 56, v2
	v_add_u32_e32 v2, v2, v23
	ds_write_b64 v2, v[4:5] offset:1024
	v_lshrrev_b32_e32 v2, 2, v21
	v_and_b32_e32 v2, 0x78, v2
	v_add_u32_e32 v2, v2, v23
	ds_write_b64 v2, v[6:7] offset:2048
	;; [unrolled: 4-line block ×3, first 2 shown]
	s_waitcnt lgkmcnt(0)
	s_barrier
.LBB1581_28:
	ds_read2_b64 v[6:9], v19 offset1:1
	ds_read2_b64 v[2:5], v19 offset0:2 offset1:3
	s_cmp_lg_u32 s33, 0
	s_cselect_b64 s[36:37], -1, 0
	s_cmp_lg_u64 s[10:11], 0
	s_cselect_b64 s[4:5], -1, 0
	s_or_b64 s[4:5], s[4:5], s[36:37]
	s_mov_b64 s[14:15], 0
	s_and_b64 vcc, exec, s[4:5]
	v_cmp_gt_i64_e64 s[4:5], s[26:27], 0
	s_waitcnt lgkmcnt(0)
	s_barrier
	s_cbranch_vccz .LBB1581_37
; %bb.29:
	v_mov_b32_e32 v18, 0
	global_load_dwordx2 v[18:19], v18, s[6:7] offset:-8
	v_cndmask_b32_e64 v20, 0, 1, s[4:5]
	v_lshlrev_b32_e32 v29, 3, v0
	s_mov_b64 s[10:11], 0
	s_and_b64 vcc, exec, s[34:35]
	v_cmp_ne_u32_e64 s[4:5], 1, v20
	ds_write_b64 v29, v[12:13]
	s_cbranch_vccz .LBB1581_38
; %bb.30:
	v_mul_lo_u32 v22, v11, s26
	v_mul_lo_u32 v23, v10, s27
	v_mad_u64_u32 v[20:21], s[6:7], v10, s26, 0
	v_add3_u32 v21, v21, v23, v22
	s_and_b64 vcc, exec, s[4:5]
	v_lshlrev_b64 v[20:21], 2, v[20:21]
	s_cbranch_vccnz .LBB1581_41
; %bb.31:
	v_mul_lo_u32 v24, v13, s26
	v_mul_lo_u32 v25, v12, s27
	v_mad_u64_u32 v[22:23], s[6:7], v12, s26, 0
	v_add3_u32 v23, v23, v25, v24
	v_mov_b32_e32 v25, s17
	v_add_co_u32_e32 v24, vcc, s16, v20
	v_addc_co_u32_e64 v25, s[6:7], v25, v21, vcc
	v_lshlrev_b64 v[22:23], 2, v[22:23]
	v_mov_b32_e32 v27, s17
	v_add_co_u32_e64 v26, s[6:7], s16, v22
	v_addc_co_u32_e64 v27, s[8:9], v27, v23, s[6:7]
	global_load_dword v22, v[24:25], off
	global_load_dword v28, v[26:27], off
	s_mov_b64 s[10:11], -1
	s_waitcnt vmcnt(0)
	v_cmp_eq_u32_e64 s[8:9], v22, v28
	s_and_saveexec_b64 s[14:15], s[8:9]
	s_cbranch_execz .LBB1581_40
; %bb.32:
	v_mov_b32_e32 v22, s17
	v_addc_co_u32_e64 v23, s[6:7], v23, v22, s[6:7]
	v_add_co_u32_e64 v22, s[6:7], 4, v26
	v_mov_b32_e32 v25, s17
	v_addc_co_u32_e64 v23, s[6:7], 0, v23, s[6:7]
	v_addc_co_u32_e32 v25, vcc, v21, v25, vcc
	v_add_co_u32_e32 v24, vcc, 4, v24
	s_add_u32 s6, s26, -1
	v_addc_co_u32_e32 v25, vcc, 0, v25, vcc
	s_addc_u32 s7, s27, -1
	s_mov_b64 s[8:9], 0
	s_mov_b64 s[38:39], 0
                                        ; implicit-def: $sgpr10_sgpr11
	s_branch .LBB1581_35
.LBB1581_33:                            ;   in Loop: Header=BB1581_35 Depth=1
	global_load_dword v26, v[24:25], off
	global_load_dword v27, v[22:23], off
	v_add_co_u32_e32 v22, vcc, 4, v22
	v_addc_co_u32_e32 v23, vcc, 0, v23, vcc
	v_add_co_u32_e32 v24, vcc, 4, v24
	v_addc_co_u32_e32 v25, vcc, 0, v25, vcc
	s_add_u32 s38, s38, 1
	s_addc_u32 s39, s39, 0
	s_andn2_b64 s[10:11], s[10:11], exec
	s_waitcnt vmcnt(0)
	v_cmp_ne_u32_e32 vcc, v26, v27
	s_and_b64 s[40:41], vcc, exec
	s_or_b64 s[10:11], s[10:11], s[40:41]
.LBB1581_34:                            ;   in Loop: Header=BB1581_35 Depth=1
	s_and_b64 s[40:41], exec, s[10:11]
	s_or_b64 s[8:9], s[40:41], s[8:9]
	v_pk_mov_b32 v[26:27], s[38:39], s[38:39] op_sel:[0,1]
	s_andn2_b64 exec, exec, s[8:9]
	s_cbranch_execz .LBB1581_39
.LBB1581_35:                            ; =>This Inner Loop Header: Depth=1
	s_or_b64 s[10:11], s[10:11], exec
	s_cmp_eq_u64 s[6:7], s[38:39]
	s_cbranch_scc0 .LBB1581_33
; %bb.36:                               ;   in Loop: Header=BB1581_35 Depth=1
                                        ; implicit-def: $vgpr22_vgpr23
                                        ; implicit-def: $vgpr24_vgpr25
	s_mov_b64 s[38:39], s[26:27]
	s_branch .LBB1581_34
.LBB1581_37:
                                        ; implicit-def: $sgpr38_sgpr39
                                        ; implicit-def: $vgpr28
	s_branch .LBB1581_119
.LBB1581_38:
                                        ; implicit-def: $sgpr38_sgpr39
                                        ; implicit-def: $vgpr28
	s_cbranch_execnz .LBB1581_71
	s_branch .LBB1581_118
.LBB1581_39:
	s_or_b64 exec, exec, s[8:9]
	v_cmp_gt_i64_e32 vcc, s[26:27], v[26:27]
	s_orn2_b64 s[10:11], vcc, exec
.LBB1581_40:
	s_or_b64 exec, exec, s[14:15]
.LBB1581_41:
	v_mul_lo_u32 v24, v17, s26
	v_mul_lo_u32 v25, v16, s27
	v_mad_u64_u32 v[22:23], s[6:7], v16, s26, 0
	v_add3_u32 v23, v23, v25, v24
	s_mov_b64 s[14:15], 0
	s_and_b64 vcc, exec, s[4:5]
	v_lshlrev_b64 v[22:23], 2, v[22:23]
	s_mov_b64 s[38:39], 0
	s_cbranch_vccnz .LBB1581_50
; %bb.42:
	v_mov_b32_e32 v25, s17
	v_add_co_u32_e32 v24, vcc, s16, v22
	v_addc_co_u32_e64 v25, s[6:7], v25, v23, vcc
	v_mov_b32_e32 v27, s17
	v_add_co_u32_e64 v26, s[6:7], s16, v20
	v_addc_co_u32_e64 v27, s[8:9], v27, v21, s[6:7]
	global_load_dword v20, v[24:25], off
	global_load_dword v28, v[26:27], off
	s_mov_b64 s[38:39], -1
	s_waitcnt vmcnt(0)
	v_cmp_eq_u32_e64 s[8:9], v20, v28
	s_and_saveexec_b64 s[40:41], s[8:9]
	s_cbranch_execz .LBB1581_49
; %bb.43:
	v_mov_b32_e32 v20, s17
	v_addc_co_u32_e64 v21, s[6:7], v21, v20, s[6:7]
	v_add_co_u32_e64 v20, s[6:7], 4, v26
	v_mov_b32_e32 v25, s17
	v_addc_co_u32_e64 v21, s[6:7], 0, v21, s[6:7]
	v_addc_co_u32_e32 v25, vcc, v23, v25, vcc
	v_add_co_u32_e32 v24, vcc, 4, v24
	s_add_u32 s6, s26, -1
	v_addc_co_u32_e32 v25, vcc, 0, v25, vcc
	s_addc_u32 s7, s27, -1
	s_mov_b64 s[8:9], 0
	s_mov_b64 s[42:43], 0
                                        ; implicit-def: $sgpr38_sgpr39
	s_branch .LBB1581_46
.LBB1581_44:                            ;   in Loop: Header=BB1581_46 Depth=1
	global_load_dword v26, v[24:25], off
	global_load_dword v27, v[20:21], off
	v_add_co_u32_e32 v20, vcc, 4, v20
	v_addc_co_u32_e32 v21, vcc, 0, v21, vcc
	v_add_co_u32_e32 v24, vcc, 4, v24
	v_addc_co_u32_e32 v25, vcc, 0, v25, vcc
	s_add_u32 s42, s42, 1
	s_addc_u32 s43, s43, 0
	s_andn2_b64 s[38:39], s[38:39], exec
	s_waitcnt vmcnt(0)
	v_cmp_ne_u32_e32 vcc, v26, v27
	s_and_b64 s[44:45], vcc, exec
	s_or_b64 s[38:39], s[38:39], s[44:45]
.LBB1581_45:                            ;   in Loop: Header=BB1581_46 Depth=1
	s_and_b64 s[44:45], exec, s[38:39]
	s_or_b64 s[8:9], s[44:45], s[8:9]
	v_pk_mov_b32 v[26:27], s[42:43], s[42:43] op_sel:[0,1]
	s_andn2_b64 exec, exec, s[8:9]
	s_cbranch_execz .LBB1581_48
.LBB1581_46:                            ; =>This Inner Loop Header: Depth=1
	s_or_b64 s[38:39], s[38:39], exec
	s_cmp_eq_u64 s[6:7], s[42:43]
	s_cbranch_scc0 .LBB1581_44
; %bb.47:                               ;   in Loop: Header=BB1581_46 Depth=1
                                        ; implicit-def: $vgpr20_vgpr21
                                        ; implicit-def: $vgpr24_vgpr25
	s_mov_b64 s[42:43], s[26:27]
	s_branch .LBB1581_45
.LBB1581_48:
	s_or_b64 exec, exec, s[8:9]
	v_cmp_gt_i64_e32 vcc, s[26:27], v[26:27]
	s_orn2_b64 s[38:39], vcc, exec
.LBB1581_49:
	s_or_b64 exec, exec, s[40:41]
.LBB1581_50:
	v_mul_lo_u32 v24, v15, s26
	v_mul_lo_u32 v25, v14, s27
	v_mad_u64_u32 v[20:21], s[6:7], v14, s26, 0
	v_add3_u32 v21, v21, v25, v24
	s_and_b64 vcc, exec, s[4:5]
	v_lshlrev_b64 v[20:21], 2, v[20:21]
	s_cbranch_vccnz .LBB1581_59
; %bb.51:
	v_mov_b32_e32 v25, s17
	v_add_co_u32_e32 v24, vcc, s16, v20
	v_addc_co_u32_e64 v25, s[6:7], v25, v21, vcc
	v_mov_b32_e32 v27, s17
	v_add_co_u32_e64 v26, s[6:7], s16, v22
	v_addc_co_u32_e64 v27, s[8:9], v27, v23, s[6:7]
	global_load_dword v22, v[24:25], off
	global_load_dword v28, v[26:27], off
	s_mov_b64 s[14:15], -1
	s_waitcnt vmcnt(0)
	v_cmp_eq_u32_e64 s[8:9], v22, v28
	s_and_saveexec_b64 s[40:41], s[8:9]
	s_cbranch_execz .LBB1581_58
; %bb.52:
	v_mov_b32_e32 v22, s17
	v_addc_co_u32_e64 v23, s[6:7], v23, v22, s[6:7]
	v_add_co_u32_e64 v22, s[6:7], 4, v26
	v_mov_b32_e32 v25, s17
	v_addc_co_u32_e64 v23, s[6:7], 0, v23, s[6:7]
	v_addc_co_u32_e32 v25, vcc, v21, v25, vcc
	v_add_co_u32_e32 v24, vcc, 4, v24
	s_add_u32 s6, s26, -1
	v_addc_co_u32_e32 v25, vcc, 0, v25, vcc
	s_addc_u32 s7, s27, -1
	s_mov_b64 s[8:9], 0
	s_mov_b64 s[42:43], 0
                                        ; implicit-def: $sgpr14_sgpr15
	s_branch .LBB1581_55
.LBB1581_53:                            ;   in Loop: Header=BB1581_55 Depth=1
	global_load_dword v26, v[24:25], off
	global_load_dword v27, v[22:23], off
	v_add_co_u32_e32 v22, vcc, 4, v22
	v_addc_co_u32_e32 v23, vcc, 0, v23, vcc
	v_add_co_u32_e32 v24, vcc, 4, v24
	v_addc_co_u32_e32 v25, vcc, 0, v25, vcc
	s_add_u32 s42, s42, 1
	s_addc_u32 s43, s43, 0
	s_andn2_b64 s[14:15], s[14:15], exec
	s_waitcnt vmcnt(0)
	v_cmp_ne_u32_e32 vcc, v26, v27
	s_and_b64 s[44:45], vcc, exec
	s_or_b64 s[14:15], s[14:15], s[44:45]
.LBB1581_54:                            ;   in Loop: Header=BB1581_55 Depth=1
	s_and_b64 s[44:45], exec, s[14:15]
	s_or_b64 s[8:9], s[44:45], s[8:9]
	v_pk_mov_b32 v[26:27], s[42:43], s[42:43] op_sel:[0,1]
	s_andn2_b64 exec, exec, s[8:9]
	s_cbranch_execz .LBB1581_57
.LBB1581_55:                            ; =>This Inner Loop Header: Depth=1
	s_or_b64 s[14:15], s[14:15], exec
	s_cmp_eq_u64 s[6:7], s[42:43]
	s_cbranch_scc0 .LBB1581_53
; %bb.56:                               ;   in Loop: Header=BB1581_55 Depth=1
                                        ; implicit-def: $vgpr22_vgpr23
                                        ; implicit-def: $vgpr24_vgpr25
	s_mov_b64 s[42:43], s[26:27]
	s_branch .LBB1581_54
.LBB1581_57:
	s_or_b64 exec, exec, s[8:9]
	v_cmp_gt_i64_e32 vcc, s[26:27], v[26:27]
	s_orn2_b64 s[14:15], vcc, exec
.LBB1581_58:
	s_or_b64 exec, exec, s[40:41]
.LBB1581_59:
	s_waitcnt vmcnt(0)
	v_pk_mov_b32 v[22:23], v[18:19], v[18:19] op_sel:[0,1]
	s_waitcnt lgkmcnt(0)
	s_barrier
	s_and_saveexec_b64 s[6:7], s[2:3]
	s_cbranch_execz .LBB1581_61
; %bb.60:
	v_add_u32_e32 v22, -8, v29
	ds_read_b64 v[22:23], v22
.LBB1581_61:
	s_or_b64 exec, exec, s[6:7]
	v_cndmask_b32_e64 v25, 0, 1, s[10:11]
	v_cndmask_b32_e64 v24, 0, 1, s[38:39]
	;; [unrolled: 1-line block ×3, first 2 shown]
	v_lshlrev_b16_e32 v25, 8, v25
	v_lshlrev_b16_e32 v28, 8, v26
	v_or_b32_sdwa v30, v24, v25 dst_sel:WORD_1 dst_unused:UNUSED_PAD src0_sel:DWORD src1_sel:DWORD
	s_mov_b64 s[10:11], 0
	s_and_b64 vcc, exec, s[4:5]
	s_mov_b64 s[38:39], 0
	s_cbranch_vccnz .LBB1581_70
; %bb.62:
	s_waitcnt lgkmcnt(0)
	v_mul_lo_u32 v24, v23, s26
	v_mul_lo_u32 v25, v22, s27
	v_mad_u64_u32 v[22:23], s[6:7], v22, s26, 0
	v_add3_u32 v23, v23, v25, v24
	v_lshlrev_b64 v[22:23], 2, v[22:23]
	v_mov_b32_e32 v25, s17
	v_add_co_u32_e32 v24, vcc, s16, v22
	v_addc_co_u32_e64 v25, s[6:7], v25, v23, vcc
	v_mov_b32_e32 v22, s17
	v_add_co_u32_e64 v26, s[6:7], s16, v20
	v_addc_co_u32_e64 v27, s[8:9], v22, v21, s[6:7]
	global_load_dword v20, v[24:25], off
	global_load_dword v22, v[26:27], off
	s_mov_b64 s[38:39], -1
	s_waitcnt vmcnt(0)
	v_cmp_eq_u32_e64 s[8:9], v20, v22
	s_and_saveexec_b64 s[14:15], s[8:9]
	s_cbranch_execz .LBB1581_69
; %bb.63:
	v_mov_b32_e32 v20, s17
	v_addc_co_u32_e64 v21, s[6:7], v21, v20, s[6:7]
	v_add_co_u32_e64 v20, s[6:7], 4, v26
	v_mov_b32_e32 v22, s17
	v_addc_co_u32_e64 v21, s[6:7], 0, v21, s[6:7]
	v_addc_co_u32_e32 v23, vcc, v23, v22, vcc
	v_add_co_u32_e32 v22, vcc, 4, v24
	s_add_u32 s6, s26, -1
	v_addc_co_u32_e32 v23, vcc, 0, v23, vcc
	s_addc_u32 s7, s27, -1
	s_mov_b64 s[8:9], 0
	s_mov_b64 s[40:41], 0
                                        ; implicit-def: $sgpr38_sgpr39
	s_branch .LBB1581_66
.LBB1581_64:                            ;   in Loop: Header=BB1581_66 Depth=1
	global_load_dword v24, v[22:23], off
	global_load_dword v25, v[20:21], off
	v_add_co_u32_e32 v20, vcc, 4, v20
	v_addc_co_u32_e32 v21, vcc, 0, v21, vcc
	v_add_co_u32_e32 v22, vcc, 4, v22
	v_addc_co_u32_e32 v23, vcc, 0, v23, vcc
	s_add_u32 s40, s40, 1
	s_addc_u32 s41, s41, 0
	s_andn2_b64 s[38:39], s[38:39], exec
	s_waitcnt vmcnt(0)
	v_cmp_ne_u32_e32 vcc, v24, v25
	s_and_b64 s[42:43], vcc, exec
	s_or_b64 s[38:39], s[38:39], s[42:43]
.LBB1581_65:                            ;   in Loop: Header=BB1581_66 Depth=1
	s_and_b64 s[42:43], exec, s[38:39]
	s_or_b64 s[8:9], s[42:43], s[8:9]
	v_pk_mov_b32 v[24:25], s[40:41], s[40:41] op_sel:[0,1]
	s_andn2_b64 exec, exec, s[8:9]
	s_cbranch_execz .LBB1581_68
.LBB1581_66:                            ; =>This Inner Loop Header: Depth=1
	s_or_b64 s[38:39], s[38:39], exec
	s_cmp_eq_u64 s[6:7], s[40:41]
	s_cbranch_scc0 .LBB1581_64
; %bb.67:                               ;   in Loop: Header=BB1581_66 Depth=1
                                        ; implicit-def: $vgpr20_vgpr21
                                        ; implicit-def: $vgpr22_vgpr23
	s_mov_b64 s[40:41], s[26:27]
	s_branch .LBB1581_65
.LBB1581_68:
	s_or_b64 exec, exec, s[8:9]
	v_cmp_gt_i64_e32 vcc, s[26:27], v[24:25]
	s_orn2_b64 s[38:39], vcc, exec
.LBB1581_69:
	s_or_b64 exec, exec, s[14:15]
.LBB1581_70:
	v_or_b32_e32 v28, v28, v30
	s_and_b64 vcc, exec, s[10:11]
	s_cbranch_vccz .LBB1581_118
.LBB1581_71:
	v_or_b32_e32 v20, 3, v1
	v_cmp_gt_u32_e32 vcc, s48, v20
	s_mov_b64 s[14:15], 0
	s_mov_b64 s[10:11], 0
	s_and_saveexec_b64 s[38:39], vcc
	s_cbranch_execz .LBB1581_82
; %bb.72:
	s_and_b64 vcc, exec, s[4:5]
	s_mov_b64 s[40:41], 0
	s_cbranch_vccnz .LBB1581_81
; %bb.73:
	s_waitcnt lgkmcnt(0)
	v_mul_lo_u32 v22, v11, s26
	v_mul_lo_u32 v23, v10, s27
	v_mad_u64_u32 v[20:21], s[6:7], v10, s26, 0
	v_add3_u32 v21, v21, v23, v22
	v_mul_lo_u32 v22, v13, s26
	v_mul_lo_u32 v23, v12, s27
	v_mad_u64_u32 v[26:27], s[6:7], v12, s26, 0
	v_add3_u32 v27, v27, v23, v22
	v_lshlrev_b64 v[22:23], 2, v[20:21]
	v_mov_b32_e32 v20, s17
	v_add_co_u32_e32 v24, vcc, s16, v22
	v_addc_co_u32_e64 v25, s[6:7], v20, v23, vcc
	v_lshlrev_b64 v[20:21], 2, v[26:27]
	v_mov_b32_e32 v22, s17
	v_add_co_u32_e64 v26, s[6:7], s16, v20
	v_addc_co_u32_e64 v27, s[8:9], v22, v21, s[6:7]
	global_load_dword v20, v[24:25], off
	global_load_dword v22, v[26:27], off
	s_mov_b64 s[40:41], -1
	s_waitcnt vmcnt(0)
	v_cmp_eq_u32_e64 s[8:9], v20, v22
	s_and_saveexec_b64 s[10:11], s[8:9]
	s_cbranch_execz .LBB1581_80
; %bb.74:
	v_mov_b32_e32 v20, s17
	v_addc_co_u32_e64 v21, s[6:7], v21, v20, s[6:7]
	v_add_co_u32_e64 v20, s[6:7], 4, v26
	v_mov_b32_e32 v22, s17
	v_addc_co_u32_e64 v21, s[6:7], 0, v21, s[6:7]
	v_addc_co_u32_e32 v23, vcc, v23, v22, vcc
	v_add_co_u32_e32 v22, vcc, 4, v24
	s_add_u32 s6, s26, -1
	v_addc_co_u32_e32 v23, vcc, 0, v23, vcc
	s_addc_u32 s7, s27, -1
	s_mov_b64 s[8:9], 0
	s_mov_b64 s[42:43], 0
                                        ; implicit-def: $sgpr40_sgpr41
	s_branch .LBB1581_77
.LBB1581_75:                            ;   in Loop: Header=BB1581_77 Depth=1
	global_load_dword v24, v[22:23], off
	global_load_dword v25, v[20:21], off
	v_add_co_u32_e32 v20, vcc, 4, v20
	v_addc_co_u32_e32 v21, vcc, 0, v21, vcc
	v_add_co_u32_e32 v22, vcc, 4, v22
	v_addc_co_u32_e32 v23, vcc, 0, v23, vcc
	s_add_u32 s42, s42, 1
	s_addc_u32 s43, s43, 0
	s_andn2_b64 s[40:41], s[40:41], exec
	s_waitcnt vmcnt(0)
	v_cmp_ne_u32_e32 vcc, v24, v25
	s_and_b64 s[44:45], vcc, exec
	s_or_b64 s[40:41], s[40:41], s[44:45]
.LBB1581_76:                            ;   in Loop: Header=BB1581_77 Depth=1
	s_and_b64 s[44:45], exec, s[40:41]
	s_or_b64 s[8:9], s[44:45], s[8:9]
	v_pk_mov_b32 v[24:25], s[42:43], s[42:43] op_sel:[0,1]
	s_andn2_b64 exec, exec, s[8:9]
	s_cbranch_execz .LBB1581_79
.LBB1581_77:                            ; =>This Inner Loop Header: Depth=1
	s_or_b64 s[40:41], s[40:41], exec
	s_cmp_eq_u64 s[6:7], s[42:43]
	s_cbranch_scc0 .LBB1581_75
; %bb.78:                               ;   in Loop: Header=BB1581_77 Depth=1
                                        ; implicit-def: $vgpr20_vgpr21
                                        ; implicit-def: $vgpr22_vgpr23
	s_mov_b64 s[42:43], s[26:27]
	s_branch .LBB1581_76
.LBB1581_79:
	s_or_b64 exec, exec, s[8:9]
	v_cmp_gt_i64_e32 vcc, s[26:27], v[24:25]
	s_orn2_b64 s[40:41], vcc, exec
.LBB1581_80:
	s_or_b64 exec, exec, s[10:11]
.LBB1581_81:
	s_and_b64 s[10:11], s[40:41], exec
.LBB1581_82:
	s_or_b64 exec, exec, s[38:39]
	v_or_b32_e32 v20, 2, v1
	v_cmp_gt_u32_e32 vcc, s48, v20
	s_and_saveexec_b64 s[38:39], vcc
	s_cbranch_execz .LBB1581_93
; %bb.83:
	s_and_b64 vcc, exec, s[4:5]
	s_mov_b64 s[40:41], 0
	s_cbranch_vccnz .LBB1581_92
; %bb.84:
	s_waitcnt lgkmcnt(0)
	v_mul_lo_u32 v22, v17, s26
	v_mul_lo_u32 v23, v16, s27
	v_mad_u64_u32 v[20:21], s[6:7], v16, s26, 0
	v_add3_u32 v21, v21, v23, v22
	v_mul_lo_u32 v22, v11, s26
	v_mul_lo_u32 v23, v10, s27
	v_mad_u64_u32 v[26:27], s[6:7], v10, s26, 0
	v_add3_u32 v27, v27, v23, v22
	v_lshlrev_b64 v[22:23], 2, v[20:21]
	v_mov_b32_e32 v20, s17
	v_add_co_u32_e32 v24, vcc, s16, v22
	v_addc_co_u32_e64 v25, s[6:7], v20, v23, vcc
	v_lshlrev_b64 v[20:21], 2, v[26:27]
	v_mov_b32_e32 v22, s17
	v_add_co_u32_e64 v26, s[6:7], s16, v20
	v_addc_co_u32_e64 v27, s[8:9], v22, v21, s[6:7]
	global_load_dword v20, v[24:25], off
	global_load_dword v22, v[26:27], off
	s_mov_b64 s[40:41], -1
	s_waitcnt vmcnt(0)
	v_cmp_eq_u32_e64 s[8:9], v20, v22
	s_and_saveexec_b64 s[14:15], s[8:9]
	s_cbranch_execz .LBB1581_91
; %bb.85:
	v_mov_b32_e32 v20, s17
	v_addc_co_u32_e64 v21, s[6:7], v21, v20, s[6:7]
	v_add_co_u32_e64 v20, s[6:7], 4, v26
	v_mov_b32_e32 v22, s17
	v_addc_co_u32_e64 v21, s[6:7], 0, v21, s[6:7]
	v_addc_co_u32_e32 v23, vcc, v23, v22, vcc
	v_add_co_u32_e32 v22, vcc, 4, v24
	s_add_u32 s6, s26, -1
	v_addc_co_u32_e32 v23, vcc, 0, v23, vcc
	s_addc_u32 s7, s27, -1
	s_mov_b64 s[8:9], 0
	s_mov_b64 s[42:43], 0
                                        ; implicit-def: $sgpr40_sgpr41
	s_branch .LBB1581_88
.LBB1581_86:                            ;   in Loop: Header=BB1581_88 Depth=1
	global_load_dword v24, v[22:23], off
	global_load_dword v25, v[20:21], off
	v_add_co_u32_e32 v20, vcc, 4, v20
	v_addc_co_u32_e32 v21, vcc, 0, v21, vcc
	v_add_co_u32_e32 v22, vcc, 4, v22
	v_addc_co_u32_e32 v23, vcc, 0, v23, vcc
	s_add_u32 s42, s42, 1
	s_addc_u32 s43, s43, 0
	s_andn2_b64 s[40:41], s[40:41], exec
	s_waitcnt vmcnt(0)
	v_cmp_ne_u32_e32 vcc, v24, v25
	s_and_b64 s[44:45], vcc, exec
	s_or_b64 s[40:41], s[40:41], s[44:45]
.LBB1581_87:                            ;   in Loop: Header=BB1581_88 Depth=1
	s_and_b64 s[44:45], exec, s[40:41]
	s_or_b64 s[8:9], s[44:45], s[8:9]
	v_pk_mov_b32 v[24:25], s[42:43], s[42:43] op_sel:[0,1]
	s_andn2_b64 exec, exec, s[8:9]
	s_cbranch_execz .LBB1581_90
.LBB1581_88:                            ; =>This Inner Loop Header: Depth=1
	s_or_b64 s[40:41], s[40:41], exec
	s_cmp_eq_u64 s[6:7], s[42:43]
	s_cbranch_scc0 .LBB1581_86
; %bb.89:                               ;   in Loop: Header=BB1581_88 Depth=1
                                        ; implicit-def: $vgpr20_vgpr21
                                        ; implicit-def: $vgpr22_vgpr23
	s_mov_b64 s[42:43], s[26:27]
	s_branch .LBB1581_87
.LBB1581_90:
	s_or_b64 exec, exec, s[8:9]
	v_cmp_gt_i64_e32 vcc, s[26:27], v[24:25]
	s_orn2_b64 s[40:41], vcc, exec
.LBB1581_91:
	s_or_b64 exec, exec, s[14:15]
.LBB1581_92:
	s_and_b64 s[14:15], s[40:41], exec
.LBB1581_93:
	s_or_b64 exec, exec, s[38:39]
	v_or_b32_e32 v20, 1, v1
	v_cmp_gt_u32_e32 vcc, s48, v20
	s_mov_b64 s[6:7], 0
	s_and_saveexec_b64 s[38:39], vcc
	s_cbranch_execz .LBB1581_104
; %bb.94:
	s_and_b64 vcc, exec, s[4:5]
	s_mov_b64 s[42:43], 0
	s_cbranch_vccnz .LBB1581_103
; %bb.95:
	s_waitcnt lgkmcnt(0)
	v_mul_lo_u32 v22, v15, s26
	v_mul_lo_u32 v23, v14, s27
	v_mad_u64_u32 v[20:21], s[6:7], v14, s26, 0
	v_add3_u32 v21, v21, v23, v22
	v_mul_lo_u32 v22, v17, s26
	v_mul_lo_u32 v23, v16, s27
	v_mad_u64_u32 v[26:27], s[6:7], v16, s26, 0
	v_add3_u32 v27, v27, v23, v22
	v_lshlrev_b64 v[22:23], 2, v[20:21]
	v_mov_b32_e32 v20, s17
	v_add_co_u32_e32 v24, vcc, s16, v22
	v_addc_co_u32_e64 v25, s[6:7], v20, v23, vcc
	v_lshlrev_b64 v[20:21], 2, v[26:27]
	v_mov_b32_e32 v22, s17
	v_add_co_u32_e64 v26, s[6:7], s16, v20
	v_addc_co_u32_e64 v27, s[8:9], v22, v21, s[6:7]
	global_load_dword v20, v[24:25], off
	global_load_dword v22, v[26:27], off
	s_mov_b64 s[42:43], -1
	s_waitcnt vmcnt(0)
	v_cmp_eq_u32_e64 s[8:9], v20, v22
	s_and_saveexec_b64 s[40:41], s[8:9]
	s_cbranch_execz .LBB1581_102
; %bb.96:
	v_mov_b32_e32 v20, s17
	v_addc_co_u32_e64 v21, s[6:7], v21, v20, s[6:7]
	v_add_co_u32_e64 v20, s[6:7], 4, v26
	v_mov_b32_e32 v22, s17
	v_addc_co_u32_e64 v21, s[6:7], 0, v21, s[6:7]
	v_addc_co_u32_e32 v23, vcc, v23, v22, vcc
	v_add_co_u32_e32 v22, vcc, 4, v24
	s_add_u32 s6, s26, -1
	v_addc_co_u32_e32 v23, vcc, 0, v23, vcc
	s_addc_u32 s7, s27, -1
	s_mov_b64 s[8:9], 0
	s_mov_b64 s[44:45], 0
                                        ; implicit-def: $sgpr42_sgpr43
	s_branch .LBB1581_99
.LBB1581_97:                            ;   in Loop: Header=BB1581_99 Depth=1
	global_load_dword v24, v[22:23], off
	global_load_dword v25, v[20:21], off
	v_add_co_u32_e32 v20, vcc, 4, v20
	v_addc_co_u32_e32 v21, vcc, 0, v21, vcc
	v_add_co_u32_e32 v22, vcc, 4, v22
	v_addc_co_u32_e32 v23, vcc, 0, v23, vcc
	s_add_u32 s44, s44, 1
	s_addc_u32 s45, s45, 0
	s_andn2_b64 s[42:43], s[42:43], exec
	s_waitcnt vmcnt(0)
	v_cmp_ne_u32_e32 vcc, v24, v25
	s_and_b64 s[46:47], vcc, exec
	s_or_b64 s[42:43], s[42:43], s[46:47]
.LBB1581_98:                            ;   in Loop: Header=BB1581_99 Depth=1
	s_and_b64 s[46:47], exec, s[42:43]
	s_or_b64 s[8:9], s[46:47], s[8:9]
	v_pk_mov_b32 v[24:25], s[44:45], s[44:45] op_sel:[0,1]
	s_andn2_b64 exec, exec, s[8:9]
	s_cbranch_execz .LBB1581_101
.LBB1581_99:                            ; =>This Inner Loop Header: Depth=1
	s_or_b64 s[42:43], s[42:43], exec
	s_cmp_eq_u64 s[6:7], s[44:45]
	s_cbranch_scc0 .LBB1581_97
; %bb.100:                              ;   in Loop: Header=BB1581_99 Depth=1
                                        ; implicit-def: $vgpr20_vgpr21
                                        ; implicit-def: $vgpr22_vgpr23
	s_mov_b64 s[44:45], s[26:27]
	s_branch .LBB1581_98
.LBB1581_101:
	s_or_b64 exec, exec, s[8:9]
	v_cmp_gt_i64_e32 vcc, s[26:27], v[24:25]
	s_orn2_b64 s[42:43], vcc, exec
.LBB1581_102:
	s_or_b64 exec, exec, s[40:41]
.LBB1581_103:
	s_and_b64 s[6:7], s[42:43], exec
.LBB1581_104:
	s_or_b64 exec, exec, s[38:39]
	s_waitcnt lgkmcnt(0)
	s_barrier
	s_and_saveexec_b64 s[8:9], s[2:3]
	s_cbranch_execz .LBB1581_106
; %bb.105:
	s_waitcnt vmcnt(0)
	v_add_u32_e32 v18, -8, v29
	ds_read_b64 v[18:19], v18
.LBB1581_106:
	s_or_b64 exec, exec, s[8:9]
	v_cndmask_b32_e64 v21, 0, 1, s[10:11]
	v_cndmask_b32_e64 v20, 0, 1, s[14:15]
	;; [unrolled: 1-line block ×3, first 2 shown]
	v_lshlrev_b16_e32 v21, 8, v21
	v_lshlrev_b16_e32 v26, 8, v22
	v_or_b32_sdwa v27, v20, v21 dst_sel:WORD_1 dst_unused:UNUSED_PAD src0_sel:DWORD src1_sel:DWORD
	v_cmp_gt_u32_e32 vcc, s48, v1
	s_mov_b64 s[38:39], 0
	s_and_saveexec_b64 s[8:9], vcc
	s_cbranch_execz .LBB1581_117
; %bb.107:
	s_and_b64 vcc, exec, s[4:5]
	s_mov_b64 s[14:15], 0
	s_cbranch_vccnz .LBB1581_116
; %bb.108:
	s_waitcnt vmcnt(0) lgkmcnt(0)
	v_mul_lo_u32 v20, v19, s26
	v_mul_lo_u32 v21, v18, s27
	v_mad_u64_u32 v[18:19], s[4:5], v18, s26, 0
	v_add3_u32 v19, v19, v21, v20
	v_mul_lo_u32 v20, v15, s26
	v_mul_lo_u32 v21, v14, s27
	v_mad_u64_u32 v[24:25], s[4:5], v14, s26, 0
	v_add3_u32 v25, v25, v21, v20
	v_lshlrev_b64 v[20:21], 2, v[18:19]
	v_mov_b32_e32 v18, s17
	v_add_co_u32_e32 v22, vcc, s16, v20
	v_addc_co_u32_e64 v23, s[4:5], v18, v21, vcc
	v_lshlrev_b64 v[18:19], 2, v[24:25]
	v_mov_b32_e32 v20, s17
	v_add_co_u32_e64 v24, s[4:5], s16, v18
	v_addc_co_u32_e64 v25, s[6:7], v20, v19, s[4:5]
	global_load_dword v18, v[22:23], off
	global_load_dword v20, v[24:25], off
	s_mov_b64 s[14:15], -1
	s_waitcnt vmcnt(0)
	v_cmp_eq_u32_e64 s[6:7], v18, v20
	s_and_saveexec_b64 s[10:11], s[6:7]
	s_cbranch_execz .LBB1581_115
; %bb.109:
	v_mov_b32_e32 v18, s17
	v_addc_co_u32_e64 v19, s[4:5], v19, v18, s[4:5]
	v_add_co_u32_e64 v18, s[4:5], 4, v24
	v_mov_b32_e32 v20, s17
	v_addc_co_u32_e64 v19, s[4:5], 0, v19, s[4:5]
	v_addc_co_u32_e32 v21, vcc, v21, v20, vcc
	v_add_co_u32_e32 v20, vcc, 4, v22
	s_add_u32 s4, s26, -1
	v_addc_co_u32_e32 v21, vcc, 0, v21, vcc
	s_addc_u32 s5, s27, -1
	s_mov_b64 s[6:7], 0
                                        ; implicit-def: $sgpr14_sgpr15
	s_branch .LBB1581_112
.LBB1581_110:                           ;   in Loop: Header=BB1581_112 Depth=1
	global_load_dword v22, v[20:21], off
	global_load_dword v23, v[18:19], off
	v_add_co_u32_e32 v18, vcc, 4, v18
	v_addc_co_u32_e32 v19, vcc, 0, v19, vcc
	v_add_co_u32_e32 v20, vcc, 4, v20
	v_addc_co_u32_e32 v21, vcc, 0, v21, vcc
	s_add_u32 s38, s38, 1
	s_addc_u32 s39, s39, 0
	s_andn2_b64 s[14:15], s[14:15], exec
	s_waitcnt vmcnt(0)
	v_cmp_ne_u32_e32 vcc, v22, v23
	s_and_b64 s[40:41], vcc, exec
	s_or_b64 s[14:15], s[14:15], s[40:41]
.LBB1581_111:                           ;   in Loop: Header=BB1581_112 Depth=1
	s_and_b64 s[40:41], exec, s[14:15]
	s_or_b64 s[6:7], s[40:41], s[6:7]
	v_pk_mov_b32 v[22:23], s[38:39], s[38:39] op_sel:[0,1]
	s_andn2_b64 exec, exec, s[6:7]
	s_cbranch_execz .LBB1581_114
.LBB1581_112:                           ; =>This Inner Loop Header: Depth=1
	s_or_b64 s[14:15], s[14:15], exec
	s_cmp_eq_u64 s[4:5], s[38:39]
	s_cbranch_scc0 .LBB1581_110
; %bb.113:                              ;   in Loop: Header=BB1581_112 Depth=1
                                        ; implicit-def: $vgpr18_vgpr19
                                        ; implicit-def: $vgpr20_vgpr21
	s_mov_b64 s[38:39], s[26:27]
	s_branch .LBB1581_111
.LBB1581_114:
	s_or_b64 exec, exec, s[6:7]
	v_cmp_gt_i64_e32 vcc, s[26:27], v[22:23]
	s_orn2_b64 s[14:15], vcc, exec
.LBB1581_115:
	s_or_b64 exec, exec, s[10:11]
.LBB1581_116:
	s_and_b64 s[38:39], s[14:15], exec
.LBB1581_117:
	s_or_b64 exec, exec, s[8:9]
	v_or_b32_e32 v28, v26, v27
.LBB1581_118:
	s_mov_b64 s[14:15], -1
	s_cbranch_execnz .LBB1581_207
.LBB1581_119:
	v_lshlrev_b32_e32 v29, 3, v0
	s_mov_b64 s[38:39], 0
	v_cmp_gt_i64_e64 s[10:11], s[26:27], 0
	s_and_b64 vcc, exec, s[34:35]
	ds_write_b64 v29, v[12:13]
	s_cbranch_vccz .LBB1581_127
; %bb.120:
	v_mul_lo_u32 v20, v11, s26
	v_mul_lo_u32 v21, v10, s27
	s_waitcnt vmcnt(0) lgkmcnt(1)
	v_mad_u64_u32 v[18:19], s[4:5], v10, s26, 0
	v_add3_u32 v19, v19, v21, v20
	v_cndmask_b32_e64 v20, 0, 1, s[10:11]
	v_cmp_ne_u32_e64 s[4:5], 1, v20
	s_andn2_b64 vcc, exec, s[10:11]
	v_lshlrev_b64 v[18:19], 2, v[18:19]
	s_cbranch_vccnz .LBB1581_130
; %bb.121:
	v_mul_lo_u32 v22, v13, s26
	v_mul_lo_u32 v23, v12, s27
	v_mad_u64_u32 v[20:21], s[6:7], v12, s26, 0
	v_add3_u32 v21, v21, v23, v22
	v_mov_b32_e32 v23, s17
	v_add_co_u32_e32 v22, vcc, s16, v18
	v_addc_co_u32_e64 v23, s[6:7], v23, v19, vcc
	v_lshlrev_b64 v[20:21], 2, v[20:21]
	v_mov_b32_e32 v25, s17
	v_add_co_u32_e64 v24, s[6:7], s16, v20
	v_addc_co_u32_e64 v25, s[8:9], v25, v21, s[6:7]
	global_load_dword v20, v[22:23], off
	global_load_dword v26, v[24:25], off
	s_mov_b64 s[38:39], -1
	s_waitcnt vmcnt(0)
	v_cmp_eq_u32_e64 s[8:9], v20, v26
	s_and_saveexec_b64 s[40:41], s[8:9]
	s_cbranch_execz .LBB1581_129
; %bb.122:
	v_mov_b32_e32 v20, s17
	v_addc_co_u32_e64 v21, s[6:7], v21, v20, s[6:7]
	v_add_co_u32_e64 v20, s[6:7], 4, v24
	v_mov_b32_e32 v23, s17
	v_addc_co_u32_e64 v21, s[6:7], 0, v21, s[6:7]
	v_addc_co_u32_e32 v23, vcc, v19, v23, vcc
	v_add_co_u32_e32 v22, vcc, 4, v22
	s_add_u32 s6, s26, -1
	v_addc_co_u32_e32 v23, vcc, 0, v23, vcc
	s_addc_u32 s7, s27, -1
	s_mov_b64 s[8:9], 0
	s_mov_b64 s[42:43], 0
                                        ; implicit-def: $sgpr38_sgpr39
	s_branch .LBB1581_125
.LBB1581_123:                           ;   in Loop: Header=BB1581_125 Depth=1
	global_load_dword v24, v[22:23], off
	global_load_dword v25, v[20:21], off
	v_add_co_u32_e32 v20, vcc, 4, v20
	v_addc_co_u32_e32 v21, vcc, 0, v21, vcc
	v_add_co_u32_e32 v22, vcc, 4, v22
	v_addc_co_u32_e32 v23, vcc, 0, v23, vcc
	s_add_u32 s42, s42, 1
	s_addc_u32 s43, s43, 0
	s_andn2_b64 s[38:39], s[38:39], exec
	s_waitcnt vmcnt(0)
	v_cmp_ne_u32_e32 vcc, v24, v25
	s_and_b64 s[44:45], vcc, exec
	s_or_b64 s[38:39], s[38:39], s[44:45]
.LBB1581_124:                           ;   in Loop: Header=BB1581_125 Depth=1
	s_and_b64 s[44:45], exec, s[38:39]
	s_or_b64 s[8:9], s[44:45], s[8:9]
	v_pk_mov_b32 v[24:25], s[42:43], s[42:43] op_sel:[0,1]
	s_andn2_b64 exec, exec, s[8:9]
	s_cbranch_execz .LBB1581_128
.LBB1581_125:                           ; =>This Inner Loop Header: Depth=1
	s_or_b64 s[38:39], s[38:39], exec
	s_cmp_eq_u64 s[6:7], s[42:43]
	s_cbranch_scc0 .LBB1581_123
; %bb.126:                              ;   in Loop: Header=BB1581_125 Depth=1
                                        ; implicit-def: $vgpr20_vgpr21
                                        ; implicit-def: $vgpr22_vgpr23
	s_mov_b64 s[42:43], s[26:27]
	s_branch .LBB1581_124
.LBB1581_127:
                                        ; implicit-def: $sgpr38_sgpr39
                                        ; implicit-def: $vgpr28
	s_cbranch_execnz .LBB1581_160
	s_branch .LBB1581_207
.LBB1581_128:
	s_or_b64 exec, exec, s[8:9]
	v_cmp_gt_i64_e32 vcc, s[26:27], v[24:25]
	s_orn2_b64 s[38:39], vcc, exec
.LBB1581_129:
	s_or_b64 exec, exec, s[40:41]
.LBB1581_130:
	v_mul_lo_u32 v22, v17, s26
	v_mul_lo_u32 v23, v16, s27
	v_mad_u64_u32 v[20:21], s[6:7], v16, s26, 0
	v_add3_u32 v21, v21, v23, v22
	s_mov_b64 s[40:41], 0
	s_and_b64 vcc, exec, s[4:5]
	v_lshlrev_b64 v[20:21], 2, v[20:21]
	s_mov_b64 s[42:43], 0
	s_cbranch_vccnz .LBB1581_139
; %bb.131:
	v_mov_b32_e32 v23, s17
	v_add_co_u32_e32 v22, vcc, s16, v20
	v_addc_co_u32_e64 v23, s[6:7], v23, v21, vcc
	v_mov_b32_e32 v25, s17
	v_add_co_u32_e64 v24, s[6:7], s16, v18
	v_addc_co_u32_e64 v25, s[8:9], v25, v19, s[6:7]
	global_load_dword v18, v[22:23], off
	global_load_dword v26, v[24:25], off
	s_mov_b64 s[42:43], -1
	s_waitcnt vmcnt(0)
	v_cmp_eq_u32_e64 s[8:9], v18, v26
	s_and_saveexec_b64 s[44:45], s[8:9]
	s_cbranch_execz .LBB1581_138
; %bb.132:
	v_mov_b32_e32 v18, s17
	v_addc_co_u32_e64 v19, s[6:7], v19, v18, s[6:7]
	v_add_co_u32_e64 v18, s[6:7], 4, v24
	v_mov_b32_e32 v23, s17
	v_addc_co_u32_e64 v19, s[6:7], 0, v19, s[6:7]
	v_addc_co_u32_e32 v23, vcc, v21, v23, vcc
	v_add_co_u32_e32 v22, vcc, 4, v22
	s_add_u32 s6, s26, -1
	v_addc_co_u32_e32 v23, vcc, 0, v23, vcc
	s_addc_u32 s7, s27, -1
	s_mov_b64 s[8:9], 0
	s_mov_b64 s[46:47], 0
                                        ; implicit-def: $sgpr42_sgpr43
	s_branch .LBB1581_135
.LBB1581_133:                           ;   in Loop: Header=BB1581_135 Depth=1
	global_load_dword v24, v[22:23], off
	global_load_dword v25, v[18:19], off
	v_add_co_u32_e32 v18, vcc, 4, v18
	v_addc_co_u32_e32 v19, vcc, 0, v19, vcc
	v_add_co_u32_e32 v22, vcc, 4, v22
	v_addc_co_u32_e32 v23, vcc, 0, v23, vcc
	s_add_u32 s46, s46, 1
	s_addc_u32 s47, s47, 0
	s_andn2_b64 s[42:43], s[42:43], exec
	s_waitcnt vmcnt(0)
	v_cmp_ne_u32_e32 vcc, v24, v25
	s_and_b64 s[50:51], vcc, exec
	s_or_b64 s[42:43], s[42:43], s[50:51]
.LBB1581_134:                           ;   in Loop: Header=BB1581_135 Depth=1
	s_and_b64 s[50:51], exec, s[42:43]
	s_or_b64 s[8:9], s[50:51], s[8:9]
	v_pk_mov_b32 v[24:25], s[46:47], s[46:47] op_sel:[0,1]
	s_andn2_b64 exec, exec, s[8:9]
	s_cbranch_execz .LBB1581_137
.LBB1581_135:                           ; =>This Inner Loop Header: Depth=1
	s_or_b64 s[42:43], s[42:43], exec
	s_cmp_eq_u64 s[6:7], s[46:47]
	s_cbranch_scc0 .LBB1581_133
; %bb.136:                              ;   in Loop: Header=BB1581_135 Depth=1
                                        ; implicit-def: $vgpr18_vgpr19
                                        ; implicit-def: $vgpr22_vgpr23
	s_mov_b64 s[46:47], s[26:27]
	s_branch .LBB1581_134
.LBB1581_137:
	s_or_b64 exec, exec, s[8:9]
	v_cmp_gt_i64_e32 vcc, s[26:27], v[24:25]
	s_orn2_b64 s[42:43], vcc, exec
.LBB1581_138:
	s_or_b64 exec, exec, s[44:45]
.LBB1581_139:
	v_mul_lo_u32 v22, v15, s26
	v_mul_lo_u32 v23, v14, s27
	v_mad_u64_u32 v[18:19], s[6:7], v14, s26, 0
	s_and_b64 vcc, exec, s[4:5]
	v_add3_u32 v19, v19, v23, v22
	s_cbranch_vccnz .LBB1581_148
; %bb.140:
	v_lshlrev_b64 v[22:23], 2, v[18:19]
	v_mov_b32_e32 v25, s17
	v_add_co_u32_e32 v24, vcc, s16, v22
	v_addc_co_u32_e64 v25, s[6:7], v25, v23, vcc
	v_mov_b32_e32 v22, s17
	v_add_co_u32_e64 v26, s[6:7], s16, v20
	v_addc_co_u32_e64 v27, s[8:9], v22, v21, s[6:7]
	global_load_dword v20, v[24:25], off
	global_load_dword v22, v[26:27], off
	s_mov_b64 s[40:41], -1
	s_waitcnt vmcnt(0)
	v_cmp_eq_u32_e64 s[8:9], v20, v22
	s_and_saveexec_b64 s[44:45], s[8:9]
	s_cbranch_execz .LBB1581_147
; %bb.141:
	v_mov_b32_e32 v20, s17
	v_addc_co_u32_e64 v21, s[6:7], v21, v20, s[6:7]
	v_add_co_u32_e64 v20, s[6:7], 4, v26
	v_mov_b32_e32 v22, s17
	v_addc_co_u32_e64 v21, s[6:7], 0, v21, s[6:7]
	v_addc_co_u32_e32 v23, vcc, v23, v22, vcc
	v_add_co_u32_e32 v22, vcc, 4, v24
	s_add_u32 s6, s26, -1
	v_addc_co_u32_e32 v23, vcc, 0, v23, vcc
	s_addc_u32 s7, s27, -1
	s_mov_b64 s[8:9], 0
	s_mov_b64 s[46:47], 0
                                        ; implicit-def: $sgpr40_sgpr41
	s_branch .LBB1581_144
.LBB1581_142:                           ;   in Loop: Header=BB1581_144 Depth=1
	global_load_dword v24, v[22:23], off
	global_load_dword v25, v[20:21], off
	v_add_co_u32_e32 v20, vcc, 4, v20
	v_addc_co_u32_e32 v21, vcc, 0, v21, vcc
	v_add_co_u32_e32 v22, vcc, 4, v22
	v_addc_co_u32_e32 v23, vcc, 0, v23, vcc
	s_add_u32 s46, s46, 1
	s_addc_u32 s47, s47, 0
	s_andn2_b64 s[40:41], s[40:41], exec
	s_waitcnt vmcnt(0)
	v_cmp_ne_u32_e32 vcc, v24, v25
	s_and_b64 s[50:51], vcc, exec
	s_or_b64 s[40:41], s[40:41], s[50:51]
.LBB1581_143:                           ;   in Loop: Header=BB1581_144 Depth=1
	s_and_b64 s[50:51], exec, s[40:41]
	s_or_b64 s[8:9], s[50:51], s[8:9]
	v_pk_mov_b32 v[24:25], s[46:47], s[46:47] op_sel:[0,1]
	s_andn2_b64 exec, exec, s[8:9]
	s_cbranch_execz .LBB1581_146
.LBB1581_144:                           ; =>This Inner Loop Header: Depth=1
	s_or_b64 s[40:41], s[40:41], exec
	s_cmp_eq_u64 s[6:7], s[46:47]
	s_cbranch_scc0 .LBB1581_142
; %bb.145:                              ;   in Loop: Header=BB1581_144 Depth=1
                                        ; implicit-def: $vgpr20_vgpr21
                                        ; implicit-def: $vgpr22_vgpr23
	s_mov_b64 s[46:47], s[26:27]
	s_branch .LBB1581_143
.LBB1581_146:
	s_or_b64 exec, exec, s[8:9]
	v_cmp_gt_i64_e32 vcc, s[26:27], v[24:25]
	s_orn2_b64 s[40:41], vcc, exec
.LBB1581_147:
	s_or_b64 exec, exec, s[44:45]
.LBB1581_148:
	v_cndmask_b32_e64 v21, 0, 1, s[38:39]
	v_cndmask_b32_e64 v22, 0, 1, s[40:41]
	;; [unrolled: 1-line block ×3, first 2 shown]
	v_lshlrev_b16_e32 v22, 8, v22
	v_lshlrev_b16_e32 v21, 8, v21
	v_or_b32_e32 v22, 1, v22
	v_or_b32_sdwa v20, v20, v21 dst_sel:WORD_1 dst_unused:UNUSED_PAD src0_sel:DWORD src1_sel:DWORD
	v_or_b32_sdwa v28, v22, v20 dst_sel:DWORD dst_unused:UNUSED_PAD src0_sel:WORD_0 src1_sel:DWORD
	s_waitcnt lgkmcnt(0)
	s_barrier
	s_waitcnt lgkmcnt(0)
                                        ; implicit-def: $sgpr38_sgpr39
	s_and_saveexec_b64 s[6:7], s[2:3]
	s_xor_b64 s[8:9], exec, s[6:7]
	s_cbranch_execz .LBB1581_159
; %bb.149:
	s_and_b64 vcc, exec, s[4:5]
	s_mov_b64 s[40:41], 0
	s_cbranch_vccnz .LBB1581_158
; %bb.150:
	v_add_u32_e32 v20, -8, v29
	ds_read_b64 v[20:21], v20
	v_mov_b32_e32 v23, s17
	v_lshlrev_b64 v[18:19], 2, v[18:19]
	s_mov_b64 s[40:41], -1
	s_waitcnt lgkmcnt(0)
	v_mul_lo_u32 v22, v21, s26
	v_mul_lo_u32 v24, v20, s27
	v_mad_u64_u32 v[20:21], s[4:5], v20, s26, 0
	v_add3_u32 v21, v21, v24, v22
	v_lshlrev_b64 v[20:21], 2, v[20:21]
	v_add_co_u32_e32 v22, vcc, s16, v20
	v_addc_co_u32_e64 v23, s[4:5], v23, v21, vcc
	v_mov_b32_e32 v20, s17
	v_add_co_u32_e64 v24, s[4:5], s16, v18
	v_addc_co_u32_e64 v25, s[6:7], v20, v19, s[4:5]
	global_load_dword v18, v[22:23], off
	global_load_dword v20, v[24:25], off
	s_waitcnt vmcnt(0)
	v_cmp_eq_u32_e64 s[6:7], v18, v20
	s_and_saveexec_b64 s[38:39], s[6:7]
	s_cbranch_execz .LBB1581_157
; %bb.151:
	v_mov_b32_e32 v18, s17
	v_addc_co_u32_e64 v19, s[4:5], v19, v18, s[4:5]
	v_add_co_u32_e64 v18, s[4:5], 4, v24
	v_mov_b32_e32 v20, s17
	v_addc_co_u32_e64 v19, s[4:5], 0, v19, s[4:5]
	v_addc_co_u32_e32 v21, vcc, v21, v20, vcc
	v_add_co_u32_e32 v20, vcc, 4, v22
	s_add_u32 s4, s26, -1
	v_addc_co_u32_e32 v21, vcc, 0, v21, vcc
	s_addc_u32 s5, s27, -1
	s_mov_b64 s[6:7], 0
	s_mov_b64 s[42:43], 0
                                        ; implicit-def: $sgpr40_sgpr41
	s_branch .LBB1581_154
.LBB1581_152:                           ;   in Loop: Header=BB1581_154 Depth=1
	global_load_dword v22, v[20:21], off
	global_load_dword v23, v[18:19], off
	v_add_co_u32_e32 v18, vcc, 4, v18
	v_addc_co_u32_e32 v19, vcc, 0, v19, vcc
	v_add_co_u32_e32 v20, vcc, 4, v20
	v_addc_co_u32_e32 v21, vcc, 0, v21, vcc
	s_add_u32 s42, s42, 1
	s_addc_u32 s43, s43, 0
	s_andn2_b64 s[40:41], s[40:41], exec
	s_waitcnt vmcnt(0)
	v_cmp_ne_u32_e32 vcc, v22, v23
	s_and_b64 s[44:45], vcc, exec
	s_or_b64 s[40:41], s[40:41], s[44:45]
.LBB1581_153:                           ;   in Loop: Header=BB1581_154 Depth=1
	s_and_b64 s[44:45], exec, s[40:41]
	s_or_b64 s[6:7], s[44:45], s[6:7]
	v_pk_mov_b32 v[22:23], s[42:43], s[42:43] op_sel:[0,1]
	s_andn2_b64 exec, exec, s[6:7]
	s_cbranch_execz .LBB1581_156
.LBB1581_154:                           ; =>This Inner Loop Header: Depth=1
	s_or_b64 s[40:41], s[40:41], exec
	s_cmp_eq_u64 s[4:5], s[42:43]
	s_cbranch_scc0 .LBB1581_152
; %bb.155:                              ;   in Loop: Header=BB1581_154 Depth=1
                                        ; implicit-def: $vgpr18_vgpr19
                                        ; implicit-def: $vgpr20_vgpr21
	s_mov_b64 s[42:43], s[26:27]
	s_branch .LBB1581_153
.LBB1581_156:
	s_or_b64 exec, exec, s[6:7]
	v_cmp_gt_i64_e32 vcc, s[26:27], v[22:23]
	s_orn2_b64 s[40:41], vcc, exec
.LBB1581_157:
	s_or_b64 exec, exec, s[38:39]
.LBB1581_158:
	s_and_b64 s[38:39], s[40:41], exec
	s_or_b64 s[14:15], s[14:15], exec
.LBB1581_159:
	s_or_b64 exec, exec, s[8:9]
	s_branch .LBB1581_207
.LBB1581_160:
	s_waitcnt vmcnt(0) lgkmcnt(1)
	v_or_b32_e32 v18, 3, v1
	v_cmp_gt_u32_e32 vcc, s48, v18
	s_mov_b64 s[38:39], 0
	s_mov_b64 s[8:9], 0
	s_and_saveexec_b64 s[40:41], vcc
	s_cbranch_execz .LBB1581_171
; %bb.161:
	s_andn2_b64 vcc, exec, s[10:11]
	s_mov_b64 s[42:43], 0
	s_cbranch_vccnz .LBB1581_170
; %bb.162:
	v_mul_lo_u32 v20, v11, s26
	v_mul_lo_u32 v21, v10, s27
	v_mad_u64_u32 v[18:19], s[4:5], v10, s26, 0
	v_add3_u32 v19, v19, v21, v20
	v_mul_lo_u32 v20, v13, s26
	v_mul_lo_u32 v21, v12, s27
	v_mad_u64_u32 v[24:25], s[4:5], v12, s26, 0
	v_add3_u32 v25, v25, v21, v20
	v_lshlrev_b64 v[20:21], 2, v[18:19]
	v_mov_b32_e32 v18, s17
	v_add_co_u32_e32 v22, vcc, s16, v20
	v_addc_co_u32_e64 v23, s[4:5], v18, v21, vcc
	v_lshlrev_b64 v[18:19], 2, v[24:25]
	v_mov_b32_e32 v20, s17
	v_add_co_u32_e64 v24, s[4:5], s16, v18
	v_addc_co_u32_e64 v25, s[6:7], v20, v19, s[4:5]
	global_load_dword v18, v[22:23], off
	global_load_dword v20, v[24:25], off
	s_mov_b64 s[42:43], -1
	s_waitcnt vmcnt(0)
	v_cmp_eq_u32_e64 s[6:7], v18, v20
	s_and_saveexec_b64 s[8:9], s[6:7]
	s_cbranch_execz .LBB1581_169
; %bb.163:
	v_mov_b32_e32 v18, s17
	v_addc_co_u32_e64 v19, s[4:5], v19, v18, s[4:5]
	v_add_co_u32_e64 v18, s[4:5], 4, v24
	v_mov_b32_e32 v20, s17
	v_addc_co_u32_e64 v19, s[4:5], 0, v19, s[4:5]
	v_addc_co_u32_e32 v21, vcc, v21, v20, vcc
	v_add_co_u32_e32 v20, vcc, 4, v22
	s_add_u32 s4, s26, -1
	v_addc_co_u32_e32 v21, vcc, 0, v21, vcc
	s_addc_u32 s5, s27, -1
	s_mov_b64 s[6:7], 0
	s_mov_b64 s[44:45], 0
                                        ; implicit-def: $sgpr42_sgpr43
	s_branch .LBB1581_166
.LBB1581_164:                           ;   in Loop: Header=BB1581_166 Depth=1
	global_load_dword v22, v[20:21], off
	global_load_dword v23, v[18:19], off
	v_add_co_u32_e32 v18, vcc, 4, v18
	v_addc_co_u32_e32 v19, vcc, 0, v19, vcc
	v_add_co_u32_e32 v20, vcc, 4, v20
	v_addc_co_u32_e32 v21, vcc, 0, v21, vcc
	s_add_u32 s44, s44, 1
	s_addc_u32 s45, s45, 0
	s_andn2_b64 s[42:43], s[42:43], exec
	s_waitcnt vmcnt(0)
	v_cmp_ne_u32_e32 vcc, v22, v23
	s_and_b64 s[46:47], vcc, exec
	s_or_b64 s[42:43], s[42:43], s[46:47]
.LBB1581_165:                           ;   in Loop: Header=BB1581_166 Depth=1
	s_and_b64 s[46:47], exec, s[42:43]
	s_or_b64 s[6:7], s[46:47], s[6:7]
	v_pk_mov_b32 v[22:23], s[44:45], s[44:45] op_sel:[0,1]
	s_andn2_b64 exec, exec, s[6:7]
	s_cbranch_execz .LBB1581_168
.LBB1581_166:                           ; =>This Inner Loop Header: Depth=1
	s_or_b64 s[42:43], s[42:43], exec
	s_cmp_eq_u64 s[4:5], s[44:45]
	s_cbranch_scc0 .LBB1581_164
; %bb.167:                              ;   in Loop: Header=BB1581_166 Depth=1
                                        ; implicit-def: $vgpr18_vgpr19
                                        ; implicit-def: $vgpr20_vgpr21
	s_mov_b64 s[44:45], s[26:27]
	s_branch .LBB1581_165
.LBB1581_168:
	s_or_b64 exec, exec, s[6:7]
	v_cmp_gt_i64_e32 vcc, s[26:27], v[22:23]
	s_orn2_b64 s[42:43], vcc, exec
.LBB1581_169:
	s_or_b64 exec, exec, s[8:9]
.LBB1581_170:
	s_and_b64 s[8:9], s[42:43], exec
.LBB1581_171:
	s_or_b64 exec, exec, s[40:41]
	v_or_b32_e32 v18, 2, v1
	v_cmp_gt_u32_e32 vcc, s48, v18
	s_and_saveexec_b64 s[40:41], vcc
	s_cbranch_execz .LBB1581_182
; %bb.172:
	s_andn2_b64 vcc, exec, s[10:11]
	s_mov_b64 s[42:43], 0
	s_cbranch_vccnz .LBB1581_181
; %bb.173:
	v_mul_lo_u32 v20, v17, s26
	v_mul_lo_u32 v21, v16, s27
	v_mad_u64_u32 v[18:19], s[4:5], v16, s26, 0
	v_add3_u32 v19, v19, v21, v20
	v_mul_lo_u32 v20, v11, s26
	v_mul_lo_u32 v21, v10, s27
	v_mad_u64_u32 v[24:25], s[4:5], v10, s26, 0
	v_add3_u32 v25, v25, v21, v20
	v_lshlrev_b64 v[20:21], 2, v[18:19]
	v_mov_b32_e32 v18, s17
	v_add_co_u32_e32 v22, vcc, s16, v20
	v_addc_co_u32_e64 v23, s[4:5], v18, v21, vcc
	v_lshlrev_b64 v[18:19], 2, v[24:25]
	v_mov_b32_e32 v20, s17
	v_add_co_u32_e64 v24, s[4:5], s16, v18
	v_addc_co_u32_e64 v25, s[6:7], v20, v19, s[4:5]
	global_load_dword v18, v[22:23], off
	global_load_dword v20, v[24:25], off
	s_mov_b64 s[42:43], -1
	s_waitcnt vmcnt(0)
	v_cmp_eq_u32_e64 s[6:7], v18, v20
	s_and_saveexec_b64 s[38:39], s[6:7]
	s_cbranch_execz .LBB1581_180
; %bb.174:
	v_mov_b32_e32 v18, s17
	v_addc_co_u32_e64 v19, s[4:5], v19, v18, s[4:5]
	v_add_co_u32_e64 v18, s[4:5], 4, v24
	v_mov_b32_e32 v20, s17
	v_addc_co_u32_e64 v19, s[4:5], 0, v19, s[4:5]
	v_addc_co_u32_e32 v21, vcc, v21, v20, vcc
	v_add_co_u32_e32 v20, vcc, 4, v22
	s_add_u32 s4, s26, -1
	v_addc_co_u32_e32 v21, vcc, 0, v21, vcc
	s_addc_u32 s5, s27, -1
	s_mov_b64 s[6:7], 0
	s_mov_b64 s[44:45], 0
                                        ; implicit-def: $sgpr42_sgpr43
	s_branch .LBB1581_177
.LBB1581_175:                           ;   in Loop: Header=BB1581_177 Depth=1
	global_load_dword v22, v[20:21], off
	global_load_dword v23, v[18:19], off
	v_add_co_u32_e32 v18, vcc, 4, v18
	v_addc_co_u32_e32 v19, vcc, 0, v19, vcc
	v_add_co_u32_e32 v20, vcc, 4, v20
	v_addc_co_u32_e32 v21, vcc, 0, v21, vcc
	s_add_u32 s44, s44, 1
	s_addc_u32 s45, s45, 0
	s_andn2_b64 s[42:43], s[42:43], exec
	s_waitcnt vmcnt(0)
	v_cmp_ne_u32_e32 vcc, v22, v23
	s_and_b64 s[46:47], vcc, exec
	s_or_b64 s[42:43], s[42:43], s[46:47]
.LBB1581_176:                           ;   in Loop: Header=BB1581_177 Depth=1
	s_and_b64 s[46:47], exec, s[42:43]
	s_or_b64 s[6:7], s[46:47], s[6:7]
	v_pk_mov_b32 v[22:23], s[44:45], s[44:45] op_sel:[0,1]
	s_andn2_b64 exec, exec, s[6:7]
	s_cbranch_execz .LBB1581_179
.LBB1581_177:                           ; =>This Inner Loop Header: Depth=1
	s_or_b64 s[42:43], s[42:43], exec
	s_cmp_eq_u64 s[4:5], s[44:45]
	s_cbranch_scc0 .LBB1581_175
; %bb.178:                              ;   in Loop: Header=BB1581_177 Depth=1
                                        ; implicit-def: $vgpr18_vgpr19
                                        ; implicit-def: $vgpr20_vgpr21
	s_mov_b64 s[44:45], s[26:27]
	s_branch .LBB1581_176
.LBB1581_179:
	s_or_b64 exec, exec, s[6:7]
	v_cmp_gt_i64_e32 vcc, s[26:27], v[22:23]
	s_orn2_b64 s[42:43], vcc, exec
.LBB1581_180:
	s_or_b64 exec, exec, s[38:39]
.LBB1581_181:
	s_and_b64 s[38:39], s[42:43], exec
.LBB1581_182:
	s_or_b64 exec, exec, s[40:41]
	v_or_b32_e32 v18, 1, v1
	v_cmp_gt_u32_e32 vcc, s48, v18
	s_mov_b64 s[4:5], 0
	s_and_saveexec_b64 s[40:41], vcc
	s_cbranch_execz .LBB1581_193
; %bb.183:
	s_andn2_b64 vcc, exec, s[10:11]
	s_mov_b64 s[44:45], 0
	s_cbranch_vccnz .LBB1581_192
; %bb.184:
	v_mul_lo_u32 v20, v15, s26
	v_mul_lo_u32 v21, v14, s27
	v_mad_u64_u32 v[18:19], s[4:5], v14, s26, 0
	v_add3_u32 v19, v19, v21, v20
	v_mul_lo_u32 v20, v17, s26
	v_mul_lo_u32 v21, v16, s27
	v_mad_u64_u32 v[24:25], s[4:5], v16, s26, 0
	v_add3_u32 v25, v25, v21, v20
	v_lshlrev_b64 v[20:21], 2, v[18:19]
	v_mov_b32_e32 v18, s17
	v_add_co_u32_e32 v22, vcc, s16, v20
	v_addc_co_u32_e64 v23, s[4:5], v18, v21, vcc
	v_lshlrev_b64 v[18:19], 2, v[24:25]
	v_mov_b32_e32 v20, s17
	v_add_co_u32_e64 v24, s[4:5], s16, v18
	v_addc_co_u32_e64 v25, s[6:7], v20, v19, s[4:5]
	global_load_dword v18, v[22:23], off
	global_load_dword v20, v[24:25], off
	s_mov_b64 s[44:45], -1
	s_waitcnt vmcnt(0)
	v_cmp_eq_u32_e64 s[6:7], v18, v20
	s_and_saveexec_b64 s[42:43], s[6:7]
	s_cbranch_execz .LBB1581_191
; %bb.185:
	v_mov_b32_e32 v18, s17
	v_addc_co_u32_e64 v19, s[4:5], v19, v18, s[4:5]
	v_add_co_u32_e64 v18, s[4:5], 4, v24
	v_mov_b32_e32 v20, s17
	v_addc_co_u32_e64 v19, s[4:5], 0, v19, s[4:5]
	v_addc_co_u32_e32 v21, vcc, v21, v20, vcc
	v_add_co_u32_e32 v20, vcc, 4, v22
	s_add_u32 s4, s26, -1
	v_addc_co_u32_e32 v21, vcc, 0, v21, vcc
	s_addc_u32 s5, s27, -1
	s_mov_b64 s[6:7], 0
	s_mov_b64 s[46:47], 0
                                        ; implicit-def: $sgpr44_sgpr45
	s_branch .LBB1581_188
.LBB1581_186:                           ;   in Loop: Header=BB1581_188 Depth=1
	global_load_dword v22, v[20:21], off
	global_load_dword v23, v[18:19], off
	v_add_co_u32_e32 v18, vcc, 4, v18
	v_addc_co_u32_e32 v19, vcc, 0, v19, vcc
	v_add_co_u32_e32 v20, vcc, 4, v20
	v_addc_co_u32_e32 v21, vcc, 0, v21, vcc
	s_add_u32 s46, s46, 1
	s_addc_u32 s47, s47, 0
	s_andn2_b64 s[44:45], s[44:45], exec
	s_waitcnt vmcnt(0)
	v_cmp_ne_u32_e32 vcc, v22, v23
	s_and_b64 s[50:51], vcc, exec
	s_or_b64 s[44:45], s[44:45], s[50:51]
.LBB1581_187:                           ;   in Loop: Header=BB1581_188 Depth=1
	s_and_b64 s[50:51], exec, s[44:45]
	s_or_b64 s[6:7], s[50:51], s[6:7]
	v_pk_mov_b32 v[22:23], s[46:47], s[46:47] op_sel:[0,1]
	s_andn2_b64 exec, exec, s[6:7]
	s_cbranch_execz .LBB1581_190
.LBB1581_188:                           ; =>This Inner Loop Header: Depth=1
	s_or_b64 s[44:45], s[44:45], exec
	s_cmp_eq_u64 s[4:5], s[46:47]
	s_cbranch_scc0 .LBB1581_186
; %bb.189:                              ;   in Loop: Header=BB1581_188 Depth=1
                                        ; implicit-def: $vgpr18_vgpr19
                                        ; implicit-def: $vgpr20_vgpr21
	s_mov_b64 s[46:47], s[26:27]
	s_branch .LBB1581_187
.LBB1581_190:
	s_or_b64 exec, exec, s[6:7]
	v_cmp_gt_i64_e32 vcc, s[26:27], v[22:23]
	s_orn2_b64 s[44:45], vcc, exec
.LBB1581_191:
	s_or_b64 exec, exec, s[42:43]
.LBB1581_192:
	s_and_b64 s[4:5], s[44:45], exec
.LBB1581_193:
	s_or_b64 exec, exec, s[40:41]
	v_cndmask_b32_e64 v19, 0, 1, s[8:9]
	v_cndmask_b32_e64 v20, 0, 1, s[4:5]
	v_cndmask_b32_e64 v18, 0, 1, s[38:39]
	v_lshlrev_b16_e32 v20, 8, v20
	v_lshlrev_b16_e32 v19, 8, v19
	v_or_b32_e32 v20, 1, v20
	v_or_b32_sdwa v18, v18, v19 dst_sel:WORD_1 dst_unused:UNUSED_PAD src0_sel:DWORD src1_sel:DWORD
	v_or_b32_sdwa v28, v20, v18 dst_sel:DWORD dst_unused:UNUSED_PAD src0_sel:WORD_0 src1_sel:DWORD
	s_waitcnt lgkmcnt(0)
	s_barrier
	s_waitcnt lgkmcnt(0)
                                        ; implicit-def: $sgpr38_sgpr39
	s_and_saveexec_b64 s[6:7], s[2:3]
	s_cbranch_execz .LBB1581_206
; %bb.194:
	v_cmp_gt_u32_e32 vcc, s48, v1
	s_mov_b64 s[2:3], 0
	s_and_saveexec_b64 s[8:9], vcc
	s_cbranch_execz .LBB1581_205
; %bb.195:
	s_andn2_b64 vcc, exec, s[10:11]
	s_mov_b64 s[38:39], 0
	s_cbranch_vccnz .LBB1581_204
; %bb.196:
	v_add_u32_e32 v18, -8, v29
	ds_read_b64 v[18:19], v18
	v_mul_lo_u32 v20, v15, s26
	v_mad_u64_u32 v[24:25], s[2:3], v14, s26, 0
	s_mov_b64 s[38:39], -1
	s_waitcnt lgkmcnt(0)
	v_mul_lo_u32 v21, v19, s26
	v_mul_lo_u32 v22, v18, s27
	v_mad_u64_u32 v[18:19], s[2:3], v18, s26, 0
	v_add3_u32 v19, v19, v22, v21
	v_mul_lo_u32 v21, v14, s27
	v_add3_u32 v25, v25, v21, v20
	v_lshlrev_b64 v[20:21], 2, v[18:19]
	v_mov_b32_e32 v18, s17
	v_add_co_u32_e32 v22, vcc, s16, v20
	v_addc_co_u32_e64 v23, s[2:3], v18, v21, vcc
	v_lshlrev_b64 v[18:19], 2, v[24:25]
	v_mov_b32_e32 v20, s17
	v_add_co_u32_e64 v24, s[2:3], s16, v18
	v_addc_co_u32_e64 v25, s[4:5], v20, v19, s[2:3]
	global_load_dword v18, v[22:23], off
	global_load_dword v20, v[24:25], off
	s_waitcnt vmcnt(0)
	v_cmp_eq_u32_e64 s[4:5], v18, v20
	s_and_saveexec_b64 s[10:11], s[4:5]
	s_cbranch_execz .LBB1581_203
; %bb.197:
	v_mov_b32_e32 v18, s17
	v_addc_co_u32_e64 v19, s[2:3], v19, v18, s[2:3]
	v_add_co_u32_e64 v18, s[2:3], 4, v24
	v_mov_b32_e32 v20, s17
	v_addc_co_u32_e64 v19, s[2:3], 0, v19, s[2:3]
	v_addc_co_u32_e32 v21, vcc, v21, v20, vcc
	v_add_co_u32_e32 v20, vcc, 4, v22
	s_add_u32 s2, s26, -1
	v_addc_co_u32_e32 v21, vcc, 0, v21, vcc
	s_addc_u32 s3, s27, -1
	s_mov_b64 s[4:5], 0
	s_mov_b64 s[38:39], 0
                                        ; implicit-def: $sgpr16_sgpr17
	s_branch .LBB1581_200
.LBB1581_198:                           ;   in Loop: Header=BB1581_200 Depth=1
	global_load_dword v22, v[20:21], off
	global_load_dword v23, v[18:19], off
	v_add_co_u32_e32 v18, vcc, 4, v18
	v_addc_co_u32_e32 v19, vcc, 0, v19, vcc
	v_add_co_u32_e32 v20, vcc, 4, v20
	v_addc_co_u32_e32 v21, vcc, 0, v21, vcc
	s_add_u32 s38, s38, 1
	s_addc_u32 s39, s39, 0
	s_andn2_b64 s[16:17], s[16:17], exec
	s_waitcnt vmcnt(0)
	v_cmp_ne_u32_e32 vcc, v22, v23
	s_and_b64 s[40:41], vcc, exec
	s_or_b64 s[16:17], s[16:17], s[40:41]
.LBB1581_199:                           ;   in Loop: Header=BB1581_200 Depth=1
	s_and_b64 s[40:41], exec, s[16:17]
	s_or_b64 s[4:5], s[40:41], s[4:5]
	v_pk_mov_b32 v[22:23], s[38:39], s[38:39] op_sel:[0,1]
	s_andn2_b64 exec, exec, s[4:5]
	s_cbranch_execz .LBB1581_202
.LBB1581_200:                           ; =>This Inner Loop Header: Depth=1
	s_or_b64 s[16:17], s[16:17], exec
	s_cmp_eq_u64 s[2:3], s[38:39]
	s_cbranch_scc0 .LBB1581_198
; %bb.201:                              ;   in Loop: Header=BB1581_200 Depth=1
                                        ; implicit-def: $vgpr18_vgpr19
                                        ; implicit-def: $vgpr20_vgpr21
	s_mov_b64 s[38:39], s[26:27]
	s_branch .LBB1581_199
.LBB1581_202:
	s_or_b64 exec, exec, s[4:5]
	v_cmp_gt_i64_e32 vcc, s[26:27], v[22:23]
	s_orn2_b64 s[38:39], vcc, exec
.LBB1581_203:
	s_or_b64 exec, exec, s[10:11]
.LBB1581_204:
	s_and_b64 s[2:3], s[38:39], exec
.LBB1581_205:
	s_or_b64 exec, exec, s[8:9]
	s_and_b64 s[38:39], s[2:3], exec
	s_or_b64 s[14:15], s[14:15], exec
.LBB1581_206:
	s_or_b64 exec, exec, s[6:7]
.LBB1581_207:
	s_and_saveexec_b64 s[2:3], s[14:15]
	s_cbranch_execz .LBB1581_209
; %bb.208:
	s_waitcnt vmcnt(0) lgkmcnt(0)
	v_and_b32_e32 v18, 0xffffff00, v28
	v_cndmask_b32_e64 v19, 0, 1, s[38:39]
	v_or_b32_e32 v18, v19, v18
	v_and_b32_e32 v18, 0xffff, v18
	s_mov_b32 s4, 0xffff0000
	v_and_or_b32 v28, v28, s4, v18
.LBB1581_209:
	s_or_b64 exec, exec, s[2:3]
	s_andn2_b64 vcc, exec, s[12:13]
	s_cbranch_vccnz .LBB1581_211
; %bb.210:
	v_cmp_gt_u32_e32 vcc, s48, v1
	s_waitcnt vmcnt(0) lgkmcnt(0)
	v_cndmask_b32_e32 v18, 0, v28, vcc
	v_or_b32_e32 v19, 1, v1
	v_and_b32_e32 v18, 0xff, v18
	v_cmp_gt_u32_e32 vcc, s48, v19
	v_cndmask_b32_e32 v18, v18, v28, vcc
	v_or_b32_e32 v19, 2, v1
	v_and_b32_e32 v18, 0xffff, v18
	v_cmp_gt_u32_e32 vcc, s48, v19
	;; [unrolled: 4-line block ×3, first 2 shown]
	v_cndmask_b32_e32 v28, v18, v28, vcc
.LBB1581_211:
	v_bfe_u32 v30, v28, 16, 8
	v_lshrrev_b32_e32 v29, 24, v28
	s_waitcnt vmcnt(0) lgkmcnt(0)
	v_add_u32_sdwa v18, v28, v28 dst_sel:DWORD dst_unused:UNUSED_PAD src0_sel:BYTE_1 src1_sel:BYTE_0
	v_add3_u32 v33, v18, v30, v29
	v_mbcnt_lo_u32_b32 v18, -1, 0
	v_mbcnt_hi_u32_b32 v31, -1, v18
	v_and_b32_e32 v18, 15, v31
	v_cmp_eq_u32_e64 s[14:15], 0, v18
	v_cmp_lt_u32_e64 s[12:13], 1, v18
	v_cmp_lt_u32_e64 s[10:11], 3, v18
	;; [unrolled: 1-line block ×3, first 2 shown]
	v_and_b32_e32 v18, 16, v31
	v_cmp_eq_u32_e64 s[6:7], 0, v18
	v_or_b32_e32 v18, 63, v0
	v_cmp_lt_u32_e64 s[2:3], 31, v31
	v_lshrrev_b32_e32 v32, 6, v0
	v_cmp_eq_u32_e64 s[4:5], v18, v0
	s_and_b64 vcc, exec, s[36:37]
	s_barrier
	s_cbranch_vccz .LBB1581_242
; %bb.212:
	v_mov_b32_dpp v18, v33 row_shr:1 row_mask:0xf bank_mask:0xf
	v_cndmask_b32_e64 v18, v18, 0, s[14:15]
	v_add_u32_e32 v18, v18, v33
	s_nop 1
	v_mov_b32_dpp v19, v18 row_shr:2 row_mask:0xf bank_mask:0xf
	v_cndmask_b32_e64 v19, 0, v19, s[12:13]
	v_add_u32_e32 v18, v18, v19
	s_nop 1
	;; [unrolled: 4-line block ×4, first 2 shown]
	v_mov_b32_dpp v19, v18 row_bcast:15 row_mask:0xf bank_mask:0xf
	v_cndmask_b32_e64 v19, v19, 0, s[6:7]
	v_add_u32_e32 v18, v18, v19
	s_nop 1
	v_mov_b32_dpp v19, v18 row_bcast:31 row_mask:0xf bank_mask:0xf
	v_cndmask_b32_e64 v19, 0, v19, s[2:3]
	v_add_u32_e32 v18, v18, v19
	s_and_saveexec_b64 s[16:17], s[4:5]
	s_cbranch_execz .LBB1581_214
; %bb.213:
	v_lshlrev_b32_e32 v19, 2, v32
	ds_write_b32 v19, v18
.LBB1581_214:
	s_or_b64 exec, exec, s[16:17]
	v_cmp_gt_u32_e32 vcc, 2, v0
	s_waitcnt lgkmcnt(0)
	s_barrier
	s_and_saveexec_b64 s[16:17], vcc
	s_cbranch_execz .LBB1581_216
; %bb.215:
	ds_read_b32 v19, v1
	v_bfe_i32 v20, v31, 0, 1
	s_waitcnt lgkmcnt(0)
	v_mov_b32_dpp v21, v19 row_shr:1 row_mask:0xf bank_mask:0xf
	v_and_b32_e32 v20, v20, v21
	v_add_u32_e32 v19, v20, v19
	ds_write_b32 v1, v19
.LBB1581_216:
	s_or_b64 exec, exec, s[16:17]
	v_cmp_gt_u32_e32 vcc, 64, v0
	v_cmp_lt_u32_e64 s[16:17], 63, v0
	s_waitcnt lgkmcnt(0)
	s_barrier
	s_waitcnt lgkmcnt(0)
                                        ; implicit-def: $vgpr34
	s_and_saveexec_b64 s[26:27], s[16:17]
	s_cbranch_execz .LBB1581_218
; %bb.217:
	v_lshl_add_u32 v19, v32, 2, -4
	ds_read_b32 v34, v19
	s_waitcnt lgkmcnt(0)
	v_add_u32_e32 v18, v34, v18
.LBB1581_218:
	s_or_b64 exec, exec, s[26:27]
	v_add_u32_e32 v19, -1, v31
	v_and_b32_e32 v20, 64, v31
	v_cmp_lt_i32_e64 s[16:17], v19, v20
	v_cndmask_b32_e64 v19, v19, v31, s[16:17]
	v_lshlrev_b32_e32 v19, 2, v19
	ds_bpermute_b32 v35, v19, v18
	v_cmp_eq_u32_e64 s[16:17], 0, v31
	s_and_saveexec_b64 s[26:27], vcc
	s_cbranch_execz .LBB1581_241
; %bb.219:
	v_mov_b32_e32 v27, 0
	ds_read_b32 v18, v27 offset:4
	s_and_saveexec_b64 s[36:37], s[16:17]
	s_cbranch_execz .LBB1581_221
; %bb.220:
	s_add_i32 s38, s33, 64
	s_mov_b32 s39, 0
	s_lshl_b64 s[38:39], s[38:39], 3
	s_add_u32 s38, s18, s38
	v_mov_b32_e32 v19, 1
	s_addc_u32 s39, s19, s39
	s_waitcnt lgkmcnt(0)
	global_store_dwordx2 v27, v[18:19], s[38:39]
.LBB1581_221:
	s_or_b64 exec, exec, s[36:37]
	v_xad_u32 v20, v31, -1, s33
	v_add_u32_e32 v26, 64, v20
	v_lshlrev_b64 v[22:23], 3, v[26:27]
	v_mov_b32_e32 v19, s19
	v_add_co_u32_e32 v22, vcc, s18, v22
	v_addc_co_u32_e32 v23, vcc, v19, v23, vcc
	global_load_dwordx2 v[24:25], v[22:23], off glc
	s_waitcnt vmcnt(0)
	v_cmp_eq_u16_sdwa s[38:39], v25, v27 src0_sel:BYTE_0 src1_sel:DWORD
	s_and_saveexec_b64 s[36:37], s[38:39]
	s_cbranch_execz .LBB1581_227
; %bb.222:
	s_mov_b32 s40, 1
	s_mov_b64 s[38:39], 0
	v_mov_b32_e32 v19, 0
.LBB1581_223:                           ; =>This Loop Header: Depth=1
                                        ;     Child Loop BB1581_224 Depth 2
	s_max_u32 s41, s40, 1
.LBB1581_224:                           ;   Parent Loop BB1581_223 Depth=1
                                        ; =>  This Inner Loop Header: Depth=2
	s_add_i32 s41, s41, -1
	s_cmp_eq_u32 s41, 0
	s_sleep 1
	s_cbranch_scc0 .LBB1581_224
; %bb.225:                              ;   in Loop: Header=BB1581_223 Depth=1
	global_load_dwordx2 v[24:25], v[22:23], off glc
	s_cmp_lt_u32 s40, 32
	s_cselect_b64 s[42:43], -1, 0
	s_cmp_lg_u64 s[42:43], 0
	s_addc_u32 s40, s40, 0
	s_waitcnt vmcnt(0)
	v_cmp_ne_u16_sdwa s[42:43], v25, v19 src0_sel:BYTE_0 src1_sel:DWORD
	s_or_b64 s[38:39], s[42:43], s[38:39]
	s_andn2_b64 exec, exec, s[38:39]
	s_cbranch_execnz .LBB1581_223
; %bb.226:
	s_or_b64 exec, exec, s[38:39]
.LBB1581_227:
	s_or_b64 exec, exec, s[36:37]
	v_and_b32_e32 v36, 63, v31
	v_mov_b32_e32 v19, 2
	v_cmp_ne_u32_e32 vcc, 63, v36
	v_cmp_eq_u16_sdwa s[36:37], v25, v19 src0_sel:BYTE_0 src1_sel:DWORD
	v_lshlrev_b64 v[22:23], v31, -1
	v_addc_co_u32_e32 v27, vcc, 0, v31, vcc
	v_and_b32_e32 v21, s37, v23
	v_lshlrev_b32_e32 v37, 2, v27
	v_or_b32_e32 v21, 0x80000000, v21
	ds_bpermute_b32 v27, v37, v24
	v_and_b32_e32 v26, s36, v22
	v_ffbl_b32_e32 v21, v21
	v_add_u32_e32 v21, 32, v21
	v_ffbl_b32_e32 v26, v26
	v_min_u32_e32 v21, v26, v21
	v_cmp_lt_u32_e32 vcc, v36, v21
	s_waitcnt lgkmcnt(0)
	v_cndmask_b32_e32 v26, 0, v27, vcc
	v_cmp_gt_u32_e32 vcc, 62, v36
	v_add_u32_e32 v24, v26, v24
	v_cndmask_b32_e64 v26, 0, 1, vcc
	v_lshlrev_b32_e32 v26, 1, v26
	v_add_lshl_u32 v38, v26, v31, 2
	ds_bpermute_b32 v26, v38, v24
	v_add_u32_e32 v39, 2, v36
	v_cmp_le_u32_e32 vcc, v39, v21
	v_add_u32_e32 v41, 4, v36
	v_add_u32_e32 v43, 8, v36
	s_waitcnt lgkmcnt(0)
	v_cndmask_b32_e32 v26, 0, v26, vcc
	v_cmp_gt_u32_e32 vcc, 60, v36
	v_add_u32_e32 v24, v24, v26
	v_cndmask_b32_e64 v26, 0, 1, vcc
	v_lshlrev_b32_e32 v26, 2, v26
	v_add_lshl_u32 v40, v26, v31, 2
	ds_bpermute_b32 v26, v40, v24
	v_cmp_le_u32_e32 vcc, v41, v21
	v_add_u32_e32 v46, 16, v36
	v_add_u32_e32 v48, 32, v36
	s_waitcnt lgkmcnt(0)
	v_cndmask_b32_e32 v26, 0, v26, vcc
	v_cmp_gt_u32_e32 vcc, 56, v36
	v_add_u32_e32 v24, v24, v26
	v_cndmask_b32_e64 v26, 0, 1, vcc
	v_lshlrev_b32_e32 v26, 3, v26
	v_add_lshl_u32 v42, v26, v31, 2
	ds_bpermute_b32 v26, v42, v24
	v_cmp_le_u32_e32 vcc, v43, v21
	s_waitcnt lgkmcnt(0)
	v_cndmask_b32_e32 v26, 0, v26, vcc
	v_cmp_gt_u32_e32 vcc, 48, v36
	v_add_u32_e32 v24, v24, v26
	v_cndmask_b32_e64 v26, 0, 1, vcc
	v_lshlrev_b32_e32 v26, 4, v26
	v_add_lshl_u32 v45, v26, v31, 2
	ds_bpermute_b32 v26, v45, v24
	v_cmp_le_u32_e32 vcc, v46, v21
	;; [unrolled: 9-line block ×3, first 2 shown]
	s_waitcnt lgkmcnt(0)
	v_cndmask_b32_e32 v21, 0, v26, vcc
	v_add_u32_e32 v24, v24, v21
	v_mov_b32_e32 v21, 0
	s_branch .LBB1581_229
.LBB1581_228:                           ;   in Loop: Header=BB1581_229 Depth=1
	s_or_b64 exec, exec, s[36:37]
	v_cmp_eq_u16_sdwa s[36:37], v25, v19 src0_sel:BYTE_0 src1_sel:DWORD
	v_and_b32_e32 v26, s37, v23
	v_or_b32_e32 v26, 0x80000000, v26
	ds_bpermute_b32 v49, v37, v24
	v_and_b32_e32 v27, s36, v22
	v_ffbl_b32_e32 v26, v26
	v_add_u32_e32 v26, 32, v26
	v_ffbl_b32_e32 v27, v27
	v_min_u32_e32 v26, v27, v26
	v_cmp_lt_u32_e32 vcc, v36, v26
	s_waitcnt lgkmcnt(0)
	v_cndmask_b32_e32 v27, 0, v49, vcc
	v_add_u32_e32 v24, v27, v24
	ds_bpermute_b32 v27, v38, v24
	v_cmp_le_u32_e32 vcc, v39, v26
	v_subrev_u32_e32 v20, 64, v20
	s_waitcnt lgkmcnt(0)
	v_cndmask_b32_e32 v27, 0, v27, vcc
	v_add_u32_e32 v24, v24, v27
	ds_bpermute_b32 v27, v40, v24
	v_cmp_le_u32_e32 vcc, v41, v26
	s_waitcnt lgkmcnt(0)
	v_cndmask_b32_e32 v27, 0, v27, vcc
	v_add_u32_e32 v24, v24, v27
	ds_bpermute_b32 v27, v42, v24
	v_cmp_le_u32_e32 vcc, v43, v26
	;; [unrolled: 5-line block ×4, first 2 shown]
	s_waitcnt lgkmcnt(0)
	v_cndmask_b32_e32 v26, 0, v27, vcc
	v_add3_u32 v24, v26, v44, v24
.LBB1581_229:                           ; =>This Loop Header: Depth=1
                                        ;     Child Loop BB1581_232 Depth 2
                                        ;       Child Loop BB1581_233 Depth 3
	v_cmp_ne_u16_sdwa s[36:37], v25, v19 src0_sel:BYTE_0 src1_sel:DWORD
	v_cndmask_b32_e64 v25, 0, 1, s[36:37]
	;;#ASMSTART
	;;#ASMEND
	v_cmp_ne_u32_e32 vcc, 0, v25
	s_cmp_lg_u64 vcc, exec
	v_mov_b32_e32 v44, v24
	s_cbranch_scc1 .LBB1581_236
; %bb.230:                              ;   in Loop: Header=BB1581_229 Depth=1
	v_lshlrev_b64 v[24:25], 3, v[20:21]
	v_mov_b32_e32 v27, s19
	v_add_co_u32_e32 v26, vcc, s18, v24
	v_addc_co_u32_e32 v27, vcc, v27, v25, vcc
	global_load_dwordx2 v[24:25], v[26:27], off glc
	s_waitcnt vmcnt(0)
	v_cmp_eq_u16_sdwa s[38:39], v25, v21 src0_sel:BYTE_0 src1_sel:DWORD
	s_and_saveexec_b64 s[36:37], s[38:39]
	s_cbranch_execz .LBB1581_228
; %bb.231:                              ;   in Loop: Header=BB1581_229 Depth=1
	s_mov_b32 s40, 1
	s_mov_b64 s[38:39], 0
.LBB1581_232:                           ;   Parent Loop BB1581_229 Depth=1
                                        ; =>  This Loop Header: Depth=2
                                        ;       Child Loop BB1581_233 Depth 3
	s_max_u32 s41, s40, 1
.LBB1581_233:                           ;   Parent Loop BB1581_229 Depth=1
                                        ;     Parent Loop BB1581_232 Depth=2
                                        ; =>    This Inner Loop Header: Depth=3
	s_add_i32 s41, s41, -1
	s_cmp_eq_u32 s41, 0
	s_sleep 1
	s_cbranch_scc0 .LBB1581_233
; %bb.234:                              ;   in Loop: Header=BB1581_232 Depth=2
	global_load_dwordx2 v[24:25], v[26:27], off glc
	s_cmp_lt_u32 s40, 32
	s_cselect_b64 s[42:43], -1, 0
	s_cmp_lg_u64 s[42:43], 0
	s_addc_u32 s40, s40, 0
	s_waitcnt vmcnt(0)
	v_cmp_ne_u16_sdwa s[42:43], v25, v21 src0_sel:BYTE_0 src1_sel:DWORD
	s_or_b64 s[38:39], s[42:43], s[38:39]
	s_andn2_b64 exec, exec, s[38:39]
	s_cbranch_execnz .LBB1581_232
; %bb.235:                              ;   in Loop: Header=BB1581_229 Depth=1
	s_or_b64 exec, exec, s[38:39]
	s_branch .LBB1581_228
.LBB1581_236:                           ;   in Loop: Header=BB1581_229 Depth=1
                                        ; implicit-def: $vgpr24
                                        ; implicit-def: $vgpr25
	s_cbranch_execz .LBB1581_229
; %bb.237:
	s_and_saveexec_b64 s[36:37], s[16:17]
	s_cbranch_execz .LBB1581_239
; %bb.238:
	s_add_i32 s38, s33, 64
	s_mov_b32 s39, 0
	s_lshl_b64 s[38:39], s[38:39], 3
	s_add_u32 s38, s18, s38
	v_add_u32_e32 v20, v44, v18
	v_mov_b32_e32 v21, 2
	s_addc_u32 s39, s19, s39
	v_mov_b32_e32 v19, 0
	s_movk_i32 s33, 0x1000
	global_store_dwordx2 v19, v[20:21], s[38:39]
	v_add_u32_e64 v19, s33, 0
	ds_write2_b32 v19, v18, v44 offset0:32 offset1:34
.LBB1581_239:
	s_or_b64 exec, exec, s[36:37]
	s_and_b64 exec, exec, s[0:1]
	s_cbranch_execz .LBB1581_241
; %bb.240:
	v_mov_b32_e32 v18, 0
	ds_write_b32 v18, v44 offset:4
.LBB1581_241:
	s_or_b64 exec, exec, s[26:27]
	v_mov_b32_e32 v19, 0
	s_waitcnt lgkmcnt(0)
	s_barrier
	ds_read_b32 v19, v19 offset:4
	v_cndmask_b32_e64 v18, v35, v34, s[16:17]
	s_movk_i32 s16, 0x1000
	v_add_u32_e64 v20, s16, 0
	s_waitcnt lgkmcnt(0)
	s_barrier
	ds_read2_b32 v[26:27], v20 offset0:32 offset1:34
	v_cndmask_b32_e64 v18, v18, 0, s[0:1]
	v_add_u32_e32 v24, v19, v18
	v_add_u32_sdwa v22, v24, v28 dst_sel:DWORD dst_unused:UNUSED_PAD src0_sel:DWORD src1_sel:BYTE_0
	v_add_u32_sdwa v20, v22, v28 dst_sel:DWORD dst_unused:UNUSED_PAD src0_sel:DWORD src1_sel:BYTE_1
	v_add_u32_e32 v18, v20, v30
	s_waitcnt lgkmcnt(0)
	v_readfirstlane_b32 s33, v26
	v_readfirstlane_b32 s16, v27
	s_branch .LBB1581_252
.LBB1581_242:
                                        ; implicit-def: $vgpr18
                                        ; implicit-def: $vgpr20
                                        ; implicit-def: $vgpr22
                                        ; implicit-def: $vgpr24
                                        ; implicit-def: $sgpr16
                                        ; implicit-def: $sgpr33
	s_cbranch_execz .LBB1581_252
; %bb.243:
	s_nop 0
	v_mov_b32_dpp v18, v33 row_shr:1 row_mask:0xf bank_mask:0xf
	v_cndmask_b32_e64 v18, v18, 0, s[14:15]
	v_add_u32_e32 v18, v18, v33
	s_nop 1
	v_mov_b32_dpp v19, v18 row_shr:2 row_mask:0xf bank_mask:0xf
	v_cndmask_b32_e64 v19, 0, v19, s[12:13]
	v_add_u32_e32 v18, v18, v19
	;; [unrolled: 4-line block ×4, first 2 shown]
	s_nop 1
	v_mov_b32_dpp v19, v18 row_bcast:15 row_mask:0xf bank_mask:0xf
	v_cndmask_b32_e64 v19, v19, 0, s[6:7]
	v_add_u32_e32 v18, v18, v19
	s_nop 1
	v_mov_b32_dpp v19, v18 row_bcast:31 row_mask:0xf bank_mask:0xf
	v_cndmask_b32_e64 v19, 0, v19, s[2:3]
	v_add_u32_e32 v18, v18, v19
	s_and_saveexec_b64 s[2:3], s[4:5]
	s_cbranch_execz .LBB1581_245
; %bb.244:
	v_lshlrev_b32_e32 v19, 2, v32
	ds_write_b32 v19, v18
.LBB1581_245:
	s_or_b64 exec, exec, s[2:3]
	v_cmp_gt_u32_e32 vcc, 2, v0
	s_waitcnt lgkmcnt(0)
	s_barrier
	s_and_saveexec_b64 s[2:3], vcc
	s_cbranch_execz .LBB1581_247
; %bb.246:
	ds_read_b32 v19, v1
	v_bfe_i32 v20, v31, 0, 1
	s_waitcnt lgkmcnt(0)
	v_mov_b32_dpp v21, v19 row_shr:1 row_mask:0xf bank_mask:0xf
	v_and_b32_e32 v20, v20, v21
	v_add_u32_e32 v19, v20, v19
	ds_write_b32 v1, v19
.LBB1581_247:
	s_or_b64 exec, exec, s[2:3]
	v_cmp_lt_u32_e32 vcc, 63, v0
	v_mov_b32_e32 v19, 0
	v_mov_b32_e32 v1, 0
	s_waitcnt lgkmcnt(0)
	s_barrier
	s_and_saveexec_b64 s[2:3], vcc
	s_cbranch_execz .LBB1581_249
; %bb.248:
	v_lshl_add_u32 v1, v32, 2, -4
	ds_read_b32 v1, v1
.LBB1581_249:
	s_or_b64 exec, exec, s[2:3]
	v_add_u32_e32 v20, -1, v31
	v_and_b32_e32 v21, 64, v31
	v_cmp_lt_i32_e32 vcc, v20, v21
	v_cndmask_b32_e32 v20, v20, v31, vcc
	s_waitcnt lgkmcnt(0)
	v_add_u32_e32 v18, v1, v18
	v_lshlrev_b32_e32 v20, 2, v20
	ds_read_b32 v19, v19 offset:4
	ds_bpermute_b32 v18, v20, v18
	s_waitcnt lgkmcnt(1)
	v_readfirstlane_b32 s33, v19
	s_and_saveexec_b64 s[2:3], s[0:1]
	s_cbranch_execz .LBB1581_251
; %bb.250:
	v_mov_b32_e32 v19, 0
	v_mov_b32_e32 v20, s33
	;; [unrolled: 1-line block ×3, first 2 shown]
	global_store_dwordx2 v19, v[20:21], s[18:19] offset:512
.LBB1581_251:
	s_or_b64 exec, exec, s[2:3]
	v_cmp_eq_u32_e32 vcc, 0, v31
	s_waitcnt lgkmcnt(0)
	v_cndmask_b32_e32 v1, v18, v1, vcc
	v_cndmask_b32_e64 v24, v1, 0, s[0:1]
	v_add_u32_sdwa v22, v24, v28 dst_sel:DWORD dst_unused:UNUSED_PAD src0_sel:DWORD src1_sel:BYTE_0
	v_add_u32_sdwa v20, v22, v28 dst_sel:DWORD dst_unused:UNUSED_PAD src0_sel:DWORD src1_sel:BYTE_1
	s_mov_b32 s16, 0
	v_add_u32_e32 v18, v20, v30
	s_barrier
.LBB1581_252:
	s_cmpk_lt_u32 s33, 0x81
	s_cselect_b64 s[4:5], -1, 0
	v_lshrrev_b32_e32 v1, 8, v28
	s_mov_b64 s[2:3], -1
	s_and_b64 vcc, exec, s[4:5]
	s_cbranch_vccz .LBB1581_266
; %bb.253:
	s_add_i32 s6, s16, s33
	v_cmp_gt_u32_e32 vcc, s6, v24
	s_or_b64 s[8:9], s[34:35], vcc
	s_and_saveexec_b64 s[2:3], s[8:9]
	s_cbranch_execz .LBB1581_256
; %bb.254:
	v_and_b32_e32 v19, 1, v28
	v_cmp_eq_u32_e32 vcc, 1, v19
	s_and_b64 exec, exec, vcc
	s_cbranch_execz .LBB1581_256
; %bb.255:
	s_lshl_b64 s[8:9], s[22:23], 3
	s_add_u32 s7, s28, s8
	v_mov_b32_e32 v25, 0
	s_addc_u32 s8, s29, s9
	v_lshlrev_b64 v[26:27], 3, v[24:25]
	v_mov_b32_e32 v19, s8
	v_add_co_u32_e32 v26, vcc, s7, v26
	v_addc_co_u32_e32 v27, vcc, v19, v27, vcc
	global_store_dwordx2 v[26:27], v[14:15], off
.LBB1581_256:
	s_or_b64 exec, exec, s[2:3]
	v_cmp_gt_u32_e32 vcc, s6, v22
	s_or_b64 s[8:9], s[34:35], vcc
	s_and_saveexec_b64 s[2:3], s[8:9]
	s_cbranch_execz .LBB1581_259
; %bb.257:
	v_and_b32_e32 v19, 1, v1
	v_cmp_eq_u32_e32 vcc, 1, v19
	s_and_b64 exec, exec, vcc
	s_cbranch_execz .LBB1581_259
; %bb.258:
	s_lshl_b64 s[8:9], s[22:23], 3
	s_add_u32 s7, s28, s8
	v_mov_b32_e32 v23, 0
	s_addc_u32 s8, s29, s9
	v_lshlrev_b64 v[26:27], 3, v[22:23]
	v_mov_b32_e32 v19, s8
	v_add_co_u32_e32 v26, vcc, s7, v26
	v_addc_co_u32_e32 v27, vcc, v19, v27, vcc
	global_store_dwordx2 v[26:27], v[16:17], off
.LBB1581_259:
	s_or_b64 exec, exec, s[2:3]
	v_cmp_gt_u32_e32 vcc, s6, v20
	s_or_b64 s[8:9], s[34:35], vcc
	s_and_saveexec_b64 s[2:3], s[8:9]
	s_cbranch_execz .LBB1581_262
; %bb.260:
	v_mov_b32_e32 v19, 1
	v_and_b32_sdwa v19, v19, v28 dst_sel:DWORD dst_unused:UNUSED_PAD src0_sel:DWORD src1_sel:WORD_1
	v_cmp_eq_u32_e32 vcc, 1, v19
	s_and_b64 exec, exec, vcc
	s_cbranch_execz .LBB1581_262
; %bb.261:
	s_lshl_b64 s[8:9], s[22:23], 3
	s_add_u32 s7, s28, s8
	v_mov_b32_e32 v21, 0
	s_addc_u32 s8, s29, s9
	v_lshlrev_b64 v[26:27], 3, v[20:21]
	v_mov_b32_e32 v19, s8
	v_add_co_u32_e32 v26, vcc, s7, v26
	v_addc_co_u32_e32 v27, vcc, v19, v27, vcc
	global_store_dwordx2 v[26:27], v[10:11], off
.LBB1581_262:
	s_or_b64 exec, exec, s[2:3]
	v_cmp_gt_u32_e32 vcc, s6, v18
	s_or_b64 s[6:7], s[34:35], vcc
	s_and_saveexec_b64 s[2:3], s[6:7]
	s_cbranch_execz .LBB1581_265
; %bb.263:
	v_and_b32_e32 v19, 1, v29
	v_cmp_eq_u32_e32 vcc, 1, v19
	s_and_b64 exec, exec, vcc
	s_cbranch_execz .LBB1581_265
; %bb.264:
	s_lshl_b64 s[6:7], s[22:23], 3
	s_add_u32 s6, s28, s6
	v_mov_b32_e32 v19, 0
	s_addc_u32 s7, s29, s7
	v_lshlrev_b64 v[26:27], 3, v[18:19]
	v_mov_b32_e32 v19, s7
	v_add_co_u32_e32 v26, vcc, s6, v26
	v_addc_co_u32_e32 v27, vcc, v19, v27, vcc
	global_store_dwordx2 v[26:27], v[12:13], off
.LBB1581_265:
	s_or_b64 exec, exec, s[2:3]
	s_mov_b64 s[2:3], 0
.LBB1581_266:
	v_and_b32_e32 v26, 1, v28
	s_and_b64 vcc, exec, s[2:3]
	v_cmp_eq_u32_e64 s[2:3], 1, v26
	s_cbranch_vccz .LBB1581_279
; %bb.267:
	s_and_saveexec_b64 s[6:7], s[2:3]
	s_cbranch_execz .LBB1581_269
; %bb.268:
	v_subrev_u32_e32 v19, s16, v24
	v_lshlrev_b32_e32 v19, 3, v19
	ds_write_b64 v19, v[14:15]
.LBB1581_269:
	s_or_b64 exec, exec, s[6:7]
	v_and_b32_e32 v14, 1, v1
	v_cmp_eq_u32_e32 vcc, 1, v14
	s_and_saveexec_b64 s[2:3], vcc
	s_cbranch_execz .LBB1581_271
; %bb.270:
	v_subrev_u32_e32 v14, s16, v22
	v_lshlrev_b32_e32 v14, 3, v14
	ds_write_b64 v14, v[16:17]
.LBB1581_271:
	s_or_b64 exec, exec, s[2:3]
	v_mov_b32_e32 v14, 1
	v_and_b32_sdwa v14, v14, v28 dst_sel:DWORD dst_unused:UNUSED_PAD src0_sel:DWORD src1_sel:WORD_1
	v_cmp_eq_u32_e32 vcc, 1, v14
	s_and_saveexec_b64 s[2:3], vcc
	s_cbranch_execz .LBB1581_273
; %bb.272:
	v_subrev_u32_e32 v14, s16, v20
	v_lshlrev_b32_e32 v14, 3, v14
	ds_write_b64 v14, v[10:11]
.LBB1581_273:
	s_or_b64 exec, exec, s[2:3]
	v_and_b32_e32 v10, 1, v29
	v_cmp_eq_u32_e32 vcc, 1, v10
	s_and_saveexec_b64 s[2:3], vcc
	s_cbranch_execz .LBB1581_275
; %bb.274:
	v_subrev_u32_e32 v10, s16, v18
	v_lshlrev_b32_e32 v10, 3, v10
	ds_write_b64 v10, v[12:13]
.LBB1581_275:
	s_or_b64 exec, exec, s[2:3]
	v_cmp_gt_u32_e32 vcc, s33, v0
	s_waitcnt lgkmcnt(0)
	s_barrier
	s_and_saveexec_b64 s[2:3], vcc
	s_cbranch_execz .LBB1581_278
; %bb.276:
	s_mov_b32 s17, 0
	s_lshl_b64 s[6:7], s[16:17], 3
	s_add_u32 s8, s28, s6
	s_addc_u32 s9, s29, s7
	s_lshl_b64 s[6:7], s[22:23], 3
	s_add_u32 s8, s8, s6
	s_addc_u32 s9, s9, s7
	v_lshlrev_b32_e32 v12, 3, v0
	s_mov_b64 s[6:7], 0
	v_mov_b32_e32 v11, 0
	v_mov_b32_e32 v13, s9
	;; [unrolled: 1-line block ×3, first 2 shown]
.LBB1581_277:                           ; =>This Inner Loop Header: Depth=1
	ds_read_b64 v[14:15], v12
	v_lshlrev_b64 v[16:17], 3, v[10:11]
	v_add_co_u32_e32 v16, vcc, s8, v16
	v_add_u32_e32 v10, 0x80, v10
	v_addc_co_u32_e32 v17, vcc, v13, v17, vcc
	v_cmp_le_u32_e32 vcc, s33, v10
	v_add_u32_e32 v12, 0x400, v12
	s_or_b64 s[6:7], vcc, s[6:7]
	s_waitcnt lgkmcnt(0)
	global_store_dwordx2 v[16:17], v[14:15], off
	s_andn2_b64 exec, exec, s[6:7]
	s_cbranch_execnz .LBB1581_277
.LBB1581_278:
	s_or_b64 exec, exec, s[2:3]
.LBB1581_279:
	s_mov_b64 s[2:3], -1
	s_and_b64 vcc, exec, s[4:5]
	s_barrier
	s_cbranch_vccnz .LBB1581_283
; %bb.280:
	s_and_b64 vcc, exec, s[2:3]
	s_cbranch_vccnz .LBB1581_296
.LBB1581_281:
	s_and_b64 s[0:1], s[0:1], s[24:25]
	s_and_saveexec_b64 s[2:3], s[0:1]
	s_cbranch_execnz .LBB1581_308
.LBB1581_282:
	s_endpgm
.LBB1581_283:
	s_add_i32 s4, s16, s33
	v_cmp_gt_u32_e32 vcc, s4, v24
	s_or_b64 s[6:7], s[34:35], vcc
	s_and_saveexec_b64 s[2:3], s[6:7]
	s_cbranch_execz .LBB1581_286
; %bb.284:
	v_cmp_eq_u32_e32 vcc, 1, v26
	s_and_b64 exec, exec, vcc
	s_cbranch_execz .LBB1581_286
; %bb.285:
	s_lshl_b64 s[6:7], s[22:23], 3
	s_add_u32 s5, s30, s6
	v_mov_b32_e32 v25, 0
	s_addc_u32 s6, s31, s7
	v_lshlrev_b64 v[10:11], 3, v[24:25]
	v_mov_b32_e32 v12, s6
	v_add_co_u32_e32 v10, vcc, s5, v10
	v_addc_co_u32_e32 v11, vcc, v12, v11, vcc
	global_store_dwordx2 v[10:11], v[6:7], off
.LBB1581_286:
	s_or_b64 exec, exec, s[2:3]
	v_cmp_gt_u32_e32 vcc, s4, v22
	s_or_b64 s[6:7], s[34:35], vcc
	s_and_saveexec_b64 s[2:3], s[6:7]
	s_cbranch_execz .LBB1581_289
; %bb.287:
	v_and_b32_e32 v10, 1, v1
	v_cmp_eq_u32_e32 vcc, 1, v10
	s_and_b64 exec, exec, vcc
	s_cbranch_execz .LBB1581_289
; %bb.288:
	s_lshl_b64 s[6:7], s[22:23], 3
	s_add_u32 s5, s30, s6
	v_mov_b32_e32 v23, 0
	s_addc_u32 s6, s31, s7
	v_lshlrev_b64 v[10:11], 3, v[22:23]
	v_mov_b32_e32 v12, s6
	v_add_co_u32_e32 v10, vcc, s5, v10
	v_addc_co_u32_e32 v11, vcc, v12, v11, vcc
	global_store_dwordx2 v[10:11], v[8:9], off
.LBB1581_289:
	s_or_b64 exec, exec, s[2:3]
	v_cmp_gt_u32_e32 vcc, s4, v20
	s_or_b64 s[6:7], s[34:35], vcc
	s_and_saveexec_b64 s[2:3], s[6:7]
	s_cbranch_execz .LBB1581_292
; %bb.290:
	v_mov_b32_e32 v10, 1
	v_and_b32_sdwa v10, v10, v28 dst_sel:DWORD dst_unused:UNUSED_PAD src0_sel:DWORD src1_sel:WORD_1
	v_cmp_eq_u32_e32 vcc, 1, v10
	s_and_b64 exec, exec, vcc
	s_cbranch_execz .LBB1581_292
; %bb.291:
	s_lshl_b64 s[6:7], s[22:23], 3
	s_add_u32 s5, s30, s6
	v_mov_b32_e32 v21, 0
	s_addc_u32 s6, s31, s7
	v_lshlrev_b64 v[10:11], 3, v[20:21]
	v_mov_b32_e32 v12, s6
	v_add_co_u32_e32 v10, vcc, s5, v10
	v_addc_co_u32_e32 v11, vcc, v12, v11, vcc
	global_store_dwordx2 v[10:11], v[2:3], off
.LBB1581_292:
	s_or_b64 exec, exec, s[2:3]
	v_cmp_gt_u32_e32 vcc, s4, v18
	s_or_b64 s[4:5], s[34:35], vcc
	s_and_saveexec_b64 s[2:3], s[4:5]
	s_cbranch_execz .LBB1581_295
; %bb.293:
	v_and_b32_e32 v10, 1, v29
	v_cmp_eq_u32_e32 vcc, 1, v10
	s_and_b64 exec, exec, vcc
	s_cbranch_execz .LBB1581_295
; %bb.294:
	s_lshl_b64 s[4:5], s[22:23], 3
	s_add_u32 s4, s30, s4
	v_mov_b32_e32 v19, 0
	s_addc_u32 s5, s31, s5
	v_lshlrev_b64 v[10:11], 3, v[18:19]
	v_mov_b32_e32 v12, s5
	v_add_co_u32_e32 v10, vcc, s4, v10
	v_addc_co_u32_e32 v11, vcc, v12, v11, vcc
	global_store_dwordx2 v[10:11], v[4:5], off
.LBB1581_295:
	s_or_b64 exec, exec, s[2:3]
	s_branch .LBB1581_281
.LBB1581_296:
	v_cmp_eq_u32_e32 vcc, 1, v26
	s_and_saveexec_b64 s[2:3], vcc
	s_cbranch_execz .LBB1581_298
; %bb.297:
	v_subrev_u32_e32 v10, s16, v24
	v_lshlrev_b32_e32 v10, 3, v10
	ds_write_b64 v10, v[6:7]
.LBB1581_298:
	s_or_b64 exec, exec, s[2:3]
	v_and_b32_e32 v1, 1, v1
	v_cmp_eq_u32_e32 vcc, 1, v1
	s_and_saveexec_b64 s[2:3], vcc
	s_cbranch_execz .LBB1581_300
; %bb.299:
	v_subrev_u32_e32 v1, s16, v22
	v_lshlrev_b32_e32 v1, 3, v1
	ds_write_b64 v1, v[8:9]
.LBB1581_300:
	s_or_b64 exec, exec, s[2:3]
	v_mov_b32_e32 v1, 1
	v_and_b32_sdwa v1, v1, v28 dst_sel:DWORD dst_unused:UNUSED_PAD src0_sel:DWORD src1_sel:WORD_1
	v_cmp_eq_u32_e32 vcc, 1, v1
	s_and_saveexec_b64 s[2:3], vcc
	s_cbranch_execz .LBB1581_302
; %bb.301:
	v_subrev_u32_e32 v1, s16, v20
	v_lshlrev_b32_e32 v1, 3, v1
	ds_write_b64 v1, v[2:3]
.LBB1581_302:
	s_or_b64 exec, exec, s[2:3]
	v_and_b32_e32 v1, 1, v29
	v_cmp_eq_u32_e32 vcc, 1, v1
	s_and_saveexec_b64 s[2:3], vcc
	s_cbranch_execz .LBB1581_304
; %bb.303:
	v_subrev_u32_e32 v1, s16, v18
	v_lshlrev_b32_e32 v1, 3, v1
	ds_write_b64 v1, v[4:5]
.LBB1581_304:
	s_or_b64 exec, exec, s[2:3]
	v_cmp_gt_u32_e32 vcc, s33, v0
	s_waitcnt lgkmcnt(0)
	s_barrier
	s_and_saveexec_b64 s[2:3], vcc
	s_cbranch_execz .LBB1581_307
; %bb.305:
	s_mov_b32 s17, 0
	s_lshl_b64 s[4:5], s[16:17], 3
	s_add_u32 s6, s30, s4
	s_addc_u32 s7, s31, s5
	s_lshl_b64 s[4:5], s[22:23], 3
	s_add_u32 s6, s6, s4
	s_addc_u32 s7, s7, s5
	v_lshlrev_b32_e32 v2, 3, v0
	s_mov_b64 s[4:5], 0
	v_mov_b32_e32 v1, 0
	v_mov_b32_e32 v3, s7
.LBB1581_306:                           ; =>This Inner Loop Header: Depth=1
	ds_read_b64 v[4:5], v2
	v_lshlrev_b64 v[6:7], 3, v[0:1]
	v_add_co_u32_e32 v6, vcc, s6, v6
	v_add_u32_e32 v0, 0x80, v0
	v_addc_co_u32_e32 v7, vcc, v3, v7, vcc
	v_cmp_le_u32_e32 vcc, s33, v0
	v_add_u32_e32 v2, 0x400, v2
	s_or_b64 s[4:5], vcc, s[4:5]
	s_waitcnt lgkmcnt(0)
	global_store_dwordx2 v[6:7], v[4:5], off
	s_andn2_b64 exec, exec, s[4:5]
	s_cbranch_execnz .LBB1581_306
.LBB1581_307:
	s_or_b64 exec, exec, s[2:3]
	s_and_b64 s[0:1], s[0:1], s[24:25]
	s_and_saveexec_b64 s[2:3], s[0:1]
	s_cbranch_execz .LBB1581_282
.LBB1581_308:
	s_add_u32 s0, s22, s33
	s_addc_u32 s1, s23, 0
	s_add_u32 s0, s0, s16
	s_addc_u32 s1, s1, 0
	v_mov_b32_e32 v2, 0
	v_pk_mov_b32 v[0:1], s[0:1], s[0:1] op_sel:[0,1]
	global_store_dwordx2 v2, v[0:1], s[20:21]
	s_endpgm
	.section	.rodata,"a",@progbits
	.p2align	6, 0x0
	.amdhsa_kernel _ZN7rocprim17ROCPRIM_400000_NS6detail17trampoline_kernelINS0_14default_configENS1_25partition_config_selectorILNS1_17partition_subalgoE9EllbEEZZNS1_14partition_implILS5_9ELb0ES3_jPlS8_PNS0_10empty_typeENS0_5tupleIJS8_S9_EEENSB_IJS8_SA_EEENS0_18inequality_wrapperIZN2at6native12_GLOBAL__N_124unique_dim_cuda_templateIjEESt5tupleIJNSF_6TensorESK_SK_EERKSK_lbbbEUlllE0_EEPmJS9_EEE10hipError_tPvRmT3_T4_T5_T6_T7_T9_mT8_P12ihipStream_tbDpT10_ENKUlT_T0_E_clISt17integral_constantIbLb1EES1A_EEDaS15_S16_EUlS15_E_NS1_11comp_targetILNS1_3genE4ELNS1_11target_archE910ELNS1_3gpuE8ELNS1_3repE0EEENS1_30default_config_static_selectorELNS0_4arch9wavefront6targetE1EEEvT1_
		.amdhsa_group_segment_fixed_size 4236
		.amdhsa_private_segment_fixed_size 0
		.amdhsa_kernarg_size 136
		.amdhsa_user_sgpr_count 6
		.amdhsa_user_sgpr_private_segment_buffer 1
		.amdhsa_user_sgpr_dispatch_ptr 0
		.amdhsa_user_sgpr_queue_ptr 0
		.amdhsa_user_sgpr_kernarg_segment_ptr 1
		.amdhsa_user_sgpr_dispatch_id 0
		.amdhsa_user_sgpr_flat_scratch_init 0
		.amdhsa_user_sgpr_kernarg_preload_length 0
		.amdhsa_user_sgpr_kernarg_preload_offset 0
		.amdhsa_user_sgpr_private_segment_size 0
		.amdhsa_uses_dynamic_stack 0
		.amdhsa_system_sgpr_private_segment_wavefront_offset 0
		.amdhsa_system_sgpr_workgroup_id_x 1
		.amdhsa_system_sgpr_workgroup_id_y 0
		.amdhsa_system_sgpr_workgroup_id_z 0
		.amdhsa_system_sgpr_workgroup_info 0
		.amdhsa_system_vgpr_workitem_id 0
		.amdhsa_next_free_vgpr 50
		.amdhsa_next_free_sgpr 52
		.amdhsa_accum_offset 52
		.amdhsa_reserve_vcc 1
		.amdhsa_reserve_flat_scratch 0
		.amdhsa_float_round_mode_32 0
		.amdhsa_float_round_mode_16_64 0
		.amdhsa_float_denorm_mode_32 3
		.amdhsa_float_denorm_mode_16_64 3
		.amdhsa_dx10_clamp 1
		.amdhsa_ieee_mode 1
		.amdhsa_fp16_overflow 0
		.amdhsa_tg_split 0
		.amdhsa_exception_fp_ieee_invalid_op 0
		.amdhsa_exception_fp_denorm_src 0
		.amdhsa_exception_fp_ieee_div_zero 0
		.amdhsa_exception_fp_ieee_overflow 0
		.amdhsa_exception_fp_ieee_underflow 0
		.amdhsa_exception_fp_ieee_inexact 0
		.amdhsa_exception_int_div_zero 0
	.end_amdhsa_kernel
	.section	.text._ZN7rocprim17ROCPRIM_400000_NS6detail17trampoline_kernelINS0_14default_configENS1_25partition_config_selectorILNS1_17partition_subalgoE9EllbEEZZNS1_14partition_implILS5_9ELb0ES3_jPlS8_PNS0_10empty_typeENS0_5tupleIJS8_S9_EEENSB_IJS8_SA_EEENS0_18inequality_wrapperIZN2at6native12_GLOBAL__N_124unique_dim_cuda_templateIjEESt5tupleIJNSF_6TensorESK_SK_EERKSK_lbbbEUlllE0_EEPmJS9_EEE10hipError_tPvRmT3_T4_T5_T6_T7_T9_mT8_P12ihipStream_tbDpT10_ENKUlT_T0_E_clISt17integral_constantIbLb1EES1A_EEDaS15_S16_EUlS15_E_NS1_11comp_targetILNS1_3genE4ELNS1_11target_archE910ELNS1_3gpuE8ELNS1_3repE0EEENS1_30default_config_static_selectorELNS0_4arch9wavefront6targetE1EEEvT1_,"axG",@progbits,_ZN7rocprim17ROCPRIM_400000_NS6detail17trampoline_kernelINS0_14default_configENS1_25partition_config_selectorILNS1_17partition_subalgoE9EllbEEZZNS1_14partition_implILS5_9ELb0ES3_jPlS8_PNS0_10empty_typeENS0_5tupleIJS8_S9_EEENSB_IJS8_SA_EEENS0_18inequality_wrapperIZN2at6native12_GLOBAL__N_124unique_dim_cuda_templateIjEESt5tupleIJNSF_6TensorESK_SK_EERKSK_lbbbEUlllE0_EEPmJS9_EEE10hipError_tPvRmT3_T4_T5_T6_T7_T9_mT8_P12ihipStream_tbDpT10_ENKUlT_T0_E_clISt17integral_constantIbLb1EES1A_EEDaS15_S16_EUlS15_E_NS1_11comp_targetILNS1_3genE4ELNS1_11target_archE910ELNS1_3gpuE8ELNS1_3repE0EEENS1_30default_config_static_selectorELNS0_4arch9wavefront6targetE1EEEvT1_,comdat
.Lfunc_end1581:
	.size	_ZN7rocprim17ROCPRIM_400000_NS6detail17trampoline_kernelINS0_14default_configENS1_25partition_config_selectorILNS1_17partition_subalgoE9EllbEEZZNS1_14partition_implILS5_9ELb0ES3_jPlS8_PNS0_10empty_typeENS0_5tupleIJS8_S9_EEENSB_IJS8_SA_EEENS0_18inequality_wrapperIZN2at6native12_GLOBAL__N_124unique_dim_cuda_templateIjEESt5tupleIJNSF_6TensorESK_SK_EERKSK_lbbbEUlllE0_EEPmJS9_EEE10hipError_tPvRmT3_T4_T5_T6_T7_T9_mT8_P12ihipStream_tbDpT10_ENKUlT_T0_E_clISt17integral_constantIbLb1EES1A_EEDaS15_S16_EUlS15_E_NS1_11comp_targetILNS1_3genE4ELNS1_11target_archE910ELNS1_3gpuE8ELNS1_3repE0EEENS1_30default_config_static_selectorELNS0_4arch9wavefront6targetE1EEEvT1_, .Lfunc_end1581-_ZN7rocprim17ROCPRIM_400000_NS6detail17trampoline_kernelINS0_14default_configENS1_25partition_config_selectorILNS1_17partition_subalgoE9EllbEEZZNS1_14partition_implILS5_9ELb0ES3_jPlS8_PNS0_10empty_typeENS0_5tupleIJS8_S9_EEENSB_IJS8_SA_EEENS0_18inequality_wrapperIZN2at6native12_GLOBAL__N_124unique_dim_cuda_templateIjEESt5tupleIJNSF_6TensorESK_SK_EERKSK_lbbbEUlllE0_EEPmJS9_EEE10hipError_tPvRmT3_T4_T5_T6_T7_T9_mT8_P12ihipStream_tbDpT10_ENKUlT_T0_E_clISt17integral_constantIbLb1EES1A_EEDaS15_S16_EUlS15_E_NS1_11comp_targetILNS1_3genE4ELNS1_11target_archE910ELNS1_3gpuE8ELNS1_3repE0EEENS1_30default_config_static_selectorELNS0_4arch9wavefront6targetE1EEEvT1_
                                        ; -- End function
	.section	.AMDGPU.csdata,"",@progbits
; Kernel info:
; codeLenInByte = 10980
; NumSgprs: 56
; NumVgprs: 50
; NumAgprs: 0
; TotalNumVgprs: 50
; ScratchSize: 0
; MemoryBound: 0
; FloatMode: 240
; IeeeMode: 1
; LDSByteSize: 4236 bytes/workgroup (compile time only)
; SGPRBlocks: 6
; VGPRBlocks: 6
; NumSGPRsForWavesPerEU: 56
; NumVGPRsForWavesPerEU: 50
; AccumOffset: 52
; Occupancy: 8
; WaveLimiterHint : 1
; COMPUTE_PGM_RSRC2:SCRATCH_EN: 0
; COMPUTE_PGM_RSRC2:USER_SGPR: 6
; COMPUTE_PGM_RSRC2:TRAP_HANDLER: 0
; COMPUTE_PGM_RSRC2:TGID_X_EN: 1
; COMPUTE_PGM_RSRC2:TGID_Y_EN: 0
; COMPUTE_PGM_RSRC2:TGID_Z_EN: 0
; COMPUTE_PGM_RSRC2:TIDIG_COMP_CNT: 0
; COMPUTE_PGM_RSRC3_GFX90A:ACCUM_OFFSET: 12
; COMPUTE_PGM_RSRC3_GFX90A:TG_SPLIT: 0
	.section	.text._ZN7rocprim17ROCPRIM_400000_NS6detail17trampoline_kernelINS0_14default_configENS1_25partition_config_selectorILNS1_17partition_subalgoE9EllbEEZZNS1_14partition_implILS5_9ELb0ES3_jPlS8_PNS0_10empty_typeENS0_5tupleIJS8_S9_EEENSB_IJS8_SA_EEENS0_18inequality_wrapperIZN2at6native12_GLOBAL__N_124unique_dim_cuda_templateIjEESt5tupleIJNSF_6TensorESK_SK_EERKSK_lbbbEUlllE0_EEPmJS9_EEE10hipError_tPvRmT3_T4_T5_T6_T7_T9_mT8_P12ihipStream_tbDpT10_ENKUlT_T0_E_clISt17integral_constantIbLb1EES1A_EEDaS15_S16_EUlS15_E_NS1_11comp_targetILNS1_3genE3ELNS1_11target_archE908ELNS1_3gpuE7ELNS1_3repE0EEENS1_30default_config_static_selectorELNS0_4arch9wavefront6targetE1EEEvT1_,"axG",@progbits,_ZN7rocprim17ROCPRIM_400000_NS6detail17trampoline_kernelINS0_14default_configENS1_25partition_config_selectorILNS1_17partition_subalgoE9EllbEEZZNS1_14partition_implILS5_9ELb0ES3_jPlS8_PNS0_10empty_typeENS0_5tupleIJS8_S9_EEENSB_IJS8_SA_EEENS0_18inequality_wrapperIZN2at6native12_GLOBAL__N_124unique_dim_cuda_templateIjEESt5tupleIJNSF_6TensorESK_SK_EERKSK_lbbbEUlllE0_EEPmJS9_EEE10hipError_tPvRmT3_T4_T5_T6_T7_T9_mT8_P12ihipStream_tbDpT10_ENKUlT_T0_E_clISt17integral_constantIbLb1EES1A_EEDaS15_S16_EUlS15_E_NS1_11comp_targetILNS1_3genE3ELNS1_11target_archE908ELNS1_3gpuE7ELNS1_3repE0EEENS1_30default_config_static_selectorELNS0_4arch9wavefront6targetE1EEEvT1_,comdat
	.globl	_ZN7rocprim17ROCPRIM_400000_NS6detail17trampoline_kernelINS0_14default_configENS1_25partition_config_selectorILNS1_17partition_subalgoE9EllbEEZZNS1_14partition_implILS5_9ELb0ES3_jPlS8_PNS0_10empty_typeENS0_5tupleIJS8_S9_EEENSB_IJS8_SA_EEENS0_18inequality_wrapperIZN2at6native12_GLOBAL__N_124unique_dim_cuda_templateIjEESt5tupleIJNSF_6TensorESK_SK_EERKSK_lbbbEUlllE0_EEPmJS9_EEE10hipError_tPvRmT3_T4_T5_T6_T7_T9_mT8_P12ihipStream_tbDpT10_ENKUlT_T0_E_clISt17integral_constantIbLb1EES1A_EEDaS15_S16_EUlS15_E_NS1_11comp_targetILNS1_3genE3ELNS1_11target_archE908ELNS1_3gpuE7ELNS1_3repE0EEENS1_30default_config_static_selectorELNS0_4arch9wavefront6targetE1EEEvT1_ ; -- Begin function _ZN7rocprim17ROCPRIM_400000_NS6detail17trampoline_kernelINS0_14default_configENS1_25partition_config_selectorILNS1_17partition_subalgoE9EllbEEZZNS1_14partition_implILS5_9ELb0ES3_jPlS8_PNS0_10empty_typeENS0_5tupleIJS8_S9_EEENSB_IJS8_SA_EEENS0_18inequality_wrapperIZN2at6native12_GLOBAL__N_124unique_dim_cuda_templateIjEESt5tupleIJNSF_6TensorESK_SK_EERKSK_lbbbEUlllE0_EEPmJS9_EEE10hipError_tPvRmT3_T4_T5_T6_T7_T9_mT8_P12ihipStream_tbDpT10_ENKUlT_T0_E_clISt17integral_constantIbLb1EES1A_EEDaS15_S16_EUlS15_E_NS1_11comp_targetILNS1_3genE3ELNS1_11target_archE908ELNS1_3gpuE7ELNS1_3repE0EEENS1_30default_config_static_selectorELNS0_4arch9wavefront6targetE1EEEvT1_
	.p2align	8
	.type	_ZN7rocprim17ROCPRIM_400000_NS6detail17trampoline_kernelINS0_14default_configENS1_25partition_config_selectorILNS1_17partition_subalgoE9EllbEEZZNS1_14partition_implILS5_9ELb0ES3_jPlS8_PNS0_10empty_typeENS0_5tupleIJS8_S9_EEENSB_IJS8_SA_EEENS0_18inequality_wrapperIZN2at6native12_GLOBAL__N_124unique_dim_cuda_templateIjEESt5tupleIJNSF_6TensorESK_SK_EERKSK_lbbbEUlllE0_EEPmJS9_EEE10hipError_tPvRmT3_T4_T5_T6_T7_T9_mT8_P12ihipStream_tbDpT10_ENKUlT_T0_E_clISt17integral_constantIbLb1EES1A_EEDaS15_S16_EUlS15_E_NS1_11comp_targetILNS1_3genE3ELNS1_11target_archE908ELNS1_3gpuE7ELNS1_3repE0EEENS1_30default_config_static_selectorELNS0_4arch9wavefront6targetE1EEEvT1_,@function
_ZN7rocprim17ROCPRIM_400000_NS6detail17trampoline_kernelINS0_14default_configENS1_25partition_config_selectorILNS1_17partition_subalgoE9EllbEEZZNS1_14partition_implILS5_9ELb0ES3_jPlS8_PNS0_10empty_typeENS0_5tupleIJS8_S9_EEENSB_IJS8_SA_EEENS0_18inequality_wrapperIZN2at6native12_GLOBAL__N_124unique_dim_cuda_templateIjEESt5tupleIJNSF_6TensorESK_SK_EERKSK_lbbbEUlllE0_EEPmJS9_EEE10hipError_tPvRmT3_T4_T5_T6_T7_T9_mT8_P12ihipStream_tbDpT10_ENKUlT_T0_E_clISt17integral_constantIbLb1EES1A_EEDaS15_S16_EUlS15_E_NS1_11comp_targetILNS1_3genE3ELNS1_11target_archE908ELNS1_3gpuE7ELNS1_3repE0EEENS1_30default_config_static_selectorELNS0_4arch9wavefront6targetE1EEEvT1_: ; @_ZN7rocprim17ROCPRIM_400000_NS6detail17trampoline_kernelINS0_14default_configENS1_25partition_config_selectorILNS1_17partition_subalgoE9EllbEEZZNS1_14partition_implILS5_9ELb0ES3_jPlS8_PNS0_10empty_typeENS0_5tupleIJS8_S9_EEENSB_IJS8_SA_EEENS0_18inequality_wrapperIZN2at6native12_GLOBAL__N_124unique_dim_cuda_templateIjEESt5tupleIJNSF_6TensorESK_SK_EERKSK_lbbbEUlllE0_EEPmJS9_EEE10hipError_tPvRmT3_T4_T5_T6_T7_T9_mT8_P12ihipStream_tbDpT10_ENKUlT_T0_E_clISt17integral_constantIbLb1EES1A_EEDaS15_S16_EUlS15_E_NS1_11comp_targetILNS1_3genE3ELNS1_11target_archE908ELNS1_3gpuE7ELNS1_3repE0EEENS1_30default_config_static_selectorELNS0_4arch9wavefront6targetE1EEEvT1_
; %bb.0:
	.section	.rodata,"a",@progbits
	.p2align	6, 0x0
	.amdhsa_kernel _ZN7rocprim17ROCPRIM_400000_NS6detail17trampoline_kernelINS0_14default_configENS1_25partition_config_selectorILNS1_17partition_subalgoE9EllbEEZZNS1_14partition_implILS5_9ELb0ES3_jPlS8_PNS0_10empty_typeENS0_5tupleIJS8_S9_EEENSB_IJS8_SA_EEENS0_18inequality_wrapperIZN2at6native12_GLOBAL__N_124unique_dim_cuda_templateIjEESt5tupleIJNSF_6TensorESK_SK_EERKSK_lbbbEUlllE0_EEPmJS9_EEE10hipError_tPvRmT3_T4_T5_T6_T7_T9_mT8_P12ihipStream_tbDpT10_ENKUlT_T0_E_clISt17integral_constantIbLb1EES1A_EEDaS15_S16_EUlS15_E_NS1_11comp_targetILNS1_3genE3ELNS1_11target_archE908ELNS1_3gpuE7ELNS1_3repE0EEENS1_30default_config_static_selectorELNS0_4arch9wavefront6targetE1EEEvT1_
		.amdhsa_group_segment_fixed_size 0
		.amdhsa_private_segment_fixed_size 0
		.amdhsa_kernarg_size 136
		.amdhsa_user_sgpr_count 6
		.amdhsa_user_sgpr_private_segment_buffer 1
		.amdhsa_user_sgpr_dispatch_ptr 0
		.amdhsa_user_sgpr_queue_ptr 0
		.amdhsa_user_sgpr_kernarg_segment_ptr 1
		.amdhsa_user_sgpr_dispatch_id 0
		.amdhsa_user_sgpr_flat_scratch_init 0
		.amdhsa_user_sgpr_kernarg_preload_length 0
		.amdhsa_user_sgpr_kernarg_preload_offset 0
		.amdhsa_user_sgpr_private_segment_size 0
		.amdhsa_uses_dynamic_stack 0
		.amdhsa_system_sgpr_private_segment_wavefront_offset 0
		.amdhsa_system_sgpr_workgroup_id_x 1
		.amdhsa_system_sgpr_workgroup_id_y 0
		.amdhsa_system_sgpr_workgroup_id_z 0
		.amdhsa_system_sgpr_workgroup_info 0
		.amdhsa_system_vgpr_workitem_id 0
		.amdhsa_next_free_vgpr 1
		.amdhsa_next_free_sgpr 0
		.amdhsa_accum_offset 4
		.amdhsa_reserve_vcc 0
		.amdhsa_reserve_flat_scratch 0
		.amdhsa_float_round_mode_32 0
		.amdhsa_float_round_mode_16_64 0
		.amdhsa_float_denorm_mode_32 3
		.amdhsa_float_denorm_mode_16_64 3
		.amdhsa_dx10_clamp 1
		.amdhsa_ieee_mode 1
		.amdhsa_fp16_overflow 0
		.amdhsa_tg_split 0
		.amdhsa_exception_fp_ieee_invalid_op 0
		.amdhsa_exception_fp_denorm_src 0
		.amdhsa_exception_fp_ieee_div_zero 0
		.amdhsa_exception_fp_ieee_overflow 0
		.amdhsa_exception_fp_ieee_underflow 0
		.amdhsa_exception_fp_ieee_inexact 0
		.amdhsa_exception_int_div_zero 0
	.end_amdhsa_kernel
	.section	.text._ZN7rocprim17ROCPRIM_400000_NS6detail17trampoline_kernelINS0_14default_configENS1_25partition_config_selectorILNS1_17partition_subalgoE9EllbEEZZNS1_14partition_implILS5_9ELb0ES3_jPlS8_PNS0_10empty_typeENS0_5tupleIJS8_S9_EEENSB_IJS8_SA_EEENS0_18inequality_wrapperIZN2at6native12_GLOBAL__N_124unique_dim_cuda_templateIjEESt5tupleIJNSF_6TensorESK_SK_EERKSK_lbbbEUlllE0_EEPmJS9_EEE10hipError_tPvRmT3_T4_T5_T6_T7_T9_mT8_P12ihipStream_tbDpT10_ENKUlT_T0_E_clISt17integral_constantIbLb1EES1A_EEDaS15_S16_EUlS15_E_NS1_11comp_targetILNS1_3genE3ELNS1_11target_archE908ELNS1_3gpuE7ELNS1_3repE0EEENS1_30default_config_static_selectorELNS0_4arch9wavefront6targetE1EEEvT1_,"axG",@progbits,_ZN7rocprim17ROCPRIM_400000_NS6detail17trampoline_kernelINS0_14default_configENS1_25partition_config_selectorILNS1_17partition_subalgoE9EllbEEZZNS1_14partition_implILS5_9ELb0ES3_jPlS8_PNS0_10empty_typeENS0_5tupleIJS8_S9_EEENSB_IJS8_SA_EEENS0_18inequality_wrapperIZN2at6native12_GLOBAL__N_124unique_dim_cuda_templateIjEESt5tupleIJNSF_6TensorESK_SK_EERKSK_lbbbEUlllE0_EEPmJS9_EEE10hipError_tPvRmT3_T4_T5_T6_T7_T9_mT8_P12ihipStream_tbDpT10_ENKUlT_T0_E_clISt17integral_constantIbLb1EES1A_EEDaS15_S16_EUlS15_E_NS1_11comp_targetILNS1_3genE3ELNS1_11target_archE908ELNS1_3gpuE7ELNS1_3repE0EEENS1_30default_config_static_selectorELNS0_4arch9wavefront6targetE1EEEvT1_,comdat
.Lfunc_end1582:
	.size	_ZN7rocprim17ROCPRIM_400000_NS6detail17trampoline_kernelINS0_14default_configENS1_25partition_config_selectorILNS1_17partition_subalgoE9EllbEEZZNS1_14partition_implILS5_9ELb0ES3_jPlS8_PNS0_10empty_typeENS0_5tupleIJS8_S9_EEENSB_IJS8_SA_EEENS0_18inequality_wrapperIZN2at6native12_GLOBAL__N_124unique_dim_cuda_templateIjEESt5tupleIJNSF_6TensorESK_SK_EERKSK_lbbbEUlllE0_EEPmJS9_EEE10hipError_tPvRmT3_T4_T5_T6_T7_T9_mT8_P12ihipStream_tbDpT10_ENKUlT_T0_E_clISt17integral_constantIbLb1EES1A_EEDaS15_S16_EUlS15_E_NS1_11comp_targetILNS1_3genE3ELNS1_11target_archE908ELNS1_3gpuE7ELNS1_3repE0EEENS1_30default_config_static_selectorELNS0_4arch9wavefront6targetE1EEEvT1_, .Lfunc_end1582-_ZN7rocprim17ROCPRIM_400000_NS6detail17trampoline_kernelINS0_14default_configENS1_25partition_config_selectorILNS1_17partition_subalgoE9EllbEEZZNS1_14partition_implILS5_9ELb0ES3_jPlS8_PNS0_10empty_typeENS0_5tupleIJS8_S9_EEENSB_IJS8_SA_EEENS0_18inequality_wrapperIZN2at6native12_GLOBAL__N_124unique_dim_cuda_templateIjEESt5tupleIJNSF_6TensorESK_SK_EERKSK_lbbbEUlllE0_EEPmJS9_EEE10hipError_tPvRmT3_T4_T5_T6_T7_T9_mT8_P12ihipStream_tbDpT10_ENKUlT_T0_E_clISt17integral_constantIbLb1EES1A_EEDaS15_S16_EUlS15_E_NS1_11comp_targetILNS1_3genE3ELNS1_11target_archE908ELNS1_3gpuE7ELNS1_3repE0EEENS1_30default_config_static_selectorELNS0_4arch9wavefront6targetE1EEEvT1_
                                        ; -- End function
	.section	.AMDGPU.csdata,"",@progbits
; Kernel info:
; codeLenInByte = 0
; NumSgprs: 4
; NumVgprs: 0
; NumAgprs: 0
; TotalNumVgprs: 0
; ScratchSize: 0
; MemoryBound: 0
; FloatMode: 240
; IeeeMode: 1
; LDSByteSize: 0 bytes/workgroup (compile time only)
; SGPRBlocks: 0
; VGPRBlocks: 0
; NumSGPRsForWavesPerEU: 4
; NumVGPRsForWavesPerEU: 1
; AccumOffset: 4
; Occupancy: 8
; WaveLimiterHint : 0
; COMPUTE_PGM_RSRC2:SCRATCH_EN: 0
; COMPUTE_PGM_RSRC2:USER_SGPR: 6
; COMPUTE_PGM_RSRC2:TRAP_HANDLER: 0
; COMPUTE_PGM_RSRC2:TGID_X_EN: 1
; COMPUTE_PGM_RSRC2:TGID_Y_EN: 0
; COMPUTE_PGM_RSRC2:TGID_Z_EN: 0
; COMPUTE_PGM_RSRC2:TIDIG_COMP_CNT: 0
; COMPUTE_PGM_RSRC3_GFX90A:ACCUM_OFFSET: 0
; COMPUTE_PGM_RSRC3_GFX90A:TG_SPLIT: 0
	.section	.text._ZN7rocprim17ROCPRIM_400000_NS6detail17trampoline_kernelINS0_14default_configENS1_25partition_config_selectorILNS1_17partition_subalgoE9EllbEEZZNS1_14partition_implILS5_9ELb0ES3_jPlS8_PNS0_10empty_typeENS0_5tupleIJS8_S9_EEENSB_IJS8_SA_EEENS0_18inequality_wrapperIZN2at6native12_GLOBAL__N_124unique_dim_cuda_templateIjEESt5tupleIJNSF_6TensorESK_SK_EERKSK_lbbbEUlllE0_EEPmJS9_EEE10hipError_tPvRmT3_T4_T5_T6_T7_T9_mT8_P12ihipStream_tbDpT10_ENKUlT_T0_E_clISt17integral_constantIbLb1EES1A_EEDaS15_S16_EUlS15_E_NS1_11comp_targetILNS1_3genE2ELNS1_11target_archE906ELNS1_3gpuE6ELNS1_3repE0EEENS1_30default_config_static_selectorELNS0_4arch9wavefront6targetE1EEEvT1_,"axG",@progbits,_ZN7rocprim17ROCPRIM_400000_NS6detail17trampoline_kernelINS0_14default_configENS1_25partition_config_selectorILNS1_17partition_subalgoE9EllbEEZZNS1_14partition_implILS5_9ELb0ES3_jPlS8_PNS0_10empty_typeENS0_5tupleIJS8_S9_EEENSB_IJS8_SA_EEENS0_18inequality_wrapperIZN2at6native12_GLOBAL__N_124unique_dim_cuda_templateIjEESt5tupleIJNSF_6TensorESK_SK_EERKSK_lbbbEUlllE0_EEPmJS9_EEE10hipError_tPvRmT3_T4_T5_T6_T7_T9_mT8_P12ihipStream_tbDpT10_ENKUlT_T0_E_clISt17integral_constantIbLb1EES1A_EEDaS15_S16_EUlS15_E_NS1_11comp_targetILNS1_3genE2ELNS1_11target_archE906ELNS1_3gpuE6ELNS1_3repE0EEENS1_30default_config_static_selectorELNS0_4arch9wavefront6targetE1EEEvT1_,comdat
	.globl	_ZN7rocprim17ROCPRIM_400000_NS6detail17trampoline_kernelINS0_14default_configENS1_25partition_config_selectorILNS1_17partition_subalgoE9EllbEEZZNS1_14partition_implILS5_9ELb0ES3_jPlS8_PNS0_10empty_typeENS0_5tupleIJS8_S9_EEENSB_IJS8_SA_EEENS0_18inequality_wrapperIZN2at6native12_GLOBAL__N_124unique_dim_cuda_templateIjEESt5tupleIJNSF_6TensorESK_SK_EERKSK_lbbbEUlllE0_EEPmJS9_EEE10hipError_tPvRmT3_T4_T5_T6_T7_T9_mT8_P12ihipStream_tbDpT10_ENKUlT_T0_E_clISt17integral_constantIbLb1EES1A_EEDaS15_S16_EUlS15_E_NS1_11comp_targetILNS1_3genE2ELNS1_11target_archE906ELNS1_3gpuE6ELNS1_3repE0EEENS1_30default_config_static_selectorELNS0_4arch9wavefront6targetE1EEEvT1_ ; -- Begin function _ZN7rocprim17ROCPRIM_400000_NS6detail17trampoline_kernelINS0_14default_configENS1_25partition_config_selectorILNS1_17partition_subalgoE9EllbEEZZNS1_14partition_implILS5_9ELb0ES3_jPlS8_PNS0_10empty_typeENS0_5tupleIJS8_S9_EEENSB_IJS8_SA_EEENS0_18inequality_wrapperIZN2at6native12_GLOBAL__N_124unique_dim_cuda_templateIjEESt5tupleIJNSF_6TensorESK_SK_EERKSK_lbbbEUlllE0_EEPmJS9_EEE10hipError_tPvRmT3_T4_T5_T6_T7_T9_mT8_P12ihipStream_tbDpT10_ENKUlT_T0_E_clISt17integral_constantIbLb1EES1A_EEDaS15_S16_EUlS15_E_NS1_11comp_targetILNS1_3genE2ELNS1_11target_archE906ELNS1_3gpuE6ELNS1_3repE0EEENS1_30default_config_static_selectorELNS0_4arch9wavefront6targetE1EEEvT1_
	.p2align	8
	.type	_ZN7rocprim17ROCPRIM_400000_NS6detail17trampoline_kernelINS0_14default_configENS1_25partition_config_selectorILNS1_17partition_subalgoE9EllbEEZZNS1_14partition_implILS5_9ELb0ES3_jPlS8_PNS0_10empty_typeENS0_5tupleIJS8_S9_EEENSB_IJS8_SA_EEENS0_18inequality_wrapperIZN2at6native12_GLOBAL__N_124unique_dim_cuda_templateIjEESt5tupleIJNSF_6TensorESK_SK_EERKSK_lbbbEUlllE0_EEPmJS9_EEE10hipError_tPvRmT3_T4_T5_T6_T7_T9_mT8_P12ihipStream_tbDpT10_ENKUlT_T0_E_clISt17integral_constantIbLb1EES1A_EEDaS15_S16_EUlS15_E_NS1_11comp_targetILNS1_3genE2ELNS1_11target_archE906ELNS1_3gpuE6ELNS1_3repE0EEENS1_30default_config_static_selectorELNS0_4arch9wavefront6targetE1EEEvT1_,@function
_ZN7rocprim17ROCPRIM_400000_NS6detail17trampoline_kernelINS0_14default_configENS1_25partition_config_selectorILNS1_17partition_subalgoE9EllbEEZZNS1_14partition_implILS5_9ELb0ES3_jPlS8_PNS0_10empty_typeENS0_5tupleIJS8_S9_EEENSB_IJS8_SA_EEENS0_18inequality_wrapperIZN2at6native12_GLOBAL__N_124unique_dim_cuda_templateIjEESt5tupleIJNSF_6TensorESK_SK_EERKSK_lbbbEUlllE0_EEPmJS9_EEE10hipError_tPvRmT3_T4_T5_T6_T7_T9_mT8_P12ihipStream_tbDpT10_ENKUlT_T0_E_clISt17integral_constantIbLb1EES1A_EEDaS15_S16_EUlS15_E_NS1_11comp_targetILNS1_3genE2ELNS1_11target_archE906ELNS1_3gpuE6ELNS1_3repE0EEENS1_30default_config_static_selectorELNS0_4arch9wavefront6targetE1EEEvT1_: ; @_ZN7rocprim17ROCPRIM_400000_NS6detail17trampoline_kernelINS0_14default_configENS1_25partition_config_selectorILNS1_17partition_subalgoE9EllbEEZZNS1_14partition_implILS5_9ELb0ES3_jPlS8_PNS0_10empty_typeENS0_5tupleIJS8_S9_EEENSB_IJS8_SA_EEENS0_18inequality_wrapperIZN2at6native12_GLOBAL__N_124unique_dim_cuda_templateIjEESt5tupleIJNSF_6TensorESK_SK_EERKSK_lbbbEUlllE0_EEPmJS9_EEE10hipError_tPvRmT3_T4_T5_T6_T7_T9_mT8_P12ihipStream_tbDpT10_ENKUlT_T0_E_clISt17integral_constantIbLb1EES1A_EEDaS15_S16_EUlS15_E_NS1_11comp_targetILNS1_3genE2ELNS1_11target_archE906ELNS1_3gpuE6ELNS1_3repE0EEENS1_30default_config_static_selectorELNS0_4arch9wavefront6targetE1EEEvT1_
; %bb.0:
	.section	.rodata,"a",@progbits
	.p2align	6, 0x0
	.amdhsa_kernel _ZN7rocprim17ROCPRIM_400000_NS6detail17trampoline_kernelINS0_14default_configENS1_25partition_config_selectorILNS1_17partition_subalgoE9EllbEEZZNS1_14partition_implILS5_9ELb0ES3_jPlS8_PNS0_10empty_typeENS0_5tupleIJS8_S9_EEENSB_IJS8_SA_EEENS0_18inequality_wrapperIZN2at6native12_GLOBAL__N_124unique_dim_cuda_templateIjEESt5tupleIJNSF_6TensorESK_SK_EERKSK_lbbbEUlllE0_EEPmJS9_EEE10hipError_tPvRmT3_T4_T5_T6_T7_T9_mT8_P12ihipStream_tbDpT10_ENKUlT_T0_E_clISt17integral_constantIbLb1EES1A_EEDaS15_S16_EUlS15_E_NS1_11comp_targetILNS1_3genE2ELNS1_11target_archE906ELNS1_3gpuE6ELNS1_3repE0EEENS1_30default_config_static_selectorELNS0_4arch9wavefront6targetE1EEEvT1_
		.amdhsa_group_segment_fixed_size 0
		.amdhsa_private_segment_fixed_size 0
		.amdhsa_kernarg_size 136
		.amdhsa_user_sgpr_count 6
		.amdhsa_user_sgpr_private_segment_buffer 1
		.amdhsa_user_sgpr_dispatch_ptr 0
		.amdhsa_user_sgpr_queue_ptr 0
		.amdhsa_user_sgpr_kernarg_segment_ptr 1
		.amdhsa_user_sgpr_dispatch_id 0
		.amdhsa_user_sgpr_flat_scratch_init 0
		.amdhsa_user_sgpr_kernarg_preload_length 0
		.amdhsa_user_sgpr_kernarg_preload_offset 0
		.amdhsa_user_sgpr_private_segment_size 0
		.amdhsa_uses_dynamic_stack 0
		.amdhsa_system_sgpr_private_segment_wavefront_offset 0
		.amdhsa_system_sgpr_workgroup_id_x 1
		.amdhsa_system_sgpr_workgroup_id_y 0
		.amdhsa_system_sgpr_workgroup_id_z 0
		.amdhsa_system_sgpr_workgroup_info 0
		.amdhsa_system_vgpr_workitem_id 0
		.amdhsa_next_free_vgpr 1
		.amdhsa_next_free_sgpr 0
		.amdhsa_accum_offset 4
		.amdhsa_reserve_vcc 0
		.amdhsa_reserve_flat_scratch 0
		.amdhsa_float_round_mode_32 0
		.amdhsa_float_round_mode_16_64 0
		.amdhsa_float_denorm_mode_32 3
		.amdhsa_float_denorm_mode_16_64 3
		.amdhsa_dx10_clamp 1
		.amdhsa_ieee_mode 1
		.amdhsa_fp16_overflow 0
		.amdhsa_tg_split 0
		.amdhsa_exception_fp_ieee_invalid_op 0
		.amdhsa_exception_fp_denorm_src 0
		.amdhsa_exception_fp_ieee_div_zero 0
		.amdhsa_exception_fp_ieee_overflow 0
		.amdhsa_exception_fp_ieee_underflow 0
		.amdhsa_exception_fp_ieee_inexact 0
		.amdhsa_exception_int_div_zero 0
	.end_amdhsa_kernel
	.section	.text._ZN7rocprim17ROCPRIM_400000_NS6detail17trampoline_kernelINS0_14default_configENS1_25partition_config_selectorILNS1_17partition_subalgoE9EllbEEZZNS1_14partition_implILS5_9ELb0ES3_jPlS8_PNS0_10empty_typeENS0_5tupleIJS8_S9_EEENSB_IJS8_SA_EEENS0_18inequality_wrapperIZN2at6native12_GLOBAL__N_124unique_dim_cuda_templateIjEESt5tupleIJNSF_6TensorESK_SK_EERKSK_lbbbEUlllE0_EEPmJS9_EEE10hipError_tPvRmT3_T4_T5_T6_T7_T9_mT8_P12ihipStream_tbDpT10_ENKUlT_T0_E_clISt17integral_constantIbLb1EES1A_EEDaS15_S16_EUlS15_E_NS1_11comp_targetILNS1_3genE2ELNS1_11target_archE906ELNS1_3gpuE6ELNS1_3repE0EEENS1_30default_config_static_selectorELNS0_4arch9wavefront6targetE1EEEvT1_,"axG",@progbits,_ZN7rocprim17ROCPRIM_400000_NS6detail17trampoline_kernelINS0_14default_configENS1_25partition_config_selectorILNS1_17partition_subalgoE9EllbEEZZNS1_14partition_implILS5_9ELb0ES3_jPlS8_PNS0_10empty_typeENS0_5tupleIJS8_S9_EEENSB_IJS8_SA_EEENS0_18inequality_wrapperIZN2at6native12_GLOBAL__N_124unique_dim_cuda_templateIjEESt5tupleIJNSF_6TensorESK_SK_EERKSK_lbbbEUlllE0_EEPmJS9_EEE10hipError_tPvRmT3_T4_T5_T6_T7_T9_mT8_P12ihipStream_tbDpT10_ENKUlT_T0_E_clISt17integral_constantIbLb1EES1A_EEDaS15_S16_EUlS15_E_NS1_11comp_targetILNS1_3genE2ELNS1_11target_archE906ELNS1_3gpuE6ELNS1_3repE0EEENS1_30default_config_static_selectorELNS0_4arch9wavefront6targetE1EEEvT1_,comdat
.Lfunc_end1583:
	.size	_ZN7rocprim17ROCPRIM_400000_NS6detail17trampoline_kernelINS0_14default_configENS1_25partition_config_selectorILNS1_17partition_subalgoE9EllbEEZZNS1_14partition_implILS5_9ELb0ES3_jPlS8_PNS0_10empty_typeENS0_5tupleIJS8_S9_EEENSB_IJS8_SA_EEENS0_18inequality_wrapperIZN2at6native12_GLOBAL__N_124unique_dim_cuda_templateIjEESt5tupleIJNSF_6TensorESK_SK_EERKSK_lbbbEUlllE0_EEPmJS9_EEE10hipError_tPvRmT3_T4_T5_T6_T7_T9_mT8_P12ihipStream_tbDpT10_ENKUlT_T0_E_clISt17integral_constantIbLb1EES1A_EEDaS15_S16_EUlS15_E_NS1_11comp_targetILNS1_3genE2ELNS1_11target_archE906ELNS1_3gpuE6ELNS1_3repE0EEENS1_30default_config_static_selectorELNS0_4arch9wavefront6targetE1EEEvT1_, .Lfunc_end1583-_ZN7rocprim17ROCPRIM_400000_NS6detail17trampoline_kernelINS0_14default_configENS1_25partition_config_selectorILNS1_17partition_subalgoE9EllbEEZZNS1_14partition_implILS5_9ELb0ES3_jPlS8_PNS0_10empty_typeENS0_5tupleIJS8_S9_EEENSB_IJS8_SA_EEENS0_18inequality_wrapperIZN2at6native12_GLOBAL__N_124unique_dim_cuda_templateIjEESt5tupleIJNSF_6TensorESK_SK_EERKSK_lbbbEUlllE0_EEPmJS9_EEE10hipError_tPvRmT3_T4_T5_T6_T7_T9_mT8_P12ihipStream_tbDpT10_ENKUlT_T0_E_clISt17integral_constantIbLb1EES1A_EEDaS15_S16_EUlS15_E_NS1_11comp_targetILNS1_3genE2ELNS1_11target_archE906ELNS1_3gpuE6ELNS1_3repE0EEENS1_30default_config_static_selectorELNS0_4arch9wavefront6targetE1EEEvT1_
                                        ; -- End function
	.section	.AMDGPU.csdata,"",@progbits
; Kernel info:
; codeLenInByte = 0
; NumSgprs: 4
; NumVgprs: 0
; NumAgprs: 0
; TotalNumVgprs: 0
; ScratchSize: 0
; MemoryBound: 0
; FloatMode: 240
; IeeeMode: 1
; LDSByteSize: 0 bytes/workgroup (compile time only)
; SGPRBlocks: 0
; VGPRBlocks: 0
; NumSGPRsForWavesPerEU: 4
; NumVGPRsForWavesPerEU: 1
; AccumOffset: 4
; Occupancy: 8
; WaveLimiterHint : 0
; COMPUTE_PGM_RSRC2:SCRATCH_EN: 0
; COMPUTE_PGM_RSRC2:USER_SGPR: 6
; COMPUTE_PGM_RSRC2:TRAP_HANDLER: 0
; COMPUTE_PGM_RSRC2:TGID_X_EN: 1
; COMPUTE_PGM_RSRC2:TGID_Y_EN: 0
; COMPUTE_PGM_RSRC2:TGID_Z_EN: 0
; COMPUTE_PGM_RSRC2:TIDIG_COMP_CNT: 0
; COMPUTE_PGM_RSRC3_GFX90A:ACCUM_OFFSET: 0
; COMPUTE_PGM_RSRC3_GFX90A:TG_SPLIT: 0
	.section	.text._ZN7rocprim17ROCPRIM_400000_NS6detail17trampoline_kernelINS0_14default_configENS1_25partition_config_selectorILNS1_17partition_subalgoE9EllbEEZZNS1_14partition_implILS5_9ELb0ES3_jPlS8_PNS0_10empty_typeENS0_5tupleIJS8_S9_EEENSB_IJS8_SA_EEENS0_18inequality_wrapperIZN2at6native12_GLOBAL__N_124unique_dim_cuda_templateIjEESt5tupleIJNSF_6TensorESK_SK_EERKSK_lbbbEUlllE0_EEPmJS9_EEE10hipError_tPvRmT3_T4_T5_T6_T7_T9_mT8_P12ihipStream_tbDpT10_ENKUlT_T0_E_clISt17integral_constantIbLb1EES1A_EEDaS15_S16_EUlS15_E_NS1_11comp_targetILNS1_3genE10ELNS1_11target_archE1200ELNS1_3gpuE4ELNS1_3repE0EEENS1_30default_config_static_selectorELNS0_4arch9wavefront6targetE1EEEvT1_,"axG",@progbits,_ZN7rocprim17ROCPRIM_400000_NS6detail17trampoline_kernelINS0_14default_configENS1_25partition_config_selectorILNS1_17partition_subalgoE9EllbEEZZNS1_14partition_implILS5_9ELb0ES3_jPlS8_PNS0_10empty_typeENS0_5tupleIJS8_S9_EEENSB_IJS8_SA_EEENS0_18inequality_wrapperIZN2at6native12_GLOBAL__N_124unique_dim_cuda_templateIjEESt5tupleIJNSF_6TensorESK_SK_EERKSK_lbbbEUlllE0_EEPmJS9_EEE10hipError_tPvRmT3_T4_T5_T6_T7_T9_mT8_P12ihipStream_tbDpT10_ENKUlT_T0_E_clISt17integral_constantIbLb1EES1A_EEDaS15_S16_EUlS15_E_NS1_11comp_targetILNS1_3genE10ELNS1_11target_archE1200ELNS1_3gpuE4ELNS1_3repE0EEENS1_30default_config_static_selectorELNS0_4arch9wavefront6targetE1EEEvT1_,comdat
	.globl	_ZN7rocprim17ROCPRIM_400000_NS6detail17trampoline_kernelINS0_14default_configENS1_25partition_config_selectorILNS1_17partition_subalgoE9EllbEEZZNS1_14partition_implILS5_9ELb0ES3_jPlS8_PNS0_10empty_typeENS0_5tupleIJS8_S9_EEENSB_IJS8_SA_EEENS0_18inequality_wrapperIZN2at6native12_GLOBAL__N_124unique_dim_cuda_templateIjEESt5tupleIJNSF_6TensorESK_SK_EERKSK_lbbbEUlllE0_EEPmJS9_EEE10hipError_tPvRmT3_T4_T5_T6_T7_T9_mT8_P12ihipStream_tbDpT10_ENKUlT_T0_E_clISt17integral_constantIbLb1EES1A_EEDaS15_S16_EUlS15_E_NS1_11comp_targetILNS1_3genE10ELNS1_11target_archE1200ELNS1_3gpuE4ELNS1_3repE0EEENS1_30default_config_static_selectorELNS0_4arch9wavefront6targetE1EEEvT1_ ; -- Begin function _ZN7rocprim17ROCPRIM_400000_NS6detail17trampoline_kernelINS0_14default_configENS1_25partition_config_selectorILNS1_17partition_subalgoE9EllbEEZZNS1_14partition_implILS5_9ELb0ES3_jPlS8_PNS0_10empty_typeENS0_5tupleIJS8_S9_EEENSB_IJS8_SA_EEENS0_18inequality_wrapperIZN2at6native12_GLOBAL__N_124unique_dim_cuda_templateIjEESt5tupleIJNSF_6TensorESK_SK_EERKSK_lbbbEUlllE0_EEPmJS9_EEE10hipError_tPvRmT3_T4_T5_T6_T7_T9_mT8_P12ihipStream_tbDpT10_ENKUlT_T0_E_clISt17integral_constantIbLb1EES1A_EEDaS15_S16_EUlS15_E_NS1_11comp_targetILNS1_3genE10ELNS1_11target_archE1200ELNS1_3gpuE4ELNS1_3repE0EEENS1_30default_config_static_selectorELNS0_4arch9wavefront6targetE1EEEvT1_
	.p2align	8
	.type	_ZN7rocprim17ROCPRIM_400000_NS6detail17trampoline_kernelINS0_14default_configENS1_25partition_config_selectorILNS1_17partition_subalgoE9EllbEEZZNS1_14partition_implILS5_9ELb0ES3_jPlS8_PNS0_10empty_typeENS0_5tupleIJS8_S9_EEENSB_IJS8_SA_EEENS0_18inequality_wrapperIZN2at6native12_GLOBAL__N_124unique_dim_cuda_templateIjEESt5tupleIJNSF_6TensorESK_SK_EERKSK_lbbbEUlllE0_EEPmJS9_EEE10hipError_tPvRmT3_T4_T5_T6_T7_T9_mT8_P12ihipStream_tbDpT10_ENKUlT_T0_E_clISt17integral_constantIbLb1EES1A_EEDaS15_S16_EUlS15_E_NS1_11comp_targetILNS1_3genE10ELNS1_11target_archE1200ELNS1_3gpuE4ELNS1_3repE0EEENS1_30default_config_static_selectorELNS0_4arch9wavefront6targetE1EEEvT1_,@function
_ZN7rocprim17ROCPRIM_400000_NS6detail17trampoline_kernelINS0_14default_configENS1_25partition_config_selectorILNS1_17partition_subalgoE9EllbEEZZNS1_14partition_implILS5_9ELb0ES3_jPlS8_PNS0_10empty_typeENS0_5tupleIJS8_S9_EEENSB_IJS8_SA_EEENS0_18inequality_wrapperIZN2at6native12_GLOBAL__N_124unique_dim_cuda_templateIjEESt5tupleIJNSF_6TensorESK_SK_EERKSK_lbbbEUlllE0_EEPmJS9_EEE10hipError_tPvRmT3_T4_T5_T6_T7_T9_mT8_P12ihipStream_tbDpT10_ENKUlT_T0_E_clISt17integral_constantIbLb1EES1A_EEDaS15_S16_EUlS15_E_NS1_11comp_targetILNS1_3genE10ELNS1_11target_archE1200ELNS1_3gpuE4ELNS1_3repE0EEENS1_30default_config_static_selectorELNS0_4arch9wavefront6targetE1EEEvT1_: ; @_ZN7rocprim17ROCPRIM_400000_NS6detail17trampoline_kernelINS0_14default_configENS1_25partition_config_selectorILNS1_17partition_subalgoE9EllbEEZZNS1_14partition_implILS5_9ELb0ES3_jPlS8_PNS0_10empty_typeENS0_5tupleIJS8_S9_EEENSB_IJS8_SA_EEENS0_18inequality_wrapperIZN2at6native12_GLOBAL__N_124unique_dim_cuda_templateIjEESt5tupleIJNSF_6TensorESK_SK_EERKSK_lbbbEUlllE0_EEPmJS9_EEE10hipError_tPvRmT3_T4_T5_T6_T7_T9_mT8_P12ihipStream_tbDpT10_ENKUlT_T0_E_clISt17integral_constantIbLb1EES1A_EEDaS15_S16_EUlS15_E_NS1_11comp_targetILNS1_3genE10ELNS1_11target_archE1200ELNS1_3gpuE4ELNS1_3repE0EEENS1_30default_config_static_selectorELNS0_4arch9wavefront6targetE1EEEvT1_
; %bb.0:
	.section	.rodata,"a",@progbits
	.p2align	6, 0x0
	.amdhsa_kernel _ZN7rocprim17ROCPRIM_400000_NS6detail17trampoline_kernelINS0_14default_configENS1_25partition_config_selectorILNS1_17partition_subalgoE9EllbEEZZNS1_14partition_implILS5_9ELb0ES3_jPlS8_PNS0_10empty_typeENS0_5tupleIJS8_S9_EEENSB_IJS8_SA_EEENS0_18inequality_wrapperIZN2at6native12_GLOBAL__N_124unique_dim_cuda_templateIjEESt5tupleIJNSF_6TensorESK_SK_EERKSK_lbbbEUlllE0_EEPmJS9_EEE10hipError_tPvRmT3_T4_T5_T6_T7_T9_mT8_P12ihipStream_tbDpT10_ENKUlT_T0_E_clISt17integral_constantIbLb1EES1A_EEDaS15_S16_EUlS15_E_NS1_11comp_targetILNS1_3genE10ELNS1_11target_archE1200ELNS1_3gpuE4ELNS1_3repE0EEENS1_30default_config_static_selectorELNS0_4arch9wavefront6targetE1EEEvT1_
		.amdhsa_group_segment_fixed_size 0
		.amdhsa_private_segment_fixed_size 0
		.amdhsa_kernarg_size 136
		.amdhsa_user_sgpr_count 6
		.amdhsa_user_sgpr_private_segment_buffer 1
		.amdhsa_user_sgpr_dispatch_ptr 0
		.amdhsa_user_sgpr_queue_ptr 0
		.amdhsa_user_sgpr_kernarg_segment_ptr 1
		.amdhsa_user_sgpr_dispatch_id 0
		.amdhsa_user_sgpr_flat_scratch_init 0
		.amdhsa_user_sgpr_kernarg_preload_length 0
		.amdhsa_user_sgpr_kernarg_preload_offset 0
		.amdhsa_user_sgpr_private_segment_size 0
		.amdhsa_uses_dynamic_stack 0
		.amdhsa_system_sgpr_private_segment_wavefront_offset 0
		.amdhsa_system_sgpr_workgroup_id_x 1
		.amdhsa_system_sgpr_workgroup_id_y 0
		.amdhsa_system_sgpr_workgroup_id_z 0
		.amdhsa_system_sgpr_workgroup_info 0
		.amdhsa_system_vgpr_workitem_id 0
		.amdhsa_next_free_vgpr 1
		.amdhsa_next_free_sgpr 0
		.amdhsa_accum_offset 4
		.amdhsa_reserve_vcc 0
		.amdhsa_reserve_flat_scratch 0
		.amdhsa_float_round_mode_32 0
		.amdhsa_float_round_mode_16_64 0
		.amdhsa_float_denorm_mode_32 3
		.amdhsa_float_denorm_mode_16_64 3
		.amdhsa_dx10_clamp 1
		.amdhsa_ieee_mode 1
		.amdhsa_fp16_overflow 0
		.amdhsa_tg_split 0
		.amdhsa_exception_fp_ieee_invalid_op 0
		.amdhsa_exception_fp_denorm_src 0
		.amdhsa_exception_fp_ieee_div_zero 0
		.amdhsa_exception_fp_ieee_overflow 0
		.amdhsa_exception_fp_ieee_underflow 0
		.amdhsa_exception_fp_ieee_inexact 0
		.amdhsa_exception_int_div_zero 0
	.end_amdhsa_kernel
	.section	.text._ZN7rocprim17ROCPRIM_400000_NS6detail17trampoline_kernelINS0_14default_configENS1_25partition_config_selectorILNS1_17partition_subalgoE9EllbEEZZNS1_14partition_implILS5_9ELb0ES3_jPlS8_PNS0_10empty_typeENS0_5tupleIJS8_S9_EEENSB_IJS8_SA_EEENS0_18inequality_wrapperIZN2at6native12_GLOBAL__N_124unique_dim_cuda_templateIjEESt5tupleIJNSF_6TensorESK_SK_EERKSK_lbbbEUlllE0_EEPmJS9_EEE10hipError_tPvRmT3_T4_T5_T6_T7_T9_mT8_P12ihipStream_tbDpT10_ENKUlT_T0_E_clISt17integral_constantIbLb1EES1A_EEDaS15_S16_EUlS15_E_NS1_11comp_targetILNS1_3genE10ELNS1_11target_archE1200ELNS1_3gpuE4ELNS1_3repE0EEENS1_30default_config_static_selectorELNS0_4arch9wavefront6targetE1EEEvT1_,"axG",@progbits,_ZN7rocprim17ROCPRIM_400000_NS6detail17trampoline_kernelINS0_14default_configENS1_25partition_config_selectorILNS1_17partition_subalgoE9EllbEEZZNS1_14partition_implILS5_9ELb0ES3_jPlS8_PNS0_10empty_typeENS0_5tupleIJS8_S9_EEENSB_IJS8_SA_EEENS0_18inequality_wrapperIZN2at6native12_GLOBAL__N_124unique_dim_cuda_templateIjEESt5tupleIJNSF_6TensorESK_SK_EERKSK_lbbbEUlllE0_EEPmJS9_EEE10hipError_tPvRmT3_T4_T5_T6_T7_T9_mT8_P12ihipStream_tbDpT10_ENKUlT_T0_E_clISt17integral_constantIbLb1EES1A_EEDaS15_S16_EUlS15_E_NS1_11comp_targetILNS1_3genE10ELNS1_11target_archE1200ELNS1_3gpuE4ELNS1_3repE0EEENS1_30default_config_static_selectorELNS0_4arch9wavefront6targetE1EEEvT1_,comdat
.Lfunc_end1584:
	.size	_ZN7rocprim17ROCPRIM_400000_NS6detail17trampoline_kernelINS0_14default_configENS1_25partition_config_selectorILNS1_17partition_subalgoE9EllbEEZZNS1_14partition_implILS5_9ELb0ES3_jPlS8_PNS0_10empty_typeENS0_5tupleIJS8_S9_EEENSB_IJS8_SA_EEENS0_18inequality_wrapperIZN2at6native12_GLOBAL__N_124unique_dim_cuda_templateIjEESt5tupleIJNSF_6TensorESK_SK_EERKSK_lbbbEUlllE0_EEPmJS9_EEE10hipError_tPvRmT3_T4_T5_T6_T7_T9_mT8_P12ihipStream_tbDpT10_ENKUlT_T0_E_clISt17integral_constantIbLb1EES1A_EEDaS15_S16_EUlS15_E_NS1_11comp_targetILNS1_3genE10ELNS1_11target_archE1200ELNS1_3gpuE4ELNS1_3repE0EEENS1_30default_config_static_selectorELNS0_4arch9wavefront6targetE1EEEvT1_, .Lfunc_end1584-_ZN7rocprim17ROCPRIM_400000_NS6detail17trampoline_kernelINS0_14default_configENS1_25partition_config_selectorILNS1_17partition_subalgoE9EllbEEZZNS1_14partition_implILS5_9ELb0ES3_jPlS8_PNS0_10empty_typeENS0_5tupleIJS8_S9_EEENSB_IJS8_SA_EEENS0_18inequality_wrapperIZN2at6native12_GLOBAL__N_124unique_dim_cuda_templateIjEESt5tupleIJNSF_6TensorESK_SK_EERKSK_lbbbEUlllE0_EEPmJS9_EEE10hipError_tPvRmT3_T4_T5_T6_T7_T9_mT8_P12ihipStream_tbDpT10_ENKUlT_T0_E_clISt17integral_constantIbLb1EES1A_EEDaS15_S16_EUlS15_E_NS1_11comp_targetILNS1_3genE10ELNS1_11target_archE1200ELNS1_3gpuE4ELNS1_3repE0EEENS1_30default_config_static_selectorELNS0_4arch9wavefront6targetE1EEEvT1_
                                        ; -- End function
	.section	.AMDGPU.csdata,"",@progbits
; Kernel info:
; codeLenInByte = 0
; NumSgprs: 4
; NumVgprs: 0
; NumAgprs: 0
; TotalNumVgprs: 0
; ScratchSize: 0
; MemoryBound: 0
; FloatMode: 240
; IeeeMode: 1
; LDSByteSize: 0 bytes/workgroup (compile time only)
; SGPRBlocks: 0
; VGPRBlocks: 0
; NumSGPRsForWavesPerEU: 4
; NumVGPRsForWavesPerEU: 1
; AccumOffset: 4
; Occupancy: 8
; WaveLimiterHint : 0
; COMPUTE_PGM_RSRC2:SCRATCH_EN: 0
; COMPUTE_PGM_RSRC2:USER_SGPR: 6
; COMPUTE_PGM_RSRC2:TRAP_HANDLER: 0
; COMPUTE_PGM_RSRC2:TGID_X_EN: 1
; COMPUTE_PGM_RSRC2:TGID_Y_EN: 0
; COMPUTE_PGM_RSRC2:TGID_Z_EN: 0
; COMPUTE_PGM_RSRC2:TIDIG_COMP_CNT: 0
; COMPUTE_PGM_RSRC3_GFX90A:ACCUM_OFFSET: 0
; COMPUTE_PGM_RSRC3_GFX90A:TG_SPLIT: 0
	.section	.text._ZN7rocprim17ROCPRIM_400000_NS6detail17trampoline_kernelINS0_14default_configENS1_25partition_config_selectorILNS1_17partition_subalgoE9EllbEEZZNS1_14partition_implILS5_9ELb0ES3_jPlS8_PNS0_10empty_typeENS0_5tupleIJS8_S9_EEENSB_IJS8_SA_EEENS0_18inequality_wrapperIZN2at6native12_GLOBAL__N_124unique_dim_cuda_templateIjEESt5tupleIJNSF_6TensorESK_SK_EERKSK_lbbbEUlllE0_EEPmJS9_EEE10hipError_tPvRmT3_T4_T5_T6_T7_T9_mT8_P12ihipStream_tbDpT10_ENKUlT_T0_E_clISt17integral_constantIbLb1EES1A_EEDaS15_S16_EUlS15_E_NS1_11comp_targetILNS1_3genE9ELNS1_11target_archE1100ELNS1_3gpuE3ELNS1_3repE0EEENS1_30default_config_static_selectorELNS0_4arch9wavefront6targetE1EEEvT1_,"axG",@progbits,_ZN7rocprim17ROCPRIM_400000_NS6detail17trampoline_kernelINS0_14default_configENS1_25partition_config_selectorILNS1_17partition_subalgoE9EllbEEZZNS1_14partition_implILS5_9ELb0ES3_jPlS8_PNS0_10empty_typeENS0_5tupleIJS8_S9_EEENSB_IJS8_SA_EEENS0_18inequality_wrapperIZN2at6native12_GLOBAL__N_124unique_dim_cuda_templateIjEESt5tupleIJNSF_6TensorESK_SK_EERKSK_lbbbEUlllE0_EEPmJS9_EEE10hipError_tPvRmT3_T4_T5_T6_T7_T9_mT8_P12ihipStream_tbDpT10_ENKUlT_T0_E_clISt17integral_constantIbLb1EES1A_EEDaS15_S16_EUlS15_E_NS1_11comp_targetILNS1_3genE9ELNS1_11target_archE1100ELNS1_3gpuE3ELNS1_3repE0EEENS1_30default_config_static_selectorELNS0_4arch9wavefront6targetE1EEEvT1_,comdat
	.globl	_ZN7rocprim17ROCPRIM_400000_NS6detail17trampoline_kernelINS0_14default_configENS1_25partition_config_selectorILNS1_17partition_subalgoE9EllbEEZZNS1_14partition_implILS5_9ELb0ES3_jPlS8_PNS0_10empty_typeENS0_5tupleIJS8_S9_EEENSB_IJS8_SA_EEENS0_18inequality_wrapperIZN2at6native12_GLOBAL__N_124unique_dim_cuda_templateIjEESt5tupleIJNSF_6TensorESK_SK_EERKSK_lbbbEUlllE0_EEPmJS9_EEE10hipError_tPvRmT3_T4_T5_T6_T7_T9_mT8_P12ihipStream_tbDpT10_ENKUlT_T0_E_clISt17integral_constantIbLb1EES1A_EEDaS15_S16_EUlS15_E_NS1_11comp_targetILNS1_3genE9ELNS1_11target_archE1100ELNS1_3gpuE3ELNS1_3repE0EEENS1_30default_config_static_selectorELNS0_4arch9wavefront6targetE1EEEvT1_ ; -- Begin function _ZN7rocprim17ROCPRIM_400000_NS6detail17trampoline_kernelINS0_14default_configENS1_25partition_config_selectorILNS1_17partition_subalgoE9EllbEEZZNS1_14partition_implILS5_9ELb0ES3_jPlS8_PNS0_10empty_typeENS0_5tupleIJS8_S9_EEENSB_IJS8_SA_EEENS0_18inequality_wrapperIZN2at6native12_GLOBAL__N_124unique_dim_cuda_templateIjEESt5tupleIJNSF_6TensorESK_SK_EERKSK_lbbbEUlllE0_EEPmJS9_EEE10hipError_tPvRmT3_T4_T5_T6_T7_T9_mT8_P12ihipStream_tbDpT10_ENKUlT_T0_E_clISt17integral_constantIbLb1EES1A_EEDaS15_S16_EUlS15_E_NS1_11comp_targetILNS1_3genE9ELNS1_11target_archE1100ELNS1_3gpuE3ELNS1_3repE0EEENS1_30default_config_static_selectorELNS0_4arch9wavefront6targetE1EEEvT1_
	.p2align	8
	.type	_ZN7rocprim17ROCPRIM_400000_NS6detail17trampoline_kernelINS0_14default_configENS1_25partition_config_selectorILNS1_17partition_subalgoE9EllbEEZZNS1_14partition_implILS5_9ELb0ES3_jPlS8_PNS0_10empty_typeENS0_5tupleIJS8_S9_EEENSB_IJS8_SA_EEENS0_18inequality_wrapperIZN2at6native12_GLOBAL__N_124unique_dim_cuda_templateIjEESt5tupleIJNSF_6TensorESK_SK_EERKSK_lbbbEUlllE0_EEPmJS9_EEE10hipError_tPvRmT3_T4_T5_T6_T7_T9_mT8_P12ihipStream_tbDpT10_ENKUlT_T0_E_clISt17integral_constantIbLb1EES1A_EEDaS15_S16_EUlS15_E_NS1_11comp_targetILNS1_3genE9ELNS1_11target_archE1100ELNS1_3gpuE3ELNS1_3repE0EEENS1_30default_config_static_selectorELNS0_4arch9wavefront6targetE1EEEvT1_,@function
_ZN7rocprim17ROCPRIM_400000_NS6detail17trampoline_kernelINS0_14default_configENS1_25partition_config_selectorILNS1_17partition_subalgoE9EllbEEZZNS1_14partition_implILS5_9ELb0ES3_jPlS8_PNS0_10empty_typeENS0_5tupleIJS8_S9_EEENSB_IJS8_SA_EEENS0_18inequality_wrapperIZN2at6native12_GLOBAL__N_124unique_dim_cuda_templateIjEESt5tupleIJNSF_6TensorESK_SK_EERKSK_lbbbEUlllE0_EEPmJS9_EEE10hipError_tPvRmT3_T4_T5_T6_T7_T9_mT8_P12ihipStream_tbDpT10_ENKUlT_T0_E_clISt17integral_constantIbLb1EES1A_EEDaS15_S16_EUlS15_E_NS1_11comp_targetILNS1_3genE9ELNS1_11target_archE1100ELNS1_3gpuE3ELNS1_3repE0EEENS1_30default_config_static_selectorELNS0_4arch9wavefront6targetE1EEEvT1_: ; @_ZN7rocprim17ROCPRIM_400000_NS6detail17trampoline_kernelINS0_14default_configENS1_25partition_config_selectorILNS1_17partition_subalgoE9EllbEEZZNS1_14partition_implILS5_9ELb0ES3_jPlS8_PNS0_10empty_typeENS0_5tupleIJS8_S9_EEENSB_IJS8_SA_EEENS0_18inequality_wrapperIZN2at6native12_GLOBAL__N_124unique_dim_cuda_templateIjEESt5tupleIJNSF_6TensorESK_SK_EERKSK_lbbbEUlllE0_EEPmJS9_EEE10hipError_tPvRmT3_T4_T5_T6_T7_T9_mT8_P12ihipStream_tbDpT10_ENKUlT_T0_E_clISt17integral_constantIbLb1EES1A_EEDaS15_S16_EUlS15_E_NS1_11comp_targetILNS1_3genE9ELNS1_11target_archE1100ELNS1_3gpuE3ELNS1_3repE0EEENS1_30default_config_static_selectorELNS0_4arch9wavefront6targetE1EEEvT1_
; %bb.0:
	.section	.rodata,"a",@progbits
	.p2align	6, 0x0
	.amdhsa_kernel _ZN7rocprim17ROCPRIM_400000_NS6detail17trampoline_kernelINS0_14default_configENS1_25partition_config_selectorILNS1_17partition_subalgoE9EllbEEZZNS1_14partition_implILS5_9ELb0ES3_jPlS8_PNS0_10empty_typeENS0_5tupleIJS8_S9_EEENSB_IJS8_SA_EEENS0_18inequality_wrapperIZN2at6native12_GLOBAL__N_124unique_dim_cuda_templateIjEESt5tupleIJNSF_6TensorESK_SK_EERKSK_lbbbEUlllE0_EEPmJS9_EEE10hipError_tPvRmT3_T4_T5_T6_T7_T9_mT8_P12ihipStream_tbDpT10_ENKUlT_T0_E_clISt17integral_constantIbLb1EES1A_EEDaS15_S16_EUlS15_E_NS1_11comp_targetILNS1_3genE9ELNS1_11target_archE1100ELNS1_3gpuE3ELNS1_3repE0EEENS1_30default_config_static_selectorELNS0_4arch9wavefront6targetE1EEEvT1_
		.amdhsa_group_segment_fixed_size 0
		.amdhsa_private_segment_fixed_size 0
		.amdhsa_kernarg_size 136
		.amdhsa_user_sgpr_count 6
		.amdhsa_user_sgpr_private_segment_buffer 1
		.amdhsa_user_sgpr_dispatch_ptr 0
		.amdhsa_user_sgpr_queue_ptr 0
		.amdhsa_user_sgpr_kernarg_segment_ptr 1
		.amdhsa_user_sgpr_dispatch_id 0
		.amdhsa_user_sgpr_flat_scratch_init 0
		.amdhsa_user_sgpr_kernarg_preload_length 0
		.amdhsa_user_sgpr_kernarg_preload_offset 0
		.amdhsa_user_sgpr_private_segment_size 0
		.amdhsa_uses_dynamic_stack 0
		.amdhsa_system_sgpr_private_segment_wavefront_offset 0
		.amdhsa_system_sgpr_workgroup_id_x 1
		.amdhsa_system_sgpr_workgroup_id_y 0
		.amdhsa_system_sgpr_workgroup_id_z 0
		.amdhsa_system_sgpr_workgroup_info 0
		.amdhsa_system_vgpr_workitem_id 0
		.amdhsa_next_free_vgpr 1
		.amdhsa_next_free_sgpr 0
		.amdhsa_accum_offset 4
		.amdhsa_reserve_vcc 0
		.amdhsa_reserve_flat_scratch 0
		.amdhsa_float_round_mode_32 0
		.amdhsa_float_round_mode_16_64 0
		.amdhsa_float_denorm_mode_32 3
		.amdhsa_float_denorm_mode_16_64 3
		.amdhsa_dx10_clamp 1
		.amdhsa_ieee_mode 1
		.amdhsa_fp16_overflow 0
		.amdhsa_tg_split 0
		.amdhsa_exception_fp_ieee_invalid_op 0
		.amdhsa_exception_fp_denorm_src 0
		.amdhsa_exception_fp_ieee_div_zero 0
		.amdhsa_exception_fp_ieee_overflow 0
		.amdhsa_exception_fp_ieee_underflow 0
		.amdhsa_exception_fp_ieee_inexact 0
		.amdhsa_exception_int_div_zero 0
	.end_amdhsa_kernel
	.section	.text._ZN7rocprim17ROCPRIM_400000_NS6detail17trampoline_kernelINS0_14default_configENS1_25partition_config_selectorILNS1_17partition_subalgoE9EllbEEZZNS1_14partition_implILS5_9ELb0ES3_jPlS8_PNS0_10empty_typeENS0_5tupleIJS8_S9_EEENSB_IJS8_SA_EEENS0_18inequality_wrapperIZN2at6native12_GLOBAL__N_124unique_dim_cuda_templateIjEESt5tupleIJNSF_6TensorESK_SK_EERKSK_lbbbEUlllE0_EEPmJS9_EEE10hipError_tPvRmT3_T4_T5_T6_T7_T9_mT8_P12ihipStream_tbDpT10_ENKUlT_T0_E_clISt17integral_constantIbLb1EES1A_EEDaS15_S16_EUlS15_E_NS1_11comp_targetILNS1_3genE9ELNS1_11target_archE1100ELNS1_3gpuE3ELNS1_3repE0EEENS1_30default_config_static_selectorELNS0_4arch9wavefront6targetE1EEEvT1_,"axG",@progbits,_ZN7rocprim17ROCPRIM_400000_NS6detail17trampoline_kernelINS0_14default_configENS1_25partition_config_selectorILNS1_17partition_subalgoE9EllbEEZZNS1_14partition_implILS5_9ELb0ES3_jPlS8_PNS0_10empty_typeENS0_5tupleIJS8_S9_EEENSB_IJS8_SA_EEENS0_18inequality_wrapperIZN2at6native12_GLOBAL__N_124unique_dim_cuda_templateIjEESt5tupleIJNSF_6TensorESK_SK_EERKSK_lbbbEUlllE0_EEPmJS9_EEE10hipError_tPvRmT3_T4_T5_T6_T7_T9_mT8_P12ihipStream_tbDpT10_ENKUlT_T0_E_clISt17integral_constantIbLb1EES1A_EEDaS15_S16_EUlS15_E_NS1_11comp_targetILNS1_3genE9ELNS1_11target_archE1100ELNS1_3gpuE3ELNS1_3repE0EEENS1_30default_config_static_selectorELNS0_4arch9wavefront6targetE1EEEvT1_,comdat
.Lfunc_end1585:
	.size	_ZN7rocprim17ROCPRIM_400000_NS6detail17trampoline_kernelINS0_14default_configENS1_25partition_config_selectorILNS1_17partition_subalgoE9EllbEEZZNS1_14partition_implILS5_9ELb0ES3_jPlS8_PNS0_10empty_typeENS0_5tupleIJS8_S9_EEENSB_IJS8_SA_EEENS0_18inequality_wrapperIZN2at6native12_GLOBAL__N_124unique_dim_cuda_templateIjEESt5tupleIJNSF_6TensorESK_SK_EERKSK_lbbbEUlllE0_EEPmJS9_EEE10hipError_tPvRmT3_T4_T5_T6_T7_T9_mT8_P12ihipStream_tbDpT10_ENKUlT_T0_E_clISt17integral_constantIbLb1EES1A_EEDaS15_S16_EUlS15_E_NS1_11comp_targetILNS1_3genE9ELNS1_11target_archE1100ELNS1_3gpuE3ELNS1_3repE0EEENS1_30default_config_static_selectorELNS0_4arch9wavefront6targetE1EEEvT1_, .Lfunc_end1585-_ZN7rocprim17ROCPRIM_400000_NS6detail17trampoline_kernelINS0_14default_configENS1_25partition_config_selectorILNS1_17partition_subalgoE9EllbEEZZNS1_14partition_implILS5_9ELb0ES3_jPlS8_PNS0_10empty_typeENS0_5tupleIJS8_S9_EEENSB_IJS8_SA_EEENS0_18inequality_wrapperIZN2at6native12_GLOBAL__N_124unique_dim_cuda_templateIjEESt5tupleIJNSF_6TensorESK_SK_EERKSK_lbbbEUlllE0_EEPmJS9_EEE10hipError_tPvRmT3_T4_T5_T6_T7_T9_mT8_P12ihipStream_tbDpT10_ENKUlT_T0_E_clISt17integral_constantIbLb1EES1A_EEDaS15_S16_EUlS15_E_NS1_11comp_targetILNS1_3genE9ELNS1_11target_archE1100ELNS1_3gpuE3ELNS1_3repE0EEENS1_30default_config_static_selectorELNS0_4arch9wavefront6targetE1EEEvT1_
                                        ; -- End function
	.section	.AMDGPU.csdata,"",@progbits
; Kernel info:
; codeLenInByte = 0
; NumSgprs: 4
; NumVgprs: 0
; NumAgprs: 0
; TotalNumVgprs: 0
; ScratchSize: 0
; MemoryBound: 0
; FloatMode: 240
; IeeeMode: 1
; LDSByteSize: 0 bytes/workgroup (compile time only)
; SGPRBlocks: 0
; VGPRBlocks: 0
; NumSGPRsForWavesPerEU: 4
; NumVGPRsForWavesPerEU: 1
; AccumOffset: 4
; Occupancy: 8
; WaveLimiterHint : 0
; COMPUTE_PGM_RSRC2:SCRATCH_EN: 0
; COMPUTE_PGM_RSRC2:USER_SGPR: 6
; COMPUTE_PGM_RSRC2:TRAP_HANDLER: 0
; COMPUTE_PGM_RSRC2:TGID_X_EN: 1
; COMPUTE_PGM_RSRC2:TGID_Y_EN: 0
; COMPUTE_PGM_RSRC2:TGID_Z_EN: 0
; COMPUTE_PGM_RSRC2:TIDIG_COMP_CNT: 0
; COMPUTE_PGM_RSRC3_GFX90A:ACCUM_OFFSET: 0
; COMPUTE_PGM_RSRC3_GFX90A:TG_SPLIT: 0
	.section	.text._ZN7rocprim17ROCPRIM_400000_NS6detail17trampoline_kernelINS0_14default_configENS1_25partition_config_selectorILNS1_17partition_subalgoE9EllbEEZZNS1_14partition_implILS5_9ELb0ES3_jPlS8_PNS0_10empty_typeENS0_5tupleIJS8_S9_EEENSB_IJS8_SA_EEENS0_18inequality_wrapperIZN2at6native12_GLOBAL__N_124unique_dim_cuda_templateIjEESt5tupleIJNSF_6TensorESK_SK_EERKSK_lbbbEUlllE0_EEPmJS9_EEE10hipError_tPvRmT3_T4_T5_T6_T7_T9_mT8_P12ihipStream_tbDpT10_ENKUlT_T0_E_clISt17integral_constantIbLb1EES1A_EEDaS15_S16_EUlS15_E_NS1_11comp_targetILNS1_3genE8ELNS1_11target_archE1030ELNS1_3gpuE2ELNS1_3repE0EEENS1_30default_config_static_selectorELNS0_4arch9wavefront6targetE1EEEvT1_,"axG",@progbits,_ZN7rocprim17ROCPRIM_400000_NS6detail17trampoline_kernelINS0_14default_configENS1_25partition_config_selectorILNS1_17partition_subalgoE9EllbEEZZNS1_14partition_implILS5_9ELb0ES3_jPlS8_PNS0_10empty_typeENS0_5tupleIJS8_S9_EEENSB_IJS8_SA_EEENS0_18inequality_wrapperIZN2at6native12_GLOBAL__N_124unique_dim_cuda_templateIjEESt5tupleIJNSF_6TensorESK_SK_EERKSK_lbbbEUlllE0_EEPmJS9_EEE10hipError_tPvRmT3_T4_T5_T6_T7_T9_mT8_P12ihipStream_tbDpT10_ENKUlT_T0_E_clISt17integral_constantIbLb1EES1A_EEDaS15_S16_EUlS15_E_NS1_11comp_targetILNS1_3genE8ELNS1_11target_archE1030ELNS1_3gpuE2ELNS1_3repE0EEENS1_30default_config_static_selectorELNS0_4arch9wavefront6targetE1EEEvT1_,comdat
	.globl	_ZN7rocprim17ROCPRIM_400000_NS6detail17trampoline_kernelINS0_14default_configENS1_25partition_config_selectorILNS1_17partition_subalgoE9EllbEEZZNS1_14partition_implILS5_9ELb0ES3_jPlS8_PNS0_10empty_typeENS0_5tupleIJS8_S9_EEENSB_IJS8_SA_EEENS0_18inequality_wrapperIZN2at6native12_GLOBAL__N_124unique_dim_cuda_templateIjEESt5tupleIJNSF_6TensorESK_SK_EERKSK_lbbbEUlllE0_EEPmJS9_EEE10hipError_tPvRmT3_T4_T5_T6_T7_T9_mT8_P12ihipStream_tbDpT10_ENKUlT_T0_E_clISt17integral_constantIbLb1EES1A_EEDaS15_S16_EUlS15_E_NS1_11comp_targetILNS1_3genE8ELNS1_11target_archE1030ELNS1_3gpuE2ELNS1_3repE0EEENS1_30default_config_static_selectorELNS0_4arch9wavefront6targetE1EEEvT1_ ; -- Begin function _ZN7rocprim17ROCPRIM_400000_NS6detail17trampoline_kernelINS0_14default_configENS1_25partition_config_selectorILNS1_17partition_subalgoE9EllbEEZZNS1_14partition_implILS5_9ELb0ES3_jPlS8_PNS0_10empty_typeENS0_5tupleIJS8_S9_EEENSB_IJS8_SA_EEENS0_18inequality_wrapperIZN2at6native12_GLOBAL__N_124unique_dim_cuda_templateIjEESt5tupleIJNSF_6TensorESK_SK_EERKSK_lbbbEUlllE0_EEPmJS9_EEE10hipError_tPvRmT3_T4_T5_T6_T7_T9_mT8_P12ihipStream_tbDpT10_ENKUlT_T0_E_clISt17integral_constantIbLb1EES1A_EEDaS15_S16_EUlS15_E_NS1_11comp_targetILNS1_3genE8ELNS1_11target_archE1030ELNS1_3gpuE2ELNS1_3repE0EEENS1_30default_config_static_selectorELNS0_4arch9wavefront6targetE1EEEvT1_
	.p2align	8
	.type	_ZN7rocprim17ROCPRIM_400000_NS6detail17trampoline_kernelINS0_14default_configENS1_25partition_config_selectorILNS1_17partition_subalgoE9EllbEEZZNS1_14partition_implILS5_9ELb0ES3_jPlS8_PNS0_10empty_typeENS0_5tupleIJS8_S9_EEENSB_IJS8_SA_EEENS0_18inequality_wrapperIZN2at6native12_GLOBAL__N_124unique_dim_cuda_templateIjEESt5tupleIJNSF_6TensorESK_SK_EERKSK_lbbbEUlllE0_EEPmJS9_EEE10hipError_tPvRmT3_T4_T5_T6_T7_T9_mT8_P12ihipStream_tbDpT10_ENKUlT_T0_E_clISt17integral_constantIbLb1EES1A_EEDaS15_S16_EUlS15_E_NS1_11comp_targetILNS1_3genE8ELNS1_11target_archE1030ELNS1_3gpuE2ELNS1_3repE0EEENS1_30default_config_static_selectorELNS0_4arch9wavefront6targetE1EEEvT1_,@function
_ZN7rocprim17ROCPRIM_400000_NS6detail17trampoline_kernelINS0_14default_configENS1_25partition_config_selectorILNS1_17partition_subalgoE9EllbEEZZNS1_14partition_implILS5_9ELb0ES3_jPlS8_PNS0_10empty_typeENS0_5tupleIJS8_S9_EEENSB_IJS8_SA_EEENS0_18inequality_wrapperIZN2at6native12_GLOBAL__N_124unique_dim_cuda_templateIjEESt5tupleIJNSF_6TensorESK_SK_EERKSK_lbbbEUlllE0_EEPmJS9_EEE10hipError_tPvRmT3_T4_T5_T6_T7_T9_mT8_P12ihipStream_tbDpT10_ENKUlT_T0_E_clISt17integral_constantIbLb1EES1A_EEDaS15_S16_EUlS15_E_NS1_11comp_targetILNS1_3genE8ELNS1_11target_archE1030ELNS1_3gpuE2ELNS1_3repE0EEENS1_30default_config_static_selectorELNS0_4arch9wavefront6targetE1EEEvT1_: ; @_ZN7rocprim17ROCPRIM_400000_NS6detail17trampoline_kernelINS0_14default_configENS1_25partition_config_selectorILNS1_17partition_subalgoE9EllbEEZZNS1_14partition_implILS5_9ELb0ES3_jPlS8_PNS0_10empty_typeENS0_5tupleIJS8_S9_EEENSB_IJS8_SA_EEENS0_18inequality_wrapperIZN2at6native12_GLOBAL__N_124unique_dim_cuda_templateIjEESt5tupleIJNSF_6TensorESK_SK_EERKSK_lbbbEUlllE0_EEPmJS9_EEE10hipError_tPvRmT3_T4_T5_T6_T7_T9_mT8_P12ihipStream_tbDpT10_ENKUlT_T0_E_clISt17integral_constantIbLb1EES1A_EEDaS15_S16_EUlS15_E_NS1_11comp_targetILNS1_3genE8ELNS1_11target_archE1030ELNS1_3gpuE2ELNS1_3repE0EEENS1_30default_config_static_selectorELNS0_4arch9wavefront6targetE1EEEvT1_
; %bb.0:
	.section	.rodata,"a",@progbits
	.p2align	6, 0x0
	.amdhsa_kernel _ZN7rocprim17ROCPRIM_400000_NS6detail17trampoline_kernelINS0_14default_configENS1_25partition_config_selectorILNS1_17partition_subalgoE9EllbEEZZNS1_14partition_implILS5_9ELb0ES3_jPlS8_PNS0_10empty_typeENS0_5tupleIJS8_S9_EEENSB_IJS8_SA_EEENS0_18inequality_wrapperIZN2at6native12_GLOBAL__N_124unique_dim_cuda_templateIjEESt5tupleIJNSF_6TensorESK_SK_EERKSK_lbbbEUlllE0_EEPmJS9_EEE10hipError_tPvRmT3_T4_T5_T6_T7_T9_mT8_P12ihipStream_tbDpT10_ENKUlT_T0_E_clISt17integral_constantIbLb1EES1A_EEDaS15_S16_EUlS15_E_NS1_11comp_targetILNS1_3genE8ELNS1_11target_archE1030ELNS1_3gpuE2ELNS1_3repE0EEENS1_30default_config_static_selectorELNS0_4arch9wavefront6targetE1EEEvT1_
		.amdhsa_group_segment_fixed_size 0
		.amdhsa_private_segment_fixed_size 0
		.amdhsa_kernarg_size 136
		.amdhsa_user_sgpr_count 6
		.amdhsa_user_sgpr_private_segment_buffer 1
		.amdhsa_user_sgpr_dispatch_ptr 0
		.amdhsa_user_sgpr_queue_ptr 0
		.amdhsa_user_sgpr_kernarg_segment_ptr 1
		.amdhsa_user_sgpr_dispatch_id 0
		.amdhsa_user_sgpr_flat_scratch_init 0
		.amdhsa_user_sgpr_kernarg_preload_length 0
		.amdhsa_user_sgpr_kernarg_preload_offset 0
		.amdhsa_user_sgpr_private_segment_size 0
		.amdhsa_uses_dynamic_stack 0
		.amdhsa_system_sgpr_private_segment_wavefront_offset 0
		.amdhsa_system_sgpr_workgroup_id_x 1
		.amdhsa_system_sgpr_workgroup_id_y 0
		.amdhsa_system_sgpr_workgroup_id_z 0
		.amdhsa_system_sgpr_workgroup_info 0
		.amdhsa_system_vgpr_workitem_id 0
		.amdhsa_next_free_vgpr 1
		.amdhsa_next_free_sgpr 0
		.amdhsa_accum_offset 4
		.amdhsa_reserve_vcc 0
		.amdhsa_reserve_flat_scratch 0
		.amdhsa_float_round_mode_32 0
		.amdhsa_float_round_mode_16_64 0
		.amdhsa_float_denorm_mode_32 3
		.amdhsa_float_denorm_mode_16_64 3
		.amdhsa_dx10_clamp 1
		.amdhsa_ieee_mode 1
		.amdhsa_fp16_overflow 0
		.amdhsa_tg_split 0
		.amdhsa_exception_fp_ieee_invalid_op 0
		.amdhsa_exception_fp_denorm_src 0
		.amdhsa_exception_fp_ieee_div_zero 0
		.amdhsa_exception_fp_ieee_overflow 0
		.amdhsa_exception_fp_ieee_underflow 0
		.amdhsa_exception_fp_ieee_inexact 0
		.amdhsa_exception_int_div_zero 0
	.end_amdhsa_kernel
	.section	.text._ZN7rocprim17ROCPRIM_400000_NS6detail17trampoline_kernelINS0_14default_configENS1_25partition_config_selectorILNS1_17partition_subalgoE9EllbEEZZNS1_14partition_implILS5_9ELb0ES3_jPlS8_PNS0_10empty_typeENS0_5tupleIJS8_S9_EEENSB_IJS8_SA_EEENS0_18inequality_wrapperIZN2at6native12_GLOBAL__N_124unique_dim_cuda_templateIjEESt5tupleIJNSF_6TensorESK_SK_EERKSK_lbbbEUlllE0_EEPmJS9_EEE10hipError_tPvRmT3_T4_T5_T6_T7_T9_mT8_P12ihipStream_tbDpT10_ENKUlT_T0_E_clISt17integral_constantIbLb1EES1A_EEDaS15_S16_EUlS15_E_NS1_11comp_targetILNS1_3genE8ELNS1_11target_archE1030ELNS1_3gpuE2ELNS1_3repE0EEENS1_30default_config_static_selectorELNS0_4arch9wavefront6targetE1EEEvT1_,"axG",@progbits,_ZN7rocprim17ROCPRIM_400000_NS6detail17trampoline_kernelINS0_14default_configENS1_25partition_config_selectorILNS1_17partition_subalgoE9EllbEEZZNS1_14partition_implILS5_9ELb0ES3_jPlS8_PNS0_10empty_typeENS0_5tupleIJS8_S9_EEENSB_IJS8_SA_EEENS0_18inequality_wrapperIZN2at6native12_GLOBAL__N_124unique_dim_cuda_templateIjEESt5tupleIJNSF_6TensorESK_SK_EERKSK_lbbbEUlllE0_EEPmJS9_EEE10hipError_tPvRmT3_T4_T5_T6_T7_T9_mT8_P12ihipStream_tbDpT10_ENKUlT_T0_E_clISt17integral_constantIbLb1EES1A_EEDaS15_S16_EUlS15_E_NS1_11comp_targetILNS1_3genE8ELNS1_11target_archE1030ELNS1_3gpuE2ELNS1_3repE0EEENS1_30default_config_static_selectorELNS0_4arch9wavefront6targetE1EEEvT1_,comdat
.Lfunc_end1586:
	.size	_ZN7rocprim17ROCPRIM_400000_NS6detail17trampoline_kernelINS0_14default_configENS1_25partition_config_selectorILNS1_17partition_subalgoE9EllbEEZZNS1_14partition_implILS5_9ELb0ES3_jPlS8_PNS0_10empty_typeENS0_5tupleIJS8_S9_EEENSB_IJS8_SA_EEENS0_18inequality_wrapperIZN2at6native12_GLOBAL__N_124unique_dim_cuda_templateIjEESt5tupleIJNSF_6TensorESK_SK_EERKSK_lbbbEUlllE0_EEPmJS9_EEE10hipError_tPvRmT3_T4_T5_T6_T7_T9_mT8_P12ihipStream_tbDpT10_ENKUlT_T0_E_clISt17integral_constantIbLb1EES1A_EEDaS15_S16_EUlS15_E_NS1_11comp_targetILNS1_3genE8ELNS1_11target_archE1030ELNS1_3gpuE2ELNS1_3repE0EEENS1_30default_config_static_selectorELNS0_4arch9wavefront6targetE1EEEvT1_, .Lfunc_end1586-_ZN7rocprim17ROCPRIM_400000_NS6detail17trampoline_kernelINS0_14default_configENS1_25partition_config_selectorILNS1_17partition_subalgoE9EllbEEZZNS1_14partition_implILS5_9ELb0ES3_jPlS8_PNS0_10empty_typeENS0_5tupleIJS8_S9_EEENSB_IJS8_SA_EEENS0_18inequality_wrapperIZN2at6native12_GLOBAL__N_124unique_dim_cuda_templateIjEESt5tupleIJNSF_6TensorESK_SK_EERKSK_lbbbEUlllE0_EEPmJS9_EEE10hipError_tPvRmT3_T4_T5_T6_T7_T9_mT8_P12ihipStream_tbDpT10_ENKUlT_T0_E_clISt17integral_constantIbLb1EES1A_EEDaS15_S16_EUlS15_E_NS1_11comp_targetILNS1_3genE8ELNS1_11target_archE1030ELNS1_3gpuE2ELNS1_3repE0EEENS1_30default_config_static_selectorELNS0_4arch9wavefront6targetE1EEEvT1_
                                        ; -- End function
	.section	.AMDGPU.csdata,"",@progbits
; Kernel info:
; codeLenInByte = 0
; NumSgprs: 4
; NumVgprs: 0
; NumAgprs: 0
; TotalNumVgprs: 0
; ScratchSize: 0
; MemoryBound: 0
; FloatMode: 240
; IeeeMode: 1
; LDSByteSize: 0 bytes/workgroup (compile time only)
; SGPRBlocks: 0
; VGPRBlocks: 0
; NumSGPRsForWavesPerEU: 4
; NumVGPRsForWavesPerEU: 1
; AccumOffset: 4
; Occupancy: 8
; WaveLimiterHint : 0
; COMPUTE_PGM_RSRC2:SCRATCH_EN: 0
; COMPUTE_PGM_RSRC2:USER_SGPR: 6
; COMPUTE_PGM_RSRC2:TRAP_HANDLER: 0
; COMPUTE_PGM_RSRC2:TGID_X_EN: 1
; COMPUTE_PGM_RSRC2:TGID_Y_EN: 0
; COMPUTE_PGM_RSRC2:TGID_Z_EN: 0
; COMPUTE_PGM_RSRC2:TIDIG_COMP_CNT: 0
; COMPUTE_PGM_RSRC3_GFX90A:ACCUM_OFFSET: 0
; COMPUTE_PGM_RSRC3_GFX90A:TG_SPLIT: 0
	.section	.text._ZN7rocprim17ROCPRIM_400000_NS6detail17trampoline_kernelINS0_14default_configENS1_25partition_config_selectorILNS1_17partition_subalgoE9EllbEEZZNS1_14partition_implILS5_9ELb0ES3_jPlS8_PNS0_10empty_typeENS0_5tupleIJS8_S9_EEENSB_IJS8_SA_EEENS0_18inequality_wrapperIZN2at6native12_GLOBAL__N_124unique_dim_cuda_templateIjEESt5tupleIJNSF_6TensorESK_SK_EERKSK_lbbbEUlllE0_EEPmJS9_EEE10hipError_tPvRmT3_T4_T5_T6_T7_T9_mT8_P12ihipStream_tbDpT10_ENKUlT_T0_E_clISt17integral_constantIbLb1EES19_IbLb0EEEEDaS15_S16_EUlS15_E_NS1_11comp_targetILNS1_3genE0ELNS1_11target_archE4294967295ELNS1_3gpuE0ELNS1_3repE0EEENS1_30default_config_static_selectorELNS0_4arch9wavefront6targetE1EEEvT1_,"axG",@progbits,_ZN7rocprim17ROCPRIM_400000_NS6detail17trampoline_kernelINS0_14default_configENS1_25partition_config_selectorILNS1_17partition_subalgoE9EllbEEZZNS1_14partition_implILS5_9ELb0ES3_jPlS8_PNS0_10empty_typeENS0_5tupleIJS8_S9_EEENSB_IJS8_SA_EEENS0_18inequality_wrapperIZN2at6native12_GLOBAL__N_124unique_dim_cuda_templateIjEESt5tupleIJNSF_6TensorESK_SK_EERKSK_lbbbEUlllE0_EEPmJS9_EEE10hipError_tPvRmT3_T4_T5_T6_T7_T9_mT8_P12ihipStream_tbDpT10_ENKUlT_T0_E_clISt17integral_constantIbLb1EES19_IbLb0EEEEDaS15_S16_EUlS15_E_NS1_11comp_targetILNS1_3genE0ELNS1_11target_archE4294967295ELNS1_3gpuE0ELNS1_3repE0EEENS1_30default_config_static_selectorELNS0_4arch9wavefront6targetE1EEEvT1_,comdat
	.globl	_ZN7rocprim17ROCPRIM_400000_NS6detail17trampoline_kernelINS0_14default_configENS1_25partition_config_selectorILNS1_17partition_subalgoE9EllbEEZZNS1_14partition_implILS5_9ELb0ES3_jPlS8_PNS0_10empty_typeENS0_5tupleIJS8_S9_EEENSB_IJS8_SA_EEENS0_18inequality_wrapperIZN2at6native12_GLOBAL__N_124unique_dim_cuda_templateIjEESt5tupleIJNSF_6TensorESK_SK_EERKSK_lbbbEUlllE0_EEPmJS9_EEE10hipError_tPvRmT3_T4_T5_T6_T7_T9_mT8_P12ihipStream_tbDpT10_ENKUlT_T0_E_clISt17integral_constantIbLb1EES19_IbLb0EEEEDaS15_S16_EUlS15_E_NS1_11comp_targetILNS1_3genE0ELNS1_11target_archE4294967295ELNS1_3gpuE0ELNS1_3repE0EEENS1_30default_config_static_selectorELNS0_4arch9wavefront6targetE1EEEvT1_ ; -- Begin function _ZN7rocprim17ROCPRIM_400000_NS6detail17trampoline_kernelINS0_14default_configENS1_25partition_config_selectorILNS1_17partition_subalgoE9EllbEEZZNS1_14partition_implILS5_9ELb0ES3_jPlS8_PNS0_10empty_typeENS0_5tupleIJS8_S9_EEENSB_IJS8_SA_EEENS0_18inequality_wrapperIZN2at6native12_GLOBAL__N_124unique_dim_cuda_templateIjEESt5tupleIJNSF_6TensorESK_SK_EERKSK_lbbbEUlllE0_EEPmJS9_EEE10hipError_tPvRmT3_T4_T5_T6_T7_T9_mT8_P12ihipStream_tbDpT10_ENKUlT_T0_E_clISt17integral_constantIbLb1EES19_IbLb0EEEEDaS15_S16_EUlS15_E_NS1_11comp_targetILNS1_3genE0ELNS1_11target_archE4294967295ELNS1_3gpuE0ELNS1_3repE0EEENS1_30default_config_static_selectorELNS0_4arch9wavefront6targetE1EEEvT1_
	.p2align	8
	.type	_ZN7rocprim17ROCPRIM_400000_NS6detail17trampoline_kernelINS0_14default_configENS1_25partition_config_selectorILNS1_17partition_subalgoE9EllbEEZZNS1_14partition_implILS5_9ELb0ES3_jPlS8_PNS0_10empty_typeENS0_5tupleIJS8_S9_EEENSB_IJS8_SA_EEENS0_18inequality_wrapperIZN2at6native12_GLOBAL__N_124unique_dim_cuda_templateIjEESt5tupleIJNSF_6TensorESK_SK_EERKSK_lbbbEUlllE0_EEPmJS9_EEE10hipError_tPvRmT3_T4_T5_T6_T7_T9_mT8_P12ihipStream_tbDpT10_ENKUlT_T0_E_clISt17integral_constantIbLb1EES19_IbLb0EEEEDaS15_S16_EUlS15_E_NS1_11comp_targetILNS1_3genE0ELNS1_11target_archE4294967295ELNS1_3gpuE0ELNS1_3repE0EEENS1_30default_config_static_selectorELNS0_4arch9wavefront6targetE1EEEvT1_,@function
_ZN7rocprim17ROCPRIM_400000_NS6detail17trampoline_kernelINS0_14default_configENS1_25partition_config_selectorILNS1_17partition_subalgoE9EllbEEZZNS1_14partition_implILS5_9ELb0ES3_jPlS8_PNS0_10empty_typeENS0_5tupleIJS8_S9_EEENSB_IJS8_SA_EEENS0_18inequality_wrapperIZN2at6native12_GLOBAL__N_124unique_dim_cuda_templateIjEESt5tupleIJNSF_6TensorESK_SK_EERKSK_lbbbEUlllE0_EEPmJS9_EEE10hipError_tPvRmT3_T4_T5_T6_T7_T9_mT8_P12ihipStream_tbDpT10_ENKUlT_T0_E_clISt17integral_constantIbLb1EES19_IbLb0EEEEDaS15_S16_EUlS15_E_NS1_11comp_targetILNS1_3genE0ELNS1_11target_archE4294967295ELNS1_3gpuE0ELNS1_3repE0EEENS1_30default_config_static_selectorELNS0_4arch9wavefront6targetE1EEEvT1_: ; @_ZN7rocprim17ROCPRIM_400000_NS6detail17trampoline_kernelINS0_14default_configENS1_25partition_config_selectorILNS1_17partition_subalgoE9EllbEEZZNS1_14partition_implILS5_9ELb0ES3_jPlS8_PNS0_10empty_typeENS0_5tupleIJS8_S9_EEENSB_IJS8_SA_EEENS0_18inequality_wrapperIZN2at6native12_GLOBAL__N_124unique_dim_cuda_templateIjEESt5tupleIJNSF_6TensorESK_SK_EERKSK_lbbbEUlllE0_EEPmJS9_EEE10hipError_tPvRmT3_T4_T5_T6_T7_T9_mT8_P12ihipStream_tbDpT10_ENKUlT_T0_E_clISt17integral_constantIbLb1EES19_IbLb0EEEEDaS15_S16_EUlS15_E_NS1_11comp_targetILNS1_3genE0ELNS1_11target_archE4294967295ELNS1_3gpuE0ELNS1_3repE0EEENS1_30default_config_static_selectorELNS0_4arch9wavefront6targetE1EEEvT1_
; %bb.0:
	.section	.rodata,"a",@progbits
	.p2align	6, 0x0
	.amdhsa_kernel _ZN7rocprim17ROCPRIM_400000_NS6detail17trampoline_kernelINS0_14default_configENS1_25partition_config_selectorILNS1_17partition_subalgoE9EllbEEZZNS1_14partition_implILS5_9ELb0ES3_jPlS8_PNS0_10empty_typeENS0_5tupleIJS8_S9_EEENSB_IJS8_SA_EEENS0_18inequality_wrapperIZN2at6native12_GLOBAL__N_124unique_dim_cuda_templateIjEESt5tupleIJNSF_6TensorESK_SK_EERKSK_lbbbEUlllE0_EEPmJS9_EEE10hipError_tPvRmT3_T4_T5_T6_T7_T9_mT8_P12ihipStream_tbDpT10_ENKUlT_T0_E_clISt17integral_constantIbLb1EES19_IbLb0EEEEDaS15_S16_EUlS15_E_NS1_11comp_targetILNS1_3genE0ELNS1_11target_archE4294967295ELNS1_3gpuE0ELNS1_3repE0EEENS1_30default_config_static_selectorELNS0_4arch9wavefront6targetE1EEEvT1_
		.amdhsa_group_segment_fixed_size 0
		.amdhsa_private_segment_fixed_size 0
		.amdhsa_kernarg_size 120
		.amdhsa_user_sgpr_count 6
		.amdhsa_user_sgpr_private_segment_buffer 1
		.amdhsa_user_sgpr_dispatch_ptr 0
		.amdhsa_user_sgpr_queue_ptr 0
		.amdhsa_user_sgpr_kernarg_segment_ptr 1
		.amdhsa_user_sgpr_dispatch_id 0
		.amdhsa_user_sgpr_flat_scratch_init 0
		.amdhsa_user_sgpr_kernarg_preload_length 0
		.amdhsa_user_sgpr_kernarg_preload_offset 0
		.amdhsa_user_sgpr_private_segment_size 0
		.amdhsa_uses_dynamic_stack 0
		.amdhsa_system_sgpr_private_segment_wavefront_offset 0
		.amdhsa_system_sgpr_workgroup_id_x 1
		.amdhsa_system_sgpr_workgroup_id_y 0
		.amdhsa_system_sgpr_workgroup_id_z 0
		.amdhsa_system_sgpr_workgroup_info 0
		.amdhsa_system_vgpr_workitem_id 0
		.amdhsa_next_free_vgpr 1
		.amdhsa_next_free_sgpr 0
		.amdhsa_accum_offset 4
		.amdhsa_reserve_vcc 0
		.amdhsa_reserve_flat_scratch 0
		.amdhsa_float_round_mode_32 0
		.amdhsa_float_round_mode_16_64 0
		.amdhsa_float_denorm_mode_32 3
		.amdhsa_float_denorm_mode_16_64 3
		.amdhsa_dx10_clamp 1
		.amdhsa_ieee_mode 1
		.amdhsa_fp16_overflow 0
		.amdhsa_tg_split 0
		.amdhsa_exception_fp_ieee_invalid_op 0
		.amdhsa_exception_fp_denorm_src 0
		.amdhsa_exception_fp_ieee_div_zero 0
		.amdhsa_exception_fp_ieee_overflow 0
		.amdhsa_exception_fp_ieee_underflow 0
		.amdhsa_exception_fp_ieee_inexact 0
		.amdhsa_exception_int_div_zero 0
	.end_amdhsa_kernel
	.section	.text._ZN7rocprim17ROCPRIM_400000_NS6detail17trampoline_kernelINS0_14default_configENS1_25partition_config_selectorILNS1_17partition_subalgoE9EllbEEZZNS1_14partition_implILS5_9ELb0ES3_jPlS8_PNS0_10empty_typeENS0_5tupleIJS8_S9_EEENSB_IJS8_SA_EEENS0_18inequality_wrapperIZN2at6native12_GLOBAL__N_124unique_dim_cuda_templateIjEESt5tupleIJNSF_6TensorESK_SK_EERKSK_lbbbEUlllE0_EEPmJS9_EEE10hipError_tPvRmT3_T4_T5_T6_T7_T9_mT8_P12ihipStream_tbDpT10_ENKUlT_T0_E_clISt17integral_constantIbLb1EES19_IbLb0EEEEDaS15_S16_EUlS15_E_NS1_11comp_targetILNS1_3genE0ELNS1_11target_archE4294967295ELNS1_3gpuE0ELNS1_3repE0EEENS1_30default_config_static_selectorELNS0_4arch9wavefront6targetE1EEEvT1_,"axG",@progbits,_ZN7rocprim17ROCPRIM_400000_NS6detail17trampoline_kernelINS0_14default_configENS1_25partition_config_selectorILNS1_17partition_subalgoE9EllbEEZZNS1_14partition_implILS5_9ELb0ES3_jPlS8_PNS0_10empty_typeENS0_5tupleIJS8_S9_EEENSB_IJS8_SA_EEENS0_18inequality_wrapperIZN2at6native12_GLOBAL__N_124unique_dim_cuda_templateIjEESt5tupleIJNSF_6TensorESK_SK_EERKSK_lbbbEUlllE0_EEPmJS9_EEE10hipError_tPvRmT3_T4_T5_T6_T7_T9_mT8_P12ihipStream_tbDpT10_ENKUlT_T0_E_clISt17integral_constantIbLb1EES19_IbLb0EEEEDaS15_S16_EUlS15_E_NS1_11comp_targetILNS1_3genE0ELNS1_11target_archE4294967295ELNS1_3gpuE0ELNS1_3repE0EEENS1_30default_config_static_selectorELNS0_4arch9wavefront6targetE1EEEvT1_,comdat
.Lfunc_end1587:
	.size	_ZN7rocprim17ROCPRIM_400000_NS6detail17trampoline_kernelINS0_14default_configENS1_25partition_config_selectorILNS1_17partition_subalgoE9EllbEEZZNS1_14partition_implILS5_9ELb0ES3_jPlS8_PNS0_10empty_typeENS0_5tupleIJS8_S9_EEENSB_IJS8_SA_EEENS0_18inequality_wrapperIZN2at6native12_GLOBAL__N_124unique_dim_cuda_templateIjEESt5tupleIJNSF_6TensorESK_SK_EERKSK_lbbbEUlllE0_EEPmJS9_EEE10hipError_tPvRmT3_T4_T5_T6_T7_T9_mT8_P12ihipStream_tbDpT10_ENKUlT_T0_E_clISt17integral_constantIbLb1EES19_IbLb0EEEEDaS15_S16_EUlS15_E_NS1_11comp_targetILNS1_3genE0ELNS1_11target_archE4294967295ELNS1_3gpuE0ELNS1_3repE0EEENS1_30default_config_static_selectorELNS0_4arch9wavefront6targetE1EEEvT1_, .Lfunc_end1587-_ZN7rocprim17ROCPRIM_400000_NS6detail17trampoline_kernelINS0_14default_configENS1_25partition_config_selectorILNS1_17partition_subalgoE9EllbEEZZNS1_14partition_implILS5_9ELb0ES3_jPlS8_PNS0_10empty_typeENS0_5tupleIJS8_S9_EEENSB_IJS8_SA_EEENS0_18inequality_wrapperIZN2at6native12_GLOBAL__N_124unique_dim_cuda_templateIjEESt5tupleIJNSF_6TensorESK_SK_EERKSK_lbbbEUlllE0_EEPmJS9_EEE10hipError_tPvRmT3_T4_T5_T6_T7_T9_mT8_P12ihipStream_tbDpT10_ENKUlT_T0_E_clISt17integral_constantIbLb1EES19_IbLb0EEEEDaS15_S16_EUlS15_E_NS1_11comp_targetILNS1_3genE0ELNS1_11target_archE4294967295ELNS1_3gpuE0ELNS1_3repE0EEENS1_30default_config_static_selectorELNS0_4arch9wavefront6targetE1EEEvT1_
                                        ; -- End function
	.section	.AMDGPU.csdata,"",@progbits
; Kernel info:
; codeLenInByte = 0
; NumSgprs: 4
; NumVgprs: 0
; NumAgprs: 0
; TotalNumVgprs: 0
; ScratchSize: 0
; MemoryBound: 0
; FloatMode: 240
; IeeeMode: 1
; LDSByteSize: 0 bytes/workgroup (compile time only)
; SGPRBlocks: 0
; VGPRBlocks: 0
; NumSGPRsForWavesPerEU: 4
; NumVGPRsForWavesPerEU: 1
; AccumOffset: 4
; Occupancy: 8
; WaveLimiterHint : 0
; COMPUTE_PGM_RSRC2:SCRATCH_EN: 0
; COMPUTE_PGM_RSRC2:USER_SGPR: 6
; COMPUTE_PGM_RSRC2:TRAP_HANDLER: 0
; COMPUTE_PGM_RSRC2:TGID_X_EN: 1
; COMPUTE_PGM_RSRC2:TGID_Y_EN: 0
; COMPUTE_PGM_RSRC2:TGID_Z_EN: 0
; COMPUTE_PGM_RSRC2:TIDIG_COMP_CNT: 0
; COMPUTE_PGM_RSRC3_GFX90A:ACCUM_OFFSET: 0
; COMPUTE_PGM_RSRC3_GFX90A:TG_SPLIT: 0
	.section	.text._ZN7rocprim17ROCPRIM_400000_NS6detail17trampoline_kernelINS0_14default_configENS1_25partition_config_selectorILNS1_17partition_subalgoE9EllbEEZZNS1_14partition_implILS5_9ELb0ES3_jPlS8_PNS0_10empty_typeENS0_5tupleIJS8_S9_EEENSB_IJS8_SA_EEENS0_18inequality_wrapperIZN2at6native12_GLOBAL__N_124unique_dim_cuda_templateIjEESt5tupleIJNSF_6TensorESK_SK_EERKSK_lbbbEUlllE0_EEPmJS9_EEE10hipError_tPvRmT3_T4_T5_T6_T7_T9_mT8_P12ihipStream_tbDpT10_ENKUlT_T0_E_clISt17integral_constantIbLb1EES19_IbLb0EEEEDaS15_S16_EUlS15_E_NS1_11comp_targetILNS1_3genE5ELNS1_11target_archE942ELNS1_3gpuE9ELNS1_3repE0EEENS1_30default_config_static_selectorELNS0_4arch9wavefront6targetE1EEEvT1_,"axG",@progbits,_ZN7rocprim17ROCPRIM_400000_NS6detail17trampoline_kernelINS0_14default_configENS1_25partition_config_selectorILNS1_17partition_subalgoE9EllbEEZZNS1_14partition_implILS5_9ELb0ES3_jPlS8_PNS0_10empty_typeENS0_5tupleIJS8_S9_EEENSB_IJS8_SA_EEENS0_18inequality_wrapperIZN2at6native12_GLOBAL__N_124unique_dim_cuda_templateIjEESt5tupleIJNSF_6TensorESK_SK_EERKSK_lbbbEUlllE0_EEPmJS9_EEE10hipError_tPvRmT3_T4_T5_T6_T7_T9_mT8_P12ihipStream_tbDpT10_ENKUlT_T0_E_clISt17integral_constantIbLb1EES19_IbLb0EEEEDaS15_S16_EUlS15_E_NS1_11comp_targetILNS1_3genE5ELNS1_11target_archE942ELNS1_3gpuE9ELNS1_3repE0EEENS1_30default_config_static_selectorELNS0_4arch9wavefront6targetE1EEEvT1_,comdat
	.globl	_ZN7rocprim17ROCPRIM_400000_NS6detail17trampoline_kernelINS0_14default_configENS1_25partition_config_selectorILNS1_17partition_subalgoE9EllbEEZZNS1_14partition_implILS5_9ELb0ES3_jPlS8_PNS0_10empty_typeENS0_5tupleIJS8_S9_EEENSB_IJS8_SA_EEENS0_18inequality_wrapperIZN2at6native12_GLOBAL__N_124unique_dim_cuda_templateIjEESt5tupleIJNSF_6TensorESK_SK_EERKSK_lbbbEUlllE0_EEPmJS9_EEE10hipError_tPvRmT3_T4_T5_T6_T7_T9_mT8_P12ihipStream_tbDpT10_ENKUlT_T0_E_clISt17integral_constantIbLb1EES19_IbLb0EEEEDaS15_S16_EUlS15_E_NS1_11comp_targetILNS1_3genE5ELNS1_11target_archE942ELNS1_3gpuE9ELNS1_3repE0EEENS1_30default_config_static_selectorELNS0_4arch9wavefront6targetE1EEEvT1_ ; -- Begin function _ZN7rocprim17ROCPRIM_400000_NS6detail17trampoline_kernelINS0_14default_configENS1_25partition_config_selectorILNS1_17partition_subalgoE9EllbEEZZNS1_14partition_implILS5_9ELb0ES3_jPlS8_PNS0_10empty_typeENS0_5tupleIJS8_S9_EEENSB_IJS8_SA_EEENS0_18inequality_wrapperIZN2at6native12_GLOBAL__N_124unique_dim_cuda_templateIjEESt5tupleIJNSF_6TensorESK_SK_EERKSK_lbbbEUlllE0_EEPmJS9_EEE10hipError_tPvRmT3_T4_T5_T6_T7_T9_mT8_P12ihipStream_tbDpT10_ENKUlT_T0_E_clISt17integral_constantIbLb1EES19_IbLb0EEEEDaS15_S16_EUlS15_E_NS1_11comp_targetILNS1_3genE5ELNS1_11target_archE942ELNS1_3gpuE9ELNS1_3repE0EEENS1_30default_config_static_selectorELNS0_4arch9wavefront6targetE1EEEvT1_
	.p2align	8
	.type	_ZN7rocprim17ROCPRIM_400000_NS6detail17trampoline_kernelINS0_14default_configENS1_25partition_config_selectorILNS1_17partition_subalgoE9EllbEEZZNS1_14partition_implILS5_9ELb0ES3_jPlS8_PNS0_10empty_typeENS0_5tupleIJS8_S9_EEENSB_IJS8_SA_EEENS0_18inequality_wrapperIZN2at6native12_GLOBAL__N_124unique_dim_cuda_templateIjEESt5tupleIJNSF_6TensorESK_SK_EERKSK_lbbbEUlllE0_EEPmJS9_EEE10hipError_tPvRmT3_T4_T5_T6_T7_T9_mT8_P12ihipStream_tbDpT10_ENKUlT_T0_E_clISt17integral_constantIbLb1EES19_IbLb0EEEEDaS15_S16_EUlS15_E_NS1_11comp_targetILNS1_3genE5ELNS1_11target_archE942ELNS1_3gpuE9ELNS1_3repE0EEENS1_30default_config_static_selectorELNS0_4arch9wavefront6targetE1EEEvT1_,@function
_ZN7rocprim17ROCPRIM_400000_NS6detail17trampoline_kernelINS0_14default_configENS1_25partition_config_selectorILNS1_17partition_subalgoE9EllbEEZZNS1_14partition_implILS5_9ELb0ES3_jPlS8_PNS0_10empty_typeENS0_5tupleIJS8_S9_EEENSB_IJS8_SA_EEENS0_18inequality_wrapperIZN2at6native12_GLOBAL__N_124unique_dim_cuda_templateIjEESt5tupleIJNSF_6TensorESK_SK_EERKSK_lbbbEUlllE0_EEPmJS9_EEE10hipError_tPvRmT3_T4_T5_T6_T7_T9_mT8_P12ihipStream_tbDpT10_ENKUlT_T0_E_clISt17integral_constantIbLb1EES19_IbLb0EEEEDaS15_S16_EUlS15_E_NS1_11comp_targetILNS1_3genE5ELNS1_11target_archE942ELNS1_3gpuE9ELNS1_3repE0EEENS1_30default_config_static_selectorELNS0_4arch9wavefront6targetE1EEEvT1_: ; @_ZN7rocprim17ROCPRIM_400000_NS6detail17trampoline_kernelINS0_14default_configENS1_25partition_config_selectorILNS1_17partition_subalgoE9EllbEEZZNS1_14partition_implILS5_9ELb0ES3_jPlS8_PNS0_10empty_typeENS0_5tupleIJS8_S9_EEENSB_IJS8_SA_EEENS0_18inequality_wrapperIZN2at6native12_GLOBAL__N_124unique_dim_cuda_templateIjEESt5tupleIJNSF_6TensorESK_SK_EERKSK_lbbbEUlllE0_EEPmJS9_EEE10hipError_tPvRmT3_T4_T5_T6_T7_T9_mT8_P12ihipStream_tbDpT10_ENKUlT_T0_E_clISt17integral_constantIbLb1EES19_IbLb0EEEEDaS15_S16_EUlS15_E_NS1_11comp_targetILNS1_3genE5ELNS1_11target_archE942ELNS1_3gpuE9ELNS1_3repE0EEENS1_30default_config_static_selectorELNS0_4arch9wavefront6targetE1EEEvT1_
; %bb.0:
	.section	.rodata,"a",@progbits
	.p2align	6, 0x0
	.amdhsa_kernel _ZN7rocprim17ROCPRIM_400000_NS6detail17trampoline_kernelINS0_14default_configENS1_25partition_config_selectorILNS1_17partition_subalgoE9EllbEEZZNS1_14partition_implILS5_9ELb0ES3_jPlS8_PNS0_10empty_typeENS0_5tupleIJS8_S9_EEENSB_IJS8_SA_EEENS0_18inequality_wrapperIZN2at6native12_GLOBAL__N_124unique_dim_cuda_templateIjEESt5tupleIJNSF_6TensorESK_SK_EERKSK_lbbbEUlllE0_EEPmJS9_EEE10hipError_tPvRmT3_T4_T5_T6_T7_T9_mT8_P12ihipStream_tbDpT10_ENKUlT_T0_E_clISt17integral_constantIbLb1EES19_IbLb0EEEEDaS15_S16_EUlS15_E_NS1_11comp_targetILNS1_3genE5ELNS1_11target_archE942ELNS1_3gpuE9ELNS1_3repE0EEENS1_30default_config_static_selectorELNS0_4arch9wavefront6targetE1EEEvT1_
		.amdhsa_group_segment_fixed_size 0
		.amdhsa_private_segment_fixed_size 0
		.amdhsa_kernarg_size 120
		.amdhsa_user_sgpr_count 6
		.amdhsa_user_sgpr_private_segment_buffer 1
		.amdhsa_user_sgpr_dispatch_ptr 0
		.amdhsa_user_sgpr_queue_ptr 0
		.amdhsa_user_sgpr_kernarg_segment_ptr 1
		.amdhsa_user_sgpr_dispatch_id 0
		.amdhsa_user_sgpr_flat_scratch_init 0
		.amdhsa_user_sgpr_kernarg_preload_length 0
		.amdhsa_user_sgpr_kernarg_preload_offset 0
		.amdhsa_user_sgpr_private_segment_size 0
		.amdhsa_uses_dynamic_stack 0
		.amdhsa_system_sgpr_private_segment_wavefront_offset 0
		.amdhsa_system_sgpr_workgroup_id_x 1
		.amdhsa_system_sgpr_workgroup_id_y 0
		.amdhsa_system_sgpr_workgroup_id_z 0
		.amdhsa_system_sgpr_workgroup_info 0
		.amdhsa_system_vgpr_workitem_id 0
		.amdhsa_next_free_vgpr 1
		.amdhsa_next_free_sgpr 0
		.amdhsa_accum_offset 4
		.amdhsa_reserve_vcc 0
		.amdhsa_reserve_flat_scratch 0
		.amdhsa_float_round_mode_32 0
		.amdhsa_float_round_mode_16_64 0
		.amdhsa_float_denorm_mode_32 3
		.amdhsa_float_denorm_mode_16_64 3
		.amdhsa_dx10_clamp 1
		.amdhsa_ieee_mode 1
		.amdhsa_fp16_overflow 0
		.amdhsa_tg_split 0
		.amdhsa_exception_fp_ieee_invalid_op 0
		.amdhsa_exception_fp_denorm_src 0
		.amdhsa_exception_fp_ieee_div_zero 0
		.amdhsa_exception_fp_ieee_overflow 0
		.amdhsa_exception_fp_ieee_underflow 0
		.amdhsa_exception_fp_ieee_inexact 0
		.amdhsa_exception_int_div_zero 0
	.end_amdhsa_kernel
	.section	.text._ZN7rocprim17ROCPRIM_400000_NS6detail17trampoline_kernelINS0_14default_configENS1_25partition_config_selectorILNS1_17partition_subalgoE9EllbEEZZNS1_14partition_implILS5_9ELb0ES3_jPlS8_PNS0_10empty_typeENS0_5tupleIJS8_S9_EEENSB_IJS8_SA_EEENS0_18inequality_wrapperIZN2at6native12_GLOBAL__N_124unique_dim_cuda_templateIjEESt5tupleIJNSF_6TensorESK_SK_EERKSK_lbbbEUlllE0_EEPmJS9_EEE10hipError_tPvRmT3_T4_T5_T6_T7_T9_mT8_P12ihipStream_tbDpT10_ENKUlT_T0_E_clISt17integral_constantIbLb1EES19_IbLb0EEEEDaS15_S16_EUlS15_E_NS1_11comp_targetILNS1_3genE5ELNS1_11target_archE942ELNS1_3gpuE9ELNS1_3repE0EEENS1_30default_config_static_selectorELNS0_4arch9wavefront6targetE1EEEvT1_,"axG",@progbits,_ZN7rocprim17ROCPRIM_400000_NS6detail17trampoline_kernelINS0_14default_configENS1_25partition_config_selectorILNS1_17partition_subalgoE9EllbEEZZNS1_14partition_implILS5_9ELb0ES3_jPlS8_PNS0_10empty_typeENS0_5tupleIJS8_S9_EEENSB_IJS8_SA_EEENS0_18inequality_wrapperIZN2at6native12_GLOBAL__N_124unique_dim_cuda_templateIjEESt5tupleIJNSF_6TensorESK_SK_EERKSK_lbbbEUlllE0_EEPmJS9_EEE10hipError_tPvRmT3_T4_T5_T6_T7_T9_mT8_P12ihipStream_tbDpT10_ENKUlT_T0_E_clISt17integral_constantIbLb1EES19_IbLb0EEEEDaS15_S16_EUlS15_E_NS1_11comp_targetILNS1_3genE5ELNS1_11target_archE942ELNS1_3gpuE9ELNS1_3repE0EEENS1_30default_config_static_selectorELNS0_4arch9wavefront6targetE1EEEvT1_,comdat
.Lfunc_end1588:
	.size	_ZN7rocprim17ROCPRIM_400000_NS6detail17trampoline_kernelINS0_14default_configENS1_25partition_config_selectorILNS1_17partition_subalgoE9EllbEEZZNS1_14partition_implILS5_9ELb0ES3_jPlS8_PNS0_10empty_typeENS0_5tupleIJS8_S9_EEENSB_IJS8_SA_EEENS0_18inequality_wrapperIZN2at6native12_GLOBAL__N_124unique_dim_cuda_templateIjEESt5tupleIJNSF_6TensorESK_SK_EERKSK_lbbbEUlllE0_EEPmJS9_EEE10hipError_tPvRmT3_T4_T5_T6_T7_T9_mT8_P12ihipStream_tbDpT10_ENKUlT_T0_E_clISt17integral_constantIbLb1EES19_IbLb0EEEEDaS15_S16_EUlS15_E_NS1_11comp_targetILNS1_3genE5ELNS1_11target_archE942ELNS1_3gpuE9ELNS1_3repE0EEENS1_30default_config_static_selectorELNS0_4arch9wavefront6targetE1EEEvT1_, .Lfunc_end1588-_ZN7rocprim17ROCPRIM_400000_NS6detail17trampoline_kernelINS0_14default_configENS1_25partition_config_selectorILNS1_17partition_subalgoE9EllbEEZZNS1_14partition_implILS5_9ELb0ES3_jPlS8_PNS0_10empty_typeENS0_5tupleIJS8_S9_EEENSB_IJS8_SA_EEENS0_18inequality_wrapperIZN2at6native12_GLOBAL__N_124unique_dim_cuda_templateIjEESt5tupleIJNSF_6TensorESK_SK_EERKSK_lbbbEUlllE0_EEPmJS9_EEE10hipError_tPvRmT3_T4_T5_T6_T7_T9_mT8_P12ihipStream_tbDpT10_ENKUlT_T0_E_clISt17integral_constantIbLb1EES19_IbLb0EEEEDaS15_S16_EUlS15_E_NS1_11comp_targetILNS1_3genE5ELNS1_11target_archE942ELNS1_3gpuE9ELNS1_3repE0EEENS1_30default_config_static_selectorELNS0_4arch9wavefront6targetE1EEEvT1_
                                        ; -- End function
	.section	.AMDGPU.csdata,"",@progbits
; Kernel info:
; codeLenInByte = 0
; NumSgprs: 4
; NumVgprs: 0
; NumAgprs: 0
; TotalNumVgprs: 0
; ScratchSize: 0
; MemoryBound: 0
; FloatMode: 240
; IeeeMode: 1
; LDSByteSize: 0 bytes/workgroup (compile time only)
; SGPRBlocks: 0
; VGPRBlocks: 0
; NumSGPRsForWavesPerEU: 4
; NumVGPRsForWavesPerEU: 1
; AccumOffset: 4
; Occupancy: 8
; WaveLimiterHint : 0
; COMPUTE_PGM_RSRC2:SCRATCH_EN: 0
; COMPUTE_PGM_RSRC2:USER_SGPR: 6
; COMPUTE_PGM_RSRC2:TRAP_HANDLER: 0
; COMPUTE_PGM_RSRC2:TGID_X_EN: 1
; COMPUTE_PGM_RSRC2:TGID_Y_EN: 0
; COMPUTE_PGM_RSRC2:TGID_Z_EN: 0
; COMPUTE_PGM_RSRC2:TIDIG_COMP_CNT: 0
; COMPUTE_PGM_RSRC3_GFX90A:ACCUM_OFFSET: 0
; COMPUTE_PGM_RSRC3_GFX90A:TG_SPLIT: 0
	.section	.text._ZN7rocprim17ROCPRIM_400000_NS6detail17trampoline_kernelINS0_14default_configENS1_25partition_config_selectorILNS1_17partition_subalgoE9EllbEEZZNS1_14partition_implILS5_9ELb0ES3_jPlS8_PNS0_10empty_typeENS0_5tupleIJS8_S9_EEENSB_IJS8_SA_EEENS0_18inequality_wrapperIZN2at6native12_GLOBAL__N_124unique_dim_cuda_templateIjEESt5tupleIJNSF_6TensorESK_SK_EERKSK_lbbbEUlllE0_EEPmJS9_EEE10hipError_tPvRmT3_T4_T5_T6_T7_T9_mT8_P12ihipStream_tbDpT10_ENKUlT_T0_E_clISt17integral_constantIbLb1EES19_IbLb0EEEEDaS15_S16_EUlS15_E_NS1_11comp_targetILNS1_3genE4ELNS1_11target_archE910ELNS1_3gpuE8ELNS1_3repE0EEENS1_30default_config_static_selectorELNS0_4arch9wavefront6targetE1EEEvT1_,"axG",@progbits,_ZN7rocprim17ROCPRIM_400000_NS6detail17trampoline_kernelINS0_14default_configENS1_25partition_config_selectorILNS1_17partition_subalgoE9EllbEEZZNS1_14partition_implILS5_9ELb0ES3_jPlS8_PNS0_10empty_typeENS0_5tupleIJS8_S9_EEENSB_IJS8_SA_EEENS0_18inequality_wrapperIZN2at6native12_GLOBAL__N_124unique_dim_cuda_templateIjEESt5tupleIJNSF_6TensorESK_SK_EERKSK_lbbbEUlllE0_EEPmJS9_EEE10hipError_tPvRmT3_T4_T5_T6_T7_T9_mT8_P12ihipStream_tbDpT10_ENKUlT_T0_E_clISt17integral_constantIbLb1EES19_IbLb0EEEEDaS15_S16_EUlS15_E_NS1_11comp_targetILNS1_3genE4ELNS1_11target_archE910ELNS1_3gpuE8ELNS1_3repE0EEENS1_30default_config_static_selectorELNS0_4arch9wavefront6targetE1EEEvT1_,comdat
	.globl	_ZN7rocprim17ROCPRIM_400000_NS6detail17trampoline_kernelINS0_14default_configENS1_25partition_config_selectorILNS1_17partition_subalgoE9EllbEEZZNS1_14partition_implILS5_9ELb0ES3_jPlS8_PNS0_10empty_typeENS0_5tupleIJS8_S9_EEENSB_IJS8_SA_EEENS0_18inequality_wrapperIZN2at6native12_GLOBAL__N_124unique_dim_cuda_templateIjEESt5tupleIJNSF_6TensorESK_SK_EERKSK_lbbbEUlllE0_EEPmJS9_EEE10hipError_tPvRmT3_T4_T5_T6_T7_T9_mT8_P12ihipStream_tbDpT10_ENKUlT_T0_E_clISt17integral_constantIbLb1EES19_IbLb0EEEEDaS15_S16_EUlS15_E_NS1_11comp_targetILNS1_3genE4ELNS1_11target_archE910ELNS1_3gpuE8ELNS1_3repE0EEENS1_30default_config_static_selectorELNS0_4arch9wavefront6targetE1EEEvT1_ ; -- Begin function _ZN7rocprim17ROCPRIM_400000_NS6detail17trampoline_kernelINS0_14default_configENS1_25partition_config_selectorILNS1_17partition_subalgoE9EllbEEZZNS1_14partition_implILS5_9ELb0ES3_jPlS8_PNS0_10empty_typeENS0_5tupleIJS8_S9_EEENSB_IJS8_SA_EEENS0_18inequality_wrapperIZN2at6native12_GLOBAL__N_124unique_dim_cuda_templateIjEESt5tupleIJNSF_6TensorESK_SK_EERKSK_lbbbEUlllE0_EEPmJS9_EEE10hipError_tPvRmT3_T4_T5_T6_T7_T9_mT8_P12ihipStream_tbDpT10_ENKUlT_T0_E_clISt17integral_constantIbLb1EES19_IbLb0EEEEDaS15_S16_EUlS15_E_NS1_11comp_targetILNS1_3genE4ELNS1_11target_archE910ELNS1_3gpuE8ELNS1_3repE0EEENS1_30default_config_static_selectorELNS0_4arch9wavefront6targetE1EEEvT1_
	.p2align	8
	.type	_ZN7rocprim17ROCPRIM_400000_NS6detail17trampoline_kernelINS0_14default_configENS1_25partition_config_selectorILNS1_17partition_subalgoE9EllbEEZZNS1_14partition_implILS5_9ELb0ES3_jPlS8_PNS0_10empty_typeENS0_5tupleIJS8_S9_EEENSB_IJS8_SA_EEENS0_18inequality_wrapperIZN2at6native12_GLOBAL__N_124unique_dim_cuda_templateIjEESt5tupleIJNSF_6TensorESK_SK_EERKSK_lbbbEUlllE0_EEPmJS9_EEE10hipError_tPvRmT3_T4_T5_T6_T7_T9_mT8_P12ihipStream_tbDpT10_ENKUlT_T0_E_clISt17integral_constantIbLb1EES19_IbLb0EEEEDaS15_S16_EUlS15_E_NS1_11comp_targetILNS1_3genE4ELNS1_11target_archE910ELNS1_3gpuE8ELNS1_3repE0EEENS1_30default_config_static_selectorELNS0_4arch9wavefront6targetE1EEEvT1_,@function
_ZN7rocprim17ROCPRIM_400000_NS6detail17trampoline_kernelINS0_14default_configENS1_25partition_config_selectorILNS1_17partition_subalgoE9EllbEEZZNS1_14partition_implILS5_9ELb0ES3_jPlS8_PNS0_10empty_typeENS0_5tupleIJS8_S9_EEENSB_IJS8_SA_EEENS0_18inequality_wrapperIZN2at6native12_GLOBAL__N_124unique_dim_cuda_templateIjEESt5tupleIJNSF_6TensorESK_SK_EERKSK_lbbbEUlllE0_EEPmJS9_EEE10hipError_tPvRmT3_T4_T5_T6_T7_T9_mT8_P12ihipStream_tbDpT10_ENKUlT_T0_E_clISt17integral_constantIbLb1EES19_IbLb0EEEEDaS15_S16_EUlS15_E_NS1_11comp_targetILNS1_3genE4ELNS1_11target_archE910ELNS1_3gpuE8ELNS1_3repE0EEENS1_30default_config_static_selectorELNS0_4arch9wavefront6targetE1EEEvT1_: ; @_ZN7rocprim17ROCPRIM_400000_NS6detail17trampoline_kernelINS0_14default_configENS1_25partition_config_selectorILNS1_17partition_subalgoE9EllbEEZZNS1_14partition_implILS5_9ELb0ES3_jPlS8_PNS0_10empty_typeENS0_5tupleIJS8_S9_EEENSB_IJS8_SA_EEENS0_18inequality_wrapperIZN2at6native12_GLOBAL__N_124unique_dim_cuda_templateIjEESt5tupleIJNSF_6TensorESK_SK_EERKSK_lbbbEUlllE0_EEPmJS9_EEE10hipError_tPvRmT3_T4_T5_T6_T7_T9_mT8_P12ihipStream_tbDpT10_ENKUlT_T0_E_clISt17integral_constantIbLb1EES19_IbLb0EEEEDaS15_S16_EUlS15_E_NS1_11comp_targetILNS1_3genE4ELNS1_11target_archE910ELNS1_3gpuE8ELNS1_3repE0EEENS1_30default_config_static_selectorELNS0_4arch9wavefront6targetE1EEEvT1_
; %bb.0:
	s_load_dwordx8 s[20:27], s[4:5], 0x40
	s_load_dwordx4 s[0:3], s[4:5], 0x8
	s_load_dwordx2 s[12:13], s[4:5], 0x18
	s_load_dword s9, s[4:5], 0x70
	v_lshrrev_b32_e32 v18, 2, v0
	s_waitcnt lgkmcnt(0)
	v_mov_b32_e32 v2, s24
	s_lshl_b64 s[14:15], s[2:3], 3
	s_add_u32 s18, s0, s14
	s_addc_u32 s19, s1, s15
	s_add_i32 s10, s9, -1
	s_lshl_b32 s0, s10, 9
	s_add_i32 s0, s2, s0
	s_lshl_b32 s8, s6, 9
	s_sub_i32 s7, s24, s0
	s_lshl_b32 s0, s9, 9
	s_add_u32 s0, s2, s0
	s_addc_u32 s1, s3, 0
	v_mov_b32_e32 v3, s25
	s_cmp_eq_u32 s6, s10
	s_load_dwordx2 s[22:23], s[22:23], 0x0
	v_cmp_ge_u64_e32 vcc, s[0:1], v[2:3]
	s_cselect_b64 s[24:25], -1, 0
	s_mov_b32 s9, 0
	s_and_b64 s[10:11], s[24:25], vcc
	s_xor_b64 s[34:35], s[10:11], -1
	s_lshl_b64 s[16:17], s[8:9], 3
	s_add_u32 s8, s18, s16
	s_mov_b64 s[0:1], -1
	s_addc_u32 s9, s19, s17
	s_and_b64 vcc, exec, s[34:35]
	s_cbranch_vccz .LBB1589_2
; %bb.1:
	v_lshlrev_b32_e32 v1, 3, v0
	global_load_dwordx2 v[2:3], v1, s[8:9]
	global_load_dwordx2 v[4:5], v1, s[8:9] offset:1024
	global_load_dwordx2 v[6:7], v1, s[8:9] offset:2048
	;; [unrolled: 1-line block ×3, first 2 shown]
	v_or_b32_e32 v11, 0x80, v0
	v_or_b32_e32 v12, 0x100, v0
	;; [unrolled: 1-line block ×3, first 2 shown]
	v_and_b32_e32 v10, 24, v18
	v_lshrrev_b32_e32 v11, 2, v11
	v_lshrrev_b32_e32 v12, 2, v12
	;; [unrolled: 1-line block ×3, first 2 shown]
	v_add_u32_e32 v10, v10, v1
	v_and_b32_e32 v11, 56, v11
	v_and_b32_e32 v12, 0x58, v12
	;; [unrolled: 1-line block ×3, first 2 shown]
	v_add_u32_e32 v11, v11, v1
	v_add_u32_e32 v12, v12, v1
	;; [unrolled: 1-line block ×3, first 2 shown]
	s_mov_b64 s[0:1], 0
	s_waitcnt vmcnt(3)
	ds_write_b64 v10, v[2:3]
	s_waitcnt vmcnt(2)
	ds_write_b64 v11, v[4:5] offset:1024
	s_waitcnt vmcnt(1)
	ds_write_b64 v12, v[6:7] offset:2048
	;; [unrolled: 2-line block ×3, first 2 shown]
	s_waitcnt lgkmcnt(0)
	s_barrier
.LBB1589_2:
	s_load_dwordx4 s[28:31], s[4:5], 0x60
	s_andn2_b64 vcc, exec, s[0:1]
	v_cmp_gt_u32_e64 s[0:1], s7, v0
	s_cbranch_vccnz .LBB1589_12
; %bb.3:
                                        ; implicit-def: $vgpr2_vgpr3_vgpr4_vgpr5_vgpr6_vgpr7_vgpr8_vgpr9
	s_and_saveexec_b64 s[18:19], s[0:1]
	s_cbranch_execz .LBB1589_5
; %bb.4:
	v_lshlrev_b32_e32 v1, 3, v0
	global_load_dwordx2 v[2:3], v1, s[8:9]
.LBB1589_5:
	s_or_b64 exec, exec, s[18:19]
	v_or_b32_e32 v1, 0x80, v0
	v_cmp_gt_u32_e32 vcc, s7, v1
	s_and_saveexec_b64 s[0:1], vcc
	s_cbranch_execz .LBB1589_7
; %bb.6:
	v_lshlrev_b32_e32 v4, 3, v0
	global_load_dwordx2 v[4:5], v4, s[8:9] offset:1024
.LBB1589_7:
	s_or_b64 exec, exec, s[0:1]
	v_or_b32_e32 v10, 0x100, v0
	v_cmp_gt_u32_e32 vcc, s7, v10
	s_and_saveexec_b64 s[0:1], vcc
	s_cbranch_execz .LBB1589_9
; %bb.8:
	v_lshlrev_b32_e32 v6, 3, v0
	global_load_dwordx2 v[6:7], v6, s[8:9] offset:2048
.LBB1589_9:
	;; [unrolled: 9-line block ×3, first 2 shown]
	s_or_b64 exec, exec, s[0:1]
	v_lshrrev_b32_e32 v1, 2, v1
	v_lshlrev_b32_e32 v13, 3, v0
	v_and_b32_e32 v1, 56, v1
	v_add_u32_e32 v1, v1, v13
	s_waitcnt vmcnt(0)
	ds_write_b64 v1, v[4:5] offset:1024
	v_lshrrev_b32_e32 v1, 2, v10
	v_and_b32_e32 v1, 0x78, v1
	v_add_u32_e32 v1, v1, v13
	ds_write_b64 v1, v[6:7] offset:2048
	v_lshrrev_b32_e32 v1, 2, v11
	v_and_b32_e32 v12, 24, v18
	v_and_b32_e32 v1, 0x78, v1
	v_add_u32_e32 v12, v12, v13
	v_add_u32_e32 v1, v1, v13
	ds_write_b64 v12, v[2:3]
	ds_write_b64 v1, v[8:9] offset:3072
	s_waitcnt lgkmcnt(0)
	s_barrier
.LBB1589_12:
	v_lshlrev_b32_e32 v1, 2, v0
	v_lshrrev_b32_e32 v2, 3, v0
	v_add_lshl_u32 v19, v2, v1, 3
	s_waitcnt lgkmcnt(0)
	ds_read2_b64 v[14:17], v19 offset1:1
	ds_read2_b64 v[10:13], v19 offset0:2 offset1:3
	s_add_u32 s0, s12, s14
	s_addc_u32 s1, s13, s15
	s_add_u32 s0, s0, s16
	s_addc_u32 s1, s1, s17
	s_mov_b64 s[12:13], -1
	s_and_b64 vcc, exec, s[34:35]
	s_waitcnt lgkmcnt(0)
	s_barrier
	s_cbranch_vccz .LBB1589_14
; %bb.13:
	v_lshlrev_b32_e32 v20, 3, v0
	global_load_dwordx2 v[2:3], v20, s[0:1]
	global_load_dwordx2 v[4:5], v20, s[0:1] offset:1024
	global_load_dwordx2 v[6:7], v20, s[0:1] offset:2048
	;; [unrolled: 1-line block ×3, first 2 shown]
	v_or_b32_e32 v22, 0x80, v0
	v_or_b32_e32 v23, 0x100, v0
	;; [unrolled: 1-line block ×3, first 2 shown]
	v_and_b32_e32 v21, 24, v18
	v_lshrrev_b32_e32 v22, 2, v22
	v_lshrrev_b32_e32 v23, 2, v23
	;; [unrolled: 1-line block ×3, first 2 shown]
	v_add_u32_e32 v21, v21, v20
	v_and_b32_e32 v22, 56, v22
	v_and_b32_e32 v23, 0x58, v23
	;; [unrolled: 1-line block ×3, first 2 shown]
	v_add_u32_e32 v22, v22, v20
	v_add_u32_e32 v23, v23, v20
	;; [unrolled: 1-line block ×3, first 2 shown]
	s_mov_b64 s[12:13], 0
	s_waitcnt vmcnt(3)
	ds_write_b64 v21, v[2:3]
	s_waitcnt vmcnt(2)
	ds_write_b64 v22, v[4:5] offset:1024
	s_waitcnt vmcnt(1)
	ds_write_b64 v23, v[6:7] offset:2048
	;; [unrolled: 2-line block ×3, first 2 shown]
	s_waitcnt lgkmcnt(0)
	s_barrier
.LBB1589_14:
	s_andn2_b64 vcc, exec, s[12:13]
	s_cbranch_vccnz .LBB1589_24
; %bb.15:
	v_cmp_gt_u32_e32 vcc, s7, v0
                                        ; implicit-def: $vgpr2_vgpr3
	s_and_saveexec_b64 s[12:13], vcc
	s_cbranch_execz .LBB1589_17
; %bb.16:
	v_lshlrev_b32_e32 v2, 3, v0
	global_load_dwordx2 v[2:3], v2, s[0:1]
.LBB1589_17:
	s_or_b64 exec, exec, s[12:13]
	v_or_b32_e32 v20, 0x80, v0
	v_cmp_gt_u32_e32 vcc, s7, v20
                                        ; implicit-def: $vgpr4_vgpr5
	s_and_saveexec_b64 s[12:13], vcc
	s_cbranch_execz .LBB1589_19
; %bb.18:
	v_lshlrev_b32_e32 v4, 3, v0
	global_load_dwordx2 v[4:5], v4, s[0:1] offset:1024
.LBB1589_19:
	s_or_b64 exec, exec, s[12:13]
	v_or_b32_e32 v21, 0x100, v0
	v_cmp_gt_u32_e32 vcc, s7, v21
                                        ; implicit-def: $vgpr6_vgpr7
	s_and_saveexec_b64 s[12:13], vcc
	s_cbranch_execz .LBB1589_21
; %bb.20:
	v_lshlrev_b32_e32 v6, 3, v0
	global_load_dwordx2 v[6:7], v6, s[0:1] offset:2048
.LBB1589_21:
	s_or_b64 exec, exec, s[12:13]
	v_or_b32_e32 v22, 0x180, v0
	v_cmp_gt_u32_e32 vcc, s7, v22
                                        ; implicit-def: $vgpr8_vgpr9
	s_and_saveexec_b64 s[12:13], vcc
	s_cbranch_execz .LBB1589_23
; %bb.22:
	v_lshlrev_b32_e32 v8, 3, v0
	global_load_dwordx2 v[8:9], v8, s[0:1] offset:3072
.LBB1589_23:
	s_or_b64 exec, exec, s[12:13]
	v_and_b32_e32 v18, 24, v18
	v_lshlrev_b32_e32 v23, 3, v0
	v_add_u32_e32 v18, v18, v23
	s_waitcnt vmcnt(0)
	ds_write_b64 v18, v[2:3]
	v_lshrrev_b32_e32 v2, 2, v20
	v_and_b32_e32 v2, 56, v2
	v_add_u32_e32 v2, v2, v23
	ds_write_b64 v2, v[4:5] offset:1024
	v_lshrrev_b32_e32 v2, 2, v21
	v_and_b32_e32 v2, 0x78, v2
	v_add_u32_e32 v2, v2, v23
	ds_write_b64 v2, v[6:7] offset:2048
	;; [unrolled: 4-line block ×3, first 2 shown]
	s_waitcnt lgkmcnt(0)
	s_barrier
.LBB1589_24:
	ds_read2_b64 v[6:9], v19 offset1:1
	ds_read2_b64 v[2:5], v19 offset0:2 offset1:3
	s_cmp_lg_u32 s6, 0
	s_cselect_b64 s[16:17], -1, 0
	s_cmp_lg_u64 s[2:3], 0
	s_cselect_b64 s[0:1], -1, 0
	s_or_b64 s[0:1], s[16:17], s[0:1]
	s_mov_b64 s[12:13], 0
	s_and_b64 vcc, exec, s[0:1]
	v_cmp_gt_i64_e64 s[0:1], s[26:27], 0
	s_waitcnt lgkmcnt(0)
	s_barrier
	s_cbranch_vccz .LBB1589_33
; %bb.25:
	s_add_u32 s2, s8, -8
	s_addc_u32 s3, s9, -1
	s_load_dwordx2 s[12:13], s[2:3], 0x0
	v_cndmask_b32_e64 v18, 0, 1, s[0:1]
	v_lshlrev_b32_e32 v26, 3, v0
	s_mov_b64 s[14:15], 0
	s_and_b64 vcc, exec, s[34:35]
	v_cmp_ne_u32_e64 s[0:1], 1, v18
	ds_write_b64 v26, v[12:13]
	s_cbranch_vccz .LBB1589_34
; %bb.26:
	v_mul_lo_u32 v20, v11, s26
	v_mul_lo_u32 v21, v10, s27
	v_mad_u64_u32 v[18:19], s[2:3], v10, s26, 0
	v_add3_u32 v19, v19, v21, v20
	s_and_b64 vcc, exec, s[0:1]
	v_lshlrev_b64 v[18:19], 2, v[18:19]
	s_cbranch_vccnz .LBB1589_37
; %bb.27:
	v_mul_lo_u32 v22, v13, s26
	v_mul_lo_u32 v23, v12, s27
	v_mad_u64_u32 v[20:21], s[2:3], v12, s26, 0
	v_add3_u32 v21, v21, v23, v22
	v_mov_b32_e32 v23, s29
	v_add_co_u32_e32 v22, vcc, s28, v18
	v_addc_co_u32_e64 v23, s[2:3], v23, v19, vcc
	v_lshlrev_b64 v[20:21], 2, v[20:21]
	v_mov_b32_e32 v25, s29
	v_add_co_u32_e64 v24, s[2:3], s28, v20
	v_addc_co_u32_e64 v25, s[8:9], v25, v21, s[2:3]
	global_load_dword v20, v[22:23], off
	global_load_dword v27, v[24:25], off
	s_mov_b64 s[14:15], -1
	s_waitcnt vmcnt(0)
	v_cmp_eq_u32_e64 s[8:9], v20, v27
	s_and_saveexec_b64 s[18:19], s[8:9]
	s_cbranch_execz .LBB1589_36
; %bb.28:
	v_mov_b32_e32 v20, s29
	v_addc_co_u32_e64 v21, s[2:3], v21, v20, s[2:3]
	v_add_co_u32_e64 v20, s[2:3], 4, v24
	v_mov_b32_e32 v23, s29
	v_addc_co_u32_e64 v21, s[2:3], 0, v21, s[2:3]
	v_addc_co_u32_e32 v23, vcc, v19, v23, vcc
	v_add_co_u32_e32 v22, vcc, 4, v22
	s_add_u32 s2, s26, -1
	v_addc_co_u32_e32 v23, vcc, 0, v23, vcc
	s_addc_u32 s3, s27, -1
	s_mov_b64 s[8:9], 0
	s_mov_b64 s[36:37], 0
                                        ; implicit-def: $sgpr14_sgpr15
	s_branch .LBB1589_31
.LBB1589_29:                            ;   in Loop: Header=BB1589_31 Depth=1
	global_load_dword v24, v[22:23], off
	global_load_dword v25, v[20:21], off
	v_add_co_u32_e32 v20, vcc, 4, v20
	v_addc_co_u32_e32 v21, vcc, 0, v21, vcc
	v_add_co_u32_e32 v22, vcc, 4, v22
	v_addc_co_u32_e32 v23, vcc, 0, v23, vcc
	s_add_u32 s36, s36, 1
	s_addc_u32 s37, s37, 0
	s_andn2_b64 s[14:15], s[14:15], exec
	s_waitcnt vmcnt(0)
	v_cmp_ne_u32_e32 vcc, v24, v25
	s_and_b64 s[38:39], vcc, exec
	s_or_b64 s[14:15], s[14:15], s[38:39]
.LBB1589_30:                            ;   in Loop: Header=BB1589_31 Depth=1
	s_and_b64 s[38:39], exec, s[14:15]
	s_or_b64 s[8:9], s[38:39], s[8:9]
	v_pk_mov_b32 v[24:25], s[36:37], s[36:37] op_sel:[0,1]
	s_andn2_b64 exec, exec, s[8:9]
	s_cbranch_execz .LBB1589_35
.LBB1589_31:                            ; =>This Inner Loop Header: Depth=1
	s_or_b64 s[14:15], s[14:15], exec
	s_cmp_eq_u64 s[2:3], s[36:37]
	s_cbranch_scc0 .LBB1589_29
; %bb.32:                               ;   in Loop: Header=BB1589_31 Depth=1
                                        ; implicit-def: $vgpr20_vgpr21
                                        ; implicit-def: $vgpr22_vgpr23
	s_mov_b64 s[36:37], s[26:27]
	s_branch .LBB1589_30
.LBB1589_33:
                                        ; implicit-def: $sgpr18_sgpr19
                                        ; implicit-def: $vgpr28
	s_branch .LBB1589_115
.LBB1589_34:
                                        ; implicit-def: $sgpr18_sgpr19
                                        ; implicit-def: $vgpr28
	s_cbranch_execnz .LBB1589_67
	s_branch .LBB1589_114
.LBB1589_35:
	s_or_b64 exec, exec, s[8:9]
	v_cmp_gt_i64_e32 vcc, s[26:27], v[24:25]
	s_orn2_b64 s[14:15], vcc, exec
.LBB1589_36:
	s_or_b64 exec, exec, s[18:19]
.LBB1589_37:
	v_mul_lo_u32 v22, v17, s26
	v_mul_lo_u32 v23, v16, s27
	v_mad_u64_u32 v[20:21], s[2:3], v16, s26, 0
	v_add3_u32 v21, v21, v23, v22
	s_mov_b64 s[18:19], 0
	s_and_b64 vcc, exec, s[0:1]
	v_lshlrev_b64 v[20:21], 2, v[20:21]
	s_mov_b64 s[36:37], 0
	s_cbranch_vccnz .LBB1589_46
; %bb.38:
	v_mov_b32_e32 v23, s29
	v_add_co_u32_e32 v22, vcc, s28, v20
	v_addc_co_u32_e64 v23, s[2:3], v23, v21, vcc
	v_mov_b32_e32 v25, s29
	v_add_co_u32_e64 v24, s[2:3], s28, v18
	v_addc_co_u32_e64 v25, s[8:9], v25, v19, s[2:3]
	global_load_dword v18, v[22:23], off
	global_load_dword v27, v[24:25], off
	s_mov_b64 s[36:37], -1
	s_waitcnt vmcnt(0)
	v_cmp_eq_u32_e64 s[8:9], v18, v27
	s_and_saveexec_b64 s[38:39], s[8:9]
	s_cbranch_execz .LBB1589_45
; %bb.39:
	v_mov_b32_e32 v18, s29
	v_addc_co_u32_e64 v19, s[2:3], v19, v18, s[2:3]
	v_add_co_u32_e64 v18, s[2:3], 4, v24
	v_mov_b32_e32 v23, s29
	v_addc_co_u32_e64 v19, s[2:3], 0, v19, s[2:3]
	v_addc_co_u32_e32 v23, vcc, v21, v23, vcc
	v_add_co_u32_e32 v22, vcc, 4, v22
	s_add_u32 s2, s26, -1
	v_addc_co_u32_e32 v23, vcc, 0, v23, vcc
	s_addc_u32 s3, s27, -1
	s_mov_b64 s[8:9], 0
	s_mov_b64 s[40:41], 0
                                        ; implicit-def: $sgpr36_sgpr37
	s_branch .LBB1589_42
.LBB1589_40:                            ;   in Loop: Header=BB1589_42 Depth=1
	global_load_dword v24, v[22:23], off
	global_load_dword v25, v[18:19], off
	v_add_co_u32_e32 v18, vcc, 4, v18
	v_addc_co_u32_e32 v19, vcc, 0, v19, vcc
	v_add_co_u32_e32 v22, vcc, 4, v22
	v_addc_co_u32_e32 v23, vcc, 0, v23, vcc
	s_add_u32 s40, s40, 1
	s_addc_u32 s41, s41, 0
	s_andn2_b64 s[36:37], s[36:37], exec
	s_waitcnt vmcnt(0)
	v_cmp_ne_u32_e32 vcc, v24, v25
	s_and_b64 s[42:43], vcc, exec
	s_or_b64 s[36:37], s[36:37], s[42:43]
.LBB1589_41:                            ;   in Loop: Header=BB1589_42 Depth=1
	s_and_b64 s[42:43], exec, s[36:37]
	s_or_b64 s[8:9], s[42:43], s[8:9]
	v_pk_mov_b32 v[24:25], s[40:41], s[40:41] op_sel:[0,1]
	s_andn2_b64 exec, exec, s[8:9]
	s_cbranch_execz .LBB1589_44
.LBB1589_42:                            ; =>This Inner Loop Header: Depth=1
	s_or_b64 s[36:37], s[36:37], exec
	s_cmp_eq_u64 s[2:3], s[40:41]
	s_cbranch_scc0 .LBB1589_40
; %bb.43:                               ;   in Loop: Header=BB1589_42 Depth=1
                                        ; implicit-def: $vgpr18_vgpr19
                                        ; implicit-def: $vgpr22_vgpr23
	s_mov_b64 s[40:41], s[26:27]
	s_branch .LBB1589_41
.LBB1589_44:
	s_or_b64 exec, exec, s[8:9]
	v_cmp_gt_i64_e32 vcc, s[26:27], v[24:25]
	s_orn2_b64 s[36:37], vcc, exec
.LBB1589_45:
	s_or_b64 exec, exec, s[38:39]
.LBB1589_46:
	v_mul_lo_u32 v22, v15, s26
	v_mul_lo_u32 v23, v14, s27
	v_mad_u64_u32 v[18:19], s[2:3], v14, s26, 0
	v_add3_u32 v19, v19, v23, v22
	s_and_b64 vcc, exec, s[0:1]
	v_lshlrev_b64 v[18:19], 2, v[18:19]
	s_cbranch_vccnz .LBB1589_55
; %bb.47:
	v_mov_b32_e32 v23, s29
	v_add_co_u32_e32 v22, vcc, s28, v18
	v_addc_co_u32_e64 v23, s[2:3], v23, v19, vcc
	v_mov_b32_e32 v25, s29
	v_add_co_u32_e64 v24, s[2:3], s28, v20
	v_addc_co_u32_e64 v25, s[8:9], v25, v21, s[2:3]
	global_load_dword v20, v[22:23], off
	global_load_dword v27, v[24:25], off
	s_mov_b64 s[18:19], -1
	s_waitcnt vmcnt(0)
	v_cmp_eq_u32_e64 s[8:9], v20, v27
	s_and_saveexec_b64 s[38:39], s[8:9]
	s_cbranch_execz .LBB1589_54
; %bb.48:
	v_mov_b32_e32 v20, s29
	v_addc_co_u32_e64 v21, s[2:3], v21, v20, s[2:3]
	v_add_co_u32_e64 v20, s[2:3], 4, v24
	v_mov_b32_e32 v23, s29
	v_addc_co_u32_e64 v21, s[2:3], 0, v21, s[2:3]
	v_addc_co_u32_e32 v23, vcc, v19, v23, vcc
	v_add_co_u32_e32 v22, vcc, 4, v22
	s_add_u32 s2, s26, -1
	v_addc_co_u32_e32 v23, vcc, 0, v23, vcc
	s_addc_u32 s3, s27, -1
	s_mov_b64 s[8:9], 0
	s_mov_b64 s[40:41], 0
                                        ; implicit-def: $sgpr18_sgpr19
	s_branch .LBB1589_51
.LBB1589_49:                            ;   in Loop: Header=BB1589_51 Depth=1
	global_load_dword v24, v[22:23], off
	global_load_dword v25, v[20:21], off
	v_add_co_u32_e32 v20, vcc, 4, v20
	v_addc_co_u32_e32 v21, vcc, 0, v21, vcc
	v_add_co_u32_e32 v22, vcc, 4, v22
	v_addc_co_u32_e32 v23, vcc, 0, v23, vcc
	s_add_u32 s40, s40, 1
	s_addc_u32 s41, s41, 0
	s_andn2_b64 s[18:19], s[18:19], exec
	s_waitcnt vmcnt(0)
	v_cmp_ne_u32_e32 vcc, v24, v25
	s_and_b64 s[42:43], vcc, exec
	s_or_b64 s[18:19], s[18:19], s[42:43]
.LBB1589_50:                            ;   in Loop: Header=BB1589_51 Depth=1
	s_and_b64 s[42:43], exec, s[18:19]
	s_or_b64 s[8:9], s[42:43], s[8:9]
	v_pk_mov_b32 v[24:25], s[40:41], s[40:41] op_sel:[0,1]
	s_andn2_b64 exec, exec, s[8:9]
	s_cbranch_execz .LBB1589_53
.LBB1589_51:                            ; =>This Inner Loop Header: Depth=1
	s_or_b64 s[18:19], s[18:19], exec
	s_cmp_eq_u64 s[2:3], s[40:41]
	s_cbranch_scc0 .LBB1589_49
; %bb.52:                               ;   in Loop: Header=BB1589_51 Depth=1
                                        ; implicit-def: $vgpr20_vgpr21
                                        ; implicit-def: $vgpr22_vgpr23
	s_mov_b64 s[40:41], s[26:27]
	s_branch .LBB1589_50
.LBB1589_53:
	s_or_b64 exec, exec, s[8:9]
	v_cmp_gt_i64_e32 vcc, s[26:27], v[24:25]
	s_orn2_b64 s[18:19], vcc, exec
.LBB1589_54:
	s_or_b64 exec, exec, s[38:39]
.LBB1589_55:
	v_cmp_ne_u32_e32 vcc, 0, v0
	s_waitcnt lgkmcnt(0)
	v_pk_mov_b32 v[20:21], s[12:13], s[12:13] op_sel:[0,1]
	s_barrier
	s_and_saveexec_b64 s[2:3], vcc
	s_cbranch_execz .LBB1589_57
; %bb.56:
	v_add_u32_e32 v20, -8, v26
	ds_read_b64 v[20:21], v20
.LBB1589_57:
	s_or_b64 exec, exec, s[2:3]
	v_cndmask_b32_e64 v23, 0, 1, s[14:15]
	v_cndmask_b32_e64 v22, 0, 1, s[36:37]
	;; [unrolled: 1-line block ×3, first 2 shown]
	v_lshlrev_b16_e32 v23, 8, v23
	v_lshlrev_b16_e32 v27, 8, v24
	v_or_b32_sdwa v28, v22, v23 dst_sel:WORD_1 dst_unused:UNUSED_PAD src0_sel:DWORD src1_sel:DWORD
	s_mov_b64 s[14:15], 0
	s_and_b64 vcc, exec, s[0:1]
	s_mov_b64 s[18:19], 0
	s_cbranch_vccnz .LBB1589_66
; %bb.58:
	s_waitcnt lgkmcnt(0)
	v_mul_lo_u32 v22, v21, s26
	v_mul_lo_u32 v23, v20, s27
	v_mad_u64_u32 v[20:21], s[2:3], v20, s26, 0
	v_add3_u32 v21, v21, v23, v22
	v_lshlrev_b64 v[20:21], 2, v[20:21]
	v_mov_b32_e32 v23, s29
	v_add_co_u32_e32 v22, vcc, s28, v20
	v_addc_co_u32_e64 v23, s[2:3], v23, v21, vcc
	v_mov_b32_e32 v20, s29
	v_add_co_u32_e64 v24, s[2:3], s28, v18
	v_addc_co_u32_e64 v25, s[8:9], v20, v19, s[2:3]
	global_load_dword v18, v[22:23], off
	global_load_dword v20, v[24:25], off
	s_mov_b64 s[18:19], -1
	s_waitcnt vmcnt(0)
	v_cmp_eq_u32_e64 s[8:9], v18, v20
	s_and_saveexec_b64 s[36:37], s[8:9]
	s_cbranch_execz .LBB1589_65
; %bb.59:
	v_mov_b32_e32 v18, s29
	v_addc_co_u32_e64 v19, s[2:3], v19, v18, s[2:3]
	v_add_co_u32_e64 v18, s[2:3], 4, v24
	v_mov_b32_e32 v20, s29
	v_addc_co_u32_e64 v19, s[2:3], 0, v19, s[2:3]
	v_addc_co_u32_e32 v21, vcc, v21, v20, vcc
	v_add_co_u32_e32 v20, vcc, 4, v22
	s_add_u32 s2, s26, -1
	v_addc_co_u32_e32 v21, vcc, 0, v21, vcc
	s_addc_u32 s3, s27, -1
	s_mov_b64 s[8:9], 0
	s_mov_b64 s[38:39], 0
                                        ; implicit-def: $sgpr18_sgpr19
	s_branch .LBB1589_62
.LBB1589_60:                            ;   in Loop: Header=BB1589_62 Depth=1
	global_load_dword v22, v[20:21], off
	global_load_dword v23, v[18:19], off
	v_add_co_u32_e32 v18, vcc, 4, v18
	v_addc_co_u32_e32 v19, vcc, 0, v19, vcc
	v_add_co_u32_e32 v20, vcc, 4, v20
	v_addc_co_u32_e32 v21, vcc, 0, v21, vcc
	s_add_u32 s38, s38, 1
	s_addc_u32 s39, s39, 0
	s_andn2_b64 s[18:19], s[18:19], exec
	s_waitcnt vmcnt(0)
	v_cmp_ne_u32_e32 vcc, v22, v23
	s_and_b64 s[40:41], vcc, exec
	s_or_b64 s[18:19], s[18:19], s[40:41]
.LBB1589_61:                            ;   in Loop: Header=BB1589_62 Depth=1
	s_and_b64 s[40:41], exec, s[18:19]
	s_or_b64 s[8:9], s[40:41], s[8:9]
	v_pk_mov_b32 v[22:23], s[38:39], s[38:39] op_sel:[0,1]
	s_andn2_b64 exec, exec, s[8:9]
	s_cbranch_execz .LBB1589_64
.LBB1589_62:                            ; =>This Inner Loop Header: Depth=1
	s_or_b64 s[18:19], s[18:19], exec
	s_cmp_eq_u64 s[2:3], s[38:39]
	s_cbranch_scc0 .LBB1589_60
; %bb.63:                               ;   in Loop: Header=BB1589_62 Depth=1
                                        ; implicit-def: $vgpr18_vgpr19
                                        ; implicit-def: $vgpr20_vgpr21
	s_mov_b64 s[38:39], s[26:27]
	s_branch .LBB1589_61
.LBB1589_64:
	s_or_b64 exec, exec, s[8:9]
	v_cmp_gt_i64_e32 vcc, s[26:27], v[22:23]
	s_orn2_b64 s[18:19], vcc, exec
.LBB1589_65:
	s_or_b64 exec, exec, s[36:37]
.LBB1589_66:
	v_or_b32_e32 v28, v27, v28
	s_and_b64 vcc, exec, s[14:15]
	s_cbranch_vccz .LBB1589_114
.LBB1589_67:
	v_or_b32_e32 v18, 3, v1
	v_cmp_gt_u32_e32 vcc, s7, v18
	s_mov_b64 s[18:19], 0
	s_mov_b64 s[14:15], 0
	s_and_saveexec_b64 s[36:37], vcc
	s_cbranch_execz .LBB1589_78
; %bb.68:
	s_and_b64 vcc, exec, s[0:1]
	s_mov_b64 s[38:39], 0
	s_cbranch_vccnz .LBB1589_77
; %bb.69:
	s_waitcnt lgkmcnt(0)
	v_mul_lo_u32 v20, v11, s26
	v_mul_lo_u32 v21, v10, s27
	v_mad_u64_u32 v[18:19], s[2:3], v10, s26, 0
	v_add3_u32 v19, v19, v21, v20
	v_mul_lo_u32 v20, v13, s26
	v_mul_lo_u32 v21, v12, s27
	v_mad_u64_u32 v[24:25], s[2:3], v12, s26, 0
	v_add3_u32 v25, v25, v21, v20
	v_lshlrev_b64 v[20:21], 2, v[18:19]
	v_mov_b32_e32 v18, s29
	v_add_co_u32_e32 v22, vcc, s28, v20
	v_addc_co_u32_e64 v23, s[2:3], v18, v21, vcc
	v_lshlrev_b64 v[18:19], 2, v[24:25]
	v_mov_b32_e32 v20, s29
	v_add_co_u32_e64 v24, s[2:3], s28, v18
	v_addc_co_u32_e64 v25, s[8:9], v20, v19, s[2:3]
	global_load_dword v18, v[22:23], off
	global_load_dword v20, v[24:25], off
	s_mov_b64 s[38:39], -1
	s_waitcnt vmcnt(0)
	v_cmp_eq_u32_e64 s[8:9], v18, v20
	s_and_saveexec_b64 s[14:15], s[8:9]
	s_cbranch_execz .LBB1589_76
; %bb.70:
	v_mov_b32_e32 v18, s29
	v_addc_co_u32_e64 v19, s[2:3], v19, v18, s[2:3]
	v_add_co_u32_e64 v18, s[2:3], 4, v24
	v_mov_b32_e32 v20, s29
	v_addc_co_u32_e64 v19, s[2:3], 0, v19, s[2:3]
	v_addc_co_u32_e32 v21, vcc, v21, v20, vcc
	v_add_co_u32_e32 v20, vcc, 4, v22
	s_add_u32 s2, s26, -1
	v_addc_co_u32_e32 v21, vcc, 0, v21, vcc
	s_addc_u32 s3, s27, -1
	s_mov_b64 s[8:9], 0
	s_mov_b64 s[40:41], 0
                                        ; implicit-def: $sgpr38_sgpr39
	s_branch .LBB1589_73
.LBB1589_71:                            ;   in Loop: Header=BB1589_73 Depth=1
	global_load_dword v22, v[20:21], off
	global_load_dword v23, v[18:19], off
	v_add_co_u32_e32 v18, vcc, 4, v18
	v_addc_co_u32_e32 v19, vcc, 0, v19, vcc
	v_add_co_u32_e32 v20, vcc, 4, v20
	v_addc_co_u32_e32 v21, vcc, 0, v21, vcc
	s_add_u32 s40, s40, 1
	s_addc_u32 s41, s41, 0
	s_andn2_b64 s[38:39], s[38:39], exec
	s_waitcnt vmcnt(0)
	v_cmp_ne_u32_e32 vcc, v22, v23
	s_and_b64 s[42:43], vcc, exec
	s_or_b64 s[38:39], s[38:39], s[42:43]
.LBB1589_72:                            ;   in Loop: Header=BB1589_73 Depth=1
	s_and_b64 s[42:43], exec, s[38:39]
	s_or_b64 s[8:9], s[42:43], s[8:9]
	v_pk_mov_b32 v[22:23], s[40:41], s[40:41] op_sel:[0,1]
	s_andn2_b64 exec, exec, s[8:9]
	s_cbranch_execz .LBB1589_75
.LBB1589_73:                            ; =>This Inner Loop Header: Depth=1
	s_or_b64 s[38:39], s[38:39], exec
	s_cmp_eq_u64 s[2:3], s[40:41]
	s_cbranch_scc0 .LBB1589_71
; %bb.74:                               ;   in Loop: Header=BB1589_73 Depth=1
                                        ; implicit-def: $vgpr18_vgpr19
                                        ; implicit-def: $vgpr20_vgpr21
	s_mov_b64 s[40:41], s[26:27]
	s_branch .LBB1589_72
.LBB1589_75:
	s_or_b64 exec, exec, s[8:9]
	v_cmp_gt_i64_e32 vcc, s[26:27], v[22:23]
	s_orn2_b64 s[38:39], vcc, exec
.LBB1589_76:
	s_or_b64 exec, exec, s[14:15]
.LBB1589_77:
	s_and_b64 s[14:15], s[38:39], exec
.LBB1589_78:
	s_or_b64 exec, exec, s[36:37]
	v_or_b32_e32 v18, 2, v1
	v_cmp_gt_u32_e32 vcc, s7, v18
	s_and_saveexec_b64 s[36:37], vcc
	s_cbranch_execz .LBB1589_89
; %bb.79:
	s_and_b64 vcc, exec, s[0:1]
	s_mov_b64 s[38:39], 0
	s_cbranch_vccnz .LBB1589_88
; %bb.80:
	s_waitcnt lgkmcnt(0)
	v_mul_lo_u32 v20, v17, s26
	v_mul_lo_u32 v21, v16, s27
	v_mad_u64_u32 v[18:19], s[2:3], v16, s26, 0
	v_add3_u32 v19, v19, v21, v20
	v_mul_lo_u32 v20, v11, s26
	v_mul_lo_u32 v21, v10, s27
	v_mad_u64_u32 v[24:25], s[2:3], v10, s26, 0
	v_add3_u32 v25, v25, v21, v20
	v_lshlrev_b64 v[20:21], 2, v[18:19]
	v_mov_b32_e32 v18, s29
	v_add_co_u32_e32 v22, vcc, s28, v20
	v_addc_co_u32_e64 v23, s[2:3], v18, v21, vcc
	v_lshlrev_b64 v[18:19], 2, v[24:25]
	v_mov_b32_e32 v20, s29
	v_add_co_u32_e64 v24, s[2:3], s28, v18
	v_addc_co_u32_e64 v25, s[8:9], v20, v19, s[2:3]
	global_load_dword v18, v[22:23], off
	global_load_dword v20, v[24:25], off
	s_mov_b64 s[38:39], -1
	s_waitcnt vmcnt(0)
	v_cmp_eq_u32_e64 s[8:9], v18, v20
	s_and_saveexec_b64 s[18:19], s[8:9]
	s_cbranch_execz .LBB1589_87
; %bb.81:
	v_mov_b32_e32 v18, s29
	v_addc_co_u32_e64 v19, s[2:3], v19, v18, s[2:3]
	v_add_co_u32_e64 v18, s[2:3], 4, v24
	v_mov_b32_e32 v20, s29
	v_addc_co_u32_e64 v19, s[2:3], 0, v19, s[2:3]
	v_addc_co_u32_e32 v21, vcc, v21, v20, vcc
	v_add_co_u32_e32 v20, vcc, 4, v22
	s_add_u32 s2, s26, -1
	v_addc_co_u32_e32 v21, vcc, 0, v21, vcc
	s_addc_u32 s3, s27, -1
	s_mov_b64 s[8:9], 0
	s_mov_b64 s[40:41], 0
                                        ; implicit-def: $sgpr38_sgpr39
	s_branch .LBB1589_84
.LBB1589_82:                            ;   in Loop: Header=BB1589_84 Depth=1
	global_load_dword v22, v[20:21], off
	global_load_dword v23, v[18:19], off
	v_add_co_u32_e32 v18, vcc, 4, v18
	v_addc_co_u32_e32 v19, vcc, 0, v19, vcc
	v_add_co_u32_e32 v20, vcc, 4, v20
	v_addc_co_u32_e32 v21, vcc, 0, v21, vcc
	s_add_u32 s40, s40, 1
	s_addc_u32 s41, s41, 0
	s_andn2_b64 s[38:39], s[38:39], exec
	s_waitcnt vmcnt(0)
	v_cmp_ne_u32_e32 vcc, v22, v23
	s_and_b64 s[42:43], vcc, exec
	s_or_b64 s[38:39], s[38:39], s[42:43]
.LBB1589_83:                            ;   in Loop: Header=BB1589_84 Depth=1
	s_and_b64 s[42:43], exec, s[38:39]
	s_or_b64 s[8:9], s[42:43], s[8:9]
	v_pk_mov_b32 v[22:23], s[40:41], s[40:41] op_sel:[0,1]
	s_andn2_b64 exec, exec, s[8:9]
	s_cbranch_execz .LBB1589_86
.LBB1589_84:                            ; =>This Inner Loop Header: Depth=1
	s_or_b64 s[38:39], s[38:39], exec
	s_cmp_eq_u64 s[2:3], s[40:41]
	s_cbranch_scc0 .LBB1589_82
; %bb.85:                               ;   in Loop: Header=BB1589_84 Depth=1
                                        ; implicit-def: $vgpr18_vgpr19
                                        ; implicit-def: $vgpr20_vgpr21
	s_mov_b64 s[40:41], s[26:27]
	s_branch .LBB1589_83
.LBB1589_86:
	s_or_b64 exec, exec, s[8:9]
	v_cmp_gt_i64_e32 vcc, s[26:27], v[22:23]
	s_orn2_b64 s[38:39], vcc, exec
.LBB1589_87:
	s_or_b64 exec, exec, s[18:19]
.LBB1589_88:
	s_and_b64 s[18:19], s[38:39], exec
.LBB1589_89:
	s_or_b64 exec, exec, s[36:37]
	v_or_b32_e32 v18, 1, v1
	v_cmp_gt_u32_e32 vcc, s7, v18
	s_mov_b64 s[2:3], 0
	s_and_saveexec_b64 s[36:37], vcc
	s_cbranch_execz .LBB1589_100
; %bb.90:
	s_and_b64 vcc, exec, s[0:1]
	s_mov_b64 s[40:41], 0
	s_cbranch_vccnz .LBB1589_99
; %bb.91:
	s_waitcnt lgkmcnt(0)
	v_mul_lo_u32 v20, v15, s26
	v_mul_lo_u32 v21, v14, s27
	v_mad_u64_u32 v[18:19], s[2:3], v14, s26, 0
	v_add3_u32 v19, v19, v21, v20
	v_mul_lo_u32 v20, v17, s26
	v_mul_lo_u32 v21, v16, s27
	v_mad_u64_u32 v[24:25], s[2:3], v16, s26, 0
	v_add3_u32 v25, v25, v21, v20
	v_lshlrev_b64 v[20:21], 2, v[18:19]
	v_mov_b32_e32 v18, s29
	v_add_co_u32_e32 v22, vcc, s28, v20
	v_addc_co_u32_e64 v23, s[2:3], v18, v21, vcc
	v_lshlrev_b64 v[18:19], 2, v[24:25]
	v_mov_b32_e32 v20, s29
	v_add_co_u32_e64 v24, s[2:3], s28, v18
	v_addc_co_u32_e64 v25, s[8:9], v20, v19, s[2:3]
	global_load_dword v18, v[22:23], off
	global_load_dword v20, v[24:25], off
	s_mov_b64 s[40:41], -1
	s_waitcnt vmcnt(0)
	v_cmp_eq_u32_e64 s[8:9], v18, v20
	s_and_saveexec_b64 s[38:39], s[8:9]
	s_cbranch_execz .LBB1589_98
; %bb.92:
	v_mov_b32_e32 v18, s29
	v_addc_co_u32_e64 v19, s[2:3], v19, v18, s[2:3]
	v_add_co_u32_e64 v18, s[2:3], 4, v24
	v_mov_b32_e32 v20, s29
	v_addc_co_u32_e64 v19, s[2:3], 0, v19, s[2:3]
	v_addc_co_u32_e32 v21, vcc, v21, v20, vcc
	v_add_co_u32_e32 v20, vcc, 4, v22
	s_add_u32 s2, s26, -1
	v_addc_co_u32_e32 v21, vcc, 0, v21, vcc
	s_addc_u32 s3, s27, -1
	s_mov_b64 s[8:9], 0
	s_mov_b64 s[42:43], 0
                                        ; implicit-def: $sgpr40_sgpr41
	s_branch .LBB1589_95
.LBB1589_93:                            ;   in Loop: Header=BB1589_95 Depth=1
	global_load_dword v22, v[20:21], off
	global_load_dword v23, v[18:19], off
	v_add_co_u32_e32 v18, vcc, 4, v18
	v_addc_co_u32_e32 v19, vcc, 0, v19, vcc
	v_add_co_u32_e32 v20, vcc, 4, v20
	v_addc_co_u32_e32 v21, vcc, 0, v21, vcc
	s_add_u32 s42, s42, 1
	s_addc_u32 s43, s43, 0
	s_andn2_b64 s[40:41], s[40:41], exec
	s_waitcnt vmcnt(0)
	v_cmp_ne_u32_e32 vcc, v22, v23
	s_and_b64 s[44:45], vcc, exec
	s_or_b64 s[40:41], s[40:41], s[44:45]
.LBB1589_94:                            ;   in Loop: Header=BB1589_95 Depth=1
	s_and_b64 s[44:45], exec, s[40:41]
	s_or_b64 s[8:9], s[44:45], s[8:9]
	v_pk_mov_b32 v[22:23], s[42:43], s[42:43] op_sel:[0,1]
	s_andn2_b64 exec, exec, s[8:9]
	s_cbranch_execz .LBB1589_97
.LBB1589_95:                            ; =>This Inner Loop Header: Depth=1
	s_or_b64 s[40:41], s[40:41], exec
	s_cmp_eq_u64 s[2:3], s[42:43]
	s_cbranch_scc0 .LBB1589_93
; %bb.96:                               ;   in Loop: Header=BB1589_95 Depth=1
                                        ; implicit-def: $vgpr18_vgpr19
                                        ; implicit-def: $vgpr20_vgpr21
	s_mov_b64 s[42:43], s[26:27]
	s_branch .LBB1589_94
.LBB1589_97:
	s_or_b64 exec, exec, s[8:9]
	v_cmp_gt_i64_e32 vcc, s[26:27], v[22:23]
	s_orn2_b64 s[40:41], vcc, exec
.LBB1589_98:
	s_or_b64 exec, exec, s[38:39]
.LBB1589_99:
	s_and_b64 s[2:3], s[40:41], exec
.LBB1589_100:
	s_or_b64 exec, exec, s[36:37]
	v_cmp_ne_u32_e32 vcc, 0, v0
	s_waitcnt lgkmcnt(0)
	v_pk_mov_b32 v[18:19], s[12:13], s[12:13] op_sel:[0,1]
	s_barrier
	s_and_saveexec_b64 s[8:9], vcc
	s_cbranch_execz .LBB1589_102
; %bb.101:
	v_add_u32_e32 v18, -8, v26
	ds_read_b64 v[18:19], v18
.LBB1589_102:
	s_or_b64 exec, exec, s[8:9]
	v_cndmask_b32_e64 v21, 0, 1, s[14:15]
	v_cndmask_b32_e64 v20, 0, 1, s[18:19]
	;; [unrolled: 1-line block ×3, first 2 shown]
	v_lshlrev_b16_e32 v21, 8, v21
	v_lshlrev_b16_e32 v26, 8, v22
	v_or_b32_sdwa v27, v20, v21 dst_sel:WORD_1 dst_unused:UNUSED_PAD src0_sel:DWORD src1_sel:DWORD
	v_cmp_gt_u32_e32 vcc, s7, v1
	s_mov_b64 s[18:19], 0
	s_and_saveexec_b64 s[8:9], vcc
	s_cbranch_execz .LBB1589_113
; %bb.103:
	s_and_b64 vcc, exec, s[0:1]
	s_mov_b64 s[14:15], 0
	s_cbranch_vccnz .LBB1589_112
; %bb.104:
	s_waitcnt lgkmcnt(0)
	v_mul_lo_u32 v20, v19, s26
	v_mul_lo_u32 v21, v18, s27
	v_mad_u64_u32 v[18:19], s[0:1], v18, s26, 0
	v_add3_u32 v19, v19, v21, v20
	v_mul_lo_u32 v20, v15, s26
	v_mul_lo_u32 v21, v14, s27
	v_mad_u64_u32 v[24:25], s[0:1], v14, s26, 0
	v_add3_u32 v25, v25, v21, v20
	v_lshlrev_b64 v[20:21], 2, v[18:19]
	v_mov_b32_e32 v18, s29
	v_add_co_u32_e32 v22, vcc, s28, v20
	v_addc_co_u32_e64 v23, s[0:1], v18, v21, vcc
	v_lshlrev_b64 v[18:19], 2, v[24:25]
	v_mov_b32_e32 v20, s29
	v_add_co_u32_e64 v24, s[0:1], s28, v18
	v_addc_co_u32_e64 v25, s[2:3], v20, v19, s[0:1]
	global_load_dword v18, v[22:23], off
	global_load_dword v20, v[24:25], off
	s_mov_b64 s[14:15], -1
	s_waitcnt vmcnt(0)
	v_cmp_eq_u32_e64 s[2:3], v18, v20
	s_and_saveexec_b64 s[12:13], s[2:3]
	s_cbranch_execz .LBB1589_111
; %bb.105:
	v_mov_b32_e32 v18, s29
	v_addc_co_u32_e64 v19, s[0:1], v19, v18, s[0:1]
	v_add_co_u32_e64 v18, s[0:1], 4, v24
	v_mov_b32_e32 v20, s29
	v_addc_co_u32_e64 v19, s[0:1], 0, v19, s[0:1]
	v_addc_co_u32_e32 v21, vcc, v21, v20, vcc
	v_add_co_u32_e32 v20, vcc, 4, v22
	s_add_u32 s0, s26, -1
	v_addc_co_u32_e32 v21, vcc, 0, v21, vcc
	s_addc_u32 s1, s27, -1
	s_mov_b64 s[2:3], 0
                                        ; implicit-def: $sgpr14_sgpr15
	s_branch .LBB1589_108
.LBB1589_106:                           ;   in Loop: Header=BB1589_108 Depth=1
	global_load_dword v22, v[20:21], off
	global_load_dword v23, v[18:19], off
	v_add_co_u32_e32 v18, vcc, 4, v18
	v_addc_co_u32_e32 v19, vcc, 0, v19, vcc
	v_add_co_u32_e32 v20, vcc, 4, v20
	v_addc_co_u32_e32 v21, vcc, 0, v21, vcc
	s_add_u32 s18, s18, 1
	s_addc_u32 s19, s19, 0
	s_andn2_b64 s[14:15], s[14:15], exec
	s_waitcnt vmcnt(0)
	v_cmp_ne_u32_e32 vcc, v22, v23
	s_and_b64 s[36:37], vcc, exec
	s_or_b64 s[14:15], s[14:15], s[36:37]
.LBB1589_107:                           ;   in Loop: Header=BB1589_108 Depth=1
	s_and_b64 s[36:37], exec, s[14:15]
	s_or_b64 s[2:3], s[36:37], s[2:3]
	v_pk_mov_b32 v[22:23], s[18:19], s[18:19] op_sel:[0,1]
	s_andn2_b64 exec, exec, s[2:3]
	s_cbranch_execz .LBB1589_110
.LBB1589_108:                           ; =>This Inner Loop Header: Depth=1
	s_or_b64 s[14:15], s[14:15], exec
	s_cmp_eq_u64 s[0:1], s[18:19]
	s_cbranch_scc0 .LBB1589_106
; %bb.109:                              ;   in Loop: Header=BB1589_108 Depth=1
                                        ; implicit-def: $vgpr18_vgpr19
                                        ; implicit-def: $vgpr20_vgpr21
	s_mov_b64 s[18:19], s[26:27]
	s_branch .LBB1589_107
.LBB1589_110:
	s_or_b64 exec, exec, s[2:3]
	v_cmp_gt_i64_e32 vcc, s[26:27], v[22:23]
	s_orn2_b64 s[14:15], vcc, exec
.LBB1589_111:
	s_or_b64 exec, exec, s[12:13]
.LBB1589_112:
	s_and_b64 s[18:19], s[14:15], exec
.LBB1589_113:
	s_or_b64 exec, exec, s[8:9]
	v_or_b32_e32 v28, v26, v27
.LBB1589_114:
	s_waitcnt lgkmcnt(0)
	s_mov_b64 s[12:13], -1
	s_cbranch_execnz .LBB1589_203
.LBB1589_115:
	v_lshlrev_b32_e32 v29, 3, v0
	s_mov_b64 s[18:19], 0
	v_cmp_gt_i64_e64 s[14:15], s[26:27], 0
	s_and_b64 vcc, exec, s[34:35]
	ds_write_b64 v29, v[12:13]
	s_cbranch_vccz .LBB1589_123
; %bb.116:
	v_mul_lo_u32 v20, v11, s26
	v_mul_lo_u32 v21, v10, s27
	v_mad_u64_u32 v[18:19], s[0:1], v10, s26, 0
	v_add3_u32 v19, v19, v21, v20
	v_cndmask_b32_e64 v20, 0, 1, s[14:15]
	v_cmp_ne_u32_e64 s[0:1], 1, v20
	s_andn2_b64 vcc, exec, s[14:15]
	v_lshlrev_b64 v[18:19], 2, v[18:19]
	s_cbranch_vccnz .LBB1589_126
; %bb.117:
	v_mul_lo_u32 v22, v13, s26
	v_mul_lo_u32 v23, v12, s27
	v_mad_u64_u32 v[20:21], s[2:3], v12, s26, 0
	v_add3_u32 v21, v21, v23, v22
	v_mov_b32_e32 v23, s29
	v_add_co_u32_e32 v22, vcc, s28, v18
	v_addc_co_u32_e64 v23, s[2:3], v23, v19, vcc
	v_lshlrev_b64 v[20:21], 2, v[20:21]
	v_mov_b32_e32 v25, s29
	v_add_co_u32_e64 v24, s[2:3], s28, v20
	v_addc_co_u32_e64 v25, s[8:9], v25, v21, s[2:3]
	global_load_dword v20, v[22:23], off
	global_load_dword v26, v[24:25], off
	s_mov_b64 s[18:19], -1
	s_waitcnt vmcnt(0)
	v_cmp_eq_u32_e64 s[8:9], v20, v26
	s_and_saveexec_b64 s[36:37], s[8:9]
	s_cbranch_execz .LBB1589_125
; %bb.118:
	v_mov_b32_e32 v20, s29
	v_addc_co_u32_e64 v21, s[2:3], v21, v20, s[2:3]
	v_add_co_u32_e64 v20, s[2:3], 4, v24
	v_mov_b32_e32 v23, s29
	v_addc_co_u32_e64 v21, s[2:3], 0, v21, s[2:3]
	v_addc_co_u32_e32 v23, vcc, v19, v23, vcc
	v_add_co_u32_e32 v22, vcc, 4, v22
	s_add_u32 s2, s26, -1
	v_addc_co_u32_e32 v23, vcc, 0, v23, vcc
	s_addc_u32 s3, s27, -1
	s_mov_b64 s[8:9], 0
	s_mov_b64 s[38:39], 0
                                        ; implicit-def: $sgpr18_sgpr19
	s_branch .LBB1589_121
.LBB1589_119:                           ;   in Loop: Header=BB1589_121 Depth=1
	global_load_dword v24, v[22:23], off
	global_load_dword v25, v[20:21], off
	v_add_co_u32_e32 v20, vcc, 4, v20
	v_addc_co_u32_e32 v21, vcc, 0, v21, vcc
	v_add_co_u32_e32 v22, vcc, 4, v22
	v_addc_co_u32_e32 v23, vcc, 0, v23, vcc
	s_add_u32 s38, s38, 1
	s_addc_u32 s39, s39, 0
	s_andn2_b64 s[18:19], s[18:19], exec
	s_waitcnt vmcnt(0)
	v_cmp_ne_u32_e32 vcc, v24, v25
	s_and_b64 s[40:41], vcc, exec
	s_or_b64 s[18:19], s[18:19], s[40:41]
.LBB1589_120:                           ;   in Loop: Header=BB1589_121 Depth=1
	s_and_b64 s[40:41], exec, s[18:19]
	s_or_b64 s[8:9], s[40:41], s[8:9]
	v_pk_mov_b32 v[24:25], s[38:39], s[38:39] op_sel:[0,1]
	s_andn2_b64 exec, exec, s[8:9]
	s_cbranch_execz .LBB1589_124
.LBB1589_121:                           ; =>This Inner Loop Header: Depth=1
	s_or_b64 s[18:19], s[18:19], exec
	s_cmp_eq_u64 s[2:3], s[38:39]
	s_cbranch_scc0 .LBB1589_119
; %bb.122:                              ;   in Loop: Header=BB1589_121 Depth=1
                                        ; implicit-def: $vgpr20_vgpr21
                                        ; implicit-def: $vgpr22_vgpr23
	s_mov_b64 s[38:39], s[26:27]
	s_branch .LBB1589_120
.LBB1589_123:
                                        ; implicit-def: $sgpr18_sgpr19
                                        ; implicit-def: $vgpr28
	s_cbranch_execnz .LBB1589_156
	s_branch .LBB1589_203
.LBB1589_124:
	s_or_b64 exec, exec, s[8:9]
	v_cmp_gt_i64_e32 vcc, s[26:27], v[24:25]
	s_orn2_b64 s[18:19], vcc, exec
.LBB1589_125:
	s_or_b64 exec, exec, s[36:37]
.LBB1589_126:
	v_mul_lo_u32 v22, v17, s26
	v_mul_lo_u32 v23, v16, s27
	v_mad_u64_u32 v[20:21], s[2:3], v16, s26, 0
	v_add3_u32 v21, v21, v23, v22
	s_mov_b64 s[36:37], 0
	s_and_b64 vcc, exec, s[0:1]
	v_lshlrev_b64 v[20:21], 2, v[20:21]
	s_mov_b64 s[38:39], 0
	s_cbranch_vccnz .LBB1589_135
; %bb.127:
	v_mov_b32_e32 v23, s29
	v_add_co_u32_e32 v22, vcc, s28, v20
	v_addc_co_u32_e64 v23, s[2:3], v23, v21, vcc
	v_mov_b32_e32 v25, s29
	v_add_co_u32_e64 v24, s[2:3], s28, v18
	v_addc_co_u32_e64 v25, s[8:9], v25, v19, s[2:3]
	global_load_dword v18, v[22:23], off
	global_load_dword v26, v[24:25], off
	s_mov_b64 s[38:39], -1
	s_waitcnt vmcnt(0)
	v_cmp_eq_u32_e64 s[8:9], v18, v26
	s_and_saveexec_b64 s[40:41], s[8:9]
	s_cbranch_execz .LBB1589_134
; %bb.128:
	v_mov_b32_e32 v18, s29
	v_addc_co_u32_e64 v19, s[2:3], v19, v18, s[2:3]
	v_add_co_u32_e64 v18, s[2:3], 4, v24
	v_mov_b32_e32 v23, s29
	v_addc_co_u32_e64 v19, s[2:3], 0, v19, s[2:3]
	v_addc_co_u32_e32 v23, vcc, v21, v23, vcc
	v_add_co_u32_e32 v22, vcc, 4, v22
	s_add_u32 s2, s26, -1
	v_addc_co_u32_e32 v23, vcc, 0, v23, vcc
	s_addc_u32 s3, s27, -1
	s_mov_b64 s[8:9], 0
	s_mov_b64 s[42:43], 0
                                        ; implicit-def: $sgpr38_sgpr39
	s_branch .LBB1589_131
.LBB1589_129:                           ;   in Loop: Header=BB1589_131 Depth=1
	global_load_dword v24, v[22:23], off
	global_load_dword v25, v[18:19], off
	v_add_co_u32_e32 v18, vcc, 4, v18
	v_addc_co_u32_e32 v19, vcc, 0, v19, vcc
	v_add_co_u32_e32 v22, vcc, 4, v22
	v_addc_co_u32_e32 v23, vcc, 0, v23, vcc
	s_add_u32 s42, s42, 1
	s_addc_u32 s43, s43, 0
	s_andn2_b64 s[38:39], s[38:39], exec
	s_waitcnt vmcnt(0)
	v_cmp_ne_u32_e32 vcc, v24, v25
	s_and_b64 s[44:45], vcc, exec
	s_or_b64 s[38:39], s[38:39], s[44:45]
.LBB1589_130:                           ;   in Loop: Header=BB1589_131 Depth=1
	s_and_b64 s[44:45], exec, s[38:39]
	s_or_b64 s[8:9], s[44:45], s[8:9]
	v_pk_mov_b32 v[24:25], s[42:43], s[42:43] op_sel:[0,1]
	s_andn2_b64 exec, exec, s[8:9]
	s_cbranch_execz .LBB1589_133
.LBB1589_131:                           ; =>This Inner Loop Header: Depth=1
	s_or_b64 s[38:39], s[38:39], exec
	s_cmp_eq_u64 s[2:3], s[42:43]
	s_cbranch_scc0 .LBB1589_129
; %bb.132:                              ;   in Loop: Header=BB1589_131 Depth=1
                                        ; implicit-def: $vgpr18_vgpr19
                                        ; implicit-def: $vgpr22_vgpr23
	s_mov_b64 s[42:43], s[26:27]
	s_branch .LBB1589_130
.LBB1589_133:
	s_or_b64 exec, exec, s[8:9]
	v_cmp_gt_i64_e32 vcc, s[26:27], v[24:25]
	s_orn2_b64 s[38:39], vcc, exec
.LBB1589_134:
	s_or_b64 exec, exec, s[40:41]
.LBB1589_135:
	v_mul_lo_u32 v22, v15, s26
	v_mul_lo_u32 v23, v14, s27
	v_mad_u64_u32 v[18:19], s[2:3], v14, s26, 0
	s_and_b64 vcc, exec, s[0:1]
	v_add3_u32 v19, v19, v23, v22
	s_cbranch_vccnz .LBB1589_144
; %bb.136:
	v_lshlrev_b64 v[22:23], 2, v[18:19]
	v_mov_b32_e32 v25, s29
	v_add_co_u32_e32 v24, vcc, s28, v22
	v_addc_co_u32_e64 v25, s[2:3], v25, v23, vcc
	v_mov_b32_e32 v22, s29
	v_add_co_u32_e64 v26, s[2:3], s28, v20
	v_addc_co_u32_e64 v27, s[8:9], v22, v21, s[2:3]
	global_load_dword v20, v[24:25], off
	global_load_dword v22, v[26:27], off
	s_mov_b64 s[36:37], -1
	s_waitcnt vmcnt(0)
	v_cmp_eq_u32_e64 s[8:9], v20, v22
	s_and_saveexec_b64 s[40:41], s[8:9]
	s_cbranch_execz .LBB1589_143
; %bb.137:
	v_mov_b32_e32 v20, s29
	v_addc_co_u32_e64 v21, s[2:3], v21, v20, s[2:3]
	v_add_co_u32_e64 v20, s[2:3], 4, v26
	v_mov_b32_e32 v22, s29
	v_addc_co_u32_e64 v21, s[2:3], 0, v21, s[2:3]
	v_addc_co_u32_e32 v23, vcc, v23, v22, vcc
	v_add_co_u32_e32 v22, vcc, 4, v24
	s_add_u32 s2, s26, -1
	v_addc_co_u32_e32 v23, vcc, 0, v23, vcc
	s_addc_u32 s3, s27, -1
	s_mov_b64 s[8:9], 0
	s_mov_b64 s[42:43], 0
                                        ; implicit-def: $sgpr36_sgpr37
	s_branch .LBB1589_140
.LBB1589_138:                           ;   in Loop: Header=BB1589_140 Depth=1
	global_load_dword v24, v[22:23], off
	global_load_dword v25, v[20:21], off
	v_add_co_u32_e32 v20, vcc, 4, v20
	v_addc_co_u32_e32 v21, vcc, 0, v21, vcc
	v_add_co_u32_e32 v22, vcc, 4, v22
	v_addc_co_u32_e32 v23, vcc, 0, v23, vcc
	s_add_u32 s42, s42, 1
	s_addc_u32 s43, s43, 0
	s_andn2_b64 s[36:37], s[36:37], exec
	s_waitcnt vmcnt(0)
	v_cmp_ne_u32_e32 vcc, v24, v25
	s_and_b64 s[44:45], vcc, exec
	s_or_b64 s[36:37], s[36:37], s[44:45]
.LBB1589_139:                           ;   in Loop: Header=BB1589_140 Depth=1
	s_and_b64 s[44:45], exec, s[36:37]
	s_or_b64 s[8:9], s[44:45], s[8:9]
	v_pk_mov_b32 v[24:25], s[42:43], s[42:43] op_sel:[0,1]
	s_andn2_b64 exec, exec, s[8:9]
	s_cbranch_execz .LBB1589_142
.LBB1589_140:                           ; =>This Inner Loop Header: Depth=1
	s_or_b64 s[36:37], s[36:37], exec
	s_cmp_eq_u64 s[2:3], s[42:43]
	s_cbranch_scc0 .LBB1589_138
; %bb.141:                              ;   in Loop: Header=BB1589_140 Depth=1
                                        ; implicit-def: $vgpr20_vgpr21
                                        ; implicit-def: $vgpr22_vgpr23
	s_mov_b64 s[42:43], s[26:27]
	s_branch .LBB1589_139
.LBB1589_142:
	s_or_b64 exec, exec, s[8:9]
	v_cmp_gt_i64_e32 vcc, s[26:27], v[24:25]
	s_orn2_b64 s[36:37], vcc, exec
.LBB1589_143:
	s_or_b64 exec, exec, s[40:41]
.LBB1589_144:
	v_cndmask_b32_e64 v21, 0, 1, s[18:19]
	v_cndmask_b32_e64 v22, 0, 1, s[36:37]
	;; [unrolled: 1-line block ×3, first 2 shown]
	v_lshlrev_b16_e32 v22, 8, v22
	v_lshlrev_b16_e32 v21, 8, v21
	v_or_b32_e32 v22, 1, v22
	v_or_b32_sdwa v20, v20, v21 dst_sel:WORD_1 dst_unused:UNUSED_PAD src0_sel:DWORD src1_sel:DWORD
	v_or_b32_sdwa v28, v22, v20 dst_sel:DWORD dst_unused:UNUSED_PAD src0_sel:WORD_0 src1_sel:DWORD
	v_cmp_ne_u32_e32 vcc, 0, v0
	s_waitcnt lgkmcnt(0)
	s_barrier
	s_waitcnt lgkmcnt(0)
                                        ; implicit-def: $sgpr18_sgpr19
	s_and_saveexec_b64 s[2:3], vcc
	s_xor_b64 s[8:9], exec, s[2:3]
	s_cbranch_execz .LBB1589_155
; %bb.145:
	s_and_b64 vcc, exec, s[0:1]
	s_mov_b64 s[36:37], 0
	s_cbranch_vccnz .LBB1589_154
; %bb.146:
	v_add_u32_e32 v20, -8, v29
	ds_read_b64 v[20:21], v20
	v_mov_b32_e32 v23, s29
	v_lshlrev_b64 v[18:19], 2, v[18:19]
	s_mov_b64 s[36:37], -1
	s_waitcnt lgkmcnt(0)
	v_mul_lo_u32 v22, v21, s26
	v_mul_lo_u32 v24, v20, s27
	v_mad_u64_u32 v[20:21], s[0:1], v20, s26, 0
	v_add3_u32 v21, v21, v24, v22
	v_lshlrev_b64 v[20:21], 2, v[20:21]
	v_add_co_u32_e32 v22, vcc, s28, v20
	v_addc_co_u32_e64 v23, s[0:1], v23, v21, vcc
	v_mov_b32_e32 v20, s29
	v_add_co_u32_e64 v24, s[0:1], s28, v18
	v_addc_co_u32_e64 v25, s[2:3], v20, v19, s[0:1]
	global_load_dword v18, v[22:23], off
	global_load_dword v20, v[24:25], off
	s_waitcnt vmcnt(0)
	v_cmp_eq_u32_e64 s[2:3], v18, v20
	s_and_saveexec_b64 s[18:19], s[2:3]
	s_cbranch_execz .LBB1589_153
; %bb.147:
	v_mov_b32_e32 v18, s29
	v_addc_co_u32_e64 v19, s[0:1], v19, v18, s[0:1]
	v_add_co_u32_e64 v18, s[0:1], 4, v24
	v_mov_b32_e32 v20, s29
	v_addc_co_u32_e64 v19, s[0:1], 0, v19, s[0:1]
	v_addc_co_u32_e32 v21, vcc, v21, v20, vcc
	v_add_co_u32_e32 v20, vcc, 4, v22
	s_add_u32 s0, s26, -1
	v_addc_co_u32_e32 v21, vcc, 0, v21, vcc
	s_addc_u32 s1, s27, -1
	s_mov_b64 s[2:3], 0
	s_mov_b64 s[38:39], 0
                                        ; implicit-def: $sgpr36_sgpr37
	s_branch .LBB1589_150
.LBB1589_148:                           ;   in Loop: Header=BB1589_150 Depth=1
	global_load_dword v22, v[20:21], off
	global_load_dword v23, v[18:19], off
	v_add_co_u32_e32 v18, vcc, 4, v18
	v_addc_co_u32_e32 v19, vcc, 0, v19, vcc
	v_add_co_u32_e32 v20, vcc, 4, v20
	v_addc_co_u32_e32 v21, vcc, 0, v21, vcc
	s_add_u32 s38, s38, 1
	s_addc_u32 s39, s39, 0
	s_andn2_b64 s[36:37], s[36:37], exec
	s_waitcnt vmcnt(0)
	v_cmp_ne_u32_e32 vcc, v22, v23
	s_and_b64 s[40:41], vcc, exec
	s_or_b64 s[36:37], s[36:37], s[40:41]
.LBB1589_149:                           ;   in Loop: Header=BB1589_150 Depth=1
	s_and_b64 s[40:41], exec, s[36:37]
	s_or_b64 s[2:3], s[40:41], s[2:3]
	v_pk_mov_b32 v[22:23], s[38:39], s[38:39] op_sel:[0,1]
	s_andn2_b64 exec, exec, s[2:3]
	s_cbranch_execz .LBB1589_152
.LBB1589_150:                           ; =>This Inner Loop Header: Depth=1
	s_or_b64 s[36:37], s[36:37], exec
	s_cmp_eq_u64 s[0:1], s[38:39]
	s_cbranch_scc0 .LBB1589_148
; %bb.151:                              ;   in Loop: Header=BB1589_150 Depth=1
                                        ; implicit-def: $vgpr18_vgpr19
                                        ; implicit-def: $vgpr20_vgpr21
	s_mov_b64 s[38:39], s[26:27]
	s_branch .LBB1589_149
.LBB1589_152:
	s_or_b64 exec, exec, s[2:3]
	v_cmp_gt_i64_e32 vcc, s[26:27], v[22:23]
	s_orn2_b64 s[36:37], vcc, exec
.LBB1589_153:
	s_or_b64 exec, exec, s[18:19]
.LBB1589_154:
	s_and_b64 s[18:19], s[36:37], exec
	s_or_b64 s[12:13], s[12:13], exec
.LBB1589_155:
	s_or_b64 exec, exec, s[8:9]
	s_branch .LBB1589_203
.LBB1589_156:
	v_or_b32_e32 v18, 3, v1
	v_cmp_gt_u32_e32 vcc, s7, v18
	s_mov_b64 s[18:19], 0
	s_mov_b64 s[8:9], 0
	s_and_saveexec_b64 s[36:37], vcc
	s_cbranch_execz .LBB1589_167
; %bb.157:
	s_andn2_b64 vcc, exec, s[14:15]
	s_mov_b64 s[38:39], 0
	s_cbranch_vccnz .LBB1589_166
; %bb.158:
	v_mul_lo_u32 v20, v11, s26
	v_mul_lo_u32 v21, v10, s27
	v_mad_u64_u32 v[18:19], s[0:1], v10, s26, 0
	v_add3_u32 v19, v19, v21, v20
	v_mul_lo_u32 v20, v13, s26
	v_mul_lo_u32 v21, v12, s27
	v_mad_u64_u32 v[24:25], s[0:1], v12, s26, 0
	v_add3_u32 v25, v25, v21, v20
	v_lshlrev_b64 v[20:21], 2, v[18:19]
	v_mov_b32_e32 v18, s29
	v_add_co_u32_e32 v22, vcc, s28, v20
	v_addc_co_u32_e64 v23, s[0:1], v18, v21, vcc
	v_lshlrev_b64 v[18:19], 2, v[24:25]
	v_mov_b32_e32 v20, s29
	v_add_co_u32_e64 v24, s[0:1], s28, v18
	v_addc_co_u32_e64 v25, s[2:3], v20, v19, s[0:1]
	global_load_dword v18, v[22:23], off
	global_load_dword v20, v[24:25], off
	s_mov_b64 s[38:39], -1
	s_waitcnt vmcnt(0)
	v_cmp_eq_u32_e64 s[2:3], v18, v20
	s_and_saveexec_b64 s[8:9], s[2:3]
	s_cbranch_execz .LBB1589_165
; %bb.159:
	v_mov_b32_e32 v18, s29
	v_addc_co_u32_e64 v19, s[0:1], v19, v18, s[0:1]
	v_add_co_u32_e64 v18, s[0:1], 4, v24
	v_mov_b32_e32 v20, s29
	v_addc_co_u32_e64 v19, s[0:1], 0, v19, s[0:1]
	v_addc_co_u32_e32 v21, vcc, v21, v20, vcc
	v_add_co_u32_e32 v20, vcc, 4, v22
	s_add_u32 s0, s26, -1
	v_addc_co_u32_e32 v21, vcc, 0, v21, vcc
	s_addc_u32 s1, s27, -1
	s_mov_b64 s[2:3], 0
	s_mov_b64 s[40:41], 0
                                        ; implicit-def: $sgpr38_sgpr39
	s_branch .LBB1589_162
.LBB1589_160:                           ;   in Loop: Header=BB1589_162 Depth=1
	global_load_dword v22, v[20:21], off
	global_load_dword v23, v[18:19], off
	v_add_co_u32_e32 v18, vcc, 4, v18
	v_addc_co_u32_e32 v19, vcc, 0, v19, vcc
	v_add_co_u32_e32 v20, vcc, 4, v20
	v_addc_co_u32_e32 v21, vcc, 0, v21, vcc
	s_add_u32 s40, s40, 1
	s_addc_u32 s41, s41, 0
	s_andn2_b64 s[38:39], s[38:39], exec
	s_waitcnt vmcnt(0)
	v_cmp_ne_u32_e32 vcc, v22, v23
	s_and_b64 s[42:43], vcc, exec
	s_or_b64 s[38:39], s[38:39], s[42:43]
.LBB1589_161:                           ;   in Loop: Header=BB1589_162 Depth=1
	s_and_b64 s[42:43], exec, s[38:39]
	s_or_b64 s[2:3], s[42:43], s[2:3]
	v_pk_mov_b32 v[22:23], s[40:41], s[40:41] op_sel:[0,1]
	s_andn2_b64 exec, exec, s[2:3]
	s_cbranch_execz .LBB1589_164
.LBB1589_162:                           ; =>This Inner Loop Header: Depth=1
	s_or_b64 s[38:39], s[38:39], exec
	s_cmp_eq_u64 s[0:1], s[40:41]
	s_cbranch_scc0 .LBB1589_160
; %bb.163:                              ;   in Loop: Header=BB1589_162 Depth=1
                                        ; implicit-def: $vgpr18_vgpr19
                                        ; implicit-def: $vgpr20_vgpr21
	s_mov_b64 s[40:41], s[26:27]
	s_branch .LBB1589_161
.LBB1589_164:
	s_or_b64 exec, exec, s[2:3]
	v_cmp_gt_i64_e32 vcc, s[26:27], v[22:23]
	s_orn2_b64 s[38:39], vcc, exec
.LBB1589_165:
	s_or_b64 exec, exec, s[8:9]
.LBB1589_166:
	s_and_b64 s[8:9], s[38:39], exec
.LBB1589_167:
	s_or_b64 exec, exec, s[36:37]
	v_or_b32_e32 v18, 2, v1
	v_cmp_gt_u32_e32 vcc, s7, v18
	s_and_saveexec_b64 s[36:37], vcc
	s_cbranch_execz .LBB1589_178
; %bb.168:
	s_andn2_b64 vcc, exec, s[14:15]
	s_mov_b64 s[38:39], 0
	s_cbranch_vccnz .LBB1589_177
; %bb.169:
	v_mul_lo_u32 v20, v17, s26
	v_mul_lo_u32 v21, v16, s27
	v_mad_u64_u32 v[18:19], s[0:1], v16, s26, 0
	v_add3_u32 v19, v19, v21, v20
	v_mul_lo_u32 v20, v11, s26
	v_mul_lo_u32 v21, v10, s27
	v_mad_u64_u32 v[24:25], s[0:1], v10, s26, 0
	v_add3_u32 v25, v25, v21, v20
	v_lshlrev_b64 v[20:21], 2, v[18:19]
	v_mov_b32_e32 v18, s29
	v_add_co_u32_e32 v22, vcc, s28, v20
	v_addc_co_u32_e64 v23, s[0:1], v18, v21, vcc
	v_lshlrev_b64 v[18:19], 2, v[24:25]
	v_mov_b32_e32 v20, s29
	v_add_co_u32_e64 v24, s[0:1], s28, v18
	v_addc_co_u32_e64 v25, s[2:3], v20, v19, s[0:1]
	global_load_dword v18, v[22:23], off
	global_load_dword v20, v[24:25], off
	s_mov_b64 s[38:39], -1
	s_waitcnt vmcnt(0)
	v_cmp_eq_u32_e64 s[2:3], v18, v20
	s_and_saveexec_b64 s[18:19], s[2:3]
	s_cbranch_execz .LBB1589_176
; %bb.170:
	v_mov_b32_e32 v18, s29
	v_addc_co_u32_e64 v19, s[0:1], v19, v18, s[0:1]
	v_add_co_u32_e64 v18, s[0:1], 4, v24
	v_mov_b32_e32 v20, s29
	v_addc_co_u32_e64 v19, s[0:1], 0, v19, s[0:1]
	v_addc_co_u32_e32 v21, vcc, v21, v20, vcc
	v_add_co_u32_e32 v20, vcc, 4, v22
	s_add_u32 s0, s26, -1
	v_addc_co_u32_e32 v21, vcc, 0, v21, vcc
	s_addc_u32 s1, s27, -1
	s_mov_b64 s[2:3], 0
	s_mov_b64 s[40:41], 0
                                        ; implicit-def: $sgpr38_sgpr39
	s_branch .LBB1589_173
.LBB1589_171:                           ;   in Loop: Header=BB1589_173 Depth=1
	global_load_dword v22, v[20:21], off
	global_load_dword v23, v[18:19], off
	v_add_co_u32_e32 v18, vcc, 4, v18
	v_addc_co_u32_e32 v19, vcc, 0, v19, vcc
	v_add_co_u32_e32 v20, vcc, 4, v20
	v_addc_co_u32_e32 v21, vcc, 0, v21, vcc
	s_add_u32 s40, s40, 1
	s_addc_u32 s41, s41, 0
	s_andn2_b64 s[38:39], s[38:39], exec
	s_waitcnt vmcnt(0)
	v_cmp_ne_u32_e32 vcc, v22, v23
	s_and_b64 s[42:43], vcc, exec
	s_or_b64 s[38:39], s[38:39], s[42:43]
.LBB1589_172:                           ;   in Loop: Header=BB1589_173 Depth=1
	s_and_b64 s[42:43], exec, s[38:39]
	s_or_b64 s[2:3], s[42:43], s[2:3]
	v_pk_mov_b32 v[22:23], s[40:41], s[40:41] op_sel:[0,1]
	s_andn2_b64 exec, exec, s[2:3]
	s_cbranch_execz .LBB1589_175
.LBB1589_173:                           ; =>This Inner Loop Header: Depth=1
	s_or_b64 s[38:39], s[38:39], exec
	s_cmp_eq_u64 s[0:1], s[40:41]
	s_cbranch_scc0 .LBB1589_171
; %bb.174:                              ;   in Loop: Header=BB1589_173 Depth=1
                                        ; implicit-def: $vgpr18_vgpr19
                                        ; implicit-def: $vgpr20_vgpr21
	s_mov_b64 s[40:41], s[26:27]
	s_branch .LBB1589_172
.LBB1589_175:
	s_or_b64 exec, exec, s[2:3]
	v_cmp_gt_i64_e32 vcc, s[26:27], v[22:23]
	s_orn2_b64 s[38:39], vcc, exec
.LBB1589_176:
	s_or_b64 exec, exec, s[18:19]
.LBB1589_177:
	s_and_b64 s[18:19], s[38:39], exec
.LBB1589_178:
	s_or_b64 exec, exec, s[36:37]
	v_or_b32_e32 v18, 1, v1
	v_cmp_gt_u32_e32 vcc, s7, v18
	s_mov_b64 s[0:1], 0
	s_and_saveexec_b64 s[36:37], vcc
	s_cbranch_execz .LBB1589_189
; %bb.179:
	s_andn2_b64 vcc, exec, s[14:15]
	s_mov_b64 s[40:41], 0
	s_cbranch_vccnz .LBB1589_188
; %bb.180:
	v_mul_lo_u32 v20, v15, s26
	v_mul_lo_u32 v21, v14, s27
	v_mad_u64_u32 v[18:19], s[0:1], v14, s26, 0
	v_add3_u32 v19, v19, v21, v20
	v_mul_lo_u32 v20, v17, s26
	v_mul_lo_u32 v21, v16, s27
	v_mad_u64_u32 v[24:25], s[0:1], v16, s26, 0
	v_add3_u32 v25, v25, v21, v20
	v_lshlrev_b64 v[20:21], 2, v[18:19]
	v_mov_b32_e32 v18, s29
	v_add_co_u32_e32 v22, vcc, s28, v20
	v_addc_co_u32_e64 v23, s[0:1], v18, v21, vcc
	v_lshlrev_b64 v[18:19], 2, v[24:25]
	v_mov_b32_e32 v20, s29
	v_add_co_u32_e64 v24, s[0:1], s28, v18
	v_addc_co_u32_e64 v25, s[2:3], v20, v19, s[0:1]
	global_load_dword v18, v[22:23], off
	global_load_dword v20, v[24:25], off
	s_mov_b64 s[40:41], -1
	s_waitcnt vmcnt(0)
	v_cmp_eq_u32_e64 s[2:3], v18, v20
	s_and_saveexec_b64 s[38:39], s[2:3]
	s_cbranch_execz .LBB1589_187
; %bb.181:
	v_mov_b32_e32 v18, s29
	v_addc_co_u32_e64 v19, s[0:1], v19, v18, s[0:1]
	v_add_co_u32_e64 v18, s[0:1], 4, v24
	v_mov_b32_e32 v20, s29
	v_addc_co_u32_e64 v19, s[0:1], 0, v19, s[0:1]
	v_addc_co_u32_e32 v21, vcc, v21, v20, vcc
	v_add_co_u32_e32 v20, vcc, 4, v22
	s_add_u32 s0, s26, -1
	v_addc_co_u32_e32 v21, vcc, 0, v21, vcc
	s_addc_u32 s1, s27, -1
	s_mov_b64 s[2:3], 0
	s_mov_b64 s[42:43], 0
                                        ; implicit-def: $sgpr40_sgpr41
	s_branch .LBB1589_184
.LBB1589_182:                           ;   in Loop: Header=BB1589_184 Depth=1
	global_load_dword v22, v[20:21], off
	global_load_dword v23, v[18:19], off
	v_add_co_u32_e32 v18, vcc, 4, v18
	v_addc_co_u32_e32 v19, vcc, 0, v19, vcc
	v_add_co_u32_e32 v20, vcc, 4, v20
	v_addc_co_u32_e32 v21, vcc, 0, v21, vcc
	s_add_u32 s42, s42, 1
	s_addc_u32 s43, s43, 0
	s_andn2_b64 s[40:41], s[40:41], exec
	s_waitcnt vmcnt(0)
	v_cmp_ne_u32_e32 vcc, v22, v23
	s_and_b64 s[44:45], vcc, exec
	s_or_b64 s[40:41], s[40:41], s[44:45]
.LBB1589_183:                           ;   in Loop: Header=BB1589_184 Depth=1
	s_and_b64 s[44:45], exec, s[40:41]
	s_or_b64 s[2:3], s[44:45], s[2:3]
	v_pk_mov_b32 v[22:23], s[42:43], s[42:43] op_sel:[0,1]
	s_andn2_b64 exec, exec, s[2:3]
	s_cbranch_execz .LBB1589_186
.LBB1589_184:                           ; =>This Inner Loop Header: Depth=1
	s_or_b64 s[40:41], s[40:41], exec
	s_cmp_eq_u64 s[0:1], s[42:43]
	s_cbranch_scc0 .LBB1589_182
; %bb.185:                              ;   in Loop: Header=BB1589_184 Depth=1
                                        ; implicit-def: $vgpr18_vgpr19
                                        ; implicit-def: $vgpr20_vgpr21
	s_mov_b64 s[42:43], s[26:27]
	s_branch .LBB1589_183
.LBB1589_186:
	s_or_b64 exec, exec, s[2:3]
	v_cmp_gt_i64_e32 vcc, s[26:27], v[22:23]
	s_orn2_b64 s[40:41], vcc, exec
.LBB1589_187:
	s_or_b64 exec, exec, s[38:39]
.LBB1589_188:
	s_and_b64 s[0:1], s[40:41], exec
.LBB1589_189:
	s_or_b64 exec, exec, s[36:37]
	v_cndmask_b32_e64 v19, 0, 1, s[8:9]
	v_cndmask_b32_e64 v20, 0, 1, s[0:1]
	v_cndmask_b32_e64 v18, 0, 1, s[18:19]
	v_lshlrev_b16_e32 v20, 8, v20
	v_lshlrev_b16_e32 v19, 8, v19
	v_or_b32_e32 v20, 1, v20
	v_or_b32_sdwa v18, v18, v19 dst_sel:WORD_1 dst_unused:UNUSED_PAD src0_sel:DWORD src1_sel:DWORD
	v_or_b32_sdwa v28, v20, v18 dst_sel:DWORD dst_unused:UNUSED_PAD src0_sel:WORD_0 src1_sel:DWORD
	v_cmp_ne_u32_e32 vcc, 0, v0
	s_waitcnt lgkmcnt(0)
	s_barrier
	s_waitcnt lgkmcnt(0)
                                        ; implicit-def: $sgpr18_sgpr19
	s_and_saveexec_b64 s[8:9], vcc
	s_cbranch_execz .LBB1589_202
; %bb.190:
	v_cmp_gt_u32_e32 vcc, s7, v1
	s_mov_b64 s[0:1], 0
	s_and_saveexec_b64 s[18:19], vcc
	s_cbranch_execz .LBB1589_201
; %bb.191:
	s_andn2_b64 vcc, exec, s[14:15]
	s_mov_b64 s[36:37], 0
	s_cbranch_vccnz .LBB1589_200
; %bb.192:
	v_add_u32_e32 v18, -8, v29
	ds_read_b64 v[18:19], v18
	v_mul_lo_u32 v20, v15, s26
	v_mad_u64_u32 v[24:25], s[0:1], v14, s26, 0
	s_mov_b64 s[36:37], -1
	s_waitcnt lgkmcnt(0)
	v_mul_lo_u32 v21, v19, s26
	v_mul_lo_u32 v22, v18, s27
	v_mad_u64_u32 v[18:19], s[0:1], v18, s26, 0
	v_add3_u32 v19, v19, v22, v21
	v_mul_lo_u32 v21, v14, s27
	v_add3_u32 v25, v25, v21, v20
	v_lshlrev_b64 v[20:21], 2, v[18:19]
	v_mov_b32_e32 v18, s29
	v_add_co_u32_e32 v22, vcc, s28, v20
	v_addc_co_u32_e64 v23, s[0:1], v18, v21, vcc
	v_lshlrev_b64 v[18:19], 2, v[24:25]
	v_mov_b32_e32 v20, s29
	v_add_co_u32_e64 v24, s[0:1], s28, v18
	v_addc_co_u32_e64 v25, s[2:3], v20, v19, s[0:1]
	global_load_dword v18, v[22:23], off
	global_load_dword v20, v[24:25], off
	s_waitcnt vmcnt(0)
	v_cmp_eq_u32_e64 s[2:3], v18, v20
	s_and_saveexec_b64 s[14:15], s[2:3]
	s_cbranch_execz .LBB1589_199
; %bb.193:
	v_mov_b32_e32 v18, s29
	v_addc_co_u32_e64 v19, s[0:1], v19, v18, s[0:1]
	v_add_co_u32_e64 v18, s[0:1], 4, v24
	v_mov_b32_e32 v20, s29
	v_addc_co_u32_e64 v19, s[0:1], 0, v19, s[0:1]
	v_addc_co_u32_e32 v21, vcc, v21, v20, vcc
	v_add_co_u32_e32 v20, vcc, 4, v22
	s_add_u32 s0, s26, -1
	v_addc_co_u32_e32 v21, vcc, 0, v21, vcc
	s_addc_u32 s1, s27, -1
	s_mov_b64 s[2:3], 0
	s_mov_b64 s[36:37], 0
                                        ; implicit-def: $sgpr28_sgpr29
	s_branch .LBB1589_196
.LBB1589_194:                           ;   in Loop: Header=BB1589_196 Depth=1
	global_load_dword v22, v[20:21], off
	global_load_dword v23, v[18:19], off
	v_add_co_u32_e32 v18, vcc, 4, v18
	v_addc_co_u32_e32 v19, vcc, 0, v19, vcc
	v_add_co_u32_e32 v20, vcc, 4, v20
	v_addc_co_u32_e32 v21, vcc, 0, v21, vcc
	s_add_u32 s36, s36, 1
	s_addc_u32 s37, s37, 0
	s_andn2_b64 s[28:29], s[28:29], exec
	s_waitcnt vmcnt(0)
	v_cmp_ne_u32_e32 vcc, v22, v23
	s_and_b64 s[38:39], vcc, exec
	s_or_b64 s[28:29], s[28:29], s[38:39]
.LBB1589_195:                           ;   in Loop: Header=BB1589_196 Depth=1
	s_and_b64 s[38:39], exec, s[28:29]
	s_or_b64 s[2:3], s[38:39], s[2:3]
	v_pk_mov_b32 v[22:23], s[36:37], s[36:37] op_sel:[0,1]
	s_andn2_b64 exec, exec, s[2:3]
	s_cbranch_execz .LBB1589_198
.LBB1589_196:                           ; =>This Inner Loop Header: Depth=1
	s_or_b64 s[28:29], s[28:29], exec
	s_cmp_eq_u64 s[0:1], s[36:37]
	s_cbranch_scc0 .LBB1589_194
; %bb.197:                              ;   in Loop: Header=BB1589_196 Depth=1
                                        ; implicit-def: $vgpr18_vgpr19
                                        ; implicit-def: $vgpr20_vgpr21
	s_mov_b64 s[36:37], s[26:27]
	s_branch .LBB1589_195
.LBB1589_198:
	s_or_b64 exec, exec, s[2:3]
	v_cmp_gt_i64_e32 vcc, s[26:27], v[22:23]
	s_orn2_b64 s[36:37], vcc, exec
.LBB1589_199:
	s_or_b64 exec, exec, s[14:15]
.LBB1589_200:
	s_and_b64 s[0:1], s[36:37], exec
.LBB1589_201:
	s_or_b64 exec, exec, s[18:19]
	s_and_b64 s[18:19], s[0:1], exec
	s_or_b64 s[12:13], s[12:13], exec
.LBB1589_202:
	s_or_b64 exec, exec, s[8:9]
.LBB1589_203:
	s_and_saveexec_b64 s[0:1], s[12:13]
; %bb.204:
	v_and_b32_e32 v18, 0xffffff00, v28
	v_cndmask_b32_e64 v19, 0, 1, s[18:19]
	v_or_b32_e32 v18, v19, v18
	v_and_b32_e32 v18, 0xffff, v18
	s_mov_b32 s2, 0xffff0000
	v_and_or_b32 v28, v28, s2, v18
; %bb.205:
	s_or_b64 exec, exec, s[0:1]
	s_andn2_b64 vcc, exec, s[10:11]
	s_cbranch_vccnz .LBB1589_207
; %bb.206:
	v_cmp_gt_u32_e32 vcc, s7, v1
	v_cndmask_b32_e32 v18, 0, v28, vcc
	v_or_b32_e32 v19, 1, v1
	v_and_b32_e32 v18, 0xff, v18
	v_cmp_gt_u32_e32 vcc, s7, v19
	v_cndmask_b32_e32 v18, v18, v28, vcc
	v_or_b32_e32 v19, 2, v1
	v_and_b32_e32 v18, 0xffff, v18
	;; [unrolled: 4-line block ×3, first 2 shown]
	v_cmp_gt_u32_e32 vcc, s7, v19
	v_cndmask_b32_e32 v28, v18, v28, vcc
.LBB1589_207:
	v_bfe_u32 v30, v28, 16, 8
	v_lshrrev_b32_e32 v29, 24, v28
	v_add_u32_sdwa v18, v28, v28 dst_sel:DWORD dst_unused:UNUSED_PAD src0_sel:BYTE_1 src1_sel:BYTE_0
	v_add3_u32 v33, v18, v30, v29
	v_mbcnt_lo_u32_b32 v18, -1, 0
	v_mbcnt_hi_u32_b32 v31, -1, v18
	v_and_b32_e32 v18, 15, v31
	v_cmp_eq_u32_e64 s[14:15], 0, v18
	v_cmp_lt_u32_e64 s[12:13], 1, v18
	v_cmp_lt_u32_e64 s[10:11], 3, v18
	;; [unrolled: 1-line block ×3, first 2 shown]
	v_and_b32_e32 v18, 16, v31
	v_cmp_eq_u32_e64 s[18:19], 0, v18
	v_or_b32_e32 v18, 63, v0
	v_cmp_lt_u32_e64 s[0:1], 31, v31
	v_lshrrev_b32_e32 v32, 6, v0
	v_cmp_eq_u32_e64 s[2:3], v18, v0
	s_and_b64 vcc, exec, s[16:17]
	s_waitcnt lgkmcnt(0)
	s_barrier
	s_cbranch_vccz .LBB1589_238
; %bb.208:
	v_mov_b32_dpp v18, v33 row_shr:1 row_mask:0xf bank_mask:0xf
	v_cndmask_b32_e64 v18, v18, 0, s[14:15]
	v_add_u32_e32 v18, v18, v33
	s_nop 1
	v_mov_b32_dpp v19, v18 row_shr:2 row_mask:0xf bank_mask:0xf
	v_cndmask_b32_e64 v19, 0, v19, s[12:13]
	v_add_u32_e32 v18, v18, v19
	s_nop 1
	v_mov_b32_dpp v19, v18 row_shr:4 row_mask:0xf bank_mask:0xf
	v_cndmask_b32_e64 v19, 0, v19, s[10:11]
	v_add_u32_e32 v18, v18, v19
	s_nop 1
	v_mov_b32_dpp v19, v18 row_shr:8 row_mask:0xf bank_mask:0xf
	v_cndmask_b32_e64 v19, 0, v19, s[8:9]
	v_add_u32_e32 v18, v18, v19
	s_nop 1
	v_mov_b32_dpp v19, v18 row_bcast:15 row_mask:0xf bank_mask:0xf
	v_cndmask_b32_e64 v19, v19, 0, s[18:19]
	v_add_u32_e32 v18, v18, v19
	s_nop 1
	v_mov_b32_dpp v19, v18 row_bcast:31 row_mask:0xf bank_mask:0xf
	v_cndmask_b32_e64 v19, 0, v19, s[0:1]
	v_add_u32_e32 v18, v18, v19
	s_and_saveexec_b64 s[16:17], s[2:3]
	s_cbranch_execz .LBB1589_210
; %bb.209:
	v_lshlrev_b32_e32 v19, 2, v32
	ds_write_b32 v19, v18
.LBB1589_210:
	s_or_b64 exec, exec, s[16:17]
	v_cmp_gt_u32_e32 vcc, 2, v0
	s_waitcnt lgkmcnt(0)
	s_barrier
	s_and_saveexec_b64 s[16:17], vcc
	s_cbranch_execz .LBB1589_212
; %bb.211:
	ds_read_b32 v19, v1
	v_bfe_i32 v20, v31, 0, 1
	s_waitcnt lgkmcnt(0)
	v_mov_b32_dpp v21, v19 row_shr:1 row_mask:0xf bank_mask:0xf
	v_and_b32_e32 v20, v20, v21
	v_add_u32_e32 v19, v20, v19
	ds_write_b32 v1, v19
.LBB1589_212:
	s_or_b64 exec, exec, s[16:17]
	v_cmp_gt_u32_e32 vcc, 64, v0
	v_cmp_lt_u32_e64 s[16:17], 63, v0
	s_waitcnt lgkmcnt(0)
	s_barrier
	s_waitcnt lgkmcnt(0)
                                        ; implicit-def: $vgpr34
	s_and_saveexec_b64 s[26:27], s[16:17]
	s_cbranch_execz .LBB1589_214
; %bb.213:
	v_lshl_add_u32 v19, v32, 2, -4
	ds_read_b32 v34, v19
	s_waitcnt lgkmcnt(0)
	v_add_u32_e32 v18, v34, v18
.LBB1589_214:
	s_or_b64 exec, exec, s[26:27]
	v_add_u32_e32 v19, -1, v31
	v_and_b32_e32 v20, 64, v31
	v_cmp_lt_i32_e64 s[16:17], v19, v20
	v_cndmask_b32_e64 v19, v19, v31, s[16:17]
	v_lshlrev_b32_e32 v19, 2, v19
	ds_bpermute_b32 v35, v19, v18
	v_cmp_eq_u32_e64 s[16:17], 0, v31
	s_and_saveexec_b64 s[26:27], vcc
	s_cbranch_execz .LBB1589_237
; %bb.215:
	v_mov_b32_e32 v27, 0
	ds_read_b32 v18, v27 offset:4
	s_and_saveexec_b64 s[28:29], s[16:17]
	s_cbranch_execz .LBB1589_217
; %bb.216:
	s_add_i32 s36, s6, 64
	s_mov_b32 s37, 0
	s_lshl_b64 s[36:37], s[36:37], 3
	s_add_u32 s36, s30, s36
	v_mov_b32_e32 v19, 1
	s_addc_u32 s37, s31, s37
	s_waitcnt lgkmcnt(0)
	global_store_dwordx2 v27, v[18:19], s[36:37]
.LBB1589_217:
	s_or_b64 exec, exec, s[28:29]
	v_xad_u32 v20, v31, -1, s6
	v_add_u32_e32 v26, 64, v20
	v_lshlrev_b64 v[22:23], 3, v[26:27]
	v_mov_b32_e32 v19, s31
	v_add_co_u32_e32 v22, vcc, s30, v22
	v_addc_co_u32_e32 v23, vcc, v19, v23, vcc
	global_load_dwordx2 v[24:25], v[22:23], off glc
	s_waitcnt vmcnt(0)
	v_cmp_eq_u16_sdwa s[36:37], v25, v27 src0_sel:BYTE_0 src1_sel:DWORD
	s_and_saveexec_b64 s[28:29], s[36:37]
	s_cbranch_execz .LBB1589_223
; %bb.218:
	s_mov_b32 s7, 1
	s_mov_b64 s[36:37], 0
	v_mov_b32_e32 v19, 0
.LBB1589_219:                           ; =>This Loop Header: Depth=1
                                        ;     Child Loop BB1589_220 Depth 2
	s_max_u32 s33, s7, 1
.LBB1589_220:                           ;   Parent Loop BB1589_219 Depth=1
                                        ; =>  This Inner Loop Header: Depth=2
	s_add_i32 s33, s33, -1
	s_cmp_eq_u32 s33, 0
	s_sleep 1
	s_cbranch_scc0 .LBB1589_220
; %bb.221:                              ;   in Loop: Header=BB1589_219 Depth=1
	global_load_dwordx2 v[24:25], v[22:23], off glc
	s_cmp_lt_u32 s7, 32
	s_cselect_b64 s[38:39], -1, 0
	s_cmp_lg_u64 s[38:39], 0
	s_addc_u32 s7, s7, 0
	s_waitcnt vmcnt(0)
	v_cmp_ne_u16_sdwa s[38:39], v25, v19 src0_sel:BYTE_0 src1_sel:DWORD
	s_or_b64 s[36:37], s[38:39], s[36:37]
	s_andn2_b64 exec, exec, s[36:37]
	s_cbranch_execnz .LBB1589_219
; %bb.222:
	s_or_b64 exec, exec, s[36:37]
.LBB1589_223:
	s_or_b64 exec, exec, s[28:29]
	v_and_b32_e32 v36, 63, v31
	v_mov_b32_e32 v19, 2
	v_cmp_ne_u32_e32 vcc, 63, v36
	v_cmp_eq_u16_sdwa s[28:29], v25, v19 src0_sel:BYTE_0 src1_sel:DWORD
	v_lshlrev_b64 v[22:23], v31, -1
	v_addc_co_u32_e32 v27, vcc, 0, v31, vcc
	v_and_b32_e32 v21, s29, v23
	v_lshlrev_b32_e32 v37, 2, v27
	v_or_b32_e32 v21, 0x80000000, v21
	ds_bpermute_b32 v27, v37, v24
	v_and_b32_e32 v26, s28, v22
	v_ffbl_b32_e32 v21, v21
	v_add_u32_e32 v21, 32, v21
	v_ffbl_b32_e32 v26, v26
	v_min_u32_e32 v21, v26, v21
	v_cmp_lt_u32_e32 vcc, v36, v21
	s_waitcnt lgkmcnt(0)
	v_cndmask_b32_e32 v26, 0, v27, vcc
	v_cmp_gt_u32_e32 vcc, 62, v36
	v_add_u32_e32 v24, v26, v24
	v_cndmask_b32_e64 v26, 0, 1, vcc
	v_lshlrev_b32_e32 v26, 1, v26
	v_add_lshl_u32 v38, v26, v31, 2
	ds_bpermute_b32 v26, v38, v24
	v_add_u32_e32 v39, 2, v36
	v_cmp_le_u32_e32 vcc, v39, v21
	v_add_u32_e32 v41, 4, v36
	v_add_u32_e32 v43, 8, v36
	s_waitcnt lgkmcnt(0)
	v_cndmask_b32_e32 v26, 0, v26, vcc
	v_cmp_gt_u32_e32 vcc, 60, v36
	v_add_u32_e32 v24, v24, v26
	v_cndmask_b32_e64 v26, 0, 1, vcc
	v_lshlrev_b32_e32 v26, 2, v26
	v_add_lshl_u32 v40, v26, v31, 2
	ds_bpermute_b32 v26, v40, v24
	v_cmp_le_u32_e32 vcc, v41, v21
	v_add_u32_e32 v46, 16, v36
	v_add_u32_e32 v48, 32, v36
	s_waitcnt lgkmcnt(0)
	v_cndmask_b32_e32 v26, 0, v26, vcc
	v_cmp_gt_u32_e32 vcc, 56, v36
	v_add_u32_e32 v24, v24, v26
	v_cndmask_b32_e64 v26, 0, 1, vcc
	v_lshlrev_b32_e32 v26, 3, v26
	v_add_lshl_u32 v42, v26, v31, 2
	ds_bpermute_b32 v26, v42, v24
	v_cmp_le_u32_e32 vcc, v43, v21
	s_waitcnt lgkmcnt(0)
	v_cndmask_b32_e32 v26, 0, v26, vcc
	v_cmp_gt_u32_e32 vcc, 48, v36
	v_add_u32_e32 v24, v24, v26
	v_cndmask_b32_e64 v26, 0, 1, vcc
	v_lshlrev_b32_e32 v26, 4, v26
	v_add_lshl_u32 v45, v26, v31, 2
	ds_bpermute_b32 v26, v45, v24
	v_cmp_le_u32_e32 vcc, v46, v21
	;; [unrolled: 9-line block ×3, first 2 shown]
	s_waitcnt lgkmcnt(0)
	v_cndmask_b32_e32 v21, 0, v26, vcc
	v_add_u32_e32 v24, v24, v21
	v_mov_b32_e32 v21, 0
	s_branch .LBB1589_225
.LBB1589_224:                           ;   in Loop: Header=BB1589_225 Depth=1
	s_or_b64 exec, exec, s[28:29]
	v_cmp_eq_u16_sdwa s[28:29], v25, v19 src0_sel:BYTE_0 src1_sel:DWORD
	v_and_b32_e32 v26, s29, v23
	v_or_b32_e32 v26, 0x80000000, v26
	ds_bpermute_b32 v49, v37, v24
	v_and_b32_e32 v27, s28, v22
	v_ffbl_b32_e32 v26, v26
	v_add_u32_e32 v26, 32, v26
	v_ffbl_b32_e32 v27, v27
	v_min_u32_e32 v26, v27, v26
	v_cmp_lt_u32_e32 vcc, v36, v26
	s_waitcnt lgkmcnt(0)
	v_cndmask_b32_e32 v27, 0, v49, vcc
	v_add_u32_e32 v24, v27, v24
	ds_bpermute_b32 v27, v38, v24
	v_cmp_le_u32_e32 vcc, v39, v26
	v_subrev_u32_e32 v20, 64, v20
	s_waitcnt lgkmcnt(0)
	v_cndmask_b32_e32 v27, 0, v27, vcc
	v_add_u32_e32 v24, v24, v27
	ds_bpermute_b32 v27, v40, v24
	v_cmp_le_u32_e32 vcc, v41, v26
	s_waitcnt lgkmcnt(0)
	v_cndmask_b32_e32 v27, 0, v27, vcc
	v_add_u32_e32 v24, v24, v27
	ds_bpermute_b32 v27, v42, v24
	v_cmp_le_u32_e32 vcc, v43, v26
	;; [unrolled: 5-line block ×4, first 2 shown]
	s_waitcnt lgkmcnt(0)
	v_cndmask_b32_e32 v26, 0, v27, vcc
	v_add3_u32 v24, v26, v44, v24
.LBB1589_225:                           ; =>This Loop Header: Depth=1
                                        ;     Child Loop BB1589_228 Depth 2
                                        ;       Child Loop BB1589_229 Depth 3
	v_cmp_ne_u16_sdwa s[28:29], v25, v19 src0_sel:BYTE_0 src1_sel:DWORD
	v_cndmask_b32_e64 v25, 0, 1, s[28:29]
	;;#ASMSTART
	;;#ASMEND
	v_cmp_ne_u32_e32 vcc, 0, v25
	s_cmp_lg_u64 vcc, exec
	v_mov_b32_e32 v44, v24
	s_cbranch_scc1 .LBB1589_232
; %bb.226:                              ;   in Loop: Header=BB1589_225 Depth=1
	v_lshlrev_b64 v[24:25], 3, v[20:21]
	v_mov_b32_e32 v27, s31
	v_add_co_u32_e32 v26, vcc, s30, v24
	v_addc_co_u32_e32 v27, vcc, v27, v25, vcc
	global_load_dwordx2 v[24:25], v[26:27], off glc
	s_waitcnt vmcnt(0)
	v_cmp_eq_u16_sdwa s[36:37], v25, v21 src0_sel:BYTE_0 src1_sel:DWORD
	s_and_saveexec_b64 s[28:29], s[36:37]
	s_cbranch_execz .LBB1589_224
; %bb.227:                              ;   in Loop: Header=BB1589_225 Depth=1
	s_mov_b32 s7, 1
	s_mov_b64 s[36:37], 0
.LBB1589_228:                           ;   Parent Loop BB1589_225 Depth=1
                                        ; =>  This Loop Header: Depth=2
                                        ;       Child Loop BB1589_229 Depth 3
	s_max_u32 s33, s7, 1
.LBB1589_229:                           ;   Parent Loop BB1589_225 Depth=1
                                        ;     Parent Loop BB1589_228 Depth=2
                                        ; =>    This Inner Loop Header: Depth=3
	s_add_i32 s33, s33, -1
	s_cmp_eq_u32 s33, 0
	s_sleep 1
	s_cbranch_scc0 .LBB1589_229
; %bb.230:                              ;   in Loop: Header=BB1589_228 Depth=2
	global_load_dwordx2 v[24:25], v[26:27], off glc
	s_cmp_lt_u32 s7, 32
	s_cselect_b64 s[38:39], -1, 0
	s_cmp_lg_u64 s[38:39], 0
	s_addc_u32 s7, s7, 0
	s_waitcnt vmcnt(0)
	v_cmp_ne_u16_sdwa s[38:39], v25, v21 src0_sel:BYTE_0 src1_sel:DWORD
	s_or_b64 s[36:37], s[38:39], s[36:37]
	s_andn2_b64 exec, exec, s[36:37]
	s_cbranch_execnz .LBB1589_228
; %bb.231:                              ;   in Loop: Header=BB1589_225 Depth=1
	s_or_b64 exec, exec, s[36:37]
	s_branch .LBB1589_224
.LBB1589_232:                           ;   in Loop: Header=BB1589_225 Depth=1
                                        ; implicit-def: $vgpr24
                                        ; implicit-def: $vgpr25
	s_cbranch_execz .LBB1589_225
; %bb.233:
	s_and_saveexec_b64 s[28:29], s[16:17]
	s_cbranch_execz .LBB1589_235
; %bb.234:
	s_add_i32 s6, s6, 64
	s_mov_b32 s7, 0
	s_lshl_b64 s[6:7], s[6:7], 3
	s_add_u32 s6, s30, s6
	v_add_u32_e32 v20, v44, v18
	v_mov_b32_e32 v21, 2
	s_addc_u32 s7, s31, s7
	v_mov_b32_e32 v19, 0
	global_store_dwordx2 v19, v[20:21], s[6:7]
	s_movk_i32 s6, 0x1000
	v_add_u32_e64 v19, s6, 0
	ds_write2_b32 v19, v18, v44 offset0:32 offset1:34
.LBB1589_235:
	s_or_b64 exec, exec, s[28:29]
	v_cmp_eq_u32_e32 vcc, 0, v0
	s_and_b64 exec, exec, vcc
	s_cbranch_execz .LBB1589_237
; %bb.236:
	v_mov_b32_e32 v18, 0
	ds_write_b32 v18, v44 offset:4
.LBB1589_237:
	s_or_b64 exec, exec, s[26:27]
	v_mov_b32_e32 v19, 0
	s_waitcnt lgkmcnt(0)
	s_barrier
	ds_read_b32 v19, v19 offset:4
	s_movk_i32 s6, 0x1000
	v_add_u32_e64 v20, s6, 0
	v_cndmask_b32_e64 v18, v35, v34, s[16:17]
	v_cmp_ne_u32_e32 vcc, 0, v0
	s_waitcnt lgkmcnt(0)
	s_barrier
	ds_read2_b32 v[26:27], v20 offset0:32 offset1:34
	v_cndmask_b32_e32 v18, 0, v18, vcc
	v_add_u32_e32 v24, v19, v18
	v_add_u32_sdwa v22, v24, v28 dst_sel:DWORD dst_unused:UNUSED_PAD src0_sel:DWORD src1_sel:BYTE_0
	v_add_u32_sdwa v20, v22, v28 dst_sel:DWORD dst_unused:UNUSED_PAD src0_sel:DWORD src1_sel:BYTE_1
	v_add_u32_e32 v18, v20, v30
	s_waitcnt lgkmcnt(0)
	v_readfirstlane_b32 s26, v26
	v_readfirstlane_b32 s16, v27
	s_branch .LBB1589_248
.LBB1589_238:
                                        ; implicit-def: $vgpr18
                                        ; implicit-def: $vgpr20
                                        ; implicit-def: $vgpr22
                                        ; implicit-def: $vgpr24
                                        ; implicit-def: $sgpr16
                                        ; implicit-def: $sgpr26
	s_cbranch_execz .LBB1589_248
; %bb.239:
	s_nop 0
	v_mov_b32_dpp v18, v33 row_shr:1 row_mask:0xf bank_mask:0xf
	v_cndmask_b32_e64 v18, v18, 0, s[14:15]
	v_add_u32_e32 v18, v18, v33
	s_nop 1
	v_mov_b32_dpp v19, v18 row_shr:2 row_mask:0xf bank_mask:0xf
	v_cndmask_b32_e64 v19, 0, v19, s[12:13]
	v_add_u32_e32 v18, v18, v19
	;; [unrolled: 4-line block ×4, first 2 shown]
	s_nop 1
	v_mov_b32_dpp v19, v18 row_bcast:15 row_mask:0xf bank_mask:0xf
	v_cndmask_b32_e64 v19, v19, 0, s[18:19]
	v_add_u32_e32 v18, v18, v19
	s_nop 1
	v_mov_b32_dpp v19, v18 row_bcast:31 row_mask:0xf bank_mask:0xf
	v_cndmask_b32_e64 v19, 0, v19, s[0:1]
	v_add_u32_e32 v18, v18, v19
	s_and_saveexec_b64 s[0:1], s[2:3]
	s_cbranch_execz .LBB1589_241
; %bb.240:
	v_lshlrev_b32_e32 v19, 2, v32
	ds_write_b32 v19, v18
.LBB1589_241:
	s_or_b64 exec, exec, s[0:1]
	v_cmp_gt_u32_e32 vcc, 2, v0
	s_waitcnt lgkmcnt(0)
	s_barrier
	s_and_saveexec_b64 s[0:1], vcc
	s_cbranch_execz .LBB1589_243
; %bb.242:
	ds_read_b32 v19, v1
	v_bfe_i32 v20, v31, 0, 1
	s_waitcnt lgkmcnt(0)
	v_mov_b32_dpp v21, v19 row_shr:1 row_mask:0xf bank_mask:0xf
	v_and_b32_e32 v20, v20, v21
	v_add_u32_e32 v19, v20, v19
	ds_write_b32 v1, v19
.LBB1589_243:
	s_or_b64 exec, exec, s[0:1]
	v_cmp_lt_u32_e32 vcc, 63, v0
	v_mov_b32_e32 v19, 0
	v_mov_b32_e32 v1, 0
	s_waitcnt lgkmcnt(0)
	s_barrier
	s_and_saveexec_b64 s[0:1], vcc
	s_cbranch_execz .LBB1589_245
; %bb.244:
	v_lshl_add_u32 v1, v32, 2, -4
	ds_read_b32 v1, v1
.LBB1589_245:
	s_or_b64 exec, exec, s[0:1]
	v_add_u32_e32 v20, -1, v31
	v_and_b32_e32 v21, 64, v31
	v_cmp_lt_i32_e32 vcc, v20, v21
	v_cndmask_b32_e32 v20, v20, v31, vcc
	s_waitcnt lgkmcnt(0)
	v_add_u32_e32 v18, v1, v18
	v_lshlrev_b32_e32 v20, 2, v20
	ds_read_b32 v19, v19 offset:4
	ds_bpermute_b32 v18, v20, v18
	s_mov_b32 s16, 0
	v_cmp_eq_u32_e32 vcc, 0, v0
	s_waitcnt lgkmcnt(1)
	v_readfirstlane_b32 s26, v19
	s_and_saveexec_b64 s[0:1], vcc
	s_cbranch_execz .LBB1589_247
; %bb.246:
	v_mov_b32_e32 v19, 0
	v_mov_b32_e32 v20, s26
	;; [unrolled: 1-line block ×3, first 2 shown]
	global_store_dwordx2 v19, v[20:21], s[30:31] offset:512
.LBB1589_247:
	s_or_b64 exec, exec, s[0:1]
	v_cmp_eq_u32_e64 s[0:1], 0, v31
	s_waitcnt lgkmcnt(0)
	v_cndmask_b32_e64 v1, v18, v1, s[0:1]
	v_cndmask_b32_e64 v24, v1, 0, vcc
	v_add_u32_sdwa v22, v24, v28 dst_sel:DWORD dst_unused:UNUSED_PAD src0_sel:DWORD src1_sel:BYTE_0
	v_add_u32_sdwa v20, v22, v28 dst_sel:DWORD dst_unused:UNUSED_PAD src0_sel:DWORD src1_sel:BYTE_1
	v_add_u32_e32 v18, v20, v30
	s_barrier
.LBB1589_248:
	s_load_dwordx4 s[4:7], s[4:5], 0x28
	s_cmpk_lt_u32 s26, 0x81
	s_cselect_b64 s[2:3], -1, 0
	v_lshrrev_b32_e32 v1, 8, v28
	s_mov_b64 s[0:1], -1
	s_and_b64 vcc, exec, s[2:3]
	s_cbranch_vccz .LBB1589_262
; %bb.249:
	s_add_i32 s8, s16, s26
	v_cmp_gt_u32_e32 vcc, s8, v24
	s_or_b64 s[10:11], s[34:35], vcc
	s_and_saveexec_b64 s[0:1], s[10:11]
	s_cbranch_execz .LBB1589_252
; %bb.250:
	v_and_b32_e32 v19, 1, v28
	v_cmp_eq_u32_e32 vcc, 1, v19
	s_and_b64 exec, exec, vcc
	s_cbranch_execz .LBB1589_252
; %bb.251:
	s_lshl_b64 s[10:11], s[22:23], 3
	s_waitcnt lgkmcnt(0)
	s_add_u32 s9, s4, s10
	v_mov_b32_e32 v25, 0
	s_addc_u32 s10, s5, s11
	v_lshlrev_b64 v[26:27], 3, v[24:25]
	v_mov_b32_e32 v19, s10
	v_add_co_u32_e32 v26, vcc, s9, v26
	v_addc_co_u32_e32 v27, vcc, v19, v27, vcc
	global_store_dwordx2 v[26:27], v[14:15], off
.LBB1589_252:
	s_or_b64 exec, exec, s[0:1]
	v_cmp_gt_u32_e32 vcc, s8, v22
	s_or_b64 s[10:11], s[34:35], vcc
	s_and_saveexec_b64 s[0:1], s[10:11]
	s_cbranch_execz .LBB1589_255
; %bb.253:
	v_and_b32_e32 v19, 1, v1
	v_cmp_eq_u32_e32 vcc, 1, v19
	s_and_b64 exec, exec, vcc
	s_cbranch_execz .LBB1589_255
; %bb.254:
	s_lshl_b64 s[10:11], s[22:23], 3
	s_waitcnt lgkmcnt(0)
	s_add_u32 s9, s4, s10
	v_mov_b32_e32 v23, 0
	s_addc_u32 s10, s5, s11
	v_lshlrev_b64 v[26:27], 3, v[22:23]
	v_mov_b32_e32 v19, s10
	v_add_co_u32_e32 v26, vcc, s9, v26
	v_addc_co_u32_e32 v27, vcc, v19, v27, vcc
	global_store_dwordx2 v[26:27], v[16:17], off
.LBB1589_255:
	s_or_b64 exec, exec, s[0:1]
	v_cmp_gt_u32_e32 vcc, s8, v20
	s_or_b64 s[10:11], s[34:35], vcc
	s_and_saveexec_b64 s[0:1], s[10:11]
	s_cbranch_execz .LBB1589_258
; %bb.256:
	v_mov_b32_e32 v19, 1
	v_and_b32_sdwa v19, v19, v28 dst_sel:DWORD dst_unused:UNUSED_PAD src0_sel:DWORD src1_sel:WORD_1
	v_cmp_eq_u32_e32 vcc, 1, v19
	s_and_b64 exec, exec, vcc
	s_cbranch_execz .LBB1589_258
; %bb.257:
	s_lshl_b64 s[10:11], s[22:23], 3
	s_waitcnt lgkmcnt(0)
	s_add_u32 s9, s4, s10
	v_mov_b32_e32 v21, 0
	s_addc_u32 s10, s5, s11
	v_lshlrev_b64 v[26:27], 3, v[20:21]
	v_mov_b32_e32 v19, s10
	v_add_co_u32_e32 v26, vcc, s9, v26
	v_addc_co_u32_e32 v27, vcc, v19, v27, vcc
	global_store_dwordx2 v[26:27], v[10:11], off
.LBB1589_258:
	s_or_b64 exec, exec, s[0:1]
	v_cmp_gt_u32_e32 vcc, s8, v18
	s_or_b64 s[8:9], s[34:35], vcc
	s_and_saveexec_b64 s[0:1], s[8:9]
	s_cbranch_execz .LBB1589_261
; %bb.259:
	v_and_b32_e32 v19, 1, v29
	v_cmp_eq_u32_e32 vcc, 1, v19
	s_and_b64 exec, exec, vcc
	s_cbranch_execz .LBB1589_261
; %bb.260:
	s_lshl_b64 s[8:9], s[22:23], 3
	s_waitcnt lgkmcnt(0)
	s_add_u32 s8, s4, s8
	v_mov_b32_e32 v19, 0
	s_addc_u32 s9, s5, s9
	v_lshlrev_b64 v[26:27], 3, v[18:19]
	v_mov_b32_e32 v19, s9
	v_add_co_u32_e32 v26, vcc, s8, v26
	v_addc_co_u32_e32 v27, vcc, v19, v27, vcc
	global_store_dwordx2 v[26:27], v[12:13], off
.LBB1589_261:
	s_or_b64 exec, exec, s[0:1]
	s_mov_b64 s[0:1], 0
.LBB1589_262:
	v_and_b32_e32 v26, 1, v28
	s_and_b64 vcc, exec, s[0:1]
	v_cmp_eq_u32_e64 s[0:1], 1, v26
	s_cbranch_vccz .LBB1589_275
; %bb.263:
	s_and_saveexec_b64 s[8:9], s[0:1]
	s_cbranch_execz .LBB1589_265
; %bb.264:
	v_subrev_u32_e32 v19, s16, v24
	v_lshlrev_b32_e32 v19, 3, v19
	ds_write_b64 v19, v[14:15]
.LBB1589_265:
	s_or_b64 exec, exec, s[8:9]
	v_and_b32_e32 v14, 1, v1
	v_cmp_eq_u32_e32 vcc, 1, v14
	s_and_saveexec_b64 s[0:1], vcc
	s_cbranch_execz .LBB1589_267
; %bb.266:
	v_subrev_u32_e32 v14, s16, v22
	v_lshlrev_b32_e32 v14, 3, v14
	ds_write_b64 v14, v[16:17]
.LBB1589_267:
	s_or_b64 exec, exec, s[0:1]
	v_mov_b32_e32 v14, 1
	v_and_b32_sdwa v14, v14, v28 dst_sel:DWORD dst_unused:UNUSED_PAD src0_sel:DWORD src1_sel:WORD_1
	v_cmp_eq_u32_e32 vcc, 1, v14
	s_and_saveexec_b64 s[0:1], vcc
	s_cbranch_execz .LBB1589_269
; %bb.268:
	v_subrev_u32_e32 v14, s16, v20
	v_lshlrev_b32_e32 v14, 3, v14
	ds_write_b64 v14, v[10:11]
.LBB1589_269:
	s_or_b64 exec, exec, s[0:1]
	v_and_b32_e32 v10, 1, v29
	v_cmp_eq_u32_e32 vcc, 1, v10
	s_and_saveexec_b64 s[0:1], vcc
	s_cbranch_execz .LBB1589_271
; %bb.270:
	v_subrev_u32_e32 v10, s16, v18
	v_lshlrev_b32_e32 v10, 3, v10
	ds_write_b64 v10, v[12:13]
.LBB1589_271:
	s_or_b64 exec, exec, s[0:1]
	v_cmp_gt_u32_e32 vcc, s26, v0
	s_waitcnt lgkmcnt(0)
	s_barrier
	s_and_saveexec_b64 s[0:1], vcc
	s_cbranch_execz .LBB1589_274
; %bb.272:
	s_mov_b32 s17, 0
	s_lshl_b64 s[8:9], s[16:17], 3
	s_add_u32 s8, s4, s8
	s_addc_u32 s9, s5, s9
	s_lshl_b64 s[4:5], s[22:23], 3
	s_add_u32 s8, s8, s4
	s_addc_u32 s9, s9, s5
	v_lshlrev_b32_e32 v12, 3, v0
	s_mov_b64 s[4:5], 0
	v_mov_b32_e32 v11, 0
	v_mov_b32_e32 v13, s9
	;; [unrolled: 1-line block ×3, first 2 shown]
.LBB1589_273:                           ; =>This Inner Loop Header: Depth=1
	ds_read_b64 v[14:15], v12
	v_lshlrev_b64 v[16:17], 3, v[10:11]
	v_add_co_u32_e32 v16, vcc, s8, v16
	v_add_u32_e32 v10, 0x80, v10
	v_addc_co_u32_e32 v17, vcc, v13, v17, vcc
	v_cmp_le_u32_e32 vcc, s26, v10
	v_add_u32_e32 v12, 0x400, v12
	s_or_b64 s[4:5], vcc, s[4:5]
	s_waitcnt lgkmcnt(0)
	global_store_dwordx2 v[16:17], v[14:15], off
	s_andn2_b64 exec, exec, s[4:5]
	s_cbranch_execnz .LBB1589_273
.LBB1589_274:
	s_or_b64 exec, exec, s[0:1]
.LBB1589_275:
	s_mov_b64 s[0:1], -1
	s_and_b64 vcc, exec, s[2:3]
	s_waitcnt lgkmcnt(0)
	s_barrier
	s_cbranch_vccnz .LBB1589_279
; %bb.276:
	s_and_b64 vcc, exec, s[0:1]
	s_cbranch_vccnz .LBB1589_292
.LBB1589_277:
	v_cmp_eq_u32_e32 vcc, 0, v0
	s_and_b64 s[0:1], vcc, s[24:25]
	s_and_saveexec_b64 s[2:3], s[0:1]
	s_cbranch_execnz .LBB1589_304
.LBB1589_278:
	s_endpgm
.LBB1589_279:
	s_add_i32 s2, s16, s26
	v_cmp_gt_u32_e32 vcc, s2, v24
	s_or_b64 s[4:5], s[34:35], vcc
	s_and_saveexec_b64 s[0:1], s[4:5]
	s_cbranch_execz .LBB1589_282
; %bb.280:
	v_cmp_eq_u32_e32 vcc, 1, v26
	s_and_b64 exec, exec, vcc
	s_cbranch_execz .LBB1589_282
; %bb.281:
	s_lshl_b64 s[4:5], s[22:23], 3
	s_add_u32 s3, s6, s4
	v_mov_b32_e32 v25, 0
	s_addc_u32 s4, s7, s5
	v_lshlrev_b64 v[10:11], 3, v[24:25]
	v_mov_b32_e32 v12, s4
	v_add_co_u32_e32 v10, vcc, s3, v10
	v_addc_co_u32_e32 v11, vcc, v12, v11, vcc
	global_store_dwordx2 v[10:11], v[6:7], off
.LBB1589_282:
	s_or_b64 exec, exec, s[0:1]
	v_cmp_gt_u32_e32 vcc, s2, v22
	s_or_b64 s[4:5], s[34:35], vcc
	s_and_saveexec_b64 s[0:1], s[4:5]
	s_cbranch_execz .LBB1589_285
; %bb.283:
	v_and_b32_e32 v10, 1, v1
	v_cmp_eq_u32_e32 vcc, 1, v10
	s_and_b64 exec, exec, vcc
	s_cbranch_execz .LBB1589_285
; %bb.284:
	s_lshl_b64 s[4:5], s[22:23], 3
	s_add_u32 s3, s6, s4
	v_mov_b32_e32 v23, 0
	s_addc_u32 s4, s7, s5
	v_lshlrev_b64 v[10:11], 3, v[22:23]
	v_mov_b32_e32 v12, s4
	v_add_co_u32_e32 v10, vcc, s3, v10
	v_addc_co_u32_e32 v11, vcc, v12, v11, vcc
	global_store_dwordx2 v[10:11], v[8:9], off
.LBB1589_285:
	s_or_b64 exec, exec, s[0:1]
	v_cmp_gt_u32_e32 vcc, s2, v20
	s_or_b64 s[4:5], s[34:35], vcc
	s_and_saveexec_b64 s[0:1], s[4:5]
	s_cbranch_execz .LBB1589_288
; %bb.286:
	v_mov_b32_e32 v10, 1
	v_and_b32_sdwa v10, v10, v28 dst_sel:DWORD dst_unused:UNUSED_PAD src0_sel:DWORD src1_sel:WORD_1
	v_cmp_eq_u32_e32 vcc, 1, v10
	s_and_b64 exec, exec, vcc
	s_cbranch_execz .LBB1589_288
; %bb.287:
	s_lshl_b64 s[4:5], s[22:23], 3
	s_add_u32 s3, s6, s4
	v_mov_b32_e32 v21, 0
	s_addc_u32 s4, s7, s5
	v_lshlrev_b64 v[10:11], 3, v[20:21]
	v_mov_b32_e32 v12, s4
	v_add_co_u32_e32 v10, vcc, s3, v10
	v_addc_co_u32_e32 v11, vcc, v12, v11, vcc
	global_store_dwordx2 v[10:11], v[2:3], off
.LBB1589_288:
	s_or_b64 exec, exec, s[0:1]
	v_cmp_gt_u32_e32 vcc, s2, v18
	s_or_b64 s[2:3], s[34:35], vcc
	s_and_saveexec_b64 s[0:1], s[2:3]
	s_cbranch_execz .LBB1589_291
; %bb.289:
	v_and_b32_e32 v10, 1, v29
	v_cmp_eq_u32_e32 vcc, 1, v10
	s_and_b64 exec, exec, vcc
	s_cbranch_execz .LBB1589_291
; %bb.290:
	s_lshl_b64 s[2:3], s[22:23], 3
	s_add_u32 s2, s6, s2
	v_mov_b32_e32 v19, 0
	s_addc_u32 s3, s7, s3
	v_lshlrev_b64 v[10:11], 3, v[18:19]
	v_mov_b32_e32 v12, s3
	v_add_co_u32_e32 v10, vcc, s2, v10
	v_addc_co_u32_e32 v11, vcc, v12, v11, vcc
	global_store_dwordx2 v[10:11], v[4:5], off
.LBB1589_291:
	s_or_b64 exec, exec, s[0:1]
	s_branch .LBB1589_277
.LBB1589_292:
	v_cmp_eq_u32_e32 vcc, 1, v26
	s_and_saveexec_b64 s[0:1], vcc
	s_cbranch_execz .LBB1589_294
; %bb.293:
	v_subrev_u32_e32 v10, s16, v24
	v_lshlrev_b32_e32 v10, 3, v10
	ds_write_b64 v10, v[6:7]
.LBB1589_294:
	s_or_b64 exec, exec, s[0:1]
	v_and_b32_e32 v1, 1, v1
	v_cmp_eq_u32_e32 vcc, 1, v1
	s_and_saveexec_b64 s[0:1], vcc
	s_cbranch_execz .LBB1589_296
; %bb.295:
	v_subrev_u32_e32 v1, s16, v22
	v_lshlrev_b32_e32 v1, 3, v1
	ds_write_b64 v1, v[8:9]
.LBB1589_296:
	s_or_b64 exec, exec, s[0:1]
	v_mov_b32_e32 v1, 1
	v_and_b32_sdwa v1, v1, v28 dst_sel:DWORD dst_unused:UNUSED_PAD src0_sel:DWORD src1_sel:WORD_1
	v_cmp_eq_u32_e32 vcc, 1, v1
	s_and_saveexec_b64 s[0:1], vcc
	s_cbranch_execz .LBB1589_298
; %bb.297:
	v_subrev_u32_e32 v1, s16, v20
	v_lshlrev_b32_e32 v1, 3, v1
	ds_write_b64 v1, v[2:3]
.LBB1589_298:
	s_or_b64 exec, exec, s[0:1]
	v_and_b32_e32 v1, 1, v29
	v_cmp_eq_u32_e32 vcc, 1, v1
	s_and_saveexec_b64 s[0:1], vcc
	s_cbranch_execz .LBB1589_300
; %bb.299:
	v_subrev_u32_e32 v1, s16, v18
	v_lshlrev_b32_e32 v1, 3, v1
	ds_write_b64 v1, v[4:5]
.LBB1589_300:
	s_or_b64 exec, exec, s[0:1]
	v_cmp_gt_u32_e32 vcc, s26, v0
	s_waitcnt lgkmcnt(0)
	s_barrier
	s_and_saveexec_b64 s[0:1], vcc
	s_cbranch_execz .LBB1589_303
; %bb.301:
	s_mov_b32 s17, 0
	s_lshl_b64 s[2:3], s[16:17], 3
	s_add_u32 s4, s6, s2
	s_addc_u32 s5, s7, s3
	s_lshl_b64 s[2:3], s[22:23], 3
	s_add_u32 s4, s4, s2
	s_addc_u32 s5, s5, s3
	v_lshlrev_b32_e32 v1, 3, v0
	s_mov_b64 s[2:3], 0
	v_mov_b32_e32 v3, 0
	v_mov_b32_e32 v4, s5
	;; [unrolled: 1-line block ×3, first 2 shown]
.LBB1589_302:                           ; =>This Inner Loop Header: Depth=1
	ds_read_b64 v[6:7], v1
	v_lshlrev_b64 v[8:9], 3, v[2:3]
	v_add_co_u32_e32 v8, vcc, s4, v8
	v_add_u32_e32 v2, 0x80, v2
	v_addc_co_u32_e32 v9, vcc, v4, v9, vcc
	v_cmp_le_u32_e32 vcc, s26, v2
	v_add_u32_e32 v1, 0x400, v1
	s_or_b64 s[2:3], vcc, s[2:3]
	s_waitcnt lgkmcnt(0)
	global_store_dwordx2 v[8:9], v[6:7], off
	s_andn2_b64 exec, exec, s[2:3]
	s_cbranch_execnz .LBB1589_302
.LBB1589_303:
	s_or_b64 exec, exec, s[0:1]
	v_cmp_eq_u32_e32 vcc, 0, v0
	s_and_b64 s[0:1], vcc, s[24:25]
	s_and_saveexec_b64 s[2:3], s[0:1]
	s_cbranch_execz .LBB1589_278
.LBB1589_304:
	s_add_u32 s0, s22, s26
	s_addc_u32 s1, s23, 0
	s_add_u32 s0, s0, s16
	s_addc_u32 s1, s1, 0
	v_mov_b32_e32 v2, 0
	v_pk_mov_b32 v[0:1], s[0:1], s[0:1] op_sel:[0,1]
	global_store_dwordx2 v2, v[0:1], s[20:21]
	s_endpgm
	.section	.rodata,"a",@progbits
	.p2align	6, 0x0
	.amdhsa_kernel _ZN7rocprim17ROCPRIM_400000_NS6detail17trampoline_kernelINS0_14default_configENS1_25partition_config_selectorILNS1_17partition_subalgoE9EllbEEZZNS1_14partition_implILS5_9ELb0ES3_jPlS8_PNS0_10empty_typeENS0_5tupleIJS8_S9_EEENSB_IJS8_SA_EEENS0_18inequality_wrapperIZN2at6native12_GLOBAL__N_124unique_dim_cuda_templateIjEESt5tupleIJNSF_6TensorESK_SK_EERKSK_lbbbEUlllE0_EEPmJS9_EEE10hipError_tPvRmT3_T4_T5_T6_T7_T9_mT8_P12ihipStream_tbDpT10_ENKUlT_T0_E_clISt17integral_constantIbLb1EES19_IbLb0EEEEDaS15_S16_EUlS15_E_NS1_11comp_targetILNS1_3genE4ELNS1_11target_archE910ELNS1_3gpuE8ELNS1_3repE0EEENS1_30default_config_static_selectorELNS0_4arch9wavefront6targetE1EEEvT1_
		.amdhsa_group_segment_fixed_size 4236
		.amdhsa_private_segment_fixed_size 0
		.amdhsa_kernarg_size 120
		.amdhsa_user_sgpr_count 6
		.amdhsa_user_sgpr_private_segment_buffer 1
		.amdhsa_user_sgpr_dispatch_ptr 0
		.amdhsa_user_sgpr_queue_ptr 0
		.amdhsa_user_sgpr_kernarg_segment_ptr 1
		.amdhsa_user_sgpr_dispatch_id 0
		.amdhsa_user_sgpr_flat_scratch_init 0
		.amdhsa_user_sgpr_kernarg_preload_length 0
		.amdhsa_user_sgpr_kernarg_preload_offset 0
		.amdhsa_user_sgpr_private_segment_size 0
		.amdhsa_uses_dynamic_stack 0
		.amdhsa_system_sgpr_private_segment_wavefront_offset 0
		.amdhsa_system_sgpr_workgroup_id_x 1
		.amdhsa_system_sgpr_workgroup_id_y 0
		.amdhsa_system_sgpr_workgroup_id_z 0
		.amdhsa_system_sgpr_workgroup_info 0
		.amdhsa_system_vgpr_workitem_id 0
		.amdhsa_next_free_vgpr 50
		.amdhsa_next_free_sgpr 46
		.amdhsa_accum_offset 52
		.amdhsa_reserve_vcc 1
		.amdhsa_reserve_flat_scratch 0
		.amdhsa_float_round_mode_32 0
		.amdhsa_float_round_mode_16_64 0
		.amdhsa_float_denorm_mode_32 3
		.amdhsa_float_denorm_mode_16_64 3
		.amdhsa_dx10_clamp 1
		.amdhsa_ieee_mode 1
		.amdhsa_fp16_overflow 0
		.amdhsa_tg_split 0
		.amdhsa_exception_fp_ieee_invalid_op 0
		.amdhsa_exception_fp_denorm_src 0
		.amdhsa_exception_fp_ieee_div_zero 0
		.amdhsa_exception_fp_ieee_overflow 0
		.amdhsa_exception_fp_ieee_underflow 0
		.amdhsa_exception_fp_ieee_inexact 0
		.amdhsa_exception_int_div_zero 0
	.end_amdhsa_kernel
	.section	.text._ZN7rocprim17ROCPRIM_400000_NS6detail17trampoline_kernelINS0_14default_configENS1_25partition_config_selectorILNS1_17partition_subalgoE9EllbEEZZNS1_14partition_implILS5_9ELb0ES3_jPlS8_PNS0_10empty_typeENS0_5tupleIJS8_S9_EEENSB_IJS8_SA_EEENS0_18inequality_wrapperIZN2at6native12_GLOBAL__N_124unique_dim_cuda_templateIjEESt5tupleIJNSF_6TensorESK_SK_EERKSK_lbbbEUlllE0_EEPmJS9_EEE10hipError_tPvRmT3_T4_T5_T6_T7_T9_mT8_P12ihipStream_tbDpT10_ENKUlT_T0_E_clISt17integral_constantIbLb1EES19_IbLb0EEEEDaS15_S16_EUlS15_E_NS1_11comp_targetILNS1_3genE4ELNS1_11target_archE910ELNS1_3gpuE8ELNS1_3repE0EEENS1_30default_config_static_selectorELNS0_4arch9wavefront6targetE1EEEvT1_,"axG",@progbits,_ZN7rocprim17ROCPRIM_400000_NS6detail17trampoline_kernelINS0_14default_configENS1_25partition_config_selectorILNS1_17partition_subalgoE9EllbEEZZNS1_14partition_implILS5_9ELb0ES3_jPlS8_PNS0_10empty_typeENS0_5tupleIJS8_S9_EEENSB_IJS8_SA_EEENS0_18inequality_wrapperIZN2at6native12_GLOBAL__N_124unique_dim_cuda_templateIjEESt5tupleIJNSF_6TensorESK_SK_EERKSK_lbbbEUlllE0_EEPmJS9_EEE10hipError_tPvRmT3_T4_T5_T6_T7_T9_mT8_P12ihipStream_tbDpT10_ENKUlT_T0_E_clISt17integral_constantIbLb1EES19_IbLb0EEEEDaS15_S16_EUlS15_E_NS1_11comp_targetILNS1_3genE4ELNS1_11target_archE910ELNS1_3gpuE8ELNS1_3repE0EEENS1_30default_config_static_selectorELNS0_4arch9wavefront6targetE1EEEvT1_,comdat
.Lfunc_end1589:
	.size	_ZN7rocprim17ROCPRIM_400000_NS6detail17trampoline_kernelINS0_14default_configENS1_25partition_config_selectorILNS1_17partition_subalgoE9EllbEEZZNS1_14partition_implILS5_9ELb0ES3_jPlS8_PNS0_10empty_typeENS0_5tupleIJS8_S9_EEENSB_IJS8_SA_EEENS0_18inequality_wrapperIZN2at6native12_GLOBAL__N_124unique_dim_cuda_templateIjEESt5tupleIJNSF_6TensorESK_SK_EERKSK_lbbbEUlllE0_EEPmJS9_EEE10hipError_tPvRmT3_T4_T5_T6_T7_T9_mT8_P12ihipStream_tbDpT10_ENKUlT_T0_E_clISt17integral_constantIbLb1EES19_IbLb0EEEEDaS15_S16_EUlS15_E_NS1_11comp_targetILNS1_3genE4ELNS1_11target_archE910ELNS1_3gpuE8ELNS1_3repE0EEENS1_30default_config_static_selectorELNS0_4arch9wavefront6targetE1EEEvT1_, .Lfunc_end1589-_ZN7rocprim17ROCPRIM_400000_NS6detail17trampoline_kernelINS0_14default_configENS1_25partition_config_selectorILNS1_17partition_subalgoE9EllbEEZZNS1_14partition_implILS5_9ELb0ES3_jPlS8_PNS0_10empty_typeENS0_5tupleIJS8_S9_EEENSB_IJS8_SA_EEENS0_18inequality_wrapperIZN2at6native12_GLOBAL__N_124unique_dim_cuda_templateIjEESt5tupleIJNSF_6TensorESK_SK_EERKSK_lbbbEUlllE0_EEPmJS9_EEE10hipError_tPvRmT3_T4_T5_T6_T7_T9_mT8_P12ihipStream_tbDpT10_ENKUlT_T0_E_clISt17integral_constantIbLb1EES19_IbLb0EEEEDaS15_S16_EUlS15_E_NS1_11comp_targetILNS1_3genE4ELNS1_11target_archE910ELNS1_3gpuE8ELNS1_3repE0EEENS1_30default_config_static_selectorELNS0_4arch9wavefront6targetE1EEEvT1_
                                        ; -- End function
	.section	.AMDGPU.csdata,"",@progbits
; Kernel info:
; codeLenInByte = 10876
; NumSgprs: 50
; NumVgprs: 50
; NumAgprs: 0
; TotalNumVgprs: 50
; ScratchSize: 0
; MemoryBound: 0
; FloatMode: 240
; IeeeMode: 1
; LDSByteSize: 4236 bytes/workgroup (compile time only)
; SGPRBlocks: 6
; VGPRBlocks: 6
; NumSGPRsForWavesPerEU: 50
; NumVGPRsForWavesPerEU: 50
; AccumOffset: 52
; Occupancy: 8
; WaveLimiterHint : 1
; COMPUTE_PGM_RSRC2:SCRATCH_EN: 0
; COMPUTE_PGM_RSRC2:USER_SGPR: 6
; COMPUTE_PGM_RSRC2:TRAP_HANDLER: 0
; COMPUTE_PGM_RSRC2:TGID_X_EN: 1
; COMPUTE_PGM_RSRC2:TGID_Y_EN: 0
; COMPUTE_PGM_RSRC2:TGID_Z_EN: 0
; COMPUTE_PGM_RSRC2:TIDIG_COMP_CNT: 0
; COMPUTE_PGM_RSRC3_GFX90A:ACCUM_OFFSET: 12
; COMPUTE_PGM_RSRC3_GFX90A:TG_SPLIT: 0
	.section	.text._ZN7rocprim17ROCPRIM_400000_NS6detail17trampoline_kernelINS0_14default_configENS1_25partition_config_selectorILNS1_17partition_subalgoE9EllbEEZZNS1_14partition_implILS5_9ELb0ES3_jPlS8_PNS0_10empty_typeENS0_5tupleIJS8_S9_EEENSB_IJS8_SA_EEENS0_18inequality_wrapperIZN2at6native12_GLOBAL__N_124unique_dim_cuda_templateIjEESt5tupleIJNSF_6TensorESK_SK_EERKSK_lbbbEUlllE0_EEPmJS9_EEE10hipError_tPvRmT3_T4_T5_T6_T7_T9_mT8_P12ihipStream_tbDpT10_ENKUlT_T0_E_clISt17integral_constantIbLb1EES19_IbLb0EEEEDaS15_S16_EUlS15_E_NS1_11comp_targetILNS1_3genE3ELNS1_11target_archE908ELNS1_3gpuE7ELNS1_3repE0EEENS1_30default_config_static_selectorELNS0_4arch9wavefront6targetE1EEEvT1_,"axG",@progbits,_ZN7rocprim17ROCPRIM_400000_NS6detail17trampoline_kernelINS0_14default_configENS1_25partition_config_selectorILNS1_17partition_subalgoE9EllbEEZZNS1_14partition_implILS5_9ELb0ES3_jPlS8_PNS0_10empty_typeENS0_5tupleIJS8_S9_EEENSB_IJS8_SA_EEENS0_18inequality_wrapperIZN2at6native12_GLOBAL__N_124unique_dim_cuda_templateIjEESt5tupleIJNSF_6TensorESK_SK_EERKSK_lbbbEUlllE0_EEPmJS9_EEE10hipError_tPvRmT3_T4_T5_T6_T7_T9_mT8_P12ihipStream_tbDpT10_ENKUlT_T0_E_clISt17integral_constantIbLb1EES19_IbLb0EEEEDaS15_S16_EUlS15_E_NS1_11comp_targetILNS1_3genE3ELNS1_11target_archE908ELNS1_3gpuE7ELNS1_3repE0EEENS1_30default_config_static_selectorELNS0_4arch9wavefront6targetE1EEEvT1_,comdat
	.globl	_ZN7rocprim17ROCPRIM_400000_NS6detail17trampoline_kernelINS0_14default_configENS1_25partition_config_selectorILNS1_17partition_subalgoE9EllbEEZZNS1_14partition_implILS5_9ELb0ES3_jPlS8_PNS0_10empty_typeENS0_5tupleIJS8_S9_EEENSB_IJS8_SA_EEENS0_18inequality_wrapperIZN2at6native12_GLOBAL__N_124unique_dim_cuda_templateIjEESt5tupleIJNSF_6TensorESK_SK_EERKSK_lbbbEUlllE0_EEPmJS9_EEE10hipError_tPvRmT3_T4_T5_T6_T7_T9_mT8_P12ihipStream_tbDpT10_ENKUlT_T0_E_clISt17integral_constantIbLb1EES19_IbLb0EEEEDaS15_S16_EUlS15_E_NS1_11comp_targetILNS1_3genE3ELNS1_11target_archE908ELNS1_3gpuE7ELNS1_3repE0EEENS1_30default_config_static_selectorELNS0_4arch9wavefront6targetE1EEEvT1_ ; -- Begin function _ZN7rocprim17ROCPRIM_400000_NS6detail17trampoline_kernelINS0_14default_configENS1_25partition_config_selectorILNS1_17partition_subalgoE9EllbEEZZNS1_14partition_implILS5_9ELb0ES3_jPlS8_PNS0_10empty_typeENS0_5tupleIJS8_S9_EEENSB_IJS8_SA_EEENS0_18inequality_wrapperIZN2at6native12_GLOBAL__N_124unique_dim_cuda_templateIjEESt5tupleIJNSF_6TensorESK_SK_EERKSK_lbbbEUlllE0_EEPmJS9_EEE10hipError_tPvRmT3_T4_T5_T6_T7_T9_mT8_P12ihipStream_tbDpT10_ENKUlT_T0_E_clISt17integral_constantIbLb1EES19_IbLb0EEEEDaS15_S16_EUlS15_E_NS1_11comp_targetILNS1_3genE3ELNS1_11target_archE908ELNS1_3gpuE7ELNS1_3repE0EEENS1_30default_config_static_selectorELNS0_4arch9wavefront6targetE1EEEvT1_
	.p2align	8
	.type	_ZN7rocprim17ROCPRIM_400000_NS6detail17trampoline_kernelINS0_14default_configENS1_25partition_config_selectorILNS1_17partition_subalgoE9EllbEEZZNS1_14partition_implILS5_9ELb0ES3_jPlS8_PNS0_10empty_typeENS0_5tupleIJS8_S9_EEENSB_IJS8_SA_EEENS0_18inequality_wrapperIZN2at6native12_GLOBAL__N_124unique_dim_cuda_templateIjEESt5tupleIJNSF_6TensorESK_SK_EERKSK_lbbbEUlllE0_EEPmJS9_EEE10hipError_tPvRmT3_T4_T5_T6_T7_T9_mT8_P12ihipStream_tbDpT10_ENKUlT_T0_E_clISt17integral_constantIbLb1EES19_IbLb0EEEEDaS15_S16_EUlS15_E_NS1_11comp_targetILNS1_3genE3ELNS1_11target_archE908ELNS1_3gpuE7ELNS1_3repE0EEENS1_30default_config_static_selectorELNS0_4arch9wavefront6targetE1EEEvT1_,@function
_ZN7rocprim17ROCPRIM_400000_NS6detail17trampoline_kernelINS0_14default_configENS1_25partition_config_selectorILNS1_17partition_subalgoE9EllbEEZZNS1_14partition_implILS5_9ELb0ES3_jPlS8_PNS0_10empty_typeENS0_5tupleIJS8_S9_EEENSB_IJS8_SA_EEENS0_18inequality_wrapperIZN2at6native12_GLOBAL__N_124unique_dim_cuda_templateIjEESt5tupleIJNSF_6TensorESK_SK_EERKSK_lbbbEUlllE0_EEPmJS9_EEE10hipError_tPvRmT3_T4_T5_T6_T7_T9_mT8_P12ihipStream_tbDpT10_ENKUlT_T0_E_clISt17integral_constantIbLb1EES19_IbLb0EEEEDaS15_S16_EUlS15_E_NS1_11comp_targetILNS1_3genE3ELNS1_11target_archE908ELNS1_3gpuE7ELNS1_3repE0EEENS1_30default_config_static_selectorELNS0_4arch9wavefront6targetE1EEEvT1_: ; @_ZN7rocprim17ROCPRIM_400000_NS6detail17trampoline_kernelINS0_14default_configENS1_25partition_config_selectorILNS1_17partition_subalgoE9EllbEEZZNS1_14partition_implILS5_9ELb0ES3_jPlS8_PNS0_10empty_typeENS0_5tupleIJS8_S9_EEENSB_IJS8_SA_EEENS0_18inequality_wrapperIZN2at6native12_GLOBAL__N_124unique_dim_cuda_templateIjEESt5tupleIJNSF_6TensorESK_SK_EERKSK_lbbbEUlllE0_EEPmJS9_EEE10hipError_tPvRmT3_T4_T5_T6_T7_T9_mT8_P12ihipStream_tbDpT10_ENKUlT_T0_E_clISt17integral_constantIbLb1EES19_IbLb0EEEEDaS15_S16_EUlS15_E_NS1_11comp_targetILNS1_3genE3ELNS1_11target_archE908ELNS1_3gpuE7ELNS1_3repE0EEENS1_30default_config_static_selectorELNS0_4arch9wavefront6targetE1EEEvT1_
; %bb.0:
	.section	.rodata,"a",@progbits
	.p2align	6, 0x0
	.amdhsa_kernel _ZN7rocprim17ROCPRIM_400000_NS6detail17trampoline_kernelINS0_14default_configENS1_25partition_config_selectorILNS1_17partition_subalgoE9EllbEEZZNS1_14partition_implILS5_9ELb0ES3_jPlS8_PNS0_10empty_typeENS0_5tupleIJS8_S9_EEENSB_IJS8_SA_EEENS0_18inequality_wrapperIZN2at6native12_GLOBAL__N_124unique_dim_cuda_templateIjEESt5tupleIJNSF_6TensorESK_SK_EERKSK_lbbbEUlllE0_EEPmJS9_EEE10hipError_tPvRmT3_T4_T5_T6_T7_T9_mT8_P12ihipStream_tbDpT10_ENKUlT_T0_E_clISt17integral_constantIbLb1EES19_IbLb0EEEEDaS15_S16_EUlS15_E_NS1_11comp_targetILNS1_3genE3ELNS1_11target_archE908ELNS1_3gpuE7ELNS1_3repE0EEENS1_30default_config_static_selectorELNS0_4arch9wavefront6targetE1EEEvT1_
		.amdhsa_group_segment_fixed_size 0
		.amdhsa_private_segment_fixed_size 0
		.amdhsa_kernarg_size 120
		.amdhsa_user_sgpr_count 6
		.amdhsa_user_sgpr_private_segment_buffer 1
		.amdhsa_user_sgpr_dispatch_ptr 0
		.amdhsa_user_sgpr_queue_ptr 0
		.amdhsa_user_sgpr_kernarg_segment_ptr 1
		.amdhsa_user_sgpr_dispatch_id 0
		.amdhsa_user_sgpr_flat_scratch_init 0
		.amdhsa_user_sgpr_kernarg_preload_length 0
		.amdhsa_user_sgpr_kernarg_preload_offset 0
		.amdhsa_user_sgpr_private_segment_size 0
		.amdhsa_uses_dynamic_stack 0
		.amdhsa_system_sgpr_private_segment_wavefront_offset 0
		.amdhsa_system_sgpr_workgroup_id_x 1
		.amdhsa_system_sgpr_workgroup_id_y 0
		.amdhsa_system_sgpr_workgroup_id_z 0
		.amdhsa_system_sgpr_workgroup_info 0
		.amdhsa_system_vgpr_workitem_id 0
		.amdhsa_next_free_vgpr 1
		.amdhsa_next_free_sgpr 0
		.amdhsa_accum_offset 4
		.amdhsa_reserve_vcc 0
		.amdhsa_reserve_flat_scratch 0
		.amdhsa_float_round_mode_32 0
		.amdhsa_float_round_mode_16_64 0
		.amdhsa_float_denorm_mode_32 3
		.amdhsa_float_denorm_mode_16_64 3
		.amdhsa_dx10_clamp 1
		.amdhsa_ieee_mode 1
		.amdhsa_fp16_overflow 0
		.amdhsa_tg_split 0
		.amdhsa_exception_fp_ieee_invalid_op 0
		.amdhsa_exception_fp_denorm_src 0
		.amdhsa_exception_fp_ieee_div_zero 0
		.amdhsa_exception_fp_ieee_overflow 0
		.amdhsa_exception_fp_ieee_underflow 0
		.amdhsa_exception_fp_ieee_inexact 0
		.amdhsa_exception_int_div_zero 0
	.end_amdhsa_kernel
	.section	.text._ZN7rocprim17ROCPRIM_400000_NS6detail17trampoline_kernelINS0_14default_configENS1_25partition_config_selectorILNS1_17partition_subalgoE9EllbEEZZNS1_14partition_implILS5_9ELb0ES3_jPlS8_PNS0_10empty_typeENS0_5tupleIJS8_S9_EEENSB_IJS8_SA_EEENS0_18inequality_wrapperIZN2at6native12_GLOBAL__N_124unique_dim_cuda_templateIjEESt5tupleIJNSF_6TensorESK_SK_EERKSK_lbbbEUlllE0_EEPmJS9_EEE10hipError_tPvRmT3_T4_T5_T6_T7_T9_mT8_P12ihipStream_tbDpT10_ENKUlT_T0_E_clISt17integral_constantIbLb1EES19_IbLb0EEEEDaS15_S16_EUlS15_E_NS1_11comp_targetILNS1_3genE3ELNS1_11target_archE908ELNS1_3gpuE7ELNS1_3repE0EEENS1_30default_config_static_selectorELNS0_4arch9wavefront6targetE1EEEvT1_,"axG",@progbits,_ZN7rocprim17ROCPRIM_400000_NS6detail17trampoline_kernelINS0_14default_configENS1_25partition_config_selectorILNS1_17partition_subalgoE9EllbEEZZNS1_14partition_implILS5_9ELb0ES3_jPlS8_PNS0_10empty_typeENS0_5tupleIJS8_S9_EEENSB_IJS8_SA_EEENS0_18inequality_wrapperIZN2at6native12_GLOBAL__N_124unique_dim_cuda_templateIjEESt5tupleIJNSF_6TensorESK_SK_EERKSK_lbbbEUlllE0_EEPmJS9_EEE10hipError_tPvRmT3_T4_T5_T6_T7_T9_mT8_P12ihipStream_tbDpT10_ENKUlT_T0_E_clISt17integral_constantIbLb1EES19_IbLb0EEEEDaS15_S16_EUlS15_E_NS1_11comp_targetILNS1_3genE3ELNS1_11target_archE908ELNS1_3gpuE7ELNS1_3repE0EEENS1_30default_config_static_selectorELNS0_4arch9wavefront6targetE1EEEvT1_,comdat
.Lfunc_end1590:
	.size	_ZN7rocprim17ROCPRIM_400000_NS6detail17trampoline_kernelINS0_14default_configENS1_25partition_config_selectorILNS1_17partition_subalgoE9EllbEEZZNS1_14partition_implILS5_9ELb0ES3_jPlS8_PNS0_10empty_typeENS0_5tupleIJS8_S9_EEENSB_IJS8_SA_EEENS0_18inequality_wrapperIZN2at6native12_GLOBAL__N_124unique_dim_cuda_templateIjEESt5tupleIJNSF_6TensorESK_SK_EERKSK_lbbbEUlllE0_EEPmJS9_EEE10hipError_tPvRmT3_T4_T5_T6_T7_T9_mT8_P12ihipStream_tbDpT10_ENKUlT_T0_E_clISt17integral_constantIbLb1EES19_IbLb0EEEEDaS15_S16_EUlS15_E_NS1_11comp_targetILNS1_3genE3ELNS1_11target_archE908ELNS1_3gpuE7ELNS1_3repE0EEENS1_30default_config_static_selectorELNS0_4arch9wavefront6targetE1EEEvT1_, .Lfunc_end1590-_ZN7rocprim17ROCPRIM_400000_NS6detail17trampoline_kernelINS0_14default_configENS1_25partition_config_selectorILNS1_17partition_subalgoE9EllbEEZZNS1_14partition_implILS5_9ELb0ES3_jPlS8_PNS0_10empty_typeENS0_5tupleIJS8_S9_EEENSB_IJS8_SA_EEENS0_18inequality_wrapperIZN2at6native12_GLOBAL__N_124unique_dim_cuda_templateIjEESt5tupleIJNSF_6TensorESK_SK_EERKSK_lbbbEUlllE0_EEPmJS9_EEE10hipError_tPvRmT3_T4_T5_T6_T7_T9_mT8_P12ihipStream_tbDpT10_ENKUlT_T0_E_clISt17integral_constantIbLb1EES19_IbLb0EEEEDaS15_S16_EUlS15_E_NS1_11comp_targetILNS1_3genE3ELNS1_11target_archE908ELNS1_3gpuE7ELNS1_3repE0EEENS1_30default_config_static_selectorELNS0_4arch9wavefront6targetE1EEEvT1_
                                        ; -- End function
	.section	.AMDGPU.csdata,"",@progbits
; Kernel info:
; codeLenInByte = 0
; NumSgprs: 4
; NumVgprs: 0
; NumAgprs: 0
; TotalNumVgprs: 0
; ScratchSize: 0
; MemoryBound: 0
; FloatMode: 240
; IeeeMode: 1
; LDSByteSize: 0 bytes/workgroup (compile time only)
; SGPRBlocks: 0
; VGPRBlocks: 0
; NumSGPRsForWavesPerEU: 4
; NumVGPRsForWavesPerEU: 1
; AccumOffset: 4
; Occupancy: 8
; WaveLimiterHint : 0
; COMPUTE_PGM_RSRC2:SCRATCH_EN: 0
; COMPUTE_PGM_RSRC2:USER_SGPR: 6
; COMPUTE_PGM_RSRC2:TRAP_HANDLER: 0
; COMPUTE_PGM_RSRC2:TGID_X_EN: 1
; COMPUTE_PGM_RSRC2:TGID_Y_EN: 0
; COMPUTE_PGM_RSRC2:TGID_Z_EN: 0
; COMPUTE_PGM_RSRC2:TIDIG_COMP_CNT: 0
; COMPUTE_PGM_RSRC3_GFX90A:ACCUM_OFFSET: 0
; COMPUTE_PGM_RSRC3_GFX90A:TG_SPLIT: 0
	.section	.text._ZN7rocprim17ROCPRIM_400000_NS6detail17trampoline_kernelINS0_14default_configENS1_25partition_config_selectorILNS1_17partition_subalgoE9EllbEEZZNS1_14partition_implILS5_9ELb0ES3_jPlS8_PNS0_10empty_typeENS0_5tupleIJS8_S9_EEENSB_IJS8_SA_EEENS0_18inequality_wrapperIZN2at6native12_GLOBAL__N_124unique_dim_cuda_templateIjEESt5tupleIJNSF_6TensorESK_SK_EERKSK_lbbbEUlllE0_EEPmJS9_EEE10hipError_tPvRmT3_T4_T5_T6_T7_T9_mT8_P12ihipStream_tbDpT10_ENKUlT_T0_E_clISt17integral_constantIbLb1EES19_IbLb0EEEEDaS15_S16_EUlS15_E_NS1_11comp_targetILNS1_3genE2ELNS1_11target_archE906ELNS1_3gpuE6ELNS1_3repE0EEENS1_30default_config_static_selectorELNS0_4arch9wavefront6targetE1EEEvT1_,"axG",@progbits,_ZN7rocprim17ROCPRIM_400000_NS6detail17trampoline_kernelINS0_14default_configENS1_25partition_config_selectorILNS1_17partition_subalgoE9EllbEEZZNS1_14partition_implILS5_9ELb0ES3_jPlS8_PNS0_10empty_typeENS0_5tupleIJS8_S9_EEENSB_IJS8_SA_EEENS0_18inequality_wrapperIZN2at6native12_GLOBAL__N_124unique_dim_cuda_templateIjEESt5tupleIJNSF_6TensorESK_SK_EERKSK_lbbbEUlllE0_EEPmJS9_EEE10hipError_tPvRmT3_T4_T5_T6_T7_T9_mT8_P12ihipStream_tbDpT10_ENKUlT_T0_E_clISt17integral_constantIbLb1EES19_IbLb0EEEEDaS15_S16_EUlS15_E_NS1_11comp_targetILNS1_3genE2ELNS1_11target_archE906ELNS1_3gpuE6ELNS1_3repE0EEENS1_30default_config_static_selectorELNS0_4arch9wavefront6targetE1EEEvT1_,comdat
	.globl	_ZN7rocprim17ROCPRIM_400000_NS6detail17trampoline_kernelINS0_14default_configENS1_25partition_config_selectorILNS1_17partition_subalgoE9EllbEEZZNS1_14partition_implILS5_9ELb0ES3_jPlS8_PNS0_10empty_typeENS0_5tupleIJS8_S9_EEENSB_IJS8_SA_EEENS0_18inequality_wrapperIZN2at6native12_GLOBAL__N_124unique_dim_cuda_templateIjEESt5tupleIJNSF_6TensorESK_SK_EERKSK_lbbbEUlllE0_EEPmJS9_EEE10hipError_tPvRmT3_T4_T5_T6_T7_T9_mT8_P12ihipStream_tbDpT10_ENKUlT_T0_E_clISt17integral_constantIbLb1EES19_IbLb0EEEEDaS15_S16_EUlS15_E_NS1_11comp_targetILNS1_3genE2ELNS1_11target_archE906ELNS1_3gpuE6ELNS1_3repE0EEENS1_30default_config_static_selectorELNS0_4arch9wavefront6targetE1EEEvT1_ ; -- Begin function _ZN7rocprim17ROCPRIM_400000_NS6detail17trampoline_kernelINS0_14default_configENS1_25partition_config_selectorILNS1_17partition_subalgoE9EllbEEZZNS1_14partition_implILS5_9ELb0ES3_jPlS8_PNS0_10empty_typeENS0_5tupleIJS8_S9_EEENSB_IJS8_SA_EEENS0_18inequality_wrapperIZN2at6native12_GLOBAL__N_124unique_dim_cuda_templateIjEESt5tupleIJNSF_6TensorESK_SK_EERKSK_lbbbEUlllE0_EEPmJS9_EEE10hipError_tPvRmT3_T4_T5_T6_T7_T9_mT8_P12ihipStream_tbDpT10_ENKUlT_T0_E_clISt17integral_constantIbLb1EES19_IbLb0EEEEDaS15_S16_EUlS15_E_NS1_11comp_targetILNS1_3genE2ELNS1_11target_archE906ELNS1_3gpuE6ELNS1_3repE0EEENS1_30default_config_static_selectorELNS0_4arch9wavefront6targetE1EEEvT1_
	.p2align	8
	.type	_ZN7rocprim17ROCPRIM_400000_NS6detail17trampoline_kernelINS0_14default_configENS1_25partition_config_selectorILNS1_17partition_subalgoE9EllbEEZZNS1_14partition_implILS5_9ELb0ES3_jPlS8_PNS0_10empty_typeENS0_5tupleIJS8_S9_EEENSB_IJS8_SA_EEENS0_18inequality_wrapperIZN2at6native12_GLOBAL__N_124unique_dim_cuda_templateIjEESt5tupleIJNSF_6TensorESK_SK_EERKSK_lbbbEUlllE0_EEPmJS9_EEE10hipError_tPvRmT3_T4_T5_T6_T7_T9_mT8_P12ihipStream_tbDpT10_ENKUlT_T0_E_clISt17integral_constantIbLb1EES19_IbLb0EEEEDaS15_S16_EUlS15_E_NS1_11comp_targetILNS1_3genE2ELNS1_11target_archE906ELNS1_3gpuE6ELNS1_3repE0EEENS1_30default_config_static_selectorELNS0_4arch9wavefront6targetE1EEEvT1_,@function
_ZN7rocprim17ROCPRIM_400000_NS6detail17trampoline_kernelINS0_14default_configENS1_25partition_config_selectorILNS1_17partition_subalgoE9EllbEEZZNS1_14partition_implILS5_9ELb0ES3_jPlS8_PNS0_10empty_typeENS0_5tupleIJS8_S9_EEENSB_IJS8_SA_EEENS0_18inequality_wrapperIZN2at6native12_GLOBAL__N_124unique_dim_cuda_templateIjEESt5tupleIJNSF_6TensorESK_SK_EERKSK_lbbbEUlllE0_EEPmJS9_EEE10hipError_tPvRmT3_T4_T5_T6_T7_T9_mT8_P12ihipStream_tbDpT10_ENKUlT_T0_E_clISt17integral_constantIbLb1EES19_IbLb0EEEEDaS15_S16_EUlS15_E_NS1_11comp_targetILNS1_3genE2ELNS1_11target_archE906ELNS1_3gpuE6ELNS1_3repE0EEENS1_30default_config_static_selectorELNS0_4arch9wavefront6targetE1EEEvT1_: ; @_ZN7rocprim17ROCPRIM_400000_NS6detail17trampoline_kernelINS0_14default_configENS1_25partition_config_selectorILNS1_17partition_subalgoE9EllbEEZZNS1_14partition_implILS5_9ELb0ES3_jPlS8_PNS0_10empty_typeENS0_5tupleIJS8_S9_EEENSB_IJS8_SA_EEENS0_18inequality_wrapperIZN2at6native12_GLOBAL__N_124unique_dim_cuda_templateIjEESt5tupleIJNSF_6TensorESK_SK_EERKSK_lbbbEUlllE0_EEPmJS9_EEE10hipError_tPvRmT3_T4_T5_T6_T7_T9_mT8_P12ihipStream_tbDpT10_ENKUlT_T0_E_clISt17integral_constantIbLb1EES19_IbLb0EEEEDaS15_S16_EUlS15_E_NS1_11comp_targetILNS1_3genE2ELNS1_11target_archE906ELNS1_3gpuE6ELNS1_3repE0EEENS1_30default_config_static_selectorELNS0_4arch9wavefront6targetE1EEEvT1_
; %bb.0:
	.section	.rodata,"a",@progbits
	.p2align	6, 0x0
	.amdhsa_kernel _ZN7rocprim17ROCPRIM_400000_NS6detail17trampoline_kernelINS0_14default_configENS1_25partition_config_selectorILNS1_17partition_subalgoE9EllbEEZZNS1_14partition_implILS5_9ELb0ES3_jPlS8_PNS0_10empty_typeENS0_5tupleIJS8_S9_EEENSB_IJS8_SA_EEENS0_18inequality_wrapperIZN2at6native12_GLOBAL__N_124unique_dim_cuda_templateIjEESt5tupleIJNSF_6TensorESK_SK_EERKSK_lbbbEUlllE0_EEPmJS9_EEE10hipError_tPvRmT3_T4_T5_T6_T7_T9_mT8_P12ihipStream_tbDpT10_ENKUlT_T0_E_clISt17integral_constantIbLb1EES19_IbLb0EEEEDaS15_S16_EUlS15_E_NS1_11comp_targetILNS1_3genE2ELNS1_11target_archE906ELNS1_3gpuE6ELNS1_3repE0EEENS1_30default_config_static_selectorELNS0_4arch9wavefront6targetE1EEEvT1_
		.amdhsa_group_segment_fixed_size 0
		.amdhsa_private_segment_fixed_size 0
		.amdhsa_kernarg_size 120
		.amdhsa_user_sgpr_count 6
		.amdhsa_user_sgpr_private_segment_buffer 1
		.amdhsa_user_sgpr_dispatch_ptr 0
		.amdhsa_user_sgpr_queue_ptr 0
		.amdhsa_user_sgpr_kernarg_segment_ptr 1
		.amdhsa_user_sgpr_dispatch_id 0
		.amdhsa_user_sgpr_flat_scratch_init 0
		.amdhsa_user_sgpr_kernarg_preload_length 0
		.amdhsa_user_sgpr_kernarg_preload_offset 0
		.amdhsa_user_sgpr_private_segment_size 0
		.amdhsa_uses_dynamic_stack 0
		.amdhsa_system_sgpr_private_segment_wavefront_offset 0
		.amdhsa_system_sgpr_workgroup_id_x 1
		.amdhsa_system_sgpr_workgroup_id_y 0
		.amdhsa_system_sgpr_workgroup_id_z 0
		.amdhsa_system_sgpr_workgroup_info 0
		.amdhsa_system_vgpr_workitem_id 0
		.amdhsa_next_free_vgpr 1
		.amdhsa_next_free_sgpr 0
		.amdhsa_accum_offset 4
		.amdhsa_reserve_vcc 0
		.amdhsa_reserve_flat_scratch 0
		.amdhsa_float_round_mode_32 0
		.amdhsa_float_round_mode_16_64 0
		.amdhsa_float_denorm_mode_32 3
		.amdhsa_float_denorm_mode_16_64 3
		.amdhsa_dx10_clamp 1
		.amdhsa_ieee_mode 1
		.amdhsa_fp16_overflow 0
		.amdhsa_tg_split 0
		.amdhsa_exception_fp_ieee_invalid_op 0
		.amdhsa_exception_fp_denorm_src 0
		.amdhsa_exception_fp_ieee_div_zero 0
		.amdhsa_exception_fp_ieee_overflow 0
		.amdhsa_exception_fp_ieee_underflow 0
		.amdhsa_exception_fp_ieee_inexact 0
		.amdhsa_exception_int_div_zero 0
	.end_amdhsa_kernel
	.section	.text._ZN7rocprim17ROCPRIM_400000_NS6detail17trampoline_kernelINS0_14default_configENS1_25partition_config_selectorILNS1_17partition_subalgoE9EllbEEZZNS1_14partition_implILS5_9ELb0ES3_jPlS8_PNS0_10empty_typeENS0_5tupleIJS8_S9_EEENSB_IJS8_SA_EEENS0_18inequality_wrapperIZN2at6native12_GLOBAL__N_124unique_dim_cuda_templateIjEESt5tupleIJNSF_6TensorESK_SK_EERKSK_lbbbEUlllE0_EEPmJS9_EEE10hipError_tPvRmT3_T4_T5_T6_T7_T9_mT8_P12ihipStream_tbDpT10_ENKUlT_T0_E_clISt17integral_constantIbLb1EES19_IbLb0EEEEDaS15_S16_EUlS15_E_NS1_11comp_targetILNS1_3genE2ELNS1_11target_archE906ELNS1_3gpuE6ELNS1_3repE0EEENS1_30default_config_static_selectorELNS0_4arch9wavefront6targetE1EEEvT1_,"axG",@progbits,_ZN7rocprim17ROCPRIM_400000_NS6detail17trampoline_kernelINS0_14default_configENS1_25partition_config_selectorILNS1_17partition_subalgoE9EllbEEZZNS1_14partition_implILS5_9ELb0ES3_jPlS8_PNS0_10empty_typeENS0_5tupleIJS8_S9_EEENSB_IJS8_SA_EEENS0_18inequality_wrapperIZN2at6native12_GLOBAL__N_124unique_dim_cuda_templateIjEESt5tupleIJNSF_6TensorESK_SK_EERKSK_lbbbEUlllE0_EEPmJS9_EEE10hipError_tPvRmT3_T4_T5_T6_T7_T9_mT8_P12ihipStream_tbDpT10_ENKUlT_T0_E_clISt17integral_constantIbLb1EES19_IbLb0EEEEDaS15_S16_EUlS15_E_NS1_11comp_targetILNS1_3genE2ELNS1_11target_archE906ELNS1_3gpuE6ELNS1_3repE0EEENS1_30default_config_static_selectorELNS0_4arch9wavefront6targetE1EEEvT1_,comdat
.Lfunc_end1591:
	.size	_ZN7rocprim17ROCPRIM_400000_NS6detail17trampoline_kernelINS0_14default_configENS1_25partition_config_selectorILNS1_17partition_subalgoE9EllbEEZZNS1_14partition_implILS5_9ELb0ES3_jPlS8_PNS0_10empty_typeENS0_5tupleIJS8_S9_EEENSB_IJS8_SA_EEENS0_18inequality_wrapperIZN2at6native12_GLOBAL__N_124unique_dim_cuda_templateIjEESt5tupleIJNSF_6TensorESK_SK_EERKSK_lbbbEUlllE0_EEPmJS9_EEE10hipError_tPvRmT3_T4_T5_T6_T7_T9_mT8_P12ihipStream_tbDpT10_ENKUlT_T0_E_clISt17integral_constantIbLb1EES19_IbLb0EEEEDaS15_S16_EUlS15_E_NS1_11comp_targetILNS1_3genE2ELNS1_11target_archE906ELNS1_3gpuE6ELNS1_3repE0EEENS1_30default_config_static_selectorELNS0_4arch9wavefront6targetE1EEEvT1_, .Lfunc_end1591-_ZN7rocprim17ROCPRIM_400000_NS6detail17trampoline_kernelINS0_14default_configENS1_25partition_config_selectorILNS1_17partition_subalgoE9EllbEEZZNS1_14partition_implILS5_9ELb0ES3_jPlS8_PNS0_10empty_typeENS0_5tupleIJS8_S9_EEENSB_IJS8_SA_EEENS0_18inequality_wrapperIZN2at6native12_GLOBAL__N_124unique_dim_cuda_templateIjEESt5tupleIJNSF_6TensorESK_SK_EERKSK_lbbbEUlllE0_EEPmJS9_EEE10hipError_tPvRmT3_T4_T5_T6_T7_T9_mT8_P12ihipStream_tbDpT10_ENKUlT_T0_E_clISt17integral_constantIbLb1EES19_IbLb0EEEEDaS15_S16_EUlS15_E_NS1_11comp_targetILNS1_3genE2ELNS1_11target_archE906ELNS1_3gpuE6ELNS1_3repE0EEENS1_30default_config_static_selectorELNS0_4arch9wavefront6targetE1EEEvT1_
                                        ; -- End function
	.section	.AMDGPU.csdata,"",@progbits
; Kernel info:
; codeLenInByte = 0
; NumSgprs: 4
; NumVgprs: 0
; NumAgprs: 0
; TotalNumVgprs: 0
; ScratchSize: 0
; MemoryBound: 0
; FloatMode: 240
; IeeeMode: 1
; LDSByteSize: 0 bytes/workgroup (compile time only)
; SGPRBlocks: 0
; VGPRBlocks: 0
; NumSGPRsForWavesPerEU: 4
; NumVGPRsForWavesPerEU: 1
; AccumOffset: 4
; Occupancy: 8
; WaveLimiterHint : 0
; COMPUTE_PGM_RSRC2:SCRATCH_EN: 0
; COMPUTE_PGM_RSRC2:USER_SGPR: 6
; COMPUTE_PGM_RSRC2:TRAP_HANDLER: 0
; COMPUTE_PGM_RSRC2:TGID_X_EN: 1
; COMPUTE_PGM_RSRC2:TGID_Y_EN: 0
; COMPUTE_PGM_RSRC2:TGID_Z_EN: 0
; COMPUTE_PGM_RSRC2:TIDIG_COMP_CNT: 0
; COMPUTE_PGM_RSRC3_GFX90A:ACCUM_OFFSET: 0
; COMPUTE_PGM_RSRC3_GFX90A:TG_SPLIT: 0
	.section	.text._ZN7rocprim17ROCPRIM_400000_NS6detail17trampoline_kernelINS0_14default_configENS1_25partition_config_selectorILNS1_17partition_subalgoE9EllbEEZZNS1_14partition_implILS5_9ELb0ES3_jPlS8_PNS0_10empty_typeENS0_5tupleIJS8_S9_EEENSB_IJS8_SA_EEENS0_18inequality_wrapperIZN2at6native12_GLOBAL__N_124unique_dim_cuda_templateIjEESt5tupleIJNSF_6TensorESK_SK_EERKSK_lbbbEUlllE0_EEPmJS9_EEE10hipError_tPvRmT3_T4_T5_T6_T7_T9_mT8_P12ihipStream_tbDpT10_ENKUlT_T0_E_clISt17integral_constantIbLb1EES19_IbLb0EEEEDaS15_S16_EUlS15_E_NS1_11comp_targetILNS1_3genE10ELNS1_11target_archE1200ELNS1_3gpuE4ELNS1_3repE0EEENS1_30default_config_static_selectorELNS0_4arch9wavefront6targetE1EEEvT1_,"axG",@progbits,_ZN7rocprim17ROCPRIM_400000_NS6detail17trampoline_kernelINS0_14default_configENS1_25partition_config_selectorILNS1_17partition_subalgoE9EllbEEZZNS1_14partition_implILS5_9ELb0ES3_jPlS8_PNS0_10empty_typeENS0_5tupleIJS8_S9_EEENSB_IJS8_SA_EEENS0_18inequality_wrapperIZN2at6native12_GLOBAL__N_124unique_dim_cuda_templateIjEESt5tupleIJNSF_6TensorESK_SK_EERKSK_lbbbEUlllE0_EEPmJS9_EEE10hipError_tPvRmT3_T4_T5_T6_T7_T9_mT8_P12ihipStream_tbDpT10_ENKUlT_T0_E_clISt17integral_constantIbLb1EES19_IbLb0EEEEDaS15_S16_EUlS15_E_NS1_11comp_targetILNS1_3genE10ELNS1_11target_archE1200ELNS1_3gpuE4ELNS1_3repE0EEENS1_30default_config_static_selectorELNS0_4arch9wavefront6targetE1EEEvT1_,comdat
	.globl	_ZN7rocprim17ROCPRIM_400000_NS6detail17trampoline_kernelINS0_14default_configENS1_25partition_config_selectorILNS1_17partition_subalgoE9EllbEEZZNS1_14partition_implILS5_9ELb0ES3_jPlS8_PNS0_10empty_typeENS0_5tupleIJS8_S9_EEENSB_IJS8_SA_EEENS0_18inequality_wrapperIZN2at6native12_GLOBAL__N_124unique_dim_cuda_templateIjEESt5tupleIJNSF_6TensorESK_SK_EERKSK_lbbbEUlllE0_EEPmJS9_EEE10hipError_tPvRmT3_T4_T5_T6_T7_T9_mT8_P12ihipStream_tbDpT10_ENKUlT_T0_E_clISt17integral_constantIbLb1EES19_IbLb0EEEEDaS15_S16_EUlS15_E_NS1_11comp_targetILNS1_3genE10ELNS1_11target_archE1200ELNS1_3gpuE4ELNS1_3repE0EEENS1_30default_config_static_selectorELNS0_4arch9wavefront6targetE1EEEvT1_ ; -- Begin function _ZN7rocprim17ROCPRIM_400000_NS6detail17trampoline_kernelINS0_14default_configENS1_25partition_config_selectorILNS1_17partition_subalgoE9EllbEEZZNS1_14partition_implILS5_9ELb0ES3_jPlS8_PNS0_10empty_typeENS0_5tupleIJS8_S9_EEENSB_IJS8_SA_EEENS0_18inequality_wrapperIZN2at6native12_GLOBAL__N_124unique_dim_cuda_templateIjEESt5tupleIJNSF_6TensorESK_SK_EERKSK_lbbbEUlllE0_EEPmJS9_EEE10hipError_tPvRmT3_T4_T5_T6_T7_T9_mT8_P12ihipStream_tbDpT10_ENKUlT_T0_E_clISt17integral_constantIbLb1EES19_IbLb0EEEEDaS15_S16_EUlS15_E_NS1_11comp_targetILNS1_3genE10ELNS1_11target_archE1200ELNS1_3gpuE4ELNS1_3repE0EEENS1_30default_config_static_selectorELNS0_4arch9wavefront6targetE1EEEvT1_
	.p2align	8
	.type	_ZN7rocprim17ROCPRIM_400000_NS6detail17trampoline_kernelINS0_14default_configENS1_25partition_config_selectorILNS1_17partition_subalgoE9EllbEEZZNS1_14partition_implILS5_9ELb0ES3_jPlS8_PNS0_10empty_typeENS0_5tupleIJS8_S9_EEENSB_IJS8_SA_EEENS0_18inequality_wrapperIZN2at6native12_GLOBAL__N_124unique_dim_cuda_templateIjEESt5tupleIJNSF_6TensorESK_SK_EERKSK_lbbbEUlllE0_EEPmJS9_EEE10hipError_tPvRmT3_T4_T5_T6_T7_T9_mT8_P12ihipStream_tbDpT10_ENKUlT_T0_E_clISt17integral_constantIbLb1EES19_IbLb0EEEEDaS15_S16_EUlS15_E_NS1_11comp_targetILNS1_3genE10ELNS1_11target_archE1200ELNS1_3gpuE4ELNS1_3repE0EEENS1_30default_config_static_selectorELNS0_4arch9wavefront6targetE1EEEvT1_,@function
_ZN7rocprim17ROCPRIM_400000_NS6detail17trampoline_kernelINS0_14default_configENS1_25partition_config_selectorILNS1_17partition_subalgoE9EllbEEZZNS1_14partition_implILS5_9ELb0ES3_jPlS8_PNS0_10empty_typeENS0_5tupleIJS8_S9_EEENSB_IJS8_SA_EEENS0_18inequality_wrapperIZN2at6native12_GLOBAL__N_124unique_dim_cuda_templateIjEESt5tupleIJNSF_6TensorESK_SK_EERKSK_lbbbEUlllE0_EEPmJS9_EEE10hipError_tPvRmT3_T4_T5_T6_T7_T9_mT8_P12ihipStream_tbDpT10_ENKUlT_T0_E_clISt17integral_constantIbLb1EES19_IbLb0EEEEDaS15_S16_EUlS15_E_NS1_11comp_targetILNS1_3genE10ELNS1_11target_archE1200ELNS1_3gpuE4ELNS1_3repE0EEENS1_30default_config_static_selectorELNS0_4arch9wavefront6targetE1EEEvT1_: ; @_ZN7rocprim17ROCPRIM_400000_NS6detail17trampoline_kernelINS0_14default_configENS1_25partition_config_selectorILNS1_17partition_subalgoE9EllbEEZZNS1_14partition_implILS5_9ELb0ES3_jPlS8_PNS0_10empty_typeENS0_5tupleIJS8_S9_EEENSB_IJS8_SA_EEENS0_18inequality_wrapperIZN2at6native12_GLOBAL__N_124unique_dim_cuda_templateIjEESt5tupleIJNSF_6TensorESK_SK_EERKSK_lbbbEUlllE0_EEPmJS9_EEE10hipError_tPvRmT3_T4_T5_T6_T7_T9_mT8_P12ihipStream_tbDpT10_ENKUlT_T0_E_clISt17integral_constantIbLb1EES19_IbLb0EEEEDaS15_S16_EUlS15_E_NS1_11comp_targetILNS1_3genE10ELNS1_11target_archE1200ELNS1_3gpuE4ELNS1_3repE0EEENS1_30default_config_static_selectorELNS0_4arch9wavefront6targetE1EEEvT1_
; %bb.0:
	.section	.rodata,"a",@progbits
	.p2align	6, 0x0
	.amdhsa_kernel _ZN7rocprim17ROCPRIM_400000_NS6detail17trampoline_kernelINS0_14default_configENS1_25partition_config_selectorILNS1_17partition_subalgoE9EllbEEZZNS1_14partition_implILS5_9ELb0ES3_jPlS8_PNS0_10empty_typeENS0_5tupleIJS8_S9_EEENSB_IJS8_SA_EEENS0_18inequality_wrapperIZN2at6native12_GLOBAL__N_124unique_dim_cuda_templateIjEESt5tupleIJNSF_6TensorESK_SK_EERKSK_lbbbEUlllE0_EEPmJS9_EEE10hipError_tPvRmT3_T4_T5_T6_T7_T9_mT8_P12ihipStream_tbDpT10_ENKUlT_T0_E_clISt17integral_constantIbLb1EES19_IbLb0EEEEDaS15_S16_EUlS15_E_NS1_11comp_targetILNS1_3genE10ELNS1_11target_archE1200ELNS1_3gpuE4ELNS1_3repE0EEENS1_30default_config_static_selectorELNS0_4arch9wavefront6targetE1EEEvT1_
		.amdhsa_group_segment_fixed_size 0
		.amdhsa_private_segment_fixed_size 0
		.amdhsa_kernarg_size 120
		.amdhsa_user_sgpr_count 6
		.amdhsa_user_sgpr_private_segment_buffer 1
		.amdhsa_user_sgpr_dispatch_ptr 0
		.amdhsa_user_sgpr_queue_ptr 0
		.amdhsa_user_sgpr_kernarg_segment_ptr 1
		.amdhsa_user_sgpr_dispatch_id 0
		.amdhsa_user_sgpr_flat_scratch_init 0
		.amdhsa_user_sgpr_kernarg_preload_length 0
		.amdhsa_user_sgpr_kernarg_preload_offset 0
		.amdhsa_user_sgpr_private_segment_size 0
		.amdhsa_uses_dynamic_stack 0
		.amdhsa_system_sgpr_private_segment_wavefront_offset 0
		.amdhsa_system_sgpr_workgroup_id_x 1
		.amdhsa_system_sgpr_workgroup_id_y 0
		.amdhsa_system_sgpr_workgroup_id_z 0
		.amdhsa_system_sgpr_workgroup_info 0
		.amdhsa_system_vgpr_workitem_id 0
		.amdhsa_next_free_vgpr 1
		.amdhsa_next_free_sgpr 0
		.amdhsa_accum_offset 4
		.amdhsa_reserve_vcc 0
		.amdhsa_reserve_flat_scratch 0
		.amdhsa_float_round_mode_32 0
		.amdhsa_float_round_mode_16_64 0
		.amdhsa_float_denorm_mode_32 3
		.amdhsa_float_denorm_mode_16_64 3
		.amdhsa_dx10_clamp 1
		.amdhsa_ieee_mode 1
		.amdhsa_fp16_overflow 0
		.amdhsa_tg_split 0
		.amdhsa_exception_fp_ieee_invalid_op 0
		.amdhsa_exception_fp_denorm_src 0
		.amdhsa_exception_fp_ieee_div_zero 0
		.amdhsa_exception_fp_ieee_overflow 0
		.amdhsa_exception_fp_ieee_underflow 0
		.amdhsa_exception_fp_ieee_inexact 0
		.amdhsa_exception_int_div_zero 0
	.end_amdhsa_kernel
	.section	.text._ZN7rocprim17ROCPRIM_400000_NS6detail17trampoline_kernelINS0_14default_configENS1_25partition_config_selectorILNS1_17partition_subalgoE9EllbEEZZNS1_14partition_implILS5_9ELb0ES3_jPlS8_PNS0_10empty_typeENS0_5tupleIJS8_S9_EEENSB_IJS8_SA_EEENS0_18inequality_wrapperIZN2at6native12_GLOBAL__N_124unique_dim_cuda_templateIjEESt5tupleIJNSF_6TensorESK_SK_EERKSK_lbbbEUlllE0_EEPmJS9_EEE10hipError_tPvRmT3_T4_T5_T6_T7_T9_mT8_P12ihipStream_tbDpT10_ENKUlT_T0_E_clISt17integral_constantIbLb1EES19_IbLb0EEEEDaS15_S16_EUlS15_E_NS1_11comp_targetILNS1_3genE10ELNS1_11target_archE1200ELNS1_3gpuE4ELNS1_3repE0EEENS1_30default_config_static_selectorELNS0_4arch9wavefront6targetE1EEEvT1_,"axG",@progbits,_ZN7rocprim17ROCPRIM_400000_NS6detail17trampoline_kernelINS0_14default_configENS1_25partition_config_selectorILNS1_17partition_subalgoE9EllbEEZZNS1_14partition_implILS5_9ELb0ES3_jPlS8_PNS0_10empty_typeENS0_5tupleIJS8_S9_EEENSB_IJS8_SA_EEENS0_18inequality_wrapperIZN2at6native12_GLOBAL__N_124unique_dim_cuda_templateIjEESt5tupleIJNSF_6TensorESK_SK_EERKSK_lbbbEUlllE0_EEPmJS9_EEE10hipError_tPvRmT3_T4_T5_T6_T7_T9_mT8_P12ihipStream_tbDpT10_ENKUlT_T0_E_clISt17integral_constantIbLb1EES19_IbLb0EEEEDaS15_S16_EUlS15_E_NS1_11comp_targetILNS1_3genE10ELNS1_11target_archE1200ELNS1_3gpuE4ELNS1_3repE0EEENS1_30default_config_static_selectorELNS0_4arch9wavefront6targetE1EEEvT1_,comdat
.Lfunc_end1592:
	.size	_ZN7rocprim17ROCPRIM_400000_NS6detail17trampoline_kernelINS0_14default_configENS1_25partition_config_selectorILNS1_17partition_subalgoE9EllbEEZZNS1_14partition_implILS5_9ELb0ES3_jPlS8_PNS0_10empty_typeENS0_5tupleIJS8_S9_EEENSB_IJS8_SA_EEENS0_18inequality_wrapperIZN2at6native12_GLOBAL__N_124unique_dim_cuda_templateIjEESt5tupleIJNSF_6TensorESK_SK_EERKSK_lbbbEUlllE0_EEPmJS9_EEE10hipError_tPvRmT3_T4_T5_T6_T7_T9_mT8_P12ihipStream_tbDpT10_ENKUlT_T0_E_clISt17integral_constantIbLb1EES19_IbLb0EEEEDaS15_S16_EUlS15_E_NS1_11comp_targetILNS1_3genE10ELNS1_11target_archE1200ELNS1_3gpuE4ELNS1_3repE0EEENS1_30default_config_static_selectorELNS0_4arch9wavefront6targetE1EEEvT1_, .Lfunc_end1592-_ZN7rocprim17ROCPRIM_400000_NS6detail17trampoline_kernelINS0_14default_configENS1_25partition_config_selectorILNS1_17partition_subalgoE9EllbEEZZNS1_14partition_implILS5_9ELb0ES3_jPlS8_PNS0_10empty_typeENS0_5tupleIJS8_S9_EEENSB_IJS8_SA_EEENS0_18inequality_wrapperIZN2at6native12_GLOBAL__N_124unique_dim_cuda_templateIjEESt5tupleIJNSF_6TensorESK_SK_EERKSK_lbbbEUlllE0_EEPmJS9_EEE10hipError_tPvRmT3_T4_T5_T6_T7_T9_mT8_P12ihipStream_tbDpT10_ENKUlT_T0_E_clISt17integral_constantIbLb1EES19_IbLb0EEEEDaS15_S16_EUlS15_E_NS1_11comp_targetILNS1_3genE10ELNS1_11target_archE1200ELNS1_3gpuE4ELNS1_3repE0EEENS1_30default_config_static_selectorELNS0_4arch9wavefront6targetE1EEEvT1_
                                        ; -- End function
	.section	.AMDGPU.csdata,"",@progbits
; Kernel info:
; codeLenInByte = 0
; NumSgprs: 4
; NumVgprs: 0
; NumAgprs: 0
; TotalNumVgprs: 0
; ScratchSize: 0
; MemoryBound: 0
; FloatMode: 240
; IeeeMode: 1
; LDSByteSize: 0 bytes/workgroup (compile time only)
; SGPRBlocks: 0
; VGPRBlocks: 0
; NumSGPRsForWavesPerEU: 4
; NumVGPRsForWavesPerEU: 1
; AccumOffset: 4
; Occupancy: 8
; WaveLimiterHint : 0
; COMPUTE_PGM_RSRC2:SCRATCH_EN: 0
; COMPUTE_PGM_RSRC2:USER_SGPR: 6
; COMPUTE_PGM_RSRC2:TRAP_HANDLER: 0
; COMPUTE_PGM_RSRC2:TGID_X_EN: 1
; COMPUTE_PGM_RSRC2:TGID_Y_EN: 0
; COMPUTE_PGM_RSRC2:TGID_Z_EN: 0
; COMPUTE_PGM_RSRC2:TIDIG_COMP_CNT: 0
; COMPUTE_PGM_RSRC3_GFX90A:ACCUM_OFFSET: 0
; COMPUTE_PGM_RSRC3_GFX90A:TG_SPLIT: 0
	.section	.text._ZN7rocprim17ROCPRIM_400000_NS6detail17trampoline_kernelINS0_14default_configENS1_25partition_config_selectorILNS1_17partition_subalgoE9EllbEEZZNS1_14partition_implILS5_9ELb0ES3_jPlS8_PNS0_10empty_typeENS0_5tupleIJS8_S9_EEENSB_IJS8_SA_EEENS0_18inequality_wrapperIZN2at6native12_GLOBAL__N_124unique_dim_cuda_templateIjEESt5tupleIJNSF_6TensorESK_SK_EERKSK_lbbbEUlllE0_EEPmJS9_EEE10hipError_tPvRmT3_T4_T5_T6_T7_T9_mT8_P12ihipStream_tbDpT10_ENKUlT_T0_E_clISt17integral_constantIbLb1EES19_IbLb0EEEEDaS15_S16_EUlS15_E_NS1_11comp_targetILNS1_3genE9ELNS1_11target_archE1100ELNS1_3gpuE3ELNS1_3repE0EEENS1_30default_config_static_selectorELNS0_4arch9wavefront6targetE1EEEvT1_,"axG",@progbits,_ZN7rocprim17ROCPRIM_400000_NS6detail17trampoline_kernelINS0_14default_configENS1_25partition_config_selectorILNS1_17partition_subalgoE9EllbEEZZNS1_14partition_implILS5_9ELb0ES3_jPlS8_PNS0_10empty_typeENS0_5tupleIJS8_S9_EEENSB_IJS8_SA_EEENS0_18inequality_wrapperIZN2at6native12_GLOBAL__N_124unique_dim_cuda_templateIjEESt5tupleIJNSF_6TensorESK_SK_EERKSK_lbbbEUlllE0_EEPmJS9_EEE10hipError_tPvRmT3_T4_T5_T6_T7_T9_mT8_P12ihipStream_tbDpT10_ENKUlT_T0_E_clISt17integral_constantIbLb1EES19_IbLb0EEEEDaS15_S16_EUlS15_E_NS1_11comp_targetILNS1_3genE9ELNS1_11target_archE1100ELNS1_3gpuE3ELNS1_3repE0EEENS1_30default_config_static_selectorELNS0_4arch9wavefront6targetE1EEEvT1_,comdat
	.globl	_ZN7rocprim17ROCPRIM_400000_NS6detail17trampoline_kernelINS0_14default_configENS1_25partition_config_selectorILNS1_17partition_subalgoE9EllbEEZZNS1_14partition_implILS5_9ELb0ES3_jPlS8_PNS0_10empty_typeENS0_5tupleIJS8_S9_EEENSB_IJS8_SA_EEENS0_18inequality_wrapperIZN2at6native12_GLOBAL__N_124unique_dim_cuda_templateIjEESt5tupleIJNSF_6TensorESK_SK_EERKSK_lbbbEUlllE0_EEPmJS9_EEE10hipError_tPvRmT3_T4_T5_T6_T7_T9_mT8_P12ihipStream_tbDpT10_ENKUlT_T0_E_clISt17integral_constantIbLb1EES19_IbLb0EEEEDaS15_S16_EUlS15_E_NS1_11comp_targetILNS1_3genE9ELNS1_11target_archE1100ELNS1_3gpuE3ELNS1_3repE0EEENS1_30default_config_static_selectorELNS0_4arch9wavefront6targetE1EEEvT1_ ; -- Begin function _ZN7rocprim17ROCPRIM_400000_NS6detail17trampoline_kernelINS0_14default_configENS1_25partition_config_selectorILNS1_17partition_subalgoE9EllbEEZZNS1_14partition_implILS5_9ELb0ES3_jPlS8_PNS0_10empty_typeENS0_5tupleIJS8_S9_EEENSB_IJS8_SA_EEENS0_18inequality_wrapperIZN2at6native12_GLOBAL__N_124unique_dim_cuda_templateIjEESt5tupleIJNSF_6TensorESK_SK_EERKSK_lbbbEUlllE0_EEPmJS9_EEE10hipError_tPvRmT3_T4_T5_T6_T7_T9_mT8_P12ihipStream_tbDpT10_ENKUlT_T0_E_clISt17integral_constantIbLb1EES19_IbLb0EEEEDaS15_S16_EUlS15_E_NS1_11comp_targetILNS1_3genE9ELNS1_11target_archE1100ELNS1_3gpuE3ELNS1_3repE0EEENS1_30default_config_static_selectorELNS0_4arch9wavefront6targetE1EEEvT1_
	.p2align	8
	.type	_ZN7rocprim17ROCPRIM_400000_NS6detail17trampoline_kernelINS0_14default_configENS1_25partition_config_selectorILNS1_17partition_subalgoE9EllbEEZZNS1_14partition_implILS5_9ELb0ES3_jPlS8_PNS0_10empty_typeENS0_5tupleIJS8_S9_EEENSB_IJS8_SA_EEENS0_18inequality_wrapperIZN2at6native12_GLOBAL__N_124unique_dim_cuda_templateIjEESt5tupleIJNSF_6TensorESK_SK_EERKSK_lbbbEUlllE0_EEPmJS9_EEE10hipError_tPvRmT3_T4_T5_T6_T7_T9_mT8_P12ihipStream_tbDpT10_ENKUlT_T0_E_clISt17integral_constantIbLb1EES19_IbLb0EEEEDaS15_S16_EUlS15_E_NS1_11comp_targetILNS1_3genE9ELNS1_11target_archE1100ELNS1_3gpuE3ELNS1_3repE0EEENS1_30default_config_static_selectorELNS0_4arch9wavefront6targetE1EEEvT1_,@function
_ZN7rocprim17ROCPRIM_400000_NS6detail17trampoline_kernelINS0_14default_configENS1_25partition_config_selectorILNS1_17partition_subalgoE9EllbEEZZNS1_14partition_implILS5_9ELb0ES3_jPlS8_PNS0_10empty_typeENS0_5tupleIJS8_S9_EEENSB_IJS8_SA_EEENS0_18inequality_wrapperIZN2at6native12_GLOBAL__N_124unique_dim_cuda_templateIjEESt5tupleIJNSF_6TensorESK_SK_EERKSK_lbbbEUlllE0_EEPmJS9_EEE10hipError_tPvRmT3_T4_T5_T6_T7_T9_mT8_P12ihipStream_tbDpT10_ENKUlT_T0_E_clISt17integral_constantIbLb1EES19_IbLb0EEEEDaS15_S16_EUlS15_E_NS1_11comp_targetILNS1_3genE9ELNS1_11target_archE1100ELNS1_3gpuE3ELNS1_3repE0EEENS1_30default_config_static_selectorELNS0_4arch9wavefront6targetE1EEEvT1_: ; @_ZN7rocprim17ROCPRIM_400000_NS6detail17trampoline_kernelINS0_14default_configENS1_25partition_config_selectorILNS1_17partition_subalgoE9EllbEEZZNS1_14partition_implILS5_9ELb0ES3_jPlS8_PNS0_10empty_typeENS0_5tupleIJS8_S9_EEENSB_IJS8_SA_EEENS0_18inequality_wrapperIZN2at6native12_GLOBAL__N_124unique_dim_cuda_templateIjEESt5tupleIJNSF_6TensorESK_SK_EERKSK_lbbbEUlllE0_EEPmJS9_EEE10hipError_tPvRmT3_T4_T5_T6_T7_T9_mT8_P12ihipStream_tbDpT10_ENKUlT_T0_E_clISt17integral_constantIbLb1EES19_IbLb0EEEEDaS15_S16_EUlS15_E_NS1_11comp_targetILNS1_3genE9ELNS1_11target_archE1100ELNS1_3gpuE3ELNS1_3repE0EEENS1_30default_config_static_selectorELNS0_4arch9wavefront6targetE1EEEvT1_
; %bb.0:
	.section	.rodata,"a",@progbits
	.p2align	6, 0x0
	.amdhsa_kernel _ZN7rocprim17ROCPRIM_400000_NS6detail17trampoline_kernelINS0_14default_configENS1_25partition_config_selectorILNS1_17partition_subalgoE9EllbEEZZNS1_14partition_implILS5_9ELb0ES3_jPlS8_PNS0_10empty_typeENS0_5tupleIJS8_S9_EEENSB_IJS8_SA_EEENS0_18inequality_wrapperIZN2at6native12_GLOBAL__N_124unique_dim_cuda_templateIjEESt5tupleIJNSF_6TensorESK_SK_EERKSK_lbbbEUlllE0_EEPmJS9_EEE10hipError_tPvRmT3_T4_T5_T6_T7_T9_mT8_P12ihipStream_tbDpT10_ENKUlT_T0_E_clISt17integral_constantIbLb1EES19_IbLb0EEEEDaS15_S16_EUlS15_E_NS1_11comp_targetILNS1_3genE9ELNS1_11target_archE1100ELNS1_3gpuE3ELNS1_3repE0EEENS1_30default_config_static_selectorELNS0_4arch9wavefront6targetE1EEEvT1_
		.amdhsa_group_segment_fixed_size 0
		.amdhsa_private_segment_fixed_size 0
		.amdhsa_kernarg_size 120
		.amdhsa_user_sgpr_count 6
		.amdhsa_user_sgpr_private_segment_buffer 1
		.amdhsa_user_sgpr_dispatch_ptr 0
		.amdhsa_user_sgpr_queue_ptr 0
		.amdhsa_user_sgpr_kernarg_segment_ptr 1
		.amdhsa_user_sgpr_dispatch_id 0
		.amdhsa_user_sgpr_flat_scratch_init 0
		.amdhsa_user_sgpr_kernarg_preload_length 0
		.amdhsa_user_sgpr_kernarg_preload_offset 0
		.amdhsa_user_sgpr_private_segment_size 0
		.amdhsa_uses_dynamic_stack 0
		.amdhsa_system_sgpr_private_segment_wavefront_offset 0
		.amdhsa_system_sgpr_workgroup_id_x 1
		.amdhsa_system_sgpr_workgroup_id_y 0
		.amdhsa_system_sgpr_workgroup_id_z 0
		.amdhsa_system_sgpr_workgroup_info 0
		.amdhsa_system_vgpr_workitem_id 0
		.amdhsa_next_free_vgpr 1
		.amdhsa_next_free_sgpr 0
		.amdhsa_accum_offset 4
		.amdhsa_reserve_vcc 0
		.amdhsa_reserve_flat_scratch 0
		.amdhsa_float_round_mode_32 0
		.amdhsa_float_round_mode_16_64 0
		.amdhsa_float_denorm_mode_32 3
		.amdhsa_float_denorm_mode_16_64 3
		.amdhsa_dx10_clamp 1
		.amdhsa_ieee_mode 1
		.amdhsa_fp16_overflow 0
		.amdhsa_tg_split 0
		.amdhsa_exception_fp_ieee_invalid_op 0
		.amdhsa_exception_fp_denorm_src 0
		.amdhsa_exception_fp_ieee_div_zero 0
		.amdhsa_exception_fp_ieee_overflow 0
		.amdhsa_exception_fp_ieee_underflow 0
		.amdhsa_exception_fp_ieee_inexact 0
		.amdhsa_exception_int_div_zero 0
	.end_amdhsa_kernel
	.section	.text._ZN7rocprim17ROCPRIM_400000_NS6detail17trampoline_kernelINS0_14default_configENS1_25partition_config_selectorILNS1_17partition_subalgoE9EllbEEZZNS1_14partition_implILS5_9ELb0ES3_jPlS8_PNS0_10empty_typeENS0_5tupleIJS8_S9_EEENSB_IJS8_SA_EEENS0_18inequality_wrapperIZN2at6native12_GLOBAL__N_124unique_dim_cuda_templateIjEESt5tupleIJNSF_6TensorESK_SK_EERKSK_lbbbEUlllE0_EEPmJS9_EEE10hipError_tPvRmT3_T4_T5_T6_T7_T9_mT8_P12ihipStream_tbDpT10_ENKUlT_T0_E_clISt17integral_constantIbLb1EES19_IbLb0EEEEDaS15_S16_EUlS15_E_NS1_11comp_targetILNS1_3genE9ELNS1_11target_archE1100ELNS1_3gpuE3ELNS1_3repE0EEENS1_30default_config_static_selectorELNS0_4arch9wavefront6targetE1EEEvT1_,"axG",@progbits,_ZN7rocprim17ROCPRIM_400000_NS6detail17trampoline_kernelINS0_14default_configENS1_25partition_config_selectorILNS1_17partition_subalgoE9EllbEEZZNS1_14partition_implILS5_9ELb0ES3_jPlS8_PNS0_10empty_typeENS0_5tupleIJS8_S9_EEENSB_IJS8_SA_EEENS0_18inequality_wrapperIZN2at6native12_GLOBAL__N_124unique_dim_cuda_templateIjEESt5tupleIJNSF_6TensorESK_SK_EERKSK_lbbbEUlllE0_EEPmJS9_EEE10hipError_tPvRmT3_T4_T5_T6_T7_T9_mT8_P12ihipStream_tbDpT10_ENKUlT_T0_E_clISt17integral_constantIbLb1EES19_IbLb0EEEEDaS15_S16_EUlS15_E_NS1_11comp_targetILNS1_3genE9ELNS1_11target_archE1100ELNS1_3gpuE3ELNS1_3repE0EEENS1_30default_config_static_selectorELNS0_4arch9wavefront6targetE1EEEvT1_,comdat
.Lfunc_end1593:
	.size	_ZN7rocprim17ROCPRIM_400000_NS6detail17trampoline_kernelINS0_14default_configENS1_25partition_config_selectorILNS1_17partition_subalgoE9EllbEEZZNS1_14partition_implILS5_9ELb0ES3_jPlS8_PNS0_10empty_typeENS0_5tupleIJS8_S9_EEENSB_IJS8_SA_EEENS0_18inequality_wrapperIZN2at6native12_GLOBAL__N_124unique_dim_cuda_templateIjEESt5tupleIJNSF_6TensorESK_SK_EERKSK_lbbbEUlllE0_EEPmJS9_EEE10hipError_tPvRmT3_T4_T5_T6_T7_T9_mT8_P12ihipStream_tbDpT10_ENKUlT_T0_E_clISt17integral_constantIbLb1EES19_IbLb0EEEEDaS15_S16_EUlS15_E_NS1_11comp_targetILNS1_3genE9ELNS1_11target_archE1100ELNS1_3gpuE3ELNS1_3repE0EEENS1_30default_config_static_selectorELNS0_4arch9wavefront6targetE1EEEvT1_, .Lfunc_end1593-_ZN7rocprim17ROCPRIM_400000_NS6detail17trampoline_kernelINS0_14default_configENS1_25partition_config_selectorILNS1_17partition_subalgoE9EllbEEZZNS1_14partition_implILS5_9ELb0ES3_jPlS8_PNS0_10empty_typeENS0_5tupleIJS8_S9_EEENSB_IJS8_SA_EEENS0_18inequality_wrapperIZN2at6native12_GLOBAL__N_124unique_dim_cuda_templateIjEESt5tupleIJNSF_6TensorESK_SK_EERKSK_lbbbEUlllE0_EEPmJS9_EEE10hipError_tPvRmT3_T4_T5_T6_T7_T9_mT8_P12ihipStream_tbDpT10_ENKUlT_T0_E_clISt17integral_constantIbLb1EES19_IbLb0EEEEDaS15_S16_EUlS15_E_NS1_11comp_targetILNS1_3genE9ELNS1_11target_archE1100ELNS1_3gpuE3ELNS1_3repE0EEENS1_30default_config_static_selectorELNS0_4arch9wavefront6targetE1EEEvT1_
                                        ; -- End function
	.section	.AMDGPU.csdata,"",@progbits
; Kernel info:
; codeLenInByte = 0
; NumSgprs: 4
; NumVgprs: 0
; NumAgprs: 0
; TotalNumVgprs: 0
; ScratchSize: 0
; MemoryBound: 0
; FloatMode: 240
; IeeeMode: 1
; LDSByteSize: 0 bytes/workgroup (compile time only)
; SGPRBlocks: 0
; VGPRBlocks: 0
; NumSGPRsForWavesPerEU: 4
; NumVGPRsForWavesPerEU: 1
; AccumOffset: 4
; Occupancy: 8
; WaveLimiterHint : 0
; COMPUTE_PGM_RSRC2:SCRATCH_EN: 0
; COMPUTE_PGM_RSRC2:USER_SGPR: 6
; COMPUTE_PGM_RSRC2:TRAP_HANDLER: 0
; COMPUTE_PGM_RSRC2:TGID_X_EN: 1
; COMPUTE_PGM_RSRC2:TGID_Y_EN: 0
; COMPUTE_PGM_RSRC2:TGID_Z_EN: 0
; COMPUTE_PGM_RSRC2:TIDIG_COMP_CNT: 0
; COMPUTE_PGM_RSRC3_GFX90A:ACCUM_OFFSET: 0
; COMPUTE_PGM_RSRC3_GFX90A:TG_SPLIT: 0
	.section	.text._ZN7rocprim17ROCPRIM_400000_NS6detail17trampoline_kernelINS0_14default_configENS1_25partition_config_selectorILNS1_17partition_subalgoE9EllbEEZZNS1_14partition_implILS5_9ELb0ES3_jPlS8_PNS0_10empty_typeENS0_5tupleIJS8_S9_EEENSB_IJS8_SA_EEENS0_18inequality_wrapperIZN2at6native12_GLOBAL__N_124unique_dim_cuda_templateIjEESt5tupleIJNSF_6TensorESK_SK_EERKSK_lbbbEUlllE0_EEPmJS9_EEE10hipError_tPvRmT3_T4_T5_T6_T7_T9_mT8_P12ihipStream_tbDpT10_ENKUlT_T0_E_clISt17integral_constantIbLb1EES19_IbLb0EEEEDaS15_S16_EUlS15_E_NS1_11comp_targetILNS1_3genE8ELNS1_11target_archE1030ELNS1_3gpuE2ELNS1_3repE0EEENS1_30default_config_static_selectorELNS0_4arch9wavefront6targetE1EEEvT1_,"axG",@progbits,_ZN7rocprim17ROCPRIM_400000_NS6detail17trampoline_kernelINS0_14default_configENS1_25partition_config_selectorILNS1_17partition_subalgoE9EllbEEZZNS1_14partition_implILS5_9ELb0ES3_jPlS8_PNS0_10empty_typeENS0_5tupleIJS8_S9_EEENSB_IJS8_SA_EEENS0_18inequality_wrapperIZN2at6native12_GLOBAL__N_124unique_dim_cuda_templateIjEESt5tupleIJNSF_6TensorESK_SK_EERKSK_lbbbEUlllE0_EEPmJS9_EEE10hipError_tPvRmT3_T4_T5_T6_T7_T9_mT8_P12ihipStream_tbDpT10_ENKUlT_T0_E_clISt17integral_constantIbLb1EES19_IbLb0EEEEDaS15_S16_EUlS15_E_NS1_11comp_targetILNS1_3genE8ELNS1_11target_archE1030ELNS1_3gpuE2ELNS1_3repE0EEENS1_30default_config_static_selectorELNS0_4arch9wavefront6targetE1EEEvT1_,comdat
	.globl	_ZN7rocprim17ROCPRIM_400000_NS6detail17trampoline_kernelINS0_14default_configENS1_25partition_config_selectorILNS1_17partition_subalgoE9EllbEEZZNS1_14partition_implILS5_9ELb0ES3_jPlS8_PNS0_10empty_typeENS0_5tupleIJS8_S9_EEENSB_IJS8_SA_EEENS0_18inequality_wrapperIZN2at6native12_GLOBAL__N_124unique_dim_cuda_templateIjEESt5tupleIJNSF_6TensorESK_SK_EERKSK_lbbbEUlllE0_EEPmJS9_EEE10hipError_tPvRmT3_T4_T5_T6_T7_T9_mT8_P12ihipStream_tbDpT10_ENKUlT_T0_E_clISt17integral_constantIbLb1EES19_IbLb0EEEEDaS15_S16_EUlS15_E_NS1_11comp_targetILNS1_3genE8ELNS1_11target_archE1030ELNS1_3gpuE2ELNS1_3repE0EEENS1_30default_config_static_selectorELNS0_4arch9wavefront6targetE1EEEvT1_ ; -- Begin function _ZN7rocprim17ROCPRIM_400000_NS6detail17trampoline_kernelINS0_14default_configENS1_25partition_config_selectorILNS1_17partition_subalgoE9EllbEEZZNS1_14partition_implILS5_9ELb0ES3_jPlS8_PNS0_10empty_typeENS0_5tupleIJS8_S9_EEENSB_IJS8_SA_EEENS0_18inequality_wrapperIZN2at6native12_GLOBAL__N_124unique_dim_cuda_templateIjEESt5tupleIJNSF_6TensorESK_SK_EERKSK_lbbbEUlllE0_EEPmJS9_EEE10hipError_tPvRmT3_T4_T5_T6_T7_T9_mT8_P12ihipStream_tbDpT10_ENKUlT_T0_E_clISt17integral_constantIbLb1EES19_IbLb0EEEEDaS15_S16_EUlS15_E_NS1_11comp_targetILNS1_3genE8ELNS1_11target_archE1030ELNS1_3gpuE2ELNS1_3repE0EEENS1_30default_config_static_selectorELNS0_4arch9wavefront6targetE1EEEvT1_
	.p2align	8
	.type	_ZN7rocprim17ROCPRIM_400000_NS6detail17trampoline_kernelINS0_14default_configENS1_25partition_config_selectorILNS1_17partition_subalgoE9EllbEEZZNS1_14partition_implILS5_9ELb0ES3_jPlS8_PNS0_10empty_typeENS0_5tupleIJS8_S9_EEENSB_IJS8_SA_EEENS0_18inequality_wrapperIZN2at6native12_GLOBAL__N_124unique_dim_cuda_templateIjEESt5tupleIJNSF_6TensorESK_SK_EERKSK_lbbbEUlllE0_EEPmJS9_EEE10hipError_tPvRmT3_T4_T5_T6_T7_T9_mT8_P12ihipStream_tbDpT10_ENKUlT_T0_E_clISt17integral_constantIbLb1EES19_IbLb0EEEEDaS15_S16_EUlS15_E_NS1_11comp_targetILNS1_3genE8ELNS1_11target_archE1030ELNS1_3gpuE2ELNS1_3repE0EEENS1_30default_config_static_selectorELNS0_4arch9wavefront6targetE1EEEvT1_,@function
_ZN7rocprim17ROCPRIM_400000_NS6detail17trampoline_kernelINS0_14default_configENS1_25partition_config_selectorILNS1_17partition_subalgoE9EllbEEZZNS1_14partition_implILS5_9ELb0ES3_jPlS8_PNS0_10empty_typeENS0_5tupleIJS8_S9_EEENSB_IJS8_SA_EEENS0_18inequality_wrapperIZN2at6native12_GLOBAL__N_124unique_dim_cuda_templateIjEESt5tupleIJNSF_6TensorESK_SK_EERKSK_lbbbEUlllE0_EEPmJS9_EEE10hipError_tPvRmT3_T4_T5_T6_T7_T9_mT8_P12ihipStream_tbDpT10_ENKUlT_T0_E_clISt17integral_constantIbLb1EES19_IbLb0EEEEDaS15_S16_EUlS15_E_NS1_11comp_targetILNS1_3genE8ELNS1_11target_archE1030ELNS1_3gpuE2ELNS1_3repE0EEENS1_30default_config_static_selectorELNS0_4arch9wavefront6targetE1EEEvT1_: ; @_ZN7rocprim17ROCPRIM_400000_NS6detail17trampoline_kernelINS0_14default_configENS1_25partition_config_selectorILNS1_17partition_subalgoE9EllbEEZZNS1_14partition_implILS5_9ELb0ES3_jPlS8_PNS0_10empty_typeENS0_5tupleIJS8_S9_EEENSB_IJS8_SA_EEENS0_18inequality_wrapperIZN2at6native12_GLOBAL__N_124unique_dim_cuda_templateIjEESt5tupleIJNSF_6TensorESK_SK_EERKSK_lbbbEUlllE0_EEPmJS9_EEE10hipError_tPvRmT3_T4_T5_T6_T7_T9_mT8_P12ihipStream_tbDpT10_ENKUlT_T0_E_clISt17integral_constantIbLb1EES19_IbLb0EEEEDaS15_S16_EUlS15_E_NS1_11comp_targetILNS1_3genE8ELNS1_11target_archE1030ELNS1_3gpuE2ELNS1_3repE0EEENS1_30default_config_static_selectorELNS0_4arch9wavefront6targetE1EEEvT1_
; %bb.0:
	.section	.rodata,"a",@progbits
	.p2align	6, 0x0
	.amdhsa_kernel _ZN7rocprim17ROCPRIM_400000_NS6detail17trampoline_kernelINS0_14default_configENS1_25partition_config_selectorILNS1_17partition_subalgoE9EllbEEZZNS1_14partition_implILS5_9ELb0ES3_jPlS8_PNS0_10empty_typeENS0_5tupleIJS8_S9_EEENSB_IJS8_SA_EEENS0_18inequality_wrapperIZN2at6native12_GLOBAL__N_124unique_dim_cuda_templateIjEESt5tupleIJNSF_6TensorESK_SK_EERKSK_lbbbEUlllE0_EEPmJS9_EEE10hipError_tPvRmT3_T4_T5_T6_T7_T9_mT8_P12ihipStream_tbDpT10_ENKUlT_T0_E_clISt17integral_constantIbLb1EES19_IbLb0EEEEDaS15_S16_EUlS15_E_NS1_11comp_targetILNS1_3genE8ELNS1_11target_archE1030ELNS1_3gpuE2ELNS1_3repE0EEENS1_30default_config_static_selectorELNS0_4arch9wavefront6targetE1EEEvT1_
		.amdhsa_group_segment_fixed_size 0
		.amdhsa_private_segment_fixed_size 0
		.amdhsa_kernarg_size 120
		.amdhsa_user_sgpr_count 6
		.amdhsa_user_sgpr_private_segment_buffer 1
		.amdhsa_user_sgpr_dispatch_ptr 0
		.amdhsa_user_sgpr_queue_ptr 0
		.amdhsa_user_sgpr_kernarg_segment_ptr 1
		.amdhsa_user_sgpr_dispatch_id 0
		.amdhsa_user_sgpr_flat_scratch_init 0
		.amdhsa_user_sgpr_kernarg_preload_length 0
		.amdhsa_user_sgpr_kernarg_preload_offset 0
		.amdhsa_user_sgpr_private_segment_size 0
		.amdhsa_uses_dynamic_stack 0
		.amdhsa_system_sgpr_private_segment_wavefront_offset 0
		.amdhsa_system_sgpr_workgroup_id_x 1
		.amdhsa_system_sgpr_workgroup_id_y 0
		.amdhsa_system_sgpr_workgroup_id_z 0
		.amdhsa_system_sgpr_workgroup_info 0
		.amdhsa_system_vgpr_workitem_id 0
		.amdhsa_next_free_vgpr 1
		.amdhsa_next_free_sgpr 0
		.amdhsa_accum_offset 4
		.amdhsa_reserve_vcc 0
		.amdhsa_reserve_flat_scratch 0
		.amdhsa_float_round_mode_32 0
		.amdhsa_float_round_mode_16_64 0
		.amdhsa_float_denorm_mode_32 3
		.amdhsa_float_denorm_mode_16_64 3
		.amdhsa_dx10_clamp 1
		.amdhsa_ieee_mode 1
		.amdhsa_fp16_overflow 0
		.amdhsa_tg_split 0
		.amdhsa_exception_fp_ieee_invalid_op 0
		.amdhsa_exception_fp_denorm_src 0
		.amdhsa_exception_fp_ieee_div_zero 0
		.amdhsa_exception_fp_ieee_overflow 0
		.amdhsa_exception_fp_ieee_underflow 0
		.amdhsa_exception_fp_ieee_inexact 0
		.amdhsa_exception_int_div_zero 0
	.end_amdhsa_kernel
	.section	.text._ZN7rocprim17ROCPRIM_400000_NS6detail17trampoline_kernelINS0_14default_configENS1_25partition_config_selectorILNS1_17partition_subalgoE9EllbEEZZNS1_14partition_implILS5_9ELb0ES3_jPlS8_PNS0_10empty_typeENS0_5tupleIJS8_S9_EEENSB_IJS8_SA_EEENS0_18inequality_wrapperIZN2at6native12_GLOBAL__N_124unique_dim_cuda_templateIjEESt5tupleIJNSF_6TensorESK_SK_EERKSK_lbbbEUlllE0_EEPmJS9_EEE10hipError_tPvRmT3_T4_T5_T6_T7_T9_mT8_P12ihipStream_tbDpT10_ENKUlT_T0_E_clISt17integral_constantIbLb1EES19_IbLb0EEEEDaS15_S16_EUlS15_E_NS1_11comp_targetILNS1_3genE8ELNS1_11target_archE1030ELNS1_3gpuE2ELNS1_3repE0EEENS1_30default_config_static_selectorELNS0_4arch9wavefront6targetE1EEEvT1_,"axG",@progbits,_ZN7rocprim17ROCPRIM_400000_NS6detail17trampoline_kernelINS0_14default_configENS1_25partition_config_selectorILNS1_17partition_subalgoE9EllbEEZZNS1_14partition_implILS5_9ELb0ES3_jPlS8_PNS0_10empty_typeENS0_5tupleIJS8_S9_EEENSB_IJS8_SA_EEENS0_18inequality_wrapperIZN2at6native12_GLOBAL__N_124unique_dim_cuda_templateIjEESt5tupleIJNSF_6TensorESK_SK_EERKSK_lbbbEUlllE0_EEPmJS9_EEE10hipError_tPvRmT3_T4_T5_T6_T7_T9_mT8_P12ihipStream_tbDpT10_ENKUlT_T0_E_clISt17integral_constantIbLb1EES19_IbLb0EEEEDaS15_S16_EUlS15_E_NS1_11comp_targetILNS1_3genE8ELNS1_11target_archE1030ELNS1_3gpuE2ELNS1_3repE0EEENS1_30default_config_static_selectorELNS0_4arch9wavefront6targetE1EEEvT1_,comdat
.Lfunc_end1594:
	.size	_ZN7rocprim17ROCPRIM_400000_NS6detail17trampoline_kernelINS0_14default_configENS1_25partition_config_selectorILNS1_17partition_subalgoE9EllbEEZZNS1_14partition_implILS5_9ELb0ES3_jPlS8_PNS0_10empty_typeENS0_5tupleIJS8_S9_EEENSB_IJS8_SA_EEENS0_18inequality_wrapperIZN2at6native12_GLOBAL__N_124unique_dim_cuda_templateIjEESt5tupleIJNSF_6TensorESK_SK_EERKSK_lbbbEUlllE0_EEPmJS9_EEE10hipError_tPvRmT3_T4_T5_T6_T7_T9_mT8_P12ihipStream_tbDpT10_ENKUlT_T0_E_clISt17integral_constantIbLb1EES19_IbLb0EEEEDaS15_S16_EUlS15_E_NS1_11comp_targetILNS1_3genE8ELNS1_11target_archE1030ELNS1_3gpuE2ELNS1_3repE0EEENS1_30default_config_static_selectorELNS0_4arch9wavefront6targetE1EEEvT1_, .Lfunc_end1594-_ZN7rocprim17ROCPRIM_400000_NS6detail17trampoline_kernelINS0_14default_configENS1_25partition_config_selectorILNS1_17partition_subalgoE9EllbEEZZNS1_14partition_implILS5_9ELb0ES3_jPlS8_PNS0_10empty_typeENS0_5tupleIJS8_S9_EEENSB_IJS8_SA_EEENS0_18inequality_wrapperIZN2at6native12_GLOBAL__N_124unique_dim_cuda_templateIjEESt5tupleIJNSF_6TensorESK_SK_EERKSK_lbbbEUlllE0_EEPmJS9_EEE10hipError_tPvRmT3_T4_T5_T6_T7_T9_mT8_P12ihipStream_tbDpT10_ENKUlT_T0_E_clISt17integral_constantIbLb1EES19_IbLb0EEEEDaS15_S16_EUlS15_E_NS1_11comp_targetILNS1_3genE8ELNS1_11target_archE1030ELNS1_3gpuE2ELNS1_3repE0EEENS1_30default_config_static_selectorELNS0_4arch9wavefront6targetE1EEEvT1_
                                        ; -- End function
	.section	.AMDGPU.csdata,"",@progbits
; Kernel info:
; codeLenInByte = 0
; NumSgprs: 4
; NumVgprs: 0
; NumAgprs: 0
; TotalNumVgprs: 0
; ScratchSize: 0
; MemoryBound: 0
; FloatMode: 240
; IeeeMode: 1
; LDSByteSize: 0 bytes/workgroup (compile time only)
; SGPRBlocks: 0
; VGPRBlocks: 0
; NumSGPRsForWavesPerEU: 4
; NumVGPRsForWavesPerEU: 1
; AccumOffset: 4
; Occupancy: 8
; WaveLimiterHint : 0
; COMPUTE_PGM_RSRC2:SCRATCH_EN: 0
; COMPUTE_PGM_RSRC2:USER_SGPR: 6
; COMPUTE_PGM_RSRC2:TRAP_HANDLER: 0
; COMPUTE_PGM_RSRC2:TGID_X_EN: 1
; COMPUTE_PGM_RSRC2:TGID_Y_EN: 0
; COMPUTE_PGM_RSRC2:TGID_Z_EN: 0
; COMPUTE_PGM_RSRC2:TIDIG_COMP_CNT: 0
; COMPUTE_PGM_RSRC3_GFX90A:ACCUM_OFFSET: 0
; COMPUTE_PGM_RSRC3_GFX90A:TG_SPLIT: 0
	.section	.text._ZN7rocprim17ROCPRIM_400000_NS6detail17trampoline_kernelINS0_14default_configENS1_25partition_config_selectorILNS1_17partition_subalgoE9EllbEEZZNS1_14partition_implILS5_9ELb0ES3_jPlS8_PNS0_10empty_typeENS0_5tupleIJS8_S9_EEENSB_IJS8_SA_EEENS0_18inequality_wrapperIZN2at6native12_GLOBAL__N_124unique_dim_cuda_templateIjEESt5tupleIJNSF_6TensorESK_SK_EERKSK_lbbbEUlllE0_EEPmJS9_EEE10hipError_tPvRmT3_T4_T5_T6_T7_T9_mT8_P12ihipStream_tbDpT10_ENKUlT_T0_E_clISt17integral_constantIbLb0EES19_IbLb1EEEEDaS15_S16_EUlS15_E_NS1_11comp_targetILNS1_3genE0ELNS1_11target_archE4294967295ELNS1_3gpuE0ELNS1_3repE0EEENS1_30default_config_static_selectorELNS0_4arch9wavefront6targetE1EEEvT1_,"axG",@progbits,_ZN7rocprim17ROCPRIM_400000_NS6detail17trampoline_kernelINS0_14default_configENS1_25partition_config_selectorILNS1_17partition_subalgoE9EllbEEZZNS1_14partition_implILS5_9ELb0ES3_jPlS8_PNS0_10empty_typeENS0_5tupleIJS8_S9_EEENSB_IJS8_SA_EEENS0_18inequality_wrapperIZN2at6native12_GLOBAL__N_124unique_dim_cuda_templateIjEESt5tupleIJNSF_6TensorESK_SK_EERKSK_lbbbEUlllE0_EEPmJS9_EEE10hipError_tPvRmT3_T4_T5_T6_T7_T9_mT8_P12ihipStream_tbDpT10_ENKUlT_T0_E_clISt17integral_constantIbLb0EES19_IbLb1EEEEDaS15_S16_EUlS15_E_NS1_11comp_targetILNS1_3genE0ELNS1_11target_archE4294967295ELNS1_3gpuE0ELNS1_3repE0EEENS1_30default_config_static_selectorELNS0_4arch9wavefront6targetE1EEEvT1_,comdat
	.globl	_ZN7rocprim17ROCPRIM_400000_NS6detail17trampoline_kernelINS0_14default_configENS1_25partition_config_selectorILNS1_17partition_subalgoE9EllbEEZZNS1_14partition_implILS5_9ELb0ES3_jPlS8_PNS0_10empty_typeENS0_5tupleIJS8_S9_EEENSB_IJS8_SA_EEENS0_18inequality_wrapperIZN2at6native12_GLOBAL__N_124unique_dim_cuda_templateIjEESt5tupleIJNSF_6TensorESK_SK_EERKSK_lbbbEUlllE0_EEPmJS9_EEE10hipError_tPvRmT3_T4_T5_T6_T7_T9_mT8_P12ihipStream_tbDpT10_ENKUlT_T0_E_clISt17integral_constantIbLb0EES19_IbLb1EEEEDaS15_S16_EUlS15_E_NS1_11comp_targetILNS1_3genE0ELNS1_11target_archE4294967295ELNS1_3gpuE0ELNS1_3repE0EEENS1_30default_config_static_selectorELNS0_4arch9wavefront6targetE1EEEvT1_ ; -- Begin function _ZN7rocprim17ROCPRIM_400000_NS6detail17trampoline_kernelINS0_14default_configENS1_25partition_config_selectorILNS1_17partition_subalgoE9EllbEEZZNS1_14partition_implILS5_9ELb0ES3_jPlS8_PNS0_10empty_typeENS0_5tupleIJS8_S9_EEENSB_IJS8_SA_EEENS0_18inequality_wrapperIZN2at6native12_GLOBAL__N_124unique_dim_cuda_templateIjEESt5tupleIJNSF_6TensorESK_SK_EERKSK_lbbbEUlllE0_EEPmJS9_EEE10hipError_tPvRmT3_T4_T5_T6_T7_T9_mT8_P12ihipStream_tbDpT10_ENKUlT_T0_E_clISt17integral_constantIbLb0EES19_IbLb1EEEEDaS15_S16_EUlS15_E_NS1_11comp_targetILNS1_3genE0ELNS1_11target_archE4294967295ELNS1_3gpuE0ELNS1_3repE0EEENS1_30default_config_static_selectorELNS0_4arch9wavefront6targetE1EEEvT1_
	.p2align	8
	.type	_ZN7rocprim17ROCPRIM_400000_NS6detail17trampoline_kernelINS0_14default_configENS1_25partition_config_selectorILNS1_17partition_subalgoE9EllbEEZZNS1_14partition_implILS5_9ELb0ES3_jPlS8_PNS0_10empty_typeENS0_5tupleIJS8_S9_EEENSB_IJS8_SA_EEENS0_18inequality_wrapperIZN2at6native12_GLOBAL__N_124unique_dim_cuda_templateIjEESt5tupleIJNSF_6TensorESK_SK_EERKSK_lbbbEUlllE0_EEPmJS9_EEE10hipError_tPvRmT3_T4_T5_T6_T7_T9_mT8_P12ihipStream_tbDpT10_ENKUlT_T0_E_clISt17integral_constantIbLb0EES19_IbLb1EEEEDaS15_S16_EUlS15_E_NS1_11comp_targetILNS1_3genE0ELNS1_11target_archE4294967295ELNS1_3gpuE0ELNS1_3repE0EEENS1_30default_config_static_selectorELNS0_4arch9wavefront6targetE1EEEvT1_,@function
_ZN7rocprim17ROCPRIM_400000_NS6detail17trampoline_kernelINS0_14default_configENS1_25partition_config_selectorILNS1_17partition_subalgoE9EllbEEZZNS1_14partition_implILS5_9ELb0ES3_jPlS8_PNS0_10empty_typeENS0_5tupleIJS8_S9_EEENSB_IJS8_SA_EEENS0_18inequality_wrapperIZN2at6native12_GLOBAL__N_124unique_dim_cuda_templateIjEESt5tupleIJNSF_6TensorESK_SK_EERKSK_lbbbEUlllE0_EEPmJS9_EEE10hipError_tPvRmT3_T4_T5_T6_T7_T9_mT8_P12ihipStream_tbDpT10_ENKUlT_T0_E_clISt17integral_constantIbLb0EES19_IbLb1EEEEDaS15_S16_EUlS15_E_NS1_11comp_targetILNS1_3genE0ELNS1_11target_archE4294967295ELNS1_3gpuE0ELNS1_3repE0EEENS1_30default_config_static_selectorELNS0_4arch9wavefront6targetE1EEEvT1_: ; @_ZN7rocprim17ROCPRIM_400000_NS6detail17trampoline_kernelINS0_14default_configENS1_25partition_config_selectorILNS1_17partition_subalgoE9EllbEEZZNS1_14partition_implILS5_9ELb0ES3_jPlS8_PNS0_10empty_typeENS0_5tupleIJS8_S9_EEENSB_IJS8_SA_EEENS0_18inequality_wrapperIZN2at6native12_GLOBAL__N_124unique_dim_cuda_templateIjEESt5tupleIJNSF_6TensorESK_SK_EERKSK_lbbbEUlllE0_EEPmJS9_EEE10hipError_tPvRmT3_T4_T5_T6_T7_T9_mT8_P12ihipStream_tbDpT10_ENKUlT_T0_E_clISt17integral_constantIbLb0EES19_IbLb1EEEEDaS15_S16_EUlS15_E_NS1_11comp_targetILNS1_3genE0ELNS1_11target_archE4294967295ELNS1_3gpuE0ELNS1_3repE0EEENS1_30default_config_static_selectorELNS0_4arch9wavefront6targetE1EEEvT1_
; %bb.0:
	.section	.rodata,"a",@progbits
	.p2align	6, 0x0
	.amdhsa_kernel _ZN7rocprim17ROCPRIM_400000_NS6detail17trampoline_kernelINS0_14default_configENS1_25partition_config_selectorILNS1_17partition_subalgoE9EllbEEZZNS1_14partition_implILS5_9ELb0ES3_jPlS8_PNS0_10empty_typeENS0_5tupleIJS8_S9_EEENSB_IJS8_SA_EEENS0_18inequality_wrapperIZN2at6native12_GLOBAL__N_124unique_dim_cuda_templateIjEESt5tupleIJNSF_6TensorESK_SK_EERKSK_lbbbEUlllE0_EEPmJS9_EEE10hipError_tPvRmT3_T4_T5_T6_T7_T9_mT8_P12ihipStream_tbDpT10_ENKUlT_T0_E_clISt17integral_constantIbLb0EES19_IbLb1EEEEDaS15_S16_EUlS15_E_NS1_11comp_targetILNS1_3genE0ELNS1_11target_archE4294967295ELNS1_3gpuE0ELNS1_3repE0EEENS1_30default_config_static_selectorELNS0_4arch9wavefront6targetE1EEEvT1_
		.amdhsa_group_segment_fixed_size 0
		.amdhsa_private_segment_fixed_size 0
		.amdhsa_kernarg_size 136
		.amdhsa_user_sgpr_count 6
		.amdhsa_user_sgpr_private_segment_buffer 1
		.amdhsa_user_sgpr_dispatch_ptr 0
		.amdhsa_user_sgpr_queue_ptr 0
		.amdhsa_user_sgpr_kernarg_segment_ptr 1
		.amdhsa_user_sgpr_dispatch_id 0
		.amdhsa_user_sgpr_flat_scratch_init 0
		.amdhsa_user_sgpr_kernarg_preload_length 0
		.amdhsa_user_sgpr_kernarg_preload_offset 0
		.amdhsa_user_sgpr_private_segment_size 0
		.amdhsa_uses_dynamic_stack 0
		.amdhsa_system_sgpr_private_segment_wavefront_offset 0
		.amdhsa_system_sgpr_workgroup_id_x 1
		.amdhsa_system_sgpr_workgroup_id_y 0
		.amdhsa_system_sgpr_workgroup_id_z 0
		.amdhsa_system_sgpr_workgroup_info 0
		.amdhsa_system_vgpr_workitem_id 0
		.amdhsa_next_free_vgpr 1
		.amdhsa_next_free_sgpr 0
		.amdhsa_accum_offset 4
		.amdhsa_reserve_vcc 0
		.amdhsa_reserve_flat_scratch 0
		.amdhsa_float_round_mode_32 0
		.amdhsa_float_round_mode_16_64 0
		.amdhsa_float_denorm_mode_32 3
		.amdhsa_float_denorm_mode_16_64 3
		.amdhsa_dx10_clamp 1
		.amdhsa_ieee_mode 1
		.amdhsa_fp16_overflow 0
		.amdhsa_tg_split 0
		.amdhsa_exception_fp_ieee_invalid_op 0
		.amdhsa_exception_fp_denorm_src 0
		.amdhsa_exception_fp_ieee_div_zero 0
		.amdhsa_exception_fp_ieee_overflow 0
		.amdhsa_exception_fp_ieee_underflow 0
		.amdhsa_exception_fp_ieee_inexact 0
		.amdhsa_exception_int_div_zero 0
	.end_amdhsa_kernel
	.section	.text._ZN7rocprim17ROCPRIM_400000_NS6detail17trampoline_kernelINS0_14default_configENS1_25partition_config_selectorILNS1_17partition_subalgoE9EllbEEZZNS1_14partition_implILS5_9ELb0ES3_jPlS8_PNS0_10empty_typeENS0_5tupleIJS8_S9_EEENSB_IJS8_SA_EEENS0_18inequality_wrapperIZN2at6native12_GLOBAL__N_124unique_dim_cuda_templateIjEESt5tupleIJNSF_6TensorESK_SK_EERKSK_lbbbEUlllE0_EEPmJS9_EEE10hipError_tPvRmT3_T4_T5_T6_T7_T9_mT8_P12ihipStream_tbDpT10_ENKUlT_T0_E_clISt17integral_constantIbLb0EES19_IbLb1EEEEDaS15_S16_EUlS15_E_NS1_11comp_targetILNS1_3genE0ELNS1_11target_archE4294967295ELNS1_3gpuE0ELNS1_3repE0EEENS1_30default_config_static_selectorELNS0_4arch9wavefront6targetE1EEEvT1_,"axG",@progbits,_ZN7rocprim17ROCPRIM_400000_NS6detail17trampoline_kernelINS0_14default_configENS1_25partition_config_selectorILNS1_17partition_subalgoE9EllbEEZZNS1_14partition_implILS5_9ELb0ES3_jPlS8_PNS0_10empty_typeENS0_5tupleIJS8_S9_EEENSB_IJS8_SA_EEENS0_18inequality_wrapperIZN2at6native12_GLOBAL__N_124unique_dim_cuda_templateIjEESt5tupleIJNSF_6TensorESK_SK_EERKSK_lbbbEUlllE0_EEPmJS9_EEE10hipError_tPvRmT3_T4_T5_T6_T7_T9_mT8_P12ihipStream_tbDpT10_ENKUlT_T0_E_clISt17integral_constantIbLb0EES19_IbLb1EEEEDaS15_S16_EUlS15_E_NS1_11comp_targetILNS1_3genE0ELNS1_11target_archE4294967295ELNS1_3gpuE0ELNS1_3repE0EEENS1_30default_config_static_selectorELNS0_4arch9wavefront6targetE1EEEvT1_,comdat
.Lfunc_end1595:
	.size	_ZN7rocprim17ROCPRIM_400000_NS6detail17trampoline_kernelINS0_14default_configENS1_25partition_config_selectorILNS1_17partition_subalgoE9EllbEEZZNS1_14partition_implILS5_9ELb0ES3_jPlS8_PNS0_10empty_typeENS0_5tupleIJS8_S9_EEENSB_IJS8_SA_EEENS0_18inequality_wrapperIZN2at6native12_GLOBAL__N_124unique_dim_cuda_templateIjEESt5tupleIJNSF_6TensorESK_SK_EERKSK_lbbbEUlllE0_EEPmJS9_EEE10hipError_tPvRmT3_T4_T5_T6_T7_T9_mT8_P12ihipStream_tbDpT10_ENKUlT_T0_E_clISt17integral_constantIbLb0EES19_IbLb1EEEEDaS15_S16_EUlS15_E_NS1_11comp_targetILNS1_3genE0ELNS1_11target_archE4294967295ELNS1_3gpuE0ELNS1_3repE0EEENS1_30default_config_static_selectorELNS0_4arch9wavefront6targetE1EEEvT1_, .Lfunc_end1595-_ZN7rocprim17ROCPRIM_400000_NS6detail17trampoline_kernelINS0_14default_configENS1_25partition_config_selectorILNS1_17partition_subalgoE9EllbEEZZNS1_14partition_implILS5_9ELb0ES3_jPlS8_PNS0_10empty_typeENS0_5tupleIJS8_S9_EEENSB_IJS8_SA_EEENS0_18inequality_wrapperIZN2at6native12_GLOBAL__N_124unique_dim_cuda_templateIjEESt5tupleIJNSF_6TensorESK_SK_EERKSK_lbbbEUlllE0_EEPmJS9_EEE10hipError_tPvRmT3_T4_T5_T6_T7_T9_mT8_P12ihipStream_tbDpT10_ENKUlT_T0_E_clISt17integral_constantIbLb0EES19_IbLb1EEEEDaS15_S16_EUlS15_E_NS1_11comp_targetILNS1_3genE0ELNS1_11target_archE4294967295ELNS1_3gpuE0ELNS1_3repE0EEENS1_30default_config_static_selectorELNS0_4arch9wavefront6targetE1EEEvT1_
                                        ; -- End function
	.section	.AMDGPU.csdata,"",@progbits
; Kernel info:
; codeLenInByte = 0
; NumSgprs: 4
; NumVgprs: 0
; NumAgprs: 0
; TotalNumVgprs: 0
; ScratchSize: 0
; MemoryBound: 0
; FloatMode: 240
; IeeeMode: 1
; LDSByteSize: 0 bytes/workgroup (compile time only)
; SGPRBlocks: 0
; VGPRBlocks: 0
; NumSGPRsForWavesPerEU: 4
; NumVGPRsForWavesPerEU: 1
; AccumOffset: 4
; Occupancy: 8
; WaveLimiterHint : 0
; COMPUTE_PGM_RSRC2:SCRATCH_EN: 0
; COMPUTE_PGM_RSRC2:USER_SGPR: 6
; COMPUTE_PGM_RSRC2:TRAP_HANDLER: 0
; COMPUTE_PGM_RSRC2:TGID_X_EN: 1
; COMPUTE_PGM_RSRC2:TGID_Y_EN: 0
; COMPUTE_PGM_RSRC2:TGID_Z_EN: 0
; COMPUTE_PGM_RSRC2:TIDIG_COMP_CNT: 0
; COMPUTE_PGM_RSRC3_GFX90A:ACCUM_OFFSET: 0
; COMPUTE_PGM_RSRC3_GFX90A:TG_SPLIT: 0
	.section	.text._ZN7rocprim17ROCPRIM_400000_NS6detail17trampoline_kernelINS0_14default_configENS1_25partition_config_selectorILNS1_17partition_subalgoE9EllbEEZZNS1_14partition_implILS5_9ELb0ES3_jPlS8_PNS0_10empty_typeENS0_5tupleIJS8_S9_EEENSB_IJS8_SA_EEENS0_18inequality_wrapperIZN2at6native12_GLOBAL__N_124unique_dim_cuda_templateIjEESt5tupleIJNSF_6TensorESK_SK_EERKSK_lbbbEUlllE0_EEPmJS9_EEE10hipError_tPvRmT3_T4_T5_T6_T7_T9_mT8_P12ihipStream_tbDpT10_ENKUlT_T0_E_clISt17integral_constantIbLb0EES19_IbLb1EEEEDaS15_S16_EUlS15_E_NS1_11comp_targetILNS1_3genE5ELNS1_11target_archE942ELNS1_3gpuE9ELNS1_3repE0EEENS1_30default_config_static_selectorELNS0_4arch9wavefront6targetE1EEEvT1_,"axG",@progbits,_ZN7rocprim17ROCPRIM_400000_NS6detail17trampoline_kernelINS0_14default_configENS1_25partition_config_selectorILNS1_17partition_subalgoE9EllbEEZZNS1_14partition_implILS5_9ELb0ES3_jPlS8_PNS0_10empty_typeENS0_5tupleIJS8_S9_EEENSB_IJS8_SA_EEENS0_18inequality_wrapperIZN2at6native12_GLOBAL__N_124unique_dim_cuda_templateIjEESt5tupleIJNSF_6TensorESK_SK_EERKSK_lbbbEUlllE0_EEPmJS9_EEE10hipError_tPvRmT3_T4_T5_T6_T7_T9_mT8_P12ihipStream_tbDpT10_ENKUlT_T0_E_clISt17integral_constantIbLb0EES19_IbLb1EEEEDaS15_S16_EUlS15_E_NS1_11comp_targetILNS1_3genE5ELNS1_11target_archE942ELNS1_3gpuE9ELNS1_3repE0EEENS1_30default_config_static_selectorELNS0_4arch9wavefront6targetE1EEEvT1_,comdat
	.globl	_ZN7rocprim17ROCPRIM_400000_NS6detail17trampoline_kernelINS0_14default_configENS1_25partition_config_selectorILNS1_17partition_subalgoE9EllbEEZZNS1_14partition_implILS5_9ELb0ES3_jPlS8_PNS0_10empty_typeENS0_5tupleIJS8_S9_EEENSB_IJS8_SA_EEENS0_18inequality_wrapperIZN2at6native12_GLOBAL__N_124unique_dim_cuda_templateIjEESt5tupleIJNSF_6TensorESK_SK_EERKSK_lbbbEUlllE0_EEPmJS9_EEE10hipError_tPvRmT3_T4_T5_T6_T7_T9_mT8_P12ihipStream_tbDpT10_ENKUlT_T0_E_clISt17integral_constantIbLb0EES19_IbLb1EEEEDaS15_S16_EUlS15_E_NS1_11comp_targetILNS1_3genE5ELNS1_11target_archE942ELNS1_3gpuE9ELNS1_3repE0EEENS1_30default_config_static_selectorELNS0_4arch9wavefront6targetE1EEEvT1_ ; -- Begin function _ZN7rocprim17ROCPRIM_400000_NS6detail17trampoline_kernelINS0_14default_configENS1_25partition_config_selectorILNS1_17partition_subalgoE9EllbEEZZNS1_14partition_implILS5_9ELb0ES3_jPlS8_PNS0_10empty_typeENS0_5tupleIJS8_S9_EEENSB_IJS8_SA_EEENS0_18inequality_wrapperIZN2at6native12_GLOBAL__N_124unique_dim_cuda_templateIjEESt5tupleIJNSF_6TensorESK_SK_EERKSK_lbbbEUlllE0_EEPmJS9_EEE10hipError_tPvRmT3_T4_T5_T6_T7_T9_mT8_P12ihipStream_tbDpT10_ENKUlT_T0_E_clISt17integral_constantIbLb0EES19_IbLb1EEEEDaS15_S16_EUlS15_E_NS1_11comp_targetILNS1_3genE5ELNS1_11target_archE942ELNS1_3gpuE9ELNS1_3repE0EEENS1_30default_config_static_selectorELNS0_4arch9wavefront6targetE1EEEvT1_
	.p2align	8
	.type	_ZN7rocprim17ROCPRIM_400000_NS6detail17trampoline_kernelINS0_14default_configENS1_25partition_config_selectorILNS1_17partition_subalgoE9EllbEEZZNS1_14partition_implILS5_9ELb0ES3_jPlS8_PNS0_10empty_typeENS0_5tupleIJS8_S9_EEENSB_IJS8_SA_EEENS0_18inequality_wrapperIZN2at6native12_GLOBAL__N_124unique_dim_cuda_templateIjEESt5tupleIJNSF_6TensorESK_SK_EERKSK_lbbbEUlllE0_EEPmJS9_EEE10hipError_tPvRmT3_T4_T5_T6_T7_T9_mT8_P12ihipStream_tbDpT10_ENKUlT_T0_E_clISt17integral_constantIbLb0EES19_IbLb1EEEEDaS15_S16_EUlS15_E_NS1_11comp_targetILNS1_3genE5ELNS1_11target_archE942ELNS1_3gpuE9ELNS1_3repE0EEENS1_30default_config_static_selectorELNS0_4arch9wavefront6targetE1EEEvT1_,@function
_ZN7rocprim17ROCPRIM_400000_NS6detail17trampoline_kernelINS0_14default_configENS1_25partition_config_selectorILNS1_17partition_subalgoE9EllbEEZZNS1_14partition_implILS5_9ELb0ES3_jPlS8_PNS0_10empty_typeENS0_5tupleIJS8_S9_EEENSB_IJS8_SA_EEENS0_18inequality_wrapperIZN2at6native12_GLOBAL__N_124unique_dim_cuda_templateIjEESt5tupleIJNSF_6TensorESK_SK_EERKSK_lbbbEUlllE0_EEPmJS9_EEE10hipError_tPvRmT3_T4_T5_T6_T7_T9_mT8_P12ihipStream_tbDpT10_ENKUlT_T0_E_clISt17integral_constantIbLb0EES19_IbLb1EEEEDaS15_S16_EUlS15_E_NS1_11comp_targetILNS1_3genE5ELNS1_11target_archE942ELNS1_3gpuE9ELNS1_3repE0EEENS1_30default_config_static_selectorELNS0_4arch9wavefront6targetE1EEEvT1_: ; @_ZN7rocprim17ROCPRIM_400000_NS6detail17trampoline_kernelINS0_14default_configENS1_25partition_config_selectorILNS1_17partition_subalgoE9EllbEEZZNS1_14partition_implILS5_9ELb0ES3_jPlS8_PNS0_10empty_typeENS0_5tupleIJS8_S9_EEENSB_IJS8_SA_EEENS0_18inequality_wrapperIZN2at6native12_GLOBAL__N_124unique_dim_cuda_templateIjEESt5tupleIJNSF_6TensorESK_SK_EERKSK_lbbbEUlllE0_EEPmJS9_EEE10hipError_tPvRmT3_T4_T5_T6_T7_T9_mT8_P12ihipStream_tbDpT10_ENKUlT_T0_E_clISt17integral_constantIbLb0EES19_IbLb1EEEEDaS15_S16_EUlS15_E_NS1_11comp_targetILNS1_3genE5ELNS1_11target_archE942ELNS1_3gpuE9ELNS1_3repE0EEENS1_30default_config_static_selectorELNS0_4arch9wavefront6targetE1EEEvT1_
; %bb.0:
	.section	.rodata,"a",@progbits
	.p2align	6, 0x0
	.amdhsa_kernel _ZN7rocprim17ROCPRIM_400000_NS6detail17trampoline_kernelINS0_14default_configENS1_25partition_config_selectorILNS1_17partition_subalgoE9EllbEEZZNS1_14partition_implILS5_9ELb0ES3_jPlS8_PNS0_10empty_typeENS0_5tupleIJS8_S9_EEENSB_IJS8_SA_EEENS0_18inequality_wrapperIZN2at6native12_GLOBAL__N_124unique_dim_cuda_templateIjEESt5tupleIJNSF_6TensorESK_SK_EERKSK_lbbbEUlllE0_EEPmJS9_EEE10hipError_tPvRmT3_T4_T5_T6_T7_T9_mT8_P12ihipStream_tbDpT10_ENKUlT_T0_E_clISt17integral_constantIbLb0EES19_IbLb1EEEEDaS15_S16_EUlS15_E_NS1_11comp_targetILNS1_3genE5ELNS1_11target_archE942ELNS1_3gpuE9ELNS1_3repE0EEENS1_30default_config_static_selectorELNS0_4arch9wavefront6targetE1EEEvT1_
		.amdhsa_group_segment_fixed_size 0
		.amdhsa_private_segment_fixed_size 0
		.amdhsa_kernarg_size 136
		.amdhsa_user_sgpr_count 6
		.amdhsa_user_sgpr_private_segment_buffer 1
		.amdhsa_user_sgpr_dispatch_ptr 0
		.amdhsa_user_sgpr_queue_ptr 0
		.amdhsa_user_sgpr_kernarg_segment_ptr 1
		.amdhsa_user_sgpr_dispatch_id 0
		.amdhsa_user_sgpr_flat_scratch_init 0
		.amdhsa_user_sgpr_kernarg_preload_length 0
		.amdhsa_user_sgpr_kernarg_preload_offset 0
		.amdhsa_user_sgpr_private_segment_size 0
		.amdhsa_uses_dynamic_stack 0
		.amdhsa_system_sgpr_private_segment_wavefront_offset 0
		.amdhsa_system_sgpr_workgroup_id_x 1
		.amdhsa_system_sgpr_workgroup_id_y 0
		.amdhsa_system_sgpr_workgroup_id_z 0
		.amdhsa_system_sgpr_workgroup_info 0
		.amdhsa_system_vgpr_workitem_id 0
		.amdhsa_next_free_vgpr 1
		.amdhsa_next_free_sgpr 0
		.amdhsa_accum_offset 4
		.amdhsa_reserve_vcc 0
		.amdhsa_reserve_flat_scratch 0
		.amdhsa_float_round_mode_32 0
		.amdhsa_float_round_mode_16_64 0
		.amdhsa_float_denorm_mode_32 3
		.amdhsa_float_denorm_mode_16_64 3
		.amdhsa_dx10_clamp 1
		.amdhsa_ieee_mode 1
		.amdhsa_fp16_overflow 0
		.amdhsa_tg_split 0
		.amdhsa_exception_fp_ieee_invalid_op 0
		.amdhsa_exception_fp_denorm_src 0
		.amdhsa_exception_fp_ieee_div_zero 0
		.amdhsa_exception_fp_ieee_overflow 0
		.amdhsa_exception_fp_ieee_underflow 0
		.amdhsa_exception_fp_ieee_inexact 0
		.amdhsa_exception_int_div_zero 0
	.end_amdhsa_kernel
	.section	.text._ZN7rocprim17ROCPRIM_400000_NS6detail17trampoline_kernelINS0_14default_configENS1_25partition_config_selectorILNS1_17partition_subalgoE9EllbEEZZNS1_14partition_implILS5_9ELb0ES3_jPlS8_PNS0_10empty_typeENS0_5tupleIJS8_S9_EEENSB_IJS8_SA_EEENS0_18inequality_wrapperIZN2at6native12_GLOBAL__N_124unique_dim_cuda_templateIjEESt5tupleIJNSF_6TensorESK_SK_EERKSK_lbbbEUlllE0_EEPmJS9_EEE10hipError_tPvRmT3_T4_T5_T6_T7_T9_mT8_P12ihipStream_tbDpT10_ENKUlT_T0_E_clISt17integral_constantIbLb0EES19_IbLb1EEEEDaS15_S16_EUlS15_E_NS1_11comp_targetILNS1_3genE5ELNS1_11target_archE942ELNS1_3gpuE9ELNS1_3repE0EEENS1_30default_config_static_selectorELNS0_4arch9wavefront6targetE1EEEvT1_,"axG",@progbits,_ZN7rocprim17ROCPRIM_400000_NS6detail17trampoline_kernelINS0_14default_configENS1_25partition_config_selectorILNS1_17partition_subalgoE9EllbEEZZNS1_14partition_implILS5_9ELb0ES3_jPlS8_PNS0_10empty_typeENS0_5tupleIJS8_S9_EEENSB_IJS8_SA_EEENS0_18inequality_wrapperIZN2at6native12_GLOBAL__N_124unique_dim_cuda_templateIjEESt5tupleIJNSF_6TensorESK_SK_EERKSK_lbbbEUlllE0_EEPmJS9_EEE10hipError_tPvRmT3_T4_T5_T6_T7_T9_mT8_P12ihipStream_tbDpT10_ENKUlT_T0_E_clISt17integral_constantIbLb0EES19_IbLb1EEEEDaS15_S16_EUlS15_E_NS1_11comp_targetILNS1_3genE5ELNS1_11target_archE942ELNS1_3gpuE9ELNS1_3repE0EEENS1_30default_config_static_selectorELNS0_4arch9wavefront6targetE1EEEvT1_,comdat
.Lfunc_end1596:
	.size	_ZN7rocprim17ROCPRIM_400000_NS6detail17trampoline_kernelINS0_14default_configENS1_25partition_config_selectorILNS1_17partition_subalgoE9EllbEEZZNS1_14partition_implILS5_9ELb0ES3_jPlS8_PNS0_10empty_typeENS0_5tupleIJS8_S9_EEENSB_IJS8_SA_EEENS0_18inequality_wrapperIZN2at6native12_GLOBAL__N_124unique_dim_cuda_templateIjEESt5tupleIJNSF_6TensorESK_SK_EERKSK_lbbbEUlllE0_EEPmJS9_EEE10hipError_tPvRmT3_T4_T5_T6_T7_T9_mT8_P12ihipStream_tbDpT10_ENKUlT_T0_E_clISt17integral_constantIbLb0EES19_IbLb1EEEEDaS15_S16_EUlS15_E_NS1_11comp_targetILNS1_3genE5ELNS1_11target_archE942ELNS1_3gpuE9ELNS1_3repE0EEENS1_30default_config_static_selectorELNS0_4arch9wavefront6targetE1EEEvT1_, .Lfunc_end1596-_ZN7rocprim17ROCPRIM_400000_NS6detail17trampoline_kernelINS0_14default_configENS1_25partition_config_selectorILNS1_17partition_subalgoE9EllbEEZZNS1_14partition_implILS5_9ELb0ES3_jPlS8_PNS0_10empty_typeENS0_5tupleIJS8_S9_EEENSB_IJS8_SA_EEENS0_18inequality_wrapperIZN2at6native12_GLOBAL__N_124unique_dim_cuda_templateIjEESt5tupleIJNSF_6TensorESK_SK_EERKSK_lbbbEUlllE0_EEPmJS9_EEE10hipError_tPvRmT3_T4_T5_T6_T7_T9_mT8_P12ihipStream_tbDpT10_ENKUlT_T0_E_clISt17integral_constantIbLb0EES19_IbLb1EEEEDaS15_S16_EUlS15_E_NS1_11comp_targetILNS1_3genE5ELNS1_11target_archE942ELNS1_3gpuE9ELNS1_3repE0EEENS1_30default_config_static_selectorELNS0_4arch9wavefront6targetE1EEEvT1_
                                        ; -- End function
	.section	.AMDGPU.csdata,"",@progbits
; Kernel info:
; codeLenInByte = 0
; NumSgprs: 4
; NumVgprs: 0
; NumAgprs: 0
; TotalNumVgprs: 0
; ScratchSize: 0
; MemoryBound: 0
; FloatMode: 240
; IeeeMode: 1
; LDSByteSize: 0 bytes/workgroup (compile time only)
; SGPRBlocks: 0
; VGPRBlocks: 0
; NumSGPRsForWavesPerEU: 4
; NumVGPRsForWavesPerEU: 1
; AccumOffset: 4
; Occupancy: 8
; WaveLimiterHint : 0
; COMPUTE_PGM_RSRC2:SCRATCH_EN: 0
; COMPUTE_PGM_RSRC2:USER_SGPR: 6
; COMPUTE_PGM_RSRC2:TRAP_HANDLER: 0
; COMPUTE_PGM_RSRC2:TGID_X_EN: 1
; COMPUTE_PGM_RSRC2:TGID_Y_EN: 0
; COMPUTE_PGM_RSRC2:TGID_Z_EN: 0
; COMPUTE_PGM_RSRC2:TIDIG_COMP_CNT: 0
; COMPUTE_PGM_RSRC3_GFX90A:ACCUM_OFFSET: 0
; COMPUTE_PGM_RSRC3_GFX90A:TG_SPLIT: 0
	.section	.text._ZN7rocprim17ROCPRIM_400000_NS6detail17trampoline_kernelINS0_14default_configENS1_25partition_config_selectorILNS1_17partition_subalgoE9EllbEEZZNS1_14partition_implILS5_9ELb0ES3_jPlS8_PNS0_10empty_typeENS0_5tupleIJS8_S9_EEENSB_IJS8_SA_EEENS0_18inequality_wrapperIZN2at6native12_GLOBAL__N_124unique_dim_cuda_templateIjEESt5tupleIJNSF_6TensorESK_SK_EERKSK_lbbbEUlllE0_EEPmJS9_EEE10hipError_tPvRmT3_T4_T5_T6_T7_T9_mT8_P12ihipStream_tbDpT10_ENKUlT_T0_E_clISt17integral_constantIbLb0EES19_IbLb1EEEEDaS15_S16_EUlS15_E_NS1_11comp_targetILNS1_3genE4ELNS1_11target_archE910ELNS1_3gpuE8ELNS1_3repE0EEENS1_30default_config_static_selectorELNS0_4arch9wavefront6targetE1EEEvT1_,"axG",@progbits,_ZN7rocprim17ROCPRIM_400000_NS6detail17trampoline_kernelINS0_14default_configENS1_25partition_config_selectorILNS1_17partition_subalgoE9EllbEEZZNS1_14partition_implILS5_9ELb0ES3_jPlS8_PNS0_10empty_typeENS0_5tupleIJS8_S9_EEENSB_IJS8_SA_EEENS0_18inequality_wrapperIZN2at6native12_GLOBAL__N_124unique_dim_cuda_templateIjEESt5tupleIJNSF_6TensorESK_SK_EERKSK_lbbbEUlllE0_EEPmJS9_EEE10hipError_tPvRmT3_T4_T5_T6_T7_T9_mT8_P12ihipStream_tbDpT10_ENKUlT_T0_E_clISt17integral_constantIbLb0EES19_IbLb1EEEEDaS15_S16_EUlS15_E_NS1_11comp_targetILNS1_3genE4ELNS1_11target_archE910ELNS1_3gpuE8ELNS1_3repE0EEENS1_30default_config_static_selectorELNS0_4arch9wavefront6targetE1EEEvT1_,comdat
	.globl	_ZN7rocprim17ROCPRIM_400000_NS6detail17trampoline_kernelINS0_14default_configENS1_25partition_config_selectorILNS1_17partition_subalgoE9EllbEEZZNS1_14partition_implILS5_9ELb0ES3_jPlS8_PNS0_10empty_typeENS0_5tupleIJS8_S9_EEENSB_IJS8_SA_EEENS0_18inequality_wrapperIZN2at6native12_GLOBAL__N_124unique_dim_cuda_templateIjEESt5tupleIJNSF_6TensorESK_SK_EERKSK_lbbbEUlllE0_EEPmJS9_EEE10hipError_tPvRmT3_T4_T5_T6_T7_T9_mT8_P12ihipStream_tbDpT10_ENKUlT_T0_E_clISt17integral_constantIbLb0EES19_IbLb1EEEEDaS15_S16_EUlS15_E_NS1_11comp_targetILNS1_3genE4ELNS1_11target_archE910ELNS1_3gpuE8ELNS1_3repE0EEENS1_30default_config_static_selectorELNS0_4arch9wavefront6targetE1EEEvT1_ ; -- Begin function _ZN7rocprim17ROCPRIM_400000_NS6detail17trampoline_kernelINS0_14default_configENS1_25partition_config_selectorILNS1_17partition_subalgoE9EllbEEZZNS1_14partition_implILS5_9ELb0ES3_jPlS8_PNS0_10empty_typeENS0_5tupleIJS8_S9_EEENSB_IJS8_SA_EEENS0_18inequality_wrapperIZN2at6native12_GLOBAL__N_124unique_dim_cuda_templateIjEESt5tupleIJNSF_6TensorESK_SK_EERKSK_lbbbEUlllE0_EEPmJS9_EEE10hipError_tPvRmT3_T4_T5_T6_T7_T9_mT8_P12ihipStream_tbDpT10_ENKUlT_T0_E_clISt17integral_constantIbLb0EES19_IbLb1EEEEDaS15_S16_EUlS15_E_NS1_11comp_targetILNS1_3genE4ELNS1_11target_archE910ELNS1_3gpuE8ELNS1_3repE0EEENS1_30default_config_static_selectorELNS0_4arch9wavefront6targetE1EEEvT1_
	.p2align	8
	.type	_ZN7rocprim17ROCPRIM_400000_NS6detail17trampoline_kernelINS0_14default_configENS1_25partition_config_selectorILNS1_17partition_subalgoE9EllbEEZZNS1_14partition_implILS5_9ELb0ES3_jPlS8_PNS0_10empty_typeENS0_5tupleIJS8_S9_EEENSB_IJS8_SA_EEENS0_18inequality_wrapperIZN2at6native12_GLOBAL__N_124unique_dim_cuda_templateIjEESt5tupleIJNSF_6TensorESK_SK_EERKSK_lbbbEUlllE0_EEPmJS9_EEE10hipError_tPvRmT3_T4_T5_T6_T7_T9_mT8_P12ihipStream_tbDpT10_ENKUlT_T0_E_clISt17integral_constantIbLb0EES19_IbLb1EEEEDaS15_S16_EUlS15_E_NS1_11comp_targetILNS1_3genE4ELNS1_11target_archE910ELNS1_3gpuE8ELNS1_3repE0EEENS1_30default_config_static_selectorELNS0_4arch9wavefront6targetE1EEEvT1_,@function
_ZN7rocprim17ROCPRIM_400000_NS6detail17trampoline_kernelINS0_14default_configENS1_25partition_config_selectorILNS1_17partition_subalgoE9EllbEEZZNS1_14partition_implILS5_9ELb0ES3_jPlS8_PNS0_10empty_typeENS0_5tupleIJS8_S9_EEENSB_IJS8_SA_EEENS0_18inequality_wrapperIZN2at6native12_GLOBAL__N_124unique_dim_cuda_templateIjEESt5tupleIJNSF_6TensorESK_SK_EERKSK_lbbbEUlllE0_EEPmJS9_EEE10hipError_tPvRmT3_T4_T5_T6_T7_T9_mT8_P12ihipStream_tbDpT10_ENKUlT_T0_E_clISt17integral_constantIbLb0EES19_IbLb1EEEEDaS15_S16_EUlS15_E_NS1_11comp_targetILNS1_3genE4ELNS1_11target_archE910ELNS1_3gpuE8ELNS1_3repE0EEENS1_30default_config_static_selectorELNS0_4arch9wavefront6targetE1EEEvT1_: ; @_ZN7rocprim17ROCPRIM_400000_NS6detail17trampoline_kernelINS0_14default_configENS1_25partition_config_selectorILNS1_17partition_subalgoE9EllbEEZZNS1_14partition_implILS5_9ELb0ES3_jPlS8_PNS0_10empty_typeENS0_5tupleIJS8_S9_EEENSB_IJS8_SA_EEENS0_18inequality_wrapperIZN2at6native12_GLOBAL__N_124unique_dim_cuda_templateIjEESt5tupleIJNSF_6TensorESK_SK_EERKSK_lbbbEUlllE0_EEPmJS9_EEE10hipError_tPvRmT3_T4_T5_T6_T7_T9_mT8_P12ihipStream_tbDpT10_ENKUlT_T0_E_clISt17integral_constantIbLb0EES19_IbLb1EEEEDaS15_S16_EUlS15_E_NS1_11comp_targetILNS1_3genE4ELNS1_11target_archE910ELNS1_3gpuE8ELNS1_3repE0EEENS1_30default_config_static_selectorELNS0_4arch9wavefront6targetE1EEEvT1_
; %bb.0:
	s_load_dwordx4 s[8:11], s[4:5], 0x8
	s_load_dwordx2 s[14:15], s[4:5], 0x18
	s_load_dwordx8 s[20:27], s[4:5], 0x40
	s_load_dwordx4 s[16:19], s[4:5], 0x60
	v_cmp_ne_u32_e64 s[2:3], 0, v0
	v_cmp_eq_u32_e64 s[0:1], 0, v0
	s_and_saveexec_b64 s[6:7], s[0:1]
	s_cbranch_execz .LBB1597_4
; %bb.1:
	s_mov_b64 s[28:29], exec
	v_mbcnt_lo_u32_b32 v1, s28, 0
	v_mbcnt_hi_u32_b32 v1, s29, v1
	v_cmp_eq_u32_e32 vcc, 0, v1
                                        ; implicit-def: $vgpr2
	s_and_saveexec_b64 s[12:13], vcc
	s_cbranch_execz .LBB1597_3
; %bb.2:
	s_load_dwordx2 s[30:31], s[4:5], 0x78
	s_bcnt1_i32_b64 s28, s[28:29]
	v_mov_b32_e32 v2, 0
	v_mov_b32_e32 v3, s28
	s_waitcnt lgkmcnt(0)
	global_atomic_add v2, v2, v3, s[30:31] glc
.LBB1597_3:
	s_or_b64 exec, exec, s[12:13]
	s_waitcnt vmcnt(0)
	v_readfirstlane_b32 s12, v2
	v_add_u32_e32 v1, s12, v1
	v_mov_b32_e32 v2, 0
	ds_write_b32 v2, v1
.LBB1597_4:
	s_or_b64 exec, exec, s[6:7]
	v_mov_b32_e32 v1, 0
	s_load_dwordx4 s[28:31], s[4:5], 0x28
	s_load_dword s6, s[4:5], 0x70
	s_waitcnt lgkmcnt(0)
	s_barrier
	ds_read_b32 v6, v1
	s_waitcnt lgkmcnt(0)
	s_barrier
	global_load_dwordx2 v[2:3], v1, s[22:23]
	s_lshl_b64 s[36:37], s[10:11], 3
	s_add_u32 s22, s8, s36
	s_addc_u32 s23, s9, s37
	s_add_i32 s12, s6, -1
	s_lshl_b32 s8, s6, 9
	s_lshl_b32 s6, s12, 9
	s_add_i32 s6, s10, s6
	v_readfirstlane_b32 s33, v6
	s_sub_i32 s48, s24, s6
	s_lshl_b32 s6, s33, 9
	s_add_u32 s8, s10, s8
	s_addc_u32 s9, s11, 0
	v_mov_b32_e32 v4, s24
	v_mov_b32_e32 v5, s25
	s_cmp_eq_u32 s33, s12
	v_cmp_ge_u64_e32 vcc, s[8:9], v[4:5]
	s_cselect_b64 s[24:25], -1, 0
	s_mov_b32 s7, 0
	s_and_b64 s[12:13], vcc, s[24:25]
	s_lshl_b64 s[8:9], s[6:7], 3
	s_xor_b64 s[34:35], s[12:13], -1
	s_add_u32 s6, s22, s8
	s_mov_b64 s[4:5], -1
	v_lshrrev_b32_e32 v18, 2, v0
	s_addc_u32 s7, s23, s9
	s_and_b64 vcc, exec, s[34:35]
	s_waitcnt vmcnt(0)
	v_readfirstlane_b32 s22, v2
	v_readfirstlane_b32 s23, v3
	s_cbranch_vccz .LBB1597_6
; %bb.5:
	v_lshlrev_b32_e32 v1, 3, v0
	global_load_dwordx2 v[2:3], v1, s[6:7]
	global_load_dwordx2 v[4:5], v1, s[6:7] offset:1024
	global_load_dwordx2 v[6:7], v1, s[6:7] offset:2048
	;; [unrolled: 1-line block ×3, first 2 shown]
	v_or_b32_e32 v11, 0x80, v0
	v_or_b32_e32 v12, 0x100, v0
	;; [unrolled: 1-line block ×3, first 2 shown]
	v_and_b32_e32 v10, 24, v18
	v_lshrrev_b32_e32 v11, 2, v11
	v_lshrrev_b32_e32 v12, 2, v12
	;; [unrolled: 1-line block ×3, first 2 shown]
	v_add_u32_e32 v10, v10, v1
	v_and_b32_e32 v11, 56, v11
	v_and_b32_e32 v12, 0x58, v12
	;; [unrolled: 1-line block ×3, first 2 shown]
	v_add_u32_e32 v11, v11, v1
	v_add_u32_e32 v12, v12, v1
	;; [unrolled: 1-line block ×3, first 2 shown]
	s_mov_b64 s[4:5], 0
	s_waitcnt vmcnt(3)
	ds_write_b64 v10, v[2:3]
	s_waitcnt vmcnt(2)
	ds_write_b64 v11, v[4:5] offset:1024
	s_waitcnt vmcnt(1)
	ds_write_b64 v12, v[6:7] offset:2048
	;; [unrolled: 2-line block ×3, first 2 shown]
	s_waitcnt lgkmcnt(0)
	s_barrier
.LBB1597_6:
	s_andn2_b64 vcc, exec, s[4:5]
	v_cmp_gt_u32_e64 s[4:5], s48, v0
	s_cbranch_vccnz .LBB1597_16
; %bb.7:
                                        ; implicit-def: $vgpr2_vgpr3_vgpr4_vgpr5_vgpr6_vgpr7_vgpr8_vgpr9
	s_and_saveexec_b64 s[38:39], s[4:5]
	s_cbranch_execz .LBB1597_9
; %bb.8:
	v_lshlrev_b32_e32 v1, 3, v0
	global_load_dwordx2 v[2:3], v1, s[6:7]
.LBB1597_9:
	s_or_b64 exec, exec, s[38:39]
	v_or_b32_e32 v1, 0x80, v0
	v_cmp_gt_u32_e32 vcc, s48, v1
	s_and_saveexec_b64 s[4:5], vcc
	s_cbranch_execz .LBB1597_11
; %bb.10:
	v_lshlrev_b32_e32 v4, 3, v0
	global_load_dwordx2 v[4:5], v4, s[6:7] offset:1024
.LBB1597_11:
	s_or_b64 exec, exec, s[4:5]
	v_or_b32_e32 v10, 0x100, v0
	v_cmp_gt_u32_e32 vcc, s48, v10
	s_and_saveexec_b64 s[4:5], vcc
	s_cbranch_execz .LBB1597_13
; %bb.12:
	v_lshlrev_b32_e32 v6, 3, v0
	global_load_dwordx2 v[6:7], v6, s[6:7] offset:2048
.LBB1597_13:
	;; [unrolled: 9-line block ×3, first 2 shown]
	s_or_b64 exec, exec, s[4:5]
	v_lshrrev_b32_e32 v1, 2, v1
	v_lshlrev_b32_e32 v13, 3, v0
	v_and_b32_e32 v1, 56, v1
	v_add_u32_e32 v1, v1, v13
	s_waitcnt vmcnt(0)
	ds_write_b64 v1, v[4:5] offset:1024
	v_lshrrev_b32_e32 v1, 2, v10
	v_and_b32_e32 v1, 0x78, v1
	v_add_u32_e32 v1, v1, v13
	ds_write_b64 v1, v[6:7] offset:2048
	v_lshrrev_b32_e32 v1, 2, v11
	v_and_b32_e32 v12, 24, v18
	v_and_b32_e32 v1, 0x78, v1
	v_add_u32_e32 v12, v12, v13
	v_add_u32_e32 v1, v1, v13
	ds_write_b64 v12, v[2:3]
	ds_write_b64 v1, v[8:9] offset:3072
	s_waitcnt lgkmcnt(0)
	s_barrier
.LBB1597_16:
	v_lshlrev_b32_e32 v1, 2, v0
	v_lshrrev_b32_e32 v2, 3, v0
	v_add_lshl_u32 v19, v2, v1, 3
	ds_read2_b64 v[14:17], v19 offset1:1
	ds_read2_b64 v[10:13], v19 offset0:2 offset1:3
	s_add_u32 s4, s14, s36
	s_addc_u32 s5, s15, s37
	s_add_u32 s4, s4, s8
	s_addc_u32 s5, s5, s9
	s_mov_b64 s[8:9], -1
	s_and_b64 vcc, exec, s[34:35]
	s_waitcnt lgkmcnt(0)
	s_barrier
	s_cbranch_vccz .LBB1597_18
; %bb.17:
	v_lshlrev_b32_e32 v20, 3, v0
	global_load_dwordx2 v[2:3], v20, s[4:5]
	global_load_dwordx2 v[4:5], v20, s[4:5] offset:1024
	global_load_dwordx2 v[6:7], v20, s[4:5] offset:2048
	;; [unrolled: 1-line block ×3, first 2 shown]
	v_or_b32_e32 v22, 0x80, v0
	v_or_b32_e32 v23, 0x100, v0
	;; [unrolled: 1-line block ×3, first 2 shown]
	v_and_b32_e32 v21, 24, v18
	v_lshrrev_b32_e32 v22, 2, v22
	v_lshrrev_b32_e32 v23, 2, v23
	;; [unrolled: 1-line block ×3, first 2 shown]
	v_add_u32_e32 v21, v21, v20
	v_and_b32_e32 v22, 56, v22
	v_and_b32_e32 v23, 0x58, v23
	;; [unrolled: 1-line block ×3, first 2 shown]
	v_add_u32_e32 v22, v22, v20
	v_add_u32_e32 v23, v23, v20
	;; [unrolled: 1-line block ×3, first 2 shown]
	s_mov_b64 s[8:9], 0
	s_waitcnt vmcnt(3)
	ds_write_b64 v21, v[2:3]
	s_waitcnt vmcnt(2)
	ds_write_b64 v22, v[4:5] offset:1024
	s_waitcnt vmcnt(1)
	ds_write_b64 v23, v[6:7] offset:2048
	;; [unrolled: 2-line block ×3, first 2 shown]
	s_waitcnt lgkmcnt(0)
	s_barrier
.LBB1597_18:
	s_andn2_b64 vcc, exec, s[8:9]
	s_cbranch_vccnz .LBB1597_28
; %bb.19:
	v_cmp_gt_u32_e32 vcc, s48, v0
                                        ; implicit-def: $vgpr2_vgpr3
	s_and_saveexec_b64 s[8:9], vcc
	s_cbranch_execz .LBB1597_21
; %bb.20:
	v_lshlrev_b32_e32 v2, 3, v0
	global_load_dwordx2 v[2:3], v2, s[4:5]
.LBB1597_21:
	s_or_b64 exec, exec, s[8:9]
	v_or_b32_e32 v20, 0x80, v0
	v_cmp_gt_u32_e32 vcc, s48, v20
                                        ; implicit-def: $vgpr4_vgpr5
	s_and_saveexec_b64 s[8:9], vcc
	s_cbranch_execz .LBB1597_23
; %bb.22:
	v_lshlrev_b32_e32 v4, 3, v0
	global_load_dwordx2 v[4:5], v4, s[4:5] offset:1024
.LBB1597_23:
	s_or_b64 exec, exec, s[8:9]
	v_or_b32_e32 v21, 0x100, v0
	v_cmp_gt_u32_e32 vcc, s48, v21
                                        ; implicit-def: $vgpr6_vgpr7
	s_and_saveexec_b64 s[8:9], vcc
	s_cbranch_execz .LBB1597_25
; %bb.24:
	v_lshlrev_b32_e32 v6, 3, v0
	global_load_dwordx2 v[6:7], v6, s[4:5] offset:2048
.LBB1597_25:
	s_or_b64 exec, exec, s[8:9]
	v_or_b32_e32 v22, 0x180, v0
	v_cmp_gt_u32_e32 vcc, s48, v22
                                        ; implicit-def: $vgpr8_vgpr9
	s_and_saveexec_b64 s[8:9], vcc
	s_cbranch_execz .LBB1597_27
; %bb.26:
	v_lshlrev_b32_e32 v8, 3, v0
	global_load_dwordx2 v[8:9], v8, s[4:5] offset:3072
.LBB1597_27:
	s_or_b64 exec, exec, s[8:9]
	v_and_b32_e32 v18, 24, v18
	v_lshlrev_b32_e32 v23, 3, v0
	v_add_u32_e32 v18, v18, v23
	s_waitcnt vmcnt(0)
	ds_write_b64 v18, v[2:3]
	v_lshrrev_b32_e32 v2, 2, v20
	v_and_b32_e32 v2, 56, v2
	v_add_u32_e32 v2, v2, v23
	ds_write_b64 v2, v[4:5] offset:1024
	v_lshrrev_b32_e32 v2, 2, v21
	v_and_b32_e32 v2, 0x78, v2
	v_add_u32_e32 v2, v2, v23
	ds_write_b64 v2, v[6:7] offset:2048
	;; [unrolled: 4-line block ×3, first 2 shown]
	s_waitcnt lgkmcnt(0)
	s_barrier
.LBB1597_28:
	ds_read2_b64 v[6:9], v19 offset1:1
	ds_read2_b64 v[2:5], v19 offset0:2 offset1:3
	s_cmp_lg_u32 s33, 0
	s_cselect_b64 s[36:37], -1, 0
	s_cmp_lg_u64 s[10:11], 0
	s_cselect_b64 s[4:5], -1, 0
	s_or_b64 s[4:5], s[4:5], s[36:37]
	s_mov_b64 s[14:15], 0
	s_and_b64 vcc, exec, s[4:5]
	v_cmp_gt_i64_e64 s[4:5], s[26:27], 0
	s_waitcnt lgkmcnt(0)
	s_barrier
	s_cbranch_vccz .LBB1597_37
; %bb.29:
	v_mov_b32_e32 v18, 0
	global_load_dwordx2 v[18:19], v18, s[6:7] offset:-8
	v_cndmask_b32_e64 v20, 0, 1, s[4:5]
	v_lshlrev_b32_e32 v29, 3, v0
	s_mov_b64 s[10:11], 0
	s_and_b64 vcc, exec, s[34:35]
	v_cmp_ne_u32_e64 s[4:5], 1, v20
	ds_write_b64 v29, v[12:13]
	s_cbranch_vccz .LBB1597_38
; %bb.30:
	v_mul_lo_u32 v22, v11, s26
	v_mul_lo_u32 v23, v10, s27
	v_mad_u64_u32 v[20:21], s[6:7], v10, s26, 0
	v_add3_u32 v21, v21, v23, v22
	s_and_b64 vcc, exec, s[4:5]
	v_lshlrev_b64 v[20:21], 2, v[20:21]
	s_cbranch_vccnz .LBB1597_41
; %bb.31:
	v_mul_lo_u32 v24, v13, s26
	v_mul_lo_u32 v25, v12, s27
	v_mad_u64_u32 v[22:23], s[6:7], v12, s26, 0
	v_add3_u32 v23, v23, v25, v24
	v_mov_b32_e32 v25, s17
	v_add_co_u32_e32 v24, vcc, s16, v20
	v_addc_co_u32_e64 v25, s[6:7], v25, v21, vcc
	v_lshlrev_b64 v[22:23], 2, v[22:23]
	v_mov_b32_e32 v27, s17
	v_add_co_u32_e64 v26, s[6:7], s16, v22
	v_addc_co_u32_e64 v27, s[8:9], v27, v23, s[6:7]
	global_load_dword v22, v[24:25], off
	global_load_dword v28, v[26:27], off
	s_mov_b64 s[10:11], -1
	s_waitcnt vmcnt(0)
	v_cmp_eq_u32_e64 s[8:9], v22, v28
	s_and_saveexec_b64 s[14:15], s[8:9]
	s_cbranch_execz .LBB1597_40
; %bb.32:
	v_mov_b32_e32 v22, s17
	v_addc_co_u32_e64 v23, s[6:7], v23, v22, s[6:7]
	v_add_co_u32_e64 v22, s[6:7], 4, v26
	v_mov_b32_e32 v25, s17
	v_addc_co_u32_e64 v23, s[6:7], 0, v23, s[6:7]
	v_addc_co_u32_e32 v25, vcc, v21, v25, vcc
	v_add_co_u32_e32 v24, vcc, 4, v24
	s_add_u32 s6, s26, -1
	v_addc_co_u32_e32 v25, vcc, 0, v25, vcc
	s_addc_u32 s7, s27, -1
	s_mov_b64 s[8:9], 0
	s_mov_b64 s[38:39], 0
                                        ; implicit-def: $sgpr10_sgpr11
	s_branch .LBB1597_35
.LBB1597_33:                            ;   in Loop: Header=BB1597_35 Depth=1
	global_load_dword v26, v[24:25], off
	global_load_dword v27, v[22:23], off
	v_add_co_u32_e32 v22, vcc, 4, v22
	v_addc_co_u32_e32 v23, vcc, 0, v23, vcc
	v_add_co_u32_e32 v24, vcc, 4, v24
	v_addc_co_u32_e32 v25, vcc, 0, v25, vcc
	s_add_u32 s38, s38, 1
	s_addc_u32 s39, s39, 0
	s_andn2_b64 s[10:11], s[10:11], exec
	s_waitcnt vmcnt(0)
	v_cmp_ne_u32_e32 vcc, v26, v27
	s_and_b64 s[40:41], vcc, exec
	s_or_b64 s[10:11], s[10:11], s[40:41]
.LBB1597_34:                            ;   in Loop: Header=BB1597_35 Depth=1
	s_and_b64 s[40:41], exec, s[10:11]
	s_or_b64 s[8:9], s[40:41], s[8:9]
	v_pk_mov_b32 v[26:27], s[38:39], s[38:39] op_sel:[0,1]
	s_andn2_b64 exec, exec, s[8:9]
	s_cbranch_execz .LBB1597_39
.LBB1597_35:                            ; =>This Inner Loop Header: Depth=1
	s_or_b64 s[10:11], s[10:11], exec
	s_cmp_eq_u64 s[6:7], s[38:39]
	s_cbranch_scc0 .LBB1597_33
; %bb.36:                               ;   in Loop: Header=BB1597_35 Depth=1
                                        ; implicit-def: $vgpr22_vgpr23
                                        ; implicit-def: $vgpr24_vgpr25
	s_mov_b64 s[38:39], s[26:27]
	s_branch .LBB1597_34
.LBB1597_37:
                                        ; implicit-def: $sgpr38_sgpr39
                                        ; implicit-def: $vgpr28
	s_branch .LBB1597_119
.LBB1597_38:
                                        ; implicit-def: $sgpr38_sgpr39
                                        ; implicit-def: $vgpr28
	s_cbranch_execnz .LBB1597_71
	s_branch .LBB1597_118
.LBB1597_39:
	s_or_b64 exec, exec, s[8:9]
	v_cmp_gt_i64_e32 vcc, s[26:27], v[26:27]
	s_orn2_b64 s[10:11], vcc, exec
.LBB1597_40:
	s_or_b64 exec, exec, s[14:15]
.LBB1597_41:
	v_mul_lo_u32 v24, v17, s26
	v_mul_lo_u32 v25, v16, s27
	v_mad_u64_u32 v[22:23], s[6:7], v16, s26, 0
	v_add3_u32 v23, v23, v25, v24
	s_mov_b64 s[14:15], 0
	s_and_b64 vcc, exec, s[4:5]
	v_lshlrev_b64 v[22:23], 2, v[22:23]
	s_mov_b64 s[38:39], 0
	s_cbranch_vccnz .LBB1597_50
; %bb.42:
	v_mov_b32_e32 v25, s17
	v_add_co_u32_e32 v24, vcc, s16, v22
	v_addc_co_u32_e64 v25, s[6:7], v25, v23, vcc
	v_mov_b32_e32 v27, s17
	v_add_co_u32_e64 v26, s[6:7], s16, v20
	v_addc_co_u32_e64 v27, s[8:9], v27, v21, s[6:7]
	global_load_dword v20, v[24:25], off
	global_load_dword v28, v[26:27], off
	s_mov_b64 s[38:39], -1
	s_waitcnt vmcnt(0)
	v_cmp_eq_u32_e64 s[8:9], v20, v28
	s_and_saveexec_b64 s[40:41], s[8:9]
	s_cbranch_execz .LBB1597_49
; %bb.43:
	v_mov_b32_e32 v20, s17
	v_addc_co_u32_e64 v21, s[6:7], v21, v20, s[6:7]
	v_add_co_u32_e64 v20, s[6:7], 4, v26
	v_mov_b32_e32 v25, s17
	v_addc_co_u32_e64 v21, s[6:7], 0, v21, s[6:7]
	v_addc_co_u32_e32 v25, vcc, v23, v25, vcc
	v_add_co_u32_e32 v24, vcc, 4, v24
	s_add_u32 s6, s26, -1
	v_addc_co_u32_e32 v25, vcc, 0, v25, vcc
	s_addc_u32 s7, s27, -1
	s_mov_b64 s[8:9], 0
	s_mov_b64 s[42:43], 0
                                        ; implicit-def: $sgpr38_sgpr39
	s_branch .LBB1597_46
.LBB1597_44:                            ;   in Loop: Header=BB1597_46 Depth=1
	global_load_dword v26, v[24:25], off
	global_load_dword v27, v[20:21], off
	v_add_co_u32_e32 v20, vcc, 4, v20
	v_addc_co_u32_e32 v21, vcc, 0, v21, vcc
	v_add_co_u32_e32 v24, vcc, 4, v24
	v_addc_co_u32_e32 v25, vcc, 0, v25, vcc
	s_add_u32 s42, s42, 1
	s_addc_u32 s43, s43, 0
	s_andn2_b64 s[38:39], s[38:39], exec
	s_waitcnt vmcnt(0)
	v_cmp_ne_u32_e32 vcc, v26, v27
	s_and_b64 s[44:45], vcc, exec
	s_or_b64 s[38:39], s[38:39], s[44:45]
.LBB1597_45:                            ;   in Loop: Header=BB1597_46 Depth=1
	s_and_b64 s[44:45], exec, s[38:39]
	s_or_b64 s[8:9], s[44:45], s[8:9]
	v_pk_mov_b32 v[26:27], s[42:43], s[42:43] op_sel:[0,1]
	s_andn2_b64 exec, exec, s[8:9]
	s_cbranch_execz .LBB1597_48
.LBB1597_46:                            ; =>This Inner Loop Header: Depth=1
	s_or_b64 s[38:39], s[38:39], exec
	s_cmp_eq_u64 s[6:7], s[42:43]
	s_cbranch_scc0 .LBB1597_44
; %bb.47:                               ;   in Loop: Header=BB1597_46 Depth=1
                                        ; implicit-def: $vgpr20_vgpr21
                                        ; implicit-def: $vgpr24_vgpr25
	s_mov_b64 s[42:43], s[26:27]
	s_branch .LBB1597_45
.LBB1597_48:
	s_or_b64 exec, exec, s[8:9]
	v_cmp_gt_i64_e32 vcc, s[26:27], v[26:27]
	s_orn2_b64 s[38:39], vcc, exec
.LBB1597_49:
	s_or_b64 exec, exec, s[40:41]
.LBB1597_50:
	v_mul_lo_u32 v24, v15, s26
	v_mul_lo_u32 v25, v14, s27
	v_mad_u64_u32 v[20:21], s[6:7], v14, s26, 0
	v_add3_u32 v21, v21, v25, v24
	s_and_b64 vcc, exec, s[4:5]
	v_lshlrev_b64 v[20:21], 2, v[20:21]
	s_cbranch_vccnz .LBB1597_59
; %bb.51:
	v_mov_b32_e32 v25, s17
	v_add_co_u32_e32 v24, vcc, s16, v20
	v_addc_co_u32_e64 v25, s[6:7], v25, v21, vcc
	v_mov_b32_e32 v27, s17
	v_add_co_u32_e64 v26, s[6:7], s16, v22
	v_addc_co_u32_e64 v27, s[8:9], v27, v23, s[6:7]
	global_load_dword v22, v[24:25], off
	global_load_dword v28, v[26:27], off
	s_mov_b64 s[14:15], -1
	s_waitcnt vmcnt(0)
	v_cmp_eq_u32_e64 s[8:9], v22, v28
	s_and_saveexec_b64 s[40:41], s[8:9]
	s_cbranch_execz .LBB1597_58
; %bb.52:
	v_mov_b32_e32 v22, s17
	v_addc_co_u32_e64 v23, s[6:7], v23, v22, s[6:7]
	v_add_co_u32_e64 v22, s[6:7], 4, v26
	v_mov_b32_e32 v25, s17
	v_addc_co_u32_e64 v23, s[6:7], 0, v23, s[6:7]
	v_addc_co_u32_e32 v25, vcc, v21, v25, vcc
	v_add_co_u32_e32 v24, vcc, 4, v24
	s_add_u32 s6, s26, -1
	v_addc_co_u32_e32 v25, vcc, 0, v25, vcc
	s_addc_u32 s7, s27, -1
	s_mov_b64 s[8:9], 0
	s_mov_b64 s[42:43], 0
                                        ; implicit-def: $sgpr14_sgpr15
	s_branch .LBB1597_55
.LBB1597_53:                            ;   in Loop: Header=BB1597_55 Depth=1
	global_load_dword v26, v[24:25], off
	global_load_dword v27, v[22:23], off
	v_add_co_u32_e32 v22, vcc, 4, v22
	v_addc_co_u32_e32 v23, vcc, 0, v23, vcc
	v_add_co_u32_e32 v24, vcc, 4, v24
	v_addc_co_u32_e32 v25, vcc, 0, v25, vcc
	s_add_u32 s42, s42, 1
	s_addc_u32 s43, s43, 0
	s_andn2_b64 s[14:15], s[14:15], exec
	s_waitcnt vmcnt(0)
	v_cmp_ne_u32_e32 vcc, v26, v27
	s_and_b64 s[44:45], vcc, exec
	s_or_b64 s[14:15], s[14:15], s[44:45]
.LBB1597_54:                            ;   in Loop: Header=BB1597_55 Depth=1
	s_and_b64 s[44:45], exec, s[14:15]
	s_or_b64 s[8:9], s[44:45], s[8:9]
	v_pk_mov_b32 v[26:27], s[42:43], s[42:43] op_sel:[0,1]
	s_andn2_b64 exec, exec, s[8:9]
	s_cbranch_execz .LBB1597_57
.LBB1597_55:                            ; =>This Inner Loop Header: Depth=1
	s_or_b64 s[14:15], s[14:15], exec
	s_cmp_eq_u64 s[6:7], s[42:43]
	s_cbranch_scc0 .LBB1597_53
; %bb.56:                               ;   in Loop: Header=BB1597_55 Depth=1
                                        ; implicit-def: $vgpr22_vgpr23
                                        ; implicit-def: $vgpr24_vgpr25
	s_mov_b64 s[42:43], s[26:27]
	s_branch .LBB1597_54
.LBB1597_57:
	s_or_b64 exec, exec, s[8:9]
	v_cmp_gt_i64_e32 vcc, s[26:27], v[26:27]
	s_orn2_b64 s[14:15], vcc, exec
.LBB1597_58:
	s_or_b64 exec, exec, s[40:41]
.LBB1597_59:
	s_waitcnt vmcnt(0)
	v_pk_mov_b32 v[22:23], v[18:19], v[18:19] op_sel:[0,1]
	s_waitcnt lgkmcnt(0)
	s_barrier
	s_and_saveexec_b64 s[6:7], s[2:3]
	s_cbranch_execz .LBB1597_61
; %bb.60:
	v_add_u32_e32 v22, -8, v29
	ds_read_b64 v[22:23], v22
.LBB1597_61:
	s_or_b64 exec, exec, s[6:7]
	v_cndmask_b32_e64 v25, 0, 1, s[10:11]
	v_cndmask_b32_e64 v24, 0, 1, s[38:39]
	;; [unrolled: 1-line block ×3, first 2 shown]
	v_lshlrev_b16_e32 v25, 8, v25
	v_lshlrev_b16_e32 v28, 8, v26
	v_or_b32_sdwa v30, v24, v25 dst_sel:WORD_1 dst_unused:UNUSED_PAD src0_sel:DWORD src1_sel:DWORD
	s_mov_b64 s[10:11], 0
	s_and_b64 vcc, exec, s[4:5]
	s_mov_b64 s[38:39], 0
	s_cbranch_vccnz .LBB1597_70
; %bb.62:
	s_waitcnt lgkmcnt(0)
	v_mul_lo_u32 v24, v23, s26
	v_mul_lo_u32 v25, v22, s27
	v_mad_u64_u32 v[22:23], s[6:7], v22, s26, 0
	v_add3_u32 v23, v23, v25, v24
	v_lshlrev_b64 v[22:23], 2, v[22:23]
	v_mov_b32_e32 v25, s17
	v_add_co_u32_e32 v24, vcc, s16, v22
	v_addc_co_u32_e64 v25, s[6:7], v25, v23, vcc
	v_mov_b32_e32 v22, s17
	v_add_co_u32_e64 v26, s[6:7], s16, v20
	v_addc_co_u32_e64 v27, s[8:9], v22, v21, s[6:7]
	global_load_dword v20, v[24:25], off
	global_load_dword v22, v[26:27], off
	s_mov_b64 s[38:39], -1
	s_waitcnt vmcnt(0)
	v_cmp_eq_u32_e64 s[8:9], v20, v22
	s_and_saveexec_b64 s[14:15], s[8:9]
	s_cbranch_execz .LBB1597_69
; %bb.63:
	v_mov_b32_e32 v20, s17
	v_addc_co_u32_e64 v21, s[6:7], v21, v20, s[6:7]
	v_add_co_u32_e64 v20, s[6:7], 4, v26
	v_mov_b32_e32 v22, s17
	v_addc_co_u32_e64 v21, s[6:7], 0, v21, s[6:7]
	v_addc_co_u32_e32 v23, vcc, v23, v22, vcc
	v_add_co_u32_e32 v22, vcc, 4, v24
	s_add_u32 s6, s26, -1
	v_addc_co_u32_e32 v23, vcc, 0, v23, vcc
	s_addc_u32 s7, s27, -1
	s_mov_b64 s[8:9], 0
	s_mov_b64 s[40:41], 0
                                        ; implicit-def: $sgpr38_sgpr39
	s_branch .LBB1597_66
.LBB1597_64:                            ;   in Loop: Header=BB1597_66 Depth=1
	global_load_dword v24, v[22:23], off
	global_load_dword v25, v[20:21], off
	v_add_co_u32_e32 v20, vcc, 4, v20
	v_addc_co_u32_e32 v21, vcc, 0, v21, vcc
	v_add_co_u32_e32 v22, vcc, 4, v22
	v_addc_co_u32_e32 v23, vcc, 0, v23, vcc
	s_add_u32 s40, s40, 1
	s_addc_u32 s41, s41, 0
	s_andn2_b64 s[38:39], s[38:39], exec
	s_waitcnt vmcnt(0)
	v_cmp_ne_u32_e32 vcc, v24, v25
	s_and_b64 s[42:43], vcc, exec
	s_or_b64 s[38:39], s[38:39], s[42:43]
.LBB1597_65:                            ;   in Loop: Header=BB1597_66 Depth=1
	s_and_b64 s[42:43], exec, s[38:39]
	s_or_b64 s[8:9], s[42:43], s[8:9]
	v_pk_mov_b32 v[24:25], s[40:41], s[40:41] op_sel:[0,1]
	s_andn2_b64 exec, exec, s[8:9]
	s_cbranch_execz .LBB1597_68
.LBB1597_66:                            ; =>This Inner Loop Header: Depth=1
	s_or_b64 s[38:39], s[38:39], exec
	s_cmp_eq_u64 s[6:7], s[40:41]
	s_cbranch_scc0 .LBB1597_64
; %bb.67:                               ;   in Loop: Header=BB1597_66 Depth=1
                                        ; implicit-def: $vgpr20_vgpr21
                                        ; implicit-def: $vgpr22_vgpr23
	s_mov_b64 s[40:41], s[26:27]
	s_branch .LBB1597_65
.LBB1597_68:
	s_or_b64 exec, exec, s[8:9]
	v_cmp_gt_i64_e32 vcc, s[26:27], v[24:25]
	s_orn2_b64 s[38:39], vcc, exec
.LBB1597_69:
	s_or_b64 exec, exec, s[14:15]
.LBB1597_70:
	v_or_b32_e32 v28, v28, v30
	s_and_b64 vcc, exec, s[10:11]
	s_cbranch_vccz .LBB1597_118
.LBB1597_71:
	v_or_b32_e32 v20, 3, v1
	v_cmp_gt_u32_e32 vcc, s48, v20
	s_mov_b64 s[14:15], 0
	s_mov_b64 s[10:11], 0
	s_and_saveexec_b64 s[38:39], vcc
	s_cbranch_execz .LBB1597_82
; %bb.72:
	s_and_b64 vcc, exec, s[4:5]
	s_mov_b64 s[40:41], 0
	s_cbranch_vccnz .LBB1597_81
; %bb.73:
	s_waitcnt lgkmcnt(0)
	v_mul_lo_u32 v22, v11, s26
	v_mul_lo_u32 v23, v10, s27
	v_mad_u64_u32 v[20:21], s[6:7], v10, s26, 0
	v_add3_u32 v21, v21, v23, v22
	v_mul_lo_u32 v22, v13, s26
	v_mul_lo_u32 v23, v12, s27
	v_mad_u64_u32 v[26:27], s[6:7], v12, s26, 0
	v_add3_u32 v27, v27, v23, v22
	v_lshlrev_b64 v[22:23], 2, v[20:21]
	v_mov_b32_e32 v20, s17
	v_add_co_u32_e32 v24, vcc, s16, v22
	v_addc_co_u32_e64 v25, s[6:7], v20, v23, vcc
	v_lshlrev_b64 v[20:21], 2, v[26:27]
	v_mov_b32_e32 v22, s17
	v_add_co_u32_e64 v26, s[6:7], s16, v20
	v_addc_co_u32_e64 v27, s[8:9], v22, v21, s[6:7]
	global_load_dword v20, v[24:25], off
	global_load_dword v22, v[26:27], off
	s_mov_b64 s[40:41], -1
	s_waitcnt vmcnt(0)
	v_cmp_eq_u32_e64 s[8:9], v20, v22
	s_and_saveexec_b64 s[10:11], s[8:9]
	s_cbranch_execz .LBB1597_80
; %bb.74:
	v_mov_b32_e32 v20, s17
	v_addc_co_u32_e64 v21, s[6:7], v21, v20, s[6:7]
	v_add_co_u32_e64 v20, s[6:7], 4, v26
	v_mov_b32_e32 v22, s17
	v_addc_co_u32_e64 v21, s[6:7], 0, v21, s[6:7]
	v_addc_co_u32_e32 v23, vcc, v23, v22, vcc
	v_add_co_u32_e32 v22, vcc, 4, v24
	s_add_u32 s6, s26, -1
	v_addc_co_u32_e32 v23, vcc, 0, v23, vcc
	s_addc_u32 s7, s27, -1
	s_mov_b64 s[8:9], 0
	s_mov_b64 s[42:43], 0
                                        ; implicit-def: $sgpr40_sgpr41
	s_branch .LBB1597_77
.LBB1597_75:                            ;   in Loop: Header=BB1597_77 Depth=1
	global_load_dword v24, v[22:23], off
	global_load_dword v25, v[20:21], off
	v_add_co_u32_e32 v20, vcc, 4, v20
	v_addc_co_u32_e32 v21, vcc, 0, v21, vcc
	v_add_co_u32_e32 v22, vcc, 4, v22
	v_addc_co_u32_e32 v23, vcc, 0, v23, vcc
	s_add_u32 s42, s42, 1
	s_addc_u32 s43, s43, 0
	s_andn2_b64 s[40:41], s[40:41], exec
	s_waitcnt vmcnt(0)
	v_cmp_ne_u32_e32 vcc, v24, v25
	s_and_b64 s[44:45], vcc, exec
	s_or_b64 s[40:41], s[40:41], s[44:45]
.LBB1597_76:                            ;   in Loop: Header=BB1597_77 Depth=1
	s_and_b64 s[44:45], exec, s[40:41]
	s_or_b64 s[8:9], s[44:45], s[8:9]
	v_pk_mov_b32 v[24:25], s[42:43], s[42:43] op_sel:[0,1]
	s_andn2_b64 exec, exec, s[8:9]
	s_cbranch_execz .LBB1597_79
.LBB1597_77:                            ; =>This Inner Loop Header: Depth=1
	s_or_b64 s[40:41], s[40:41], exec
	s_cmp_eq_u64 s[6:7], s[42:43]
	s_cbranch_scc0 .LBB1597_75
; %bb.78:                               ;   in Loop: Header=BB1597_77 Depth=1
                                        ; implicit-def: $vgpr20_vgpr21
                                        ; implicit-def: $vgpr22_vgpr23
	s_mov_b64 s[42:43], s[26:27]
	s_branch .LBB1597_76
.LBB1597_79:
	s_or_b64 exec, exec, s[8:9]
	v_cmp_gt_i64_e32 vcc, s[26:27], v[24:25]
	s_orn2_b64 s[40:41], vcc, exec
.LBB1597_80:
	s_or_b64 exec, exec, s[10:11]
.LBB1597_81:
	s_and_b64 s[10:11], s[40:41], exec
.LBB1597_82:
	s_or_b64 exec, exec, s[38:39]
	v_or_b32_e32 v20, 2, v1
	v_cmp_gt_u32_e32 vcc, s48, v20
	s_and_saveexec_b64 s[38:39], vcc
	s_cbranch_execz .LBB1597_93
; %bb.83:
	s_and_b64 vcc, exec, s[4:5]
	s_mov_b64 s[40:41], 0
	s_cbranch_vccnz .LBB1597_92
; %bb.84:
	s_waitcnt lgkmcnt(0)
	v_mul_lo_u32 v22, v17, s26
	v_mul_lo_u32 v23, v16, s27
	v_mad_u64_u32 v[20:21], s[6:7], v16, s26, 0
	v_add3_u32 v21, v21, v23, v22
	v_mul_lo_u32 v22, v11, s26
	v_mul_lo_u32 v23, v10, s27
	v_mad_u64_u32 v[26:27], s[6:7], v10, s26, 0
	v_add3_u32 v27, v27, v23, v22
	v_lshlrev_b64 v[22:23], 2, v[20:21]
	v_mov_b32_e32 v20, s17
	v_add_co_u32_e32 v24, vcc, s16, v22
	v_addc_co_u32_e64 v25, s[6:7], v20, v23, vcc
	v_lshlrev_b64 v[20:21], 2, v[26:27]
	v_mov_b32_e32 v22, s17
	v_add_co_u32_e64 v26, s[6:7], s16, v20
	v_addc_co_u32_e64 v27, s[8:9], v22, v21, s[6:7]
	global_load_dword v20, v[24:25], off
	global_load_dword v22, v[26:27], off
	s_mov_b64 s[40:41], -1
	s_waitcnt vmcnt(0)
	v_cmp_eq_u32_e64 s[8:9], v20, v22
	s_and_saveexec_b64 s[14:15], s[8:9]
	s_cbranch_execz .LBB1597_91
; %bb.85:
	v_mov_b32_e32 v20, s17
	v_addc_co_u32_e64 v21, s[6:7], v21, v20, s[6:7]
	v_add_co_u32_e64 v20, s[6:7], 4, v26
	v_mov_b32_e32 v22, s17
	v_addc_co_u32_e64 v21, s[6:7], 0, v21, s[6:7]
	v_addc_co_u32_e32 v23, vcc, v23, v22, vcc
	v_add_co_u32_e32 v22, vcc, 4, v24
	s_add_u32 s6, s26, -1
	v_addc_co_u32_e32 v23, vcc, 0, v23, vcc
	s_addc_u32 s7, s27, -1
	s_mov_b64 s[8:9], 0
	s_mov_b64 s[42:43], 0
                                        ; implicit-def: $sgpr40_sgpr41
	s_branch .LBB1597_88
.LBB1597_86:                            ;   in Loop: Header=BB1597_88 Depth=1
	global_load_dword v24, v[22:23], off
	global_load_dword v25, v[20:21], off
	v_add_co_u32_e32 v20, vcc, 4, v20
	v_addc_co_u32_e32 v21, vcc, 0, v21, vcc
	v_add_co_u32_e32 v22, vcc, 4, v22
	v_addc_co_u32_e32 v23, vcc, 0, v23, vcc
	s_add_u32 s42, s42, 1
	s_addc_u32 s43, s43, 0
	s_andn2_b64 s[40:41], s[40:41], exec
	s_waitcnt vmcnt(0)
	v_cmp_ne_u32_e32 vcc, v24, v25
	s_and_b64 s[44:45], vcc, exec
	s_or_b64 s[40:41], s[40:41], s[44:45]
.LBB1597_87:                            ;   in Loop: Header=BB1597_88 Depth=1
	s_and_b64 s[44:45], exec, s[40:41]
	s_or_b64 s[8:9], s[44:45], s[8:9]
	v_pk_mov_b32 v[24:25], s[42:43], s[42:43] op_sel:[0,1]
	s_andn2_b64 exec, exec, s[8:9]
	s_cbranch_execz .LBB1597_90
.LBB1597_88:                            ; =>This Inner Loop Header: Depth=1
	s_or_b64 s[40:41], s[40:41], exec
	s_cmp_eq_u64 s[6:7], s[42:43]
	s_cbranch_scc0 .LBB1597_86
; %bb.89:                               ;   in Loop: Header=BB1597_88 Depth=1
                                        ; implicit-def: $vgpr20_vgpr21
                                        ; implicit-def: $vgpr22_vgpr23
	s_mov_b64 s[42:43], s[26:27]
	s_branch .LBB1597_87
.LBB1597_90:
	s_or_b64 exec, exec, s[8:9]
	v_cmp_gt_i64_e32 vcc, s[26:27], v[24:25]
	s_orn2_b64 s[40:41], vcc, exec
.LBB1597_91:
	s_or_b64 exec, exec, s[14:15]
.LBB1597_92:
	s_and_b64 s[14:15], s[40:41], exec
.LBB1597_93:
	s_or_b64 exec, exec, s[38:39]
	v_or_b32_e32 v20, 1, v1
	v_cmp_gt_u32_e32 vcc, s48, v20
	s_mov_b64 s[6:7], 0
	s_and_saveexec_b64 s[38:39], vcc
	s_cbranch_execz .LBB1597_104
; %bb.94:
	s_and_b64 vcc, exec, s[4:5]
	s_mov_b64 s[42:43], 0
	s_cbranch_vccnz .LBB1597_103
; %bb.95:
	s_waitcnt lgkmcnt(0)
	v_mul_lo_u32 v22, v15, s26
	v_mul_lo_u32 v23, v14, s27
	v_mad_u64_u32 v[20:21], s[6:7], v14, s26, 0
	v_add3_u32 v21, v21, v23, v22
	v_mul_lo_u32 v22, v17, s26
	v_mul_lo_u32 v23, v16, s27
	v_mad_u64_u32 v[26:27], s[6:7], v16, s26, 0
	v_add3_u32 v27, v27, v23, v22
	v_lshlrev_b64 v[22:23], 2, v[20:21]
	v_mov_b32_e32 v20, s17
	v_add_co_u32_e32 v24, vcc, s16, v22
	v_addc_co_u32_e64 v25, s[6:7], v20, v23, vcc
	v_lshlrev_b64 v[20:21], 2, v[26:27]
	v_mov_b32_e32 v22, s17
	v_add_co_u32_e64 v26, s[6:7], s16, v20
	v_addc_co_u32_e64 v27, s[8:9], v22, v21, s[6:7]
	global_load_dword v20, v[24:25], off
	global_load_dword v22, v[26:27], off
	s_mov_b64 s[42:43], -1
	s_waitcnt vmcnt(0)
	v_cmp_eq_u32_e64 s[8:9], v20, v22
	s_and_saveexec_b64 s[40:41], s[8:9]
	s_cbranch_execz .LBB1597_102
; %bb.96:
	v_mov_b32_e32 v20, s17
	v_addc_co_u32_e64 v21, s[6:7], v21, v20, s[6:7]
	v_add_co_u32_e64 v20, s[6:7], 4, v26
	v_mov_b32_e32 v22, s17
	v_addc_co_u32_e64 v21, s[6:7], 0, v21, s[6:7]
	v_addc_co_u32_e32 v23, vcc, v23, v22, vcc
	v_add_co_u32_e32 v22, vcc, 4, v24
	s_add_u32 s6, s26, -1
	v_addc_co_u32_e32 v23, vcc, 0, v23, vcc
	s_addc_u32 s7, s27, -1
	s_mov_b64 s[8:9], 0
	s_mov_b64 s[44:45], 0
                                        ; implicit-def: $sgpr42_sgpr43
	s_branch .LBB1597_99
.LBB1597_97:                            ;   in Loop: Header=BB1597_99 Depth=1
	global_load_dword v24, v[22:23], off
	global_load_dword v25, v[20:21], off
	v_add_co_u32_e32 v20, vcc, 4, v20
	v_addc_co_u32_e32 v21, vcc, 0, v21, vcc
	v_add_co_u32_e32 v22, vcc, 4, v22
	v_addc_co_u32_e32 v23, vcc, 0, v23, vcc
	s_add_u32 s44, s44, 1
	s_addc_u32 s45, s45, 0
	s_andn2_b64 s[42:43], s[42:43], exec
	s_waitcnt vmcnt(0)
	v_cmp_ne_u32_e32 vcc, v24, v25
	s_and_b64 s[46:47], vcc, exec
	s_or_b64 s[42:43], s[42:43], s[46:47]
.LBB1597_98:                            ;   in Loop: Header=BB1597_99 Depth=1
	s_and_b64 s[46:47], exec, s[42:43]
	s_or_b64 s[8:9], s[46:47], s[8:9]
	v_pk_mov_b32 v[24:25], s[44:45], s[44:45] op_sel:[0,1]
	s_andn2_b64 exec, exec, s[8:9]
	s_cbranch_execz .LBB1597_101
.LBB1597_99:                            ; =>This Inner Loop Header: Depth=1
	s_or_b64 s[42:43], s[42:43], exec
	s_cmp_eq_u64 s[6:7], s[44:45]
	s_cbranch_scc0 .LBB1597_97
; %bb.100:                              ;   in Loop: Header=BB1597_99 Depth=1
                                        ; implicit-def: $vgpr20_vgpr21
                                        ; implicit-def: $vgpr22_vgpr23
	s_mov_b64 s[44:45], s[26:27]
	s_branch .LBB1597_98
.LBB1597_101:
	s_or_b64 exec, exec, s[8:9]
	v_cmp_gt_i64_e32 vcc, s[26:27], v[24:25]
	s_orn2_b64 s[42:43], vcc, exec
.LBB1597_102:
	s_or_b64 exec, exec, s[40:41]
.LBB1597_103:
	s_and_b64 s[6:7], s[42:43], exec
.LBB1597_104:
	s_or_b64 exec, exec, s[38:39]
	s_waitcnt lgkmcnt(0)
	s_barrier
	s_and_saveexec_b64 s[8:9], s[2:3]
	s_cbranch_execz .LBB1597_106
; %bb.105:
	s_waitcnt vmcnt(0)
	v_add_u32_e32 v18, -8, v29
	ds_read_b64 v[18:19], v18
.LBB1597_106:
	s_or_b64 exec, exec, s[8:9]
	v_cndmask_b32_e64 v21, 0, 1, s[10:11]
	v_cndmask_b32_e64 v20, 0, 1, s[14:15]
	;; [unrolled: 1-line block ×3, first 2 shown]
	v_lshlrev_b16_e32 v21, 8, v21
	v_lshlrev_b16_e32 v26, 8, v22
	v_or_b32_sdwa v27, v20, v21 dst_sel:WORD_1 dst_unused:UNUSED_PAD src0_sel:DWORD src1_sel:DWORD
	v_cmp_gt_u32_e32 vcc, s48, v1
	s_mov_b64 s[38:39], 0
	s_and_saveexec_b64 s[8:9], vcc
	s_cbranch_execz .LBB1597_117
; %bb.107:
	s_and_b64 vcc, exec, s[4:5]
	s_mov_b64 s[14:15], 0
	s_cbranch_vccnz .LBB1597_116
; %bb.108:
	s_waitcnt vmcnt(0) lgkmcnt(0)
	v_mul_lo_u32 v20, v19, s26
	v_mul_lo_u32 v21, v18, s27
	v_mad_u64_u32 v[18:19], s[4:5], v18, s26, 0
	v_add3_u32 v19, v19, v21, v20
	v_mul_lo_u32 v20, v15, s26
	v_mul_lo_u32 v21, v14, s27
	v_mad_u64_u32 v[24:25], s[4:5], v14, s26, 0
	v_add3_u32 v25, v25, v21, v20
	v_lshlrev_b64 v[20:21], 2, v[18:19]
	v_mov_b32_e32 v18, s17
	v_add_co_u32_e32 v22, vcc, s16, v20
	v_addc_co_u32_e64 v23, s[4:5], v18, v21, vcc
	v_lshlrev_b64 v[18:19], 2, v[24:25]
	v_mov_b32_e32 v20, s17
	v_add_co_u32_e64 v24, s[4:5], s16, v18
	v_addc_co_u32_e64 v25, s[6:7], v20, v19, s[4:5]
	global_load_dword v18, v[22:23], off
	global_load_dword v20, v[24:25], off
	s_mov_b64 s[14:15], -1
	s_waitcnt vmcnt(0)
	v_cmp_eq_u32_e64 s[6:7], v18, v20
	s_and_saveexec_b64 s[10:11], s[6:7]
	s_cbranch_execz .LBB1597_115
; %bb.109:
	v_mov_b32_e32 v18, s17
	v_addc_co_u32_e64 v19, s[4:5], v19, v18, s[4:5]
	v_add_co_u32_e64 v18, s[4:5], 4, v24
	v_mov_b32_e32 v20, s17
	v_addc_co_u32_e64 v19, s[4:5], 0, v19, s[4:5]
	v_addc_co_u32_e32 v21, vcc, v21, v20, vcc
	v_add_co_u32_e32 v20, vcc, 4, v22
	s_add_u32 s4, s26, -1
	v_addc_co_u32_e32 v21, vcc, 0, v21, vcc
	s_addc_u32 s5, s27, -1
	s_mov_b64 s[6:7], 0
                                        ; implicit-def: $sgpr14_sgpr15
	s_branch .LBB1597_112
.LBB1597_110:                           ;   in Loop: Header=BB1597_112 Depth=1
	global_load_dword v22, v[20:21], off
	global_load_dword v23, v[18:19], off
	v_add_co_u32_e32 v18, vcc, 4, v18
	v_addc_co_u32_e32 v19, vcc, 0, v19, vcc
	v_add_co_u32_e32 v20, vcc, 4, v20
	v_addc_co_u32_e32 v21, vcc, 0, v21, vcc
	s_add_u32 s38, s38, 1
	s_addc_u32 s39, s39, 0
	s_andn2_b64 s[14:15], s[14:15], exec
	s_waitcnt vmcnt(0)
	v_cmp_ne_u32_e32 vcc, v22, v23
	s_and_b64 s[40:41], vcc, exec
	s_or_b64 s[14:15], s[14:15], s[40:41]
.LBB1597_111:                           ;   in Loop: Header=BB1597_112 Depth=1
	s_and_b64 s[40:41], exec, s[14:15]
	s_or_b64 s[6:7], s[40:41], s[6:7]
	v_pk_mov_b32 v[22:23], s[38:39], s[38:39] op_sel:[0,1]
	s_andn2_b64 exec, exec, s[6:7]
	s_cbranch_execz .LBB1597_114
.LBB1597_112:                           ; =>This Inner Loop Header: Depth=1
	s_or_b64 s[14:15], s[14:15], exec
	s_cmp_eq_u64 s[4:5], s[38:39]
	s_cbranch_scc0 .LBB1597_110
; %bb.113:                              ;   in Loop: Header=BB1597_112 Depth=1
                                        ; implicit-def: $vgpr18_vgpr19
                                        ; implicit-def: $vgpr20_vgpr21
	s_mov_b64 s[38:39], s[26:27]
	s_branch .LBB1597_111
.LBB1597_114:
	s_or_b64 exec, exec, s[6:7]
	v_cmp_gt_i64_e32 vcc, s[26:27], v[22:23]
	s_orn2_b64 s[14:15], vcc, exec
.LBB1597_115:
	s_or_b64 exec, exec, s[10:11]
.LBB1597_116:
	s_and_b64 s[38:39], s[14:15], exec
.LBB1597_117:
	s_or_b64 exec, exec, s[8:9]
	v_or_b32_e32 v28, v26, v27
.LBB1597_118:
	s_mov_b64 s[14:15], -1
	s_cbranch_execnz .LBB1597_207
.LBB1597_119:
	v_lshlrev_b32_e32 v29, 3, v0
	s_mov_b64 s[38:39], 0
	v_cmp_gt_i64_e64 s[10:11], s[26:27], 0
	s_and_b64 vcc, exec, s[34:35]
	ds_write_b64 v29, v[12:13]
	s_cbranch_vccz .LBB1597_127
; %bb.120:
	v_mul_lo_u32 v20, v11, s26
	v_mul_lo_u32 v21, v10, s27
	s_waitcnt vmcnt(0) lgkmcnt(1)
	v_mad_u64_u32 v[18:19], s[4:5], v10, s26, 0
	v_add3_u32 v19, v19, v21, v20
	v_cndmask_b32_e64 v20, 0, 1, s[10:11]
	v_cmp_ne_u32_e64 s[4:5], 1, v20
	s_andn2_b64 vcc, exec, s[10:11]
	v_lshlrev_b64 v[18:19], 2, v[18:19]
	s_cbranch_vccnz .LBB1597_130
; %bb.121:
	v_mul_lo_u32 v22, v13, s26
	v_mul_lo_u32 v23, v12, s27
	v_mad_u64_u32 v[20:21], s[6:7], v12, s26, 0
	v_add3_u32 v21, v21, v23, v22
	v_mov_b32_e32 v23, s17
	v_add_co_u32_e32 v22, vcc, s16, v18
	v_addc_co_u32_e64 v23, s[6:7], v23, v19, vcc
	v_lshlrev_b64 v[20:21], 2, v[20:21]
	v_mov_b32_e32 v25, s17
	v_add_co_u32_e64 v24, s[6:7], s16, v20
	v_addc_co_u32_e64 v25, s[8:9], v25, v21, s[6:7]
	global_load_dword v20, v[22:23], off
	global_load_dword v26, v[24:25], off
	s_mov_b64 s[38:39], -1
	s_waitcnt vmcnt(0)
	v_cmp_eq_u32_e64 s[8:9], v20, v26
	s_and_saveexec_b64 s[40:41], s[8:9]
	s_cbranch_execz .LBB1597_129
; %bb.122:
	v_mov_b32_e32 v20, s17
	v_addc_co_u32_e64 v21, s[6:7], v21, v20, s[6:7]
	v_add_co_u32_e64 v20, s[6:7], 4, v24
	v_mov_b32_e32 v23, s17
	v_addc_co_u32_e64 v21, s[6:7], 0, v21, s[6:7]
	v_addc_co_u32_e32 v23, vcc, v19, v23, vcc
	v_add_co_u32_e32 v22, vcc, 4, v22
	s_add_u32 s6, s26, -1
	v_addc_co_u32_e32 v23, vcc, 0, v23, vcc
	s_addc_u32 s7, s27, -1
	s_mov_b64 s[8:9], 0
	s_mov_b64 s[42:43], 0
                                        ; implicit-def: $sgpr38_sgpr39
	s_branch .LBB1597_125
.LBB1597_123:                           ;   in Loop: Header=BB1597_125 Depth=1
	global_load_dword v24, v[22:23], off
	global_load_dword v25, v[20:21], off
	v_add_co_u32_e32 v20, vcc, 4, v20
	v_addc_co_u32_e32 v21, vcc, 0, v21, vcc
	v_add_co_u32_e32 v22, vcc, 4, v22
	v_addc_co_u32_e32 v23, vcc, 0, v23, vcc
	s_add_u32 s42, s42, 1
	s_addc_u32 s43, s43, 0
	s_andn2_b64 s[38:39], s[38:39], exec
	s_waitcnt vmcnt(0)
	v_cmp_ne_u32_e32 vcc, v24, v25
	s_and_b64 s[44:45], vcc, exec
	s_or_b64 s[38:39], s[38:39], s[44:45]
.LBB1597_124:                           ;   in Loop: Header=BB1597_125 Depth=1
	s_and_b64 s[44:45], exec, s[38:39]
	s_or_b64 s[8:9], s[44:45], s[8:9]
	v_pk_mov_b32 v[24:25], s[42:43], s[42:43] op_sel:[0,1]
	s_andn2_b64 exec, exec, s[8:9]
	s_cbranch_execz .LBB1597_128
.LBB1597_125:                           ; =>This Inner Loop Header: Depth=1
	s_or_b64 s[38:39], s[38:39], exec
	s_cmp_eq_u64 s[6:7], s[42:43]
	s_cbranch_scc0 .LBB1597_123
; %bb.126:                              ;   in Loop: Header=BB1597_125 Depth=1
                                        ; implicit-def: $vgpr20_vgpr21
                                        ; implicit-def: $vgpr22_vgpr23
	s_mov_b64 s[42:43], s[26:27]
	s_branch .LBB1597_124
.LBB1597_127:
                                        ; implicit-def: $sgpr38_sgpr39
                                        ; implicit-def: $vgpr28
	s_cbranch_execnz .LBB1597_160
	s_branch .LBB1597_207
.LBB1597_128:
	s_or_b64 exec, exec, s[8:9]
	v_cmp_gt_i64_e32 vcc, s[26:27], v[24:25]
	s_orn2_b64 s[38:39], vcc, exec
.LBB1597_129:
	s_or_b64 exec, exec, s[40:41]
.LBB1597_130:
	v_mul_lo_u32 v22, v17, s26
	v_mul_lo_u32 v23, v16, s27
	v_mad_u64_u32 v[20:21], s[6:7], v16, s26, 0
	v_add3_u32 v21, v21, v23, v22
	s_mov_b64 s[40:41], 0
	s_and_b64 vcc, exec, s[4:5]
	v_lshlrev_b64 v[20:21], 2, v[20:21]
	s_mov_b64 s[42:43], 0
	s_cbranch_vccnz .LBB1597_139
; %bb.131:
	v_mov_b32_e32 v23, s17
	v_add_co_u32_e32 v22, vcc, s16, v20
	v_addc_co_u32_e64 v23, s[6:7], v23, v21, vcc
	v_mov_b32_e32 v25, s17
	v_add_co_u32_e64 v24, s[6:7], s16, v18
	v_addc_co_u32_e64 v25, s[8:9], v25, v19, s[6:7]
	global_load_dword v18, v[22:23], off
	global_load_dword v26, v[24:25], off
	s_mov_b64 s[42:43], -1
	s_waitcnt vmcnt(0)
	v_cmp_eq_u32_e64 s[8:9], v18, v26
	s_and_saveexec_b64 s[44:45], s[8:9]
	s_cbranch_execz .LBB1597_138
; %bb.132:
	v_mov_b32_e32 v18, s17
	v_addc_co_u32_e64 v19, s[6:7], v19, v18, s[6:7]
	v_add_co_u32_e64 v18, s[6:7], 4, v24
	v_mov_b32_e32 v23, s17
	v_addc_co_u32_e64 v19, s[6:7], 0, v19, s[6:7]
	v_addc_co_u32_e32 v23, vcc, v21, v23, vcc
	v_add_co_u32_e32 v22, vcc, 4, v22
	s_add_u32 s6, s26, -1
	v_addc_co_u32_e32 v23, vcc, 0, v23, vcc
	s_addc_u32 s7, s27, -1
	s_mov_b64 s[8:9], 0
	s_mov_b64 s[46:47], 0
                                        ; implicit-def: $sgpr42_sgpr43
	s_branch .LBB1597_135
.LBB1597_133:                           ;   in Loop: Header=BB1597_135 Depth=1
	global_load_dword v24, v[22:23], off
	global_load_dword v25, v[18:19], off
	v_add_co_u32_e32 v18, vcc, 4, v18
	v_addc_co_u32_e32 v19, vcc, 0, v19, vcc
	v_add_co_u32_e32 v22, vcc, 4, v22
	v_addc_co_u32_e32 v23, vcc, 0, v23, vcc
	s_add_u32 s46, s46, 1
	s_addc_u32 s47, s47, 0
	s_andn2_b64 s[42:43], s[42:43], exec
	s_waitcnt vmcnt(0)
	v_cmp_ne_u32_e32 vcc, v24, v25
	s_and_b64 s[50:51], vcc, exec
	s_or_b64 s[42:43], s[42:43], s[50:51]
.LBB1597_134:                           ;   in Loop: Header=BB1597_135 Depth=1
	s_and_b64 s[50:51], exec, s[42:43]
	s_or_b64 s[8:9], s[50:51], s[8:9]
	v_pk_mov_b32 v[24:25], s[46:47], s[46:47] op_sel:[0,1]
	s_andn2_b64 exec, exec, s[8:9]
	s_cbranch_execz .LBB1597_137
.LBB1597_135:                           ; =>This Inner Loop Header: Depth=1
	s_or_b64 s[42:43], s[42:43], exec
	s_cmp_eq_u64 s[6:7], s[46:47]
	s_cbranch_scc0 .LBB1597_133
; %bb.136:                              ;   in Loop: Header=BB1597_135 Depth=1
                                        ; implicit-def: $vgpr18_vgpr19
                                        ; implicit-def: $vgpr22_vgpr23
	s_mov_b64 s[46:47], s[26:27]
	s_branch .LBB1597_134
.LBB1597_137:
	s_or_b64 exec, exec, s[8:9]
	v_cmp_gt_i64_e32 vcc, s[26:27], v[24:25]
	s_orn2_b64 s[42:43], vcc, exec
.LBB1597_138:
	s_or_b64 exec, exec, s[44:45]
.LBB1597_139:
	v_mul_lo_u32 v22, v15, s26
	v_mul_lo_u32 v23, v14, s27
	v_mad_u64_u32 v[18:19], s[6:7], v14, s26, 0
	s_and_b64 vcc, exec, s[4:5]
	v_add3_u32 v19, v19, v23, v22
	s_cbranch_vccnz .LBB1597_148
; %bb.140:
	v_lshlrev_b64 v[22:23], 2, v[18:19]
	v_mov_b32_e32 v25, s17
	v_add_co_u32_e32 v24, vcc, s16, v22
	v_addc_co_u32_e64 v25, s[6:7], v25, v23, vcc
	v_mov_b32_e32 v22, s17
	v_add_co_u32_e64 v26, s[6:7], s16, v20
	v_addc_co_u32_e64 v27, s[8:9], v22, v21, s[6:7]
	global_load_dword v20, v[24:25], off
	global_load_dword v22, v[26:27], off
	s_mov_b64 s[40:41], -1
	s_waitcnt vmcnt(0)
	v_cmp_eq_u32_e64 s[8:9], v20, v22
	s_and_saveexec_b64 s[44:45], s[8:9]
	s_cbranch_execz .LBB1597_147
; %bb.141:
	v_mov_b32_e32 v20, s17
	v_addc_co_u32_e64 v21, s[6:7], v21, v20, s[6:7]
	v_add_co_u32_e64 v20, s[6:7], 4, v26
	v_mov_b32_e32 v22, s17
	v_addc_co_u32_e64 v21, s[6:7], 0, v21, s[6:7]
	v_addc_co_u32_e32 v23, vcc, v23, v22, vcc
	v_add_co_u32_e32 v22, vcc, 4, v24
	s_add_u32 s6, s26, -1
	v_addc_co_u32_e32 v23, vcc, 0, v23, vcc
	s_addc_u32 s7, s27, -1
	s_mov_b64 s[8:9], 0
	s_mov_b64 s[46:47], 0
                                        ; implicit-def: $sgpr40_sgpr41
	s_branch .LBB1597_144
.LBB1597_142:                           ;   in Loop: Header=BB1597_144 Depth=1
	global_load_dword v24, v[22:23], off
	global_load_dword v25, v[20:21], off
	v_add_co_u32_e32 v20, vcc, 4, v20
	v_addc_co_u32_e32 v21, vcc, 0, v21, vcc
	v_add_co_u32_e32 v22, vcc, 4, v22
	v_addc_co_u32_e32 v23, vcc, 0, v23, vcc
	s_add_u32 s46, s46, 1
	s_addc_u32 s47, s47, 0
	s_andn2_b64 s[40:41], s[40:41], exec
	s_waitcnt vmcnt(0)
	v_cmp_ne_u32_e32 vcc, v24, v25
	s_and_b64 s[50:51], vcc, exec
	s_or_b64 s[40:41], s[40:41], s[50:51]
.LBB1597_143:                           ;   in Loop: Header=BB1597_144 Depth=1
	s_and_b64 s[50:51], exec, s[40:41]
	s_or_b64 s[8:9], s[50:51], s[8:9]
	v_pk_mov_b32 v[24:25], s[46:47], s[46:47] op_sel:[0,1]
	s_andn2_b64 exec, exec, s[8:9]
	s_cbranch_execz .LBB1597_146
.LBB1597_144:                           ; =>This Inner Loop Header: Depth=1
	s_or_b64 s[40:41], s[40:41], exec
	s_cmp_eq_u64 s[6:7], s[46:47]
	s_cbranch_scc0 .LBB1597_142
; %bb.145:                              ;   in Loop: Header=BB1597_144 Depth=1
                                        ; implicit-def: $vgpr20_vgpr21
                                        ; implicit-def: $vgpr22_vgpr23
	s_mov_b64 s[46:47], s[26:27]
	s_branch .LBB1597_143
.LBB1597_146:
	s_or_b64 exec, exec, s[8:9]
	v_cmp_gt_i64_e32 vcc, s[26:27], v[24:25]
	s_orn2_b64 s[40:41], vcc, exec
.LBB1597_147:
	s_or_b64 exec, exec, s[44:45]
.LBB1597_148:
	v_cndmask_b32_e64 v21, 0, 1, s[38:39]
	v_cndmask_b32_e64 v22, 0, 1, s[40:41]
	;; [unrolled: 1-line block ×3, first 2 shown]
	v_lshlrev_b16_e32 v22, 8, v22
	v_lshlrev_b16_e32 v21, 8, v21
	v_or_b32_e32 v22, 1, v22
	v_or_b32_sdwa v20, v20, v21 dst_sel:WORD_1 dst_unused:UNUSED_PAD src0_sel:DWORD src1_sel:DWORD
	v_or_b32_sdwa v28, v22, v20 dst_sel:DWORD dst_unused:UNUSED_PAD src0_sel:WORD_0 src1_sel:DWORD
	s_waitcnt lgkmcnt(0)
	s_barrier
	s_waitcnt lgkmcnt(0)
                                        ; implicit-def: $sgpr38_sgpr39
	s_and_saveexec_b64 s[6:7], s[2:3]
	s_xor_b64 s[8:9], exec, s[6:7]
	s_cbranch_execz .LBB1597_159
; %bb.149:
	s_and_b64 vcc, exec, s[4:5]
	s_mov_b64 s[40:41], 0
	s_cbranch_vccnz .LBB1597_158
; %bb.150:
	v_add_u32_e32 v20, -8, v29
	ds_read_b64 v[20:21], v20
	v_mov_b32_e32 v23, s17
	v_lshlrev_b64 v[18:19], 2, v[18:19]
	s_mov_b64 s[40:41], -1
	s_waitcnt lgkmcnt(0)
	v_mul_lo_u32 v22, v21, s26
	v_mul_lo_u32 v24, v20, s27
	v_mad_u64_u32 v[20:21], s[4:5], v20, s26, 0
	v_add3_u32 v21, v21, v24, v22
	v_lshlrev_b64 v[20:21], 2, v[20:21]
	v_add_co_u32_e32 v22, vcc, s16, v20
	v_addc_co_u32_e64 v23, s[4:5], v23, v21, vcc
	v_mov_b32_e32 v20, s17
	v_add_co_u32_e64 v24, s[4:5], s16, v18
	v_addc_co_u32_e64 v25, s[6:7], v20, v19, s[4:5]
	global_load_dword v18, v[22:23], off
	global_load_dword v20, v[24:25], off
	s_waitcnt vmcnt(0)
	v_cmp_eq_u32_e64 s[6:7], v18, v20
	s_and_saveexec_b64 s[38:39], s[6:7]
	s_cbranch_execz .LBB1597_157
; %bb.151:
	v_mov_b32_e32 v18, s17
	v_addc_co_u32_e64 v19, s[4:5], v19, v18, s[4:5]
	v_add_co_u32_e64 v18, s[4:5], 4, v24
	v_mov_b32_e32 v20, s17
	v_addc_co_u32_e64 v19, s[4:5], 0, v19, s[4:5]
	v_addc_co_u32_e32 v21, vcc, v21, v20, vcc
	v_add_co_u32_e32 v20, vcc, 4, v22
	s_add_u32 s4, s26, -1
	v_addc_co_u32_e32 v21, vcc, 0, v21, vcc
	s_addc_u32 s5, s27, -1
	s_mov_b64 s[6:7], 0
	s_mov_b64 s[42:43], 0
                                        ; implicit-def: $sgpr40_sgpr41
	s_branch .LBB1597_154
.LBB1597_152:                           ;   in Loop: Header=BB1597_154 Depth=1
	global_load_dword v22, v[20:21], off
	global_load_dword v23, v[18:19], off
	v_add_co_u32_e32 v18, vcc, 4, v18
	v_addc_co_u32_e32 v19, vcc, 0, v19, vcc
	v_add_co_u32_e32 v20, vcc, 4, v20
	v_addc_co_u32_e32 v21, vcc, 0, v21, vcc
	s_add_u32 s42, s42, 1
	s_addc_u32 s43, s43, 0
	s_andn2_b64 s[40:41], s[40:41], exec
	s_waitcnt vmcnt(0)
	v_cmp_ne_u32_e32 vcc, v22, v23
	s_and_b64 s[44:45], vcc, exec
	s_or_b64 s[40:41], s[40:41], s[44:45]
.LBB1597_153:                           ;   in Loop: Header=BB1597_154 Depth=1
	s_and_b64 s[44:45], exec, s[40:41]
	s_or_b64 s[6:7], s[44:45], s[6:7]
	v_pk_mov_b32 v[22:23], s[42:43], s[42:43] op_sel:[0,1]
	s_andn2_b64 exec, exec, s[6:7]
	s_cbranch_execz .LBB1597_156
.LBB1597_154:                           ; =>This Inner Loop Header: Depth=1
	s_or_b64 s[40:41], s[40:41], exec
	s_cmp_eq_u64 s[4:5], s[42:43]
	s_cbranch_scc0 .LBB1597_152
; %bb.155:                              ;   in Loop: Header=BB1597_154 Depth=1
                                        ; implicit-def: $vgpr18_vgpr19
                                        ; implicit-def: $vgpr20_vgpr21
	s_mov_b64 s[42:43], s[26:27]
	s_branch .LBB1597_153
.LBB1597_156:
	s_or_b64 exec, exec, s[6:7]
	v_cmp_gt_i64_e32 vcc, s[26:27], v[22:23]
	s_orn2_b64 s[40:41], vcc, exec
.LBB1597_157:
	s_or_b64 exec, exec, s[38:39]
.LBB1597_158:
	s_and_b64 s[38:39], s[40:41], exec
	s_or_b64 s[14:15], s[14:15], exec
.LBB1597_159:
	s_or_b64 exec, exec, s[8:9]
	s_branch .LBB1597_207
.LBB1597_160:
	s_waitcnt vmcnt(0) lgkmcnt(1)
	v_or_b32_e32 v18, 3, v1
	v_cmp_gt_u32_e32 vcc, s48, v18
	s_mov_b64 s[38:39], 0
	s_mov_b64 s[8:9], 0
	s_and_saveexec_b64 s[40:41], vcc
	s_cbranch_execz .LBB1597_171
; %bb.161:
	s_andn2_b64 vcc, exec, s[10:11]
	s_mov_b64 s[42:43], 0
	s_cbranch_vccnz .LBB1597_170
; %bb.162:
	v_mul_lo_u32 v20, v11, s26
	v_mul_lo_u32 v21, v10, s27
	v_mad_u64_u32 v[18:19], s[4:5], v10, s26, 0
	v_add3_u32 v19, v19, v21, v20
	v_mul_lo_u32 v20, v13, s26
	v_mul_lo_u32 v21, v12, s27
	v_mad_u64_u32 v[24:25], s[4:5], v12, s26, 0
	v_add3_u32 v25, v25, v21, v20
	v_lshlrev_b64 v[20:21], 2, v[18:19]
	v_mov_b32_e32 v18, s17
	v_add_co_u32_e32 v22, vcc, s16, v20
	v_addc_co_u32_e64 v23, s[4:5], v18, v21, vcc
	v_lshlrev_b64 v[18:19], 2, v[24:25]
	v_mov_b32_e32 v20, s17
	v_add_co_u32_e64 v24, s[4:5], s16, v18
	v_addc_co_u32_e64 v25, s[6:7], v20, v19, s[4:5]
	global_load_dword v18, v[22:23], off
	global_load_dword v20, v[24:25], off
	s_mov_b64 s[42:43], -1
	s_waitcnt vmcnt(0)
	v_cmp_eq_u32_e64 s[6:7], v18, v20
	s_and_saveexec_b64 s[8:9], s[6:7]
	s_cbranch_execz .LBB1597_169
; %bb.163:
	v_mov_b32_e32 v18, s17
	v_addc_co_u32_e64 v19, s[4:5], v19, v18, s[4:5]
	v_add_co_u32_e64 v18, s[4:5], 4, v24
	v_mov_b32_e32 v20, s17
	v_addc_co_u32_e64 v19, s[4:5], 0, v19, s[4:5]
	v_addc_co_u32_e32 v21, vcc, v21, v20, vcc
	v_add_co_u32_e32 v20, vcc, 4, v22
	s_add_u32 s4, s26, -1
	v_addc_co_u32_e32 v21, vcc, 0, v21, vcc
	s_addc_u32 s5, s27, -1
	s_mov_b64 s[6:7], 0
	s_mov_b64 s[44:45], 0
                                        ; implicit-def: $sgpr42_sgpr43
	s_branch .LBB1597_166
.LBB1597_164:                           ;   in Loop: Header=BB1597_166 Depth=1
	global_load_dword v22, v[20:21], off
	global_load_dword v23, v[18:19], off
	v_add_co_u32_e32 v18, vcc, 4, v18
	v_addc_co_u32_e32 v19, vcc, 0, v19, vcc
	v_add_co_u32_e32 v20, vcc, 4, v20
	v_addc_co_u32_e32 v21, vcc, 0, v21, vcc
	s_add_u32 s44, s44, 1
	s_addc_u32 s45, s45, 0
	s_andn2_b64 s[42:43], s[42:43], exec
	s_waitcnt vmcnt(0)
	v_cmp_ne_u32_e32 vcc, v22, v23
	s_and_b64 s[46:47], vcc, exec
	s_or_b64 s[42:43], s[42:43], s[46:47]
.LBB1597_165:                           ;   in Loop: Header=BB1597_166 Depth=1
	s_and_b64 s[46:47], exec, s[42:43]
	s_or_b64 s[6:7], s[46:47], s[6:7]
	v_pk_mov_b32 v[22:23], s[44:45], s[44:45] op_sel:[0,1]
	s_andn2_b64 exec, exec, s[6:7]
	s_cbranch_execz .LBB1597_168
.LBB1597_166:                           ; =>This Inner Loop Header: Depth=1
	s_or_b64 s[42:43], s[42:43], exec
	s_cmp_eq_u64 s[4:5], s[44:45]
	s_cbranch_scc0 .LBB1597_164
; %bb.167:                              ;   in Loop: Header=BB1597_166 Depth=1
                                        ; implicit-def: $vgpr18_vgpr19
                                        ; implicit-def: $vgpr20_vgpr21
	s_mov_b64 s[44:45], s[26:27]
	s_branch .LBB1597_165
.LBB1597_168:
	s_or_b64 exec, exec, s[6:7]
	v_cmp_gt_i64_e32 vcc, s[26:27], v[22:23]
	s_orn2_b64 s[42:43], vcc, exec
.LBB1597_169:
	s_or_b64 exec, exec, s[8:9]
.LBB1597_170:
	s_and_b64 s[8:9], s[42:43], exec
.LBB1597_171:
	s_or_b64 exec, exec, s[40:41]
	v_or_b32_e32 v18, 2, v1
	v_cmp_gt_u32_e32 vcc, s48, v18
	s_and_saveexec_b64 s[40:41], vcc
	s_cbranch_execz .LBB1597_182
; %bb.172:
	s_andn2_b64 vcc, exec, s[10:11]
	s_mov_b64 s[42:43], 0
	s_cbranch_vccnz .LBB1597_181
; %bb.173:
	v_mul_lo_u32 v20, v17, s26
	v_mul_lo_u32 v21, v16, s27
	v_mad_u64_u32 v[18:19], s[4:5], v16, s26, 0
	v_add3_u32 v19, v19, v21, v20
	v_mul_lo_u32 v20, v11, s26
	v_mul_lo_u32 v21, v10, s27
	v_mad_u64_u32 v[24:25], s[4:5], v10, s26, 0
	v_add3_u32 v25, v25, v21, v20
	v_lshlrev_b64 v[20:21], 2, v[18:19]
	v_mov_b32_e32 v18, s17
	v_add_co_u32_e32 v22, vcc, s16, v20
	v_addc_co_u32_e64 v23, s[4:5], v18, v21, vcc
	v_lshlrev_b64 v[18:19], 2, v[24:25]
	v_mov_b32_e32 v20, s17
	v_add_co_u32_e64 v24, s[4:5], s16, v18
	v_addc_co_u32_e64 v25, s[6:7], v20, v19, s[4:5]
	global_load_dword v18, v[22:23], off
	global_load_dword v20, v[24:25], off
	s_mov_b64 s[42:43], -1
	s_waitcnt vmcnt(0)
	v_cmp_eq_u32_e64 s[6:7], v18, v20
	s_and_saveexec_b64 s[38:39], s[6:7]
	s_cbranch_execz .LBB1597_180
; %bb.174:
	v_mov_b32_e32 v18, s17
	v_addc_co_u32_e64 v19, s[4:5], v19, v18, s[4:5]
	v_add_co_u32_e64 v18, s[4:5], 4, v24
	v_mov_b32_e32 v20, s17
	v_addc_co_u32_e64 v19, s[4:5], 0, v19, s[4:5]
	v_addc_co_u32_e32 v21, vcc, v21, v20, vcc
	v_add_co_u32_e32 v20, vcc, 4, v22
	s_add_u32 s4, s26, -1
	v_addc_co_u32_e32 v21, vcc, 0, v21, vcc
	s_addc_u32 s5, s27, -1
	s_mov_b64 s[6:7], 0
	s_mov_b64 s[44:45], 0
                                        ; implicit-def: $sgpr42_sgpr43
	s_branch .LBB1597_177
.LBB1597_175:                           ;   in Loop: Header=BB1597_177 Depth=1
	global_load_dword v22, v[20:21], off
	global_load_dword v23, v[18:19], off
	v_add_co_u32_e32 v18, vcc, 4, v18
	v_addc_co_u32_e32 v19, vcc, 0, v19, vcc
	v_add_co_u32_e32 v20, vcc, 4, v20
	v_addc_co_u32_e32 v21, vcc, 0, v21, vcc
	s_add_u32 s44, s44, 1
	s_addc_u32 s45, s45, 0
	s_andn2_b64 s[42:43], s[42:43], exec
	s_waitcnt vmcnt(0)
	v_cmp_ne_u32_e32 vcc, v22, v23
	s_and_b64 s[46:47], vcc, exec
	s_or_b64 s[42:43], s[42:43], s[46:47]
.LBB1597_176:                           ;   in Loop: Header=BB1597_177 Depth=1
	s_and_b64 s[46:47], exec, s[42:43]
	s_or_b64 s[6:7], s[46:47], s[6:7]
	v_pk_mov_b32 v[22:23], s[44:45], s[44:45] op_sel:[0,1]
	s_andn2_b64 exec, exec, s[6:7]
	s_cbranch_execz .LBB1597_179
.LBB1597_177:                           ; =>This Inner Loop Header: Depth=1
	s_or_b64 s[42:43], s[42:43], exec
	s_cmp_eq_u64 s[4:5], s[44:45]
	s_cbranch_scc0 .LBB1597_175
; %bb.178:                              ;   in Loop: Header=BB1597_177 Depth=1
                                        ; implicit-def: $vgpr18_vgpr19
                                        ; implicit-def: $vgpr20_vgpr21
	s_mov_b64 s[44:45], s[26:27]
	s_branch .LBB1597_176
.LBB1597_179:
	s_or_b64 exec, exec, s[6:7]
	v_cmp_gt_i64_e32 vcc, s[26:27], v[22:23]
	s_orn2_b64 s[42:43], vcc, exec
.LBB1597_180:
	s_or_b64 exec, exec, s[38:39]
.LBB1597_181:
	s_and_b64 s[38:39], s[42:43], exec
.LBB1597_182:
	s_or_b64 exec, exec, s[40:41]
	v_or_b32_e32 v18, 1, v1
	v_cmp_gt_u32_e32 vcc, s48, v18
	s_mov_b64 s[4:5], 0
	s_and_saveexec_b64 s[40:41], vcc
	s_cbranch_execz .LBB1597_193
; %bb.183:
	s_andn2_b64 vcc, exec, s[10:11]
	s_mov_b64 s[44:45], 0
	s_cbranch_vccnz .LBB1597_192
; %bb.184:
	v_mul_lo_u32 v20, v15, s26
	v_mul_lo_u32 v21, v14, s27
	v_mad_u64_u32 v[18:19], s[4:5], v14, s26, 0
	v_add3_u32 v19, v19, v21, v20
	v_mul_lo_u32 v20, v17, s26
	v_mul_lo_u32 v21, v16, s27
	v_mad_u64_u32 v[24:25], s[4:5], v16, s26, 0
	v_add3_u32 v25, v25, v21, v20
	v_lshlrev_b64 v[20:21], 2, v[18:19]
	v_mov_b32_e32 v18, s17
	v_add_co_u32_e32 v22, vcc, s16, v20
	v_addc_co_u32_e64 v23, s[4:5], v18, v21, vcc
	v_lshlrev_b64 v[18:19], 2, v[24:25]
	v_mov_b32_e32 v20, s17
	v_add_co_u32_e64 v24, s[4:5], s16, v18
	v_addc_co_u32_e64 v25, s[6:7], v20, v19, s[4:5]
	global_load_dword v18, v[22:23], off
	global_load_dword v20, v[24:25], off
	s_mov_b64 s[44:45], -1
	s_waitcnt vmcnt(0)
	v_cmp_eq_u32_e64 s[6:7], v18, v20
	s_and_saveexec_b64 s[42:43], s[6:7]
	s_cbranch_execz .LBB1597_191
; %bb.185:
	v_mov_b32_e32 v18, s17
	v_addc_co_u32_e64 v19, s[4:5], v19, v18, s[4:5]
	v_add_co_u32_e64 v18, s[4:5], 4, v24
	v_mov_b32_e32 v20, s17
	v_addc_co_u32_e64 v19, s[4:5], 0, v19, s[4:5]
	v_addc_co_u32_e32 v21, vcc, v21, v20, vcc
	v_add_co_u32_e32 v20, vcc, 4, v22
	s_add_u32 s4, s26, -1
	v_addc_co_u32_e32 v21, vcc, 0, v21, vcc
	s_addc_u32 s5, s27, -1
	s_mov_b64 s[6:7], 0
	s_mov_b64 s[46:47], 0
                                        ; implicit-def: $sgpr44_sgpr45
	s_branch .LBB1597_188
.LBB1597_186:                           ;   in Loop: Header=BB1597_188 Depth=1
	global_load_dword v22, v[20:21], off
	global_load_dword v23, v[18:19], off
	v_add_co_u32_e32 v18, vcc, 4, v18
	v_addc_co_u32_e32 v19, vcc, 0, v19, vcc
	v_add_co_u32_e32 v20, vcc, 4, v20
	v_addc_co_u32_e32 v21, vcc, 0, v21, vcc
	s_add_u32 s46, s46, 1
	s_addc_u32 s47, s47, 0
	s_andn2_b64 s[44:45], s[44:45], exec
	s_waitcnt vmcnt(0)
	v_cmp_ne_u32_e32 vcc, v22, v23
	s_and_b64 s[50:51], vcc, exec
	s_or_b64 s[44:45], s[44:45], s[50:51]
.LBB1597_187:                           ;   in Loop: Header=BB1597_188 Depth=1
	s_and_b64 s[50:51], exec, s[44:45]
	s_or_b64 s[6:7], s[50:51], s[6:7]
	v_pk_mov_b32 v[22:23], s[46:47], s[46:47] op_sel:[0,1]
	s_andn2_b64 exec, exec, s[6:7]
	s_cbranch_execz .LBB1597_190
.LBB1597_188:                           ; =>This Inner Loop Header: Depth=1
	s_or_b64 s[44:45], s[44:45], exec
	s_cmp_eq_u64 s[4:5], s[46:47]
	s_cbranch_scc0 .LBB1597_186
; %bb.189:                              ;   in Loop: Header=BB1597_188 Depth=1
                                        ; implicit-def: $vgpr18_vgpr19
                                        ; implicit-def: $vgpr20_vgpr21
	s_mov_b64 s[46:47], s[26:27]
	s_branch .LBB1597_187
.LBB1597_190:
	s_or_b64 exec, exec, s[6:7]
	v_cmp_gt_i64_e32 vcc, s[26:27], v[22:23]
	s_orn2_b64 s[44:45], vcc, exec
.LBB1597_191:
	s_or_b64 exec, exec, s[42:43]
.LBB1597_192:
	s_and_b64 s[4:5], s[44:45], exec
.LBB1597_193:
	s_or_b64 exec, exec, s[40:41]
	v_cndmask_b32_e64 v19, 0, 1, s[8:9]
	v_cndmask_b32_e64 v20, 0, 1, s[4:5]
	;; [unrolled: 1-line block ×3, first 2 shown]
	v_lshlrev_b16_e32 v20, 8, v20
	v_lshlrev_b16_e32 v19, 8, v19
	v_or_b32_e32 v20, 1, v20
	v_or_b32_sdwa v18, v18, v19 dst_sel:WORD_1 dst_unused:UNUSED_PAD src0_sel:DWORD src1_sel:DWORD
	v_or_b32_sdwa v28, v20, v18 dst_sel:DWORD dst_unused:UNUSED_PAD src0_sel:WORD_0 src1_sel:DWORD
	s_waitcnt lgkmcnt(0)
	s_barrier
	s_waitcnt lgkmcnt(0)
                                        ; implicit-def: $sgpr38_sgpr39
	s_and_saveexec_b64 s[6:7], s[2:3]
	s_cbranch_execz .LBB1597_206
; %bb.194:
	v_cmp_gt_u32_e32 vcc, s48, v1
	s_mov_b64 s[2:3], 0
	s_and_saveexec_b64 s[8:9], vcc
	s_cbranch_execz .LBB1597_205
; %bb.195:
	s_andn2_b64 vcc, exec, s[10:11]
	s_mov_b64 s[38:39], 0
	s_cbranch_vccnz .LBB1597_204
; %bb.196:
	v_add_u32_e32 v18, -8, v29
	ds_read_b64 v[18:19], v18
	v_mul_lo_u32 v20, v15, s26
	v_mad_u64_u32 v[24:25], s[2:3], v14, s26, 0
	s_mov_b64 s[38:39], -1
	s_waitcnt lgkmcnt(0)
	v_mul_lo_u32 v21, v19, s26
	v_mul_lo_u32 v22, v18, s27
	v_mad_u64_u32 v[18:19], s[2:3], v18, s26, 0
	v_add3_u32 v19, v19, v22, v21
	v_mul_lo_u32 v21, v14, s27
	v_add3_u32 v25, v25, v21, v20
	v_lshlrev_b64 v[20:21], 2, v[18:19]
	v_mov_b32_e32 v18, s17
	v_add_co_u32_e32 v22, vcc, s16, v20
	v_addc_co_u32_e64 v23, s[2:3], v18, v21, vcc
	v_lshlrev_b64 v[18:19], 2, v[24:25]
	v_mov_b32_e32 v20, s17
	v_add_co_u32_e64 v24, s[2:3], s16, v18
	v_addc_co_u32_e64 v25, s[4:5], v20, v19, s[2:3]
	global_load_dword v18, v[22:23], off
	global_load_dword v20, v[24:25], off
	s_waitcnt vmcnt(0)
	v_cmp_eq_u32_e64 s[4:5], v18, v20
	s_and_saveexec_b64 s[10:11], s[4:5]
	s_cbranch_execz .LBB1597_203
; %bb.197:
	v_mov_b32_e32 v18, s17
	v_addc_co_u32_e64 v19, s[2:3], v19, v18, s[2:3]
	v_add_co_u32_e64 v18, s[2:3], 4, v24
	v_mov_b32_e32 v20, s17
	v_addc_co_u32_e64 v19, s[2:3], 0, v19, s[2:3]
	v_addc_co_u32_e32 v21, vcc, v21, v20, vcc
	v_add_co_u32_e32 v20, vcc, 4, v22
	s_add_u32 s2, s26, -1
	v_addc_co_u32_e32 v21, vcc, 0, v21, vcc
	s_addc_u32 s3, s27, -1
	s_mov_b64 s[4:5], 0
	s_mov_b64 s[38:39], 0
                                        ; implicit-def: $sgpr16_sgpr17
	s_branch .LBB1597_200
.LBB1597_198:                           ;   in Loop: Header=BB1597_200 Depth=1
	global_load_dword v22, v[20:21], off
	global_load_dword v23, v[18:19], off
	v_add_co_u32_e32 v18, vcc, 4, v18
	v_addc_co_u32_e32 v19, vcc, 0, v19, vcc
	v_add_co_u32_e32 v20, vcc, 4, v20
	v_addc_co_u32_e32 v21, vcc, 0, v21, vcc
	s_add_u32 s38, s38, 1
	s_addc_u32 s39, s39, 0
	s_andn2_b64 s[16:17], s[16:17], exec
	s_waitcnt vmcnt(0)
	v_cmp_ne_u32_e32 vcc, v22, v23
	s_and_b64 s[40:41], vcc, exec
	s_or_b64 s[16:17], s[16:17], s[40:41]
.LBB1597_199:                           ;   in Loop: Header=BB1597_200 Depth=1
	s_and_b64 s[40:41], exec, s[16:17]
	s_or_b64 s[4:5], s[40:41], s[4:5]
	v_pk_mov_b32 v[22:23], s[38:39], s[38:39] op_sel:[0,1]
	s_andn2_b64 exec, exec, s[4:5]
	s_cbranch_execz .LBB1597_202
.LBB1597_200:                           ; =>This Inner Loop Header: Depth=1
	s_or_b64 s[16:17], s[16:17], exec
	s_cmp_eq_u64 s[2:3], s[38:39]
	s_cbranch_scc0 .LBB1597_198
; %bb.201:                              ;   in Loop: Header=BB1597_200 Depth=1
                                        ; implicit-def: $vgpr18_vgpr19
                                        ; implicit-def: $vgpr20_vgpr21
	s_mov_b64 s[38:39], s[26:27]
	s_branch .LBB1597_199
.LBB1597_202:
	s_or_b64 exec, exec, s[4:5]
	v_cmp_gt_i64_e32 vcc, s[26:27], v[22:23]
	s_orn2_b64 s[38:39], vcc, exec
.LBB1597_203:
	s_or_b64 exec, exec, s[10:11]
.LBB1597_204:
	s_and_b64 s[2:3], s[38:39], exec
.LBB1597_205:
	s_or_b64 exec, exec, s[8:9]
	s_and_b64 s[38:39], s[2:3], exec
	s_or_b64 s[14:15], s[14:15], exec
.LBB1597_206:
	s_or_b64 exec, exec, s[6:7]
.LBB1597_207:
	s_and_saveexec_b64 s[2:3], s[14:15]
	s_cbranch_execz .LBB1597_209
; %bb.208:
	s_waitcnt vmcnt(0) lgkmcnt(0)
	v_and_b32_e32 v18, 0xffffff00, v28
	v_cndmask_b32_e64 v19, 0, 1, s[38:39]
	v_or_b32_e32 v18, v19, v18
	v_and_b32_e32 v18, 0xffff, v18
	s_mov_b32 s4, 0xffff0000
	v_and_or_b32 v28, v28, s4, v18
.LBB1597_209:
	s_or_b64 exec, exec, s[2:3]
	s_andn2_b64 vcc, exec, s[12:13]
	s_cbranch_vccnz .LBB1597_211
; %bb.210:
	v_cmp_gt_u32_e32 vcc, s48, v1
	s_waitcnt vmcnt(0) lgkmcnt(0)
	v_cndmask_b32_e32 v18, 0, v28, vcc
	v_or_b32_e32 v19, 1, v1
	v_and_b32_e32 v18, 0xff, v18
	v_cmp_gt_u32_e32 vcc, s48, v19
	v_cndmask_b32_e32 v18, v18, v28, vcc
	v_or_b32_e32 v19, 2, v1
	v_and_b32_e32 v18, 0xffff, v18
	v_cmp_gt_u32_e32 vcc, s48, v19
	;; [unrolled: 4-line block ×3, first 2 shown]
	v_cndmask_b32_e32 v28, v18, v28, vcc
.LBB1597_211:
	v_bfe_u32 v30, v28, 16, 8
	v_lshrrev_b32_e32 v29, 24, v28
	s_waitcnt vmcnt(0) lgkmcnt(0)
	v_add_u32_sdwa v18, v28, v28 dst_sel:DWORD dst_unused:UNUSED_PAD src0_sel:BYTE_1 src1_sel:BYTE_0
	v_add3_u32 v33, v18, v30, v29
	v_mbcnt_lo_u32_b32 v18, -1, 0
	v_mbcnt_hi_u32_b32 v31, -1, v18
	v_and_b32_e32 v18, 15, v31
	v_cmp_eq_u32_e64 s[14:15], 0, v18
	v_cmp_lt_u32_e64 s[12:13], 1, v18
	v_cmp_lt_u32_e64 s[10:11], 3, v18
	;; [unrolled: 1-line block ×3, first 2 shown]
	v_and_b32_e32 v18, 16, v31
	v_cmp_eq_u32_e64 s[6:7], 0, v18
	v_or_b32_e32 v18, 63, v0
	v_cmp_lt_u32_e64 s[2:3], 31, v31
	v_lshrrev_b32_e32 v32, 6, v0
	v_cmp_eq_u32_e64 s[4:5], v18, v0
	s_and_b64 vcc, exec, s[36:37]
	s_barrier
	s_cbranch_vccz .LBB1597_238
; %bb.212:
	v_mov_b32_dpp v18, v33 row_shr:1 row_mask:0xf bank_mask:0xf
	v_cndmask_b32_e64 v18, v18, 0, s[14:15]
	v_add_u32_e32 v18, v18, v33
	s_nop 1
	v_mov_b32_dpp v19, v18 row_shr:2 row_mask:0xf bank_mask:0xf
	v_cndmask_b32_e64 v19, 0, v19, s[12:13]
	v_add_u32_e32 v18, v18, v19
	s_nop 1
	v_mov_b32_dpp v19, v18 row_shr:4 row_mask:0xf bank_mask:0xf
	v_cndmask_b32_e64 v19, 0, v19, s[10:11]
	v_add_u32_e32 v18, v18, v19
	s_nop 1
	v_mov_b32_dpp v19, v18 row_shr:8 row_mask:0xf bank_mask:0xf
	v_cndmask_b32_e64 v19, 0, v19, s[8:9]
	v_add_u32_e32 v18, v18, v19
	s_nop 1
	v_mov_b32_dpp v19, v18 row_bcast:15 row_mask:0xf bank_mask:0xf
	v_cndmask_b32_e64 v19, v19, 0, s[6:7]
	v_add_u32_e32 v18, v18, v19
	s_nop 1
	v_mov_b32_dpp v19, v18 row_bcast:31 row_mask:0xf bank_mask:0xf
	v_cndmask_b32_e64 v19, 0, v19, s[2:3]
	v_add_u32_e32 v18, v18, v19
	s_and_saveexec_b64 s[16:17], s[4:5]
	s_cbranch_execz .LBB1597_214
; %bb.213:
	v_lshlrev_b32_e32 v19, 2, v32
	ds_write_b32 v19, v18
.LBB1597_214:
	s_or_b64 exec, exec, s[16:17]
	v_cmp_gt_u32_e32 vcc, 2, v0
	s_waitcnt lgkmcnt(0)
	s_barrier
	s_and_saveexec_b64 s[16:17], vcc
	s_cbranch_execz .LBB1597_216
; %bb.215:
	ds_read_b32 v19, v1
	v_bfe_i32 v20, v31, 0, 1
	s_waitcnt lgkmcnt(0)
	v_mov_b32_dpp v21, v19 row_shr:1 row_mask:0xf bank_mask:0xf
	v_and_b32_e32 v20, v20, v21
	v_add_u32_e32 v19, v20, v19
	ds_write_b32 v1, v19
.LBB1597_216:
	s_or_b64 exec, exec, s[16:17]
	v_cmp_gt_u32_e32 vcc, 64, v0
	v_cmp_lt_u32_e64 s[16:17], 63, v0
	s_waitcnt lgkmcnt(0)
	s_barrier
	s_waitcnt lgkmcnt(0)
                                        ; implicit-def: $vgpr34
	s_and_saveexec_b64 s[26:27], s[16:17]
	s_cbranch_execz .LBB1597_218
; %bb.217:
	v_lshl_add_u32 v19, v32, 2, -4
	ds_read_b32 v34, v19
	s_waitcnt lgkmcnt(0)
	v_add_u32_e32 v18, v34, v18
.LBB1597_218:
	s_or_b64 exec, exec, s[26:27]
	v_add_u32_e32 v19, -1, v31
	v_and_b32_e32 v20, 64, v31
	v_cmp_lt_i32_e64 s[16:17], v19, v20
	v_cndmask_b32_e64 v19, v19, v31, s[16:17]
	v_lshlrev_b32_e32 v19, 2, v19
	ds_bpermute_b32 v35, v19, v18
	v_cmp_eq_u32_e64 s[16:17], 0, v31
	s_and_saveexec_b64 s[26:27], vcc
	s_cbranch_execz .LBB1597_237
; %bb.219:
	v_mov_b32_e32 v25, 0
	ds_read_b32 v18, v25 offset:4
	s_and_saveexec_b64 s[36:37], s[16:17]
	s_cbranch_execz .LBB1597_221
; %bb.220:
	s_add_i32 s38, s33, 64
	s_mov_b32 s39, 0
	s_lshl_b64 s[38:39], s[38:39], 3
	s_add_u32 s38, s18, s38
	v_mov_b32_e32 v19, 1
	s_addc_u32 s39, s19, s39
	s_waitcnt lgkmcnt(0)
	global_store_dwordx2 v25, v[18:19], s[38:39]
.LBB1597_221:
	s_or_b64 exec, exec, s[36:37]
	v_xad_u32 v20, v31, -1, s33
	v_add_u32_e32 v24, 64, v20
	v_lshlrev_b64 v[22:23], 3, v[24:25]
	v_mov_b32_e32 v19, s19
	v_add_co_u32_e32 v26, vcc, s18, v22
	v_addc_co_u32_e32 v27, vcc, v19, v23, vcc
	global_load_dwordx2 v[22:23], v[26:27], off glc
	s_waitcnt vmcnt(0)
	v_cmp_eq_u16_sdwa s[38:39], v23, v25 src0_sel:BYTE_0 src1_sel:DWORD
	s_and_saveexec_b64 s[36:37], s[38:39]
	s_cbranch_execz .LBB1597_225
; %bb.222:
	s_mov_b64 s[38:39], 0
	v_mov_b32_e32 v19, 0
.LBB1597_223:                           ; =>This Inner Loop Header: Depth=1
	global_load_dwordx2 v[22:23], v[26:27], off glc
	s_waitcnt vmcnt(0)
	v_cmp_ne_u16_sdwa s[40:41], v23, v19 src0_sel:BYTE_0 src1_sel:DWORD
	s_or_b64 s[38:39], s[40:41], s[38:39]
	s_andn2_b64 exec, exec, s[38:39]
	s_cbranch_execnz .LBB1597_223
; %bb.224:
	s_or_b64 exec, exec, s[38:39]
.LBB1597_225:
	s_or_b64 exec, exec, s[36:37]
	v_and_b32_e32 v36, 63, v31
	v_mov_b32_e32 v19, 2
	v_cmp_ne_u32_e32 vcc, 63, v36
	v_cmp_eq_u16_sdwa s[36:37], v23, v19 src0_sel:BYTE_0 src1_sel:DWORD
	v_lshlrev_b64 v[24:25], v31, -1
	v_addc_co_u32_e32 v27, vcc, 0, v31, vcc
	v_and_b32_e32 v21, s37, v25
	v_lshlrev_b32_e32 v37, 2, v27
	v_or_b32_e32 v21, 0x80000000, v21
	ds_bpermute_b32 v27, v37, v22
	v_and_b32_e32 v26, s36, v24
	v_ffbl_b32_e32 v21, v21
	v_add_u32_e32 v21, 32, v21
	v_ffbl_b32_e32 v26, v26
	v_min_u32_e32 v21, v26, v21
	v_cmp_lt_u32_e32 vcc, v36, v21
	s_waitcnt lgkmcnt(0)
	v_cndmask_b32_e32 v26, 0, v27, vcc
	v_cmp_gt_u32_e32 vcc, 62, v36
	v_add_u32_e32 v22, v26, v22
	v_cndmask_b32_e64 v26, 0, 1, vcc
	v_lshlrev_b32_e32 v26, 1, v26
	v_add_lshl_u32 v38, v26, v31, 2
	ds_bpermute_b32 v26, v38, v22
	v_add_u32_e32 v39, 2, v36
	v_cmp_le_u32_e32 vcc, v39, v21
	v_add_u32_e32 v41, 4, v36
	v_add_u32_e32 v43, 8, v36
	s_waitcnt lgkmcnt(0)
	v_cndmask_b32_e32 v26, 0, v26, vcc
	v_cmp_gt_u32_e32 vcc, 60, v36
	v_add_u32_e32 v22, v22, v26
	v_cndmask_b32_e64 v26, 0, 1, vcc
	v_lshlrev_b32_e32 v26, 2, v26
	v_add_lshl_u32 v40, v26, v31, 2
	ds_bpermute_b32 v26, v40, v22
	v_cmp_le_u32_e32 vcc, v41, v21
	v_add_u32_e32 v46, 16, v36
	v_add_u32_e32 v48, 32, v36
	s_waitcnt lgkmcnt(0)
	v_cndmask_b32_e32 v26, 0, v26, vcc
	v_cmp_gt_u32_e32 vcc, 56, v36
	v_add_u32_e32 v22, v22, v26
	v_cndmask_b32_e64 v26, 0, 1, vcc
	v_lshlrev_b32_e32 v26, 3, v26
	v_add_lshl_u32 v42, v26, v31, 2
	ds_bpermute_b32 v26, v42, v22
	v_cmp_le_u32_e32 vcc, v43, v21
	s_waitcnt lgkmcnt(0)
	v_cndmask_b32_e32 v26, 0, v26, vcc
	v_cmp_gt_u32_e32 vcc, 48, v36
	v_add_u32_e32 v22, v22, v26
	v_cndmask_b32_e64 v26, 0, 1, vcc
	v_lshlrev_b32_e32 v26, 4, v26
	v_add_lshl_u32 v45, v26, v31, 2
	ds_bpermute_b32 v26, v45, v22
	v_cmp_le_u32_e32 vcc, v46, v21
	;; [unrolled: 9-line block ×3, first 2 shown]
	s_waitcnt lgkmcnt(0)
	v_cndmask_b32_e32 v21, 0, v26, vcc
	v_add_u32_e32 v22, v22, v21
	v_mov_b32_e32 v21, 0
	s_branch .LBB1597_227
.LBB1597_226:                           ;   in Loop: Header=BB1597_227 Depth=1
	s_or_b64 exec, exec, s[36:37]
	v_cmp_eq_u16_sdwa s[36:37], v23, v19 src0_sel:BYTE_0 src1_sel:DWORD
	v_and_b32_e32 v26, s37, v25
	v_or_b32_e32 v26, 0x80000000, v26
	ds_bpermute_b32 v49, v37, v22
	v_and_b32_e32 v27, s36, v24
	v_ffbl_b32_e32 v26, v26
	v_add_u32_e32 v26, 32, v26
	v_ffbl_b32_e32 v27, v27
	v_min_u32_e32 v26, v27, v26
	v_cmp_lt_u32_e32 vcc, v36, v26
	s_waitcnt lgkmcnt(0)
	v_cndmask_b32_e32 v27, 0, v49, vcc
	v_add_u32_e32 v22, v27, v22
	ds_bpermute_b32 v27, v38, v22
	v_cmp_le_u32_e32 vcc, v39, v26
	v_subrev_u32_e32 v20, 64, v20
	s_waitcnt lgkmcnt(0)
	v_cndmask_b32_e32 v27, 0, v27, vcc
	v_add_u32_e32 v22, v22, v27
	ds_bpermute_b32 v27, v40, v22
	v_cmp_le_u32_e32 vcc, v41, v26
	s_waitcnt lgkmcnt(0)
	v_cndmask_b32_e32 v27, 0, v27, vcc
	v_add_u32_e32 v22, v22, v27
	ds_bpermute_b32 v27, v42, v22
	v_cmp_le_u32_e32 vcc, v43, v26
	;; [unrolled: 5-line block ×4, first 2 shown]
	s_waitcnt lgkmcnt(0)
	v_cndmask_b32_e32 v26, 0, v27, vcc
	v_add3_u32 v22, v26, v44, v22
.LBB1597_227:                           ; =>This Loop Header: Depth=1
                                        ;     Child Loop BB1597_230 Depth 2
	v_cmp_ne_u16_sdwa s[36:37], v23, v19 src0_sel:BYTE_0 src1_sel:DWORD
	v_cndmask_b32_e64 v23, 0, 1, s[36:37]
	;;#ASMSTART
	;;#ASMEND
	v_cmp_ne_u32_e32 vcc, 0, v23
	s_cmp_lg_u64 vcc, exec
	v_mov_b32_e32 v44, v22
	s_cbranch_scc1 .LBB1597_232
; %bb.228:                              ;   in Loop: Header=BB1597_227 Depth=1
	v_lshlrev_b64 v[22:23], 3, v[20:21]
	v_mov_b32_e32 v27, s19
	v_add_co_u32_e32 v26, vcc, s18, v22
	v_addc_co_u32_e32 v27, vcc, v27, v23, vcc
	global_load_dwordx2 v[22:23], v[26:27], off glc
	s_waitcnt vmcnt(0)
	v_cmp_eq_u16_sdwa s[38:39], v23, v21 src0_sel:BYTE_0 src1_sel:DWORD
	s_and_saveexec_b64 s[36:37], s[38:39]
	s_cbranch_execz .LBB1597_226
; %bb.229:                              ;   in Loop: Header=BB1597_227 Depth=1
	s_mov_b64 s[38:39], 0
.LBB1597_230:                           ;   Parent Loop BB1597_227 Depth=1
                                        ; =>  This Inner Loop Header: Depth=2
	global_load_dwordx2 v[22:23], v[26:27], off glc
	s_waitcnt vmcnt(0)
	v_cmp_ne_u16_sdwa s[40:41], v23, v21 src0_sel:BYTE_0 src1_sel:DWORD
	s_or_b64 s[38:39], s[40:41], s[38:39]
	s_andn2_b64 exec, exec, s[38:39]
	s_cbranch_execnz .LBB1597_230
; %bb.231:                              ;   in Loop: Header=BB1597_227 Depth=1
	s_or_b64 exec, exec, s[38:39]
	s_branch .LBB1597_226
.LBB1597_232:                           ;   in Loop: Header=BB1597_227 Depth=1
                                        ; implicit-def: $vgpr22
                                        ; implicit-def: $vgpr23
	s_cbranch_execz .LBB1597_227
; %bb.233:
	s_and_saveexec_b64 s[36:37], s[16:17]
	s_cbranch_execz .LBB1597_235
; %bb.234:
	s_add_i32 s38, s33, 64
	s_mov_b32 s39, 0
	s_lshl_b64 s[38:39], s[38:39], 3
	s_add_u32 s38, s18, s38
	v_add_u32_e32 v20, v44, v18
	v_mov_b32_e32 v21, 2
	s_addc_u32 s39, s19, s39
	v_mov_b32_e32 v19, 0
	s_movk_i32 s33, 0x1000
	global_store_dwordx2 v19, v[20:21], s[38:39]
	v_add_u32_e64 v19, s33, 0
	ds_write2_b32 v19, v18, v44 offset0:32 offset1:34
.LBB1597_235:
	s_or_b64 exec, exec, s[36:37]
	s_and_b64 exec, exec, s[0:1]
	s_cbranch_execz .LBB1597_237
; %bb.236:
	v_mov_b32_e32 v18, 0
	ds_write_b32 v18, v44 offset:4
.LBB1597_237:
	s_or_b64 exec, exec, s[26:27]
	v_mov_b32_e32 v19, 0
	s_waitcnt lgkmcnt(0)
	s_barrier
	ds_read_b32 v19, v19 offset:4
	v_cndmask_b32_e64 v18, v35, v34, s[16:17]
	s_movk_i32 s16, 0x1000
	v_add_u32_e64 v20, s16, 0
	s_waitcnt lgkmcnt(0)
	s_barrier
	ds_read2_b32 v[26:27], v20 offset0:32 offset1:34
	v_cndmask_b32_e64 v18, v18, 0, s[0:1]
	v_add_u32_e32 v24, v19, v18
	v_add_u32_sdwa v22, v24, v28 dst_sel:DWORD dst_unused:UNUSED_PAD src0_sel:DWORD src1_sel:BYTE_0
	v_add_u32_sdwa v20, v22, v28 dst_sel:DWORD dst_unused:UNUSED_PAD src0_sel:DWORD src1_sel:BYTE_1
	v_add_u32_e32 v18, v20, v30
	s_waitcnt lgkmcnt(0)
	v_readfirstlane_b32 s33, v26
	v_readfirstlane_b32 s16, v27
	s_branch .LBB1597_248
.LBB1597_238:
                                        ; implicit-def: $vgpr18
                                        ; implicit-def: $vgpr20
                                        ; implicit-def: $vgpr22
                                        ; implicit-def: $vgpr24
                                        ; implicit-def: $sgpr16
                                        ; implicit-def: $sgpr33
	s_cbranch_execz .LBB1597_248
; %bb.239:
	s_nop 0
	v_mov_b32_dpp v18, v33 row_shr:1 row_mask:0xf bank_mask:0xf
	v_cndmask_b32_e64 v18, v18, 0, s[14:15]
	v_add_u32_e32 v18, v18, v33
	s_nop 1
	v_mov_b32_dpp v19, v18 row_shr:2 row_mask:0xf bank_mask:0xf
	v_cndmask_b32_e64 v19, 0, v19, s[12:13]
	v_add_u32_e32 v18, v18, v19
	s_nop 1
	v_mov_b32_dpp v19, v18 row_shr:4 row_mask:0xf bank_mask:0xf
	v_cndmask_b32_e64 v19, 0, v19, s[10:11]
	v_add_u32_e32 v18, v18, v19
	s_nop 1
	v_mov_b32_dpp v19, v18 row_shr:8 row_mask:0xf bank_mask:0xf
	v_cndmask_b32_e64 v19, 0, v19, s[8:9]
	v_add_u32_e32 v18, v18, v19
	s_nop 1
	v_mov_b32_dpp v19, v18 row_bcast:15 row_mask:0xf bank_mask:0xf
	v_cndmask_b32_e64 v19, v19, 0, s[6:7]
	v_add_u32_e32 v18, v18, v19
	s_nop 1
	v_mov_b32_dpp v19, v18 row_bcast:31 row_mask:0xf bank_mask:0xf
	v_cndmask_b32_e64 v19, 0, v19, s[2:3]
	v_add_u32_e32 v18, v18, v19
	s_and_saveexec_b64 s[2:3], s[4:5]
	s_cbranch_execz .LBB1597_241
; %bb.240:
	v_lshlrev_b32_e32 v19, 2, v32
	ds_write_b32 v19, v18
.LBB1597_241:
	s_or_b64 exec, exec, s[2:3]
	v_cmp_gt_u32_e32 vcc, 2, v0
	s_waitcnt lgkmcnt(0)
	s_barrier
	s_and_saveexec_b64 s[2:3], vcc
	s_cbranch_execz .LBB1597_243
; %bb.242:
	ds_read_b32 v19, v1
	v_bfe_i32 v20, v31, 0, 1
	s_waitcnt lgkmcnt(0)
	v_mov_b32_dpp v21, v19 row_shr:1 row_mask:0xf bank_mask:0xf
	v_and_b32_e32 v20, v20, v21
	v_add_u32_e32 v19, v20, v19
	ds_write_b32 v1, v19
.LBB1597_243:
	s_or_b64 exec, exec, s[2:3]
	v_cmp_lt_u32_e32 vcc, 63, v0
	v_mov_b32_e32 v19, 0
	v_mov_b32_e32 v1, 0
	s_waitcnt lgkmcnt(0)
	s_barrier
	s_and_saveexec_b64 s[2:3], vcc
	s_cbranch_execz .LBB1597_245
; %bb.244:
	v_lshl_add_u32 v1, v32, 2, -4
	ds_read_b32 v1, v1
.LBB1597_245:
	s_or_b64 exec, exec, s[2:3]
	v_add_u32_e32 v20, -1, v31
	v_and_b32_e32 v21, 64, v31
	v_cmp_lt_i32_e32 vcc, v20, v21
	v_cndmask_b32_e32 v20, v20, v31, vcc
	s_waitcnt lgkmcnt(0)
	v_add_u32_e32 v18, v1, v18
	v_lshlrev_b32_e32 v20, 2, v20
	ds_read_b32 v19, v19 offset:4
	ds_bpermute_b32 v18, v20, v18
	s_waitcnt lgkmcnt(1)
	v_readfirstlane_b32 s33, v19
	s_and_saveexec_b64 s[2:3], s[0:1]
	s_cbranch_execz .LBB1597_247
; %bb.246:
	v_mov_b32_e32 v19, 0
	v_mov_b32_e32 v20, s33
	;; [unrolled: 1-line block ×3, first 2 shown]
	global_store_dwordx2 v19, v[20:21], s[18:19] offset:512
.LBB1597_247:
	s_or_b64 exec, exec, s[2:3]
	v_cmp_eq_u32_e32 vcc, 0, v31
	s_waitcnt lgkmcnt(0)
	v_cndmask_b32_e32 v1, v18, v1, vcc
	v_cndmask_b32_e64 v24, v1, 0, s[0:1]
	v_add_u32_sdwa v22, v24, v28 dst_sel:DWORD dst_unused:UNUSED_PAD src0_sel:DWORD src1_sel:BYTE_0
	v_add_u32_sdwa v20, v22, v28 dst_sel:DWORD dst_unused:UNUSED_PAD src0_sel:DWORD src1_sel:BYTE_1
	s_mov_b32 s16, 0
	v_add_u32_e32 v18, v20, v30
	s_barrier
.LBB1597_248:
	s_cmpk_lt_u32 s33, 0x81
	s_cselect_b64 s[4:5], -1, 0
	v_lshrrev_b32_e32 v1, 8, v28
	s_mov_b64 s[2:3], -1
	s_and_b64 vcc, exec, s[4:5]
	s_cbranch_vccz .LBB1597_262
; %bb.249:
	s_add_i32 s6, s16, s33
	v_cmp_gt_u32_e32 vcc, s6, v24
	s_or_b64 s[8:9], s[34:35], vcc
	s_and_saveexec_b64 s[2:3], s[8:9]
	s_cbranch_execz .LBB1597_252
; %bb.250:
	v_and_b32_e32 v19, 1, v28
	v_cmp_eq_u32_e32 vcc, 1, v19
	s_and_b64 exec, exec, vcc
	s_cbranch_execz .LBB1597_252
; %bb.251:
	s_lshl_b64 s[8:9], s[22:23], 3
	s_add_u32 s7, s28, s8
	v_mov_b32_e32 v25, 0
	s_addc_u32 s8, s29, s9
	v_lshlrev_b64 v[26:27], 3, v[24:25]
	v_mov_b32_e32 v19, s8
	v_add_co_u32_e32 v26, vcc, s7, v26
	v_addc_co_u32_e32 v27, vcc, v19, v27, vcc
	global_store_dwordx2 v[26:27], v[14:15], off
.LBB1597_252:
	s_or_b64 exec, exec, s[2:3]
	v_cmp_gt_u32_e32 vcc, s6, v22
	s_or_b64 s[8:9], s[34:35], vcc
	s_and_saveexec_b64 s[2:3], s[8:9]
	s_cbranch_execz .LBB1597_255
; %bb.253:
	v_and_b32_e32 v19, 1, v1
	v_cmp_eq_u32_e32 vcc, 1, v19
	s_and_b64 exec, exec, vcc
	s_cbranch_execz .LBB1597_255
; %bb.254:
	s_lshl_b64 s[8:9], s[22:23], 3
	s_add_u32 s7, s28, s8
	v_mov_b32_e32 v23, 0
	s_addc_u32 s8, s29, s9
	v_lshlrev_b64 v[26:27], 3, v[22:23]
	v_mov_b32_e32 v19, s8
	v_add_co_u32_e32 v26, vcc, s7, v26
	v_addc_co_u32_e32 v27, vcc, v19, v27, vcc
	global_store_dwordx2 v[26:27], v[16:17], off
.LBB1597_255:
	s_or_b64 exec, exec, s[2:3]
	v_cmp_gt_u32_e32 vcc, s6, v20
	s_or_b64 s[8:9], s[34:35], vcc
	s_and_saveexec_b64 s[2:3], s[8:9]
	s_cbranch_execz .LBB1597_258
; %bb.256:
	v_mov_b32_e32 v19, 1
	v_and_b32_sdwa v19, v19, v28 dst_sel:DWORD dst_unused:UNUSED_PAD src0_sel:DWORD src1_sel:WORD_1
	v_cmp_eq_u32_e32 vcc, 1, v19
	s_and_b64 exec, exec, vcc
	s_cbranch_execz .LBB1597_258
; %bb.257:
	s_lshl_b64 s[8:9], s[22:23], 3
	s_add_u32 s7, s28, s8
	v_mov_b32_e32 v21, 0
	s_addc_u32 s8, s29, s9
	v_lshlrev_b64 v[26:27], 3, v[20:21]
	v_mov_b32_e32 v19, s8
	v_add_co_u32_e32 v26, vcc, s7, v26
	v_addc_co_u32_e32 v27, vcc, v19, v27, vcc
	global_store_dwordx2 v[26:27], v[10:11], off
.LBB1597_258:
	s_or_b64 exec, exec, s[2:3]
	v_cmp_gt_u32_e32 vcc, s6, v18
	s_or_b64 s[6:7], s[34:35], vcc
	s_and_saveexec_b64 s[2:3], s[6:7]
	s_cbranch_execz .LBB1597_261
; %bb.259:
	v_and_b32_e32 v19, 1, v29
	v_cmp_eq_u32_e32 vcc, 1, v19
	s_and_b64 exec, exec, vcc
	s_cbranch_execz .LBB1597_261
; %bb.260:
	s_lshl_b64 s[6:7], s[22:23], 3
	s_add_u32 s6, s28, s6
	v_mov_b32_e32 v19, 0
	s_addc_u32 s7, s29, s7
	v_lshlrev_b64 v[26:27], 3, v[18:19]
	v_mov_b32_e32 v19, s7
	v_add_co_u32_e32 v26, vcc, s6, v26
	v_addc_co_u32_e32 v27, vcc, v19, v27, vcc
	global_store_dwordx2 v[26:27], v[12:13], off
.LBB1597_261:
	s_or_b64 exec, exec, s[2:3]
	s_mov_b64 s[2:3], 0
.LBB1597_262:
	v_and_b32_e32 v26, 1, v28
	s_and_b64 vcc, exec, s[2:3]
	v_cmp_eq_u32_e64 s[2:3], 1, v26
	s_cbranch_vccz .LBB1597_275
; %bb.263:
	s_and_saveexec_b64 s[6:7], s[2:3]
	s_cbranch_execz .LBB1597_265
; %bb.264:
	v_subrev_u32_e32 v19, s16, v24
	v_lshlrev_b32_e32 v19, 3, v19
	ds_write_b64 v19, v[14:15]
.LBB1597_265:
	s_or_b64 exec, exec, s[6:7]
	v_and_b32_e32 v14, 1, v1
	v_cmp_eq_u32_e32 vcc, 1, v14
	s_and_saveexec_b64 s[2:3], vcc
	s_cbranch_execz .LBB1597_267
; %bb.266:
	v_subrev_u32_e32 v14, s16, v22
	v_lshlrev_b32_e32 v14, 3, v14
	ds_write_b64 v14, v[16:17]
.LBB1597_267:
	s_or_b64 exec, exec, s[2:3]
	v_mov_b32_e32 v14, 1
	v_and_b32_sdwa v14, v14, v28 dst_sel:DWORD dst_unused:UNUSED_PAD src0_sel:DWORD src1_sel:WORD_1
	v_cmp_eq_u32_e32 vcc, 1, v14
	s_and_saveexec_b64 s[2:3], vcc
	s_cbranch_execz .LBB1597_269
; %bb.268:
	v_subrev_u32_e32 v14, s16, v20
	v_lshlrev_b32_e32 v14, 3, v14
	ds_write_b64 v14, v[10:11]
.LBB1597_269:
	s_or_b64 exec, exec, s[2:3]
	v_and_b32_e32 v10, 1, v29
	v_cmp_eq_u32_e32 vcc, 1, v10
	s_and_saveexec_b64 s[2:3], vcc
	s_cbranch_execz .LBB1597_271
; %bb.270:
	v_subrev_u32_e32 v10, s16, v18
	v_lshlrev_b32_e32 v10, 3, v10
	ds_write_b64 v10, v[12:13]
.LBB1597_271:
	s_or_b64 exec, exec, s[2:3]
	v_cmp_gt_u32_e32 vcc, s33, v0
	s_waitcnt lgkmcnt(0)
	s_barrier
	s_and_saveexec_b64 s[2:3], vcc
	s_cbranch_execz .LBB1597_274
; %bb.272:
	s_mov_b32 s17, 0
	s_lshl_b64 s[6:7], s[16:17], 3
	s_add_u32 s8, s28, s6
	s_addc_u32 s9, s29, s7
	s_lshl_b64 s[6:7], s[22:23], 3
	s_add_u32 s8, s8, s6
	s_addc_u32 s9, s9, s7
	v_lshlrev_b32_e32 v12, 3, v0
	s_mov_b64 s[6:7], 0
	v_mov_b32_e32 v11, 0
	v_mov_b32_e32 v13, s9
	;; [unrolled: 1-line block ×3, first 2 shown]
.LBB1597_273:                           ; =>This Inner Loop Header: Depth=1
	ds_read_b64 v[14:15], v12
	v_lshlrev_b64 v[16:17], 3, v[10:11]
	v_add_co_u32_e32 v16, vcc, s8, v16
	v_add_u32_e32 v10, 0x80, v10
	v_addc_co_u32_e32 v17, vcc, v13, v17, vcc
	v_cmp_le_u32_e32 vcc, s33, v10
	v_add_u32_e32 v12, 0x400, v12
	s_or_b64 s[6:7], vcc, s[6:7]
	s_waitcnt lgkmcnt(0)
	global_store_dwordx2 v[16:17], v[14:15], off
	s_andn2_b64 exec, exec, s[6:7]
	s_cbranch_execnz .LBB1597_273
.LBB1597_274:
	s_or_b64 exec, exec, s[2:3]
.LBB1597_275:
	s_mov_b64 s[2:3], -1
	s_and_b64 vcc, exec, s[4:5]
	s_barrier
	s_cbranch_vccnz .LBB1597_279
; %bb.276:
	s_and_b64 vcc, exec, s[2:3]
	s_cbranch_vccnz .LBB1597_292
.LBB1597_277:
	s_and_b64 s[0:1], s[0:1], s[24:25]
	s_and_saveexec_b64 s[2:3], s[0:1]
	s_cbranch_execnz .LBB1597_304
.LBB1597_278:
	s_endpgm
.LBB1597_279:
	s_add_i32 s4, s16, s33
	v_cmp_gt_u32_e32 vcc, s4, v24
	s_or_b64 s[6:7], s[34:35], vcc
	s_and_saveexec_b64 s[2:3], s[6:7]
	s_cbranch_execz .LBB1597_282
; %bb.280:
	v_cmp_eq_u32_e32 vcc, 1, v26
	s_and_b64 exec, exec, vcc
	s_cbranch_execz .LBB1597_282
; %bb.281:
	s_lshl_b64 s[6:7], s[22:23], 3
	s_add_u32 s5, s30, s6
	v_mov_b32_e32 v25, 0
	s_addc_u32 s6, s31, s7
	v_lshlrev_b64 v[10:11], 3, v[24:25]
	v_mov_b32_e32 v12, s6
	v_add_co_u32_e32 v10, vcc, s5, v10
	v_addc_co_u32_e32 v11, vcc, v12, v11, vcc
	global_store_dwordx2 v[10:11], v[6:7], off
.LBB1597_282:
	s_or_b64 exec, exec, s[2:3]
	v_cmp_gt_u32_e32 vcc, s4, v22
	s_or_b64 s[6:7], s[34:35], vcc
	s_and_saveexec_b64 s[2:3], s[6:7]
	s_cbranch_execz .LBB1597_285
; %bb.283:
	v_and_b32_e32 v10, 1, v1
	v_cmp_eq_u32_e32 vcc, 1, v10
	s_and_b64 exec, exec, vcc
	s_cbranch_execz .LBB1597_285
; %bb.284:
	s_lshl_b64 s[6:7], s[22:23], 3
	s_add_u32 s5, s30, s6
	v_mov_b32_e32 v23, 0
	s_addc_u32 s6, s31, s7
	v_lshlrev_b64 v[10:11], 3, v[22:23]
	v_mov_b32_e32 v12, s6
	v_add_co_u32_e32 v10, vcc, s5, v10
	v_addc_co_u32_e32 v11, vcc, v12, v11, vcc
	global_store_dwordx2 v[10:11], v[8:9], off
.LBB1597_285:
	s_or_b64 exec, exec, s[2:3]
	v_cmp_gt_u32_e32 vcc, s4, v20
	s_or_b64 s[6:7], s[34:35], vcc
	s_and_saveexec_b64 s[2:3], s[6:7]
	s_cbranch_execz .LBB1597_288
; %bb.286:
	v_mov_b32_e32 v10, 1
	v_and_b32_sdwa v10, v10, v28 dst_sel:DWORD dst_unused:UNUSED_PAD src0_sel:DWORD src1_sel:WORD_1
	v_cmp_eq_u32_e32 vcc, 1, v10
	s_and_b64 exec, exec, vcc
	s_cbranch_execz .LBB1597_288
; %bb.287:
	s_lshl_b64 s[6:7], s[22:23], 3
	s_add_u32 s5, s30, s6
	v_mov_b32_e32 v21, 0
	s_addc_u32 s6, s31, s7
	v_lshlrev_b64 v[10:11], 3, v[20:21]
	v_mov_b32_e32 v12, s6
	v_add_co_u32_e32 v10, vcc, s5, v10
	v_addc_co_u32_e32 v11, vcc, v12, v11, vcc
	global_store_dwordx2 v[10:11], v[2:3], off
.LBB1597_288:
	s_or_b64 exec, exec, s[2:3]
	v_cmp_gt_u32_e32 vcc, s4, v18
	s_or_b64 s[4:5], s[34:35], vcc
	s_and_saveexec_b64 s[2:3], s[4:5]
	s_cbranch_execz .LBB1597_291
; %bb.289:
	v_and_b32_e32 v10, 1, v29
	v_cmp_eq_u32_e32 vcc, 1, v10
	s_and_b64 exec, exec, vcc
	s_cbranch_execz .LBB1597_291
; %bb.290:
	s_lshl_b64 s[4:5], s[22:23], 3
	s_add_u32 s4, s30, s4
	v_mov_b32_e32 v19, 0
	s_addc_u32 s5, s31, s5
	v_lshlrev_b64 v[10:11], 3, v[18:19]
	v_mov_b32_e32 v12, s5
	v_add_co_u32_e32 v10, vcc, s4, v10
	v_addc_co_u32_e32 v11, vcc, v12, v11, vcc
	global_store_dwordx2 v[10:11], v[4:5], off
.LBB1597_291:
	s_or_b64 exec, exec, s[2:3]
	s_branch .LBB1597_277
.LBB1597_292:
	v_cmp_eq_u32_e32 vcc, 1, v26
	s_and_saveexec_b64 s[2:3], vcc
	s_cbranch_execz .LBB1597_294
; %bb.293:
	v_subrev_u32_e32 v10, s16, v24
	v_lshlrev_b32_e32 v10, 3, v10
	ds_write_b64 v10, v[6:7]
.LBB1597_294:
	s_or_b64 exec, exec, s[2:3]
	v_and_b32_e32 v1, 1, v1
	v_cmp_eq_u32_e32 vcc, 1, v1
	s_and_saveexec_b64 s[2:3], vcc
	s_cbranch_execz .LBB1597_296
; %bb.295:
	v_subrev_u32_e32 v1, s16, v22
	v_lshlrev_b32_e32 v1, 3, v1
	ds_write_b64 v1, v[8:9]
.LBB1597_296:
	s_or_b64 exec, exec, s[2:3]
	v_mov_b32_e32 v1, 1
	v_and_b32_sdwa v1, v1, v28 dst_sel:DWORD dst_unused:UNUSED_PAD src0_sel:DWORD src1_sel:WORD_1
	v_cmp_eq_u32_e32 vcc, 1, v1
	s_and_saveexec_b64 s[2:3], vcc
	s_cbranch_execz .LBB1597_298
; %bb.297:
	v_subrev_u32_e32 v1, s16, v20
	v_lshlrev_b32_e32 v1, 3, v1
	ds_write_b64 v1, v[2:3]
.LBB1597_298:
	s_or_b64 exec, exec, s[2:3]
	v_and_b32_e32 v1, 1, v29
	v_cmp_eq_u32_e32 vcc, 1, v1
	s_and_saveexec_b64 s[2:3], vcc
	s_cbranch_execz .LBB1597_300
; %bb.299:
	v_subrev_u32_e32 v1, s16, v18
	v_lshlrev_b32_e32 v1, 3, v1
	ds_write_b64 v1, v[4:5]
.LBB1597_300:
	s_or_b64 exec, exec, s[2:3]
	v_cmp_gt_u32_e32 vcc, s33, v0
	s_waitcnt lgkmcnt(0)
	s_barrier
	s_and_saveexec_b64 s[2:3], vcc
	s_cbranch_execz .LBB1597_303
; %bb.301:
	s_mov_b32 s17, 0
	s_lshl_b64 s[4:5], s[16:17], 3
	s_add_u32 s6, s30, s4
	s_addc_u32 s7, s31, s5
	s_lshl_b64 s[4:5], s[22:23], 3
	s_add_u32 s6, s6, s4
	s_addc_u32 s7, s7, s5
	v_lshlrev_b32_e32 v2, 3, v0
	s_mov_b64 s[4:5], 0
	v_mov_b32_e32 v1, 0
	v_mov_b32_e32 v3, s7
.LBB1597_302:                           ; =>This Inner Loop Header: Depth=1
	ds_read_b64 v[4:5], v2
	v_lshlrev_b64 v[6:7], 3, v[0:1]
	v_add_co_u32_e32 v6, vcc, s6, v6
	v_add_u32_e32 v0, 0x80, v0
	v_addc_co_u32_e32 v7, vcc, v3, v7, vcc
	v_cmp_le_u32_e32 vcc, s33, v0
	v_add_u32_e32 v2, 0x400, v2
	s_or_b64 s[4:5], vcc, s[4:5]
	s_waitcnt lgkmcnt(0)
	global_store_dwordx2 v[6:7], v[4:5], off
	s_andn2_b64 exec, exec, s[4:5]
	s_cbranch_execnz .LBB1597_302
.LBB1597_303:
	s_or_b64 exec, exec, s[2:3]
	s_and_b64 s[0:1], s[0:1], s[24:25]
	s_and_saveexec_b64 s[2:3], s[0:1]
	s_cbranch_execz .LBB1597_278
.LBB1597_304:
	s_add_u32 s0, s22, s33
	s_addc_u32 s1, s23, 0
	s_add_u32 s0, s0, s16
	s_addc_u32 s1, s1, 0
	v_mov_b32_e32 v2, 0
	v_pk_mov_b32 v[0:1], s[0:1], s[0:1] op_sel:[0,1]
	global_store_dwordx2 v2, v[0:1], s[20:21]
	s_endpgm
	.section	.rodata,"a",@progbits
	.p2align	6, 0x0
	.amdhsa_kernel _ZN7rocprim17ROCPRIM_400000_NS6detail17trampoline_kernelINS0_14default_configENS1_25partition_config_selectorILNS1_17partition_subalgoE9EllbEEZZNS1_14partition_implILS5_9ELb0ES3_jPlS8_PNS0_10empty_typeENS0_5tupleIJS8_S9_EEENSB_IJS8_SA_EEENS0_18inequality_wrapperIZN2at6native12_GLOBAL__N_124unique_dim_cuda_templateIjEESt5tupleIJNSF_6TensorESK_SK_EERKSK_lbbbEUlllE0_EEPmJS9_EEE10hipError_tPvRmT3_T4_T5_T6_T7_T9_mT8_P12ihipStream_tbDpT10_ENKUlT_T0_E_clISt17integral_constantIbLb0EES19_IbLb1EEEEDaS15_S16_EUlS15_E_NS1_11comp_targetILNS1_3genE4ELNS1_11target_archE910ELNS1_3gpuE8ELNS1_3repE0EEENS1_30default_config_static_selectorELNS0_4arch9wavefront6targetE1EEEvT1_
		.amdhsa_group_segment_fixed_size 4236
		.amdhsa_private_segment_fixed_size 0
		.amdhsa_kernarg_size 136
		.amdhsa_user_sgpr_count 6
		.amdhsa_user_sgpr_private_segment_buffer 1
		.amdhsa_user_sgpr_dispatch_ptr 0
		.amdhsa_user_sgpr_queue_ptr 0
		.amdhsa_user_sgpr_kernarg_segment_ptr 1
		.amdhsa_user_sgpr_dispatch_id 0
		.amdhsa_user_sgpr_flat_scratch_init 0
		.amdhsa_user_sgpr_kernarg_preload_length 0
		.amdhsa_user_sgpr_kernarg_preload_offset 0
		.amdhsa_user_sgpr_private_segment_size 0
		.amdhsa_uses_dynamic_stack 0
		.amdhsa_system_sgpr_private_segment_wavefront_offset 0
		.amdhsa_system_sgpr_workgroup_id_x 1
		.amdhsa_system_sgpr_workgroup_id_y 0
		.amdhsa_system_sgpr_workgroup_id_z 0
		.amdhsa_system_sgpr_workgroup_info 0
		.amdhsa_system_vgpr_workitem_id 0
		.amdhsa_next_free_vgpr 50
		.amdhsa_next_free_sgpr 52
		.amdhsa_accum_offset 52
		.amdhsa_reserve_vcc 1
		.amdhsa_reserve_flat_scratch 0
		.amdhsa_float_round_mode_32 0
		.amdhsa_float_round_mode_16_64 0
		.amdhsa_float_denorm_mode_32 3
		.amdhsa_float_denorm_mode_16_64 3
		.amdhsa_dx10_clamp 1
		.amdhsa_ieee_mode 1
		.amdhsa_fp16_overflow 0
		.amdhsa_tg_split 0
		.amdhsa_exception_fp_ieee_invalid_op 0
		.amdhsa_exception_fp_denorm_src 0
		.amdhsa_exception_fp_ieee_div_zero 0
		.amdhsa_exception_fp_ieee_overflow 0
		.amdhsa_exception_fp_ieee_underflow 0
		.amdhsa_exception_fp_ieee_inexact 0
		.amdhsa_exception_int_div_zero 0
	.end_amdhsa_kernel
	.section	.text._ZN7rocprim17ROCPRIM_400000_NS6detail17trampoline_kernelINS0_14default_configENS1_25partition_config_selectorILNS1_17partition_subalgoE9EllbEEZZNS1_14partition_implILS5_9ELb0ES3_jPlS8_PNS0_10empty_typeENS0_5tupleIJS8_S9_EEENSB_IJS8_SA_EEENS0_18inequality_wrapperIZN2at6native12_GLOBAL__N_124unique_dim_cuda_templateIjEESt5tupleIJNSF_6TensorESK_SK_EERKSK_lbbbEUlllE0_EEPmJS9_EEE10hipError_tPvRmT3_T4_T5_T6_T7_T9_mT8_P12ihipStream_tbDpT10_ENKUlT_T0_E_clISt17integral_constantIbLb0EES19_IbLb1EEEEDaS15_S16_EUlS15_E_NS1_11comp_targetILNS1_3genE4ELNS1_11target_archE910ELNS1_3gpuE8ELNS1_3repE0EEENS1_30default_config_static_selectorELNS0_4arch9wavefront6targetE1EEEvT1_,"axG",@progbits,_ZN7rocprim17ROCPRIM_400000_NS6detail17trampoline_kernelINS0_14default_configENS1_25partition_config_selectorILNS1_17partition_subalgoE9EllbEEZZNS1_14partition_implILS5_9ELb0ES3_jPlS8_PNS0_10empty_typeENS0_5tupleIJS8_S9_EEENSB_IJS8_SA_EEENS0_18inequality_wrapperIZN2at6native12_GLOBAL__N_124unique_dim_cuda_templateIjEESt5tupleIJNSF_6TensorESK_SK_EERKSK_lbbbEUlllE0_EEPmJS9_EEE10hipError_tPvRmT3_T4_T5_T6_T7_T9_mT8_P12ihipStream_tbDpT10_ENKUlT_T0_E_clISt17integral_constantIbLb0EES19_IbLb1EEEEDaS15_S16_EUlS15_E_NS1_11comp_targetILNS1_3genE4ELNS1_11target_archE910ELNS1_3gpuE8ELNS1_3repE0EEENS1_30default_config_static_selectorELNS0_4arch9wavefront6targetE1EEEvT1_,comdat
.Lfunc_end1597:
	.size	_ZN7rocprim17ROCPRIM_400000_NS6detail17trampoline_kernelINS0_14default_configENS1_25partition_config_selectorILNS1_17partition_subalgoE9EllbEEZZNS1_14partition_implILS5_9ELb0ES3_jPlS8_PNS0_10empty_typeENS0_5tupleIJS8_S9_EEENSB_IJS8_SA_EEENS0_18inequality_wrapperIZN2at6native12_GLOBAL__N_124unique_dim_cuda_templateIjEESt5tupleIJNSF_6TensorESK_SK_EERKSK_lbbbEUlllE0_EEPmJS9_EEE10hipError_tPvRmT3_T4_T5_T6_T7_T9_mT8_P12ihipStream_tbDpT10_ENKUlT_T0_E_clISt17integral_constantIbLb0EES19_IbLb1EEEEDaS15_S16_EUlS15_E_NS1_11comp_targetILNS1_3genE4ELNS1_11target_archE910ELNS1_3gpuE8ELNS1_3repE0EEENS1_30default_config_static_selectorELNS0_4arch9wavefront6targetE1EEEvT1_, .Lfunc_end1597-_ZN7rocprim17ROCPRIM_400000_NS6detail17trampoline_kernelINS0_14default_configENS1_25partition_config_selectorILNS1_17partition_subalgoE9EllbEEZZNS1_14partition_implILS5_9ELb0ES3_jPlS8_PNS0_10empty_typeENS0_5tupleIJS8_S9_EEENSB_IJS8_SA_EEENS0_18inequality_wrapperIZN2at6native12_GLOBAL__N_124unique_dim_cuda_templateIjEESt5tupleIJNSF_6TensorESK_SK_EERKSK_lbbbEUlllE0_EEPmJS9_EEE10hipError_tPvRmT3_T4_T5_T6_T7_T9_mT8_P12ihipStream_tbDpT10_ENKUlT_T0_E_clISt17integral_constantIbLb0EES19_IbLb1EEEEDaS15_S16_EUlS15_E_NS1_11comp_targetILNS1_3genE4ELNS1_11target_archE910ELNS1_3gpuE8ELNS1_3repE0EEENS1_30default_config_static_selectorELNS0_4arch9wavefront6targetE1EEEvT1_
                                        ; -- End function
	.section	.AMDGPU.csdata,"",@progbits
; Kernel info:
; codeLenInByte = 10900
; NumSgprs: 56
; NumVgprs: 50
; NumAgprs: 0
; TotalNumVgprs: 50
; ScratchSize: 0
; MemoryBound: 0
; FloatMode: 240
; IeeeMode: 1
; LDSByteSize: 4236 bytes/workgroup (compile time only)
; SGPRBlocks: 6
; VGPRBlocks: 6
; NumSGPRsForWavesPerEU: 56
; NumVGPRsForWavesPerEU: 50
; AccumOffset: 52
; Occupancy: 8
; WaveLimiterHint : 1
; COMPUTE_PGM_RSRC2:SCRATCH_EN: 0
; COMPUTE_PGM_RSRC2:USER_SGPR: 6
; COMPUTE_PGM_RSRC2:TRAP_HANDLER: 0
; COMPUTE_PGM_RSRC2:TGID_X_EN: 1
; COMPUTE_PGM_RSRC2:TGID_Y_EN: 0
; COMPUTE_PGM_RSRC2:TGID_Z_EN: 0
; COMPUTE_PGM_RSRC2:TIDIG_COMP_CNT: 0
; COMPUTE_PGM_RSRC3_GFX90A:ACCUM_OFFSET: 12
; COMPUTE_PGM_RSRC3_GFX90A:TG_SPLIT: 0
	.section	.text._ZN7rocprim17ROCPRIM_400000_NS6detail17trampoline_kernelINS0_14default_configENS1_25partition_config_selectorILNS1_17partition_subalgoE9EllbEEZZNS1_14partition_implILS5_9ELb0ES3_jPlS8_PNS0_10empty_typeENS0_5tupleIJS8_S9_EEENSB_IJS8_SA_EEENS0_18inequality_wrapperIZN2at6native12_GLOBAL__N_124unique_dim_cuda_templateIjEESt5tupleIJNSF_6TensorESK_SK_EERKSK_lbbbEUlllE0_EEPmJS9_EEE10hipError_tPvRmT3_T4_T5_T6_T7_T9_mT8_P12ihipStream_tbDpT10_ENKUlT_T0_E_clISt17integral_constantIbLb0EES19_IbLb1EEEEDaS15_S16_EUlS15_E_NS1_11comp_targetILNS1_3genE3ELNS1_11target_archE908ELNS1_3gpuE7ELNS1_3repE0EEENS1_30default_config_static_selectorELNS0_4arch9wavefront6targetE1EEEvT1_,"axG",@progbits,_ZN7rocprim17ROCPRIM_400000_NS6detail17trampoline_kernelINS0_14default_configENS1_25partition_config_selectorILNS1_17partition_subalgoE9EllbEEZZNS1_14partition_implILS5_9ELb0ES3_jPlS8_PNS0_10empty_typeENS0_5tupleIJS8_S9_EEENSB_IJS8_SA_EEENS0_18inequality_wrapperIZN2at6native12_GLOBAL__N_124unique_dim_cuda_templateIjEESt5tupleIJNSF_6TensorESK_SK_EERKSK_lbbbEUlllE0_EEPmJS9_EEE10hipError_tPvRmT3_T4_T5_T6_T7_T9_mT8_P12ihipStream_tbDpT10_ENKUlT_T0_E_clISt17integral_constantIbLb0EES19_IbLb1EEEEDaS15_S16_EUlS15_E_NS1_11comp_targetILNS1_3genE3ELNS1_11target_archE908ELNS1_3gpuE7ELNS1_3repE0EEENS1_30default_config_static_selectorELNS0_4arch9wavefront6targetE1EEEvT1_,comdat
	.globl	_ZN7rocprim17ROCPRIM_400000_NS6detail17trampoline_kernelINS0_14default_configENS1_25partition_config_selectorILNS1_17partition_subalgoE9EllbEEZZNS1_14partition_implILS5_9ELb0ES3_jPlS8_PNS0_10empty_typeENS0_5tupleIJS8_S9_EEENSB_IJS8_SA_EEENS0_18inequality_wrapperIZN2at6native12_GLOBAL__N_124unique_dim_cuda_templateIjEESt5tupleIJNSF_6TensorESK_SK_EERKSK_lbbbEUlllE0_EEPmJS9_EEE10hipError_tPvRmT3_T4_T5_T6_T7_T9_mT8_P12ihipStream_tbDpT10_ENKUlT_T0_E_clISt17integral_constantIbLb0EES19_IbLb1EEEEDaS15_S16_EUlS15_E_NS1_11comp_targetILNS1_3genE3ELNS1_11target_archE908ELNS1_3gpuE7ELNS1_3repE0EEENS1_30default_config_static_selectorELNS0_4arch9wavefront6targetE1EEEvT1_ ; -- Begin function _ZN7rocprim17ROCPRIM_400000_NS6detail17trampoline_kernelINS0_14default_configENS1_25partition_config_selectorILNS1_17partition_subalgoE9EllbEEZZNS1_14partition_implILS5_9ELb0ES3_jPlS8_PNS0_10empty_typeENS0_5tupleIJS8_S9_EEENSB_IJS8_SA_EEENS0_18inequality_wrapperIZN2at6native12_GLOBAL__N_124unique_dim_cuda_templateIjEESt5tupleIJNSF_6TensorESK_SK_EERKSK_lbbbEUlllE0_EEPmJS9_EEE10hipError_tPvRmT3_T4_T5_T6_T7_T9_mT8_P12ihipStream_tbDpT10_ENKUlT_T0_E_clISt17integral_constantIbLb0EES19_IbLb1EEEEDaS15_S16_EUlS15_E_NS1_11comp_targetILNS1_3genE3ELNS1_11target_archE908ELNS1_3gpuE7ELNS1_3repE0EEENS1_30default_config_static_selectorELNS0_4arch9wavefront6targetE1EEEvT1_
	.p2align	8
	.type	_ZN7rocprim17ROCPRIM_400000_NS6detail17trampoline_kernelINS0_14default_configENS1_25partition_config_selectorILNS1_17partition_subalgoE9EllbEEZZNS1_14partition_implILS5_9ELb0ES3_jPlS8_PNS0_10empty_typeENS0_5tupleIJS8_S9_EEENSB_IJS8_SA_EEENS0_18inequality_wrapperIZN2at6native12_GLOBAL__N_124unique_dim_cuda_templateIjEESt5tupleIJNSF_6TensorESK_SK_EERKSK_lbbbEUlllE0_EEPmJS9_EEE10hipError_tPvRmT3_T4_T5_T6_T7_T9_mT8_P12ihipStream_tbDpT10_ENKUlT_T0_E_clISt17integral_constantIbLb0EES19_IbLb1EEEEDaS15_S16_EUlS15_E_NS1_11comp_targetILNS1_3genE3ELNS1_11target_archE908ELNS1_3gpuE7ELNS1_3repE0EEENS1_30default_config_static_selectorELNS0_4arch9wavefront6targetE1EEEvT1_,@function
_ZN7rocprim17ROCPRIM_400000_NS6detail17trampoline_kernelINS0_14default_configENS1_25partition_config_selectorILNS1_17partition_subalgoE9EllbEEZZNS1_14partition_implILS5_9ELb0ES3_jPlS8_PNS0_10empty_typeENS0_5tupleIJS8_S9_EEENSB_IJS8_SA_EEENS0_18inequality_wrapperIZN2at6native12_GLOBAL__N_124unique_dim_cuda_templateIjEESt5tupleIJNSF_6TensorESK_SK_EERKSK_lbbbEUlllE0_EEPmJS9_EEE10hipError_tPvRmT3_T4_T5_T6_T7_T9_mT8_P12ihipStream_tbDpT10_ENKUlT_T0_E_clISt17integral_constantIbLb0EES19_IbLb1EEEEDaS15_S16_EUlS15_E_NS1_11comp_targetILNS1_3genE3ELNS1_11target_archE908ELNS1_3gpuE7ELNS1_3repE0EEENS1_30default_config_static_selectorELNS0_4arch9wavefront6targetE1EEEvT1_: ; @_ZN7rocprim17ROCPRIM_400000_NS6detail17trampoline_kernelINS0_14default_configENS1_25partition_config_selectorILNS1_17partition_subalgoE9EllbEEZZNS1_14partition_implILS5_9ELb0ES3_jPlS8_PNS0_10empty_typeENS0_5tupleIJS8_S9_EEENSB_IJS8_SA_EEENS0_18inequality_wrapperIZN2at6native12_GLOBAL__N_124unique_dim_cuda_templateIjEESt5tupleIJNSF_6TensorESK_SK_EERKSK_lbbbEUlllE0_EEPmJS9_EEE10hipError_tPvRmT3_T4_T5_T6_T7_T9_mT8_P12ihipStream_tbDpT10_ENKUlT_T0_E_clISt17integral_constantIbLb0EES19_IbLb1EEEEDaS15_S16_EUlS15_E_NS1_11comp_targetILNS1_3genE3ELNS1_11target_archE908ELNS1_3gpuE7ELNS1_3repE0EEENS1_30default_config_static_selectorELNS0_4arch9wavefront6targetE1EEEvT1_
; %bb.0:
	.section	.rodata,"a",@progbits
	.p2align	6, 0x0
	.amdhsa_kernel _ZN7rocprim17ROCPRIM_400000_NS6detail17trampoline_kernelINS0_14default_configENS1_25partition_config_selectorILNS1_17partition_subalgoE9EllbEEZZNS1_14partition_implILS5_9ELb0ES3_jPlS8_PNS0_10empty_typeENS0_5tupleIJS8_S9_EEENSB_IJS8_SA_EEENS0_18inequality_wrapperIZN2at6native12_GLOBAL__N_124unique_dim_cuda_templateIjEESt5tupleIJNSF_6TensorESK_SK_EERKSK_lbbbEUlllE0_EEPmJS9_EEE10hipError_tPvRmT3_T4_T5_T6_T7_T9_mT8_P12ihipStream_tbDpT10_ENKUlT_T0_E_clISt17integral_constantIbLb0EES19_IbLb1EEEEDaS15_S16_EUlS15_E_NS1_11comp_targetILNS1_3genE3ELNS1_11target_archE908ELNS1_3gpuE7ELNS1_3repE0EEENS1_30default_config_static_selectorELNS0_4arch9wavefront6targetE1EEEvT1_
		.amdhsa_group_segment_fixed_size 0
		.amdhsa_private_segment_fixed_size 0
		.amdhsa_kernarg_size 136
		.amdhsa_user_sgpr_count 6
		.amdhsa_user_sgpr_private_segment_buffer 1
		.amdhsa_user_sgpr_dispatch_ptr 0
		.amdhsa_user_sgpr_queue_ptr 0
		.amdhsa_user_sgpr_kernarg_segment_ptr 1
		.amdhsa_user_sgpr_dispatch_id 0
		.amdhsa_user_sgpr_flat_scratch_init 0
		.amdhsa_user_sgpr_kernarg_preload_length 0
		.amdhsa_user_sgpr_kernarg_preload_offset 0
		.amdhsa_user_sgpr_private_segment_size 0
		.amdhsa_uses_dynamic_stack 0
		.amdhsa_system_sgpr_private_segment_wavefront_offset 0
		.amdhsa_system_sgpr_workgroup_id_x 1
		.amdhsa_system_sgpr_workgroup_id_y 0
		.amdhsa_system_sgpr_workgroup_id_z 0
		.amdhsa_system_sgpr_workgroup_info 0
		.amdhsa_system_vgpr_workitem_id 0
		.amdhsa_next_free_vgpr 1
		.amdhsa_next_free_sgpr 0
		.amdhsa_accum_offset 4
		.amdhsa_reserve_vcc 0
		.amdhsa_reserve_flat_scratch 0
		.amdhsa_float_round_mode_32 0
		.amdhsa_float_round_mode_16_64 0
		.amdhsa_float_denorm_mode_32 3
		.amdhsa_float_denorm_mode_16_64 3
		.amdhsa_dx10_clamp 1
		.amdhsa_ieee_mode 1
		.amdhsa_fp16_overflow 0
		.amdhsa_tg_split 0
		.amdhsa_exception_fp_ieee_invalid_op 0
		.amdhsa_exception_fp_denorm_src 0
		.amdhsa_exception_fp_ieee_div_zero 0
		.amdhsa_exception_fp_ieee_overflow 0
		.amdhsa_exception_fp_ieee_underflow 0
		.amdhsa_exception_fp_ieee_inexact 0
		.amdhsa_exception_int_div_zero 0
	.end_amdhsa_kernel
	.section	.text._ZN7rocprim17ROCPRIM_400000_NS6detail17trampoline_kernelINS0_14default_configENS1_25partition_config_selectorILNS1_17partition_subalgoE9EllbEEZZNS1_14partition_implILS5_9ELb0ES3_jPlS8_PNS0_10empty_typeENS0_5tupleIJS8_S9_EEENSB_IJS8_SA_EEENS0_18inequality_wrapperIZN2at6native12_GLOBAL__N_124unique_dim_cuda_templateIjEESt5tupleIJNSF_6TensorESK_SK_EERKSK_lbbbEUlllE0_EEPmJS9_EEE10hipError_tPvRmT3_T4_T5_T6_T7_T9_mT8_P12ihipStream_tbDpT10_ENKUlT_T0_E_clISt17integral_constantIbLb0EES19_IbLb1EEEEDaS15_S16_EUlS15_E_NS1_11comp_targetILNS1_3genE3ELNS1_11target_archE908ELNS1_3gpuE7ELNS1_3repE0EEENS1_30default_config_static_selectorELNS0_4arch9wavefront6targetE1EEEvT1_,"axG",@progbits,_ZN7rocprim17ROCPRIM_400000_NS6detail17trampoline_kernelINS0_14default_configENS1_25partition_config_selectorILNS1_17partition_subalgoE9EllbEEZZNS1_14partition_implILS5_9ELb0ES3_jPlS8_PNS0_10empty_typeENS0_5tupleIJS8_S9_EEENSB_IJS8_SA_EEENS0_18inequality_wrapperIZN2at6native12_GLOBAL__N_124unique_dim_cuda_templateIjEESt5tupleIJNSF_6TensorESK_SK_EERKSK_lbbbEUlllE0_EEPmJS9_EEE10hipError_tPvRmT3_T4_T5_T6_T7_T9_mT8_P12ihipStream_tbDpT10_ENKUlT_T0_E_clISt17integral_constantIbLb0EES19_IbLb1EEEEDaS15_S16_EUlS15_E_NS1_11comp_targetILNS1_3genE3ELNS1_11target_archE908ELNS1_3gpuE7ELNS1_3repE0EEENS1_30default_config_static_selectorELNS0_4arch9wavefront6targetE1EEEvT1_,comdat
.Lfunc_end1598:
	.size	_ZN7rocprim17ROCPRIM_400000_NS6detail17trampoline_kernelINS0_14default_configENS1_25partition_config_selectorILNS1_17partition_subalgoE9EllbEEZZNS1_14partition_implILS5_9ELb0ES3_jPlS8_PNS0_10empty_typeENS0_5tupleIJS8_S9_EEENSB_IJS8_SA_EEENS0_18inequality_wrapperIZN2at6native12_GLOBAL__N_124unique_dim_cuda_templateIjEESt5tupleIJNSF_6TensorESK_SK_EERKSK_lbbbEUlllE0_EEPmJS9_EEE10hipError_tPvRmT3_T4_T5_T6_T7_T9_mT8_P12ihipStream_tbDpT10_ENKUlT_T0_E_clISt17integral_constantIbLb0EES19_IbLb1EEEEDaS15_S16_EUlS15_E_NS1_11comp_targetILNS1_3genE3ELNS1_11target_archE908ELNS1_3gpuE7ELNS1_3repE0EEENS1_30default_config_static_selectorELNS0_4arch9wavefront6targetE1EEEvT1_, .Lfunc_end1598-_ZN7rocprim17ROCPRIM_400000_NS6detail17trampoline_kernelINS0_14default_configENS1_25partition_config_selectorILNS1_17partition_subalgoE9EllbEEZZNS1_14partition_implILS5_9ELb0ES3_jPlS8_PNS0_10empty_typeENS0_5tupleIJS8_S9_EEENSB_IJS8_SA_EEENS0_18inequality_wrapperIZN2at6native12_GLOBAL__N_124unique_dim_cuda_templateIjEESt5tupleIJNSF_6TensorESK_SK_EERKSK_lbbbEUlllE0_EEPmJS9_EEE10hipError_tPvRmT3_T4_T5_T6_T7_T9_mT8_P12ihipStream_tbDpT10_ENKUlT_T0_E_clISt17integral_constantIbLb0EES19_IbLb1EEEEDaS15_S16_EUlS15_E_NS1_11comp_targetILNS1_3genE3ELNS1_11target_archE908ELNS1_3gpuE7ELNS1_3repE0EEENS1_30default_config_static_selectorELNS0_4arch9wavefront6targetE1EEEvT1_
                                        ; -- End function
	.section	.AMDGPU.csdata,"",@progbits
; Kernel info:
; codeLenInByte = 0
; NumSgprs: 4
; NumVgprs: 0
; NumAgprs: 0
; TotalNumVgprs: 0
; ScratchSize: 0
; MemoryBound: 0
; FloatMode: 240
; IeeeMode: 1
; LDSByteSize: 0 bytes/workgroup (compile time only)
; SGPRBlocks: 0
; VGPRBlocks: 0
; NumSGPRsForWavesPerEU: 4
; NumVGPRsForWavesPerEU: 1
; AccumOffset: 4
; Occupancy: 8
; WaveLimiterHint : 0
; COMPUTE_PGM_RSRC2:SCRATCH_EN: 0
; COMPUTE_PGM_RSRC2:USER_SGPR: 6
; COMPUTE_PGM_RSRC2:TRAP_HANDLER: 0
; COMPUTE_PGM_RSRC2:TGID_X_EN: 1
; COMPUTE_PGM_RSRC2:TGID_Y_EN: 0
; COMPUTE_PGM_RSRC2:TGID_Z_EN: 0
; COMPUTE_PGM_RSRC2:TIDIG_COMP_CNT: 0
; COMPUTE_PGM_RSRC3_GFX90A:ACCUM_OFFSET: 0
; COMPUTE_PGM_RSRC3_GFX90A:TG_SPLIT: 0
	.section	.text._ZN7rocprim17ROCPRIM_400000_NS6detail17trampoline_kernelINS0_14default_configENS1_25partition_config_selectorILNS1_17partition_subalgoE9EllbEEZZNS1_14partition_implILS5_9ELb0ES3_jPlS8_PNS0_10empty_typeENS0_5tupleIJS8_S9_EEENSB_IJS8_SA_EEENS0_18inequality_wrapperIZN2at6native12_GLOBAL__N_124unique_dim_cuda_templateIjEESt5tupleIJNSF_6TensorESK_SK_EERKSK_lbbbEUlllE0_EEPmJS9_EEE10hipError_tPvRmT3_T4_T5_T6_T7_T9_mT8_P12ihipStream_tbDpT10_ENKUlT_T0_E_clISt17integral_constantIbLb0EES19_IbLb1EEEEDaS15_S16_EUlS15_E_NS1_11comp_targetILNS1_3genE2ELNS1_11target_archE906ELNS1_3gpuE6ELNS1_3repE0EEENS1_30default_config_static_selectorELNS0_4arch9wavefront6targetE1EEEvT1_,"axG",@progbits,_ZN7rocprim17ROCPRIM_400000_NS6detail17trampoline_kernelINS0_14default_configENS1_25partition_config_selectorILNS1_17partition_subalgoE9EllbEEZZNS1_14partition_implILS5_9ELb0ES3_jPlS8_PNS0_10empty_typeENS0_5tupleIJS8_S9_EEENSB_IJS8_SA_EEENS0_18inequality_wrapperIZN2at6native12_GLOBAL__N_124unique_dim_cuda_templateIjEESt5tupleIJNSF_6TensorESK_SK_EERKSK_lbbbEUlllE0_EEPmJS9_EEE10hipError_tPvRmT3_T4_T5_T6_T7_T9_mT8_P12ihipStream_tbDpT10_ENKUlT_T0_E_clISt17integral_constantIbLb0EES19_IbLb1EEEEDaS15_S16_EUlS15_E_NS1_11comp_targetILNS1_3genE2ELNS1_11target_archE906ELNS1_3gpuE6ELNS1_3repE0EEENS1_30default_config_static_selectorELNS0_4arch9wavefront6targetE1EEEvT1_,comdat
	.globl	_ZN7rocprim17ROCPRIM_400000_NS6detail17trampoline_kernelINS0_14default_configENS1_25partition_config_selectorILNS1_17partition_subalgoE9EllbEEZZNS1_14partition_implILS5_9ELb0ES3_jPlS8_PNS0_10empty_typeENS0_5tupleIJS8_S9_EEENSB_IJS8_SA_EEENS0_18inequality_wrapperIZN2at6native12_GLOBAL__N_124unique_dim_cuda_templateIjEESt5tupleIJNSF_6TensorESK_SK_EERKSK_lbbbEUlllE0_EEPmJS9_EEE10hipError_tPvRmT3_T4_T5_T6_T7_T9_mT8_P12ihipStream_tbDpT10_ENKUlT_T0_E_clISt17integral_constantIbLb0EES19_IbLb1EEEEDaS15_S16_EUlS15_E_NS1_11comp_targetILNS1_3genE2ELNS1_11target_archE906ELNS1_3gpuE6ELNS1_3repE0EEENS1_30default_config_static_selectorELNS0_4arch9wavefront6targetE1EEEvT1_ ; -- Begin function _ZN7rocprim17ROCPRIM_400000_NS6detail17trampoline_kernelINS0_14default_configENS1_25partition_config_selectorILNS1_17partition_subalgoE9EllbEEZZNS1_14partition_implILS5_9ELb0ES3_jPlS8_PNS0_10empty_typeENS0_5tupleIJS8_S9_EEENSB_IJS8_SA_EEENS0_18inequality_wrapperIZN2at6native12_GLOBAL__N_124unique_dim_cuda_templateIjEESt5tupleIJNSF_6TensorESK_SK_EERKSK_lbbbEUlllE0_EEPmJS9_EEE10hipError_tPvRmT3_T4_T5_T6_T7_T9_mT8_P12ihipStream_tbDpT10_ENKUlT_T0_E_clISt17integral_constantIbLb0EES19_IbLb1EEEEDaS15_S16_EUlS15_E_NS1_11comp_targetILNS1_3genE2ELNS1_11target_archE906ELNS1_3gpuE6ELNS1_3repE0EEENS1_30default_config_static_selectorELNS0_4arch9wavefront6targetE1EEEvT1_
	.p2align	8
	.type	_ZN7rocprim17ROCPRIM_400000_NS6detail17trampoline_kernelINS0_14default_configENS1_25partition_config_selectorILNS1_17partition_subalgoE9EllbEEZZNS1_14partition_implILS5_9ELb0ES3_jPlS8_PNS0_10empty_typeENS0_5tupleIJS8_S9_EEENSB_IJS8_SA_EEENS0_18inequality_wrapperIZN2at6native12_GLOBAL__N_124unique_dim_cuda_templateIjEESt5tupleIJNSF_6TensorESK_SK_EERKSK_lbbbEUlllE0_EEPmJS9_EEE10hipError_tPvRmT3_T4_T5_T6_T7_T9_mT8_P12ihipStream_tbDpT10_ENKUlT_T0_E_clISt17integral_constantIbLb0EES19_IbLb1EEEEDaS15_S16_EUlS15_E_NS1_11comp_targetILNS1_3genE2ELNS1_11target_archE906ELNS1_3gpuE6ELNS1_3repE0EEENS1_30default_config_static_selectorELNS0_4arch9wavefront6targetE1EEEvT1_,@function
_ZN7rocprim17ROCPRIM_400000_NS6detail17trampoline_kernelINS0_14default_configENS1_25partition_config_selectorILNS1_17partition_subalgoE9EllbEEZZNS1_14partition_implILS5_9ELb0ES3_jPlS8_PNS0_10empty_typeENS0_5tupleIJS8_S9_EEENSB_IJS8_SA_EEENS0_18inequality_wrapperIZN2at6native12_GLOBAL__N_124unique_dim_cuda_templateIjEESt5tupleIJNSF_6TensorESK_SK_EERKSK_lbbbEUlllE0_EEPmJS9_EEE10hipError_tPvRmT3_T4_T5_T6_T7_T9_mT8_P12ihipStream_tbDpT10_ENKUlT_T0_E_clISt17integral_constantIbLb0EES19_IbLb1EEEEDaS15_S16_EUlS15_E_NS1_11comp_targetILNS1_3genE2ELNS1_11target_archE906ELNS1_3gpuE6ELNS1_3repE0EEENS1_30default_config_static_selectorELNS0_4arch9wavefront6targetE1EEEvT1_: ; @_ZN7rocprim17ROCPRIM_400000_NS6detail17trampoline_kernelINS0_14default_configENS1_25partition_config_selectorILNS1_17partition_subalgoE9EllbEEZZNS1_14partition_implILS5_9ELb0ES3_jPlS8_PNS0_10empty_typeENS0_5tupleIJS8_S9_EEENSB_IJS8_SA_EEENS0_18inequality_wrapperIZN2at6native12_GLOBAL__N_124unique_dim_cuda_templateIjEESt5tupleIJNSF_6TensorESK_SK_EERKSK_lbbbEUlllE0_EEPmJS9_EEE10hipError_tPvRmT3_T4_T5_T6_T7_T9_mT8_P12ihipStream_tbDpT10_ENKUlT_T0_E_clISt17integral_constantIbLb0EES19_IbLb1EEEEDaS15_S16_EUlS15_E_NS1_11comp_targetILNS1_3genE2ELNS1_11target_archE906ELNS1_3gpuE6ELNS1_3repE0EEENS1_30default_config_static_selectorELNS0_4arch9wavefront6targetE1EEEvT1_
; %bb.0:
	.section	.rodata,"a",@progbits
	.p2align	6, 0x0
	.amdhsa_kernel _ZN7rocprim17ROCPRIM_400000_NS6detail17trampoline_kernelINS0_14default_configENS1_25partition_config_selectorILNS1_17partition_subalgoE9EllbEEZZNS1_14partition_implILS5_9ELb0ES3_jPlS8_PNS0_10empty_typeENS0_5tupleIJS8_S9_EEENSB_IJS8_SA_EEENS0_18inequality_wrapperIZN2at6native12_GLOBAL__N_124unique_dim_cuda_templateIjEESt5tupleIJNSF_6TensorESK_SK_EERKSK_lbbbEUlllE0_EEPmJS9_EEE10hipError_tPvRmT3_T4_T5_T6_T7_T9_mT8_P12ihipStream_tbDpT10_ENKUlT_T0_E_clISt17integral_constantIbLb0EES19_IbLb1EEEEDaS15_S16_EUlS15_E_NS1_11comp_targetILNS1_3genE2ELNS1_11target_archE906ELNS1_3gpuE6ELNS1_3repE0EEENS1_30default_config_static_selectorELNS0_4arch9wavefront6targetE1EEEvT1_
		.amdhsa_group_segment_fixed_size 0
		.amdhsa_private_segment_fixed_size 0
		.amdhsa_kernarg_size 136
		.amdhsa_user_sgpr_count 6
		.amdhsa_user_sgpr_private_segment_buffer 1
		.amdhsa_user_sgpr_dispatch_ptr 0
		.amdhsa_user_sgpr_queue_ptr 0
		.amdhsa_user_sgpr_kernarg_segment_ptr 1
		.amdhsa_user_sgpr_dispatch_id 0
		.amdhsa_user_sgpr_flat_scratch_init 0
		.amdhsa_user_sgpr_kernarg_preload_length 0
		.amdhsa_user_sgpr_kernarg_preload_offset 0
		.amdhsa_user_sgpr_private_segment_size 0
		.amdhsa_uses_dynamic_stack 0
		.amdhsa_system_sgpr_private_segment_wavefront_offset 0
		.amdhsa_system_sgpr_workgroup_id_x 1
		.amdhsa_system_sgpr_workgroup_id_y 0
		.amdhsa_system_sgpr_workgroup_id_z 0
		.amdhsa_system_sgpr_workgroup_info 0
		.amdhsa_system_vgpr_workitem_id 0
		.amdhsa_next_free_vgpr 1
		.amdhsa_next_free_sgpr 0
		.amdhsa_accum_offset 4
		.amdhsa_reserve_vcc 0
		.amdhsa_reserve_flat_scratch 0
		.amdhsa_float_round_mode_32 0
		.amdhsa_float_round_mode_16_64 0
		.amdhsa_float_denorm_mode_32 3
		.amdhsa_float_denorm_mode_16_64 3
		.amdhsa_dx10_clamp 1
		.amdhsa_ieee_mode 1
		.amdhsa_fp16_overflow 0
		.amdhsa_tg_split 0
		.amdhsa_exception_fp_ieee_invalid_op 0
		.amdhsa_exception_fp_denorm_src 0
		.amdhsa_exception_fp_ieee_div_zero 0
		.amdhsa_exception_fp_ieee_overflow 0
		.amdhsa_exception_fp_ieee_underflow 0
		.amdhsa_exception_fp_ieee_inexact 0
		.amdhsa_exception_int_div_zero 0
	.end_amdhsa_kernel
	.section	.text._ZN7rocprim17ROCPRIM_400000_NS6detail17trampoline_kernelINS0_14default_configENS1_25partition_config_selectorILNS1_17partition_subalgoE9EllbEEZZNS1_14partition_implILS5_9ELb0ES3_jPlS8_PNS0_10empty_typeENS0_5tupleIJS8_S9_EEENSB_IJS8_SA_EEENS0_18inequality_wrapperIZN2at6native12_GLOBAL__N_124unique_dim_cuda_templateIjEESt5tupleIJNSF_6TensorESK_SK_EERKSK_lbbbEUlllE0_EEPmJS9_EEE10hipError_tPvRmT3_T4_T5_T6_T7_T9_mT8_P12ihipStream_tbDpT10_ENKUlT_T0_E_clISt17integral_constantIbLb0EES19_IbLb1EEEEDaS15_S16_EUlS15_E_NS1_11comp_targetILNS1_3genE2ELNS1_11target_archE906ELNS1_3gpuE6ELNS1_3repE0EEENS1_30default_config_static_selectorELNS0_4arch9wavefront6targetE1EEEvT1_,"axG",@progbits,_ZN7rocprim17ROCPRIM_400000_NS6detail17trampoline_kernelINS0_14default_configENS1_25partition_config_selectorILNS1_17partition_subalgoE9EllbEEZZNS1_14partition_implILS5_9ELb0ES3_jPlS8_PNS0_10empty_typeENS0_5tupleIJS8_S9_EEENSB_IJS8_SA_EEENS0_18inequality_wrapperIZN2at6native12_GLOBAL__N_124unique_dim_cuda_templateIjEESt5tupleIJNSF_6TensorESK_SK_EERKSK_lbbbEUlllE0_EEPmJS9_EEE10hipError_tPvRmT3_T4_T5_T6_T7_T9_mT8_P12ihipStream_tbDpT10_ENKUlT_T0_E_clISt17integral_constantIbLb0EES19_IbLb1EEEEDaS15_S16_EUlS15_E_NS1_11comp_targetILNS1_3genE2ELNS1_11target_archE906ELNS1_3gpuE6ELNS1_3repE0EEENS1_30default_config_static_selectorELNS0_4arch9wavefront6targetE1EEEvT1_,comdat
.Lfunc_end1599:
	.size	_ZN7rocprim17ROCPRIM_400000_NS6detail17trampoline_kernelINS0_14default_configENS1_25partition_config_selectorILNS1_17partition_subalgoE9EllbEEZZNS1_14partition_implILS5_9ELb0ES3_jPlS8_PNS0_10empty_typeENS0_5tupleIJS8_S9_EEENSB_IJS8_SA_EEENS0_18inequality_wrapperIZN2at6native12_GLOBAL__N_124unique_dim_cuda_templateIjEESt5tupleIJNSF_6TensorESK_SK_EERKSK_lbbbEUlllE0_EEPmJS9_EEE10hipError_tPvRmT3_T4_T5_T6_T7_T9_mT8_P12ihipStream_tbDpT10_ENKUlT_T0_E_clISt17integral_constantIbLb0EES19_IbLb1EEEEDaS15_S16_EUlS15_E_NS1_11comp_targetILNS1_3genE2ELNS1_11target_archE906ELNS1_3gpuE6ELNS1_3repE0EEENS1_30default_config_static_selectorELNS0_4arch9wavefront6targetE1EEEvT1_, .Lfunc_end1599-_ZN7rocprim17ROCPRIM_400000_NS6detail17trampoline_kernelINS0_14default_configENS1_25partition_config_selectorILNS1_17partition_subalgoE9EllbEEZZNS1_14partition_implILS5_9ELb0ES3_jPlS8_PNS0_10empty_typeENS0_5tupleIJS8_S9_EEENSB_IJS8_SA_EEENS0_18inequality_wrapperIZN2at6native12_GLOBAL__N_124unique_dim_cuda_templateIjEESt5tupleIJNSF_6TensorESK_SK_EERKSK_lbbbEUlllE0_EEPmJS9_EEE10hipError_tPvRmT3_T4_T5_T6_T7_T9_mT8_P12ihipStream_tbDpT10_ENKUlT_T0_E_clISt17integral_constantIbLb0EES19_IbLb1EEEEDaS15_S16_EUlS15_E_NS1_11comp_targetILNS1_3genE2ELNS1_11target_archE906ELNS1_3gpuE6ELNS1_3repE0EEENS1_30default_config_static_selectorELNS0_4arch9wavefront6targetE1EEEvT1_
                                        ; -- End function
	.section	.AMDGPU.csdata,"",@progbits
; Kernel info:
; codeLenInByte = 0
; NumSgprs: 4
; NumVgprs: 0
; NumAgprs: 0
; TotalNumVgprs: 0
; ScratchSize: 0
; MemoryBound: 0
; FloatMode: 240
; IeeeMode: 1
; LDSByteSize: 0 bytes/workgroup (compile time only)
; SGPRBlocks: 0
; VGPRBlocks: 0
; NumSGPRsForWavesPerEU: 4
; NumVGPRsForWavesPerEU: 1
; AccumOffset: 4
; Occupancy: 8
; WaveLimiterHint : 0
; COMPUTE_PGM_RSRC2:SCRATCH_EN: 0
; COMPUTE_PGM_RSRC2:USER_SGPR: 6
; COMPUTE_PGM_RSRC2:TRAP_HANDLER: 0
; COMPUTE_PGM_RSRC2:TGID_X_EN: 1
; COMPUTE_PGM_RSRC2:TGID_Y_EN: 0
; COMPUTE_PGM_RSRC2:TGID_Z_EN: 0
; COMPUTE_PGM_RSRC2:TIDIG_COMP_CNT: 0
; COMPUTE_PGM_RSRC3_GFX90A:ACCUM_OFFSET: 0
; COMPUTE_PGM_RSRC3_GFX90A:TG_SPLIT: 0
	.section	.text._ZN7rocprim17ROCPRIM_400000_NS6detail17trampoline_kernelINS0_14default_configENS1_25partition_config_selectorILNS1_17partition_subalgoE9EllbEEZZNS1_14partition_implILS5_9ELb0ES3_jPlS8_PNS0_10empty_typeENS0_5tupleIJS8_S9_EEENSB_IJS8_SA_EEENS0_18inequality_wrapperIZN2at6native12_GLOBAL__N_124unique_dim_cuda_templateIjEESt5tupleIJNSF_6TensorESK_SK_EERKSK_lbbbEUlllE0_EEPmJS9_EEE10hipError_tPvRmT3_T4_T5_T6_T7_T9_mT8_P12ihipStream_tbDpT10_ENKUlT_T0_E_clISt17integral_constantIbLb0EES19_IbLb1EEEEDaS15_S16_EUlS15_E_NS1_11comp_targetILNS1_3genE10ELNS1_11target_archE1200ELNS1_3gpuE4ELNS1_3repE0EEENS1_30default_config_static_selectorELNS0_4arch9wavefront6targetE1EEEvT1_,"axG",@progbits,_ZN7rocprim17ROCPRIM_400000_NS6detail17trampoline_kernelINS0_14default_configENS1_25partition_config_selectorILNS1_17partition_subalgoE9EllbEEZZNS1_14partition_implILS5_9ELb0ES3_jPlS8_PNS0_10empty_typeENS0_5tupleIJS8_S9_EEENSB_IJS8_SA_EEENS0_18inequality_wrapperIZN2at6native12_GLOBAL__N_124unique_dim_cuda_templateIjEESt5tupleIJNSF_6TensorESK_SK_EERKSK_lbbbEUlllE0_EEPmJS9_EEE10hipError_tPvRmT3_T4_T5_T6_T7_T9_mT8_P12ihipStream_tbDpT10_ENKUlT_T0_E_clISt17integral_constantIbLb0EES19_IbLb1EEEEDaS15_S16_EUlS15_E_NS1_11comp_targetILNS1_3genE10ELNS1_11target_archE1200ELNS1_3gpuE4ELNS1_3repE0EEENS1_30default_config_static_selectorELNS0_4arch9wavefront6targetE1EEEvT1_,comdat
	.globl	_ZN7rocprim17ROCPRIM_400000_NS6detail17trampoline_kernelINS0_14default_configENS1_25partition_config_selectorILNS1_17partition_subalgoE9EllbEEZZNS1_14partition_implILS5_9ELb0ES3_jPlS8_PNS0_10empty_typeENS0_5tupleIJS8_S9_EEENSB_IJS8_SA_EEENS0_18inequality_wrapperIZN2at6native12_GLOBAL__N_124unique_dim_cuda_templateIjEESt5tupleIJNSF_6TensorESK_SK_EERKSK_lbbbEUlllE0_EEPmJS9_EEE10hipError_tPvRmT3_T4_T5_T6_T7_T9_mT8_P12ihipStream_tbDpT10_ENKUlT_T0_E_clISt17integral_constantIbLb0EES19_IbLb1EEEEDaS15_S16_EUlS15_E_NS1_11comp_targetILNS1_3genE10ELNS1_11target_archE1200ELNS1_3gpuE4ELNS1_3repE0EEENS1_30default_config_static_selectorELNS0_4arch9wavefront6targetE1EEEvT1_ ; -- Begin function _ZN7rocprim17ROCPRIM_400000_NS6detail17trampoline_kernelINS0_14default_configENS1_25partition_config_selectorILNS1_17partition_subalgoE9EllbEEZZNS1_14partition_implILS5_9ELb0ES3_jPlS8_PNS0_10empty_typeENS0_5tupleIJS8_S9_EEENSB_IJS8_SA_EEENS0_18inequality_wrapperIZN2at6native12_GLOBAL__N_124unique_dim_cuda_templateIjEESt5tupleIJNSF_6TensorESK_SK_EERKSK_lbbbEUlllE0_EEPmJS9_EEE10hipError_tPvRmT3_T4_T5_T6_T7_T9_mT8_P12ihipStream_tbDpT10_ENKUlT_T0_E_clISt17integral_constantIbLb0EES19_IbLb1EEEEDaS15_S16_EUlS15_E_NS1_11comp_targetILNS1_3genE10ELNS1_11target_archE1200ELNS1_3gpuE4ELNS1_3repE0EEENS1_30default_config_static_selectorELNS0_4arch9wavefront6targetE1EEEvT1_
	.p2align	8
	.type	_ZN7rocprim17ROCPRIM_400000_NS6detail17trampoline_kernelINS0_14default_configENS1_25partition_config_selectorILNS1_17partition_subalgoE9EllbEEZZNS1_14partition_implILS5_9ELb0ES3_jPlS8_PNS0_10empty_typeENS0_5tupleIJS8_S9_EEENSB_IJS8_SA_EEENS0_18inequality_wrapperIZN2at6native12_GLOBAL__N_124unique_dim_cuda_templateIjEESt5tupleIJNSF_6TensorESK_SK_EERKSK_lbbbEUlllE0_EEPmJS9_EEE10hipError_tPvRmT3_T4_T5_T6_T7_T9_mT8_P12ihipStream_tbDpT10_ENKUlT_T0_E_clISt17integral_constantIbLb0EES19_IbLb1EEEEDaS15_S16_EUlS15_E_NS1_11comp_targetILNS1_3genE10ELNS1_11target_archE1200ELNS1_3gpuE4ELNS1_3repE0EEENS1_30default_config_static_selectorELNS0_4arch9wavefront6targetE1EEEvT1_,@function
_ZN7rocprim17ROCPRIM_400000_NS6detail17trampoline_kernelINS0_14default_configENS1_25partition_config_selectorILNS1_17partition_subalgoE9EllbEEZZNS1_14partition_implILS5_9ELb0ES3_jPlS8_PNS0_10empty_typeENS0_5tupleIJS8_S9_EEENSB_IJS8_SA_EEENS0_18inequality_wrapperIZN2at6native12_GLOBAL__N_124unique_dim_cuda_templateIjEESt5tupleIJNSF_6TensorESK_SK_EERKSK_lbbbEUlllE0_EEPmJS9_EEE10hipError_tPvRmT3_T4_T5_T6_T7_T9_mT8_P12ihipStream_tbDpT10_ENKUlT_T0_E_clISt17integral_constantIbLb0EES19_IbLb1EEEEDaS15_S16_EUlS15_E_NS1_11comp_targetILNS1_3genE10ELNS1_11target_archE1200ELNS1_3gpuE4ELNS1_3repE0EEENS1_30default_config_static_selectorELNS0_4arch9wavefront6targetE1EEEvT1_: ; @_ZN7rocprim17ROCPRIM_400000_NS6detail17trampoline_kernelINS0_14default_configENS1_25partition_config_selectorILNS1_17partition_subalgoE9EllbEEZZNS1_14partition_implILS5_9ELb0ES3_jPlS8_PNS0_10empty_typeENS0_5tupleIJS8_S9_EEENSB_IJS8_SA_EEENS0_18inequality_wrapperIZN2at6native12_GLOBAL__N_124unique_dim_cuda_templateIjEESt5tupleIJNSF_6TensorESK_SK_EERKSK_lbbbEUlllE0_EEPmJS9_EEE10hipError_tPvRmT3_T4_T5_T6_T7_T9_mT8_P12ihipStream_tbDpT10_ENKUlT_T0_E_clISt17integral_constantIbLb0EES19_IbLb1EEEEDaS15_S16_EUlS15_E_NS1_11comp_targetILNS1_3genE10ELNS1_11target_archE1200ELNS1_3gpuE4ELNS1_3repE0EEENS1_30default_config_static_selectorELNS0_4arch9wavefront6targetE1EEEvT1_
; %bb.0:
	.section	.rodata,"a",@progbits
	.p2align	6, 0x0
	.amdhsa_kernel _ZN7rocprim17ROCPRIM_400000_NS6detail17trampoline_kernelINS0_14default_configENS1_25partition_config_selectorILNS1_17partition_subalgoE9EllbEEZZNS1_14partition_implILS5_9ELb0ES3_jPlS8_PNS0_10empty_typeENS0_5tupleIJS8_S9_EEENSB_IJS8_SA_EEENS0_18inequality_wrapperIZN2at6native12_GLOBAL__N_124unique_dim_cuda_templateIjEESt5tupleIJNSF_6TensorESK_SK_EERKSK_lbbbEUlllE0_EEPmJS9_EEE10hipError_tPvRmT3_T4_T5_T6_T7_T9_mT8_P12ihipStream_tbDpT10_ENKUlT_T0_E_clISt17integral_constantIbLb0EES19_IbLb1EEEEDaS15_S16_EUlS15_E_NS1_11comp_targetILNS1_3genE10ELNS1_11target_archE1200ELNS1_3gpuE4ELNS1_3repE0EEENS1_30default_config_static_selectorELNS0_4arch9wavefront6targetE1EEEvT1_
		.amdhsa_group_segment_fixed_size 0
		.amdhsa_private_segment_fixed_size 0
		.amdhsa_kernarg_size 136
		.amdhsa_user_sgpr_count 6
		.amdhsa_user_sgpr_private_segment_buffer 1
		.amdhsa_user_sgpr_dispatch_ptr 0
		.amdhsa_user_sgpr_queue_ptr 0
		.amdhsa_user_sgpr_kernarg_segment_ptr 1
		.amdhsa_user_sgpr_dispatch_id 0
		.amdhsa_user_sgpr_flat_scratch_init 0
		.amdhsa_user_sgpr_kernarg_preload_length 0
		.amdhsa_user_sgpr_kernarg_preload_offset 0
		.amdhsa_user_sgpr_private_segment_size 0
		.amdhsa_uses_dynamic_stack 0
		.amdhsa_system_sgpr_private_segment_wavefront_offset 0
		.amdhsa_system_sgpr_workgroup_id_x 1
		.amdhsa_system_sgpr_workgroup_id_y 0
		.amdhsa_system_sgpr_workgroup_id_z 0
		.amdhsa_system_sgpr_workgroup_info 0
		.amdhsa_system_vgpr_workitem_id 0
		.amdhsa_next_free_vgpr 1
		.amdhsa_next_free_sgpr 0
		.amdhsa_accum_offset 4
		.amdhsa_reserve_vcc 0
		.amdhsa_reserve_flat_scratch 0
		.amdhsa_float_round_mode_32 0
		.amdhsa_float_round_mode_16_64 0
		.amdhsa_float_denorm_mode_32 3
		.amdhsa_float_denorm_mode_16_64 3
		.amdhsa_dx10_clamp 1
		.amdhsa_ieee_mode 1
		.amdhsa_fp16_overflow 0
		.amdhsa_tg_split 0
		.amdhsa_exception_fp_ieee_invalid_op 0
		.amdhsa_exception_fp_denorm_src 0
		.amdhsa_exception_fp_ieee_div_zero 0
		.amdhsa_exception_fp_ieee_overflow 0
		.amdhsa_exception_fp_ieee_underflow 0
		.amdhsa_exception_fp_ieee_inexact 0
		.amdhsa_exception_int_div_zero 0
	.end_amdhsa_kernel
	.section	.text._ZN7rocprim17ROCPRIM_400000_NS6detail17trampoline_kernelINS0_14default_configENS1_25partition_config_selectorILNS1_17partition_subalgoE9EllbEEZZNS1_14partition_implILS5_9ELb0ES3_jPlS8_PNS0_10empty_typeENS0_5tupleIJS8_S9_EEENSB_IJS8_SA_EEENS0_18inequality_wrapperIZN2at6native12_GLOBAL__N_124unique_dim_cuda_templateIjEESt5tupleIJNSF_6TensorESK_SK_EERKSK_lbbbEUlllE0_EEPmJS9_EEE10hipError_tPvRmT3_T4_T5_T6_T7_T9_mT8_P12ihipStream_tbDpT10_ENKUlT_T0_E_clISt17integral_constantIbLb0EES19_IbLb1EEEEDaS15_S16_EUlS15_E_NS1_11comp_targetILNS1_3genE10ELNS1_11target_archE1200ELNS1_3gpuE4ELNS1_3repE0EEENS1_30default_config_static_selectorELNS0_4arch9wavefront6targetE1EEEvT1_,"axG",@progbits,_ZN7rocprim17ROCPRIM_400000_NS6detail17trampoline_kernelINS0_14default_configENS1_25partition_config_selectorILNS1_17partition_subalgoE9EllbEEZZNS1_14partition_implILS5_9ELb0ES3_jPlS8_PNS0_10empty_typeENS0_5tupleIJS8_S9_EEENSB_IJS8_SA_EEENS0_18inequality_wrapperIZN2at6native12_GLOBAL__N_124unique_dim_cuda_templateIjEESt5tupleIJNSF_6TensorESK_SK_EERKSK_lbbbEUlllE0_EEPmJS9_EEE10hipError_tPvRmT3_T4_T5_T6_T7_T9_mT8_P12ihipStream_tbDpT10_ENKUlT_T0_E_clISt17integral_constantIbLb0EES19_IbLb1EEEEDaS15_S16_EUlS15_E_NS1_11comp_targetILNS1_3genE10ELNS1_11target_archE1200ELNS1_3gpuE4ELNS1_3repE0EEENS1_30default_config_static_selectorELNS0_4arch9wavefront6targetE1EEEvT1_,comdat
.Lfunc_end1600:
	.size	_ZN7rocprim17ROCPRIM_400000_NS6detail17trampoline_kernelINS0_14default_configENS1_25partition_config_selectorILNS1_17partition_subalgoE9EllbEEZZNS1_14partition_implILS5_9ELb0ES3_jPlS8_PNS0_10empty_typeENS0_5tupleIJS8_S9_EEENSB_IJS8_SA_EEENS0_18inequality_wrapperIZN2at6native12_GLOBAL__N_124unique_dim_cuda_templateIjEESt5tupleIJNSF_6TensorESK_SK_EERKSK_lbbbEUlllE0_EEPmJS9_EEE10hipError_tPvRmT3_T4_T5_T6_T7_T9_mT8_P12ihipStream_tbDpT10_ENKUlT_T0_E_clISt17integral_constantIbLb0EES19_IbLb1EEEEDaS15_S16_EUlS15_E_NS1_11comp_targetILNS1_3genE10ELNS1_11target_archE1200ELNS1_3gpuE4ELNS1_3repE0EEENS1_30default_config_static_selectorELNS0_4arch9wavefront6targetE1EEEvT1_, .Lfunc_end1600-_ZN7rocprim17ROCPRIM_400000_NS6detail17trampoline_kernelINS0_14default_configENS1_25partition_config_selectorILNS1_17partition_subalgoE9EllbEEZZNS1_14partition_implILS5_9ELb0ES3_jPlS8_PNS0_10empty_typeENS0_5tupleIJS8_S9_EEENSB_IJS8_SA_EEENS0_18inequality_wrapperIZN2at6native12_GLOBAL__N_124unique_dim_cuda_templateIjEESt5tupleIJNSF_6TensorESK_SK_EERKSK_lbbbEUlllE0_EEPmJS9_EEE10hipError_tPvRmT3_T4_T5_T6_T7_T9_mT8_P12ihipStream_tbDpT10_ENKUlT_T0_E_clISt17integral_constantIbLb0EES19_IbLb1EEEEDaS15_S16_EUlS15_E_NS1_11comp_targetILNS1_3genE10ELNS1_11target_archE1200ELNS1_3gpuE4ELNS1_3repE0EEENS1_30default_config_static_selectorELNS0_4arch9wavefront6targetE1EEEvT1_
                                        ; -- End function
	.section	.AMDGPU.csdata,"",@progbits
; Kernel info:
; codeLenInByte = 0
; NumSgprs: 4
; NumVgprs: 0
; NumAgprs: 0
; TotalNumVgprs: 0
; ScratchSize: 0
; MemoryBound: 0
; FloatMode: 240
; IeeeMode: 1
; LDSByteSize: 0 bytes/workgroup (compile time only)
; SGPRBlocks: 0
; VGPRBlocks: 0
; NumSGPRsForWavesPerEU: 4
; NumVGPRsForWavesPerEU: 1
; AccumOffset: 4
; Occupancy: 8
; WaveLimiterHint : 0
; COMPUTE_PGM_RSRC2:SCRATCH_EN: 0
; COMPUTE_PGM_RSRC2:USER_SGPR: 6
; COMPUTE_PGM_RSRC2:TRAP_HANDLER: 0
; COMPUTE_PGM_RSRC2:TGID_X_EN: 1
; COMPUTE_PGM_RSRC2:TGID_Y_EN: 0
; COMPUTE_PGM_RSRC2:TGID_Z_EN: 0
; COMPUTE_PGM_RSRC2:TIDIG_COMP_CNT: 0
; COMPUTE_PGM_RSRC3_GFX90A:ACCUM_OFFSET: 0
; COMPUTE_PGM_RSRC3_GFX90A:TG_SPLIT: 0
	.section	.text._ZN7rocprim17ROCPRIM_400000_NS6detail17trampoline_kernelINS0_14default_configENS1_25partition_config_selectorILNS1_17partition_subalgoE9EllbEEZZNS1_14partition_implILS5_9ELb0ES3_jPlS8_PNS0_10empty_typeENS0_5tupleIJS8_S9_EEENSB_IJS8_SA_EEENS0_18inequality_wrapperIZN2at6native12_GLOBAL__N_124unique_dim_cuda_templateIjEESt5tupleIJNSF_6TensorESK_SK_EERKSK_lbbbEUlllE0_EEPmJS9_EEE10hipError_tPvRmT3_T4_T5_T6_T7_T9_mT8_P12ihipStream_tbDpT10_ENKUlT_T0_E_clISt17integral_constantIbLb0EES19_IbLb1EEEEDaS15_S16_EUlS15_E_NS1_11comp_targetILNS1_3genE9ELNS1_11target_archE1100ELNS1_3gpuE3ELNS1_3repE0EEENS1_30default_config_static_selectorELNS0_4arch9wavefront6targetE1EEEvT1_,"axG",@progbits,_ZN7rocprim17ROCPRIM_400000_NS6detail17trampoline_kernelINS0_14default_configENS1_25partition_config_selectorILNS1_17partition_subalgoE9EllbEEZZNS1_14partition_implILS5_9ELb0ES3_jPlS8_PNS0_10empty_typeENS0_5tupleIJS8_S9_EEENSB_IJS8_SA_EEENS0_18inequality_wrapperIZN2at6native12_GLOBAL__N_124unique_dim_cuda_templateIjEESt5tupleIJNSF_6TensorESK_SK_EERKSK_lbbbEUlllE0_EEPmJS9_EEE10hipError_tPvRmT3_T4_T5_T6_T7_T9_mT8_P12ihipStream_tbDpT10_ENKUlT_T0_E_clISt17integral_constantIbLb0EES19_IbLb1EEEEDaS15_S16_EUlS15_E_NS1_11comp_targetILNS1_3genE9ELNS1_11target_archE1100ELNS1_3gpuE3ELNS1_3repE0EEENS1_30default_config_static_selectorELNS0_4arch9wavefront6targetE1EEEvT1_,comdat
	.globl	_ZN7rocprim17ROCPRIM_400000_NS6detail17trampoline_kernelINS0_14default_configENS1_25partition_config_selectorILNS1_17partition_subalgoE9EllbEEZZNS1_14partition_implILS5_9ELb0ES3_jPlS8_PNS0_10empty_typeENS0_5tupleIJS8_S9_EEENSB_IJS8_SA_EEENS0_18inequality_wrapperIZN2at6native12_GLOBAL__N_124unique_dim_cuda_templateIjEESt5tupleIJNSF_6TensorESK_SK_EERKSK_lbbbEUlllE0_EEPmJS9_EEE10hipError_tPvRmT3_T4_T5_T6_T7_T9_mT8_P12ihipStream_tbDpT10_ENKUlT_T0_E_clISt17integral_constantIbLb0EES19_IbLb1EEEEDaS15_S16_EUlS15_E_NS1_11comp_targetILNS1_3genE9ELNS1_11target_archE1100ELNS1_3gpuE3ELNS1_3repE0EEENS1_30default_config_static_selectorELNS0_4arch9wavefront6targetE1EEEvT1_ ; -- Begin function _ZN7rocprim17ROCPRIM_400000_NS6detail17trampoline_kernelINS0_14default_configENS1_25partition_config_selectorILNS1_17partition_subalgoE9EllbEEZZNS1_14partition_implILS5_9ELb0ES3_jPlS8_PNS0_10empty_typeENS0_5tupleIJS8_S9_EEENSB_IJS8_SA_EEENS0_18inequality_wrapperIZN2at6native12_GLOBAL__N_124unique_dim_cuda_templateIjEESt5tupleIJNSF_6TensorESK_SK_EERKSK_lbbbEUlllE0_EEPmJS9_EEE10hipError_tPvRmT3_T4_T5_T6_T7_T9_mT8_P12ihipStream_tbDpT10_ENKUlT_T0_E_clISt17integral_constantIbLb0EES19_IbLb1EEEEDaS15_S16_EUlS15_E_NS1_11comp_targetILNS1_3genE9ELNS1_11target_archE1100ELNS1_3gpuE3ELNS1_3repE0EEENS1_30default_config_static_selectorELNS0_4arch9wavefront6targetE1EEEvT1_
	.p2align	8
	.type	_ZN7rocprim17ROCPRIM_400000_NS6detail17trampoline_kernelINS0_14default_configENS1_25partition_config_selectorILNS1_17partition_subalgoE9EllbEEZZNS1_14partition_implILS5_9ELb0ES3_jPlS8_PNS0_10empty_typeENS0_5tupleIJS8_S9_EEENSB_IJS8_SA_EEENS0_18inequality_wrapperIZN2at6native12_GLOBAL__N_124unique_dim_cuda_templateIjEESt5tupleIJNSF_6TensorESK_SK_EERKSK_lbbbEUlllE0_EEPmJS9_EEE10hipError_tPvRmT3_T4_T5_T6_T7_T9_mT8_P12ihipStream_tbDpT10_ENKUlT_T0_E_clISt17integral_constantIbLb0EES19_IbLb1EEEEDaS15_S16_EUlS15_E_NS1_11comp_targetILNS1_3genE9ELNS1_11target_archE1100ELNS1_3gpuE3ELNS1_3repE0EEENS1_30default_config_static_selectorELNS0_4arch9wavefront6targetE1EEEvT1_,@function
_ZN7rocprim17ROCPRIM_400000_NS6detail17trampoline_kernelINS0_14default_configENS1_25partition_config_selectorILNS1_17partition_subalgoE9EllbEEZZNS1_14partition_implILS5_9ELb0ES3_jPlS8_PNS0_10empty_typeENS0_5tupleIJS8_S9_EEENSB_IJS8_SA_EEENS0_18inequality_wrapperIZN2at6native12_GLOBAL__N_124unique_dim_cuda_templateIjEESt5tupleIJNSF_6TensorESK_SK_EERKSK_lbbbEUlllE0_EEPmJS9_EEE10hipError_tPvRmT3_T4_T5_T6_T7_T9_mT8_P12ihipStream_tbDpT10_ENKUlT_T0_E_clISt17integral_constantIbLb0EES19_IbLb1EEEEDaS15_S16_EUlS15_E_NS1_11comp_targetILNS1_3genE9ELNS1_11target_archE1100ELNS1_3gpuE3ELNS1_3repE0EEENS1_30default_config_static_selectorELNS0_4arch9wavefront6targetE1EEEvT1_: ; @_ZN7rocprim17ROCPRIM_400000_NS6detail17trampoline_kernelINS0_14default_configENS1_25partition_config_selectorILNS1_17partition_subalgoE9EllbEEZZNS1_14partition_implILS5_9ELb0ES3_jPlS8_PNS0_10empty_typeENS0_5tupleIJS8_S9_EEENSB_IJS8_SA_EEENS0_18inequality_wrapperIZN2at6native12_GLOBAL__N_124unique_dim_cuda_templateIjEESt5tupleIJNSF_6TensorESK_SK_EERKSK_lbbbEUlllE0_EEPmJS9_EEE10hipError_tPvRmT3_T4_T5_T6_T7_T9_mT8_P12ihipStream_tbDpT10_ENKUlT_T0_E_clISt17integral_constantIbLb0EES19_IbLb1EEEEDaS15_S16_EUlS15_E_NS1_11comp_targetILNS1_3genE9ELNS1_11target_archE1100ELNS1_3gpuE3ELNS1_3repE0EEENS1_30default_config_static_selectorELNS0_4arch9wavefront6targetE1EEEvT1_
; %bb.0:
	.section	.rodata,"a",@progbits
	.p2align	6, 0x0
	.amdhsa_kernel _ZN7rocprim17ROCPRIM_400000_NS6detail17trampoline_kernelINS0_14default_configENS1_25partition_config_selectorILNS1_17partition_subalgoE9EllbEEZZNS1_14partition_implILS5_9ELb0ES3_jPlS8_PNS0_10empty_typeENS0_5tupleIJS8_S9_EEENSB_IJS8_SA_EEENS0_18inequality_wrapperIZN2at6native12_GLOBAL__N_124unique_dim_cuda_templateIjEESt5tupleIJNSF_6TensorESK_SK_EERKSK_lbbbEUlllE0_EEPmJS9_EEE10hipError_tPvRmT3_T4_T5_T6_T7_T9_mT8_P12ihipStream_tbDpT10_ENKUlT_T0_E_clISt17integral_constantIbLb0EES19_IbLb1EEEEDaS15_S16_EUlS15_E_NS1_11comp_targetILNS1_3genE9ELNS1_11target_archE1100ELNS1_3gpuE3ELNS1_3repE0EEENS1_30default_config_static_selectorELNS0_4arch9wavefront6targetE1EEEvT1_
		.amdhsa_group_segment_fixed_size 0
		.amdhsa_private_segment_fixed_size 0
		.amdhsa_kernarg_size 136
		.amdhsa_user_sgpr_count 6
		.amdhsa_user_sgpr_private_segment_buffer 1
		.amdhsa_user_sgpr_dispatch_ptr 0
		.amdhsa_user_sgpr_queue_ptr 0
		.amdhsa_user_sgpr_kernarg_segment_ptr 1
		.amdhsa_user_sgpr_dispatch_id 0
		.amdhsa_user_sgpr_flat_scratch_init 0
		.amdhsa_user_sgpr_kernarg_preload_length 0
		.amdhsa_user_sgpr_kernarg_preload_offset 0
		.amdhsa_user_sgpr_private_segment_size 0
		.amdhsa_uses_dynamic_stack 0
		.amdhsa_system_sgpr_private_segment_wavefront_offset 0
		.amdhsa_system_sgpr_workgroup_id_x 1
		.amdhsa_system_sgpr_workgroup_id_y 0
		.amdhsa_system_sgpr_workgroup_id_z 0
		.amdhsa_system_sgpr_workgroup_info 0
		.amdhsa_system_vgpr_workitem_id 0
		.amdhsa_next_free_vgpr 1
		.amdhsa_next_free_sgpr 0
		.amdhsa_accum_offset 4
		.amdhsa_reserve_vcc 0
		.amdhsa_reserve_flat_scratch 0
		.amdhsa_float_round_mode_32 0
		.amdhsa_float_round_mode_16_64 0
		.amdhsa_float_denorm_mode_32 3
		.amdhsa_float_denorm_mode_16_64 3
		.amdhsa_dx10_clamp 1
		.amdhsa_ieee_mode 1
		.amdhsa_fp16_overflow 0
		.amdhsa_tg_split 0
		.amdhsa_exception_fp_ieee_invalid_op 0
		.amdhsa_exception_fp_denorm_src 0
		.amdhsa_exception_fp_ieee_div_zero 0
		.amdhsa_exception_fp_ieee_overflow 0
		.amdhsa_exception_fp_ieee_underflow 0
		.amdhsa_exception_fp_ieee_inexact 0
		.amdhsa_exception_int_div_zero 0
	.end_amdhsa_kernel
	.section	.text._ZN7rocprim17ROCPRIM_400000_NS6detail17trampoline_kernelINS0_14default_configENS1_25partition_config_selectorILNS1_17partition_subalgoE9EllbEEZZNS1_14partition_implILS5_9ELb0ES3_jPlS8_PNS0_10empty_typeENS0_5tupleIJS8_S9_EEENSB_IJS8_SA_EEENS0_18inequality_wrapperIZN2at6native12_GLOBAL__N_124unique_dim_cuda_templateIjEESt5tupleIJNSF_6TensorESK_SK_EERKSK_lbbbEUlllE0_EEPmJS9_EEE10hipError_tPvRmT3_T4_T5_T6_T7_T9_mT8_P12ihipStream_tbDpT10_ENKUlT_T0_E_clISt17integral_constantIbLb0EES19_IbLb1EEEEDaS15_S16_EUlS15_E_NS1_11comp_targetILNS1_3genE9ELNS1_11target_archE1100ELNS1_3gpuE3ELNS1_3repE0EEENS1_30default_config_static_selectorELNS0_4arch9wavefront6targetE1EEEvT1_,"axG",@progbits,_ZN7rocprim17ROCPRIM_400000_NS6detail17trampoline_kernelINS0_14default_configENS1_25partition_config_selectorILNS1_17partition_subalgoE9EllbEEZZNS1_14partition_implILS5_9ELb0ES3_jPlS8_PNS0_10empty_typeENS0_5tupleIJS8_S9_EEENSB_IJS8_SA_EEENS0_18inequality_wrapperIZN2at6native12_GLOBAL__N_124unique_dim_cuda_templateIjEESt5tupleIJNSF_6TensorESK_SK_EERKSK_lbbbEUlllE0_EEPmJS9_EEE10hipError_tPvRmT3_T4_T5_T6_T7_T9_mT8_P12ihipStream_tbDpT10_ENKUlT_T0_E_clISt17integral_constantIbLb0EES19_IbLb1EEEEDaS15_S16_EUlS15_E_NS1_11comp_targetILNS1_3genE9ELNS1_11target_archE1100ELNS1_3gpuE3ELNS1_3repE0EEENS1_30default_config_static_selectorELNS0_4arch9wavefront6targetE1EEEvT1_,comdat
.Lfunc_end1601:
	.size	_ZN7rocprim17ROCPRIM_400000_NS6detail17trampoline_kernelINS0_14default_configENS1_25partition_config_selectorILNS1_17partition_subalgoE9EllbEEZZNS1_14partition_implILS5_9ELb0ES3_jPlS8_PNS0_10empty_typeENS0_5tupleIJS8_S9_EEENSB_IJS8_SA_EEENS0_18inequality_wrapperIZN2at6native12_GLOBAL__N_124unique_dim_cuda_templateIjEESt5tupleIJNSF_6TensorESK_SK_EERKSK_lbbbEUlllE0_EEPmJS9_EEE10hipError_tPvRmT3_T4_T5_T6_T7_T9_mT8_P12ihipStream_tbDpT10_ENKUlT_T0_E_clISt17integral_constantIbLb0EES19_IbLb1EEEEDaS15_S16_EUlS15_E_NS1_11comp_targetILNS1_3genE9ELNS1_11target_archE1100ELNS1_3gpuE3ELNS1_3repE0EEENS1_30default_config_static_selectorELNS0_4arch9wavefront6targetE1EEEvT1_, .Lfunc_end1601-_ZN7rocprim17ROCPRIM_400000_NS6detail17trampoline_kernelINS0_14default_configENS1_25partition_config_selectorILNS1_17partition_subalgoE9EllbEEZZNS1_14partition_implILS5_9ELb0ES3_jPlS8_PNS0_10empty_typeENS0_5tupleIJS8_S9_EEENSB_IJS8_SA_EEENS0_18inequality_wrapperIZN2at6native12_GLOBAL__N_124unique_dim_cuda_templateIjEESt5tupleIJNSF_6TensorESK_SK_EERKSK_lbbbEUlllE0_EEPmJS9_EEE10hipError_tPvRmT3_T4_T5_T6_T7_T9_mT8_P12ihipStream_tbDpT10_ENKUlT_T0_E_clISt17integral_constantIbLb0EES19_IbLb1EEEEDaS15_S16_EUlS15_E_NS1_11comp_targetILNS1_3genE9ELNS1_11target_archE1100ELNS1_3gpuE3ELNS1_3repE0EEENS1_30default_config_static_selectorELNS0_4arch9wavefront6targetE1EEEvT1_
                                        ; -- End function
	.section	.AMDGPU.csdata,"",@progbits
; Kernel info:
; codeLenInByte = 0
; NumSgprs: 4
; NumVgprs: 0
; NumAgprs: 0
; TotalNumVgprs: 0
; ScratchSize: 0
; MemoryBound: 0
; FloatMode: 240
; IeeeMode: 1
; LDSByteSize: 0 bytes/workgroup (compile time only)
; SGPRBlocks: 0
; VGPRBlocks: 0
; NumSGPRsForWavesPerEU: 4
; NumVGPRsForWavesPerEU: 1
; AccumOffset: 4
; Occupancy: 8
; WaveLimiterHint : 0
; COMPUTE_PGM_RSRC2:SCRATCH_EN: 0
; COMPUTE_PGM_RSRC2:USER_SGPR: 6
; COMPUTE_PGM_RSRC2:TRAP_HANDLER: 0
; COMPUTE_PGM_RSRC2:TGID_X_EN: 1
; COMPUTE_PGM_RSRC2:TGID_Y_EN: 0
; COMPUTE_PGM_RSRC2:TGID_Z_EN: 0
; COMPUTE_PGM_RSRC2:TIDIG_COMP_CNT: 0
; COMPUTE_PGM_RSRC3_GFX90A:ACCUM_OFFSET: 0
; COMPUTE_PGM_RSRC3_GFX90A:TG_SPLIT: 0
	.section	.text._ZN7rocprim17ROCPRIM_400000_NS6detail17trampoline_kernelINS0_14default_configENS1_25partition_config_selectorILNS1_17partition_subalgoE9EllbEEZZNS1_14partition_implILS5_9ELb0ES3_jPlS8_PNS0_10empty_typeENS0_5tupleIJS8_S9_EEENSB_IJS8_SA_EEENS0_18inequality_wrapperIZN2at6native12_GLOBAL__N_124unique_dim_cuda_templateIjEESt5tupleIJNSF_6TensorESK_SK_EERKSK_lbbbEUlllE0_EEPmJS9_EEE10hipError_tPvRmT3_T4_T5_T6_T7_T9_mT8_P12ihipStream_tbDpT10_ENKUlT_T0_E_clISt17integral_constantIbLb0EES19_IbLb1EEEEDaS15_S16_EUlS15_E_NS1_11comp_targetILNS1_3genE8ELNS1_11target_archE1030ELNS1_3gpuE2ELNS1_3repE0EEENS1_30default_config_static_selectorELNS0_4arch9wavefront6targetE1EEEvT1_,"axG",@progbits,_ZN7rocprim17ROCPRIM_400000_NS6detail17trampoline_kernelINS0_14default_configENS1_25partition_config_selectorILNS1_17partition_subalgoE9EllbEEZZNS1_14partition_implILS5_9ELb0ES3_jPlS8_PNS0_10empty_typeENS0_5tupleIJS8_S9_EEENSB_IJS8_SA_EEENS0_18inequality_wrapperIZN2at6native12_GLOBAL__N_124unique_dim_cuda_templateIjEESt5tupleIJNSF_6TensorESK_SK_EERKSK_lbbbEUlllE0_EEPmJS9_EEE10hipError_tPvRmT3_T4_T5_T6_T7_T9_mT8_P12ihipStream_tbDpT10_ENKUlT_T0_E_clISt17integral_constantIbLb0EES19_IbLb1EEEEDaS15_S16_EUlS15_E_NS1_11comp_targetILNS1_3genE8ELNS1_11target_archE1030ELNS1_3gpuE2ELNS1_3repE0EEENS1_30default_config_static_selectorELNS0_4arch9wavefront6targetE1EEEvT1_,comdat
	.globl	_ZN7rocprim17ROCPRIM_400000_NS6detail17trampoline_kernelINS0_14default_configENS1_25partition_config_selectorILNS1_17partition_subalgoE9EllbEEZZNS1_14partition_implILS5_9ELb0ES3_jPlS8_PNS0_10empty_typeENS0_5tupleIJS8_S9_EEENSB_IJS8_SA_EEENS0_18inequality_wrapperIZN2at6native12_GLOBAL__N_124unique_dim_cuda_templateIjEESt5tupleIJNSF_6TensorESK_SK_EERKSK_lbbbEUlllE0_EEPmJS9_EEE10hipError_tPvRmT3_T4_T5_T6_T7_T9_mT8_P12ihipStream_tbDpT10_ENKUlT_T0_E_clISt17integral_constantIbLb0EES19_IbLb1EEEEDaS15_S16_EUlS15_E_NS1_11comp_targetILNS1_3genE8ELNS1_11target_archE1030ELNS1_3gpuE2ELNS1_3repE0EEENS1_30default_config_static_selectorELNS0_4arch9wavefront6targetE1EEEvT1_ ; -- Begin function _ZN7rocprim17ROCPRIM_400000_NS6detail17trampoline_kernelINS0_14default_configENS1_25partition_config_selectorILNS1_17partition_subalgoE9EllbEEZZNS1_14partition_implILS5_9ELb0ES3_jPlS8_PNS0_10empty_typeENS0_5tupleIJS8_S9_EEENSB_IJS8_SA_EEENS0_18inequality_wrapperIZN2at6native12_GLOBAL__N_124unique_dim_cuda_templateIjEESt5tupleIJNSF_6TensorESK_SK_EERKSK_lbbbEUlllE0_EEPmJS9_EEE10hipError_tPvRmT3_T4_T5_T6_T7_T9_mT8_P12ihipStream_tbDpT10_ENKUlT_T0_E_clISt17integral_constantIbLb0EES19_IbLb1EEEEDaS15_S16_EUlS15_E_NS1_11comp_targetILNS1_3genE8ELNS1_11target_archE1030ELNS1_3gpuE2ELNS1_3repE0EEENS1_30default_config_static_selectorELNS0_4arch9wavefront6targetE1EEEvT1_
	.p2align	8
	.type	_ZN7rocprim17ROCPRIM_400000_NS6detail17trampoline_kernelINS0_14default_configENS1_25partition_config_selectorILNS1_17partition_subalgoE9EllbEEZZNS1_14partition_implILS5_9ELb0ES3_jPlS8_PNS0_10empty_typeENS0_5tupleIJS8_S9_EEENSB_IJS8_SA_EEENS0_18inequality_wrapperIZN2at6native12_GLOBAL__N_124unique_dim_cuda_templateIjEESt5tupleIJNSF_6TensorESK_SK_EERKSK_lbbbEUlllE0_EEPmJS9_EEE10hipError_tPvRmT3_T4_T5_T6_T7_T9_mT8_P12ihipStream_tbDpT10_ENKUlT_T0_E_clISt17integral_constantIbLb0EES19_IbLb1EEEEDaS15_S16_EUlS15_E_NS1_11comp_targetILNS1_3genE8ELNS1_11target_archE1030ELNS1_3gpuE2ELNS1_3repE0EEENS1_30default_config_static_selectorELNS0_4arch9wavefront6targetE1EEEvT1_,@function
_ZN7rocprim17ROCPRIM_400000_NS6detail17trampoline_kernelINS0_14default_configENS1_25partition_config_selectorILNS1_17partition_subalgoE9EllbEEZZNS1_14partition_implILS5_9ELb0ES3_jPlS8_PNS0_10empty_typeENS0_5tupleIJS8_S9_EEENSB_IJS8_SA_EEENS0_18inequality_wrapperIZN2at6native12_GLOBAL__N_124unique_dim_cuda_templateIjEESt5tupleIJNSF_6TensorESK_SK_EERKSK_lbbbEUlllE0_EEPmJS9_EEE10hipError_tPvRmT3_T4_T5_T6_T7_T9_mT8_P12ihipStream_tbDpT10_ENKUlT_T0_E_clISt17integral_constantIbLb0EES19_IbLb1EEEEDaS15_S16_EUlS15_E_NS1_11comp_targetILNS1_3genE8ELNS1_11target_archE1030ELNS1_3gpuE2ELNS1_3repE0EEENS1_30default_config_static_selectorELNS0_4arch9wavefront6targetE1EEEvT1_: ; @_ZN7rocprim17ROCPRIM_400000_NS6detail17trampoline_kernelINS0_14default_configENS1_25partition_config_selectorILNS1_17partition_subalgoE9EllbEEZZNS1_14partition_implILS5_9ELb0ES3_jPlS8_PNS0_10empty_typeENS0_5tupleIJS8_S9_EEENSB_IJS8_SA_EEENS0_18inequality_wrapperIZN2at6native12_GLOBAL__N_124unique_dim_cuda_templateIjEESt5tupleIJNSF_6TensorESK_SK_EERKSK_lbbbEUlllE0_EEPmJS9_EEE10hipError_tPvRmT3_T4_T5_T6_T7_T9_mT8_P12ihipStream_tbDpT10_ENKUlT_T0_E_clISt17integral_constantIbLb0EES19_IbLb1EEEEDaS15_S16_EUlS15_E_NS1_11comp_targetILNS1_3genE8ELNS1_11target_archE1030ELNS1_3gpuE2ELNS1_3repE0EEENS1_30default_config_static_selectorELNS0_4arch9wavefront6targetE1EEEvT1_
; %bb.0:
	.section	.rodata,"a",@progbits
	.p2align	6, 0x0
	.amdhsa_kernel _ZN7rocprim17ROCPRIM_400000_NS6detail17trampoline_kernelINS0_14default_configENS1_25partition_config_selectorILNS1_17partition_subalgoE9EllbEEZZNS1_14partition_implILS5_9ELb0ES3_jPlS8_PNS0_10empty_typeENS0_5tupleIJS8_S9_EEENSB_IJS8_SA_EEENS0_18inequality_wrapperIZN2at6native12_GLOBAL__N_124unique_dim_cuda_templateIjEESt5tupleIJNSF_6TensorESK_SK_EERKSK_lbbbEUlllE0_EEPmJS9_EEE10hipError_tPvRmT3_T4_T5_T6_T7_T9_mT8_P12ihipStream_tbDpT10_ENKUlT_T0_E_clISt17integral_constantIbLb0EES19_IbLb1EEEEDaS15_S16_EUlS15_E_NS1_11comp_targetILNS1_3genE8ELNS1_11target_archE1030ELNS1_3gpuE2ELNS1_3repE0EEENS1_30default_config_static_selectorELNS0_4arch9wavefront6targetE1EEEvT1_
		.amdhsa_group_segment_fixed_size 0
		.amdhsa_private_segment_fixed_size 0
		.amdhsa_kernarg_size 136
		.amdhsa_user_sgpr_count 6
		.amdhsa_user_sgpr_private_segment_buffer 1
		.amdhsa_user_sgpr_dispatch_ptr 0
		.amdhsa_user_sgpr_queue_ptr 0
		.amdhsa_user_sgpr_kernarg_segment_ptr 1
		.amdhsa_user_sgpr_dispatch_id 0
		.amdhsa_user_sgpr_flat_scratch_init 0
		.amdhsa_user_sgpr_kernarg_preload_length 0
		.amdhsa_user_sgpr_kernarg_preload_offset 0
		.amdhsa_user_sgpr_private_segment_size 0
		.amdhsa_uses_dynamic_stack 0
		.amdhsa_system_sgpr_private_segment_wavefront_offset 0
		.amdhsa_system_sgpr_workgroup_id_x 1
		.amdhsa_system_sgpr_workgroup_id_y 0
		.amdhsa_system_sgpr_workgroup_id_z 0
		.amdhsa_system_sgpr_workgroup_info 0
		.amdhsa_system_vgpr_workitem_id 0
		.amdhsa_next_free_vgpr 1
		.amdhsa_next_free_sgpr 0
		.amdhsa_accum_offset 4
		.amdhsa_reserve_vcc 0
		.amdhsa_reserve_flat_scratch 0
		.amdhsa_float_round_mode_32 0
		.amdhsa_float_round_mode_16_64 0
		.amdhsa_float_denorm_mode_32 3
		.amdhsa_float_denorm_mode_16_64 3
		.amdhsa_dx10_clamp 1
		.amdhsa_ieee_mode 1
		.amdhsa_fp16_overflow 0
		.amdhsa_tg_split 0
		.amdhsa_exception_fp_ieee_invalid_op 0
		.amdhsa_exception_fp_denorm_src 0
		.amdhsa_exception_fp_ieee_div_zero 0
		.amdhsa_exception_fp_ieee_overflow 0
		.amdhsa_exception_fp_ieee_underflow 0
		.amdhsa_exception_fp_ieee_inexact 0
		.amdhsa_exception_int_div_zero 0
	.end_amdhsa_kernel
	.section	.text._ZN7rocprim17ROCPRIM_400000_NS6detail17trampoline_kernelINS0_14default_configENS1_25partition_config_selectorILNS1_17partition_subalgoE9EllbEEZZNS1_14partition_implILS5_9ELb0ES3_jPlS8_PNS0_10empty_typeENS0_5tupleIJS8_S9_EEENSB_IJS8_SA_EEENS0_18inequality_wrapperIZN2at6native12_GLOBAL__N_124unique_dim_cuda_templateIjEESt5tupleIJNSF_6TensorESK_SK_EERKSK_lbbbEUlllE0_EEPmJS9_EEE10hipError_tPvRmT3_T4_T5_T6_T7_T9_mT8_P12ihipStream_tbDpT10_ENKUlT_T0_E_clISt17integral_constantIbLb0EES19_IbLb1EEEEDaS15_S16_EUlS15_E_NS1_11comp_targetILNS1_3genE8ELNS1_11target_archE1030ELNS1_3gpuE2ELNS1_3repE0EEENS1_30default_config_static_selectorELNS0_4arch9wavefront6targetE1EEEvT1_,"axG",@progbits,_ZN7rocprim17ROCPRIM_400000_NS6detail17trampoline_kernelINS0_14default_configENS1_25partition_config_selectorILNS1_17partition_subalgoE9EllbEEZZNS1_14partition_implILS5_9ELb0ES3_jPlS8_PNS0_10empty_typeENS0_5tupleIJS8_S9_EEENSB_IJS8_SA_EEENS0_18inequality_wrapperIZN2at6native12_GLOBAL__N_124unique_dim_cuda_templateIjEESt5tupleIJNSF_6TensorESK_SK_EERKSK_lbbbEUlllE0_EEPmJS9_EEE10hipError_tPvRmT3_T4_T5_T6_T7_T9_mT8_P12ihipStream_tbDpT10_ENKUlT_T0_E_clISt17integral_constantIbLb0EES19_IbLb1EEEEDaS15_S16_EUlS15_E_NS1_11comp_targetILNS1_3genE8ELNS1_11target_archE1030ELNS1_3gpuE2ELNS1_3repE0EEENS1_30default_config_static_selectorELNS0_4arch9wavefront6targetE1EEEvT1_,comdat
.Lfunc_end1602:
	.size	_ZN7rocprim17ROCPRIM_400000_NS6detail17trampoline_kernelINS0_14default_configENS1_25partition_config_selectorILNS1_17partition_subalgoE9EllbEEZZNS1_14partition_implILS5_9ELb0ES3_jPlS8_PNS0_10empty_typeENS0_5tupleIJS8_S9_EEENSB_IJS8_SA_EEENS0_18inequality_wrapperIZN2at6native12_GLOBAL__N_124unique_dim_cuda_templateIjEESt5tupleIJNSF_6TensorESK_SK_EERKSK_lbbbEUlllE0_EEPmJS9_EEE10hipError_tPvRmT3_T4_T5_T6_T7_T9_mT8_P12ihipStream_tbDpT10_ENKUlT_T0_E_clISt17integral_constantIbLb0EES19_IbLb1EEEEDaS15_S16_EUlS15_E_NS1_11comp_targetILNS1_3genE8ELNS1_11target_archE1030ELNS1_3gpuE2ELNS1_3repE0EEENS1_30default_config_static_selectorELNS0_4arch9wavefront6targetE1EEEvT1_, .Lfunc_end1602-_ZN7rocprim17ROCPRIM_400000_NS6detail17trampoline_kernelINS0_14default_configENS1_25partition_config_selectorILNS1_17partition_subalgoE9EllbEEZZNS1_14partition_implILS5_9ELb0ES3_jPlS8_PNS0_10empty_typeENS0_5tupleIJS8_S9_EEENSB_IJS8_SA_EEENS0_18inequality_wrapperIZN2at6native12_GLOBAL__N_124unique_dim_cuda_templateIjEESt5tupleIJNSF_6TensorESK_SK_EERKSK_lbbbEUlllE0_EEPmJS9_EEE10hipError_tPvRmT3_T4_T5_T6_T7_T9_mT8_P12ihipStream_tbDpT10_ENKUlT_T0_E_clISt17integral_constantIbLb0EES19_IbLb1EEEEDaS15_S16_EUlS15_E_NS1_11comp_targetILNS1_3genE8ELNS1_11target_archE1030ELNS1_3gpuE2ELNS1_3repE0EEENS1_30default_config_static_selectorELNS0_4arch9wavefront6targetE1EEEvT1_
                                        ; -- End function
	.section	.AMDGPU.csdata,"",@progbits
; Kernel info:
; codeLenInByte = 0
; NumSgprs: 4
; NumVgprs: 0
; NumAgprs: 0
; TotalNumVgprs: 0
; ScratchSize: 0
; MemoryBound: 0
; FloatMode: 240
; IeeeMode: 1
; LDSByteSize: 0 bytes/workgroup (compile time only)
; SGPRBlocks: 0
; VGPRBlocks: 0
; NumSGPRsForWavesPerEU: 4
; NumVGPRsForWavesPerEU: 1
; AccumOffset: 4
; Occupancy: 8
; WaveLimiterHint : 0
; COMPUTE_PGM_RSRC2:SCRATCH_EN: 0
; COMPUTE_PGM_RSRC2:USER_SGPR: 6
; COMPUTE_PGM_RSRC2:TRAP_HANDLER: 0
; COMPUTE_PGM_RSRC2:TGID_X_EN: 1
; COMPUTE_PGM_RSRC2:TGID_Y_EN: 0
; COMPUTE_PGM_RSRC2:TGID_Z_EN: 0
; COMPUTE_PGM_RSRC2:TIDIG_COMP_CNT: 0
; COMPUTE_PGM_RSRC3_GFX90A:ACCUM_OFFSET: 0
; COMPUTE_PGM_RSRC3_GFX90A:TG_SPLIT: 0
	.section	.text._ZN7rocprim17ROCPRIM_400000_NS6detail17trampoline_kernelINS0_14default_configENS1_37merge_sort_block_sort_config_selectorIlNS0_10empty_typeEEEZNS1_21merge_sort_block_sortIS3_PlS8_PS5_S9_ZN2at6native12_GLOBAL__N_124unique_dim_cuda_templateImEESt5tupleIJNSA_6TensorESF_SF_EERKSF_lbbbEUlllE_EE10hipError_tT0_T1_T2_T3_mRjT4_P12ihipStream_tbNS1_7vsmem_tEEUlT_E_NS1_11comp_targetILNS1_3genE0ELNS1_11target_archE4294967295ELNS1_3gpuE0ELNS1_3repE0EEENS1_30default_config_static_selectorELNS0_4arch9wavefront6targetE1EEEvSM_,"axG",@progbits,_ZN7rocprim17ROCPRIM_400000_NS6detail17trampoline_kernelINS0_14default_configENS1_37merge_sort_block_sort_config_selectorIlNS0_10empty_typeEEEZNS1_21merge_sort_block_sortIS3_PlS8_PS5_S9_ZN2at6native12_GLOBAL__N_124unique_dim_cuda_templateImEESt5tupleIJNSA_6TensorESF_SF_EERKSF_lbbbEUlllE_EE10hipError_tT0_T1_T2_T3_mRjT4_P12ihipStream_tbNS1_7vsmem_tEEUlT_E_NS1_11comp_targetILNS1_3genE0ELNS1_11target_archE4294967295ELNS1_3gpuE0ELNS1_3repE0EEENS1_30default_config_static_selectorELNS0_4arch9wavefront6targetE1EEEvSM_,comdat
	.globl	_ZN7rocprim17ROCPRIM_400000_NS6detail17trampoline_kernelINS0_14default_configENS1_37merge_sort_block_sort_config_selectorIlNS0_10empty_typeEEEZNS1_21merge_sort_block_sortIS3_PlS8_PS5_S9_ZN2at6native12_GLOBAL__N_124unique_dim_cuda_templateImEESt5tupleIJNSA_6TensorESF_SF_EERKSF_lbbbEUlllE_EE10hipError_tT0_T1_T2_T3_mRjT4_P12ihipStream_tbNS1_7vsmem_tEEUlT_E_NS1_11comp_targetILNS1_3genE0ELNS1_11target_archE4294967295ELNS1_3gpuE0ELNS1_3repE0EEENS1_30default_config_static_selectorELNS0_4arch9wavefront6targetE1EEEvSM_ ; -- Begin function _ZN7rocprim17ROCPRIM_400000_NS6detail17trampoline_kernelINS0_14default_configENS1_37merge_sort_block_sort_config_selectorIlNS0_10empty_typeEEEZNS1_21merge_sort_block_sortIS3_PlS8_PS5_S9_ZN2at6native12_GLOBAL__N_124unique_dim_cuda_templateImEESt5tupleIJNSA_6TensorESF_SF_EERKSF_lbbbEUlllE_EE10hipError_tT0_T1_T2_T3_mRjT4_P12ihipStream_tbNS1_7vsmem_tEEUlT_E_NS1_11comp_targetILNS1_3genE0ELNS1_11target_archE4294967295ELNS1_3gpuE0ELNS1_3repE0EEENS1_30default_config_static_selectorELNS0_4arch9wavefront6targetE1EEEvSM_
	.p2align	8
	.type	_ZN7rocprim17ROCPRIM_400000_NS6detail17trampoline_kernelINS0_14default_configENS1_37merge_sort_block_sort_config_selectorIlNS0_10empty_typeEEEZNS1_21merge_sort_block_sortIS3_PlS8_PS5_S9_ZN2at6native12_GLOBAL__N_124unique_dim_cuda_templateImEESt5tupleIJNSA_6TensorESF_SF_EERKSF_lbbbEUlllE_EE10hipError_tT0_T1_T2_T3_mRjT4_P12ihipStream_tbNS1_7vsmem_tEEUlT_E_NS1_11comp_targetILNS1_3genE0ELNS1_11target_archE4294967295ELNS1_3gpuE0ELNS1_3repE0EEENS1_30default_config_static_selectorELNS0_4arch9wavefront6targetE1EEEvSM_,@function
_ZN7rocprim17ROCPRIM_400000_NS6detail17trampoline_kernelINS0_14default_configENS1_37merge_sort_block_sort_config_selectorIlNS0_10empty_typeEEEZNS1_21merge_sort_block_sortIS3_PlS8_PS5_S9_ZN2at6native12_GLOBAL__N_124unique_dim_cuda_templateImEESt5tupleIJNSA_6TensorESF_SF_EERKSF_lbbbEUlllE_EE10hipError_tT0_T1_T2_T3_mRjT4_P12ihipStream_tbNS1_7vsmem_tEEUlT_E_NS1_11comp_targetILNS1_3genE0ELNS1_11target_archE4294967295ELNS1_3gpuE0ELNS1_3repE0EEENS1_30default_config_static_selectorELNS0_4arch9wavefront6targetE1EEEvSM_: ; @_ZN7rocprim17ROCPRIM_400000_NS6detail17trampoline_kernelINS0_14default_configENS1_37merge_sort_block_sort_config_selectorIlNS0_10empty_typeEEEZNS1_21merge_sort_block_sortIS3_PlS8_PS5_S9_ZN2at6native12_GLOBAL__N_124unique_dim_cuda_templateImEESt5tupleIJNSA_6TensorESF_SF_EERKSF_lbbbEUlllE_EE10hipError_tT0_T1_T2_T3_mRjT4_P12ihipStream_tbNS1_7vsmem_tEEUlT_E_NS1_11comp_targetILNS1_3genE0ELNS1_11target_archE4294967295ELNS1_3gpuE0ELNS1_3repE0EEENS1_30default_config_static_selectorELNS0_4arch9wavefront6targetE1EEEvSM_
; %bb.0:
	.section	.rodata,"a",@progbits
	.p2align	6, 0x0
	.amdhsa_kernel _ZN7rocprim17ROCPRIM_400000_NS6detail17trampoline_kernelINS0_14default_configENS1_37merge_sort_block_sort_config_selectorIlNS0_10empty_typeEEEZNS1_21merge_sort_block_sortIS3_PlS8_PS5_S9_ZN2at6native12_GLOBAL__N_124unique_dim_cuda_templateImEESt5tupleIJNSA_6TensorESF_SF_EERKSF_lbbbEUlllE_EE10hipError_tT0_T1_T2_T3_mRjT4_P12ihipStream_tbNS1_7vsmem_tEEUlT_E_NS1_11comp_targetILNS1_3genE0ELNS1_11target_archE4294967295ELNS1_3gpuE0ELNS1_3repE0EEENS1_30default_config_static_selectorELNS0_4arch9wavefront6targetE1EEEvSM_
		.amdhsa_group_segment_fixed_size 0
		.amdhsa_private_segment_fixed_size 0
		.amdhsa_kernarg_size 72
		.amdhsa_user_sgpr_count 6
		.amdhsa_user_sgpr_private_segment_buffer 1
		.amdhsa_user_sgpr_dispatch_ptr 0
		.amdhsa_user_sgpr_queue_ptr 0
		.amdhsa_user_sgpr_kernarg_segment_ptr 1
		.amdhsa_user_sgpr_dispatch_id 0
		.amdhsa_user_sgpr_flat_scratch_init 0
		.amdhsa_user_sgpr_kernarg_preload_length 0
		.amdhsa_user_sgpr_kernarg_preload_offset 0
		.amdhsa_user_sgpr_private_segment_size 0
		.amdhsa_uses_dynamic_stack 0
		.amdhsa_system_sgpr_private_segment_wavefront_offset 0
		.amdhsa_system_sgpr_workgroup_id_x 1
		.amdhsa_system_sgpr_workgroup_id_y 0
		.amdhsa_system_sgpr_workgroup_id_z 0
		.amdhsa_system_sgpr_workgroup_info 0
		.amdhsa_system_vgpr_workitem_id 0
		.amdhsa_next_free_vgpr 1
		.amdhsa_next_free_sgpr 0
		.amdhsa_accum_offset 4
		.amdhsa_reserve_vcc 0
		.amdhsa_reserve_flat_scratch 0
		.amdhsa_float_round_mode_32 0
		.amdhsa_float_round_mode_16_64 0
		.amdhsa_float_denorm_mode_32 3
		.amdhsa_float_denorm_mode_16_64 3
		.amdhsa_dx10_clamp 1
		.amdhsa_ieee_mode 1
		.amdhsa_fp16_overflow 0
		.amdhsa_tg_split 0
		.amdhsa_exception_fp_ieee_invalid_op 0
		.amdhsa_exception_fp_denorm_src 0
		.amdhsa_exception_fp_ieee_div_zero 0
		.amdhsa_exception_fp_ieee_overflow 0
		.amdhsa_exception_fp_ieee_underflow 0
		.amdhsa_exception_fp_ieee_inexact 0
		.amdhsa_exception_int_div_zero 0
	.end_amdhsa_kernel
	.section	.text._ZN7rocprim17ROCPRIM_400000_NS6detail17trampoline_kernelINS0_14default_configENS1_37merge_sort_block_sort_config_selectorIlNS0_10empty_typeEEEZNS1_21merge_sort_block_sortIS3_PlS8_PS5_S9_ZN2at6native12_GLOBAL__N_124unique_dim_cuda_templateImEESt5tupleIJNSA_6TensorESF_SF_EERKSF_lbbbEUlllE_EE10hipError_tT0_T1_T2_T3_mRjT4_P12ihipStream_tbNS1_7vsmem_tEEUlT_E_NS1_11comp_targetILNS1_3genE0ELNS1_11target_archE4294967295ELNS1_3gpuE0ELNS1_3repE0EEENS1_30default_config_static_selectorELNS0_4arch9wavefront6targetE1EEEvSM_,"axG",@progbits,_ZN7rocprim17ROCPRIM_400000_NS6detail17trampoline_kernelINS0_14default_configENS1_37merge_sort_block_sort_config_selectorIlNS0_10empty_typeEEEZNS1_21merge_sort_block_sortIS3_PlS8_PS5_S9_ZN2at6native12_GLOBAL__N_124unique_dim_cuda_templateImEESt5tupleIJNSA_6TensorESF_SF_EERKSF_lbbbEUlllE_EE10hipError_tT0_T1_T2_T3_mRjT4_P12ihipStream_tbNS1_7vsmem_tEEUlT_E_NS1_11comp_targetILNS1_3genE0ELNS1_11target_archE4294967295ELNS1_3gpuE0ELNS1_3repE0EEENS1_30default_config_static_selectorELNS0_4arch9wavefront6targetE1EEEvSM_,comdat
.Lfunc_end1603:
	.size	_ZN7rocprim17ROCPRIM_400000_NS6detail17trampoline_kernelINS0_14default_configENS1_37merge_sort_block_sort_config_selectorIlNS0_10empty_typeEEEZNS1_21merge_sort_block_sortIS3_PlS8_PS5_S9_ZN2at6native12_GLOBAL__N_124unique_dim_cuda_templateImEESt5tupleIJNSA_6TensorESF_SF_EERKSF_lbbbEUlllE_EE10hipError_tT0_T1_T2_T3_mRjT4_P12ihipStream_tbNS1_7vsmem_tEEUlT_E_NS1_11comp_targetILNS1_3genE0ELNS1_11target_archE4294967295ELNS1_3gpuE0ELNS1_3repE0EEENS1_30default_config_static_selectorELNS0_4arch9wavefront6targetE1EEEvSM_, .Lfunc_end1603-_ZN7rocprim17ROCPRIM_400000_NS6detail17trampoline_kernelINS0_14default_configENS1_37merge_sort_block_sort_config_selectorIlNS0_10empty_typeEEEZNS1_21merge_sort_block_sortIS3_PlS8_PS5_S9_ZN2at6native12_GLOBAL__N_124unique_dim_cuda_templateImEESt5tupleIJNSA_6TensorESF_SF_EERKSF_lbbbEUlllE_EE10hipError_tT0_T1_T2_T3_mRjT4_P12ihipStream_tbNS1_7vsmem_tEEUlT_E_NS1_11comp_targetILNS1_3genE0ELNS1_11target_archE4294967295ELNS1_3gpuE0ELNS1_3repE0EEENS1_30default_config_static_selectorELNS0_4arch9wavefront6targetE1EEEvSM_
                                        ; -- End function
	.section	.AMDGPU.csdata,"",@progbits
; Kernel info:
; codeLenInByte = 0
; NumSgprs: 4
; NumVgprs: 0
; NumAgprs: 0
; TotalNumVgprs: 0
; ScratchSize: 0
; MemoryBound: 0
; FloatMode: 240
; IeeeMode: 1
; LDSByteSize: 0 bytes/workgroup (compile time only)
; SGPRBlocks: 0
; VGPRBlocks: 0
; NumSGPRsForWavesPerEU: 4
; NumVGPRsForWavesPerEU: 1
; AccumOffset: 4
; Occupancy: 8
; WaveLimiterHint : 0
; COMPUTE_PGM_RSRC2:SCRATCH_EN: 0
; COMPUTE_PGM_RSRC2:USER_SGPR: 6
; COMPUTE_PGM_RSRC2:TRAP_HANDLER: 0
; COMPUTE_PGM_RSRC2:TGID_X_EN: 1
; COMPUTE_PGM_RSRC2:TGID_Y_EN: 0
; COMPUTE_PGM_RSRC2:TGID_Z_EN: 0
; COMPUTE_PGM_RSRC2:TIDIG_COMP_CNT: 0
; COMPUTE_PGM_RSRC3_GFX90A:ACCUM_OFFSET: 0
; COMPUTE_PGM_RSRC3_GFX90A:TG_SPLIT: 0
	.section	.text._ZN7rocprim17ROCPRIM_400000_NS6detail17trampoline_kernelINS0_14default_configENS1_37merge_sort_block_sort_config_selectorIlNS0_10empty_typeEEEZNS1_21merge_sort_block_sortIS3_PlS8_PS5_S9_ZN2at6native12_GLOBAL__N_124unique_dim_cuda_templateImEESt5tupleIJNSA_6TensorESF_SF_EERKSF_lbbbEUlllE_EE10hipError_tT0_T1_T2_T3_mRjT4_P12ihipStream_tbNS1_7vsmem_tEEUlT_E_NS1_11comp_targetILNS1_3genE5ELNS1_11target_archE942ELNS1_3gpuE9ELNS1_3repE0EEENS1_30default_config_static_selectorELNS0_4arch9wavefront6targetE1EEEvSM_,"axG",@progbits,_ZN7rocprim17ROCPRIM_400000_NS6detail17trampoline_kernelINS0_14default_configENS1_37merge_sort_block_sort_config_selectorIlNS0_10empty_typeEEEZNS1_21merge_sort_block_sortIS3_PlS8_PS5_S9_ZN2at6native12_GLOBAL__N_124unique_dim_cuda_templateImEESt5tupleIJNSA_6TensorESF_SF_EERKSF_lbbbEUlllE_EE10hipError_tT0_T1_T2_T3_mRjT4_P12ihipStream_tbNS1_7vsmem_tEEUlT_E_NS1_11comp_targetILNS1_3genE5ELNS1_11target_archE942ELNS1_3gpuE9ELNS1_3repE0EEENS1_30default_config_static_selectorELNS0_4arch9wavefront6targetE1EEEvSM_,comdat
	.globl	_ZN7rocprim17ROCPRIM_400000_NS6detail17trampoline_kernelINS0_14default_configENS1_37merge_sort_block_sort_config_selectorIlNS0_10empty_typeEEEZNS1_21merge_sort_block_sortIS3_PlS8_PS5_S9_ZN2at6native12_GLOBAL__N_124unique_dim_cuda_templateImEESt5tupleIJNSA_6TensorESF_SF_EERKSF_lbbbEUlllE_EE10hipError_tT0_T1_T2_T3_mRjT4_P12ihipStream_tbNS1_7vsmem_tEEUlT_E_NS1_11comp_targetILNS1_3genE5ELNS1_11target_archE942ELNS1_3gpuE9ELNS1_3repE0EEENS1_30default_config_static_selectorELNS0_4arch9wavefront6targetE1EEEvSM_ ; -- Begin function _ZN7rocprim17ROCPRIM_400000_NS6detail17trampoline_kernelINS0_14default_configENS1_37merge_sort_block_sort_config_selectorIlNS0_10empty_typeEEEZNS1_21merge_sort_block_sortIS3_PlS8_PS5_S9_ZN2at6native12_GLOBAL__N_124unique_dim_cuda_templateImEESt5tupleIJNSA_6TensorESF_SF_EERKSF_lbbbEUlllE_EE10hipError_tT0_T1_T2_T3_mRjT4_P12ihipStream_tbNS1_7vsmem_tEEUlT_E_NS1_11comp_targetILNS1_3genE5ELNS1_11target_archE942ELNS1_3gpuE9ELNS1_3repE0EEENS1_30default_config_static_selectorELNS0_4arch9wavefront6targetE1EEEvSM_
	.p2align	8
	.type	_ZN7rocprim17ROCPRIM_400000_NS6detail17trampoline_kernelINS0_14default_configENS1_37merge_sort_block_sort_config_selectorIlNS0_10empty_typeEEEZNS1_21merge_sort_block_sortIS3_PlS8_PS5_S9_ZN2at6native12_GLOBAL__N_124unique_dim_cuda_templateImEESt5tupleIJNSA_6TensorESF_SF_EERKSF_lbbbEUlllE_EE10hipError_tT0_T1_T2_T3_mRjT4_P12ihipStream_tbNS1_7vsmem_tEEUlT_E_NS1_11comp_targetILNS1_3genE5ELNS1_11target_archE942ELNS1_3gpuE9ELNS1_3repE0EEENS1_30default_config_static_selectorELNS0_4arch9wavefront6targetE1EEEvSM_,@function
_ZN7rocprim17ROCPRIM_400000_NS6detail17trampoline_kernelINS0_14default_configENS1_37merge_sort_block_sort_config_selectorIlNS0_10empty_typeEEEZNS1_21merge_sort_block_sortIS3_PlS8_PS5_S9_ZN2at6native12_GLOBAL__N_124unique_dim_cuda_templateImEESt5tupleIJNSA_6TensorESF_SF_EERKSF_lbbbEUlllE_EE10hipError_tT0_T1_T2_T3_mRjT4_P12ihipStream_tbNS1_7vsmem_tEEUlT_E_NS1_11comp_targetILNS1_3genE5ELNS1_11target_archE942ELNS1_3gpuE9ELNS1_3repE0EEENS1_30default_config_static_selectorELNS0_4arch9wavefront6targetE1EEEvSM_: ; @_ZN7rocprim17ROCPRIM_400000_NS6detail17trampoline_kernelINS0_14default_configENS1_37merge_sort_block_sort_config_selectorIlNS0_10empty_typeEEEZNS1_21merge_sort_block_sortIS3_PlS8_PS5_S9_ZN2at6native12_GLOBAL__N_124unique_dim_cuda_templateImEESt5tupleIJNSA_6TensorESF_SF_EERKSF_lbbbEUlllE_EE10hipError_tT0_T1_T2_T3_mRjT4_P12ihipStream_tbNS1_7vsmem_tEEUlT_E_NS1_11comp_targetILNS1_3genE5ELNS1_11target_archE942ELNS1_3gpuE9ELNS1_3repE0EEENS1_30default_config_static_selectorELNS0_4arch9wavefront6targetE1EEEvSM_
; %bb.0:
	.section	.rodata,"a",@progbits
	.p2align	6, 0x0
	.amdhsa_kernel _ZN7rocprim17ROCPRIM_400000_NS6detail17trampoline_kernelINS0_14default_configENS1_37merge_sort_block_sort_config_selectorIlNS0_10empty_typeEEEZNS1_21merge_sort_block_sortIS3_PlS8_PS5_S9_ZN2at6native12_GLOBAL__N_124unique_dim_cuda_templateImEESt5tupleIJNSA_6TensorESF_SF_EERKSF_lbbbEUlllE_EE10hipError_tT0_T1_T2_T3_mRjT4_P12ihipStream_tbNS1_7vsmem_tEEUlT_E_NS1_11comp_targetILNS1_3genE5ELNS1_11target_archE942ELNS1_3gpuE9ELNS1_3repE0EEENS1_30default_config_static_selectorELNS0_4arch9wavefront6targetE1EEEvSM_
		.amdhsa_group_segment_fixed_size 0
		.amdhsa_private_segment_fixed_size 0
		.amdhsa_kernarg_size 72
		.amdhsa_user_sgpr_count 6
		.amdhsa_user_sgpr_private_segment_buffer 1
		.amdhsa_user_sgpr_dispatch_ptr 0
		.amdhsa_user_sgpr_queue_ptr 0
		.amdhsa_user_sgpr_kernarg_segment_ptr 1
		.amdhsa_user_sgpr_dispatch_id 0
		.amdhsa_user_sgpr_flat_scratch_init 0
		.amdhsa_user_sgpr_kernarg_preload_length 0
		.amdhsa_user_sgpr_kernarg_preload_offset 0
		.amdhsa_user_sgpr_private_segment_size 0
		.amdhsa_uses_dynamic_stack 0
		.amdhsa_system_sgpr_private_segment_wavefront_offset 0
		.amdhsa_system_sgpr_workgroup_id_x 1
		.amdhsa_system_sgpr_workgroup_id_y 0
		.amdhsa_system_sgpr_workgroup_id_z 0
		.amdhsa_system_sgpr_workgroup_info 0
		.amdhsa_system_vgpr_workitem_id 0
		.amdhsa_next_free_vgpr 1
		.amdhsa_next_free_sgpr 0
		.amdhsa_accum_offset 4
		.amdhsa_reserve_vcc 0
		.amdhsa_reserve_flat_scratch 0
		.amdhsa_float_round_mode_32 0
		.amdhsa_float_round_mode_16_64 0
		.amdhsa_float_denorm_mode_32 3
		.amdhsa_float_denorm_mode_16_64 3
		.amdhsa_dx10_clamp 1
		.amdhsa_ieee_mode 1
		.amdhsa_fp16_overflow 0
		.amdhsa_tg_split 0
		.amdhsa_exception_fp_ieee_invalid_op 0
		.amdhsa_exception_fp_denorm_src 0
		.amdhsa_exception_fp_ieee_div_zero 0
		.amdhsa_exception_fp_ieee_overflow 0
		.amdhsa_exception_fp_ieee_underflow 0
		.amdhsa_exception_fp_ieee_inexact 0
		.amdhsa_exception_int_div_zero 0
	.end_amdhsa_kernel
	.section	.text._ZN7rocprim17ROCPRIM_400000_NS6detail17trampoline_kernelINS0_14default_configENS1_37merge_sort_block_sort_config_selectorIlNS0_10empty_typeEEEZNS1_21merge_sort_block_sortIS3_PlS8_PS5_S9_ZN2at6native12_GLOBAL__N_124unique_dim_cuda_templateImEESt5tupleIJNSA_6TensorESF_SF_EERKSF_lbbbEUlllE_EE10hipError_tT0_T1_T2_T3_mRjT4_P12ihipStream_tbNS1_7vsmem_tEEUlT_E_NS1_11comp_targetILNS1_3genE5ELNS1_11target_archE942ELNS1_3gpuE9ELNS1_3repE0EEENS1_30default_config_static_selectorELNS0_4arch9wavefront6targetE1EEEvSM_,"axG",@progbits,_ZN7rocprim17ROCPRIM_400000_NS6detail17trampoline_kernelINS0_14default_configENS1_37merge_sort_block_sort_config_selectorIlNS0_10empty_typeEEEZNS1_21merge_sort_block_sortIS3_PlS8_PS5_S9_ZN2at6native12_GLOBAL__N_124unique_dim_cuda_templateImEESt5tupleIJNSA_6TensorESF_SF_EERKSF_lbbbEUlllE_EE10hipError_tT0_T1_T2_T3_mRjT4_P12ihipStream_tbNS1_7vsmem_tEEUlT_E_NS1_11comp_targetILNS1_3genE5ELNS1_11target_archE942ELNS1_3gpuE9ELNS1_3repE0EEENS1_30default_config_static_selectorELNS0_4arch9wavefront6targetE1EEEvSM_,comdat
.Lfunc_end1604:
	.size	_ZN7rocprim17ROCPRIM_400000_NS6detail17trampoline_kernelINS0_14default_configENS1_37merge_sort_block_sort_config_selectorIlNS0_10empty_typeEEEZNS1_21merge_sort_block_sortIS3_PlS8_PS5_S9_ZN2at6native12_GLOBAL__N_124unique_dim_cuda_templateImEESt5tupleIJNSA_6TensorESF_SF_EERKSF_lbbbEUlllE_EE10hipError_tT0_T1_T2_T3_mRjT4_P12ihipStream_tbNS1_7vsmem_tEEUlT_E_NS1_11comp_targetILNS1_3genE5ELNS1_11target_archE942ELNS1_3gpuE9ELNS1_3repE0EEENS1_30default_config_static_selectorELNS0_4arch9wavefront6targetE1EEEvSM_, .Lfunc_end1604-_ZN7rocprim17ROCPRIM_400000_NS6detail17trampoline_kernelINS0_14default_configENS1_37merge_sort_block_sort_config_selectorIlNS0_10empty_typeEEEZNS1_21merge_sort_block_sortIS3_PlS8_PS5_S9_ZN2at6native12_GLOBAL__N_124unique_dim_cuda_templateImEESt5tupleIJNSA_6TensorESF_SF_EERKSF_lbbbEUlllE_EE10hipError_tT0_T1_T2_T3_mRjT4_P12ihipStream_tbNS1_7vsmem_tEEUlT_E_NS1_11comp_targetILNS1_3genE5ELNS1_11target_archE942ELNS1_3gpuE9ELNS1_3repE0EEENS1_30default_config_static_selectorELNS0_4arch9wavefront6targetE1EEEvSM_
                                        ; -- End function
	.section	.AMDGPU.csdata,"",@progbits
; Kernel info:
; codeLenInByte = 0
; NumSgprs: 4
; NumVgprs: 0
; NumAgprs: 0
; TotalNumVgprs: 0
; ScratchSize: 0
; MemoryBound: 0
; FloatMode: 240
; IeeeMode: 1
; LDSByteSize: 0 bytes/workgroup (compile time only)
; SGPRBlocks: 0
; VGPRBlocks: 0
; NumSGPRsForWavesPerEU: 4
; NumVGPRsForWavesPerEU: 1
; AccumOffset: 4
; Occupancy: 8
; WaveLimiterHint : 0
; COMPUTE_PGM_RSRC2:SCRATCH_EN: 0
; COMPUTE_PGM_RSRC2:USER_SGPR: 6
; COMPUTE_PGM_RSRC2:TRAP_HANDLER: 0
; COMPUTE_PGM_RSRC2:TGID_X_EN: 1
; COMPUTE_PGM_RSRC2:TGID_Y_EN: 0
; COMPUTE_PGM_RSRC2:TGID_Z_EN: 0
; COMPUTE_PGM_RSRC2:TIDIG_COMP_CNT: 0
; COMPUTE_PGM_RSRC3_GFX90A:ACCUM_OFFSET: 0
; COMPUTE_PGM_RSRC3_GFX90A:TG_SPLIT: 0
	.section	.text._ZN7rocprim17ROCPRIM_400000_NS6detail17trampoline_kernelINS0_14default_configENS1_37merge_sort_block_sort_config_selectorIlNS0_10empty_typeEEEZNS1_21merge_sort_block_sortIS3_PlS8_PS5_S9_ZN2at6native12_GLOBAL__N_124unique_dim_cuda_templateImEESt5tupleIJNSA_6TensorESF_SF_EERKSF_lbbbEUlllE_EE10hipError_tT0_T1_T2_T3_mRjT4_P12ihipStream_tbNS1_7vsmem_tEEUlT_E_NS1_11comp_targetILNS1_3genE4ELNS1_11target_archE910ELNS1_3gpuE8ELNS1_3repE0EEENS1_30default_config_static_selectorELNS0_4arch9wavefront6targetE1EEEvSM_,"axG",@progbits,_ZN7rocprim17ROCPRIM_400000_NS6detail17trampoline_kernelINS0_14default_configENS1_37merge_sort_block_sort_config_selectorIlNS0_10empty_typeEEEZNS1_21merge_sort_block_sortIS3_PlS8_PS5_S9_ZN2at6native12_GLOBAL__N_124unique_dim_cuda_templateImEESt5tupleIJNSA_6TensorESF_SF_EERKSF_lbbbEUlllE_EE10hipError_tT0_T1_T2_T3_mRjT4_P12ihipStream_tbNS1_7vsmem_tEEUlT_E_NS1_11comp_targetILNS1_3genE4ELNS1_11target_archE910ELNS1_3gpuE8ELNS1_3repE0EEENS1_30default_config_static_selectorELNS0_4arch9wavefront6targetE1EEEvSM_,comdat
	.globl	_ZN7rocprim17ROCPRIM_400000_NS6detail17trampoline_kernelINS0_14default_configENS1_37merge_sort_block_sort_config_selectorIlNS0_10empty_typeEEEZNS1_21merge_sort_block_sortIS3_PlS8_PS5_S9_ZN2at6native12_GLOBAL__N_124unique_dim_cuda_templateImEESt5tupleIJNSA_6TensorESF_SF_EERKSF_lbbbEUlllE_EE10hipError_tT0_T1_T2_T3_mRjT4_P12ihipStream_tbNS1_7vsmem_tEEUlT_E_NS1_11comp_targetILNS1_3genE4ELNS1_11target_archE910ELNS1_3gpuE8ELNS1_3repE0EEENS1_30default_config_static_selectorELNS0_4arch9wavefront6targetE1EEEvSM_ ; -- Begin function _ZN7rocprim17ROCPRIM_400000_NS6detail17trampoline_kernelINS0_14default_configENS1_37merge_sort_block_sort_config_selectorIlNS0_10empty_typeEEEZNS1_21merge_sort_block_sortIS3_PlS8_PS5_S9_ZN2at6native12_GLOBAL__N_124unique_dim_cuda_templateImEESt5tupleIJNSA_6TensorESF_SF_EERKSF_lbbbEUlllE_EE10hipError_tT0_T1_T2_T3_mRjT4_P12ihipStream_tbNS1_7vsmem_tEEUlT_E_NS1_11comp_targetILNS1_3genE4ELNS1_11target_archE910ELNS1_3gpuE8ELNS1_3repE0EEENS1_30default_config_static_selectorELNS0_4arch9wavefront6targetE1EEEvSM_
	.p2align	8
	.type	_ZN7rocprim17ROCPRIM_400000_NS6detail17trampoline_kernelINS0_14default_configENS1_37merge_sort_block_sort_config_selectorIlNS0_10empty_typeEEEZNS1_21merge_sort_block_sortIS3_PlS8_PS5_S9_ZN2at6native12_GLOBAL__N_124unique_dim_cuda_templateImEESt5tupleIJNSA_6TensorESF_SF_EERKSF_lbbbEUlllE_EE10hipError_tT0_T1_T2_T3_mRjT4_P12ihipStream_tbNS1_7vsmem_tEEUlT_E_NS1_11comp_targetILNS1_3genE4ELNS1_11target_archE910ELNS1_3gpuE8ELNS1_3repE0EEENS1_30default_config_static_selectorELNS0_4arch9wavefront6targetE1EEEvSM_,@function
_ZN7rocprim17ROCPRIM_400000_NS6detail17trampoline_kernelINS0_14default_configENS1_37merge_sort_block_sort_config_selectorIlNS0_10empty_typeEEEZNS1_21merge_sort_block_sortIS3_PlS8_PS5_S9_ZN2at6native12_GLOBAL__N_124unique_dim_cuda_templateImEESt5tupleIJNSA_6TensorESF_SF_EERKSF_lbbbEUlllE_EE10hipError_tT0_T1_T2_T3_mRjT4_P12ihipStream_tbNS1_7vsmem_tEEUlT_E_NS1_11comp_targetILNS1_3genE4ELNS1_11target_archE910ELNS1_3gpuE8ELNS1_3repE0EEENS1_30default_config_static_selectorELNS0_4arch9wavefront6targetE1EEEvSM_: ; @_ZN7rocprim17ROCPRIM_400000_NS6detail17trampoline_kernelINS0_14default_configENS1_37merge_sort_block_sort_config_selectorIlNS0_10empty_typeEEEZNS1_21merge_sort_block_sortIS3_PlS8_PS5_S9_ZN2at6native12_GLOBAL__N_124unique_dim_cuda_templateImEESt5tupleIJNSA_6TensorESF_SF_EERKSF_lbbbEUlllE_EE10hipError_tT0_T1_T2_T3_mRjT4_P12ihipStream_tbNS1_7vsmem_tEEUlT_E_NS1_11comp_targetILNS1_3genE4ELNS1_11target_archE910ELNS1_3gpuE8ELNS1_3repE0EEENS1_30default_config_static_selectorELNS0_4arch9wavefront6targetE1EEEvSM_
; %bb.0:
	s_load_dwordx2 s[12:13], s[4:5], 0x48
	s_load_dword s0, s[4:5], 0x0
	s_add_u32 s10, s4, 0x48
	s_addc_u32 s11, s5, 0
	s_waitcnt lgkmcnt(0)
	s_mul_i32 s1, s13, s8
	s_add_i32 s1, s1, s7
	s_mul_i32 s1, s1, s12
	s_add_i32 s14, s1, s6
	s_cmp_ge_u32 s14, s0
	s_cbranch_scc1 .LBB1605_876
; %bb.1:
	s_load_dwordx2 s[22:23], s[4:5], 0x8
	s_load_dwordx4 s[0:3], s[4:5], 0x18
	s_load_dwordx4 s[16:19], s[4:5], 0x38
	s_mov_b32 s15, 0
	s_lshl_b64 s[4:5], s[14:15], 13
	s_waitcnt lgkmcnt(0)
	s_lshr_b64 s[24:25], s[22:23], 10
	s_add_u32 s8, s0, s4
	s_addc_u32 s9, s1, s5
	s_add_u32 s20, s2, s4
	s_addc_u32 s21, s3, s5
	v_and_b32_e32 v12, 0x3ff, v0
	s_cmp_lg_u64 s[24:25], s[14:15]
	v_bfe_u32 v28, v0, 10, 10
	v_bfe_u32 v29, v0, 20, 10
	v_lshlrev_b32_e32 v26, 3, v12
	v_lshrrev_b32_e32 v31, 2, v12
	v_lshlrev_b32_e32 v27, 2, v12
	v_lshrrev_b32_e32 v30, 3, v12
	v_cmp_gt_i64_e64 s[24:25], s[16:17], 0
	s_cbranch_scc0 .LBB1605_8
; %bb.2:
	v_mov_b32_e32 v0, s9
	v_add_co_u32_e32 v4, vcc, s8, v26
	v_addc_co_u32_e32 v5, vcc, 0, v0, vcc
	v_add_co_u32_e32 v4, vcc, 0x1000, v4
	v_addc_co_u32_e32 v5, vcc, 0, v5, vcc
	global_load_dwordx2 v[0:1], v26, s[8:9]
	global_load_dwordx2 v[2:3], v26, s[8:9] offset:2048
	global_load_dwordx2 v[6:7], v[4:5], off
	global_load_dwordx2 v[8:9], v[4:5], off offset:2048
	v_and_b32_e32 v4, 0xf8, v31
	v_add_u32_e32 v5, 0x100, v12
	v_add_u32_e32 v10, 0x200, v12
	;; [unrolled: 1-line block ×4, first 2 shown]
	v_lshrrev_b32_e32 v4, 2, v5
	v_lshrrev_b32_e32 v5, 2, v10
	;; [unrolled: 1-line block ×3, first 2 shown]
	v_add_lshl_u32 v33, v30, v27, 3
	v_and_b32_e32 v4, 0x1f8, v4
	v_and_b32_e32 v5, 0x1f8, v5
	;; [unrolled: 1-line block ×3, first 2 shown]
	v_add_u32_e32 v34, v4, v26
	v_add_u32_e32 v35, v5, v26
	;; [unrolled: 1-line block ×3, first 2 shown]
	v_mov_b32_e32 v13, 0
	s_waitcnt vmcnt(3)
	ds_write_b64 v32, v[0:1]
	s_waitcnt vmcnt(2)
	ds_write_b64 v34, v[2:3] offset:2048
	s_waitcnt vmcnt(1)
	ds_write_b64 v35, v[6:7] offset:4096
	;; [unrolled: 2-line block ×3, first 2 shown]
	s_waitcnt lgkmcnt(0)
	s_barrier
	ds_read2_b64 v[8:11], v33 offset1:1
	ds_read2_b64 v[4:7], v33 offset0:2 offset1:3
	s_waitcnt lgkmcnt(0)
	s_barrier
	s_load_dword s0, s[10:11], 0xc
	v_mov_b32_e32 v0, v8
	v_mov_b32_e32 v1, v9
	;; [unrolled: 1-line block ×4, first 2 shown]
	s_waitcnt lgkmcnt(0)
	s_lshr_b32 s2, s0, 16
	s_cmp_lt_u32 s6, s12
	s_cselect_b32 s0, 12, 18
	s_add_u32 s0, s10, s0
	s_addc_u32 s1, s11, 0
	global_load_ushort v14, v13, s[0:1]
	v_mad_u32_u24 v15, v29, s2, v28
	s_movk_i32 s0, 0x400
	s_waitcnt vmcnt(0)
	v_mul_lo_u32 v14, v15, v14
	v_add_lshl_u32 v37, v14, v12, 2
	v_cmp_gt_u32_e32 vcc, s0, v37
	s_and_saveexec_b64 s[26:27], vcc
	s_cbranch_execz .LBB1605_62
; %bb.3:
	v_cndmask_b32_e64 v14, 0, 1, s[24:25]
	v_cmp_ne_u32_e64 s[0:1], 1, v14
	s_andn2_b64 vcc, exec, s[24:25]
	s_cbranch_vccnz .LBB1605_14
; %bb.4:
	v_mul_lo_u32 v16, v11, s16
	v_mul_lo_u32 v17, v10, s17
	v_mad_u64_u32 v[14:15], s[2:3], v10, s16, 0
	v_add3_u32 v15, v15, v17, v16
	v_lshlrev_b64 v[14:15], 3, v[14:15]
	v_mov_b32_e32 v16, s19
	v_add_co_u32_e32 v14, vcc, s18, v14
	v_addc_co_u32_e32 v15, vcc, v16, v15, vcc
	v_mul_lo_u32 v18, v9, s16
	v_mul_lo_u32 v19, v8, s17
	v_mad_u64_u32 v[16:17], s[2:3], v8, s16, 0
	v_add3_u32 v17, v17, v19, v18
	v_lshlrev_b64 v[16:17], 3, v[16:17]
	v_mov_b32_e32 v18, s19
	v_add_co_u32_e32 v16, vcc, s18, v16
	v_addc_co_u32_e32 v17, vcc, v18, v17, vcc
	s_mov_b64 s[34:35], 0
	s_mov_b64 s[42:43], s[16:17]
                                        ; implicit-def: $sgpr28_sgpr29
                                        ; implicit-def: $sgpr30_sgpr31
                                        ; implicit-def: $sgpr38_sgpr39
                                        ; implicit-def: $sgpr36_sgpr37
                                        ; implicit-def: $sgpr40_sgpr41
                                        ; implicit-def: $sgpr44_sgpr45
	s_branch .LBB1605_6
.LBB1605_5:                             ;   in Loop: Header=BB1605_6 Depth=1
	s_or_b64 exec, exec, s[46:47]
	s_and_b64 s[4:5], exec, s[38:39]
	s_or_b64 s[34:35], s[4:5], s[34:35]
	s_andn2_b64 s[4:5], s[44:45], exec
	s_and_b64 s[44:45], s[40:41], exec
	s_or_b64 s[44:45], s[4:5], s[44:45]
	s_andn2_b64 s[4:5], s[30:31], exec
	s_and_b64 s[30:31], s[36:37], exec
	s_or_b64 s[30:31], s[4:5], s[30:31]
	s_andn2_b64 s[4:5], s[28:29], exec
	s_and_b64 s[2:3], s[2:3], exec
	s_or_b64 s[28:29], s[4:5], s[2:3]
	s_andn2_b64 exec, exec, s[34:35]
	s_cbranch_execz .LBB1605_9
.LBB1605_6:                             ; =>This Inner Loop Header: Depth=1
	global_load_dwordx2 v[18:19], v[14:15], off
	global_load_dwordx2 v[20:21], v[16:17], off
	s_andn2_b64 s[40:41], s[40:41], exec
	s_or_b64 s[36:37], s[36:37], exec
	s_or_b64 s[38:39], s[38:39], exec
	s_waitcnt vmcnt(0)
	v_cmp_le_u64_e64 s[2:3], v[18:19], v[20:21]
	v_cmp_lt_u64_e32 vcc, v[18:19], v[20:21]
	s_and_b64 s[2:3], s[2:3], s[44:45]
	v_cmp_eq_u64_e64 s[4:5], v[18:19], v[20:21]
	s_or_b64 s[2:3], vcc, s[2:3]
	s_and_saveexec_b64 s[46:47], s[4:5]
	s_cbranch_execz .LBB1605_5
; %bb.7:                                ;   in Loop: Header=BB1605_6 Depth=1
	s_add_u32 s42, s42, -1
	s_addc_u32 s43, s43, -1
	v_add_co_u32_e32 v14, vcc, 8, v14
	s_cmp_eq_u64 s[42:43], 0
	v_addc_co_u32_e32 v15, vcc, 0, v15, vcc
	s_cselect_b64 s[4:5], -1, 0
	v_add_co_u32_e32 v16, vcc, 8, v16
	s_andn2_b64 s[40:41], s[40:41], exec
	s_and_b64 s[44:45], s[2:3], exec
	s_andn2_b64 s[38:39], s[38:39], exec
	s_and_b64 s[4:5], s[4:5], exec
	v_addc_co_u32_e32 v17, vcc, 0, v17, vcc
	s_or_b64 s[40:41], s[40:41], s[44:45]
	s_andn2_b64 s[36:37], s[36:37], exec
	s_or_b64 s[38:39], s[38:39], s[4:5]
                                        ; implicit-def: $sgpr44_sgpr45
	s_branch .LBB1605_5
.LBB1605_8:
	s_mov_b64 s[24:25], 0
                                        ; implicit-def: $vgpr0_vgpr1
	s_cbranch_execnz .LBB1605_519
	s_branch .LBB1605_874
.LBB1605_9:
	s_or_b64 exec, exec, s[34:35]
	s_and_saveexec_b64 s[2:3], s[30:31]
	s_xor_b64 s[2:3], exec, s[2:3]
	s_cbranch_execz .LBB1605_13
; %bb.10:
	v_pk_mov_b32 v[14:15], v[10:11], v[10:11] op_sel:[0,1]
	s_and_saveexec_b64 s[4:5], s[28:29]
; %bb.11:
	v_mov_b32_e32 v0, v10
	v_mov_b32_e32 v1, v11
	;; [unrolled: 1-line block ×4, first 2 shown]
	v_pk_mov_b32 v[14:15], v[8:9], v[8:9] op_sel:[0,1]
	v_pk_mov_b32 v[8:9], v[10:11], v[10:11] op_sel:[0,1]
; %bb.12:
	s_or_b64 exec, exec, s[4:5]
	v_pk_mov_b32 v[10:11], v[14:15], v[14:15] op_sel:[0,1]
.LBB1605_13:
	s_or_b64 exec, exec, s[2:3]
.LBB1605_14:
	v_mul_lo_u32 v20, v5, s16
	v_mul_lo_u32 v21, v4, s17
	v_mad_u64_u32 v[18:19], s[2:3], v4, s16, 0
	v_mov_b32_e32 v16, v6
	v_mov_b32_e32 v17, v7
	;; [unrolled: 1-line block ×4, first 2 shown]
	s_and_b64 vcc, exec, s[0:1]
	v_add3_u32 v19, v19, v21, v20
	s_cbranch_vccnz .LBB1605_24
; %bb.15:
	v_mul_lo_u32 v22, v7, s16
	v_mul_lo_u32 v23, v6, s17
	v_mad_u64_u32 v[20:21], s[2:3], v6, s16, 0
	v_add3_u32 v21, v21, v23, v22
	v_lshlrev_b64 v[22:23], 3, v[20:21]
	v_mov_b32_e32 v24, s19
	v_add_co_u32_e32 v22, vcc, s18, v22
	v_addc_co_u32_e32 v23, vcc, v24, v23, vcc
	v_lshlrev_b64 v[24:25], 3, v[18:19]
	v_mov_b32_e32 v38, s19
	v_add_co_u32_e32 v24, vcc, s18, v24
	v_addc_co_u32_e32 v25, vcc, v38, v25, vcc
	s_mov_b64 s[34:35], 0
	s_mov_b64 s[42:43], s[16:17]
                                        ; implicit-def: $sgpr28_sgpr29
                                        ; implicit-def: $sgpr30_sgpr31
                                        ; implicit-def: $sgpr38_sgpr39
                                        ; implicit-def: $sgpr36_sgpr37
                                        ; implicit-def: $sgpr40_sgpr41
                                        ; implicit-def: $sgpr44_sgpr45
	s_branch .LBB1605_17
.LBB1605_16:                            ;   in Loop: Header=BB1605_17 Depth=1
	s_or_b64 exec, exec, s[46:47]
	s_and_b64 s[4:5], exec, s[38:39]
	s_or_b64 s[34:35], s[4:5], s[34:35]
	s_andn2_b64 s[4:5], s[44:45], exec
	s_and_b64 s[44:45], s[40:41], exec
	s_or_b64 s[44:45], s[4:5], s[44:45]
	s_andn2_b64 s[4:5], s[30:31], exec
	s_and_b64 s[30:31], s[36:37], exec
	;; [unrolled: 3-line block ×3, first 2 shown]
	s_or_b64 s[28:29], s[4:5], s[2:3]
	s_andn2_b64 exec, exec, s[34:35]
	s_cbranch_execz .LBB1605_19
.LBB1605_17:                            ; =>This Inner Loop Header: Depth=1
	global_load_dwordx2 v[38:39], v[22:23], off
	global_load_dwordx2 v[40:41], v[24:25], off
	s_andn2_b64 s[40:41], s[40:41], exec
	s_or_b64 s[36:37], s[36:37], exec
	s_or_b64 s[38:39], s[38:39], exec
	s_waitcnt vmcnt(0)
	v_cmp_le_u64_e64 s[2:3], v[38:39], v[40:41]
	v_cmp_lt_u64_e32 vcc, v[38:39], v[40:41]
	s_and_b64 s[2:3], s[2:3], s[44:45]
	v_cmp_eq_u64_e64 s[4:5], v[38:39], v[40:41]
	s_or_b64 s[2:3], vcc, s[2:3]
	s_and_saveexec_b64 s[46:47], s[4:5]
	s_cbranch_execz .LBB1605_16
; %bb.18:                               ;   in Loop: Header=BB1605_17 Depth=1
	s_add_u32 s42, s42, -1
	s_addc_u32 s43, s43, -1
	v_add_co_u32_e32 v22, vcc, 8, v22
	s_cmp_eq_u64 s[42:43], 0
	v_addc_co_u32_e32 v23, vcc, 0, v23, vcc
	s_cselect_b64 s[4:5], -1, 0
	v_add_co_u32_e32 v24, vcc, 8, v24
	s_andn2_b64 s[40:41], s[40:41], exec
	s_and_b64 s[44:45], s[2:3], exec
	s_andn2_b64 s[38:39], s[38:39], exec
	s_and_b64 s[4:5], s[4:5], exec
	v_addc_co_u32_e32 v25, vcc, 0, v25, vcc
	s_or_b64 s[40:41], s[40:41], s[44:45]
	s_andn2_b64 s[36:37], s[36:37], exec
	s_or_b64 s[38:39], s[38:39], s[4:5]
                                        ; implicit-def: $sgpr44_sgpr45
	s_branch .LBB1605_16
.LBB1605_19:
	s_or_b64 exec, exec, s[34:35]
	s_and_saveexec_b64 s[2:3], s[30:31]
	s_xor_b64 s[2:3], exec, s[2:3]
	s_cbranch_execz .LBB1605_23
; %bb.20:
	s_and_saveexec_b64 s[4:5], s[28:29]
	s_cbranch_execz .LBB1605_22
; %bb.21:
	v_mov_b32_e32 v38, v0
	v_mov_b32_e32 v39, v1
	;; [unrolled: 1-line block ×8, first 2 shown]
	v_pk_mov_b32 v[22:23], v[16:17], v[16:17] op_sel:[0,1]
	v_pk_mov_b32 v[0:1], v[38:39], v[38:39] op_sel:[0,1]
	;; [unrolled: 1-line block ×8, first 2 shown]
.LBB1605_22:
	s_or_b64 exec, exec, s[4:5]
.LBB1605_23:
	s_or_b64 exec, exec, s[2:3]
.LBB1605_24:
	v_mul_lo_u32 v22, v11, s16
	v_mul_lo_u32 v23, v10, s17
	v_mad_u64_u32 v[20:21], s[2:3], v10, s16, 0
	s_and_b64 vcc, exec, s[0:1]
	v_add3_u32 v21, v21, v23, v22
	s_cbranch_vccnz .LBB1605_34
; %bb.25:
	v_lshlrev_b64 v[22:23], 3, v[18:19]
	v_mov_b32_e32 v24, s19
	v_add_co_u32_e32 v22, vcc, s18, v22
	v_addc_co_u32_e32 v23, vcc, v24, v23, vcc
	v_lshlrev_b64 v[24:25], 3, v[20:21]
	v_mov_b32_e32 v38, s19
	v_add_co_u32_e32 v24, vcc, s18, v24
	v_addc_co_u32_e32 v25, vcc, v38, v25, vcc
	s_mov_b64 s[34:35], 0
	s_mov_b64 s[42:43], s[16:17]
                                        ; implicit-def: $sgpr28_sgpr29
                                        ; implicit-def: $sgpr30_sgpr31
                                        ; implicit-def: $sgpr38_sgpr39
                                        ; implicit-def: $sgpr36_sgpr37
                                        ; implicit-def: $sgpr40_sgpr41
                                        ; implicit-def: $sgpr44_sgpr45
	s_branch .LBB1605_27
.LBB1605_26:                            ;   in Loop: Header=BB1605_27 Depth=1
	s_or_b64 exec, exec, s[46:47]
	s_and_b64 s[4:5], exec, s[38:39]
	s_or_b64 s[34:35], s[4:5], s[34:35]
	s_andn2_b64 s[4:5], s[44:45], exec
	s_and_b64 s[44:45], s[40:41], exec
	s_or_b64 s[44:45], s[4:5], s[44:45]
	s_andn2_b64 s[4:5], s[30:31], exec
	s_and_b64 s[30:31], s[36:37], exec
	;; [unrolled: 3-line block ×3, first 2 shown]
	s_or_b64 s[28:29], s[4:5], s[2:3]
	s_andn2_b64 exec, exec, s[34:35]
	s_cbranch_execz .LBB1605_29
.LBB1605_27:                            ; =>This Inner Loop Header: Depth=1
	global_load_dwordx2 v[38:39], v[22:23], off
	global_load_dwordx2 v[40:41], v[24:25], off
	s_andn2_b64 s[40:41], s[40:41], exec
	s_or_b64 s[36:37], s[36:37], exec
	s_or_b64 s[38:39], s[38:39], exec
	s_waitcnt vmcnt(0)
	v_cmp_le_u64_e64 s[2:3], v[38:39], v[40:41]
	v_cmp_lt_u64_e32 vcc, v[38:39], v[40:41]
	s_and_b64 s[2:3], s[2:3], s[44:45]
	v_cmp_eq_u64_e64 s[4:5], v[38:39], v[40:41]
	s_or_b64 s[2:3], vcc, s[2:3]
	s_and_saveexec_b64 s[46:47], s[4:5]
	s_cbranch_execz .LBB1605_26
; %bb.28:                               ;   in Loop: Header=BB1605_27 Depth=1
	s_add_u32 s42, s42, -1
	s_addc_u32 s43, s43, -1
	v_add_co_u32_e32 v22, vcc, 8, v22
	s_cmp_eq_u64 s[42:43], 0
	v_addc_co_u32_e32 v23, vcc, 0, v23, vcc
	s_cselect_b64 s[4:5], -1, 0
	v_add_co_u32_e32 v24, vcc, 8, v24
	s_andn2_b64 s[40:41], s[40:41], exec
	s_and_b64 s[44:45], s[2:3], exec
	s_andn2_b64 s[38:39], s[38:39], exec
	s_and_b64 s[4:5], s[4:5], exec
	v_addc_co_u32_e32 v25, vcc, 0, v25, vcc
	s_or_b64 s[40:41], s[40:41], s[44:45]
	s_andn2_b64 s[36:37], s[36:37], exec
	s_or_b64 s[38:39], s[38:39], s[4:5]
                                        ; implicit-def: $sgpr44_sgpr45
	s_branch .LBB1605_26
.LBB1605_29:
	s_or_b64 exec, exec, s[34:35]
	s_and_saveexec_b64 s[2:3], s[30:31]
	s_xor_b64 s[2:3], exec, s[2:3]
	s_cbranch_execz .LBB1605_33
; %bb.30:
	v_pk_mov_b32 v[22:23], v[10:11], v[10:11] op_sel:[0,1]
	s_and_saveexec_b64 s[4:5], s[28:29]
; %bb.31:
	v_mov_b32_e32 v2, v14
	v_mov_b32_e32 v3, v15
	;; [unrolled: 1-line block ×4, first 2 shown]
	v_pk_mov_b32 v[22:23], v[14:15], v[14:15] op_sel:[0,1]
	v_pk_mov_b32 v[14:15], v[10:11], v[10:11] op_sel:[0,1]
	;; [unrolled: 1-line block ×3, first 2 shown]
; %bb.32:
	s_or_b64 exec, exec, s[4:5]
	v_pk_mov_b32 v[10:11], v[22:23], v[22:23] op_sel:[0,1]
.LBB1605_33:
	s_or_b64 exec, exec, s[2:3]
.LBB1605_34:
	s_and_b64 vcc, exec, s[0:1]
	s_cbranch_vccnz .LBB1605_44
; %bb.35:
	v_lshlrev_b64 v[18:19], 3, v[20:21]
	v_mov_b32_e32 v20, s19
	v_add_co_u32_e32 v18, vcc, s18, v18
	v_addc_co_u32_e32 v19, vcc, v20, v19, vcc
	v_mul_lo_u32 v22, v9, s16
	v_mul_lo_u32 v23, v8, s17
	v_mad_u64_u32 v[20:21], s[2:3], v8, s16, 0
	v_add3_u32 v21, v21, v23, v22
	v_lshlrev_b64 v[20:21], 3, v[20:21]
	v_mov_b32_e32 v22, s19
	v_add_co_u32_e32 v20, vcc, s18, v20
	v_addc_co_u32_e32 v21, vcc, v22, v21, vcc
	s_mov_b64 s[34:35], 0
	s_mov_b64 s[42:43], s[16:17]
                                        ; implicit-def: $sgpr28_sgpr29
                                        ; implicit-def: $sgpr30_sgpr31
                                        ; implicit-def: $sgpr38_sgpr39
                                        ; implicit-def: $sgpr36_sgpr37
                                        ; implicit-def: $sgpr40_sgpr41
                                        ; implicit-def: $sgpr44_sgpr45
	s_branch .LBB1605_37
.LBB1605_36:                            ;   in Loop: Header=BB1605_37 Depth=1
	s_or_b64 exec, exec, s[46:47]
	s_and_b64 s[4:5], exec, s[38:39]
	s_or_b64 s[34:35], s[4:5], s[34:35]
	s_andn2_b64 s[4:5], s[44:45], exec
	s_and_b64 s[44:45], s[40:41], exec
	s_or_b64 s[44:45], s[4:5], s[44:45]
	s_andn2_b64 s[4:5], s[30:31], exec
	s_and_b64 s[30:31], s[36:37], exec
	;; [unrolled: 3-line block ×3, first 2 shown]
	s_or_b64 s[28:29], s[4:5], s[2:3]
	s_andn2_b64 exec, exec, s[34:35]
	s_cbranch_execz .LBB1605_39
.LBB1605_37:                            ; =>This Inner Loop Header: Depth=1
	global_load_dwordx2 v[22:23], v[18:19], off
	global_load_dwordx2 v[24:25], v[20:21], off
	s_andn2_b64 s[40:41], s[40:41], exec
	s_or_b64 s[36:37], s[36:37], exec
	s_or_b64 s[38:39], s[38:39], exec
	s_waitcnt vmcnt(0)
	v_cmp_le_u64_e64 s[2:3], v[22:23], v[24:25]
	v_cmp_lt_u64_e32 vcc, v[22:23], v[24:25]
	s_and_b64 s[2:3], s[2:3], s[44:45]
	v_cmp_eq_u64_e64 s[4:5], v[22:23], v[24:25]
	s_or_b64 s[2:3], vcc, s[2:3]
	s_and_saveexec_b64 s[46:47], s[4:5]
	s_cbranch_execz .LBB1605_36
; %bb.38:                               ;   in Loop: Header=BB1605_37 Depth=1
	s_add_u32 s42, s42, -1
	s_addc_u32 s43, s43, -1
	v_add_co_u32_e32 v18, vcc, 8, v18
	s_cmp_eq_u64 s[42:43], 0
	v_addc_co_u32_e32 v19, vcc, 0, v19, vcc
	s_cselect_b64 s[4:5], -1, 0
	v_add_co_u32_e32 v20, vcc, 8, v20
	s_andn2_b64 s[40:41], s[40:41], exec
	s_and_b64 s[44:45], s[2:3], exec
	s_andn2_b64 s[38:39], s[38:39], exec
	s_and_b64 s[4:5], s[4:5], exec
	v_addc_co_u32_e32 v21, vcc, 0, v21, vcc
	s_or_b64 s[40:41], s[40:41], s[44:45]
	s_andn2_b64 s[36:37], s[36:37], exec
	s_or_b64 s[38:39], s[38:39], s[4:5]
                                        ; implicit-def: $sgpr44_sgpr45
	s_branch .LBB1605_36
.LBB1605_39:
	s_or_b64 exec, exec, s[34:35]
	s_and_saveexec_b64 s[2:3], s[30:31]
	s_xor_b64 s[2:3], exec, s[2:3]
	s_cbranch_execz .LBB1605_43
; %bb.40:
	v_pk_mov_b32 v[18:19], v[10:11], v[10:11] op_sel:[0,1]
	s_and_saveexec_b64 s[4:5], s[28:29]
; %bb.41:
	v_mov_b32_e32 v0, v10
	v_mov_b32_e32 v1, v11
	;; [unrolled: 1-line block ×4, first 2 shown]
	v_pk_mov_b32 v[18:19], v[8:9], v[8:9] op_sel:[0,1]
	v_pk_mov_b32 v[8:9], v[10:11], v[10:11] op_sel:[0,1]
; %bb.42:
	s_or_b64 exec, exec, s[4:5]
	v_pk_mov_b32 v[10:11], v[18:19], v[18:19] op_sel:[0,1]
.LBB1605_43:
	s_or_b64 exec, exec, s[2:3]
.LBB1605_44:
	v_mul_lo_u32 v20, v15, s16
	v_mul_lo_u32 v21, v14, s17
	v_mad_u64_u32 v[18:19], s[2:3], v14, s16, 0
	s_and_b64 vcc, exec, s[0:1]
	v_add3_u32 v19, v19, v21, v20
	s_cbranch_vccnz .LBB1605_54
; %bb.45:
	v_mul_lo_u32 v22, v17, s16
	v_mul_lo_u32 v23, v16, s17
	v_mad_u64_u32 v[20:21], s[2:3], v16, s16, 0
	v_add3_u32 v21, v21, v23, v22
	v_lshlrev_b64 v[22:23], 3, v[20:21]
	v_mov_b32_e32 v24, s19
	v_add_co_u32_e32 v22, vcc, s18, v22
	v_addc_co_u32_e32 v23, vcc, v24, v23, vcc
	v_lshlrev_b64 v[24:25], 3, v[18:19]
	v_mov_b32_e32 v38, s19
	v_add_co_u32_e32 v24, vcc, s18, v24
	v_addc_co_u32_e32 v25, vcc, v38, v25, vcc
	s_mov_b64 s[34:35], 0
	s_mov_b64 s[42:43], s[16:17]
                                        ; implicit-def: $sgpr28_sgpr29
                                        ; implicit-def: $sgpr30_sgpr31
                                        ; implicit-def: $sgpr38_sgpr39
                                        ; implicit-def: $sgpr36_sgpr37
                                        ; implicit-def: $sgpr40_sgpr41
                                        ; implicit-def: $sgpr44_sgpr45
	s_branch .LBB1605_47
.LBB1605_46:                            ;   in Loop: Header=BB1605_47 Depth=1
	s_or_b64 exec, exec, s[46:47]
	s_and_b64 s[4:5], exec, s[38:39]
	s_or_b64 s[34:35], s[4:5], s[34:35]
	s_andn2_b64 s[4:5], s[44:45], exec
	s_and_b64 s[44:45], s[40:41], exec
	s_or_b64 s[44:45], s[4:5], s[44:45]
	s_andn2_b64 s[4:5], s[30:31], exec
	s_and_b64 s[30:31], s[36:37], exec
	;; [unrolled: 3-line block ×3, first 2 shown]
	s_or_b64 s[28:29], s[4:5], s[2:3]
	s_andn2_b64 exec, exec, s[34:35]
	s_cbranch_execz .LBB1605_49
.LBB1605_47:                            ; =>This Inner Loop Header: Depth=1
	global_load_dwordx2 v[38:39], v[22:23], off
	global_load_dwordx2 v[40:41], v[24:25], off
	s_andn2_b64 s[40:41], s[40:41], exec
	s_or_b64 s[36:37], s[36:37], exec
	s_or_b64 s[38:39], s[38:39], exec
	s_waitcnt vmcnt(0)
	v_cmp_le_u64_e64 s[2:3], v[38:39], v[40:41]
	v_cmp_lt_u64_e32 vcc, v[38:39], v[40:41]
	s_and_b64 s[2:3], s[2:3], s[44:45]
	v_cmp_eq_u64_e64 s[4:5], v[38:39], v[40:41]
	s_or_b64 s[2:3], vcc, s[2:3]
	s_and_saveexec_b64 s[46:47], s[4:5]
	s_cbranch_execz .LBB1605_46
; %bb.48:                               ;   in Loop: Header=BB1605_47 Depth=1
	s_add_u32 s42, s42, -1
	s_addc_u32 s43, s43, -1
	v_add_co_u32_e32 v22, vcc, 8, v22
	s_cmp_eq_u64 s[42:43], 0
	v_addc_co_u32_e32 v23, vcc, 0, v23, vcc
	s_cselect_b64 s[4:5], -1, 0
	v_add_co_u32_e32 v24, vcc, 8, v24
	s_andn2_b64 s[40:41], s[40:41], exec
	s_and_b64 s[44:45], s[2:3], exec
	s_andn2_b64 s[38:39], s[38:39], exec
	s_and_b64 s[4:5], s[4:5], exec
	v_addc_co_u32_e32 v25, vcc, 0, v25, vcc
	s_or_b64 s[40:41], s[40:41], s[44:45]
	s_andn2_b64 s[36:37], s[36:37], exec
	s_or_b64 s[38:39], s[38:39], s[4:5]
                                        ; implicit-def: $sgpr44_sgpr45
	s_branch .LBB1605_46
.LBB1605_49:
	s_or_b64 exec, exec, s[34:35]
	s_and_saveexec_b64 s[2:3], s[30:31]
	s_xor_b64 s[2:3], exec, s[2:3]
	s_cbranch_execz .LBB1605_53
; %bb.50:
	s_and_saveexec_b64 s[4:5], s[28:29]
; %bb.51:
	v_mov_b32_e32 v4, v16
	v_mov_b32_e32 v5, v17
	;; [unrolled: 1-line block ×4, first 2 shown]
	v_pk_mov_b32 v[14:15], v[16:17], v[16:17] op_sel:[0,1]
	v_pk_mov_b32 v[18:19], v[20:21], v[20:21] op_sel:[0,1]
; %bb.52:
	s_or_b64 exec, exec, s[4:5]
.LBB1605_53:
	s_or_b64 exec, exec, s[2:3]
.LBB1605_54:
	s_and_b64 vcc, exec, s[0:1]
	s_cbranch_vccnz .LBB1605_62
; %bb.55:
	v_lshlrev_b64 v[16:17], 3, v[18:19]
	v_mov_b32_e32 v18, s19
	v_add_co_u32_e32 v16, vcc, s18, v16
	v_addc_co_u32_e32 v17, vcc, v18, v17, vcc
	v_mul_lo_u32 v20, v11, s16
	v_mul_lo_u32 v21, v10, s17
	v_mad_u64_u32 v[18:19], s[0:1], v10, s16, 0
	v_add3_u32 v19, v19, v21, v20
	v_lshlrev_b64 v[18:19], 3, v[18:19]
	v_mov_b32_e32 v20, s19
	v_add_co_u32_e32 v18, vcc, s18, v18
	v_addc_co_u32_e32 v19, vcc, v20, v19, vcc
	s_mov_b64 s[28:29], 0
	s_mov_b64 s[40:41], s[16:17]
                                        ; implicit-def: $sgpr4_sgpr5
                                        ; implicit-def: $sgpr30_sgpr31
                                        ; implicit-def: $sgpr36_sgpr37
                                        ; implicit-def: $sgpr34_sgpr35
                                        ; implicit-def: $sgpr38_sgpr39
                                        ; implicit-def: $sgpr42_sgpr43
	s_branch .LBB1605_57
.LBB1605_56:                            ;   in Loop: Header=BB1605_57 Depth=1
	s_or_b64 exec, exec, s[44:45]
	s_and_b64 s[2:3], exec, s[36:37]
	s_or_b64 s[28:29], s[2:3], s[28:29]
	s_andn2_b64 s[2:3], s[42:43], exec
	s_and_b64 s[42:43], s[38:39], exec
	s_or_b64 s[42:43], s[2:3], s[42:43]
	s_andn2_b64 s[2:3], s[30:31], exec
	s_and_b64 s[30:31], s[34:35], exec
	;; [unrolled: 3-line block ×3, first 2 shown]
	s_or_b64 s[4:5], s[2:3], s[0:1]
	s_andn2_b64 exec, exec, s[28:29]
	s_cbranch_execz .LBB1605_59
.LBB1605_57:                            ; =>This Inner Loop Header: Depth=1
	global_load_dwordx2 v[20:21], v[16:17], off
	global_load_dwordx2 v[22:23], v[18:19], off
	s_andn2_b64 s[38:39], s[38:39], exec
	s_or_b64 s[34:35], s[34:35], exec
	s_or_b64 s[36:37], s[36:37], exec
	s_waitcnt vmcnt(0)
	v_cmp_le_u64_e64 s[0:1], v[20:21], v[22:23]
	v_cmp_lt_u64_e32 vcc, v[20:21], v[22:23]
	s_and_b64 s[0:1], s[0:1], s[42:43]
	v_cmp_eq_u64_e64 s[2:3], v[20:21], v[22:23]
	s_or_b64 s[0:1], vcc, s[0:1]
	s_and_saveexec_b64 s[44:45], s[2:3]
	s_cbranch_execz .LBB1605_56
; %bb.58:                               ;   in Loop: Header=BB1605_57 Depth=1
	s_add_u32 s40, s40, -1
	s_addc_u32 s41, s41, -1
	v_add_co_u32_e32 v16, vcc, 8, v16
	s_cmp_eq_u64 s[40:41], 0
	v_addc_co_u32_e32 v17, vcc, 0, v17, vcc
	s_cselect_b64 s[2:3], -1, 0
	v_add_co_u32_e32 v18, vcc, 8, v18
	s_andn2_b64 s[38:39], s[38:39], exec
	s_and_b64 s[42:43], s[0:1], exec
	s_andn2_b64 s[36:37], s[36:37], exec
	s_and_b64 s[2:3], s[2:3], exec
	v_addc_co_u32_e32 v19, vcc, 0, v19, vcc
	s_or_b64 s[38:39], s[38:39], s[42:43]
	s_andn2_b64 s[34:35], s[34:35], exec
	s_or_b64 s[36:37], s[36:37], s[2:3]
                                        ; implicit-def: $sgpr42_sgpr43
	s_branch .LBB1605_56
.LBB1605_59:
	s_or_b64 exec, exec, s[28:29]
	s_and_saveexec_b64 s[0:1], s[30:31]
	s_xor_b64 s[0:1], exec, s[0:1]
; %bb.60:
	v_cndmask_b32_e64 v5, v5, v11, s[4:5]
	v_cndmask_b32_e64 v4, v4, v10, s[4:5]
	;; [unrolled: 1-line block ×4, first 2 shown]
; %bb.61:
	s_or_b64 exec, exec, s[0:1]
.LBB1605_62:
	s_or_b64 exec, exec, s[26:27]
	v_mbcnt_lo_u32_b32 v10, -1, 0
	v_and_b32_e32 v11, 0xffffff00, v37
	v_mbcnt_hi_u32_b32 v10, -1, v10
	s_movk_i32 s0, 0x400
	v_lshlrev_b32_e32 v16, 3, v11
	v_sub_u32_e64 v17, s0, v11 clamp
	v_lshlrev_b32_e32 v18, 2, v10
	v_lshl_add_u32 v19, v10, 5, v16
	v_mov_b32_e32 v10, v2
	v_mov_b32_e32 v11, v3
	ds_write_b128 v19, v[8:11]
	ds_write_b128 v19, v[4:7] offset:16
	v_or_b32_e32 v8, 4, v18
	v_min_u32_e32 v14, v17, v8
	v_add_u32_e32 v8, 4, v14
	v_and_b32_e32 v22, 0x1f8, v18
	v_min_u32_e32 v15, v17, v8
	v_and_b32_e32 v8, 4, v18
	v_min_u32_e32 v23, v17, v8
	v_sub_u32_e32 v8, v14, v22
	v_sub_u32_e32 v9, v15, v14
	v_sub_u32_e64 v21, v23, v9 clamp
	v_min_u32_e32 v24, v23, v8
	v_lshl_add_u32 v20, v22, 3, v16
	v_cmp_lt_u32_e32 vcc, v21, v24
	; wave barrier
	s_and_saveexec_b64 s[26:27], vcc
	s_cbranch_execz .LBB1605_72
; %bb.63:
	v_lshlrev_b32_e32 v8, 3, v14
	v_lshlrev_b32_e32 v9, 3, v23
	v_add3_u32 v25, v16, v8, v9
	v_cndmask_b32_e64 v8, 0, 1, s[24:25]
	s_lshl_b64 s[30:31], s[16:17], 3
	s_mov_b64 s[28:29], 0
	v_cmp_ne_u32_e64 s[0:1], 1, v8
	s_branch .LBB1605_66
.LBB1605_64:                            ;   in Loop: Header=BB1605_66 Depth=1
	s_or_b64 exec, exec, s[36:37]
.LBB1605_65:                            ;   in Loop: Header=BB1605_66 Depth=1
	v_add_u32_e32 v8, 1, v37
	v_cndmask_b32_e64 v24, v24, v37, s[34:35]
	v_cndmask_b32_e64 v21, v8, v21, s[34:35]
	v_cmp_ge_u32_e32 vcc, v21, v24
	s_or_b64 s[28:29], vcc, s[28:29]
	s_andn2_b64 exec, exec, s[28:29]
	s_cbranch_execz .LBB1605_71
.LBB1605_66:                            ; =>This Loop Header: Depth=1
                                        ;     Child Loop BB1605_69 Depth 2
	v_add_u32_e32 v8, v24, v21
	v_lshrrev_b32_e32 v37, 1, v8
	s_and_b64 vcc, exec, s[0:1]
	s_mov_b64 s[34:35], 0
	s_cbranch_vccnz .LBB1605_65
; %bb.67:                               ;   in Loop: Header=BB1605_66 Depth=1
	v_not_b32_e32 v8, v37
	v_lshl_add_u32 v8, v8, 3, v25
	ds_read_b64 v[8:9], v8
	v_lshl_add_u32 v38, v37, 3, v20
	ds_read_b64 v[38:39], v38
	v_pk_mov_b32 v[10:11], s[18:19], s[18:19] op_sel:[0,1]
	s_mov_b64 s[36:37], 0
	s_waitcnt lgkmcnt(1)
	v_mul_lo_u32 v40, s30, v9
	v_mul_lo_u32 v41, s31, v8
	v_mad_u64_u32 v[8:9], s[2:3], s30, v8, v[10:11]
	v_add3_u32 v9, v41, v9, v40
	s_waitcnt lgkmcnt(0)
	v_mul_lo_u32 v39, s30, v39
	v_mul_lo_u32 v40, s31, v38
	v_mad_u64_u32 v[10:11], s[2:3], s30, v38, v[10:11]
	v_add3_u32 v11, v40, v11, v39
	s_mov_b64 s[42:43], s[16:17]
                                        ; implicit-def: $sgpr34_sgpr35
                                        ; implicit-def: $sgpr38_sgpr39
                                        ; implicit-def: $sgpr40_sgpr41
                                        ; implicit-def: $sgpr2_sgpr3
                                        ; implicit-def: $sgpr44_sgpr45
	s_branch .LBB1605_69
.LBB1605_68:                            ;   in Loop: Header=BB1605_69 Depth=2
	s_or_b64 exec, exec, s[46:47]
	s_and_b64 s[4:5], exec, s[38:39]
	s_or_b64 s[36:37], s[4:5], s[36:37]
	s_andn2_b64 s[4:5], s[44:45], exec
	s_and_b64 s[44:45], s[40:41], exec
	s_or_b64 s[44:45], s[4:5], s[44:45]
	s_andn2_b64 s[4:5], s[34:35], exec
	s_and_b64 s[34:35], s[2:3], exec
	s_or_b64 s[34:35], s[4:5], s[34:35]
	s_andn2_b64 exec, exec, s[36:37]
	s_cbranch_execz .LBB1605_64
.LBB1605_69:                            ;   Parent Loop BB1605_66 Depth=1
                                        ; =>  This Inner Loop Header: Depth=2
	global_load_dwordx2 v[38:39], v[8:9], off
	global_load_dwordx2 v[40:41], v[10:11], off
	s_andn2_b64 s[46:47], s[2:3], exec
	s_andn2_b64 s[40:41], s[40:41], exec
	s_or_b64 s[38:39], s[38:39], exec
	s_waitcnt vmcnt(0)
	v_cmp_le_u64_e64 s[2:3], v[38:39], v[40:41]
	v_cmp_lt_u64_e32 vcc, v[38:39], v[40:41]
	s_and_b64 s[2:3], s[2:3], s[44:45]
	s_or_b64 s[48:49], vcc, s[2:3]
	s_and_b64 s[2:3], s[48:49], exec
	v_cmp_eq_u64_e64 s[4:5], v[38:39], v[40:41]
	s_or_b64 s[2:3], s[46:47], s[2:3]
	s_and_saveexec_b64 s[46:47], s[4:5]
	s_cbranch_execz .LBB1605_68
; %bb.70:                               ;   in Loop: Header=BB1605_69 Depth=2
	s_add_u32 s42, s42, -1
	s_addc_u32 s43, s43, -1
	v_add_co_u32_e32 v8, vcc, 8, v8
	s_cmp_eq_u64 s[42:43], 0
	v_addc_co_u32_e32 v9, vcc, 0, v9, vcc
	s_cselect_b64 s[4:5], -1, 0
	v_add_co_u32_e32 v10, vcc, 8, v10
	s_andn2_b64 s[40:41], s[40:41], exec
	s_and_b64 s[44:45], s[48:49], exec
	s_andn2_b64 s[38:39], s[38:39], exec
	s_and_b64 s[4:5], s[4:5], exec
	v_addc_co_u32_e32 v11, vcc, 0, v11, vcc
	s_andn2_b64 s[2:3], s[2:3], exec
	s_or_b64 s[40:41], s[40:41], s[44:45]
	s_or_b64 s[38:39], s[38:39], s[4:5]
                                        ; implicit-def: $sgpr44_sgpr45
	s_branch .LBB1605_68
.LBB1605_71:
	s_or_b64 exec, exec, s[28:29]
.LBB1605_72:
	s_or_b64 exec, exec, s[26:27]
	v_add_u32_e32 v9, v14, v23
	v_add_u32_e32 v8, v21, v22
	v_sub_u32_e32 v9, v9, v21
	v_cmp_le_u32_e32 vcc, v8, v14
	v_cmp_le_u32_e64 s[0:1], v9, v15
	s_or_b64 s[0:1], vcc, s[0:1]
	s_and_saveexec_b64 s[4:5], s[0:1]
	s_cbranch_execz .LBB1605_119
; %bb.73:
	v_cmp_ge_u32_e32 vcc, v8, v14
	v_cmp_lt_u32_e64 s[0:1], v8, v14
                                        ; implicit-def: $vgpr0_vgpr1
	s_and_saveexec_b64 s[2:3], s[0:1]
	s_cbranch_execz .LBB1605_75
; %bb.74:
	v_lshl_add_u32 v0, v21, 3, v20
	ds_read_b64 v[0:1], v0
.LBB1605_75:
	s_or_b64 exec, exec, s[2:3]
	v_cmp_ge_u32_e64 s[26:27], v9, v15
	v_cmp_lt_u32_e64 s[0:1], v9, v15
                                        ; implicit-def: $vgpr2_vgpr3
	s_and_saveexec_b64 s[2:3], s[0:1]
	s_cbranch_execz .LBB1605_77
; %bb.76:
	v_lshl_add_u32 v2, v9, 3, v16
	ds_read_b64 v[2:3], v2
.LBB1605_77:
	s_or_b64 exec, exec, s[2:3]
	s_or_b64 s[0:1], vcc, s[26:27]
	s_mov_b64 s[28:29], -1
	s_xor_b64 s[0:1], s[0:1], -1
	s_and_saveexec_b64 s[30:31], s[0:1]
	s_cbranch_execz .LBB1605_86
; %bb.78:
	s_andn2_b64 vcc, exec, s[24:25]
	s_cbranch_vccnz .LBB1605_84
; %bb.79:
	s_waitcnt lgkmcnt(0)
	v_mul_lo_u32 v6, v3, s16
	v_mul_lo_u32 v7, v2, s17
	v_mad_u64_u32 v[4:5], s[0:1], v2, s16, 0
	v_add3_u32 v5, v5, v7, v6
	v_lshlrev_b64 v[4:5], 3, v[4:5]
	v_mov_b32_e32 v6, s19
	v_add_co_u32_e32 v4, vcc, s18, v4
	v_addc_co_u32_e32 v5, vcc, v6, v5, vcc
	v_mul_lo_u32 v10, v1, s16
	v_mul_lo_u32 v11, v0, s17
	v_mad_u64_u32 v[6:7], s[0:1], v0, s16, 0
	v_add3_u32 v7, v7, v11, v10
	v_lshlrev_b64 v[6:7], 3, v[6:7]
	v_mov_b32_e32 v10, s19
	v_add_co_u32_e32 v6, vcc, s18, v6
	v_addc_co_u32_e32 v7, vcc, v10, v7, vcc
	s_mov_b64 s[34:35], 0
	s_mov_b64 s[42:43], s[16:17]
                                        ; implicit-def: $sgpr36_sgpr37
                                        ; implicit-def: $sgpr38_sgpr39
                                        ; implicit-def: $sgpr0_sgpr1
                                        ; implicit-def: $sgpr40_sgpr41
                                        ; implicit-def: $sgpr44_sgpr45
	s_branch .LBB1605_81
.LBB1605_80:                            ;   in Loop: Header=BB1605_81 Depth=1
	s_or_b64 exec, exec, s[46:47]
	s_and_b64 s[2:3], exec, s[38:39]
	s_or_b64 s[34:35], s[2:3], s[34:35]
	s_andn2_b64 s[2:3], s[44:45], exec
	s_and_b64 s[44:45], s[40:41], exec
	s_or_b64 s[44:45], s[2:3], s[44:45]
	s_andn2_b64 s[2:3], s[36:37], exec
	s_and_b64 s[36:37], s[0:1], exec
	s_or_b64 s[36:37], s[2:3], s[36:37]
	s_andn2_b64 exec, exec, s[34:35]
	s_cbranch_execz .LBB1605_83
.LBB1605_81:                            ; =>This Inner Loop Header: Depth=1
	global_load_dwordx2 v[10:11], v[4:5], off
	global_load_dwordx2 v[20:21], v[6:7], off
	s_andn2_b64 s[46:47], s[0:1], exec
	s_andn2_b64 s[40:41], s[40:41], exec
	s_or_b64 s[38:39], s[38:39], exec
	s_waitcnt vmcnt(0)
	v_cmp_le_u64_e64 s[0:1], v[10:11], v[20:21]
	v_cmp_lt_u64_e32 vcc, v[10:11], v[20:21]
	s_and_b64 s[0:1], s[0:1], s[44:45]
	s_or_b64 s[48:49], vcc, s[0:1]
	s_and_b64 s[0:1], s[48:49], exec
	v_cmp_eq_u64_e64 s[2:3], v[10:11], v[20:21]
	s_or_b64 s[0:1], s[46:47], s[0:1]
	s_and_saveexec_b64 s[46:47], s[2:3]
	s_cbranch_execz .LBB1605_80
; %bb.82:                               ;   in Loop: Header=BB1605_81 Depth=1
	s_add_u32 s42, s42, -1
	s_addc_u32 s43, s43, -1
	v_add_co_u32_e32 v4, vcc, 8, v4
	s_cmp_eq_u64 s[42:43], 0
	v_addc_co_u32_e32 v5, vcc, 0, v5, vcc
	s_cselect_b64 s[2:3], -1, 0
	v_add_co_u32_e32 v6, vcc, 8, v6
	s_andn2_b64 s[40:41], s[40:41], exec
	s_and_b64 s[44:45], s[48:49], exec
	s_andn2_b64 s[38:39], s[38:39], exec
	s_and_b64 s[2:3], s[2:3], exec
	v_addc_co_u32_e32 v7, vcc, 0, v7, vcc
	s_or_b64 s[40:41], s[40:41], s[44:45]
	s_andn2_b64 s[0:1], s[0:1], exec
	s_or_b64 s[38:39], s[38:39], s[2:3]
                                        ; implicit-def: $sgpr44_sgpr45
	s_branch .LBB1605_80
.LBB1605_83:
	s_or_b64 exec, exec, s[34:35]
	s_xor_b64 s[0:1], s[36:37], -1
	s_branch .LBB1605_85
.LBB1605_84:
	s_mov_b64 s[0:1], -1
.LBB1605_85:
	s_andn2_b64 s[2:3], s[26:27], exec
	s_and_b64 s[0:1], s[0:1], exec
	s_or_b64 s[26:27], s[2:3], s[0:1]
.LBB1605_86:
	s_or_b64 exec, exec, s[30:31]
	v_cndmask_b32_e64 v4, v9, v8, s[26:27]
	v_cndmask_b32_e64 v5, v15, v14, s[26:27]
	v_add_u32_e32 v6, 1, v4
	v_add_u32_e32 v4, -1, v5
	v_min_u32_e32 v4, v6, v4
	v_lshl_add_u32 v4, v4, 3, v16
	ds_read_b64 v[4:5], v4
	v_cndmask_b32_e64 v9, v6, v9, s[26:27]
	v_cndmask_b32_e64 v8, v8, v6, s[26:27]
	v_cmp_lt_u32_e32 vcc, v9, v15
	s_waitcnt lgkmcnt(0)
	v_cndmask_b32_e64 v20, v5, v3, s[26:27]
	v_cndmask_b32_e64 v21, v4, v2, s[26:27]
	;; [unrolled: 1-line block ×4, first 2 shown]
	s_and_saveexec_b64 s[30:31], vcc
	s_cbranch_execz .LBB1605_97
; %bb.87:
	v_cmp_lt_u32_e32 vcc, v8, v14
	s_mov_b64 s[0:1], 0
	s_and_saveexec_b64 s[28:29], vcc
	s_cbranch_execz .LBB1605_96
; %bb.88:
	s_andn2_b64 vcc, exec, s[24:25]
	s_cbranch_vccnz .LBB1605_94
; %bb.89:
	v_mul_lo_u32 v6, v20, s16
	v_mul_lo_u32 v7, v21, s17
	v_mad_u64_u32 v[4:5], s[0:1], v21, s16, 0
	v_add3_u32 v5, v5, v7, v6
	v_lshlrev_b64 v[4:5], 3, v[4:5]
	v_mov_b32_e32 v6, s19
	v_add_co_u32_e32 v4, vcc, s18, v4
	v_addc_co_u32_e32 v5, vcc, v6, v5, vcc
	v_mul_lo_u32 v10, v22, s16
	v_mul_lo_u32 v11, v23, s17
	v_mad_u64_u32 v[6:7], s[0:1], v23, s16, 0
	v_add3_u32 v7, v7, v11, v10
	v_lshlrev_b64 v[6:7], 3, v[6:7]
	v_mov_b32_e32 v10, s19
	v_add_co_u32_e32 v6, vcc, s18, v6
	v_addc_co_u32_e32 v7, vcc, v10, v7, vcc
	s_mov_b64 s[34:35], 0
	s_mov_b64 s[42:43], s[16:17]
                                        ; implicit-def: $sgpr36_sgpr37
                                        ; implicit-def: $sgpr38_sgpr39
                                        ; implicit-def: $sgpr0_sgpr1
                                        ; implicit-def: $sgpr40_sgpr41
                                        ; implicit-def: $sgpr44_sgpr45
	s_branch .LBB1605_91
.LBB1605_90:                            ;   in Loop: Header=BB1605_91 Depth=1
	s_or_b64 exec, exec, s[46:47]
	s_and_b64 s[2:3], exec, s[38:39]
	s_or_b64 s[34:35], s[2:3], s[34:35]
	s_andn2_b64 s[2:3], s[44:45], exec
	s_and_b64 s[44:45], s[40:41], exec
	s_or_b64 s[44:45], s[2:3], s[44:45]
	s_andn2_b64 s[2:3], s[36:37], exec
	s_and_b64 s[36:37], s[0:1], exec
	s_or_b64 s[36:37], s[2:3], s[36:37]
	s_andn2_b64 exec, exec, s[34:35]
	s_cbranch_execz .LBB1605_93
.LBB1605_91:                            ; =>This Inner Loop Header: Depth=1
	global_load_dwordx2 v[10:11], v[4:5], off
	global_load_dwordx2 v[24:25], v[6:7], off
	s_andn2_b64 s[46:47], s[0:1], exec
	s_andn2_b64 s[40:41], s[40:41], exec
	s_or_b64 s[38:39], s[38:39], exec
	s_waitcnt vmcnt(0)
	v_cmp_le_u64_e64 s[0:1], v[10:11], v[24:25]
	v_cmp_lt_u64_e32 vcc, v[10:11], v[24:25]
	s_and_b64 s[0:1], s[0:1], s[44:45]
	s_or_b64 s[48:49], vcc, s[0:1]
	s_and_b64 s[0:1], s[48:49], exec
	v_cmp_eq_u64_e64 s[2:3], v[10:11], v[24:25]
	s_or_b64 s[0:1], s[46:47], s[0:1]
	s_and_saveexec_b64 s[46:47], s[2:3]
	s_cbranch_execz .LBB1605_90
; %bb.92:                               ;   in Loop: Header=BB1605_91 Depth=1
	s_add_u32 s42, s42, -1
	s_addc_u32 s43, s43, -1
	v_add_co_u32_e32 v4, vcc, 8, v4
	s_cmp_eq_u64 s[42:43], 0
	v_addc_co_u32_e32 v5, vcc, 0, v5, vcc
	s_cselect_b64 s[2:3], -1, 0
	v_add_co_u32_e32 v6, vcc, 8, v6
	s_andn2_b64 s[40:41], s[40:41], exec
	s_and_b64 s[44:45], s[48:49], exec
	s_andn2_b64 s[38:39], s[38:39], exec
	s_and_b64 s[2:3], s[2:3], exec
	v_addc_co_u32_e32 v7, vcc, 0, v7, vcc
	s_or_b64 s[40:41], s[40:41], s[44:45]
	s_andn2_b64 s[0:1], s[0:1], exec
	s_or_b64 s[38:39], s[38:39], s[2:3]
                                        ; implicit-def: $sgpr44_sgpr45
	s_branch .LBB1605_90
.LBB1605_93:
	s_or_b64 exec, exec, s[34:35]
	s_xor_b64 s[0:1], s[36:37], -1
	s_branch .LBB1605_95
.LBB1605_94:
	s_mov_b64 s[0:1], -1
.LBB1605_95:
	s_and_b64 s[0:1], s[0:1], exec
.LBB1605_96:
	s_or_b64 exec, exec, s[28:29]
	s_orn2_b64 s[28:29], s[0:1], exec
.LBB1605_97:
	s_or_b64 exec, exec, s[30:31]
	v_cndmask_b32_e64 v4, v9, v8, s[28:29]
	v_cndmask_b32_e64 v5, v15, v14, s[28:29]
	v_add_u32_e32 v6, 1, v4
	v_add_u32_e32 v4, -1, v5
	v_min_u32_e32 v4, v6, v4
	v_lshl_add_u32 v4, v4, 3, v16
	ds_read_b64 v[4:5], v4
	v_cndmask_b32_e64 v9, v6, v9, s[28:29]
	v_cndmask_b32_e64 v8, v8, v6, s[28:29]
	v_cmp_lt_u32_e32 vcc, v9, v15
	s_mov_b64 s[30:31], -1
	s_waitcnt lgkmcnt(0)
	v_cndmask_b32_e64 v24, v5, v20, s[28:29]
	v_cndmask_b32_e64 v25, v4, v21, s[28:29]
	;; [unrolled: 1-line block ×4, first 2 shown]
	s_and_saveexec_b64 s[34:35], vcc
	s_cbranch_execz .LBB1605_108
; %bb.98:
	v_cmp_lt_u32_e32 vcc, v8, v14
	s_mov_b64 s[0:1], 0
	s_and_saveexec_b64 s[30:31], vcc
	s_cbranch_execz .LBB1605_107
; %bb.99:
	s_andn2_b64 vcc, exec, s[24:25]
	s_cbranch_vccnz .LBB1605_105
; %bb.100:
	v_mul_lo_u32 v6, v24, s16
	v_mul_lo_u32 v7, v25, s17
	v_mad_u64_u32 v[4:5], s[0:1], v25, s16, 0
	v_add3_u32 v5, v5, v7, v6
	v_lshlrev_b64 v[4:5], 3, v[4:5]
	v_mov_b32_e32 v6, s19
	v_add_co_u32_e32 v4, vcc, s18, v4
	v_addc_co_u32_e32 v5, vcc, v6, v5, vcc
	v_mul_lo_u32 v10, v37, s16
	v_mul_lo_u32 v11, v38, s17
	v_mad_u64_u32 v[6:7], s[0:1], v38, s16, 0
	v_add3_u32 v7, v7, v11, v10
	v_lshlrev_b64 v[6:7], 3, v[6:7]
	v_mov_b32_e32 v10, s19
	v_add_co_u32_e32 v6, vcc, s18, v6
	v_addc_co_u32_e32 v7, vcc, v10, v7, vcc
	s_mov_b64 s[36:37], 0
	s_mov_b64 s[44:45], s[16:17]
                                        ; implicit-def: $sgpr38_sgpr39
                                        ; implicit-def: $sgpr40_sgpr41
                                        ; implicit-def: $sgpr0_sgpr1
                                        ; implicit-def: $sgpr42_sgpr43
                                        ; implicit-def: $sgpr46_sgpr47
	s_branch .LBB1605_102
.LBB1605_101:                           ;   in Loop: Header=BB1605_102 Depth=1
	s_or_b64 exec, exec, s[48:49]
	s_and_b64 s[2:3], exec, s[40:41]
	s_or_b64 s[36:37], s[2:3], s[36:37]
	s_andn2_b64 s[2:3], s[46:47], exec
	s_and_b64 s[46:47], s[42:43], exec
	s_or_b64 s[46:47], s[2:3], s[46:47]
	s_andn2_b64 s[2:3], s[38:39], exec
	s_and_b64 s[38:39], s[0:1], exec
	s_or_b64 s[38:39], s[2:3], s[38:39]
	s_andn2_b64 exec, exec, s[36:37]
	s_cbranch_execz .LBB1605_104
.LBB1605_102:                           ; =>This Inner Loop Header: Depth=1
	global_load_dwordx2 v[10:11], v[4:5], off
	global_load_dwordx2 v[40:41], v[6:7], off
	s_andn2_b64 s[48:49], s[0:1], exec
	s_andn2_b64 s[42:43], s[42:43], exec
	s_or_b64 s[40:41], s[40:41], exec
	s_waitcnt vmcnt(0)
	v_cmp_le_u64_e64 s[0:1], v[10:11], v[40:41]
	v_cmp_lt_u64_e32 vcc, v[10:11], v[40:41]
	s_and_b64 s[0:1], s[0:1], s[46:47]
	s_or_b64 s[50:51], vcc, s[0:1]
	s_and_b64 s[0:1], s[50:51], exec
	v_cmp_eq_u64_e64 s[2:3], v[10:11], v[40:41]
	s_or_b64 s[0:1], s[48:49], s[0:1]
	s_and_saveexec_b64 s[48:49], s[2:3]
	s_cbranch_execz .LBB1605_101
; %bb.103:                              ;   in Loop: Header=BB1605_102 Depth=1
	s_add_u32 s44, s44, -1
	s_addc_u32 s45, s45, -1
	v_add_co_u32_e32 v4, vcc, 8, v4
	s_cmp_eq_u64 s[44:45], 0
	v_addc_co_u32_e32 v5, vcc, 0, v5, vcc
	s_cselect_b64 s[2:3], -1, 0
	v_add_co_u32_e32 v6, vcc, 8, v6
	s_andn2_b64 s[42:43], s[42:43], exec
	s_and_b64 s[46:47], s[50:51], exec
	s_andn2_b64 s[40:41], s[40:41], exec
	s_and_b64 s[2:3], s[2:3], exec
	v_addc_co_u32_e32 v7, vcc, 0, v7, vcc
	s_or_b64 s[42:43], s[42:43], s[46:47]
	s_andn2_b64 s[0:1], s[0:1], exec
	s_or_b64 s[40:41], s[40:41], s[2:3]
                                        ; implicit-def: $sgpr46_sgpr47
	s_branch .LBB1605_101
.LBB1605_104:
	s_or_b64 exec, exec, s[36:37]
	s_xor_b64 s[0:1], s[38:39], -1
	s_branch .LBB1605_106
.LBB1605_105:
	s_mov_b64 s[0:1], -1
.LBB1605_106:
	s_and_b64 s[0:1], s[0:1], exec
.LBB1605_107:
	s_or_b64 exec, exec, s[30:31]
	s_orn2_b64 s[30:31], s[0:1], exec
.LBB1605_108:
	s_or_b64 exec, exec, s[34:35]
	v_cndmask_b32_e64 v4, v9, v8, s[30:31]
	v_cndmask_b32_e64 v5, v15, v14, s[30:31]
	v_add_u32_e32 v10, 1, v4
	v_add_u32_e32 v4, -1, v5
	v_min_u32_e32 v4, v10, v4
	v_lshl_add_u32 v4, v4, 3, v16
	ds_read_b64 v[4:5], v4
	v_cndmask_b32_e64 v9, v10, v9, s[30:31]
	v_cmp_lt_u32_e32 vcc, v9, v15
	s_waitcnt lgkmcnt(0)
	v_cndmask_b32_e64 v7, v37, v5, s[30:31]
	v_cndmask_b32_e64 v6, v38, v4, s[30:31]
	s_and_saveexec_b64 s[34:35], vcc
	s_cbranch_execz .LBB1605_118
; %bb.109:
	v_cndmask_b32_e64 v8, v8, v10, s[30:31]
	v_cndmask_b32_e64 v5, v5, v24, s[30:31]
	;; [unrolled: 1-line block ×3, first 2 shown]
	v_cmp_lt_u32_e32 vcc, v8, v14
	s_and_saveexec_b64 s[36:37], vcc
	s_cbranch_execz .LBB1605_117
; %bb.110:
	s_andn2_b64 vcc, exec, s[24:25]
	s_cbranch_vccnz .LBB1605_116
; %bb.111:
	v_mul_lo_u32 v10, v5, s16
	v_mul_lo_u32 v11, v4, s17
	v_mad_u64_u32 v[8:9], s[0:1], v4, s16, 0
	v_add3_u32 v9, v9, v11, v10
	v_lshlrev_b64 v[8:9], 3, v[8:9]
	v_mov_b32_e32 v10, s19
	v_add_co_u32_e32 v8, vcc, s18, v8
	v_addc_co_u32_e32 v9, vcc, v10, v9, vcc
	v_mul_lo_u32 v14, v7, s16
	v_mul_lo_u32 v15, v6, s17
	v_mad_u64_u32 v[10:11], s[0:1], v6, s16, 0
	v_add3_u32 v11, v11, v15, v14
	v_lshlrev_b64 v[10:11], 3, v[10:11]
	v_mov_b32_e32 v14, s19
	v_add_co_u32_e32 v10, vcc, s18, v10
	v_addc_co_u32_e32 v11, vcc, v14, v11, vcc
	s_mov_b64 s[38:39], 0
	s_mov_b64 s[46:47], s[16:17]
                                        ; implicit-def: $sgpr40_sgpr41
                                        ; implicit-def: $sgpr42_sgpr43
                                        ; implicit-def: $sgpr0_sgpr1
                                        ; implicit-def: $sgpr44_sgpr45
                                        ; implicit-def: $sgpr48_sgpr49
	s_branch .LBB1605_113
.LBB1605_112:                           ;   in Loop: Header=BB1605_113 Depth=1
	s_or_b64 exec, exec, s[50:51]
	s_and_b64 s[2:3], exec, s[42:43]
	s_or_b64 s[38:39], s[2:3], s[38:39]
	s_andn2_b64 s[2:3], s[48:49], exec
	s_and_b64 s[48:49], s[44:45], exec
	s_or_b64 s[48:49], s[2:3], s[48:49]
	s_andn2_b64 s[2:3], s[40:41], exec
	s_and_b64 s[40:41], s[0:1], exec
	s_or_b64 s[40:41], s[2:3], s[40:41]
	s_andn2_b64 exec, exec, s[38:39]
	s_cbranch_execz .LBB1605_115
.LBB1605_113:                           ; =>This Inner Loop Header: Depth=1
	global_load_dwordx2 v[14:15], v[8:9], off
	global_load_dwordx2 v[40:41], v[10:11], off
	s_andn2_b64 s[50:51], s[0:1], exec
	s_andn2_b64 s[44:45], s[44:45], exec
	s_or_b64 s[42:43], s[42:43], exec
	s_waitcnt vmcnt(0)
	v_cmp_le_u64_e64 s[0:1], v[14:15], v[40:41]
	v_cmp_lt_u64_e32 vcc, v[14:15], v[40:41]
	s_and_b64 s[0:1], s[0:1], s[48:49]
	s_or_b64 s[52:53], vcc, s[0:1]
	s_and_b64 s[0:1], s[52:53], exec
	v_cmp_eq_u64_e64 s[2:3], v[14:15], v[40:41]
	s_or_b64 s[0:1], s[50:51], s[0:1]
	s_and_saveexec_b64 s[50:51], s[2:3]
	s_cbranch_execz .LBB1605_112
; %bb.114:                              ;   in Loop: Header=BB1605_113 Depth=1
	s_add_u32 s46, s46, -1
	s_addc_u32 s47, s47, -1
	v_add_co_u32_e32 v8, vcc, 8, v8
	s_cmp_eq_u64 s[46:47], 0
	v_addc_co_u32_e32 v9, vcc, 0, v9, vcc
	s_cselect_b64 s[2:3], -1, 0
	v_add_co_u32_e32 v10, vcc, 8, v10
	s_andn2_b64 s[44:45], s[44:45], exec
	s_and_b64 s[48:49], s[52:53], exec
	s_andn2_b64 s[42:43], s[42:43], exec
	s_and_b64 s[2:3], s[2:3], exec
	v_addc_co_u32_e32 v11, vcc, 0, v11, vcc
	s_or_b64 s[44:45], s[44:45], s[48:49]
	s_andn2_b64 s[0:1], s[0:1], exec
	s_or_b64 s[42:43], s[42:43], s[2:3]
                                        ; implicit-def: $sgpr48_sgpr49
	s_branch .LBB1605_112
.LBB1605_115:
	s_or_b64 exec, exec, s[38:39]
	v_cndmask_b32_e64 v7, v7, v5, s[40:41]
	v_cndmask_b32_e64 v6, v6, v4, s[40:41]
.LBB1605_116:
	v_pk_mov_b32 v[4:5], v[6:7], v[6:7] op_sel:[0,1]
.LBB1605_117:
	s_or_b64 exec, exec, s[36:37]
	v_pk_mov_b32 v[6:7], v[4:5], v[4:5] op_sel:[0,1]
.LBB1605_118:
	s_or_b64 exec, exec, s[34:35]
	v_cndmask_b32_e64 v1, v3, v1, s[26:27]
	v_cndmask_b32_e64 v0, v2, v0, s[26:27]
	;; [unrolled: 1-line block ×6, first 2 shown]
.LBB1605_119:
	s_or_b64 exec, exec, s[4:5]
	v_and_b32_e32 v20, 0x1f0, v18
	v_or_b32_e32 v8, 8, v20
	v_min_u32_e32 v14, v17, v8
	v_add_u32_e32 v8, 8, v14
	v_min_u32_e32 v15, v17, v8
	v_and_b32_e32 v8, 12, v18
	v_min_u32_e32 v21, v17, v8
	v_sub_u32_e32 v8, v14, v20
	v_sub_u32_e32 v9, v15, v14
	v_sub_u32_e64 v23, v21, v9 clamp
	v_min_u32_e32 v24, v21, v8
	v_lshl_add_u32 v22, v20, 3, v16
	v_cmp_lt_u32_e32 vcc, v23, v24
	; wave barrier
	ds_write_b128 v19, v[0:3]
	ds_write_b128 v19, v[4:7] offset:16
	; wave barrier
	s_and_saveexec_b64 s[26:27], vcc
	s_cbranch_execz .LBB1605_129
; %bb.120:
	v_lshlrev_b32_e32 v8, 3, v14
	v_lshlrev_b32_e32 v9, 3, v21
	v_add3_u32 v25, v16, v8, v9
	v_cndmask_b32_e64 v8, 0, 1, s[24:25]
	s_lshl_b64 s[30:31], s[16:17], 3
	s_mov_b64 s[28:29], 0
	v_cmp_ne_u32_e64 s[0:1], 1, v8
	s_branch .LBB1605_123
.LBB1605_121:                           ;   in Loop: Header=BB1605_123 Depth=1
	s_or_b64 exec, exec, s[36:37]
.LBB1605_122:                           ;   in Loop: Header=BB1605_123 Depth=1
	v_add_u32_e32 v8, 1, v37
	v_cndmask_b32_e64 v24, v24, v37, s[34:35]
	v_cndmask_b32_e64 v23, v8, v23, s[34:35]
	v_cmp_ge_u32_e32 vcc, v23, v24
	s_or_b64 s[28:29], vcc, s[28:29]
	s_andn2_b64 exec, exec, s[28:29]
	s_cbranch_execz .LBB1605_128
.LBB1605_123:                           ; =>This Loop Header: Depth=1
                                        ;     Child Loop BB1605_126 Depth 2
	v_add_u32_e32 v8, v24, v23
	v_lshrrev_b32_e32 v37, 1, v8
	s_and_b64 vcc, exec, s[0:1]
	s_mov_b64 s[34:35], 0
	s_cbranch_vccnz .LBB1605_122
; %bb.124:                              ;   in Loop: Header=BB1605_123 Depth=1
	v_not_b32_e32 v8, v37
	v_lshl_add_u32 v8, v8, 3, v25
	ds_read_b64 v[8:9], v8
	v_lshl_add_u32 v38, v37, 3, v22
	ds_read_b64 v[38:39], v38
	v_pk_mov_b32 v[10:11], s[18:19], s[18:19] op_sel:[0,1]
	s_mov_b64 s[36:37], 0
	s_waitcnt lgkmcnt(1)
	v_mul_lo_u32 v40, s30, v9
	v_mul_lo_u32 v41, s31, v8
	v_mad_u64_u32 v[8:9], s[2:3], s30, v8, v[10:11]
	v_add3_u32 v9, v41, v9, v40
	s_waitcnt lgkmcnt(0)
	v_mul_lo_u32 v39, s30, v39
	v_mul_lo_u32 v40, s31, v38
	v_mad_u64_u32 v[10:11], s[2:3], s30, v38, v[10:11]
	v_add3_u32 v11, v40, v11, v39
	s_mov_b64 s[42:43], s[16:17]
                                        ; implicit-def: $sgpr34_sgpr35
                                        ; implicit-def: $sgpr38_sgpr39
                                        ; implicit-def: $sgpr40_sgpr41
                                        ; implicit-def: $sgpr2_sgpr3
                                        ; implicit-def: $sgpr44_sgpr45
	s_branch .LBB1605_126
.LBB1605_125:                           ;   in Loop: Header=BB1605_126 Depth=2
	s_or_b64 exec, exec, s[46:47]
	s_and_b64 s[4:5], exec, s[38:39]
	s_or_b64 s[36:37], s[4:5], s[36:37]
	s_andn2_b64 s[4:5], s[44:45], exec
	s_and_b64 s[44:45], s[40:41], exec
	s_or_b64 s[44:45], s[4:5], s[44:45]
	s_andn2_b64 s[4:5], s[34:35], exec
	s_and_b64 s[34:35], s[2:3], exec
	s_or_b64 s[34:35], s[4:5], s[34:35]
	s_andn2_b64 exec, exec, s[36:37]
	s_cbranch_execz .LBB1605_121
.LBB1605_126:                           ;   Parent Loop BB1605_123 Depth=1
                                        ; =>  This Inner Loop Header: Depth=2
	global_load_dwordx2 v[38:39], v[8:9], off
	global_load_dwordx2 v[40:41], v[10:11], off
	s_andn2_b64 s[46:47], s[2:3], exec
	s_andn2_b64 s[40:41], s[40:41], exec
	s_or_b64 s[38:39], s[38:39], exec
	s_waitcnt vmcnt(0)
	v_cmp_le_u64_e64 s[2:3], v[38:39], v[40:41]
	v_cmp_lt_u64_e32 vcc, v[38:39], v[40:41]
	s_and_b64 s[2:3], s[2:3], s[44:45]
	s_or_b64 s[48:49], vcc, s[2:3]
	s_and_b64 s[2:3], s[48:49], exec
	v_cmp_eq_u64_e64 s[4:5], v[38:39], v[40:41]
	s_or_b64 s[2:3], s[46:47], s[2:3]
	s_and_saveexec_b64 s[46:47], s[4:5]
	s_cbranch_execz .LBB1605_125
; %bb.127:                              ;   in Loop: Header=BB1605_126 Depth=2
	s_add_u32 s42, s42, -1
	s_addc_u32 s43, s43, -1
	v_add_co_u32_e32 v8, vcc, 8, v8
	s_cmp_eq_u64 s[42:43], 0
	v_addc_co_u32_e32 v9, vcc, 0, v9, vcc
	s_cselect_b64 s[4:5], -1, 0
	v_add_co_u32_e32 v10, vcc, 8, v10
	s_andn2_b64 s[40:41], s[40:41], exec
	s_and_b64 s[44:45], s[48:49], exec
	s_andn2_b64 s[38:39], s[38:39], exec
	s_and_b64 s[4:5], s[4:5], exec
	v_addc_co_u32_e32 v11, vcc, 0, v11, vcc
	s_andn2_b64 s[2:3], s[2:3], exec
	s_or_b64 s[40:41], s[40:41], s[44:45]
	s_or_b64 s[38:39], s[38:39], s[4:5]
                                        ; implicit-def: $sgpr44_sgpr45
	s_branch .LBB1605_125
.LBB1605_128:
	s_or_b64 exec, exec, s[28:29]
.LBB1605_129:
	s_or_b64 exec, exec, s[26:27]
	v_add_u32_e32 v8, v14, v21
	v_add_u32_e32 v20, v23, v20
	v_sub_u32_e32 v21, v8, v23
	v_cmp_le_u32_e32 vcc, v20, v14
	v_cmp_le_u32_e64 s[0:1], v21, v15
	s_or_b64 s[0:1], vcc, s[0:1]
	s_and_saveexec_b64 s[4:5], s[0:1]
	s_cbranch_execz .LBB1605_176
; %bb.130:
	v_cmp_ge_u32_e32 vcc, v20, v14
	v_cmp_lt_u32_e64 s[0:1], v20, v14
                                        ; implicit-def: $vgpr0_vgpr1
	s_and_saveexec_b64 s[2:3], s[0:1]
	s_cbranch_execz .LBB1605_132
; %bb.131:
	v_lshl_add_u32 v0, v23, 3, v22
	ds_read_b64 v[0:1], v0
.LBB1605_132:
	s_or_b64 exec, exec, s[2:3]
	v_cmp_ge_u32_e64 s[26:27], v21, v15
	v_cmp_lt_u32_e64 s[0:1], v21, v15
                                        ; implicit-def: $vgpr4_vgpr5
	s_and_saveexec_b64 s[2:3], s[0:1]
	s_cbranch_execz .LBB1605_134
; %bb.133:
	v_lshl_add_u32 v2, v21, 3, v16
	ds_read_b64 v[4:5], v2
.LBB1605_134:
	s_or_b64 exec, exec, s[2:3]
	s_or_b64 s[0:1], vcc, s[26:27]
	s_mov_b64 s[28:29], -1
	s_xor_b64 s[0:1], s[0:1], -1
	s_and_saveexec_b64 s[30:31], s[0:1]
	s_cbranch_execz .LBB1605_143
; %bb.135:
	s_andn2_b64 vcc, exec, s[24:25]
	s_cbranch_vccnz .LBB1605_141
; %bb.136:
	s_waitcnt lgkmcnt(0)
	v_mul_lo_u32 v6, v5, s16
	v_mul_lo_u32 v7, v4, s17
	v_mad_u64_u32 v[2:3], s[0:1], v4, s16, 0
	v_add3_u32 v3, v3, v7, v6
	v_lshlrev_b64 v[2:3], 3, v[2:3]
	v_mov_b32_e32 v6, s19
	v_add_co_u32_e32 v2, vcc, s18, v2
	v_addc_co_u32_e32 v3, vcc, v6, v3, vcc
	v_mul_lo_u32 v8, v1, s16
	v_mul_lo_u32 v9, v0, s17
	v_mad_u64_u32 v[6:7], s[0:1], v0, s16, 0
	v_add3_u32 v7, v7, v9, v8
	v_lshlrev_b64 v[6:7], 3, v[6:7]
	v_mov_b32_e32 v8, s19
	v_add_co_u32_e32 v6, vcc, s18, v6
	v_addc_co_u32_e32 v7, vcc, v8, v7, vcc
	s_mov_b64 s[34:35], 0
	s_mov_b64 s[42:43], s[16:17]
                                        ; implicit-def: $sgpr36_sgpr37
                                        ; implicit-def: $sgpr38_sgpr39
                                        ; implicit-def: $sgpr0_sgpr1
                                        ; implicit-def: $sgpr40_sgpr41
                                        ; implicit-def: $sgpr44_sgpr45
	s_branch .LBB1605_138
.LBB1605_137:                           ;   in Loop: Header=BB1605_138 Depth=1
	s_or_b64 exec, exec, s[46:47]
	s_and_b64 s[2:3], exec, s[38:39]
	s_or_b64 s[34:35], s[2:3], s[34:35]
	s_andn2_b64 s[2:3], s[44:45], exec
	s_and_b64 s[44:45], s[40:41], exec
	s_or_b64 s[44:45], s[2:3], s[44:45]
	s_andn2_b64 s[2:3], s[36:37], exec
	s_and_b64 s[36:37], s[0:1], exec
	s_or_b64 s[36:37], s[2:3], s[36:37]
	s_andn2_b64 exec, exec, s[34:35]
	s_cbranch_execz .LBB1605_140
.LBB1605_138:                           ; =>This Inner Loop Header: Depth=1
	global_load_dwordx2 v[8:9], v[2:3], off
	global_load_dwordx2 v[10:11], v[6:7], off
	s_andn2_b64 s[46:47], s[0:1], exec
	s_andn2_b64 s[40:41], s[40:41], exec
	s_or_b64 s[38:39], s[38:39], exec
	s_waitcnt vmcnt(0)
	v_cmp_le_u64_e64 s[0:1], v[8:9], v[10:11]
	v_cmp_lt_u64_e32 vcc, v[8:9], v[10:11]
	s_and_b64 s[0:1], s[0:1], s[44:45]
	s_or_b64 s[48:49], vcc, s[0:1]
	s_and_b64 s[0:1], s[48:49], exec
	v_cmp_eq_u64_e64 s[2:3], v[8:9], v[10:11]
	s_or_b64 s[0:1], s[46:47], s[0:1]
	s_and_saveexec_b64 s[46:47], s[2:3]
	s_cbranch_execz .LBB1605_137
; %bb.139:                              ;   in Loop: Header=BB1605_138 Depth=1
	s_add_u32 s42, s42, -1
	s_addc_u32 s43, s43, -1
	v_add_co_u32_e32 v2, vcc, 8, v2
	s_cmp_eq_u64 s[42:43], 0
	v_addc_co_u32_e32 v3, vcc, 0, v3, vcc
	s_cselect_b64 s[2:3], -1, 0
	v_add_co_u32_e32 v6, vcc, 8, v6
	s_andn2_b64 s[40:41], s[40:41], exec
	s_and_b64 s[44:45], s[48:49], exec
	s_andn2_b64 s[38:39], s[38:39], exec
	s_and_b64 s[2:3], s[2:3], exec
	v_addc_co_u32_e32 v7, vcc, 0, v7, vcc
	s_or_b64 s[40:41], s[40:41], s[44:45]
	s_andn2_b64 s[0:1], s[0:1], exec
	s_or_b64 s[38:39], s[38:39], s[2:3]
                                        ; implicit-def: $sgpr44_sgpr45
	s_branch .LBB1605_137
.LBB1605_140:
	s_or_b64 exec, exec, s[34:35]
	s_xor_b64 s[0:1], s[36:37], -1
	s_branch .LBB1605_142
.LBB1605_141:
	s_mov_b64 s[0:1], -1
.LBB1605_142:
	s_andn2_b64 s[2:3], s[26:27], exec
	s_and_b64 s[0:1], s[0:1], exec
	s_or_b64 s[26:27], s[2:3], s[0:1]
.LBB1605_143:
	s_or_b64 exec, exec, s[30:31]
	v_cndmask_b32_e64 v2, v21, v20, s[26:27]
	v_cndmask_b32_e64 v3, v15, v14, s[26:27]
	v_add_u32_e32 v6, 1, v2
	v_add_u32_e32 v2, -1, v3
	v_min_u32_e32 v2, v6, v2
	v_lshl_add_u32 v2, v2, 3, v16
	ds_read_b64 v[2:3], v2
	v_cndmask_b32_e64 v22, v6, v21, s[26:27]
	v_cndmask_b32_e64 v37, v20, v6, s[26:27]
	v_cmp_lt_u32_e32 vcc, v22, v15
	s_waitcnt lgkmcnt(0)
	v_cndmask_b32_e64 v8, v3, v5, s[26:27]
	v_cndmask_b32_e64 v9, v2, v4, s[26:27]
	;; [unrolled: 1-line block ×4, first 2 shown]
	s_and_saveexec_b64 s[30:31], vcc
	s_cbranch_execz .LBB1605_154
; %bb.144:
	v_cmp_lt_u32_e32 vcc, v37, v14
	s_mov_b64 s[0:1], 0
	s_and_saveexec_b64 s[28:29], vcc
	s_cbranch_execz .LBB1605_153
; %bb.145:
	s_andn2_b64 vcc, exec, s[24:25]
	s_cbranch_vccnz .LBB1605_151
; %bb.146:
	v_mul_lo_u32 v6, v8, s16
	v_mul_lo_u32 v7, v9, s17
	v_mad_u64_u32 v[2:3], s[0:1], v9, s16, 0
	v_add3_u32 v3, v3, v7, v6
	v_lshlrev_b64 v[2:3], 3, v[2:3]
	v_mov_b32_e32 v6, s19
	v_add_co_u32_e32 v2, vcc, s18, v2
	v_addc_co_u32_e32 v3, vcc, v6, v3, vcc
	v_mul_lo_u32 v20, v10, s16
	v_mul_lo_u32 v21, v11, s17
	v_mad_u64_u32 v[6:7], s[0:1], v11, s16, 0
	v_add3_u32 v7, v7, v21, v20
	v_lshlrev_b64 v[6:7], 3, v[6:7]
	v_mov_b32_e32 v20, s19
	v_add_co_u32_e32 v6, vcc, s18, v6
	v_addc_co_u32_e32 v7, vcc, v20, v7, vcc
	s_mov_b64 s[34:35], 0
	s_mov_b64 s[42:43], s[16:17]
                                        ; implicit-def: $sgpr36_sgpr37
                                        ; implicit-def: $sgpr38_sgpr39
                                        ; implicit-def: $sgpr0_sgpr1
                                        ; implicit-def: $sgpr40_sgpr41
                                        ; implicit-def: $sgpr44_sgpr45
	s_branch .LBB1605_148
.LBB1605_147:                           ;   in Loop: Header=BB1605_148 Depth=1
	s_or_b64 exec, exec, s[46:47]
	s_and_b64 s[2:3], exec, s[38:39]
	s_or_b64 s[34:35], s[2:3], s[34:35]
	s_andn2_b64 s[2:3], s[44:45], exec
	s_and_b64 s[44:45], s[40:41], exec
	s_or_b64 s[44:45], s[2:3], s[44:45]
	s_andn2_b64 s[2:3], s[36:37], exec
	s_and_b64 s[36:37], s[0:1], exec
	s_or_b64 s[36:37], s[2:3], s[36:37]
	s_andn2_b64 exec, exec, s[34:35]
	s_cbranch_execz .LBB1605_150
.LBB1605_148:                           ; =>This Inner Loop Header: Depth=1
	global_load_dwordx2 v[20:21], v[2:3], off
	global_load_dwordx2 v[24:25], v[6:7], off
	s_andn2_b64 s[46:47], s[0:1], exec
	s_andn2_b64 s[40:41], s[40:41], exec
	s_or_b64 s[38:39], s[38:39], exec
	s_waitcnt vmcnt(0)
	v_cmp_le_u64_e64 s[0:1], v[20:21], v[24:25]
	v_cmp_lt_u64_e32 vcc, v[20:21], v[24:25]
	s_and_b64 s[0:1], s[0:1], s[44:45]
	s_or_b64 s[48:49], vcc, s[0:1]
	s_and_b64 s[0:1], s[48:49], exec
	v_cmp_eq_u64_e64 s[2:3], v[20:21], v[24:25]
	s_or_b64 s[0:1], s[46:47], s[0:1]
	s_and_saveexec_b64 s[46:47], s[2:3]
	s_cbranch_execz .LBB1605_147
; %bb.149:                              ;   in Loop: Header=BB1605_148 Depth=1
	s_add_u32 s42, s42, -1
	s_addc_u32 s43, s43, -1
	v_add_co_u32_e32 v2, vcc, 8, v2
	s_cmp_eq_u64 s[42:43], 0
	v_addc_co_u32_e32 v3, vcc, 0, v3, vcc
	s_cselect_b64 s[2:3], -1, 0
	v_add_co_u32_e32 v6, vcc, 8, v6
	s_andn2_b64 s[40:41], s[40:41], exec
	s_and_b64 s[44:45], s[48:49], exec
	s_andn2_b64 s[38:39], s[38:39], exec
	s_and_b64 s[2:3], s[2:3], exec
	v_addc_co_u32_e32 v7, vcc, 0, v7, vcc
	s_or_b64 s[40:41], s[40:41], s[44:45]
	s_andn2_b64 s[0:1], s[0:1], exec
	s_or_b64 s[38:39], s[38:39], s[2:3]
                                        ; implicit-def: $sgpr44_sgpr45
	s_branch .LBB1605_147
.LBB1605_150:
	s_or_b64 exec, exec, s[34:35]
	s_xor_b64 s[0:1], s[36:37], -1
	s_branch .LBB1605_152
.LBB1605_151:
	s_mov_b64 s[0:1], -1
.LBB1605_152:
	s_and_b64 s[0:1], s[0:1], exec
.LBB1605_153:
	s_or_b64 exec, exec, s[28:29]
	s_orn2_b64 s[28:29], s[0:1], exec
.LBB1605_154:
	s_or_b64 exec, exec, s[30:31]
	v_cndmask_b32_e64 v2, v22, v37, s[28:29]
	v_cndmask_b32_e64 v3, v15, v14, s[28:29]
	v_add_u32_e32 v6, 1, v2
	v_add_u32_e32 v2, -1, v3
	v_min_u32_e32 v2, v6, v2
	v_lshl_add_u32 v2, v2, 3, v16
	ds_read_b64 v[2:3], v2
	v_cndmask_b32_e64 v23, v6, v22, s[28:29]
	v_cndmask_b32_e64 v22, v37, v6, s[28:29]
	v_cmp_lt_u32_e32 vcc, v23, v15
	s_mov_b64 s[0:1], -1
	s_waitcnt lgkmcnt(0)
	v_cndmask_b32_e64 v20, v3, v8, s[28:29]
	v_cndmask_b32_e64 v21, v2, v9, s[28:29]
	;; [unrolled: 1-line block ×4, first 2 shown]
	s_and_saveexec_b64 s[30:31], vcc
	s_cbranch_execz .LBB1605_165
; %bb.155:
	v_cmp_lt_u32_e32 vcc, v22, v14
	s_mov_b64 s[0:1], 0
	s_and_saveexec_b64 s[34:35], vcc
	s_cbranch_execz .LBB1605_164
; %bb.156:
	s_andn2_b64 vcc, exec, s[24:25]
	s_cbranch_vccnz .LBB1605_162
; %bb.157:
	v_mul_lo_u32 v6, v20, s16
	v_mul_lo_u32 v7, v21, s17
	v_mad_u64_u32 v[2:3], s[0:1], v21, s16, 0
	v_add3_u32 v3, v3, v7, v6
	v_lshlrev_b64 v[2:3], 3, v[2:3]
	v_mov_b32_e32 v6, s19
	v_add_co_u32_e32 v2, vcc, s18, v2
	v_addc_co_u32_e32 v3, vcc, v6, v3, vcc
	v_mul_lo_u32 v37, v24, s16
	v_mul_lo_u32 v38, v25, s17
	v_mad_u64_u32 v[6:7], s[0:1], v25, s16, 0
	v_add3_u32 v7, v7, v38, v37
	v_lshlrev_b64 v[6:7], 3, v[6:7]
	v_mov_b32_e32 v37, s19
	v_add_co_u32_e32 v6, vcc, s18, v6
	v_addc_co_u32_e32 v7, vcc, v37, v7, vcc
	s_mov_b64 s[36:37], 0
	s_mov_b64 s[44:45], s[16:17]
                                        ; implicit-def: $sgpr38_sgpr39
                                        ; implicit-def: $sgpr40_sgpr41
                                        ; implicit-def: $sgpr0_sgpr1
                                        ; implicit-def: $sgpr42_sgpr43
                                        ; implicit-def: $sgpr46_sgpr47
	s_branch .LBB1605_159
.LBB1605_158:                           ;   in Loop: Header=BB1605_159 Depth=1
	s_or_b64 exec, exec, s[48:49]
	s_and_b64 s[2:3], exec, s[40:41]
	s_or_b64 s[36:37], s[2:3], s[36:37]
	s_andn2_b64 s[2:3], s[46:47], exec
	s_and_b64 s[46:47], s[42:43], exec
	s_or_b64 s[46:47], s[2:3], s[46:47]
	s_andn2_b64 s[2:3], s[38:39], exec
	s_and_b64 s[38:39], s[0:1], exec
	s_or_b64 s[38:39], s[2:3], s[38:39]
	s_andn2_b64 exec, exec, s[36:37]
	s_cbranch_execz .LBB1605_161
.LBB1605_159:                           ; =>This Inner Loop Header: Depth=1
	global_load_dwordx2 v[38:39], v[2:3], off
	global_load_dwordx2 v[40:41], v[6:7], off
	s_andn2_b64 s[48:49], s[0:1], exec
	s_andn2_b64 s[42:43], s[42:43], exec
	s_or_b64 s[40:41], s[40:41], exec
	s_waitcnt vmcnt(0)
	v_cmp_le_u64_e64 s[0:1], v[38:39], v[40:41]
	v_cmp_lt_u64_e32 vcc, v[38:39], v[40:41]
	s_and_b64 s[0:1], s[0:1], s[46:47]
	s_or_b64 s[50:51], vcc, s[0:1]
	s_and_b64 s[0:1], s[50:51], exec
	v_cmp_eq_u64_e64 s[2:3], v[38:39], v[40:41]
	s_or_b64 s[0:1], s[48:49], s[0:1]
	s_and_saveexec_b64 s[48:49], s[2:3]
	s_cbranch_execz .LBB1605_158
; %bb.160:                              ;   in Loop: Header=BB1605_159 Depth=1
	s_add_u32 s44, s44, -1
	s_addc_u32 s45, s45, -1
	v_add_co_u32_e32 v2, vcc, 8, v2
	s_cmp_eq_u64 s[44:45], 0
	v_addc_co_u32_e32 v3, vcc, 0, v3, vcc
	s_cselect_b64 s[2:3], -1, 0
	v_add_co_u32_e32 v6, vcc, 8, v6
	s_andn2_b64 s[42:43], s[42:43], exec
	s_and_b64 s[46:47], s[50:51], exec
	s_andn2_b64 s[40:41], s[40:41], exec
	s_and_b64 s[2:3], s[2:3], exec
	v_addc_co_u32_e32 v7, vcc, 0, v7, vcc
	s_or_b64 s[42:43], s[42:43], s[46:47]
	s_andn2_b64 s[0:1], s[0:1], exec
	s_or_b64 s[40:41], s[40:41], s[2:3]
                                        ; implicit-def: $sgpr46_sgpr47
	s_branch .LBB1605_158
.LBB1605_161:
	s_or_b64 exec, exec, s[36:37]
	s_xor_b64 s[0:1], s[38:39], -1
	s_branch .LBB1605_163
.LBB1605_162:
	s_mov_b64 s[0:1], -1
.LBB1605_163:
	s_and_b64 s[0:1], s[0:1], exec
.LBB1605_164:
	s_or_b64 exec, exec, s[34:35]
	s_orn2_b64 s[0:1], s[0:1], exec
.LBB1605_165:
	s_or_b64 exec, exec, s[30:31]
	v_cndmask_b32_e64 v6, v23, v22, s[0:1]
	v_cndmask_b32_e64 v7, v15, v14, s[0:1]
	;; [unrolled: 1-line block ×3, first 2 shown]
	v_add_u32_e32 v10, 1, v6
	v_add_u32_e32 v6, -1, v7
	v_min_u32_e32 v6, v10, v6
	v_lshl_add_u32 v6, v6, 3, v16
	v_cndmask_b32_e64 v2, v9, v11, s[28:29]
	ds_read_b64 v[8:9], v6
	v_cndmask_b32_e64 v11, v10, v23, s[0:1]
	v_cndmask_b32_e64 v1, v5, v1, s[26:27]
	;; [unrolled: 1-line block ×5, first 2 shown]
	s_waitcnt lgkmcnt(0)
	v_cndmask_b32_e64 v7, v24, v9, s[0:1]
	v_cndmask_b32_e64 v6, v25, v8, s[0:1]
	v_cmp_lt_u32_e32 vcc, v11, v15
	s_and_saveexec_b64 s[26:27], vcc
	s_cbranch_execz .LBB1605_175
; %bb.166:
	v_cndmask_b32_e64 v10, v22, v10, s[0:1]
	v_cndmask_b32_e64 v9, v9, v20, s[0:1]
	;; [unrolled: 1-line block ×3, first 2 shown]
	v_cmp_lt_u32_e32 vcc, v10, v14
	s_and_saveexec_b64 s[28:29], vcc
	s_cbranch_execz .LBB1605_174
; %bb.167:
	s_andn2_b64 vcc, exec, s[24:25]
	s_cbranch_vccnz .LBB1605_173
; %bb.168:
	v_mul_lo_u32 v14, v9, s16
	v_mul_lo_u32 v15, v8, s17
	v_mad_u64_u32 v[10:11], s[0:1], v8, s16, 0
	v_add3_u32 v11, v11, v15, v14
	v_lshlrev_b64 v[10:11], 3, v[10:11]
	v_mov_b32_e32 v14, s19
	v_add_co_u32_e32 v10, vcc, s18, v10
	v_addc_co_u32_e32 v11, vcc, v14, v11, vcc
	v_mul_lo_u32 v20, v7, s16
	v_mul_lo_u32 v21, v6, s17
	v_mad_u64_u32 v[14:15], s[0:1], v6, s16, 0
	v_add3_u32 v15, v15, v21, v20
	v_lshlrev_b64 v[14:15], 3, v[14:15]
	v_mov_b32_e32 v20, s19
	v_add_co_u32_e32 v14, vcc, s18, v14
	v_addc_co_u32_e32 v15, vcc, v20, v15, vcc
	s_mov_b64 s[30:31], 0
	s_mov_b64 s[40:41], s[16:17]
                                        ; implicit-def: $sgpr34_sgpr35
                                        ; implicit-def: $sgpr36_sgpr37
                                        ; implicit-def: $sgpr0_sgpr1
                                        ; implicit-def: $sgpr38_sgpr39
                                        ; implicit-def: $sgpr42_sgpr43
	s_branch .LBB1605_170
.LBB1605_169:                           ;   in Loop: Header=BB1605_170 Depth=1
	s_or_b64 exec, exec, s[44:45]
	s_and_b64 s[2:3], exec, s[36:37]
	s_or_b64 s[30:31], s[2:3], s[30:31]
	s_andn2_b64 s[2:3], s[42:43], exec
	s_and_b64 s[42:43], s[38:39], exec
	s_or_b64 s[42:43], s[2:3], s[42:43]
	s_andn2_b64 s[2:3], s[34:35], exec
	s_and_b64 s[34:35], s[0:1], exec
	s_or_b64 s[34:35], s[2:3], s[34:35]
	s_andn2_b64 exec, exec, s[30:31]
	s_cbranch_execz .LBB1605_172
.LBB1605_170:                           ; =>This Inner Loop Header: Depth=1
	global_load_dwordx2 v[20:21], v[10:11], off
	global_load_dwordx2 v[22:23], v[14:15], off
	s_andn2_b64 s[44:45], s[0:1], exec
	s_andn2_b64 s[38:39], s[38:39], exec
	s_or_b64 s[36:37], s[36:37], exec
	s_waitcnt vmcnt(0)
	v_cmp_le_u64_e64 s[0:1], v[20:21], v[22:23]
	v_cmp_lt_u64_e32 vcc, v[20:21], v[22:23]
	s_and_b64 s[0:1], s[0:1], s[42:43]
	s_or_b64 s[46:47], vcc, s[0:1]
	s_and_b64 s[0:1], s[46:47], exec
	v_cmp_eq_u64_e64 s[2:3], v[20:21], v[22:23]
	s_or_b64 s[0:1], s[44:45], s[0:1]
	s_and_saveexec_b64 s[44:45], s[2:3]
	s_cbranch_execz .LBB1605_169
; %bb.171:                              ;   in Loop: Header=BB1605_170 Depth=1
	s_add_u32 s40, s40, -1
	s_addc_u32 s41, s41, -1
	v_add_co_u32_e32 v10, vcc, 8, v10
	s_cmp_eq_u64 s[40:41], 0
	v_addc_co_u32_e32 v11, vcc, 0, v11, vcc
	s_cselect_b64 s[2:3], -1, 0
	v_add_co_u32_e32 v14, vcc, 8, v14
	s_andn2_b64 s[38:39], s[38:39], exec
	s_and_b64 s[42:43], s[46:47], exec
	s_andn2_b64 s[36:37], s[36:37], exec
	s_and_b64 s[2:3], s[2:3], exec
	v_addc_co_u32_e32 v15, vcc, 0, v15, vcc
	s_or_b64 s[38:39], s[38:39], s[42:43]
	s_andn2_b64 s[0:1], s[0:1], exec
	s_or_b64 s[36:37], s[36:37], s[2:3]
                                        ; implicit-def: $sgpr42_sgpr43
	s_branch .LBB1605_169
.LBB1605_172:
	s_or_b64 exec, exec, s[30:31]
	v_cndmask_b32_e64 v7, v7, v9, s[34:35]
	v_cndmask_b32_e64 v6, v6, v8, s[34:35]
.LBB1605_173:
	v_pk_mov_b32 v[8:9], v[6:7], v[6:7] op_sel:[0,1]
.LBB1605_174:
	s_or_b64 exec, exec, s[28:29]
	v_pk_mov_b32 v[6:7], v[8:9], v[8:9] op_sel:[0,1]
.LBB1605_175:
	s_or_b64 exec, exec, s[26:27]
.LBB1605_176:
	s_or_b64 exec, exec, s[4:5]
	v_and_b32_e32 v20, 0x1e0, v18
	v_or_b32_e32 v8, 16, v20
	v_min_u32_e32 v14, v17, v8
	v_add_u32_e32 v8, 16, v14
	v_min_u32_e32 v15, v17, v8
	v_and_b32_e32 v8, 28, v18
	v_min_u32_e32 v21, v17, v8
	v_sub_u32_e32 v8, v14, v20
	v_sub_u32_e32 v9, v15, v14
	v_sub_u32_e64 v23, v21, v9 clamp
	v_min_u32_e32 v24, v21, v8
	v_lshl_add_u32 v22, v20, 3, v16
	v_cmp_lt_u32_e32 vcc, v23, v24
	; wave barrier
	ds_write_b128 v19, v[0:3]
	ds_write_b128 v19, v[4:7] offset:16
	; wave barrier
	s_and_saveexec_b64 s[26:27], vcc
	s_cbranch_execz .LBB1605_186
; %bb.177:
	v_lshlrev_b32_e32 v8, 3, v14
	v_lshlrev_b32_e32 v9, 3, v21
	v_add3_u32 v25, v16, v8, v9
	v_cndmask_b32_e64 v8, 0, 1, s[24:25]
	s_lshl_b64 s[30:31], s[16:17], 3
	s_mov_b64 s[28:29], 0
	v_cmp_ne_u32_e64 s[0:1], 1, v8
	s_branch .LBB1605_180
.LBB1605_178:                           ;   in Loop: Header=BB1605_180 Depth=1
	s_or_b64 exec, exec, s[36:37]
.LBB1605_179:                           ;   in Loop: Header=BB1605_180 Depth=1
	v_add_u32_e32 v8, 1, v37
	v_cndmask_b32_e64 v24, v24, v37, s[34:35]
	v_cndmask_b32_e64 v23, v8, v23, s[34:35]
	v_cmp_ge_u32_e32 vcc, v23, v24
	s_or_b64 s[28:29], vcc, s[28:29]
	s_andn2_b64 exec, exec, s[28:29]
	s_cbranch_execz .LBB1605_185
.LBB1605_180:                           ; =>This Loop Header: Depth=1
                                        ;     Child Loop BB1605_183 Depth 2
	v_add_u32_e32 v8, v24, v23
	v_lshrrev_b32_e32 v37, 1, v8
	s_and_b64 vcc, exec, s[0:1]
	s_mov_b64 s[34:35], 0
	s_cbranch_vccnz .LBB1605_179
; %bb.181:                              ;   in Loop: Header=BB1605_180 Depth=1
	v_not_b32_e32 v8, v37
	v_lshl_add_u32 v8, v8, 3, v25
	ds_read_b64 v[8:9], v8
	v_lshl_add_u32 v38, v37, 3, v22
	ds_read_b64 v[38:39], v38
	v_pk_mov_b32 v[10:11], s[18:19], s[18:19] op_sel:[0,1]
	s_mov_b64 s[36:37], 0
	s_waitcnt lgkmcnt(1)
	v_mul_lo_u32 v40, s30, v9
	v_mul_lo_u32 v41, s31, v8
	v_mad_u64_u32 v[8:9], s[2:3], s30, v8, v[10:11]
	v_add3_u32 v9, v41, v9, v40
	s_waitcnt lgkmcnt(0)
	v_mul_lo_u32 v39, s30, v39
	v_mul_lo_u32 v40, s31, v38
	v_mad_u64_u32 v[10:11], s[2:3], s30, v38, v[10:11]
	v_add3_u32 v11, v40, v11, v39
	s_mov_b64 s[42:43], s[16:17]
                                        ; implicit-def: $sgpr34_sgpr35
                                        ; implicit-def: $sgpr38_sgpr39
                                        ; implicit-def: $sgpr40_sgpr41
                                        ; implicit-def: $sgpr2_sgpr3
                                        ; implicit-def: $sgpr44_sgpr45
	s_branch .LBB1605_183
.LBB1605_182:                           ;   in Loop: Header=BB1605_183 Depth=2
	s_or_b64 exec, exec, s[46:47]
	s_and_b64 s[4:5], exec, s[38:39]
	s_or_b64 s[36:37], s[4:5], s[36:37]
	s_andn2_b64 s[4:5], s[44:45], exec
	s_and_b64 s[44:45], s[40:41], exec
	s_or_b64 s[44:45], s[4:5], s[44:45]
	s_andn2_b64 s[4:5], s[34:35], exec
	s_and_b64 s[34:35], s[2:3], exec
	s_or_b64 s[34:35], s[4:5], s[34:35]
	s_andn2_b64 exec, exec, s[36:37]
	s_cbranch_execz .LBB1605_178
.LBB1605_183:                           ;   Parent Loop BB1605_180 Depth=1
                                        ; =>  This Inner Loop Header: Depth=2
	global_load_dwordx2 v[38:39], v[8:9], off
	global_load_dwordx2 v[40:41], v[10:11], off
	s_andn2_b64 s[46:47], s[2:3], exec
	s_andn2_b64 s[40:41], s[40:41], exec
	s_or_b64 s[38:39], s[38:39], exec
	s_waitcnt vmcnt(0)
	v_cmp_le_u64_e64 s[2:3], v[38:39], v[40:41]
	v_cmp_lt_u64_e32 vcc, v[38:39], v[40:41]
	s_and_b64 s[2:3], s[2:3], s[44:45]
	s_or_b64 s[48:49], vcc, s[2:3]
	s_and_b64 s[2:3], s[48:49], exec
	v_cmp_eq_u64_e64 s[4:5], v[38:39], v[40:41]
	s_or_b64 s[2:3], s[46:47], s[2:3]
	s_and_saveexec_b64 s[46:47], s[4:5]
	s_cbranch_execz .LBB1605_182
; %bb.184:                              ;   in Loop: Header=BB1605_183 Depth=2
	s_add_u32 s42, s42, -1
	s_addc_u32 s43, s43, -1
	v_add_co_u32_e32 v8, vcc, 8, v8
	s_cmp_eq_u64 s[42:43], 0
	v_addc_co_u32_e32 v9, vcc, 0, v9, vcc
	s_cselect_b64 s[4:5], -1, 0
	v_add_co_u32_e32 v10, vcc, 8, v10
	s_andn2_b64 s[40:41], s[40:41], exec
	s_and_b64 s[44:45], s[48:49], exec
	s_andn2_b64 s[38:39], s[38:39], exec
	s_and_b64 s[4:5], s[4:5], exec
	v_addc_co_u32_e32 v11, vcc, 0, v11, vcc
	s_andn2_b64 s[2:3], s[2:3], exec
	s_or_b64 s[40:41], s[40:41], s[44:45]
	s_or_b64 s[38:39], s[38:39], s[4:5]
                                        ; implicit-def: $sgpr44_sgpr45
	s_branch .LBB1605_182
.LBB1605_185:
	s_or_b64 exec, exec, s[28:29]
.LBB1605_186:
	s_or_b64 exec, exec, s[26:27]
	v_add_u32_e32 v8, v14, v21
	v_add_u32_e32 v20, v23, v20
	v_sub_u32_e32 v21, v8, v23
	v_cmp_le_u32_e32 vcc, v20, v14
	v_cmp_le_u32_e64 s[0:1], v21, v15
	s_or_b64 s[0:1], vcc, s[0:1]
	s_and_saveexec_b64 s[4:5], s[0:1]
	s_cbranch_execz .LBB1605_233
; %bb.187:
	v_cmp_ge_u32_e32 vcc, v20, v14
	v_cmp_lt_u32_e64 s[0:1], v20, v14
                                        ; implicit-def: $vgpr0_vgpr1
	s_and_saveexec_b64 s[2:3], s[0:1]
	s_cbranch_execz .LBB1605_189
; %bb.188:
	v_lshl_add_u32 v0, v23, 3, v22
	ds_read_b64 v[0:1], v0
.LBB1605_189:
	s_or_b64 exec, exec, s[2:3]
	v_cmp_ge_u32_e64 s[26:27], v21, v15
	v_cmp_lt_u32_e64 s[0:1], v21, v15
                                        ; implicit-def: $vgpr4_vgpr5
	s_and_saveexec_b64 s[2:3], s[0:1]
	s_cbranch_execz .LBB1605_191
; %bb.190:
	v_lshl_add_u32 v2, v21, 3, v16
	ds_read_b64 v[4:5], v2
.LBB1605_191:
	s_or_b64 exec, exec, s[2:3]
	s_or_b64 s[0:1], vcc, s[26:27]
	s_mov_b64 s[28:29], -1
	s_xor_b64 s[0:1], s[0:1], -1
	s_and_saveexec_b64 s[30:31], s[0:1]
	s_cbranch_execz .LBB1605_200
; %bb.192:
	s_andn2_b64 vcc, exec, s[24:25]
	s_cbranch_vccnz .LBB1605_198
; %bb.193:
	s_waitcnt lgkmcnt(0)
	v_mul_lo_u32 v6, v5, s16
	v_mul_lo_u32 v7, v4, s17
	v_mad_u64_u32 v[2:3], s[0:1], v4, s16, 0
	v_add3_u32 v3, v3, v7, v6
	v_lshlrev_b64 v[2:3], 3, v[2:3]
	v_mov_b32_e32 v6, s19
	v_add_co_u32_e32 v2, vcc, s18, v2
	v_addc_co_u32_e32 v3, vcc, v6, v3, vcc
	v_mul_lo_u32 v8, v1, s16
	v_mul_lo_u32 v9, v0, s17
	v_mad_u64_u32 v[6:7], s[0:1], v0, s16, 0
	v_add3_u32 v7, v7, v9, v8
	v_lshlrev_b64 v[6:7], 3, v[6:7]
	v_mov_b32_e32 v8, s19
	v_add_co_u32_e32 v6, vcc, s18, v6
	v_addc_co_u32_e32 v7, vcc, v8, v7, vcc
	s_mov_b64 s[34:35], 0
	s_mov_b64 s[42:43], s[16:17]
                                        ; implicit-def: $sgpr36_sgpr37
                                        ; implicit-def: $sgpr38_sgpr39
                                        ; implicit-def: $sgpr0_sgpr1
                                        ; implicit-def: $sgpr40_sgpr41
                                        ; implicit-def: $sgpr44_sgpr45
	s_branch .LBB1605_195
.LBB1605_194:                           ;   in Loop: Header=BB1605_195 Depth=1
	s_or_b64 exec, exec, s[46:47]
	s_and_b64 s[2:3], exec, s[38:39]
	s_or_b64 s[34:35], s[2:3], s[34:35]
	s_andn2_b64 s[2:3], s[44:45], exec
	s_and_b64 s[44:45], s[40:41], exec
	s_or_b64 s[44:45], s[2:3], s[44:45]
	s_andn2_b64 s[2:3], s[36:37], exec
	s_and_b64 s[36:37], s[0:1], exec
	s_or_b64 s[36:37], s[2:3], s[36:37]
	s_andn2_b64 exec, exec, s[34:35]
	s_cbranch_execz .LBB1605_197
.LBB1605_195:                           ; =>This Inner Loop Header: Depth=1
	global_load_dwordx2 v[8:9], v[2:3], off
	global_load_dwordx2 v[10:11], v[6:7], off
	s_andn2_b64 s[46:47], s[0:1], exec
	s_andn2_b64 s[40:41], s[40:41], exec
	s_or_b64 s[38:39], s[38:39], exec
	s_waitcnt vmcnt(0)
	v_cmp_le_u64_e64 s[0:1], v[8:9], v[10:11]
	v_cmp_lt_u64_e32 vcc, v[8:9], v[10:11]
	s_and_b64 s[0:1], s[0:1], s[44:45]
	s_or_b64 s[48:49], vcc, s[0:1]
	s_and_b64 s[0:1], s[48:49], exec
	v_cmp_eq_u64_e64 s[2:3], v[8:9], v[10:11]
	s_or_b64 s[0:1], s[46:47], s[0:1]
	s_and_saveexec_b64 s[46:47], s[2:3]
	s_cbranch_execz .LBB1605_194
; %bb.196:                              ;   in Loop: Header=BB1605_195 Depth=1
	s_add_u32 s42, s42, -1
	s_addc_u32 s43, s43, -1
	v_add_co_u32_e32 v2, vcc, 8, v2
	s_cmp_eq_u64 s[42:43], 0
	v_addc_co_u32_e32 v3, vcc, 0, v3, vcc
	s_cselect_b64 s[2:3], -1, 0
	v_add_co_u32_e32 v6, vcc, 8, v6
	s_andn2_b64 s[40:41], s[40:41], exec
	s_and_b64 s[44:45], s[48:49], exec
	s_andn2_b64 s[38:39], s[38:39], exec
	s_and_b64 s[2:3], s[2:3], exec
	v_addc_co_u32_e32 v7, vcc, 0, v7, vcc
	s_or_b64 s[40:41], s[40:41], s[44:45]
	s_andn2_b64 s[0:1], s[0:1], exec
	s_or_b64 s[38:39], s[38:39], s[2:3]
                                        ; implicit-def: $sgpr44_sgpr45
	s_branch .LBB1605_194
.LBB1605_197:
	s_or_b64 exec, exec, s[34:35]
	s_xor_b64 s[0:1], s[36:37], -1
	s_branch .LBB1605_199
.LBB1605_198:
	s_mov_b64 s[0:1], -1
.LBB1605_199:
	s_andn2_b64 s[2:3], s[26:27], exec
	s_and_b64 s[0:1], s[0:1], exec
	s_or_b64 s[26:27], s[2:3], s[0:1]
.LBB1605_200:
	s_or_b64 exec, exec, s[30:31]
	v_cndmask_b32_e64 v2, v21, v20, s[26:27]
	v_cndmask_b32_e64 v3, v15, v14, s[26:27]
	v_add_u32_e32 v6, 1, v2
	v_add_u32_e32 v2, -1, v3
	v_min_u32_e32 v2, v6, v2
	v_lshl_add_u32 v2, v2, 3, v16
	ds_read_b64 v[2:3], v2
	v_cndmask_b32_e64 v22, v6, v21, s[26:27]
	v_cndmask_b32_e64 v37, v20, v6, s[26:27]
	v_cmp_lt_u32_e32 vcc, v22, v15
	s_waitcnt lgkmcnt(0)
	v_cndmask_b32_e64 v8, v3, v5, s[26:27]
	v_cndmask_b32_e64 v9, v2, v4, s[26:27]
	;; [unrolled: 1-line block ×4, first 2 shown]
	s_and_saveexec_b64 s[30:31], vcc
	s_cbranch_execz .LBB1605_211
; %bb.201:
	v_cmp_lt_u32_e32 vcc, v37, v14
	s_mov_b64 s[0:1], 0
	s_and_saveexec_b64 s[28:29], vcc
	s_cbranch_execz .LBB1605_210
; %bb.202:
	s_andn2_b64 vcc, exec, s[24:25]
	s_cbranch_vccnz .LBB1605_208
; %bb.203:
	v_mul_lo_u32 v6, v8, s16
	v_mul_lo_u32 v7, v9, s17
	v_mad_u64_u32 v[2:3], s[0:1], v9, s16, 0
	v_add3_u32 v3, v3, v7, v6
	v_lshlrev_b64 v[2:3], 3, v[2:3]
	v_mov_b32_e32 v6, s19
	v_add_co_u32_e32 v2, vcc, s18, v2
	v_addc_co_u32_e32 v3, vcc, v6, v3, vcc
	v_mul_lo_u32 v20, v10, s16
	v_mul_lo_u32 v21, v11, s17
	v_mad_u64_u32 v[6:7], s[0:1], v11, s16, 0
	v_add3_u32 v7, v7, v21, v20
	v_lshlrev_b64 v[6:7], 3, v[6:7]
	v_mov_b32_e32 v20, s19
	v_add_co_u32_e32 v6, vcc, s18, v6
	v_addc_co_u32_e32 v7, vcc, v20, v7, vcc
	s_mov_b64 s[34:35], 0
	s_mov_b64 s[42:43], s[16:17]
                                        ; implicit-def: $sgpr36_sgpr37
                                        ; implicit-def: $sgpr38_sgpr39
                                        ; implicit-def: $sgpr0_sgpr1
                                        ; implicit-def: $sgpr40_sgpr41
                                        ; implicit-def: $sgpr44_sgpr45
	s_branch .LBB1605_205
.LBB1605_204:                           ;   in Loop: Header=BB1605_205 Depth=1
	s_or_b64 exec, exec, s[46:47]
	s_and_b64 s[2:3], exec, s[38:39]
	s_or_b64 s[34:35], s[2:3], s[34:35]
	s_andn2_b64 s[2:3], s[44:45], exec
	s_and_b64 s[44:45], s[40:41], exec
	s_or_b64 s[44:45], s[2:3], s[44:45]
	s_andn2_b64 s[2:3], s[36:37], exec
	s_and_b64 s[36:37], s[0:1], exec
	s_or_b64 s[36:37], s[2:3], s[36:37]
	s_andn2_b64 exec, exec, s[34:35]
	s_cbranch_execz .LBB1605_207
.LBB1605_205:                           ; =>This Inner Loop Header: Depth=1
	global_load_dwordx2 v[20:21], v[2:3], off
	global_load_dwordx2 v[24:25], v[6:7], off
	s_andn2_b64 s[46:47], s[0:1], exec
	s_andn2_b64 s[40:41], s[40:41], exec
	s_or_b64 s[38:39], s[38:39], exec
	s_waitcnt vmcnt(0)
	v_cmp_le_u64_e64 s[0:1], v[20:21], v[24:25]
	v_cmp_lt_u64_e32 vcc, v[20:21], v[24:25]
	s_and_b64 s[0:1], s[0:1], s[44:45]
	s_or_b64 s[48:49], vcc, s[0:1]
	s_and_b64 s[0:1], s[48:49], exec
	v_cmp_eq_u64_e64 s[2:3], v[20:21], v[24:25]
	s_or_b64 s[0:1], s[46:47], s[0:1]
	s_and_saveexec_b64 s[46:47], s[2:3]
	s_cbranch_execz .LBB1605_204
; %bb.206:                              ;   in Loop: Header=BB1605_205 Depth=1
	s_add_u32 s42, s42, -1
	s_addc_u32 s43, s43, -1
	v_add_co_u32_e32 v2, vcc, 8, v2
	s_cmp_eq_u64 s[42:43], 0
	v_addc_co_u32_e32 v3, vcc, 0, v3, vcc
	s_cselect_b64 s[2:3], -1, 0
	v_add_co_u32_e32 v6, vcc, 8, v6
	s_andn2_b64 s[40:41], s[40:41], exec
	s_and_b64 s[44:45], s[48:49], exec
	s_andn2_b64 s[38:39], s[38:39], exec
	s_and_b64 s[2:3], s[2:3], exec
	v_addc_co_u32_e32 v7, vcc, 0, v7, vcc
	s_or_b64 s[40:41], s[40:41], s[44:45]
	s_andn2_b64 s[0:1], s[0:1], exec
	s_or_b64 s[38:39], s[38:39], s[2:3]
                                        ; implicit-def: $sgpr44_sgpr45
	s_branch .LBB1605_204
.LBB1605_207:
	s_or_b64 exec, exec, s[34:35]
	s_xor_b64 s[0:1], s[36:37], -1
	s_branch .LBB1605_209
.LBB1605_208:
	s_mov_b64 s[0:1], -1
.LBB1605_209:
	s_and_b64 s[0:1], s[0:1], exec
.LBB1605_210:
	s_or_b64 exec, exec, s[28:29]
	s_orn2_b64 s[28:29], s[0:1], exec
.LBB1605_211:
	s_or_b64 exec, exec, s[30:31]
	v_cndmask_b32_e64 v2, v22, v37, s[28:29]
	v_cndmask_b32_e64 v3, v15, v14, s[28:29]
	v_add_u32_e32 v6, 1, v2
	v_add_u32_e32 v2, -1, v3
	v_min_u32_e32 v2, v6, v2
	v_lshl_add_u32 v2, v2, 3, v16
	ds_read_b64 v[2:3], v2
	v_cndmask_b32_e64 v23, v6, v22, s[28:29]
	v_cndmask_b32_e64 v22, v37, v6, s[28:29]
	v_cmp_lt_u32_e32 vcc, v23, v15
	s_mov_b64 s[0:1], -1
	s_waitcnt lgkmcnt(0)
	v_cndmask_b32_e64 v20, v3, v8, s[28:29]
	v_cndmask_b32_e64 v21, v2, v9, s[28:29]
	;; [unrolled: 1-line block ×4, first 2 shown]
	s_and_saveexec_b64 s[30:31], vcc
	s_cbranch_execz .LBB1605_222
; %bb.212:
	v_cmp_lt_u32_e32 vcc, v22, v14
	s_mov_b64 s[0:1], 0
	s_and_saveexec_b64 s[34:35], vcc
	s_cbranch_execz .LBB1605_221
; %bb.213:
	s_andn2_b64 vcc, exec, s[24:25]
	s_cbranch_vccnz .LBB1605_219
; %bb.214:
	v_mul_lo_u32 v6, v20, s16
	v_mul_lo_u32 v7, v21, s17
	v_mad_u64_u32 v[2:3], s[0:1], v21, s16, 0
	v_add3_u32 v3, v3, v7, v6
	v_lshlrev_b64 v[2:3], 3, v[2:3]
	v_mov_b32_e32 v6, s19
	v_add_co_u32_e32 v2, vcc, s18, v2
	v_addc_co_u32_e32 v3, vcc, v6, v3, vcc
	v_mul_lo_u32 v37, v24, s16
	v_mul_lo_u32 v38, v25, s17
	v_mad_u64_u32 v[6:7], s[0:1], v25, s16, 0
	v_add3_u32 v7, v7, v38, v37
	v_lshlrev_b64 v[6:7], 3, v[6:7]
	v_mov_b32_e32 v37, s19
	v_add_co_u32_e32 v6, vcc, s18, v6
	v_addc_co_u32_e32 v7, vcc, v37, v7, vcc
	s_mov_b64 s[36:37], 0
	s_mov_b64 s[44:45], s[16:17]
                                        ; implicit-def: $sgpr38_sgpr39
                                        ; implicit-def: $sgpr40_sgpr41
                                        ; implicit-def: $sgpr0_sgpr1
                                        ; implicit-def: $sgpr42_sgpr43
                                        ; implicit-def: $sgpr46_sgpr47
	s_branch .LBB1605_216
.LBB1605_215:                           ;   in Loop: Header=BB1605_216 Depth=1
	s_or_b64 exec, exec, s[48:49]
	s_and_b64 s[2:3], exec, s[40:41]
	s_or_b64 s[36:37], s[2:3], s[36:37]
	s_andn2_b64 s[2:3], s[46:47], exec
	s_and_b64 s[46:47], s[42:43], exec
	s_or_b64 s[46:47], s[2:3], s[46:47]
	s_andn2_b64 s[2:3], s[38:39], exec
	s_and_b64 s[38:39], s[0:1], exec
	s_or_b64 s[38:39], s[2:3], s[38:39]
	s_andn2_b64 exec, exec, s[36:37]
	s_cbranch_execz .LBB1605_218
.LBB1605_216:                           ; =>This Inner Loop Header: Depth=1
	global_load_dwordx2 v[38:39], v[2:3], off
	global_load_dwordx2 v[40:41], v[6:7], off
	s_andn2_b64 s[48:49], s[0:1], exec
	s_andn2_b64 s[42:43], s[42:43], exec
	s_or_b64 s[40:41], s[40:41], exec
	s_waitcnt vmcnt(0)
	v_cmp_le_u64_e64 s[0:1], v[38:39], v[40:41]
	v_cmp_lt_u64_e32 vcc, v[38:39], v[40:41]
	s_and_b64 s[0:1], s[0:1], s[46:47]
	s_or_b64 s[50:51], vcc, s[0:1]
	s_and_b64 s[0:1], s[50:51], exec
	v_cmp_eq_u64_e64 s[2:3], v[38:39], v[40:41]
	s_or_b64 s[0:1], s[48:49], s[0:1]
	s_and_saveexec_b64 s[48:49], s[2:3]
	s_cbranch_execz .LBB1605_215
; %bb.217:                              ;   in Loop: Header=BB1605_216 Depth=1
	s_add_u32 s44, s44, -1
	s_addc_u32 s45, s45, -1
	v_add_co_u32_e32 v2, vcc, 8, v2
	s_cmp_eq_u64 s[44:45], 0
	v_addc_co_u32_e32 v3, vcc, 0, v3, vcc
	s_cselect_b64 s[2:3], -1, 0
	v_add_co_u32_e32 v6, vcc, 8, v6
	s_andn2_b64 s[42:43], s[42:43], exec
	s_and_b64 s[46:47], s[50:51], exec
	s_andn2_b64 s[40:41], s[40:41], exec
	s_and_b64 s[2:3], s[2:3], exec
	v_addc_co_u32_e32 v7, vcc, 0, v7, vcc
	s_or_b64 s[42:43], s[42:43], s[46:47]
	s_andn2_b64 s[0:1], s[0:1], exec
	s_or_b64 s[40:41], s[40:41], s[2:3]
                                        ; implicit-def: $sgpr46_sgpr47
	s_branch .LBB1605_215
.LBB1605_218:
	s_or_b64 exec, exec, s[36:37]
	s_xor_b64 s[0:1], s[38:39], -1
	s_branch .LBB1605_220
.LBB1605_219:
	s_mov_b64 s[0:1], -1
.LBB1605_220:
	s_and_b64 s[0:1], s[0:1], exec
.LBB1605_221:
	s_or_b64 exec, exec, s[34:35]
	s_orn2_b64 s[0:1], s[0:1], exec
.LBB1605_222:
	s_or_b64 exec, exec, s[30:31]
	v_cndmask_b32_e64 v6, v23, v22, s[0:1]
	v_cndmask_b32_e64 v7, v15, v14, s[0:1]
	;; [unrolled: 1-line block ×3, first 2 shown]
	v_add_u32_e32 v10, 1, v6
	v_add_u32_e32 v6, -1, v7
	v_min_u32_e32 v6, v10, v6
	v_lshl_add_u32 v6, v6, 3, v16
	v_cndmask_b32_e64 v2, v9, v11, s[28:29]
	ds_read_b64 v[8:9], v6
	v_cndmask_b32_e64 v11, v10, v23, s[0:1]
	v_cndmask_b32_e64 v1, v5, v1, s[26:27]
	;; [unrolled: 1-line block ×5, first 2 shown]
	s_waitcnt lgkmcnt(0)
	v_cndmask_b32_e64 v7, v24, v9, s[0:1]
	v_cndmask_b32_e64 v6, v25, v8, s[0:1]
	v_cmp_lt_u32_e32 vcc, v11, v15
	s_and_saveexec_b64 s[26:27], vcc
	s_cbranch_execz .LBB1605_232
; %bb.223:
	v_cndmask_b32_e64 v10, v22, v10, s[0:1]
	v_cndmask_b32_e64 v9, v9, v20, s[0:1]
	;; [unrolled: 1-line block ×3, first 2 shown]
	v_cmp_lt_u32_e32 vcc, v10, v14
	s_and_saveexec_b64 s[28:29], vcc
	s_cbranch_execz .LBB1605_231
; %bb.224:
	s_andn2_b64 vcc, exec, s[24:25]
	s_cbranch_vccnz .LBB1605_230
; %bb.225:
	v_mul_lo_u32 v14, v9, s16
	v_mul_lo_u32 v15, v8, s17
	v_mad_u64_u32 v[10:11], s[0:1], v8, s16, 0
	v_add3_u32 v11, v11, v15, v14
	v_lshlrev_b64 v[10:11], 3, v[10:11]
	v_mov_b32_e32 v14, s19
	v_add_co_u32_e32 v10, vcc, s18, v10
	v_addc_co_u32_e32 v11, vcc, v14, v11, vcc
	v_mul_lo_u32 v20, v7, s16
	v_mul_lo_u32 v21, v6, s17
	v_mad_u64_u32 v[14:15], s[0:1], v6, s16, 0
	v_add3_u32 v15, v15, v21, v20
	v_lshlrev_b64 v[14:15], 3, v[14:15]
	v_mov_b32_e32 v20, s19
	v_add_co_u32_e32 v14, vcc, s18, v14
	v_addc_co_u32_e32 v15, vcc, v20, v15, vcc
	s_mov_b64 s[30:31], 0
	s_mov_b64 s[40:41], s[16:17]
                                        ; implicit-def: $sgpr34_sgpr35
                                        ; implicit-def: $sgpr36_sgpr37
                                        ; implicit-def: $sgpr0_sgpr1
                                        ; implicit-def: $sgpr38_sgpr39
                                        ; implicit-def: $sgpr42_sgpr43
	s_branch .LBB1605_227
.LBB1605_226:                           ;   in Loop: Header=BB1605_227 Depth=1
	s_or_b64 exec, exec, s[44:45]
	s_and_b64 s[2:3], exec, s[36:37]
	s_or_b64 s[30:31], s[2:3], s[30:31]
	s_andn2_b64 s[2:3], s[42:43], exec
	s_and_b64 s[42:43], s[38:39], exec
	s_or_b64 s[42:43], s[2:3], s[42:43]
	s_andn2_b64 s[2:3], s[34:35], exec
	s_and_b64 s[34:35], s[0:1], exec
	s_or_b64 s[34:35], s[2:3], s[34:35]
	s_andn2_b64 exec, exec, s[30:31]
	s_cbranch_execz .LBB1605_229
.LBB1605_227:                           ; =>This Inner Loop Header: Depth=1
	global_load_dwordx2 v[20:21], v[10:11], off
	global_load_dwordx2 v[22:23], v[14:15], off
	s_andn2_b64 s[44:45], s[0:1], exec
	s_andn2_b64 s[38:39], s[38:39], exec
	s_or_b64 s[36:37], s[36:37], exec
	s_waitcnt vmcnt(0)
	v_cmp_le_u64_e64 s[0:1], v[20:21], v[22:23]
	v_cmp_lt_u64_e32 vcc, v[20:21], v[22:23]
	s_and_b64 s[0:1], s[0:1], s[42:43]
	s_or_b64 s[46:47], vcc, s[0:1]
	s_and_b64 s[0:1], s[46:47], exec
	v_cmp_eq_u64_e64 s[2:3], v[20:21], v[22:23]
	s_or_b64 s[0:1], s[44:45], s[0:1]
	s_and_saveexec_b64 s[44:45], s[2:3]
	s_cbranch_execz .LBB1605_226
; %bb.228:                              ;   in Loop: Header=BB1605_227 Depth=1
	s_add_u32 s40, s40, -1
	s_addc_u32 s41, s41, -1
	v_add_co_u32_e32 v10, vcc, 8, v10
	s_cmp_eq_u64 s[40:41], 0
	v_addc_co_u32_e32 v11, vcc, 0, v11, vcc
	s_cselect_b64 s[2:3], -1, 0
	v_add_co_u32_e32 v14, vcc, 8, v14
	s_andn2_b64 s[38:39], s[38:39], exec
	s_and_b64 s[42:43], s[46:47], exec
	s_andn2_b64 s[36:37], s[36:37], exec
	s_and_b64 s[2:3], s[2:3], exec
	v_addc_co_u32_e32 v15, vcc, 0, v15, vcc
	s_or_b64 s[38:39], s[38:39], s[42:43]
	s_andn2_b64 s[0:1], s[0:1], exec
	s_or_b64 s[36:37], s[36:37], s[2:3]
                                        ; implicit-def: $sgpr42_sgpr43
	s_branch .LBB1605_226
.LBB1605_229:
	s_or_b64 exec, exec, s[30:31]
	v_cndmask_b32_e64 v7, v7, v9, s[34:35]
	v_cndmask_b32_e64 v6, v6, v8, s[34:35]
.LBB1605_230:
	v_pk_mov_b32 v[8:9], v[6:7], v[6:7] op_sel:[0,1]
.LBB1605_231:
	s_or_b64 exec, exec, s[28:29]
	v_pk_mov_b32 v[6:7], v[8:9], v[8:9] op_sel:[0,1]
.LBB1605_232:
	s_or_b64 exec, exec, s[26:27]
.LBB1605_233:
	s_or_b64 exec, exec, s[4:5]
	v_and_b32_e32 v21, 0x1c0, v18
	v_or_b32_e32 v8, 32, v21
	v_min_u32_e32 v14, v17, v8
	v_add_u32_e32 v8, 32, v14
	v_min_u32_e32 v15, v17, v8
	v_and_b32_e32 v8, 60, v18
	v_min_u32_e32 v18, v17, v8
	v_sub_u32_e32 v8, v14, v21
	v_sub_u32_e32 v9, v15, v14
	v_sub_u32_e64 v20, v18, v9 clamp
	v_min_u32_e32 v17, v18, v8
	; wave barrier
	ds_write_b128 v19, v[0:3]
	ds_write_b128 v19, v[4:7] offset:16
	v_lshl_add_u32 v19, v21, 3, v16
	v_cmp_lt_u32_e32 vcc, v20, v17
	; wave barrier
	s_and_saveexec_b64 s[26:27], vcc
	s_cbranch_execz .LBB1605_243
; %bb.234:
	v_lshlrev_b32_e32 v8, 3, v14
	v_lshlrev_b32_e32 v9, 3, v18
	v_add3_u32 v22, v16, v8, v9
	v_cndmask_b32_e64 v8, 0, 1, s[24:25]
	s_lshl_b64 s[30:31], s[16:17], 3
	s_mov_b64 s[28:29], 0
	v_cmp_ne_u32_e64 s[0:1], 1, v8
	s_branch .LBB1605_237
.LBB1605_235:                           ;   in Loop: Header=BB1605_237 Depth=1
	s_or_b64 exec, exec, s[36:37]
.LBB1605_236:                           ;   in Loop: Header=BB1605_237 Depth=1
	v_add_u32_e32 v8, 1, v23
	v_cndmask_b32_e64 v17, v17, v23, s[34:35]
	v_cndmask_b32_e64 v20, v8, v20, s[34:35]
	v_cmp_ge_u32_e32 vcc, v20, v17
	s_or_b64 s[28:29], vcc, s[28:29]
	s_andn2_b64 exec, exec, s[28:29]
	s_cbranch_execz .LBB1605_242
.LBB1605_237:                           ; =>This Loop Header: Depth=1
                                        ;     Child Loop BB1605_240 Depth 2
	v_add_u32_e32 v8, v17, v20
	v_lshrrev_b32_e32 v23, 1, v8
	s_and_b64 vcc, exec, s[0:1]
	s_mov_b64 s[34:35], 0
	s_cbranch_vccnz .LBB1605_236
; %bb.238:                              ;   in Loop: Header=BB1605_237 Depth=1
	v_not_b32_e32 v8, v23
	v_lshl_add_u32 v8, v8, 3, v22
	ds_read_b64 v[8:9], v8
	v_lshl_add_u32 v24, v23, 3, v19
	ds_read_b64 v[24:25], v24
	v_pk_mov_b32 v[10:11], s[18:19], s[18:19] op_sel:[0,1]
	s_mov_b64 s[36:37], 0
	s_waitcnt lgkmcnt(1)
	v_mul_lo_u32 v37, s30, v9
	v_mul_lo_u32 v38, s31, v8
	v_mad_u64_u32 v[8:9], s[2:3], s30, v8, v[10:11]
	v_add3_u32 v9, v38, v9, v37
	s_waitcnt lgkmcnt(0)
	v_mul_lo_u32 v25, s30, v25
	v_mul_lo_u32 v37, s31, v24
	v_mad_u64_u32 v[10:11], s[2:3], s30, v24, v[10:11]
	v_add3_u32 v11, v37, v11, v25
	s_mov_b64 s[42:43], s[16:17]
                                        ; implicit-def: $sgpr34_sgpr35
                                        ; implicit-def: $sgpr38_sgpr39
                                        ; implicit-def: $sgpr40_sgpr41
                                        ; implicit-def: $sgpr2_sgpr3
                                        ; implicit-def: $sgpr44_sgpr45
	s_branch .LBB1605_240
.LBB1605_239:                           ;   in Loop: Header=BB1605_240 Depth=2
	s_or_b64 exec, exec, s[46:47]
	s_and_b64 s[4:5], exec, s[38:39]
	s_or_b64 s[36:37], s[4:5], s[36:37]
	s_andn2_b64 s[4:5], s[44:45], exec
	s_and_b64 s[44:45], s[40:41], exec
	s_or_b64 s[44:45], s[4:5], s[44:45]
	s_andn2_b64 s[4:5], s[34:35], exec
	s_and_b64 s[34:35], s[2:3], exec
	s_or_b64 s[34:35], s[4:5], s[34:35]
	s_andn2_b64 exec, exec, s[36:37]
	s_cbranch_execz .LBB1605_235
.LBB1605_240:                           ;   Parent Loop BB1605_237 Depth=1
                                        ; =>  This Inner Loop Header: Depth=2
	global_load_dwordx2 v[24:25], v[8:9], off
	global_load_dwordx2 v[38:39], v[10:11], off
	s_andn2_b64 s[46:47], s[2:3], exec
	s_andn2_b64 s[40:41], s[40:41], exec
	s_or_b64 s[38:39], s[38:39], exec
	s_waitcnt vmcnt(0)
	v_cmp_le_u64_e64 s[2:3], v[24:25], v[38:39]
	v_cmp_lt_u64_e32 vcc, v[24:25], v[38:39]
	s_and_b64 s[2:3], s[2:3], s[44:45]
	s_or_b64 s[48:49], vcc, s[2:3]
	s_and_b64 s[2:3], s[48:49], exec
	v_cmp_eq_u64_e64 s[4:5], v[24:25], v[38:39]
	s_or_b64 s[2:3], s[46:47], s[2:3]
	s_and_saveexec_b64 s[46:47], s[4:5]
	s_cbranch_execz .LBB1605_239
; %bb.241:                              ;   in Loop: Header=BB1605_240 Depth=2
	s_add_u32 s42, s42, -1
	s_addc_u32 s43, s43, -1
	v_add_co_u32_e32 v8, vcc, 8, v8
	s_cmp_eq_u64 s[42:43], 0
	v_addc_co_u32_e32 v9, vcc, 0, v9, vcc
	s_cselect_b64 s[4:5], -1, 0
	v_add_co_u32_e32 v10, vcc, 8, v10
	s_andn2_b64 s[40:41], s[40:41], exec
	s_and_b64 s[44:45], s[48:49], exec
	s_andn2_b64 s[38:39], s[38:39], exec
	s_and_b64 s[4:5], s[4:5], exec
	v_addc_co_u32_e32 v11, vcc, 0, v11, vcc
	s_andn2_b64 s[2:3], s[2:3], exec
	s_or_b64 s[40:41], s[40:41], s[44:45]
	s_or_b64 s[38:39], s[38:39], s[4:5]
                                        ; implicit-def: $sgpr44_sgpr45
	s_branch .LBB1605_239
.LBB1605_242:
	s_or_b64 exec, exec, s[28:29]
.LBB1605_243:
	s_or_b64 exec, exec, s[26:27]
	v_add_u32_e32 v8, v14, v18
	v_add_u32_e32 v17, v20, v21
	v_sub_u32_e32 v18, v8, v20
	v_cmp_le_u32_e32 vcc, v17, v14
	v_cmp_le_u32_e64 s[0:1], v18, v15
	s_or_b64 s[0:1], vcc, s[0:1]
	s_and_saveexec_b64 s[4:5], s[0:1]
	s_cbranch_execz .LBB1605_290
; %bb.244:
	v_cmp_ge_u32_e32 vcc, v17, v14
	v_cmp_lt_u32_e64 s[0:1], v17, v14
                                        ; implicit-def: $vgpr0_vgpr1
	s_and_saveexec_b64 s[2:3], s[0:1]
	s_cbranch_execz .LBB1605_246
; %bb.245:
	v_lshl_add_u32 v0, v20, 3, v19
	ds_read_b64 v[0:1], v0
.LBB1605_246:
	s_or_b64 exec, exec, s[2:3]
	v_cmp_ge_u32_e64 s[26:27], v18, v15
	v_cmp_lt_u32_e64 s[0:1], v18, v15
                                        ; implicit-def: $vgpr4_vgpr5
	s_and_saveexec_b64 s[2:3], s[0:1]
	s_cbranch_execz .LBB1605_248
; %bb.247:
	v_lshl_add_u32 v2, v18, 3, v16
	ds_read_b64 v[4:5], v2
.LBB1605_248:
	s_or_b64 exec, exec, s[2:3]
	s_or_b64 s[0:1], vcc, s[26:27]
	s_mov_b64 s[28:29], -1
	s_xor_b64 s[0:1], s[0:1], -1
	s_and_saveexec_b64 s[30:31], s[0:1]
	s_cbranch_execz .LBB1605_257
; %bb.249:
	s_andn2_b64 vcc, exec, s[24:25]
	s_cbranch_vccnz .LBB1605_255
; %bb.250:
	s_waitcnt lgkmcnt(0)
	v_mul_lo_u32 v6, v5, s16
	v_mul_lo_u32 v7, v4, s17
	v_mad_u64_u32 v[2:3], s[0:1], v4, s16, 0
	v_add3_u32 v3, v3, v7, v6
	v_lshlrev_b64 v[2:3], 3, v[2:3]
	v_mov_b32_e32 v6, s19
	v_add_co_u32_e32 v2, vcc, s18, v2
	v_addc_co_u32_e32 v3, vcc, v6, v3, vcc
	v_mul_lo_u32 v8, v1, s16
	v_mul_lo_u32 v9, v0, s17
	v_mad_u64_u32 v[6:7], s[0:1], v0, s16, 0
	v_add3_u32 v7, v7, v9, v8
	v_lshlrev_b64 v[6:7], 3, v[6:7]
	v_mov_b32_e32 v8, s19
	v_add_co_u32_e32 v6, vcc, s18, v6
	v_addc_co_u32_e32 v7, vcc, v8, v7, vcc
	s_mov_b64 s[34:35], 0
	s_mov_b64 s[42:43], s[16:17]
                                        ; implicit-def: $sgpr36_sgpr37
                                        ; implicit-def: $sgpr38_sgpr39
                                        ; implicit-def: $sgpr0_sgpr1
                                        ; implicit-def: $sgpr40_sgpr41
                                        ; implicit-def: $sgpr44_sgpr45
	s_branch .LBB1605_252
.LBB1605_251:                           ;   in Loop: Header=BB1605_252 Depth=1
	s_or_b64 exec, exec, s[46:47]
	s_and_b64 s[2:3], exec, s[38:39]
	s_or_b64 s[34:35], s[2:3], s[34:35]
	s_andn2_b64 s[2:3], s[44:45], exec
	s_and_b64 s[44:45], s[40:41], exec
	s_or_b64 s[44:45], s[2:3], s[44:45]
	s_andn2_b64 s[2:3], s[36:37], exec
	s_and_b64 s[36:37], s[0:1], exec
	s_or_b64 s[36:37], s[2:3], s[36:37]
	s_andn2_b64 exec, exec, s[34:35]
	s_cbranch_execz .LBB1605_254
.LBB1605_252:                           ; =>This Inner Loop Header: Depth=1
	global_load_dwordx2 v[8:9], v[2:3], off
	global_load_dwordx2 v[10:11], v[6:7], off
	s_andn2_b64 s[46:47], s[0:1], exec
	s_andn2_b64 s[40:41], s[40:41], exec
	s_or_b64 s[38:39], s[38:39], exec
	s_waitcnt vmcnt(0)
	v_cmp_le_u64_e64 s[0:1], v[8:9], v[10:11]
	v_cmp_lt_u64_e32 vcc, v[8:9], v[10:11]
	s_and_b64 s[0:1], s[0:1], s[44:45]
	s_or_b64 s[48:49], vcc, s[0:1]
	s_and_b64 s[0:1], s[48:49], exec
	v_cmp_eq_u64_e64 s[2:3], v[8:9], v[10:11]
	s_or_b64 s[0:1], s[46:47], s[0:1]
	s_and_saveexec_b64 s[46:47], s[2:3]
	s_cbranch_execz .LBB1605_251
; %bb.253:                              ;   in Loop: Header=BB1605_252 Depth=1
	s_add_u32 s42, s42, -1
	s_addc_u32 s43, s43, -1
	v_add_co_u32_e32 v2, vcc, 8, v2
	s_cmp_eq_u64 s[42:43], 0
	v_addc_co_u32_e32 v3, vcc, 0, v3, vcc
	s_cselect_b64 s[2:3], -1, 0
	v_add_co_u32_e32 v6, vcc, 8, v6
	s_andn2_b64 s[40:41], s[40:41], exec
	s_and_b64 s[44:45], s[48:49], exec
	s_andn2_b64 s[38:39], s[38:39], exec
	s_and_b64 s[2:3], s[2:3], exec
	v_addc_co_u32_e32 v7, vcc, 0, v7, vcc
	s_or_b64 s[40:41], s[40:41], s[44:45]
	s_andn2_b64 s[0:1], s[0:1], exec
	s_or_b64 s[38:39], s[38:39], s[2:3]
                                        ; implicit-def: $sgpr44_sgpr45
	s_branch .LBB1605_251
.LBB1605_254:
	s_or_b64 exec, exec, s[34:35]
	s_xor_b64 s[0:1], s[36:37], -1
	s_branch .LBB1605_256
.LBB1605_255:
	s_mov_b64 s[0:1], -1
.LBB1605_256:
	s_andn2_b64 s[2:3], s[26:27], exec
	s_and_b64 s[0:1], s[0:1], exec
	s_or_b64 s[26:27], s[2:3], s[0:1]
.LBB1605_257:
	s_or_b64 exec, exec, s[30:31]
	v_cndmask_b32_e64 v2, v18, v17, s[26:27]
	v_cndmask_b32_e64 v3, v15, v14, s[26:27]
	v_add_u32_e32 v6, 1, v2
	v_add_u32_e32 v2, -1, v3
	v_min_u32_e32 v2, v6, v2
	v_lshl_add_u32 v2, v2, 3, v16
	ds_read_b64 v[2:3], v2
	v_cndmask_b32_e64 v19, v6, v18, s[26:27]
	v_cndmask_b32_e64 v23, v17, v6, s[26:27]
	v_cmp_lt_u32_e32 vcc, v19, v15
	s_waitcnt lgkmcnt(0)
	v_cndmask_b32_e64 v8, v3, v5, s[26:27]
	v_cndmask_b32_e64 v9, v2, v4, s[26:27]
	v_cndmask_b32_e64 v10, v1, v3, s[26:27]
	v_cndmask_b32_e64 v11, v0, v2, s[26:27]
	s_and_saveexec_b64 s[30:31], vcc
	s_cbranch_execz .LBB1605_268
; %bb.258:
	v_cmp_lt_u32_e32 vcc, v23, v14
	s_mov_b64 s[0:1], 0
	s_and_saveexec_b64 s[28:29], vcc
	s_cbranch_execz .LBB1605_267
; %bb.259:
	s_andn2_b64 vcc, exec, s[24:25]
	s_cbranch_vccnz .LBB1605_265
; %bb.260:
	v_mul_lo_u32 v6, v8, s16
	v_mul_lo_u32 v7, v9, s17
	v_mad_u64_u32 v[2:3], s[0:1], v9, s16, 0
	v_add3_u32 v3, v3, v7, v6
	v_lshlrev_b64 v[2:3], 3, v[2:3]
	v_mov_b32_e32 v6, s19
	v_add_co_u32_e32 v2, vcc, s18, v2
	v_addc_co_u32_e32 v3, vcc, v6, v3, vcc
	v_mul_lo_u32 v17, v10, s16
	v_mul_lo_u32 v18, v11, s17
	v_mad_u64_u32 v[6:7], s[0:1], v11, s16, 0
	v_add3_u32 v7, v7, v18, v17
	v_lshlrev_b64 v[6:7], 3, v[6:7]
	v_mov_b32_e32 v17, s19
	v_add_co_u32_e32 v6, vcc, s18, v6
	v_addc_co_u32_e32 v7, vcc, v17, v7, vcc
	s_mov_b64 s[34:35], 0
	s_mov_b64 s[42:43], s[16:17]
                                        ; implicit-def: $sgpr36_sgpr37
                                        ; implicit-def: $sgpr38_sgpr39
                                        ; implicit-def: $sgpr0_sgpr1
                                        ; implicit-def: $sgpr40_sgpr41
                                        ; implicit-def: $sgpr44_sgpr45
	s_branch .LBB1605_262
.LBB1605_261:                           ;   in Loop: Header=BB1605_262 Depth=1
	s_or_b64 exec, exec, s[46:47]
	s_and_b64 s[2:3], exec, s[38:39]
	s_or_b64 s[34:35], s[2:3], s[34:35]
	s_andn2_b64 s[2:3], s[44:45], exec
	s_and_b64 s[44:45], s[40:41], exec
	s_or_b64 s[44:45], s[2:3], s[44:45]
	s_andn2_b64 s[2:3], s[36:37], exec
	s_and_b64 s[36:37], s[0:1], exec
	s_or_b64 s[36:37], s[2:3], s[36:37]
	s_andn2_b64 exec, exec, s[34:35]
	s_cbranch_execz .LBB1605_264
.LBB1605_262:                           ; =>This Inner Loop Header: Depth=1
	global_load_dwordx2 v[20:21], v[2:3], off
	global_load_dwordx2 v[24:25], v[6:7], off
	s_andn2_b64 s[46:47], s[0:1], exec
	s_andn2_b64 s[40:41], s[40:41], exec
	s_or_b64 s[38:39], s[38:39], exec
	s_waitcnt vmcnt(0)
	v_cmp_le_u64_e64 s[0:1], v[20:21], v[24:25]
	v_cmp_lt_u64_e32 vcc, v[20:21], v[24:25]
	s_and_b64 s[0:1], s[0:1], s[44:45]
	s_or_b64 s[48:49], vcc, s[0:1]
	s_and_b64 s[0:1], s[48:49], exec
	v_cmp_eq_u64_e64 s[2:3], v[20:21], v[24:25]
	s_or_b64 s[0:1], s[46:47], s[0:1]
	s_and_saveexec_b64 s[46:47], s[2:3]
	s_cbranch_execz .LBB1605_261
; %bb.263:                              ;   in Loop: Header=BB1605_262 Depth=1
	s_add_u32 s42, s42, -1
	s_addc_u32 s43, s43, -1
	v_add_co_u32_e32 v2, vcc, 8, v2
	s_cmp_eq_u64 s[42:43], 0
	v_addc_co_u32_e32 v3, vcc, 0, v3, vcc
	s_cselect_b64 s[2:3], -1, 0
	v_add_co_u32_e32 v6, vcc, 8, v6
	s_andn2_b64 s[40:41], s[40:41], exec
	s_and_b64 s[44:45], s[48:49], exec
	s_andn2_b64 s[38:39], s[38:39], exec
	s_and_b64 s[2:3], s[2:3], exec
	v_addc_co_u32_e32 v7, vcc, 0, v7, vcc
	s_or_b64 s[40:41], s[40:41], s[44:45]
	s_andn2_b64 s[0:1], s[0:1], exec
	s_or_b64 s[38:39], s[38:39], s[2:3]
                                        ; implicit-def: $sgpr44_sgpr45
	s_branch .LBB1605_261
.LBB1605_264:
	s_or_b64 exec, exec, s[34:35]
	s_xor_b64 s[0:1], s[36:37], -1
	s_branch .LBB1605_266
.LBB1605_265:
	s_mov_b64 s[0:1], -1
.LBB1605_266:
	s_and_b64 s[0:1], s[0:1], exec
.LBB1605_267:
	s_or_b64 exec, exec, s[28:29]
	s_orn2_b64 s[28:29], s[0:1], exec
.LBB1605_268:
	s_or_b64 exec, exec, s[30:31]
	v_cndmask_b32_e64 v2, v19, v23, s[28:29]
	v_cndmask_b32_e64 v3, v15, v14, s[28:29]
	v_add_u32_e32 v6, 1, v2
	v_add_u32_e32 v2, -1, v3
	v_min_u32_e32 v2, v6, v2
	v_lshl_add_u32 v2, v2, 3, v16
	ds_read_b64 v[2:3], v2
	v_cndmask_b32_e64 v20, v6, v19, s[28:29]
	v_cndmask_b32_e64 v19, v23, v6, s[28:29]
	v_cmp_lt_u32_e32 vcc, v20, v15
	s_mov_b64 s[0:1], -1
	s_waitcnt lgkmcnt(0)
	v_cndmask_b32_e64 v17, v3, v8, s[28:29]
	v_cndmask_b32_e64 v18, v2, v9, s[28:29]
	;; [unrolled: 1-line block ×4, first 2 shown]
	s_and_saveexec_b64 s[30:31], vcc
	s_cbranch_execz .LBB1605_279
; %bb.269:
	v_cmp_lt_u32_e32 vcc, v19, v14
	s_mov_b64 s[0:1], 0
	s_and_saveexec_b64 s[34:35], vcc
	s_cbranch_execz .LBB1605_278
; %bb.270:
	s_andn2_b64 vcc, exec, s[24:25]
	s_cbranch_vccnz .LBB1605_276
; %bb.271:
	v_mul_lo_u32 v6, v17, s16
	v_mul_lo_u32 v7, v18, s17
	v_mad_u64_u32 v[2:3], s[0:1], v18, s16, 0
	v_add3_u32 v3, v3, v7, v6
	v_lshlrev_b64 v[2:3], 3, v[2:3]
	v_mov_b32_e32 v6, s19
	v_add_co_u32_e32 v2, vcc, s18, v2
	v_addc_co_u32_e32 v3, vcc, v6, v3, vcc
	v_mul_lo_u32 v23, v21, s16
	v_mul_lo_u32 v24, v22, s17
	v_mad_u64_u32 v[6:7], s[0:1], v22, s16, 0
	v_add3_u32 v7, v7, v24, v23
	v_lshlrev_b64 v[6:7], 3, v[6:7]
	v_mov_b32_e32 v23, s19
	v_add_co_u32_e32 v6, vcc, s18, v6
	v_addc_co_u32_e32 v7, vcc, v23, v7, vcc
	s_mov_b64 s[36:37], 0
	s_mov_b64 s[44:45], s[16:17]
                                        ; implicit-def: $sgpr38_sgpr39
                                        ; implicit-def: $sgpr40_sgpr41
                                        ; implicit-def: $sgpr0_sgpr1
                                        ; implicit-def: $sgpr42_sgpr43
                                        ; implicit-def: $sgpr46_sgpr47
	s_branch .LBB1605_273
.LBB1605_272:                           ;   in Loop: Header=BB1605_273 Depth=1
	s_or_b64 exec, exec, s[48:49]
	s_and_b64 s[2:3], exec, s[40:41]
	s_or_b64 s[36:37], s[2:3], s[36:37]
	s_andn2_b64 s[2:3], s[46:47], exec
	s_and_b64 s[46:47], s[42:43], exec
	s_or_b64 s[46:47], s[2:3], s[46:47]
	s_andn2_b64 s[2:3], s[38:39], exec
	s_and_b64 s[38:39], s[0:1], exec
	s_or_b64 s[38:39], s[2:3], s[38:39]
	s_andn2_b64 exec, exec, s[36:37]
	s_cbranch_execz .LBB1605_275
.LBB1605_273:                           ; =>This Inner Loop Header: Depth=1
	global_load_dwordx2 v[24:25], v[2:3], off
	global_load_dwordx2 v[38:39], v[6:7], off
	s_andn2_b64 s[48:49], s[0:1], exec
	s_andn2_b64 s[42:43], s[42:43], exec
	s_or_b64 s[40:41], s[40:41], exec
	s_waitcnt vmcnt(0)
	v_cmp_le_u64_e64 s[0:1], v[24:25], v[38:39]
	v_cmp_lt_u64_e32 vcc, v[24:25], v[38:39]
	s_and_b64 s[0:1], s[0:1], s[46:47]
	s_or_b64 s[50:51], vcc, s[0:1]
	s_and_b64 s[0:1], s[50:51], exec
	v_cmp_eq_u64_e64 s[2:3], v[24:25], v[38:39]
	s_or_b64 s[0:1], s[48:49], s[0:1]
	s_and_saveexec_b64 s[48:49], s[2:3]
	s_cbranch_execz .LBB1605_272
; %bb.274:                              ;   in Loop: Header=BB1605_273 Depth=1
	s_add_u32 s44, s44, -1
	s_addc_u32 s45, s45, -1
	v_add_co_u32_e32 v2, vcc, 8, v2
	s_cmp_eq_u64 s[44:45], 0
	v_addc_co_u32_e32 v3, vcc, 0, v3, vcc
	s_cselect_b64 s[2:3], -1, 0
	v_add_co_u32_e32 v6, vcc, 8, v6
	s_andn2_b64 s[42:43], s[42:43], exec
	s_and_b64 s[46:47], s[50:51], exec
	s_andn2_b64 s[40:41], s[40:41], exec
	s_and_b64 s[2:3], s[2:3], exec
	v_addc_co_u32_e32 v7, vcc, 0, v7, vcc
	s_or_b64 s[42:43], s[42:43], s[46:47]
	s_andn2_b64 s[0:1], s[0:1], exec
	s_or_b64 s[40:41], s[40:41], s[2:3]
                                        ; implicit-def: $sgpr46_sgpr47
	s_branch .LBB1605_272
.LBB1605_275:
	s_or_b64 exec, exec, s[36:37]
	s_xor_b64 s[0:1], s[38:39], -1
	s_branch .LBB1605_277
.LBB1605_276:
	s_mov_b64 s[0:1], -1
.LBB1605_277:
	s_and_b64 s[0:1], s[0:1], exec
.LBB1605_278:
	s_or_b64 exec, exec, s[34:35]
	s_orn2_b64 s[0:1], s[0:1], exec
.LBB1605_279:
	s_or_b64 exec, exec, s[30:31]
	v_cndmask_b32_e64 v6, v20, v19, s[0:1]
	v_cndmask_b32_e64 v7, v15, v14, s[0:1]
	;; [unrolled: 1-line block ×3, first 2 shown]
	v_add_u32_e32 v10, 1, v6
	v_add_u32_e32 v6, -1, v7
	v_min_u32_e32 v6, v10, v6
	v_lshl_add_u32 v6, v6, 3, v16
	v_cndmask_b32_e64 v2, v9, v11, s[28:29]
	ds_read_b64 v[8:9], v6
	v_cndmask_b32_e64 v11, v10, v20, s[0:1]
	v_cndmask_b32_e64 v1, v5, v1, s[26:27]
	;; [unrolled: 1-line block ×5, first 2 shown]
	s_waitcnt lgkmcnt(0)
	v_cndmask_b32_e64 v7, v21, v9, s[0:1]
	v_cndmask_b32_e64 v6, v22, v8, s[0:1]
	v_cmp_lt_u32_e32 vcc, v11, v15
	s_and_saveexec_b64 s[26:27], vcc
	s_cbranch_execz .LBB1605_289
; %bb.280:
	v_cndmask_b32_e64 v10, v19, v10, s[0:1]
	v_cndmask_b32_e64 v9, v9, v17, s[0:1]
	v_cndmask_b32_e64 v8, v8, v18, s[0:1]
	v_cmp_lt_u32_e32 vcc, v10, v14
	s_and_saveexec_b64 s[28:29], vcc
	s_cbranch_execz .LBB1605_288
; %bb.281:
	s_andn2_b64 vcc, exec, s[24:25]
	s_cbranch_vccnz .LBB1605_287
; %bb.282:
	v_mul_lo_u32 v14, v9, s16
	v_mul_lo_u32 v15, v8, s17
	v_mad_u64_u32 v[10:11], s[0:1], v8, s16, 0
	v_add3_u32 v11, v11, v15, v14
	v_lshlrev_b64 v[10:11], 3, v[10:11]
	v_mov_b32_e32 v14, s19
	v_add_co_u32_e32 v10, vcc, s18, v10
	v_addc_co_u32_e32 v11, vcc, v14, v11, vcc
	v_mul_lo_u32 v16, v7, s16
	v_mul_lo_u32 v17, v6, s17
	v_mad_u64_u32 v[14:15], s[0:1], v6, s16, 0
	v_add3_u32 v15, v15, v17, v16
	v_lshlrev_b64 v[14:15], 3, v[14:15]
	v_mov_b32_e32 v16, s19
	v_add_co_u32_e32 v14, vcc, s18, v14
	v_addc_co_u32_e32 v15, vcc, v16, v15, vcc
	s_mov_b64 s[30:31], 0
	s_mov_b64 s[40:41], s[16:17]
                                        ; implicit-def: $sgpr34_sgpr35
                                        ; implicit-def: $sgpr36_sgpr37
                                        ; implicit-def: $sgpr0_sgpr1
                                        ; implicit-def: $sgpr38_sgpr39
                                        ; implicit-def: $sgpr42_sgpr43
	s_branch .LBB1605_284
.LBB1605_283:                           ;   in Loop: Header=BB1605_284 Depth=1
	s_or_b64 exec, exec, s[44:45]
	s_and_b64 s[2:3], exec, s[36:37]
	s_or_b64 s[30:31], s[2:3], s[30:31]
	s_andn2_b64 s[2:3], s[42:43], exec
	s_and_b64 s[42:43], s[38:39], exec
	s_or_b64 s[42:43], s[2:3], s[42:43]
	s_andn2_b64 s[2:3], s[34:35], exec
	s_and_b64 s[34:35], s[0:1], exec
	s_or_b64 s[34:35], s[2:3], s[34:35]
	s_andn2_b64 exec, exec, s[30:31]
	s_cbranch_execz .LBB1605_286
.LBB1605_284:                           ; =>This Inner Loop Header: Depth=1
	global_load_dwordx2 v[16:17], v[10:11], off
	global_load_dwordx2 v[18:19], v[14:15], off
	s_andn2_b64 s[44:45], s[0:1], exec
	s_andn2_b64 s[38:39], s[38:39], exec
	s_or_b64 s[36:37], s[36:37], exec
	s_waitcnt vmcnt(0)
	v_cmp_le_u64_e64 s[0:1], v[16:17], v[18:19]
	v_cmp_lt_u64_e32 vcc, v[16:17], v[18:19]
	s_and_b64 s[0:1], s[0:1], s[42:43]
	s_or_b64 s[46:47], vcc, s[0:1]
	s_and_b64 s[0:1], s[46:47], exec
	v_cmp_eq_u64_e64 s[2:3], v[16:17], v[18:19]
	s_or_b64 s[0:1], s[44:45], s[0:1]
	s_and_saveexec_b64 s[44:45], s[2:3]
	s_cbranch_execz .LBB1605_283
; %bb.285:                              ;   in Loop: Header=BB1605_284 Depth=1
	s_add_u32 s40, s40, -1
	s_addc_u32 s41, s41, -1
	v_add_co_u32_e32 v10, vcc, 8, v10
	s_cmp_eq_u64 s[40:41], 0
	v_addc_co_u32_e32 v11, vcc, 0, v11, vcc
	s_cselect_b64 s[2:3], -1, 0
	v_add_co_u32_e32 v14, vcc, 8, v14
	s_andn2_b64 s[38:39], s[38:39], exec
	s_and_b64 s[42:43], s[46:47], exec
	s_andn2_b64 s[36:37], s[36:37], exec
	s_and_b64 s[2:3], s[2:3], exec
	v_addc_co_u32_e32 v15, vcc, 0, v15, vcc
	s_or_b64 s[38:39], s[38:39], s[42:43]
	s_andn2_b64 s[0:1], s[0:1], exec
	s_or_b64 s[36:37], s[36:37], s[2:3]
                                        ; implicit-def: $sgpr42_sgpr43
	s_branch .LBB1605_283
.LBB1605_286:
	s_or_b64 exec, exec, s[30:31]
	v_cndmask_b32_e64 v7, v7, v9, s[34:35]
	v_cndmask_b32_e64 v6, v6, v8, s[34:35]
.LBB1605_287:
	v_pk_mov_b32 v[8:9], v[6:7], v[6:7] op_sel:[0,1]
.LBB1605_288:
	s_or_b64 exec, exec, s[28:29]
	v_pk_mov_b32 v[6:7], v[8:9], v[8:9] op_sel:[0,1]
.LBB1605_289:
	s_or_b64 exec, exec, s[26:27]
.LBB1605_290:
	s_or_b64 exec, exec, s[4:5]
	v_and_b32_e32 v17, 0xf80, v27
	v_or_b32_e32 v8, 64, v17
	v_min_u32_e32 v14, 0x400, v8
	v_min_u32_e32 v8, 0x3c0, v8
	v_add_u32_e32 v15, 64, v8
	v_and_b32_e32 v18, 0x7c, v27
	v_sub_u32_e32 v8, v14, v17
	v_sub_u32_e32 v9, v15, v14
	v_sub_u32_e64 v20, v18, v9 clamp
	v_min_u32_e32 v21, v18, v8
	v_lshlrev_b32_e32 v16, 3, v27
	v_lshlrev_b32_e32 v19, 3, v17
	v_cmp_lt_u32_e32 vcc, v20, v21
	; wave barrier
	s_waitcnt lgkmcnt(0)
	s_barrier
	ds_write_b128 v16, v[0:3]
	ds_write_b128 v16, v[4:7] offset:16
	s_waitcnt lgkmcnt(0)
	s_barrier
	s_and_saveexec_b64 s[26:27], vcc
	s_cbranch_execz .LBB1605_300
; %bb.291:
	v_lshlrev_b32_e32 v8, 3, v18
	v_lshl_add_u32 v22, v14, 3, v8
	v_cndmask_b32_e64 v8, 0, 1, s[24:25]
	s_lshl_b64 s[30:31], s[16:17], 3
	s_mov_b64 s[28:29], 0
	v_cmp_ne_u32_e64 s[0:1], 1, v8
	s_branch .LBB1605_294
.LBB1605_292:                           ;   in Loop: Header=BB1605_294 Depth=1
	s_or_b64 exec, exec, s[36:37]
.LBB1605_293:                           ;   in Loop: Header=BB1605_294 Depth=1
	v_add_u32_e32 v8, 1, v23
	v_cndmask_b32_e64 v21, v21, v23, s[34:35]
	v_cndmask_b32_e64 v20, v8, v20, s[34:35]
	v_cmp_ge_u32_e32 vcc, v20, v21
	s_or_b64 s[28:29], vcc, s[28:29]
	s_andn2_b64 exec, exec, s[28:29]
	s_cbranch_execz .LBB1605_299
.LBB1605_294:                           ; =>This Loop Header: Depth=1
                                        ;     Child Loop BB1605_297 Depth 2
	v_add_u32_e32 v8, v21, v20
	v_lshrrev_b32_e32 v23, 1, v8
	s_and_b64 vcc, exec, s[0:1]
	s_mov_b64 s[34:35], 0
	s_cbranch_vccnz .LBB1605_293
; %bb.295:                              ;   in Loop: Header=BB1605_294 Depth=1
	v_not_b32_e32 v8, v23
	v_lshl_add_u32 v8, v8, 3, v22
	ds_read_b64 v[8:9], v8
	v_lshl_add_u32 v24, v23, 3, v19
	ds_read_b64 v[24:25], v24
	v_pk_mov_b32 v[10:11], s[18:19], s[18:19] op_sel:[0,1]
	s_mov_b64 s[36:37], 0
	s_waitcnt lgkmcnt(1)
	v_mul_lo_u32 v37, s30, v9
	v_mul_lo_u32 v38, s31, v8
	v_mad_u64_u32 v[8:9], s[2:3], s30, v8, v[10:11]
	v_add3_u32 v9, v38, v9, v37
	s_waitcnt lgkmcnt(0)
	v_mul_lo_u32 v25, s30, v25
	v_mul_lo_u32 v37, s31, v24
	v_mad_u64_u32 v[10:11], s[2:3], s30, v24, v[10:11]
	v_add3_u32 v11, v37, v11, v25
	s_mov_b64 s[42:43], s[16:17]
                                        ; implicit-def: $sgpr34_sgpr35
                                        ; implicit-def: $sgpr38_sgpr39
                                        ; implicit-def: $sgpr40_sgpr41
                                        ; implicit-def: $sgpr2_sgpr3
                                        ; implicit-def: $sgpr44_sgpr45
	s_branch .LBB1605_297
.LBB1605_296:                           ;   in Loop: Header=BB1605_297 Depth=2
	s_or_b64 exec, exec, s[46:47]
	s_and_b64 s[4:5], exec, s[38:39]
	s_or_b64 s[36:37], s[4:5], s[36:37]
	s_andn2_b64 s[4:5], s[44:45], exec
	s_and_b64 s[44:45], s[40:41], exec
	s_or_b64 s[44:45], s[4:5], s[44:45]
	s_andn2_b64 s[4:5], s[34:35], exec
	s_and_b64 s[34:35], s[2:3], exec
	s_or_b64 s[34:35], s[4:5], s[34:35]
	s_andn2_b64 exec, exec, s[36:37]
	s_cbranch_execz .LBB1605_292
.LBB1605_297:                           ;   Parent Loop BB1605_294 Depth=1
                                        ; =>  This Inner Loop Header: Depth=2
	global_load_dwordx2 v[24:25], v[8:9], off
	global_load_dwordx2 v[38:39], v[10:11], off
	s_andn2_b64 s[46:47], s[2:3], exec
	s_andn2_b64 s[40:41], s[40:41], exec
	s_or_b64 s[38:39], s[38:39], exec
	s_waitcnt vmcnt(0)
	v_cmp_le_u64_e64 s[2:3], v[24:25], v[38:39]
	v_cmp_lt_u64_e32 vcc, v[24:25], v[38:39]
	s_and_b64 s[2:3], s[2:3], s[44:45]
	s_or_b64 s[48:49], vcc, s[2:3]
	s_and_b64 s[2:3], s[48:49], exec
	v_cmp_eq_u64_e64 s[4:5], v[24:25], v[38:39]
	s_or_b64 s[2:3], s[46:47], s[2:3]
	s_and_saveexec_b64 s[46:47], s[4:5]
	s_cbranch_execz .LBB1605_296
; %bb.298:                              ;   in Loop: Header=BB1605_297 Depth=2
	s_add_u32 s42, s42, -1
	s_addc_u32 s43, s43, -1
	v_add_co_u32_e32 v8, vcc, 8, v8
	s_cmp_eq_u64 s[42:43], 0
	v_addc_co_u32_e32 v9, vcc, 0, v9, vcc
	s_cselect_b64 s[4:5], -1, 0
	v_add_co_u32_e32 v10, vcc, 8, v10
	s_andn2_b64 s[40:41], s[40:41], exec
	s_and_b64 s[44:45], s[48:49], exec
	s_andn2_b64 s[38:39], s[38:39], exec
	s_and_b64 s[4:5], s[4:5], exec
	v_addc_co_u32_e32 v11, vcc, 0, v11, vcc
	s_andn2_b64 s[2:3], s[2:3], exec
	s_or_b64 s[40:41], s[40:41], s[44:45]
	s_or_b64 s[38:39], s[38:39], s[4:5]
                                        ; implicit-def: $sgpr44_sgpr45
	s_branch .LBB1605_296
.LBB1605_299:
	s_or_b64 exec, exec, s[28:29]
.LBB1605_300:
	s_or_b64 exec, exec, s[26:27]
	v_sub_u32_e32 v8, v18, v20
	v_add_u32_e32 v17, v20, v17
	v_add_u32_e32 v18, v8, v14
	v_cmp_le_u32_e32 vcc, v17, v14
	v_cmp_le_u32_e64 s[0:1], v18, v15
	s_or_b64 s[0:1], vcc, s[0:1]
	s_and_saveexec_b64 s[4:5], s[0:1]
	s_cbranch_execz .LBB1605_347
; %bb.301:
	v_cmp_ge_u32_e32 vcc, v17, v14
	v_cmp_lt_u32_e64 s[0:1], v17, v14
                                        ; implicit-def: $vgpr0_vgpr1
	s_and_saveexec_b64 s[2:3], s[0:1]
	s_cbranch_execz .LBB1605_303
; %bb.302:
	v_lshl_add_u32 v0, v20, 3, v19
	ds_read_b64 v[0:1], v0
.LBB1605_303:
	s_or_b64 exec, exec, s[2:3]
	v_cmp_ge_u32_e64 s[26:27], v18, v15
	v_cmp_lt_u32_e64 s[0:1], v18, v15
                                        ; implicit-def: $vgpr4_vgpr5
	s_and_saveexec_b64 s[2:3], s[0:1]
	s_cbranch_execz .LBB1605_305
; %bb.304:
	v_lshlrev_b32_e32 v2, 3, v18
	ds_read_b64 v[4:5], v2
.LBB1605_305:
	s_or_b64 exec, exec, s[2:3]
	s_or_b64 s[0:1], vcc, s[26:27]
	s_mov_b64 s[28:29], -1
	s_xor_b64 s[0:1], s[0:1], -1
	s_and_saveexec_b64 s[30:31], s[0:1]
	s_cbranch_execz .LBB1605_314
; %bb.306:
	s_andn2_b64 vcc, exec, s[24:25]
	s_cbranch_vccnz .LBB1605_312
; %bb.307:
	s_waitcnt lgkmcnt(0)
	v_mul_lo_u32 v6, v5, s16
	v_mul_lo_u32 v7, v4, s17
	v_mad_u64_u32 v[2:3], s[0:1], v4, s16, 0
	v_add3_u32 v3, v3, v7, v6
	v_lshlrev_b64 v[2:3], 3, v[2:3]
	v_mov_b32_e32 v6, s19
	v_add_co_u32_e32 v2, vcc, s18, v2
	v_addc_co_u32_e32 v3, vcc, v6, v3, vcc
	v_mul_lo_u32 v8, v1, s16
	v_mul_lo_u32 v9, v0, s17
	v_mad_u64_u32 v[6:7], s[0:1], v0, s16, 0
	v_add3_u32 v7, v7, v9, v8
	v_lshlrev_b64 v[6:7], 3, v[6:7]
	v_mov_b32_e32 v8, s19
	v_add_co_u32_e32 v6, vcc, s18, v6
	v_addc_co_u32_e32 v7, vcc, v8, v7, vcc
	s_mov_b64 s[34:35], 0
	s_mov_b64 s[42:43], s[16:17]
                                        ; implicit-def: $sgpr36_sgpr37
                                        ; implicit-def: $sgpr38_sgpr39
                                        ; implicit-def: $sgpr0_sgpr1
                                        ; implicit-def: $sgpr40_sgpr41
                                        ; implicit-def: $sgpr44_sgpr45
	s_branch .LBB1605_309
.LBB1605_308:                           ;   in Loop: Header=BB1605_309 Depth=1
	s_or_b64 exec, exec, s[46:47]
	s_and_b64 s[2:3], exec, s[38:39]
	s_or_b64 s[34:35], s[2:3], s[34:35]
	s_andn2_b64 s[2:3], s[44:45], exec
	s_and_b64 s[44:45], s[40:41], exec
	s_or_b64 s[44:45], s[2:3], s[44:45]
	s_andn2_b64 s[2:3], s[36:37], exec
	s_and_b64 s[36:37], s[0:1], exec
	s_or_b64 s[36:37], s[2:3], s[36:37]
	s_andn2_b64 exec, exec, s[34:35]
	s_cbranch_execz .LBB1605_311
.LBB1605_309:                           ; =>This Inner Loop Header: Depth=1
	global_load_dwordx2 v[8:9], v[2:3], off
	global_load_dwordx2 v[10:11], v[6:7], off
	s_andn2_b64 s[46:47], s[0:1], exec
	s_andn2_b64 s[40:41], s[40:41], exec
	s_or_b64 s[38:39], s[38:39], exec
	s_waitcnt vmcnt(0)
	v_cmp_le_u64_e64 s[0:1], v[8:9], v[10:11]
	v_cmp_lt_u64_e32 vcc, v[8:9], v[10:11]
	s_and_b64 s[0:1], s[0:1], s[44:45]
	s_or_b64 s[48:49], vcc, s[0:1]
	s_and_b64 s[0:1], s[48:49], exec
	v_cmp_eq_u64_e64 s[2:3], v[8:9], v[10:11]
	s_or_b64 s[0:1], s[46:47], s[0:1]
	s_and_saveexec_b64 s[46:47], s[2:3]
	s_cbranch_execz .LBB1605_308
; %bb.310:                              ;   in Loop: Header=BB1605_309 Depth=1
	s_add_u32 s42, s42, -1
	s_addc_u32 s43, s43, -1
	v_add_co_u32_e32 v2, vcc, 8, v2
	s_cmp_eq_u64 s[42:43], 0
	v_addc_co_u32_e32 v3, vcc, 0, v3, vcc
	s_cselect_b64 s[2:3], -1, 0
	v_add_co_u32_e32 v6, vcc, 8, v6
	s_andn2_b64 s[40:41], s[40:41], exec
	s_and_b64 s[44:45], s[48:49], exec
	s_andn2_b64 s[38:39], s[38:39], exec
	s_and_b64 s[2:3], s[2:3], exec
	v_addc_co_u32_e32 v7, vcc, 0, v7, vcc
	s_or_b64 s[40:41], s[40:41], s[44:45]
	s_andn2_b64 s[0:1], s[0:1], exec
	s_or_b64 s[38:39], s[38:39], s[2:3]
                                        ; implicit-def: $sgpr44_sgpr45
	s_branch .LBB1605_308
.LBB1605_311:
	s_or_b64 exec, exec, s[34:35]
	s_xor_b64 s[0:1], s[36:37], -1
	s_branch .LBB1605_313
.LBB1605_312:
	s_mov_b64 s[0:1], -1
.LBB1605_313:
	s_andn2_b64 s[2:3], s[26:27], exec
	s_and_b64 s[0:1], s[0:1], exec
	s_or_b64 s[26:27], s[2:3], s[0:1]
.LBB1605_314:
	s_or_b64 exec, exec, s[30:31]
	v_cndmask_b32_e64 v2, v18, v17, s[26:27]
	v_cndmask_b32_e64 v3, v15, v14, s[26:27]
	v_add_u32_e32 v6, 1, v2
	v_add_u32_e32 v2, -1, v3
	v_min_u32_e32 v2, v6, v2
	v_lshlrev_b32_e32 v2, 3, v2
	ds_read_b64 v[2:3], v2
	v_cndmask_b32_e64 v19, v6, v18, s[26:27]
	v_cndmask_b32_e64 v23, v17, v6, s[26:27]
	v_cmp_lt_u32_e32 vcc, v19, v15
	s_waitcnt lgkmcnt(0)
	v_cndmask_b32_e64 v8, v3, v5, s[26:27]
	v_cndmask_b32_e64 v9, v2, v4, s[26:27]
	;; [unrolled: 1-line block ×4, first 2 shown]
	s_and_saveexec_b64 s[30:31], vcc
	s_cbranch_execz .LBB1605_325
; %bb.315:
	v_cmp_lt_u32_e32 vcc, v23, v14
	s_mov_b64 s[0:1], 0
	s_and_saveexec_b64 s[28:29], vcc
	s_cbranch_execz .LBB1605_324
; %bb.316:
	s_andn2_b64 vcc, exec, s[24:25]
	s_cbranch_vccnz .LBB1605_322
; %bb.317:
	v_mul_lo_u32 v6, v8, s16
	v_mul_lo_u32 v7, v9, s17
	v_mad_u64_u32 v[2:3], s[0:1], v9, s16, 0
	v_add3_u32 v3, v3, v7, v6
	v_lshlrev_b64 v[2:3], 3, v[2:3]
	v_mov_b32_e32 v6, s19
	v_add_co_u32_e32 v2, vcc, s18, v2
	v_addc_co_u32_e32 v3, vcc, v6, v3, vcc
	v_mul_lo_u32 v17, v10, s16
	v_mul_lo_u32 v18, v11, s17
	v_mad_u64_u32 v[6:7], s[0:1], v11, s16, 0
	v_add3_u32 v7, v7, v18, v17
	v_lshlrev_b64 v[6:7], 3, v[6:7]
	v_mov_b32_e32 v17, s19
	v_add_co_u32_e32 v6, vcc, s18, v6
	v_addc_co_u32_e32 v7, vcc, v17, v7, vcc
	s_mov_b64 s[34:35], 0
	s_mov_b64 s[42:43], s[16:17]
                                        ; implicit-def: $sgpr36_sgpr37
                                        ; implicit-def: $sgpr38_sgpr39
                                        ; implicit-def: $sgpr0_sgpr1
                                        ; implicit-def: $sgpr40_sgpr41
                                        ; implicit-def: $sgpr44_sgpr45
	s_branch .LBB1605_319
.LBB1605_318:                           ;   in Loop: Header=BB1605_319 Depth=1
	s_or_b64 exec, exec, s[46:47]
	s_and_b64 s[2:3], exec, s[38:39]
	s_or_b64 s[34:35], s[2:3], s[34:35]
	s_andn2_b64 s[2:3], s[44:45], exec
	s_and_b64 s[44:45], s[40:41], exec
	s_or_b64 s[44:45], s[2:3], s[44:45]
	s_andn2_b64 s[2:3], s[36:37], exec
	s_and_b64 s[36:37], s[0:1], exec
	s_or_b64 s[36:37], s[2:3], s[36:37]
	s_andn2_b64 exec, exec, s[34:35]
	s_cbranch_execz .LBB1605_321
.LBB1605_319:                           ; =>This Inner Loop Header: Depth=1
	global_load_dwordx2 v[20:21], v[2:3], off
	global_load_dwordx2 v[24:25], v[6:7], off
	s_andn2_b64 s[46:47], s[0:1], exec
	s_andn2_b64 s[40:41], s[40:41], exec
	s_or_b64 s[38:39], s[38:39], exec
	s_waitcnt vmcnt(0)
	v_cmp_le_u64_e64 s[0:1], v[20:21], v[24:25]
	v_cmp_lt_u64_e32 vcc, v[20:21], v[24:25]
	s_and_b64 s[0:1], s[0:1], s[44:45]
	s_or_b64 s[48:49], vcc, s[0:1]
	s_and_b64 s[0:1], s[48:49], exec
	v_cmp_eq_u64_e64 s[2:3], v[20:21], v[24:25]
	s_or_b64 s[0:1], s[46:47], s[0:1]
	s_and_saveexec_b64 s[46:47], s[2:3]
	s_cbranch_execz .LBB1605_318
; %bb.320:                              ;   in Loop: Header=BB1605_319 Depth=1
	s_add_u32 s42, s42, -1
	s_addc_u32 s43, s43, -1
	v_add_co_u32_e32 v2, vcc, 8, v2
	s_cmp_eq_u64 s[42:43], 0
	v_addc_co_u32_e32 v3, vcc, 0, v3, vcc
	s_cselect_b64 s[2:3], -1, 0
	v_add_co_u32_e32 v6, vcc, 8, v6
	s_andn2_b64 s[40:41], s[40:41], exec
	s_and_b64 s[44:45], s[48:49], exec
	s_andn2_b64 s[38:39], s[38:39], exec
	s_and_b64 s[2:3], s[2:3], exec
	v_addc_co_u32_e32 v7, vcc, 0, v7, vcc
	s_or_b64 s[40:41], s[40:41], s[44:45]
	s_andn2_b64 s[0:1], s[0:1], exec
	s_or_b64 s[38:39], s[38:39], s[2:3]
                                        ; implicit-def: $sgpr44_sgpr45
	s_branch .LBB1605_318
.LBB1605_321:
	s_or_b64 exec, exec, s[34:35]
	s_xor_b64 s[0:1], s[36:37], -1
	s_branch .LBB1605_323
.LBB1605_322:
	s_mov_b64 s[0:1], -1
.LBB1605_323:
	s_and_b64 s[0:1], s[0:1], exec
.LBB1605_324:
	s_or_b64 exec, exec, s[28:29]
	s_orn2_b64 s[28:29], s[0:1], exec
.LBB1605_325:
	s_or_b64 exec, exec, s[30:31]
	v_cndmask_b32_e64 v2, v19, v23, s[28:29]
	v_cndmask_b32_e64 v3, v15, v14, s[28:29]
	v_add_u32_e32 v6, 1, v2
	v_add_u32_e32 v2, -1, v3
	v_min_u32_e32 v2, v6, v2
	v_lshlrev_b32_e32 v2, 3, v2
	ds_read_b64 v[2:3], v2
	v_cndmask_b32_e64 v20, v6, v19, s[28:29]
	v_cndmask_b32_e64 v19, v23, v6, s[28:29]
	v_cmp_lt_u32_e32 vcc, v20, v15
	s_mov_b64 s[0:1], -1
	s_waitcnt lgkmcnt(0)
	v_cndmask_b32_e64 v17, v3, v8, s[28:29]
	v_cndmask_b32_e64 v18, v2, v9, s[28:29]
	v_cndmask_b32_e64 v21, v10, v3, s[28:29]
	v_cndmask_b32_e64 v22, v11, v2, s[28:29]
	s_and_saveexec_b64 s[30:31], vcc
	s_cbranch_execz .LBB1605_336
; %bb.326:
	v_cmp_lt_u32_e32 vcc, v19, v14
	s_mov_b64 s[0:1], 0
	s_and_saveexec_b64 s[34:35], vcc
	s_cbranch_execz .LBB1605_335
; %bb.327:
	s_andn2_b64 vcc, exec, s[24:25]
	s_cbranch_vccnz .LBB1605_333
; %bb.328:
	v_mul_lo_u32 v6, v17, s16
	v_mul_lo_u32 v7, v18, s17
	v_mad_u64_u32 v[2:3], s[0:1], v18, s16, 0
	v_add3_u32 v3, v3, v7, v6
	v_lshlrev_b64 v[2:3], 3, v[2:3]
	v_mov_b32_e32 v6, s19
	v_add_co_u32_e32 v2, vcc, s18, v2
	v_addc_co_u32_e32 v3, vcc, v6, v3, vcc
	v_mul_lo_u32 v23, v21, s16
	v_mul_lo_u32 v24, v22, s17
	v_mad_u64_u32 v[6:7], s[0:1], v22, s16, 0
	v_add3_u32 v7, v7, v24, v23
	v_lshlrev_b64 v[6:7], 3, v[6:7]
	v_mov_b32_e32 v23, s19
	v_add_co_u32_e32 v6, vcc, s18, v6
	v_addc_co_u32_e32 v7, vcc, v23, v7, vcc
	s_mov_b64 s[36:37], 0
	s_mov_b64 s[44:45], s[16:17]
                                        ; implicit-def: $sgpr38_sgpr39
                                        ; implicit-def: $sgpr40_sgpr41
                                        ; implicit-def: $sgpr0_sgpr1
                                        ; implicit-def: $sgpr42_sgpr43
                                        ; implicit-def: $sgpr46_sgpr47
	s_branch .LBB1605_330
.LBB1605_329:                           ;   in Loop: Header=BB1605_330 Depth=1
	s_or_b64 exec, exec, s[48:49]
	s_and_b64 s[2:3], exec, s[40:41]
	s_or_b64 s[36:37], s[2:3], s[36:37]
	s_andn2_b64 s[2:3], s[46:47], exec
	s_and_b64 s[46:47], s[42:43], exec
	s_or_b64 s[46:47], s[2:3], s[46:47]
	s_andn2_b64 s[2:3], s[38:39], exec
	s_and_b64 s[38:39], s[0:1], exec
	s_or_b64 s[38:39], s[2:3], s[38:39]
	s_andn2_b64 exec, exec, s[36:37]
	s_cbranch_execz .LBB1605_332
.LBB1605_330:                           ; =>This Inner Loop Header: Depth=1
	global_load_dwordx2 v[24:25], v[2:3], off
	global_load_dwordx2 v[38:39], v[6:7], off
	s_andn2_b64 s[48:49], s[0:1], exec
	s_andn2_b64 s[42:43], s[42:43], exec
	s_or_b64 s[40:41], s[40:41], exec
	s_waitcnt vmcnt(0)
	v_cmp_le_u64_e64 s[0:1], v[24:25], v[38:39]
	v_cmp_lt_u64_e32 vcc, v[24:25], v[38:39]
	s_and_b64 s[0:1], s[0:1], s[46:47]
	s_or_b64 s[50:51], vcc, s[0:1]
	s_and_b64 s[0:1], s[50:51], exec
	v_cmp_eq_u64_e64 s[2:3], v[24:25], v[38:39]
	s_or_b64 s[0:1], s[48:49], s[0:1]
	s_and_saveexec_b64 s[48:49], s[2:3]
	s_cbranch_execz .LBB1605_329
; %bb.331:                              ;   in Loop: Header=BB1605_330 Depth=1
	s_add_u32 s44, s44, -1
	s_addc_u32 s45, s45, -1
	v_add_co_u32_e32 v2, vcc, 8, v2
	s_cmp_eq_u64 s[44:45], 0
	v_addc_co_u32_e32 v3, vcc, 0, v3, vcc
	s_cselect_b64 s[2:3], -1, 0
	v_add_co_u32_e32 v6, vcc, 8, v6
	s_andn2_b64 s[42:43], s[42:43], exec
	s_and_b64 s[46:47], s[50:51], exec
	s_andn2_b64 s[40:41], s[40:41], exec
	s_and_b64 s[2:3], s[2:3], exec
	v_addc_co_u32_e32 v7, vcc, 0, v7, vcc
	s_or_b64 s[42:43], s[42:43], s[46:47]
	s_andn2_b64 s[0:1], s[0:1], exec
	s_or_b64 s[40:41], s[40:41], s[2:3]
                                        ; implicit-def: $sgpr46_sgpr47
	s_branch .LBB1605_329
.LBB1605_332:
	s_or_b64 exec, exec, s[36:37]
	s_xor_b64 s[0:1], s[38:39], -1
	s_branch .LBB1605_334
.LBB1605_333:
	s_mov_b64 s[0:1], -1
.LBB1605_334:
	s_and_b64 s[0:1], s[0:1], exec
.LBB1605_335:
	s_or_b64 exec, exec, s[34:35]
	s_orn2_b64 s[0:1], s[0:1], exec
.LBB1605_336:
	s_or_b64 exec, exec, s[30:31]
	v_cndmask_b32_e64 v6, v20, v19, s[0:1]
	v_cndmask_b32_e64 v7, v15, v14, s[0:1]
	;; [unrolled: 1-line block ×3, first 2 shown]
	v_add_u32_e32 v10, 1, v6
	v_add_u32_e32 v6, -1, v7
	v_min_u32_e32 v6, v10, v6
	v_lshlrev_b32_e32 v6, 3, v6
	v_cndmask_b32_e64 v2, v9, v11, s[28:29]
	ds_read_b64 v[8:9], v6
	v_cndmask_b32_e64 v11, v10, v20, s[0:1]
	v_cndmask_b32_e64 v1, v5, v1, s[26:27]
	;; [unrolled: 1-line block ×5, first 2 shown]
	s_waitcnt lgkmcnt(0)
	v_cndmask_b32_e64 v7, v21, v9, s[0:1]
	v_cndmask_b32_e64 v6, v22, v8, s[0:1]
	v_cmp_lt_u32_e32 vcc, v11, v15
	s_and_saveexec_b64 s[26:27], vcc
	s_cbranch_execz .LBB1605_346
; %bb.337:
	v_cndmask_b32_e64 v10, v19, v10, s[0:1]
	v_cndmask_b32_e64 v9, v9, v17, s[0:1]
	;; [unrolled: 1-line block ×3, first 2 shown]
	v_cmp_lt_u32_e32 vcc, v10, v14
	s_and_saveexec_b64 s[28:29], vcc
	s_cbranch_execz .LBB1605_345
; %bb.338:
	s_andn2_b64 vcc, exec, s[24:25]
	s_cbranch_vccnz .LBB1605_344
; %bb.339:
	v_mul_lo_u32 v14, v9, s16
	v_mul_lo_u32 v15, v8, s17
	v_mad_u64_u32 v[10:11], s[0:1], v8, s16, 0
	v_add3_u32 v11, v11, v15, v14
	v_lshlrev_b64 v[10:11], 3, v[10:11]
	v_mov_b32_e32 v14, s19
	v_add_co_u32_e32 v10, vcc, s18, v10
	v_addc_co_u32_e32 v11, vcc, v14, v11, vcc
	v_mul_lo_u32 v17, v7, s16
	v_mul_lo_u32 v18, v6, s17
	v_mad_u64_u32 v[14:15], s[0:1], v6, s16, 0
	v_add3_u32 v15, v15, v18, v17
	v_lshlrev_b64 v[14:15], 3, v[14:15]
	v_mov_b32_e32 v17, s19
	v_add_co_u32_e32 v14, vcc, s18, v14
	v_addc_co_u32_e32 v15, vcc, v17, v15, vcc
	s_mov_b64 s[30:31], 0
	s_mov_b64 s[40:41], s[16:17]
                                        ; implicit-def: $sgpr34_sgpr35
                                        ; implicit-def: $sgpr36_sgpr37
                                        ; implicit-def: $sgpr0_sgpr1
                                        ; implicit-def: $sgpr38_sgpr39
                                        ; implicit-def: $sgpr42_sgpr43
	s_branch .LBB1605_341
.LBB1605_340:                           ;   in Loop: Header=BB1605_341 Depth=1
	s_or_b64 exec, exec, s[44:45]
	s_and_b64 s[2:3], exec, s[36:37]
	s_or_b64 s[30:31], s[2:3], s[30:31]
	s_andn2_b64 s[2:3], s[42:43], exec
	s_and_b64 s[42:43], s[38:39], exec
	s_or_b64 s[42:43], s[2:3], s[42:43]
	s_andn2_b64 s[2:3], s[34:35], exec
	s_and_b64 s[34:35], s[0:1], exec
	s_or_b64 s[34:35], s[2:3], s[34:35]
	s_andn2_b64 exec, exec, s[30:31]
	s_cbranch_execz .LBB1605_343
.LBB1605_341:                           ; =>This Inner Loop Header: Depth=1
	global_load_dwordx2 v[18:19], v[10:11], off
	global_load_dwordx2 v[20:21], v[14:15], off
	s_andn2_b64 s[44:45], s[0:1], exec
	s_andn2_b64 s[38:39], s[38:39], exec
	s_or_b64 s[36:37], s[36:37], exec
	s_waitcnt vmcnt(0)
	v_cmp_le_u64_e64 s[0:1], v[18:19], v[20:21]
	v_cmp_lt_u64_e32 vcc, v[18:19], v[20:21]
	s_and_b64 s[0:1], s[0:1], s[42:43]
	s_or_b64 s[46:47], vcc, s[0:1]
	s_and_b64 s[0:1], s[46:47], exec
	v_cmp_eq_u64_e64 s[2:3], v[18:19], v[20:21]
	s_or_b64 s[0:1], s[44:45], s[0:1]
	s_and_saveexec_b64 s[44:45], s[2:3]
	s_cbranch_execz .LBB1605_340
; %bb.342:                              ;   in Loop: Header=BB1605_341 Depth=1
	s_add_u32 s40, s40, -1
	s_addc_u32 s41, s41, -1
	v_add_co_u32_e32 v10, vcc, 8, v10
	s_cmp_eq_u64 s[40:41], 0
	v_addc_co_u32_e32 v11, vcc, 0, v11, vcc
	s_cselect_b64 s[2:3], -1, 0
	v_add_co_u32_e32 v14, vcc, 8, v14
	s_andn2_b64 s[38:39], s[38:39], exec
	s_and_b64 s[42:43], s[46:47], exec
	s_andn2_b64 s[36:37], s[36:37], exec
	s_and_b64 s[2:3], s[2:3], exec
	v_addc_co_u32_e32 v15, vcc, 0, v15, vcc
	s_or_b64 s[38:39], s[38:39], s[42:43]
	s_andn2_b64 s[0:1], s[0:1], exec
	s_or_b64 s[36:37], s[36:37], s[2:3]
                                        ; implicit-def: $sgpr42_sgpr43
	s_branch .LBB1605_340
.LBB1605_343:
	s_or_b64 exec, exec, s[30:31]
	v_cndmask_b32_e64 v7, v7, v9, s[34:35]
	v_cndmask_b32_e64 v6, v6, v8, s[34:35]
.LBB1605_344:
	v_pk_mov_b32 v[8:9], v[6:7], v[6:7] op_sel:[0,1]
.LBB1605_345:
	s_or_b64 exec, exec, s[28:29]
	v_pk_mov_b32 v[6:7], v[8:9], v[8:9] op_sel:[0,1]
.LBB1605_346:
	s_or_b64 exec, exec, s[26:27]
.LBB1605_347:
	s_or_b64 exec, exec, s[4:5]
	v_and_b32_e32 v17, 0xf00, v27
	v_or_b32_e32 v8, 0x80, v17
	v_min_u32_e32 v14, 0x400, v8
	v_min_u32_e32 v8, 0x380, v8
	v_add_u32_e32 v15, 0x80, v8
	v_and_b32_e32 v18, 0xfc, v27
	v_sub_u32_e32 v8, v14, v17
	v_sub_u32_e32 v9, v15, v14
	v_sub_u32_e64 v20, v18, v9 clamp
	v_min_u32_e32 v21, v18, v8
	v_lshlrev_b32_e32 v19, 3, v17
	v_cmp_lt_u32_e32 vcc, v20, v21
	s_barrier
	ds_write_b128 v16, v[0:3]
	ds_write_b128 v16, v[4:7] offset:16
	s_waitcnt lgkmcnt(0)
	s_barrier
	s_and_saveexec_b64 s[26:27], vcc
	s_cbranch_execz .LBB1605_357
; %bb.348:
	v_lshlrev_b32_e32 v8, 3, v18
	v_lshl_add_u32 v22, v14, 3, v8
	v_cndmask_b32_e64 v8, 0, 1, s[24:25]
	s_lshl_b64 s[30:31], s[16:17], 3
	s_mov_b64 s[28:29], 0
	v_cmp_ne_u32_e64 s[0:1], 1, v8
	s_branch .LBB1605_351
.LBB1605_349:                           ;   in Loop: Header=BB1605_351 Depth=1
	s_or_b64 exec, exec, s[36:37]
.LBB1605_350:                           ;   in Loop: Header=BB1605_351 Depth=1
	v_add_u32_e32 v8, 1, v23
	v_cndmask_b32_e64 v21, v21, v23, s[34:35]
	v_cndmask_b32_e64 v20, v8, v20, s[34:35]
	v_cmp_ge_u32_e32 vcc, v20, v21
	s_or_b64 s[28:29], vcc, s[28:29]
	s_andn2_b64 exec, exec, s[28:29]
	s_cbranch_execz .LBB1605_356
.LBB1605_351:                           ; =>This Loop Header: Depth=1
                                        ;     Child Loop BB1605_354 Depth 2
	v_add_u32_e32 v8, v21, v20
	v_lshrrev_b32_e32 v23, 1, v8
	s_and_b64 vcc, exec, s[0:1]
	s_mov_b64 s[34:35], 0
	s_cbranch_vccnz .LBB1605_350
; %bb.352:                              ;   in Loop: Header=BB1605_351 Depth=1
	v_not_b32_e32 v8, v23
	v_lshl_add_u32 v8, v8, 3, v22
	ds_read_b64 v[8:9], v8
	v_lshl_add_u32 v24, v23, 3, v19
	ds_read_b64 v[24:25], v24
	v_pk_mov_b32 v[10:11], s[18:19], s[18:19] op_sel:[0,1]
	s_mov_b64 s[36:37], 0
	s_waitcnt lgkmcnt(1)
	v_mul_lo_u32 v37, s30, v9
	v_mul_lo_u32 v38, s31, v8
	v_mad_u64_u32 v[8:9], s[2:3], s30, v8, v[10:11]
	v_add3_u32 v9, v38, v9, v37
	s_waitcnt lgkmcnt(0)
	v_mul_lo_u32 v25, s30, v25
	v_mul_lo_u32 v37, s31, v24
	v_mad_u64_u32 v[10:11], s[2:3], s30, v24, v[10:11]
	v_add3_u32 v11, v37, v11, v25
	s_mov_b64 s[42:43], s[16:17]
                                        ; implicit-def: $sgpr34_sgpr35
                                        ; implicit-def: $sgpr38_sgpr39
                                        ; implicit-def: $sgpr40_sgpr41
                                        ; implicit-def: $sgpr2_sgpr3
                                        ; implicit-def: $sgpr44_sgpr45
	s_branch .LBB1605_354
.LBB1605_353:                           ;   in Loop: Header=BB1605_354 Depth=2
	s_or_b64 exec, exec, s[46:47]
	s_and_b64 s[4:5], exec, s[38:39]
	s_or_b64 s[36:37], s[4:5], s[36:37]
	s_andn2_b64 s[4:5], s[44:45], exec
	s_and_b64 s[44:45], s[40:41], exec
	s_or_b64 s[44:45], s[4:5], s[44:45]
	s_andn2_b64 s[4:5], s[34:35], exec
	s_and_b64 s[34:35], s[2:3], exec
	s_or_b64 s[34:35], s[4:5], s[34:35]
	s_andn2_b64 exec, exec, s[36:37]
	s_cbranch_execz .LBB1605_349
.LBB1605_354:                           ;   Parent Loop BB1605_351 Depth=1
                                        ; =>  This Inner Loop Header: Depth=2
	global_load_dwordx2 v[24:25], v[8:9], off
	global_load_dwordx2 v[38:39], v[10:11], off
	s_andn2_b64 s[46:47], s[2:3], exec
	s_andn2_b64 s[40:41], s[40:41], exec
	s_or_b64 s[38:39], s[38:39], exec
	s_waitcnt vmcnt(0)
	v_cmp_le_u64_e64 s[2:3], v[24:25], v[38:39]
	v_cmp_lt_u64_e32 vcc, v[24:25], v[38:39]
	s_and_b64 s[2:3], s[2:3], s[44:45]
	s_or_b64 s[48:49], vcc, s[2:3]
	s_and_b64 s[2:3], s[48:49], exec
	v_cmp_eq_u64_e64 s[4:5], v[24:25], v[38:39]
	s_or_b64 s[2:3], s[46:47], s[2:3]
	s_and_saveexec_b64 s[46:47], s[4:5]
	s_cbranch_execz .LBB1605_353
; %bb.355:                              ;   in Loop: Header=BB1605_354 Depth=2
	s_add_u32 s42, s42, -1
	s_addc_u32 s43, s43, -1
	v_add_co_u32_e32 v8, vcc, 8, v8
	s_cmp_eq_u64 s[42:43], 0
	v_addc_co_u32_e32 v9, vcc, 0, v9, vcc
	s_cselect_b64 s[4:5], -1, 0
	v_add_co_u32_e32 v10, vcc, 8, v10
	s_andn2_b64 s[40:41], s[40:41], exec
	s_and_b64 s[44:45], s[48:49], exec
	s_andn2_b64 s[38:39], s[38:39], exec
	s_and_b64 s[4:5], s[4:5], exec
	v_addc_co_u32_e32 v11, vcc, 0, v11, vcc
	s_andn2_b64 s[2:3], s[2:3], exec
	s_or_b64 s[40:41], s[40:41], s[44:45]
	s_or_b64 s[38:39], s[38:39], s[4:5]
                                        ; implicit-def: $sgpr44_sgpr45
	s_branch .LBB1605_353
.LBB1605_356:
	s_or_b64 exec, exec, s[28:29]
.LBB1605_357:
	s_or_b64 exec, exec, s[26:27]
	v_sub_u32_e32 v8, v18, v20
	v_add_u32_e32 v17, v20, v17
	v_add_u32_e32 v18, v8, v14
	v_cmp_le_u32_e32 vcc, v17, v14
	v_cmp_le_u32_e64 s[0:1], v18, v15
	s_or_b64 s[0:1], vcc, s[0:1]
	s_and_saveexec_b64 s[4:5], s[0:1]
	s_cbranch_execz .LBB1605_404
; %bb.358:
	v_cmp_ge_u32_e32 vcc, v17, v14
	v_cmp_lt_u32_e64 s[0:1], v17, v14
                                        ; implicit-def: $vgpr0_vgpr1
	s_and_saveexec_b64 s[2:3], s[0:1]
	s_cbranch_execz .LBB1605_360
; %bb.359:
	v_lshl_add_u32 v0, v20, 3, v19
	ds_read_b64 v[0:1], v0
.LBB1605_360:
	s_or_b64 exec, exec, s[2:3]
	v_cmp_ge_u32_e64 s[26:27], v18, v15
	v_cmp_lt_u32_e64 s[0:1], v18, v15
                                        ; implicit-def: $vgpr4_vgpr5
	s_and_saveexec_b64 s[2:3], s[0:1]
	s_cbranch_execz .LBB1605_362
; %bb.361:
	v_lshlrev_b32_e32 v2, 3, v18
	ds_read_b64 v[4:5], v2
.LBB1605_362:
	s_or_b64 exec, exec, s[2:3]
	s_or_b64 s[0:1], vcc, s[26:27]
	s_mov_b64 s[28:29], -1
	s_xor_b64 s[0:1], s[0:1], -1
	s_and_saveexec_b64 s[30:31], s[0:1]
	s_cbranch_execz .LBB1605_371
; %bb.363:
	s_andn2_b64 vcc, exec, s[24:25]
	s_cbranch_vccnz .LBB1605_369
; %bb.364:
	s_waitcnt lgkmcnt(0)
	v_mul_lo_u32 v6, v5, s16
	v_mul_lo_u32 v7, v4, s17
	v_mad_u64_u32 v[2:3], s[0:1], v4, s16, 0
	v_add3_u32 v3, v3, v7, v6
	v_lshlrev_b64 v[2:3], 3, v[2:3]
	v_mov_b32_e32 v6, s19
	v_add_co_u32_e32 v2, vcc, s18, v2
	v_addc_co_u32_e32 v3, vcc, v6, v3, vcc
	v_mul_lo_u32 v8, v1, s16
	v_mul_lo_u32 v9, v0, s17
	v_mad_u64_u32 v[6:7], s[0:1], v0, s16, 0
	v_add3_u32 v7, v7, v9, v8
	v_lshlrev_b64 v[6:7], 3, v[6:7]
	v_mov_b32_e32 v8, s19
	v_add_co_u32_e32 v6, vcc, s18, v6
	v_addc_co_u32_e32 v7, vcc, v8, v7, vcc
	s_mov_b64 s[34:35], 0
	s_mov_b64 s[42:43], s[16:17]
                                        ; implicit-def: $sgpr36_sgpr37
                                        ; implicit-def: $sgpr38_sgpr39
                                        ; implicit-def: $sgpr0_sgpr1
                                        ; implicit-def: $sgpr40_sgpr41
                                        ; implicit-def: $sgpr44_sgpr45
	s_branch .LBB1605_366
.LBB1605_365:                           ;   in Loop: Header=BB1605_366 Depth=1
	s_or_b64 exec, exec, s[46:47]
	s_and_b64 s[2:3], exec, s[38:39]
	s_or_b64 s[34:35], s[2:3], s[34:35]
	s_andn2_b64 s[2:3], s[44:45], exec
	s_and_b64 s[44:45], s[40:41], exec
	s_or_b64 s[44:45], s[2:3], s[44:45]
	s_andn2_b64 s[2:3], s[36:37], exec
	s_and_b64 s[36:37], s[0:1], exec
	s_or_b64 s[36:37], s[2:3], s[36:37]
	s_andn2_b64 exec, exec, s[34:35]
	s_cbranch_execz .LBB1605_368
.LBB1605_366:                           ; =>This Inner Loop Header: Depth=1
	global_load_dwordx2 v[8:9], v[2:3], off
	global_load_dwordx2 v[10:11], v[6:7], off
	s_andn2_b64 s[46:47], s[0:1], exec
	s_andn2_b64 s[40:41], s[40:41], exec
	s_or_b64 s[38:39], s[38:39], exec
	s_waitcnt vmcnt(0)
	v_cmp_le_u64_e64 s[0:1], v[8:9], v[10:11]
	v_cmp_lt_u64_e32 vcc, v[8:9], v[10:11]
	s_and_b64 s[0:1], s[0:1], s[44:45]
	s_or_b64 s[48:49], vcc, s[0:1]
	s_and_b64 s[0:1], s[48:49], exec
	v_cmp_eq_u64_e64 s[2:3], v[8:9], v[10:11]
	s_or_b64 s[0:1], s[46:47], s[0:1]
	s_and_saveexec_b64 s[46:47], s[2:3]
	s_cbranch_execz .LBB1605_365
; %bb.367:                              ;   in Loop: Header=BB1605_366 Depth=1
	s_add_u32 s42, s42, -1
	s_addc_u32 s43, s43, -1
	v_add_co_u32_e32 v2, vcc, 8, v2
	s_cmp_eq_u64 s[42:43], 0
	v_addc_co_u32_e32 v3, vcc, 0, v3, vcc
	s_cselect_b64 s[2:3], -1, 0
	v_add_co_u32_e32 v6, vcc, 8, v6
	s_andn2_b64 s[40:41], s[40:41], exec
	s_and_b64 s[44:45], s[48:49], exec
	s_andn2_b64 s[38:39], s[38:39], exec
	s_and_b64 s[2:3], s[2:3], exec
	v_addc_co_u32_e32 v7, vcc, 0, v7, vcc
	s_or_b64 s[40:41], s[40:41], s[44:45]
	s_andn2_b64 s[0:1], s[0:1], exec
	s_or_b64 s[38:39], s[38:39], s[2:3]
                                        ; implicit-def: $sgpr44_sgpr45
	s_branch .LBB1605_365
.LBB1605_368:
	s_or_b64 exec, exec, s[34:35]
	s_xor_b64 s[0:1], s[36:37], -1
	s_branch .LBB1605_370
.LBB1605_369:
	s_mov_b64 s[0:1], -1
.LBB1605_370:
	s_andn2_b64 s[2:3], s[26:27], exec
	s_and_b64 s[0:1], s[0:1], exec
	s_or_b64 s[26:27], s[2:3], s[0:1]
.LBB1605_371:
	s_or_b64 exec, exec, s[30:31]
	v_cndmask_b32_e64 v2, v18, v17, s[26:27]
	v_cndmask_b32_e64 v3, v15, v14, s[26:27]
	v_add_u32_e32 v6, 1, v2
	v_add_u32_e32 v2, -1, v3
	v_min_u32_e32 v2, v6, v2
	v_lshlrev_b32_e32 v2, 3, v2
	ds_read_b64 v[2:3], v2
	v_cndmask_b32_e64 v19, v6, v18, s[26:27]
	v_cndmask_b32_e64 v23, v17, v6, s[26:27]
	v_cmp_lt_u32_e32 vcc, v19, v15
	s_waitcnt lgkmcnt(0)
	v_cndmask_b32_e64 v8, v3, v5, s[26:27]
	v_cndmask_b32_e64 v9, v2, v4, s[26:27]
	;; [unrolled: 1-line block ×4, first 2 shown]
	s_and_saveexec_b64 s[30:31], vcc
	s_cbranch_execz .LBB1605_382
; %bb.372:
	v_cmp_lt_u32_e32 vcc, v23, v14
	s_mov_b64 s[0:1], 0
	s_and_saveexec_b64 s[28:29], vcc
	s_cbranch_execz .LBB1605_381
; %bb.373:
	s_andn2_b64 vcc, exec, s[24:25]
	s_cbranch_vccnz .LBB1605_379
; %bb.374:
	v_mul_lo_u32 v6, v8, s16
	v_mul_lo_u32 v7, v9, s17
	v_mad_u64_u32 v[2:3], s[0:1], v9, s16, 0
	v_add3_u32 v3, v3, v7, v6
	v_lshlrev_b64 v[2:3], 3, v[2:3]
	v_mov_b32_e32 v6, s19
	v_add_co_u32_e32 v2, vcc, s18, v2
	v_addc_co_u32_e32 v3, vcc, v6, v3, vcc
	v_mul_lo_u32 v17, v10, s16
	v_mul_lo_u32 v18, v11, s17
	v_mad_u64_u32 v[6:7], s[0:1], v11, s16, 0
	v_add3_u32 v7, v7, v18, v17
	v_lshlrev_b64 v[6:7], 3, v[6:7]
	v_mov_b32_e32 v17, s19
	v_add_co_u32_e32 v6, vcc, s18, v6
	v_addc_co_u32_e32 v7, vcc, v17, v7, vcc
	s_mov_b64 s[34:35], 0
	s_mov_b64 s[42:43], s[16:17]
                                        ; implicit-def: $sgpr36_sgpr37
                                        ; implicit-def: $sgpr38_sgpr39
                                        ; implicit-def: $sgpr0_sgpr1
                                        ; implicit-def: $sgpr40_sgpr41
                                        ; implicit-def: $sgpr44_sgpr45
	s_branch .LBB1605_376
.LBB1605_375:                           ;   in Loop: Header=BB1605_376 Depth=1
	s_or_b64 exec, exec, s[46:47]
	s_and_b64 s[2:3], exec, s[38:39]
	s_or_b64 s[34:35], s[2:3], s[34:35]
	s_andn2_b64 s[2:3], s[44:45], exec
	s_and_b64 s[44:45], s[40:41], exec
	s_or_b64 s[44:45], s[2:3], s[44:45]
	s_andn2_b64 s[2:3], s[36:37], exec
	s_and_b64 s[36:37], s[0:1], exec
	s_or_b64 s[36:37], s[2:3], s[36:37]
	s_andn2_b64 exec, exec, s[34:35]
	s_cbranch_execz .LBB1605_378
.LBB1605_376:                           ; =>This Inner Loop Header: Depth=1
	global_load_dwordx2 v[20:21], v[2:3], off
	global_load_dwordx2 v[24:25], v[6:7], off
	s_andn2_b64 s[46:47], s[0:1], exec
	s_andn2_b64 s[40:41], s[40:41], exec
	s_or_b64 s[38:39], s[38:39], exec
	s_waitcnt vmcnt(0)
	v_cmp_le_u64_e64 s[0:1], v[20:21], v[24:25]
	v_cmp_lt_u64_e32 vcc, v[20:21], v[24:25]
	s_and_b64 s[0:1], s[0:1], s[44:45]
	s_or_b64 s[48:49], vcc, s[0:1]
	s_and_b64 s[0:1], s[48:49], exec
	v_cmp_eq_u64_e64 s[2:3], v[20:21], v[24:25]
	s_or_b64 s[0:1], s[46:47], s[0:1]
	s_and_saveexec_b64 s[46:47], s[2:3]
	s_cbranch_execz .LBB1605_375
; %bb.377:                              ;   in Loop: Header=BB1605_376 Depth=1
	s_add_u32 s42, s42, -1
	s_addc_u32 s43, s43, -1
	v_add_co_u32_e32 v2, vcc, 8, v2
	s_cmp_eq_u64 s[42:43], 0
	v_addc_co_u32_e32 v3, vcc, 0, v3, vcc
	s_cselect_b64 s[2:3], -1, 0
	v_add_co_u32_e32 v6, vcc, 8, v6
	s_andn2_b64 s[40:41], s[40:41], exec
	s_and_b64 s[44:45], s[48:49], exec
	s_andn2_b64 s[38:39], s[38:39], exec
	s_and_b64 s[2:3], s[2:3], exec
	v_addc_co_u32_e32 v7, vcc, 0, v7, vcc
	s_or_b64 s[40:41], s[40:41], s[44:45]
	s_andn2_b64 s[0:1], s[0:1], exec
	s_or_b64 s[38:39], s[38:39], s[2:3]
                                        ; implicit-def: $sgpr44_sgpr45
	s_branch .LBB1605_375
.LBB1605_378:
	s_or_b64 exec, exec, s[34:35]
	s_xor_b64 s[0:1], s[36:37], -1
	s_branch .LBB1605_380
.LBB1605_379:
	s_mov_b64 s[0:1], -1
.LBB1605_380:
	s_and_b64 s[0:1], s[0:1], exec
.LBB1605_381:
	s_or_b64 exec, exec, s[28:29]
	s_orn2_b64 s[28:29], s[0:1], exec
.LBB1605_382:
	s_or_b64 exec, exec, s[30:31]
	v_cndmask_b32_e64 v2, v19, v23, s[28:29]
	v_cndmask_b32_e64 v3, v15, v14, s[28:29]
	v_add_u32_e32 v6, 1, v2
	v_add_u32_e32 v2, -1, v3
	v_min_u32_e32 v2, v6, v2
	v_lshlrev_b32_e32 v2, 3, v2
	ds_read_b64 v[2:3], v2
	v_cndmask_b32_e64 v20, v6, v19, s[28:29]
	v_cndmask_b32_e64 v19, v23, v6, s[28:29]
	v_cmp_lt_u32_e32 vcc, v20, v15
	s_mov_b64 s[0:1], -1
	s_waitcnt lgkmcnt(0)
	v_cndmask_b32_e64 v17, v3, v8, s[28:29]
	v_cndmask_b32_e64 v18, v2, v9, s[28:29]
	;; [unrolled: 1-line block ×4, first 2 shown]
	s_and_saveexec_b64 s[30:31], vcc
	s_cbranch_execz .LBB1605_393
; %bb.383:
	v_cmp_lt_u32_e32 vcc, v19, v14
	s_mov_b64 s[0:1], 0
	s_and_saveexec_b64 s[34:35], vcc
	s_cbranch_execz .LBB1605_392
; %bb.384:
	s_andn2_b64 vcc, exec, s[24:25]
	s_cbranch_vccnz .LBB1605_390
; %bb.385:
	v_mul_lo_u32 v6, v17, s16
	v_mul_lo_u32 v7, v18, s17
	v_mad_u64_u32 v[2:3], s[0:1], v18, s16, 0
	v_add3_u32 v3, v3, v7, v6
	v_lshlrev_b64 v[2:3], 3, v[2:3]
	v_mov_b32_e32 v6, s19
	v_add_co_u32_e32 v2, vcc, s18, v2
	v_addc_co_u32_e32 v3, vcc, v6, v3, vcc
	v_mul_lo_u32 v23, v21, s16
	v_mul_lo_u32 v24, v22, s17
	v_mad_u64_u32 v[6:7], s[0:1], v22, s16, 0
	v_add3_u32 v7, v7, v24, v23
	v_lshlrev_b64 v[6:7], 3, v[6:7]
	v_mov_b32_e32 v23, s19
	v_add_co_u32_e32 v6, vcc, s18, v6
	v_addc_co_u32_e32 v7, vcc, v23, v7, vcc
	s_mov_b64 s[36:37], 0
	s_mov_b64 s[44:45], s[16:17]
                                        ; implicit-def: $sgpr38_sgpr39
                                        ; implicit-def: $sgpr40_sgpr41
                                        ; implicit-def: $sgpr0_sgpr1
                                        ; implicit-def: $sgpr42_sgpr43
                                        ; implicit-def: $sgpr46_sgpr47
	s_branch .LBB1605_387
.LBB1605_386:                           ;   in Loop: Header=BB1605_387 Depth=1
	s_or_b64 exec, exec, s[48:49]
	s_and_b64 s[2:3], exec, s[40:41]
	s_or_b64 s[36:37], s[2:3], s[36:37]
	s_andn2_b64 s[2:3], s[46:47], exec
	s_and_b64 s[46:47], s[42:43], exec
	s_or_b64 s[46:47], s[2:3], s[46:47]
	s_andn2_b64 s[2:3], s[38:39], exec
	s_and_b64 s[38:39], s[0:1], exec
	s_or_b64 s[38:39], s[2:3], s[38:39]
	s_andn2_b64 exec, exec, s[36:37]
	s_cbranch_execz .LBB1605_389
.LBB1605_387:                           ; =>This Inner Loop Header: Depth=1
	global_load_dwordx2 v[24:25], v[2:3], off
	global_load_dwordx2 v[38:39], v[6:7], off
	s_andn2_b64 s[48:49], s[0:1], exec
	s_andn2_b64 s[42:43], s[42:43], exec
	s_or_b64 s[40:41], s[40:41], exec
	s_waitcnt vmcnt(0)
	v_cmp_le_u64_e64 s[0:1], v[24:25], v[38:39]
	v_cmp_lt_u64_e32 vcc, v[24:25], v[38:39]
	s_and_b64 s[0:1], s[0:1], s[46:47]
	s_or_b64 s[50:51], vcc, s[0:1]
	s_and_b64 s[0:1], s[50:51], exec
	v_cmp_eq_u64_e64 s[2:3], v[24:25], v[38:39]
	s_or_b64 s[0:1], s[48:49], s[0:1]
	s_and_saveexec_b64 s[48:49], s[2:3]
	s_cbranch_execz .LBB1605_386
; %bb.388:                              ;   in Loop: Header=BB1605_387 Depth=1
	s_add_u32 s44, s44, -1
	s_addc_u32 s45, s45, -1
	v_add_co_u32_e32 v2, vcc, 8, v2
	s_cmp_eq_u64 s[44:45], 0
	v_addc_co_u32_e32 v3, vcc, 0, v3, vcc
	s_cselect_b64 s[2:3], -1, 0
	v_add_co_u32_e32 v6, vcc, 8, v6
	s_andn2_b64 s[42:43], s[42:43], exec
	s_and_b64 s[46:47], s[50:51], exec
	s_andn2_b64 s[40:41], s[40:41], exec
	s_and_b64 s[2:3], s[2:3], exec
	v_addc_co_u32_e32 v7, vcc, 0, v7, vcc
	s_or_b64 s[42:43], s[42:43], s[46:47]
	s_andn2_b64 s[0:1], s[0:1], exec
	s_or_b64 s[40:41], s[40:41], s[2:3]
                                        ; implicit-def: $sgpr46_sgpr47
	s_branch .LBB1605_386
.LBB1605_389:
	s_or_b64 exec, exec, s[36:37]
	s_xor_b64 s[0:1], s[38:39], -1
	s_branch .LBB1605_391
.LBB1605_390:
	s_mov_b64 s[0:1], -1
.LBB1605_391:
	s_and_b64 s[0:1], s[0:1], exec
.LBB1605_392:
	s_or_b64 exec, exec, s[34:35]
	s_orn2_b64 s[0:1], s[0:1], exec
.LBB1605_393:
	s_or_b64 exec, exec, s[30:31]
	v_cndmask_b32_e64 v6, v20, v19, s[0:1]
	v_cndmask_b32_e64 v7, v15, v14, s[0:1]
	;; [unrolled: 1-line block ×3, first 2 shown]
	v_add_u32_e32 v10, 1, v6
	v_add_u32_e32 v6, -1, v7
	v_min_u32_e32 v6, v10, v6
	v_lshlrev_b32_e32 v6, 3, v6
	v_cndmask_b32_e64 v2, v9, v11, s[28:29]
	ds_read_b64 v[8:9], v6
	v_cndmask_b32_e64 v11, v10, v20, s[0:1]
	v_cndmask_b32_e64 v1, v5, v1, s[26:27]
	;; [unrolled: 1-line block ×5, first 2 shown]
	s_waitcnt lgkmcnt(0)
	v_cndmask_b32_e64 v7, v21, v9, s[0:1]
	v_cndmask_b32_e64 v6, v22, v8, s[0:1]
	v_cmp_lt_u32_e32 vcc, v11, v15
	s_and_saveexec_b64 s[26:27], vcc
	s_cbranch_execz .LBB1605_403
; %bb.394:
	v_cndmask_b32_e64 v10, v19, v10, s[0:1]
	v_cndmask_b32_e64 v9, v9, v17, s[0:1]
	;; [unrolled: 1-line block ×3, first 2 shown]
	v_cmp_lt_u32_e32 vcc, v10, v14
	s_and_saveexec_b64 s[28:29], vcc
	s_cbranch_execz .LBB1605_402
; %bb.395:
	s_andn2_b64 vcc, exec, s[24:25]
	s_cbranch_vccnz .LBB1605_401
; %bb.396:
	v_mul_lo_u32 v14, v9, s16
	v_mul_lo_u32 v15, v8, s17
	v_mad_u64_u32 v[10:11], s[0:1], v8, s16, 0
	v_add3_u32 v11, v11, v15, v14
	v_lshlrev_b64 v[10:11], 3, v[10:11]
	v_mov_b32_e32 v14, s19
	v_add_co_u32_e32 v10, vcc, s18, v10
	v_addc_co_u32_e32 v11, vcc, v14, v11, vcc
	v_mul_lo_u32 v17, v7, s16
	v_mul_lo_u32 v18, v6, s17
	v_mad_u64_u32 v[14:15], s[0:1], v6, s16, 0
	v_add3_u32 v15, v15, v18, v17
	v_lshlrev_b64 v[14:15], 3, v[14:15]
	v_mov_b32_e32 v17, s19
	v_add_co_u32_e32 v14, vcc, s18, v14
	v_addc_co_u32_e32 v15, vcc, v17, v15, vcc
	s_mov_b64 s[30:31], 0
	s_mov_b64 s[40:41], s[16:17]
                                        ; implicit-def: $sgpr34_sgpr35
                                        ; implicit-def: $sgpr36_sgpr37
                                        ; implicit-def: $sgpr0_sgpr1
                                        ; implicit-def: $sgpr38_sgpr39
                                        ; implicit-def: $sgpr42_sgpr43
	s_branch .LBB1605_398
.LBB1605_397:                           ;   in Loop: Header=BB1605_398 Depth=1
	s_or_b64 exec, exec, s[44:45]
	s_and_b64 s[2:3], exec, s[36:37]
	s_or_b64 s[30:31], s[2:3], s[30:31]
	s_andn2_b64 s[2:3], s[42:43], exec
	s_and_b64 s[42:43], s[38:39], exec
	s_or_b64 s[42:43], s[2:3], s[42:43]
	s_andn2_b64 s[2:3], s[34:35], exec
	s_and_b64 s[34:35], s[0:1], exec
	s_or_b64 s[34:35], s[2:3], s[34:35]
	s_andn2_b64 exec, exec, s[30:31]
	s_cbranch_execz .LBB1605_400
.LBB1605_398:                           ; =>This Inner Loop Header: Depth=1
	global_load_dwordx2 v[18:19], v[10:11], off
	global_load_dwordx2 v[20:21], v[14:15], off
	s_andn2_b64 s[44:45], s[0:1], exec
	s_andn2_b64 s[38:39], s[38:39], exec
	s_or_b64 s[36:37], s[36:37], exec
	s_waitcnt vmcnt(0)
	v_cmp_le_u64_e64 s[0:1], v[18:19], v[20:21]
	v_cmp_lt_u64_e32 vcc, v[18:19], v[20:21]
	s_and_b64 s[0:1], s[0:1], s[42:43]
	s_or_b64 s[46:47], vcc, s[0:1]
	s_and_b64 s[0:1], s[46:47], exec
	v_cmp_eq_u64_e64 s[2:3], v[18:19], v[20:21]
	s_or_b64 s[0:1], s[44:45], s[0:1]
	s_and_saveexec_b64 s[44:45], s[2:3]
	s_cbranch_execz .LBB1605_397
; %bb.399:                              ;   in Loop: Header=BB1605_398 Depth=1
	s_add_u32 s40, s40, -1
	s_addc_u32 s41, s41, -1
	v_add_co_u32_e32 v10, vcc, 8, v10
	s_cmp_eq_u64 s[40:41], 0
	v_addc_co_u32_e32 v11, vcc, 0, v11, vcc
	s_cselect_b64 s[2:3], -1, 0
	v_add_co_u32_e32 v14, vcc, 8, v14
	s_andn2_b64 s[38:39], s[38:39], exec
	s_and_b64 s[42:43], s[46:47], exec
	s_andn2_b64 s[36:37], s[36:37], exec
	s_and_b64 s[2:3], s[2:3], exec
	v_addc_co_u32_e32 v15, vcc, 0, v15, vcc
	s_or_b64 s[38:39], s[38:39], s[42:43]
	s_andn2_b64 s[0:1], s[0:1], exec
	s_or_b64 s[36:37], s[36:37], s[2:3]
                                        ; implicit-def: $sgpr42_sgpr43
	s_branch .LBB1605_397
.LBB1605_400:
	s_or_b64 exec, exec, s[30:31]
	v_cndmask_b32_e64 v7, v7, v9, s[34:35]
	v_cndmask_b32_e64 v6, v6, v8, s[34:35]
.LBB1605_401:
	v_pk_mov_b32 v[8:9], v[6:7], v[6:7] op_sel:[0,1]
.LBB1605_402:
	s_or_b64 exec, exec, s[28:29]
	v_pk_mov_b32 v[6:7], v[8:9], v[8:9] op_sel:[0,1]
.LBB1605_403:
	s_or_b64 exec, exec, s[26:27]
.LBB1605_404:
	s_or_b64 exec, exec, s[4:5]
	v_and_b32_e32 v17, 0xe00, v27
	v_or_b32_e32 v8, 0x100, v17
	v_min_u32_e32 v14, 0x400, v8
	v_min_u32_e32 v8, 0x300, v8
	v_add_u32_e32 v15, 0x100, v8
	v_and_b32_e32 v18, 0x1fc, v27
	v_sub_u32_e32 v8, v14, v17
	v_sub_u32_e32 v9, v15, v14
	v_sub_u32_e64 v20, v18, v9 clamp
	v_min_u32_e32 v21, v18, v8
	v_lshlrev_b32_e32 v19, 3, v17
	v_cmp_lt_u32_e32 vcc, v20, v21
	s_barrier
	ds_write_b128 v16, v[0:3]
	ds_write_b128 v16, v[4:7] offset:16
	s_waitcnt lgkmcnt(0)
	s_barrier
	s_and_saveexec_b64 s[26:27], vcc
	s_cbranch_execz .LBB1605_414
; %bb.405:
	v_lshlrev_b32_e32 v8, 3, v18
	v_lshl_add_u32 v22, v14, 3, v8
	v_cndmask_b32_e64 v8, 0, 1, s[24:25]
	s_lshl_b64 s[30:31], s[16:17], 3
	s_mov_b64 s[28:29], 0
	v_cmp_ne_u32_e64 s[0:1], 1, v8
	s_branch .LBB1605_408
.LBB1605_406:                           ;   in Loop: Header=BB1605_408 Depth=1
	s_or_b64 exec, exec, s[36:37]
.LBB1605_407:                           ;   in Loop: Header=BB1605_408 Depth=1
	v_add_u32_e32 v8, 1, v23
	v_cndmask_b32_e64 v21, v21, v23, s[34:35]
	v_cndmask_b32_e64 v20, v8, v20, s[34:35]
	v_cmp_ge_u32_e32 vcc, v20, v21
	s_or_b64 s[28:29], vcc, s[28:29]
	s_andn2_b64 exec, exec, s[28:29]
	s_cbranch_execz .LBB1605_413
.LBB1605_408:                           ; =>This Loop Header: Depth=1
                                        ;     Child Loop BB1605_411 Depth 2
	v_add_u32_e32 v8, v21, v20
	v_lshrrev_b32_e32 v23, 1, v8
	s_and_b64 vcc, exec, s[0:1]
	s_mov_b64 s[34:35], 0
	s_cbranch_vccnz .LBB1605_407
; %bb.409:                              ;   in Loop: Header=BB1605_408 Depth=1
	v_not_b32_e32 v8, v23
	v_lshl_add_u32 v8, v8, 3, v22
	ds_read_b64 v[8:9], v8
	v_lshl_add_u32 v24, v23, 3, v19
	ds_read_b64 v[24:25], v24
	v_pk_mov_b32 v[10:11], s[18:19], s[18:19] op_sel:[0,1]
	s_mov_b64 s[36:37], 0
	s_waitcnt lgkmcnt(1)
	v_mul_lo_u32 v37, s30, v9
	v_mul_lo_u32 v38, s31, v8
	v_mad_u64_u32 v[8:9], s[2:3], s30, v8, v[10:11]
	v_add3_u32 v9, v38, v9, v37
	s_waitcnt lgkmcnt(0)
	v_mul_lo_u32 v25, s30, v25
	v_mul_lo_u32 v37, s31, v24
	v_mad_u64_u32 v[10:11], s[2:3], s30, v24, v[10:11]
	v_add3_u32 v11, v37, v11, v25
	s_mov_b64 s[42:43], s[16:17]
                                        ; implicit-def: $sgpr34_sgpr35
                                        ; implicit-def: $sgpr38_sgpr39
                                        ; implicit-def: $sgpr40_sgpr41
                                        ; implicit-def: $sgpr2_sgpr3
                                        ; implicit-def: $sgpr44_sgpr45
	s_branch .LBB1605_411
.LBB1605_410:                           ;   in Loop: Header=BB1605_411 Depth=2
	s_or_b64 exec, exec, s[46:47]
	s_and_b64 s[4:5], exec, s[38:39]
	s_or_b64 s[36:37], s[4:5], s[36:37]
	s_andn2_b64 s[4:5], s[44:45], exec
	s_and_b64 s[44:45], s[40:41], exec
	s_or_b64 s[44:45], s[4:5], s[44:45]
	s_andn2_b64 s[4:5], s[34:35], exec
	s_and_b64 s[34:35], s[2:3], exec
	s_or_b64 s[34:35], s[4:5], s[34:35]
	s_andn2_b64 exec, exec, s[36:37]
	s_cbranch_execz .LBB1605_406
.LBB1605_411:                           ;   Parent Loop BB1605_408 Depth=1
                                        ; =>  This Inner Loop Header: Depth=2
	global_load_dwordx2 v[24:25], v[8:9], off
	global_load_dwordx2 v[38:39], v[10:11], off
	s_andn2_b64 s[46:47], s[2:3], exec
	s_andn2_b64 s[40:41], s[40:41], exec
	s_or_b64 s[38:39], s[38:39], exec
	s_waitcnt vmcnt(0)
	v_cmp_le_u64_e64 s[2:3], v[24:25], v[38:39]
	v_cmp_lt_u64_e32 vcc, v[24:25], v[38:39]
	s_and_b64 s[2:3], s[2:3], s[44:45]
	s_or_b64 s[48:49], vcc, s[2:3]
	s_and_b64 s[2:3], s[48:49], exec
	v_cmp_eq_u64_e64 s[4:5], v[24:25], v[38:39]
	s_or_b64 s[2:3], s[46:47], s[2:3]
	s_and_saveexec_b64 s[46:47], s[4:5]
	s_cbranch_execz .LBB1605_410
; %bb.412:                              ;   in Loop: Header=BB1605_411 Depth=2
	s_add_u32 s42, s42, -1
	s_addc_u32 s43, s43, -1
	v_add_co_u32_e32 v8, vcc, 8, v8
	s_cmp_eq_u64 s[42:43], 0
	v_addc_co_u32_e32 v9, vcc, 0, v9, vcc
	s_cselect_b64 s[4:5], -1, 0
	v_add_co_u32_e32 v10, vcc, 8, v10
	s_andn2_b64 s[40:41], s[40:41], exec
	s_and_b64 s[44:45], s[48:49], exec
	s_andn2_b64 s[38:39], s[38:39], exec
	s_and_b64 s[4:5], s[4:5], exec
	v_addc_co_u32_e32 v11, vcc, 0, v11, vcc
	s_andn2_b64 s[2:3], s[2:3], exec
	s_or_b64 s[40:41], s[40:41], s[44:45]
	s_or_b64 s[38:39], s[38:39], s[4:5]
                                        ; implicit-def: $sgpr44_sgpr45
	s_branch .LBB1605_410
.LBB1605_413:
	s_or_b64 exec, exec, s[28:29]
.LBB1605_414:
	s_or_b64 exec, exec, s[26:27]
	v_sub_u32_e32 v8, v18, v20
	v_add_u32_e32 v17, v20, v17
	v_add_u32_e32 v18, v8, v14
	v_cmp_le_u32_e32 vcc, v17, v14
	v_cmp_le_u32_e64 s[0:1], v18, v15
	s_or_b64 s[0:1], vcc, s[0:1]
	s_and_saveexec_b64 s[4:5], s[0:1]
	s_cbranch_execz .LBB1605_461
; %bb.415:
	v_cmp_ge_u32_e32 vcc, v17, v14
	v_cmp_lt_u32_e64 s[0:1], v17, v14
                                        ; implicit-def: $vgpr0_vgpr1
	s_and_saveexec_b64 s[2:3], s[0:1]
	s_cbranch_execz .LBB1605_417
; %bb.416:
	v_lshl_add_u32 v0, v20, 3, v19
	ds_read_b64 v[0:1], v0
.LBB1605_417:
	s_or_b64 exec, exec, s[2:3]
	v_cmp_ge_u32_e64 s[26:27], v18, v15
	v_cmp_lt_u32_e64 s[0:1], v18, v15
                                        ; implicit-def: $vgpr4_vgpr5
	s_and_saveexec_b64 s[2:3], s[0:1]
	s_cbranch_execz .LBB1605_419
; %bb.418:
	v_lshlrev_b32_e32 v2, 3, v18
	ds_read_b64 v[4:5], v2
.LBB1605_419:
	s_or_b64 exec, exec, s[2:3]
	s_or_b64 s[0:1], vcc, s[26:27]
	s_mov_b64 s[28:29], -1
	s_xor_b64 s[0:1], s[0:1], -1
	s_and_saveexec_b64 s[30:31], s[0:1]
	s_cbranch_execz .LBB1605_428
; %bb.420:
	s_andn2_b64 vcc, exec, s[24:25]
	s_cbranch_vccnz .LBB1605_426
; %bb.421:
	s_waitcnt lgkmcnt(0)
	v_mul_lo_u32 v6, v5, s16
	v_mul_lo_u32 v7, v4, s17
	v_mad_u64_u32 v[2:3], s[0:1], v4, s16, 0
	v_add3_u32 v3, v3, v7, v6
	v_lshlrev_b64 v[2:3], 3, v[2:3]
	v_mov_b32_e32 v6, s19
	v_add_co_u32_e32 v2, vcc, s18, v2
	v_addc_co_u32_e32 v3, vcc, v6, v3, vcc
	v_mul_lo_u32 v8, v1, s16
	v_mul_lo_u32 v9, v0, s17
	v_mad_u64_u32 v[6:7], s[0:1], v0, s16, 0
	v_add3_u32 v7, v7, v9, v8
	v_lshlrev_b64 v[6:7], 3, v[6:7]
	v_mov_b32_e32 v8, s19
	v_add_co_u32_e32 v6, vcc, s18, v6
	v_addc_co_u32_e32 v7, vcc, v8, v7, vcc
	s_mov_b64 s[34:35], 0
	s_mov_b64 s[42:43], s[16:17]
                                        ; implicit-def: $sgpr36_sgpr37
                                        ; implicit-def: $sgpr38_sgpr39
                                        ; implicit-def: $sgpr0_sgpr1
                                        ; implicit-def: $sgpr40_sgpr41
                                        ; implicit-def: $sgpr44_sgpr45
	s_branch .LBB1605_423
.LBB1605_422:                           ;   in Loop: Header=BB1605_423 Depth=1
	s_or_b64 exec, exec, s[46:47]
	s_and_b64 s[2:3], exec, s[38:39]
	s_or_b64 s[34:35], s[2:3], s[34:35]
	s_andn2_b64 s[2:3], s[44:45], exec
	s_and_b64 s[44:45], s[40:41], exec
	s_or_b64 s[44:45], s[2:3], s[44:45]
	s_andn2_b64 s[2:3], s[36:37], exec
	s_and_b64 s[36:37], s[0:1], exec
	s_or_b64 s[36:37], s[2:3], s[36:37]
	s_andn2_b64 exec, exec, s[34:35]
	s_cbranch_execz .LBB1605_425
.LBB1605_423:                           ; =>This Inner Loop Header: Depth=1
	global_load_dwordx2 v[8:9], v[2:3], off
	global_load_dwordx2 v[10:11], v[6:7], off
	s_andn2_b64 s[46:47], s[0:1], exec
	s_andn2_b64 s[40:41], s[40:41], exec
	s_or_b64 s[38:39], s[38:39], exec
	s_waitcnt vmcnt(0)
	v_cmp_le_u64_e64 s[0:1], v[8:9], v[10:11]
	v_cmp_lt_u64_e32 vcc, v[8:9], v[10:11]
	s_and_b64 s[0:1], s[0:1], s[44:45]
	s_or_b64 s[48:49], vcc, s[0:1]
	s_and_b64 s[0:1], s[48:49], exec
	v_cmp_eq_u64_e64 s[2:3], v[8:9], v[10:11]
	s_or_b64 s[0:1], s[46:47], s[0:1]
	s_and_saveexec_b64 s[46:47], s[2:3]
	s_cbranch_execz .LBB1605_422
; %bb.424:                              ;   in Loop: Header=BB1605_423 Depth=1
	s_add_u32 s42, s42, -1
	s_addc_u32 s43, s43, -1
	v_add_co_u32_e32 v2, vcc, 8, v2
	s_cmp_eq_u64 s[42:43], 0
	v_addc_co_u32_e32 v3, vcc, 0, v3, vcc
	s_cselect_b64 s[2:3], -1, 0
	v_add_co_u32_e32 v6, vcc, 8, v6
	s_andn2_b64 s[40:41], s[40:41], exec
	s_and_b64 s[44:45], s[48:49], exec
	s_andn2_b64 s[38:39], s[38:39], exec
	s_and_b64 s[2:3], s[2:3], exec
	v_addc_co_u32_e32 v7, vcc, 0, v7, vcc
	s_or_b64 s[40:41], s[40:41], s[44:45]
	s_andn2_b64 s[0:1], s[0:1], exec
	s_or_b64 s[38:39], s[38:39], s[2:3]
                                        ; implicit-def: $sgpr44_sgpr45
	s_branch .LBB1605_422
.LBB1605_425:
	s_or_b64 exec, exec, s[34:35]
	s_xor_b64 s[0:1], s[36:37], -1
	s_branch .LBB1605_427
.LBB1605_426:
	s_mov_b64 s[0:1], -1
.LBB1605_427:
	s_andn2_b64 s[2:3], s[26:27], exec
	s_and_b64 s[0:1], s[0:1], exec
	s_or_b64 s[26:27], s[2:3], s[0:1]
.LBB1605_428:
	s_or_b64 exec, exec, s[30:31]
	v_cndmask_b32_e64 v2, v18, v17, s[26:27]
	v_cndmask_b32_e64 v3, v15, v14, s[26:27]
	v_add_u32_e32 v6, 1, v2
	v_add_u32_e32 v2, -1, v3
	v_min_u32_e32 v2, v6, v2
	v_lshlrev_b32_e32 v2, 3, v2
	ds_read_b64 v[2:3], v2
	v_cndmask_b32_e64 v19, v6, v18, s[26:27]
	v_cndmask_b32_e64 v23, v17, v6, s[26:27]
	v_cmp_lt_u32_e32 vcc, v19, v15
	s_waitcnt lgkmcnt(0)
	v_cndmask_b32_e64 v8, v3, v5, s[26:27]
	v_cndmask_b32_e64 v9, v2, v4, s[26:27]
	;; [unrolled: 1-line block ×4, first 2 shown]
	s_and_saveexec_b64 s[30:31], vcc
	s_cbranch_execz .LBB1605_439
; %bb.429:
	v_cmp_lt_u32_e32 vcc, v23, v14
	s_mov_b64 s[0:1], 0
	s_and_saveexec_b64 s[28:29], vcc
	s_cbranch_execz .LBB1605_438
; %bb.430:
	s_andn2_b64 vcc, exec, s[24:25]
	s_cbranch_vccnz .LBB1605_436
; %bb.431:
	v_mul_lo_u32 v6, v8, s16
	v_mul_lo_u32 v7, v9, s17
	v_mad_u64_u32 v[2:3], s[0:1], v9, s16, 0
	v_add3_u32 v3, v3, v7, v6
	v_lshlrev_b64 v[2:3], 3, v[2:3]
	v_mov_b32_e32 v6, s19
	v_add_co_u32_e32 v2, vcc, s18, v2
	v_addc_co_u32_e32 v3, vcc, v6, v3, vcc
	v_mul_lo_u32 v17, v10, s16
	v_mul_lo_u32 v18, v11, s17
	v_mad_u64_u32 v[6:7], s[0:1], v11, s16, 0
	v_add3_u32 v7, v7, v18, v17
	v_lshlrev_b64 v[6:7], 3, v[6:7]
	v_mov_b32_e32 v17, s19
	v_add_co_u32_e32 v6, vcc, s18, v6
	v_addc_co_u32_e32 v7, vcc, v17, v7, vcc
	s_mov_b64 s[34:35], 0
	s_mov_b64 s[42:43], s[16:17]
                                        ; implicit-def: $sgpr36_sgpr37
                                        ; implicit-def: $sgpr38_sgpr39
                                        ; implicit-def: $sgpr0_sgpr1
                                        ; implicit-def: $sgpr40_sgpr41
                                        ; implicit-def: $sgpr44_sgpr45
	s_branch .LBB1605_433
.LBB1605_432:                           ;   in Loop: Header=BB1605_433 Depth=1
	s_or_b64 exec, exec, s[46:47]
	s_and_b64 s[2:3], exec, s[38:39]
	s_or_b64 s[34:35], s[2:3], s[34:35]
	s_andn2_b64 s[2:3], s[44:45], exec
	s_and_b64 s[44:45], s[40:41], exec
	s_or_b64 s[44:45], s[2:3], s[44:45]
	s_andn2_b64 s[2:3], s[36:37], exec
	s_and_b64 s[36:37], s[0:1], exec
	s_or_b64 s[36:37], s[2:3], s[36:37]
	s_andn2_b64 exec, exec, s[34:35]
	s_cbranch_execz .LBB1605_435
.LBB1605_433:                           ; =>This Inner Loop Header: Depth=1
	global_load_dwordx2 v[20:21], v[2:3], off
	global_load_dwordx2 v[24:25], v[6:7], off
	s_andn2_b64 s[46:47], s[0:1], exec
	s_andn2_b64 s[40:41], s[40:41], exec
	s_or_b64 s[38:39], s[38:39], exec
	s_waitcnt vmcnt(0)
	v_cmp_le_u64_e64 s[0:1], v[20:21], v[24:25]
	v_cmp_lt_u64_e32 vcc, v[20:21], v[24:25]
	s_and_b64 s[0:1], s[0:1], s[44:45]
	s_or_b64 s[48:49], vcc, s[0:1]
	s_and_b64 s[0:1], s[48:49], exec
	v_cmp_eq_u64_e64 s[2:3], v[20:21], v[24:25]
	s_or_b64 s[0:1], s[46:47], s[0:1]
	s_and_saveexec_b64 s[46:47], s[2:3]
	s_cbranch_execz .LBB1605_432
; %bb.434:                              ;   in Loop: Header=BB1605_433 Depth=1
	s_add_u32 s42, s42, -1
	s_addc_u32 s43, s43, -1
	v_add_co_u32_e32 v2, vcc, 8, v2
	s_cmp_eq_u64 s[42:43], 0
	v_addc_co_u32_e32 v3, vcc, 0, v3, vcc
	s_cselect_b64 s[2:3], -1, 0
	v_add_co_u32_e32 v6, vcc, 8, v6
	s_andn2_b64 s[40:41], s[40:41], exec
	s_and_b64 s[44:45], s[48:49], exec
	s_andn2_b64 s[38:39], s[38:39], exec
	s_and_b64 s[2:3], s[2:3], exec
	v_addc_co_u32_e32 v7, vcc, 0, v7, vcc
	s_or_b64 s[40:41], s[40:41], s[44:45]
	s_andn2_b64 s[0:1], s[0:1], exec
	s_or_b64 s[38:39], s[38:39], s[2:3]
                                        ; implicit-def: $sgpr44_sgpr45
	s_branch .LBB1605_432
.LBB1605_435:
	s_or_b64 exec, exec, s[34:35]
	s_xor_b64 s[0:1], s[36:37], -1
	s_branch .LBB1605_437
.LBB1605_436:
	s_mov_b64 s[0:1], -1
.LBB1605_437:
	s_and_b64 s[0:1], s[0:1], exec
.LBB1605_438:
	s_or_b64 exec, exec, s[28:29]
	s_orn2_b64 s[28:29], s[0:1], exec
.LBB1605_439:
	s_or_b64 exec, exec, s[30:31]
	v_cndmask_b32_e64 v2, v19, v23, s[28:29]
	v_cndmask_b32_e64 v3, v15, v14, s[28:29]
	v_add_u32_e32 v6, 1, v2
	v_add_u32_e32 v2, -1, v3
	v_min_u32_e32 v2, v6, v2
	v_lshlrev_b32_e32 v2, 3, v2
	ds_read_b64 v[2:3], v2
	v_cndmask_b32_e64 v20, v6, v19, s[28:29]
	v_cndmask_b32_e64 v19, v23, v6, s[28:29]
	v_cmp_lt_u32_e32 vcc, v20, v15
	s_mov_b64 s[0:1], -1
	s_waitcnt lgkmcnt(0)
	v_cndmask_b32_e64 v17, v3, v8, s[28:29]
	v_cndmask_b32_e64 v18, v2, v9, s[28:29]
	;; [unrolled: 1-line block ×4, first 2 shown]
	s_and_saveexec_b64 s[30:31], vcc
	s_cbranch_execz .LBB1605_450
; %bb.440:
	v_cmp_lt_u32_e32 vcc, v19, v14
	s_mov_b64 s[0:1], 0
	s_and_saveexec_b64 s[34:35], vcc
	s_cbranch_execz .LBB1605_449
; %bb.441:
	s_andn2_b64 vcc, exec, s[24:25]
	s_cbranch_vccnz .LBB1605_447
; %bb.442:
	v_mul_lo_u32 v6, v17, s16
	v_mul_lo_u32 v7, v18, s17
	v_mad_u64_u32 v[2:3], s[0:1], v18, s16, 0
	v_add3_u32 v3, v3, v7, v6
	v_lshlrev_b64 v[2:3], 3, v[2:3]
	v_mov_b32_e32 v6, s19
	v_add_co_u32_e32 v2, vcc, s18, v2
	v_addc_co_u32_e32 v3, vcc, v6, v3, vcc
	v_mul_lo_u32 v23, v21, s16
	v_mul_lo_u32 v24, v22, s17
	v_mad_u64_u32 v[6:7], s[0:1], v22, s16, 0
	v_add3_u32 v7, v7, v24, v23
	v_lshlrev_b64 v[6:7], 3, v[6:7]
	v_mov_b32_e32 v23, s19
	v_add_co_u32_e32 v6, vcc, s18, v6
	v_addc_co_u32_e32 v7, vcc, v23, v7, vcc
	s_mov_b64 s[36:37], 0
	s_mov_b64 s[44:45], s[16:17]
                                        ; implicit-def: $sgpr38_sgpr39
                                        ; implicit-def: $sgpr40_sgpr41
                                        ; implicit-def: $sgpr0_sgpr1
                                        ; implicit-def: $sgpr42_sgpr43
                                        ; implicit-def: $sgpr46_sgpr47
	s_branch .LBB1605_444
.LBB1605_443:                           ;   in Loop: Header=BB1605_444 Depth=1
	s_or_b64 exec, exec, s[48:49]
	s_and_b64 s[2:3], exec, s[40:41]
	s_or_b64 s[36:37], s[2:3], s[36:37]
	s_andn2_b64 s[2:3], s[46:47], exec
	s_and_b64 s[46:47], s[42:43], exec
	s_or_b64 s[46:47], s[2:3], s[46:47]
	s_andn2_b64 s[2:3], s[38:39], exec
	s_and_b64 s[38:39], s[0:1], exec
	s_or_b64 s[38:39], s[2:3], s[38:39]
	s_andn2_b64 exec, exec, s[36:37]
	s_cbranch_execz .LBB1605_446
.LBB1605_444:                           ; =>This Inner Loop Header: Depth=1
	global_load_dwordx2 v[24:25], v[2:3], off
	global_load_dwordx2 v[38:39], v[6:7], off
	s_andn2_b64 s[48:49], s[0:1], exec
	s_andn2_b64 s[42:43], s[42:43], exec
	s_or_b64 s[40:41], s[40:41], exec
	s_waitcnt vmcnt(0)
	v_cmp_le_u64_e64 s[0:1], v[24:25], v[38:39]
	v_cmp_lt_u64_e32 vcc, v[24:25], v[38:39]
	s_and_b64 s[0:1], s[0:1], s[46:47]
	s_or_b64 s[50:51], vcc, s[0:1]
	s_and_b64 s[0:1], s[50:51], exec
	v_cmp_eq_u64_e64 s[2:3], v[24:25], v[38:39]
	s_or_b64 s[0:1], s[48:49], s[0:1]
	s_and_saveexec_b64 s[48:49], s[2:3]
	s_cbranch_execz .LBB1605_443
; %bb.445:                              ;   in Loop: Header=BB1605_444 Depth=1
	s_add_u32 s44, s44, -1
	s_addc_u32 s45, s45, -1
	v_add_co_u32_e32 v2, vcc, 8, v2
	s_cmp_eq_u64 s[44:45], 0
	v_addc_co_u32_e32 v3, vcc, 0, v3, vcc
	s_cselect_b64 s[2:3], -1, 0
	v_add_co_u32_e32 v6, vcc, 8, v6
	s_andn2_b64 s[42:43], s[42:43], exec
	s_and_b64 s[46:47], s[50:51], exec
	s_andn2_b64 s[40:41], s[40:41], exec
	s_and_b64 s[2:3], s[2:3], exec
	v_addc_co_u32_e32 v7, vcc, 0, v7, vcc
	s_or_b64 s[42:43], s[42:43], s[46:47]
	s_andn2_b64 s[0:1], s[0:1], exec
	s_or_b64 s[40:41], s[40:41], s[2:3]
                                        ; implicit-def: $sgpr46_sgpr47
	s_branch .LBB1605_443
.LBB1605_446:
	s_or_b64 exec, exec, s[36:37]
	s_xor_b64 s[0:1], s[38:39], -1
	s_branch .LBB1605_448
.LBB1605_447:
	s_mov_b64 s[0:1], -1
.LBB1605_448:
	s_and_b64 s[0:1], s[0:1], exec
.LBB1605_449:
	s_or_b64 exec, exec, s[34:35]
	s_orn2_b64 s[0:1], s[0:1], exec
.LBB1605_450:
	s_or_b64 exec, exec, s[30:31]
	v_cndmask_b32_e64 v6, v20, v19, s[0:1]
	v_cndmask_b32_e64 v7, v15, v14, s[0:1]
	;; [unrolled: 1-line block ×3, first 2 shown]
	v_add_u32_e32 v10, 1, v6
	v_add_u32_e32 v6, -1, v7
	v_min_u32_e32 v6, v10, v6
	v_lshlrev_b32_e32 v6, 3, v6
	v_cndmask_b32_e64 v2, v9, v11, s[28:29]
	ds_read_b64 v[8:9], v6
	v_cndmask_b32_e64 v11, v10, v20, s[0:1]
	v_cndmask_b32_e64 v1, v5, v1, s[26:27]
	;; [unrolled: 1-line block ×5, first 2 shown]
	s_waitcnt lgkmcnt(0)
	v_cndmask_b32_e64 v7, v21, v9, s[0:1]
	v_cndmask_b32_e64 v6, v22, v8, s[0:1]
	v_cmp_lt_u32_e32 vcc, v11, v15
	s_and_saveexec_b64 s[26:27], vcc
	s_cbranch_execz .LBB1605_460
; %bb.451:
	v_cndmask_b32_e64 v10, v19, v10, s[0:1]
	v_cndmask_b32_e64 v9, v9, v17, s[0:1]
	;; [unrolled: 1-line block ×3, first 2 shown]
	v_cmp_lt_u32_e32 vcc, v10, v14
	s_and_saveexec_b64 s[28:29], vcc
	s_cbranch_execz .LBB1605_459
; %bb.452:
	s_andn2_b64 vcc, exec, s[24:25]
	s_cbranch_vccnz .LBB1605_458
; %bb.453:
	v_mul_lo_u32 v14, v9, s16
	v_mul_lo_u32 v15, v8, s17
	v_mad_u64_u32 v[10:11], s[0:1], v8, s16, 0
	v_add3_u32 v11, v11, v15, v14
	v_lshlrev_b64 v[10:11], 3, v[10:11]
	v_mov_b32_e32 v14, s19
	v_add_co_u32_e32 v10, vcc, s18, v10
	v_addc_co_u32_e32 v11, vcc, v14, v11, vcc
	v_mul_lo_u32 v17, v7, s16
	v_mul_lo_u32 v18, v6, s17
	v_mad_u64_u32 v[14:15], s[0:1], v6, s16, 0
	v_add3_u32 v15, v15, v18, v17
	v_lshlrev_b64 v[14:15], 3, v[14:15]
	v_mov_b32_e32 v17, s19
	v_add_co_u32_e32 v14, vcc, s18, v14
	v_addc_co_u32_e32 v15, vcc, v17, v15, vcc
	s_mov_b64 s[30:31], 0
	s_mov_b64 s[40:41], s[16:17]
                                        ; implicit-def: $sgpr34_sgpr35
                                        ; implicit-def: $sgpr36_sgpr37
                                        ; implicit-def: $sgpr0_sgpr1
                                        ; implicit-def: $sgpr38_sgpr39
                                        ; implicit-def: $sgpr42_sgpr43
	s_branch .LBB1605_455
.LBB1605_454:                           ;   in Loop: Header=BB1605_455 Depth=1
	s_or_b64 exec, exec, s[44:45]
	s_and_b64 s[2:3], exec, s[36:37]
	s_or_b64 s[30:31], s[2:3], s[30:31]
	s_andn2_b64 s[2:3], s[42:43], exec
	s_and_b64 s[42:43], s[38:39], exec
	s_or_b64 s[42:43], s[2:3], s[42:43]
	s_andn2_b64 s[2:3], s[34:35], exec
	s_and_b64 s[34:35], s[0:1], exec
	s_or_b64 s[34:35], s[2:3], s[34:35]
	s_andn2_b64 exec, exec, s[30:31]
	s_cbranch_execz .LBB1605_457
.LBB1605_455:                           ; =>This Inner Loop Header: Depth=1
	global_load_dwordx2 v[18:19], v[10:11], off
	global_load_dwordx2 v[20:21], v[14:15], off
	s_andn2_b64 s[44:45], s[0:1], exec
	s_andn2_b64 s[38:39], s[38:39], exec
	s_or_b64 s[36:37], s[36:37], exec
	s_waitcnt vmcnt(0)
	v_cmp_le_u64_e64 s[0:1], v[18:19], v[20:21]
	v_cmp_lt_u64_e32 vcc, v[18:19], v[20:21]
	s_and_b64 s[0:1], s[0:1], s[42:43]
	s_or_b64 s[46:47], vcc, s[0:1]
	s_and_b64 s[0:1], s[46:47], exec
	v_cmp_eq_u64_e64 s[2:3], v[18:19], v[20:21]
	s_or_b64 s[0:1], s[44:45], s[0:1]
	s_and_saveexec_b64 s[44:45], s[2:3]
	s_cbranch_execz .LBB1605_454
; %bb.456:                              ;   in Loop: Header=BB1605_455 Depth=1
	s_add_u32 s40, s40, -1
	s_addc_u32 s41, s41, -1
	v_add_co_u32_e32 v10, vcc, 8, v10
	s_cmp_eq_u64 s[40:41], 0
	v_addc_co_u32_e32 v11, vcc, 0, v11, vcc
	s_cselect_b64 s[2:3], -1, 0
	v_add_co_u32_e32 v14, vcc, 8, v14
	s_andn2_b64 s[38:39], s[38:39], exec
	s_and_b64 s[42:43], s[46:47], exec
	s_andn2_b64 s[36:37], s[36:37], exec
	s_and_b64 s[2:3], s[2:3], exec
	v_addc_co_u32_e32 v15, vcc, 0, v15, vcc
	s_or_b64 s[38:39], s[38:39], s[42:43]
	s_andn2_b64 s[0:1], s[0:1], exec
	s_or_b64 s[36:37], s[36:37], s[2:3]
                                        ; implicit-def: $sgpr42_sgpr43
	s_branch .LBB1605_454
.LBB1605_457:
	s_or_b64 exec, exec, s[30:31]
	v_cndmask_b32_e64 v7, v7, v9, s[34:35]
	v_cndmask_b32_e64 v6, v6, v8, s[34:35]
.LBB1605_458:
	v_pk_mov_b32 v[8:9], v[6:7], v[6:7] op_sel:[0,1]
.LBB1605_459:
	s_or_b64 exec, exec, s[28:29]
	v_pk_mov_b32 v[6:7], v[8:9], v[8:9] op_sel:[0,1]
.LBB1605_460:
	s_or_b64 exec, exec, s[26:27]
.LBB1605_461:
	s_or_b64 exec, exec, s[4:5]
	s_barrier
	ds_write_b128 v16, v[0:3]
	ds_write_b128 v16, v[4:7] offset:16
	v_and_b32_e32 v16, 0xc00, v27
	v_or_b32_e32 v8, 0x200, v16
	v_min_u32_e32 v14, 0x400, v8
	v_and_b32_e32 v17, 0x3fc, v27
	v_sub_u32_e32 v8, v14, v16
	v_sub_u32_e32 v9, 0x400, v14
	v_sub_u32_e64 v18, v17, v9 clamp
	v_min_u32_e32 v19, v17, v8
	v_lshlrev_b32_e32 v15, 3, v16
	v_cmp_lt_u32_e32 vcc, v18, v19
	s_waitcnt lgkmcnt(0)
	s_barrier
	s_and_saveexec_b64 s[26:27], vcc
	s_cbranch_execz .LBB1605_471
; %bb.462:
	v_lshlrev_b32_e32 v8, 3, v17
	v_lshl_add_u32 v20, v14, 3, v8
	v_cndmask_b32_e64 v8, 0, 1, s[24:25]
	s_lshl_b64 s[30:31], s[16:17], 3
	s_mov_b64 s[28:29], 0
	v_cmp_ne_u32_e64 s[0:1], 1, v8
	s_branch .LBB1605_465
.LBB1605_463:                           ;   in Loop: Header=BB1605_465 Depth=1
	s_or_b64 exec, exec, s[36:37]
.LBB1605_464:                           ;   in Loop: Header=BB1605_465 Depth=1
	v_add_u32_e32 v8, 1, v21
	v_cndmask_b32_e64 v19, v19, v21, s[34:35]
	v_cndmask_b32_e64 v18, v8, v18, s[34:35]
	v_cmp_ge_u32_e32 vcc, v18, v19
	s_or_b64 s[28:29], vcc, s[28:29]
	s_andn2_b64 exec, exec, s[28:29]
	s_cbranch_execz .LBB1605_470
.LBB1605_465:                           ; =>This Loop Header: Depth=1
                                        ;     Child Loop BB1605_468 Depth 2
	v_add_u32_e32 v8, v19, v18
	v_lshrrev_b32_e32 v21, 1, v8
	s_and_b64 vcc, exec, s[0:1]
	s_mov_b64 s[34:35], 0
	s_cbranch_vccnz .LBB1605_464
; %bb.466:                              ;   in Loop: Header=BB1605_465 Depth=1
	v_not_b32_e32 v8, v21
	v_lshl_add_u32 v8, v8, 3, v20
	ds_read_b64 v[8:9], v8
	v_lshl_add_u32 v22, v21, 3, v15
	ds_read_b64 v[22:23], v22
	v_pk_mov_b32 v[10:11], s[18:19], s[18:19] op_sel:[0,1]
	s_mov_b64 s[36:37], 0
	s_waitcnt lgkmcnt(1)
	v_mul_lo_u32 v24, s30, v9
	v_mul_lo_u32 v25, s31, v8
	v_mad_u64_u32 v[8:9], s[2:3], s30, v8, v[10:11]
	v_add3_u32 v9, v25, v9, v24
	s_waitcnt lgkmcnt(0)
	v_mul_lo_u32 v23, s30, v23
	v_mul_lo_u32 v24, s31, v22
	v_mad_u64_u32 v[10:11], s[2:3], s30, v22, v[10:11]
	v_add3_u32 v11, v24, v11, v23
	s_mov_b64 s[42:43], s[16:17]
                                        ; implicit-def: $sgpr34_sgpr35
                                        ; implicit-def: $sgpr38_sgpr39
                                        ; implicit-def: $sgpr40_sgpr41
                                        ; implicit-def: $sgpr2_sgpr3
                                        ; implicit-def: $sgpr44_sgpr45
	s_branch .LBB1605_468
.LBB1605_467:                           ;   in Loop: Header=BB1605_468 Depth=2
	s_or_b64 exec, exec, s[46:47]
	s_and_b64 s[4:5], exec, s[38:39]
	s_or_b64 s[36:37], s[4:5], s[36:37]
	s_andn2_b64 s[4:5], s[44:45], exec
	s_and_b64 s[44:45], s[40:41], exec
	s_or_b64 s[44:45], s[4:5], s[44:45]
	s_andn2_b64 s[4:5], s[34:35], exec
	s_and_b64 s[34:35], s[2:3], exec
	s_or_b64 s[34:35], s[4:5], s[34:35]
	s_andn2_b64 exec, exec, s[36:37]
	s_cbranch_execz .LBB1605_463
.LBB1605_468:                           ;   Parent Loop BB1605_465 Depth=1
                                        ; =>  This Inner Loop Header: Depth=2
	global_load_dwordx2 v[22:23], v[8:9], off
	global_load_dwordx2 v[24:25], v[10:11], off
	s_andn2_b64 s[46:47], s[2:3], exec
	s_andn2_b64 s[40:41], s[40:41], exec
	s_or_b64 s[38:39], s[38:39], exec
	s_waitcnt vmcnt(0)
	v_cmp_le_u64_e64 s[2:3], v[22:23], v[24:25]
	v_cmp_lt_u64_e32 vcc, v[22:23], v[24:25]
	s_and_b64 s[2:3], s[2:3], s[44:45]
	s_or_b64 s[48:49], vcc, s[2:3]
	s_and_b64 s[2:3], s[48:49], exec
	v_cmp_eq_u64_e64 s[4:5], v[22:23], v[24:25]
	s_or_b64 s[2:3], s[46:47], s[2:3]
	s_and_saveexec_b64 s[46:47], s[4:5]
	s_cbranch_execz .LBB1605_467
; %bb.469:                              ;   in Loop: Header=BB1605_468 Depth=2
	s_add_u32 s42, s42, -1
	s_addc_u32 s43, s43, -1
	v_add_co_u32_e32 v8, vcc, 8, v8
	s_cmp_eq_u64 s[42:43], 0
	v_addc_co_u32_e32 v9, vcc, 0, v9, vcc
	s_cselect_b64 s[4:5], -1, 0
	v_add_co_u32_e32 v10, vcc, 8, v10
	s_andn2_b64 s[40:41], s[40:41], exec
	s_and_b64 s[44:45], s[48:49], exec
	s_andn2_b64 s[38:39], s[38:39], exec
	s_and_b64 s[4:5], s[4:5], exec
	v_addc_co_u32_e32 v11, vcc, 0, v11, vcc
	s_andn2_b64 s[2:3], s[2:3], exec
	s_or_b64 s[40:41], s[40:41], s[44:45]
	s_or_b64 s[38:39], s[38:39], s[4:5]
                                        ; implicit-def: $sgpr44_sgpr45
	s_branch .LBB1605_467
.LBB1605_470:
	s_or_b64 exec, exec, s[28:29]
.LBB1605_471:
	s_or_b64 exec, exec, s[26:27]
	v_sub_u32_e32 v8, v17, v18
	v_add_u32_e32 v16, v18, v16
	v_add_u32_e32 v17, v8, v14
	s_movk_i32 s0, 0x401
	v_cmp_le_u32_e32 vcc, v16, v14
	v_cmp_gt_u32_e64 s[0:1], s0, v17
	s_or_b64 s[0:1], vcc, s[0:1]
	s_and_saveexec_b64 s[4:5], s[0:1]
	s_cbranch_execz .LBB1605_518
; %bb.472:
	v_cmp_ge_u32_e32 vcc, v16, v14
	v_cmp_lt_u32_e64 s[0:1], v16, v14
                                        ; implicit-def: $vgpr0_vgpr1
	s_and_saveexec_b64 s[2:3], s[0:1]
	s_cbranch_execz .LBB1605_474
; %bb.473:
	v_lshl_add_u32 v0, v18, 3, v15
	ds_read_b64 v[0:1], v0
.LBB1605_474:
	s_or_b64 exec, exec, s[2:3]
	s_movk_i32 s0, 0x3ff
	v_cmp_lt_u32_e64 s[26:27], s0, v17
	s_movk_i32 s0, 0x400
	v_cmp_gt_u32_e64 s[0:1], s0, v17
                                        ; implicit-def: $vgpr4_vgpr5
	s_and_saveexec_b64 s[2:3], s[0:1]
	s_cbranch_execz .LBB1605_476
; %bb.475:
	v_lshlrev_b32_e32 v2, 3, v17
	ds_read_b64 v[4:5], v2
.LBB1605_476:
	s_or_b64 exec, exec, s[2:3]
	s_or_b64 s[0:1], vcc, s[26:27]
	s_mov_b64 s[28:29], -1
	s_xor_b64 s[0:1], s[0:1], -1
	s_and_saveexec_b64 s[30:31], s[0:1]
	s_cbranch_execz .LBB1605_485
; %bb.477:
	s_andn2_b64 vcc, exec, s[24:25]
	s_cbranch_vccnz .LBB1605_483
; %bb.478:
	s_waitcnt lgkmcnt(0)
	v_mul_lo_u32 v6, v5, s16
	v_mul_lo_u32 v7, v4, s17
	v_mad_u64_u32 v[2:3], s[0:1], v4, s16, 0
	v_add3_u32 v3, v3, v7, v6
	v_lshlrev_b64 v[2:3], 3, v[2:3]
	v_mov_b32_e32 v6, s19
	v_add_co_u32_e32 v2, vcc, s18, v2
	v_addc_co_u32_e32 v3, vcc, v6, v3, vcc
	v_mul_lo_u32 v8, v1, s16
	v_mul_lo_u32 v9, v0, s17
	v_mad_u64_u32 v[6:7], s[0:1], v0, s16, 0
	v_add3_u32 v7, v7, v9, v8
	v_lshlrev_b64 v[6:7], 3, v[6:7]
	v_mov_b32_e32 v8, s19
	v_add_co_u32_e32 v6, vcc, s18, v6
	v_addc_co_u32_e32 v7, vcc, v8, v7, vcc
	s_mov_b64 s[34:35], 0
	s_mov_b64 s[42:43], s[16:17]
                                        ; implicit-def: $sgpr36_sgpr37
                                        ; implicit-def: $sgpr38_sgpr39
                                        ; implicit-def: $sgpr0_sgpr1
                                        ; implicit-def: $sgpr40_sgpr41
                                        ; implicit-def: $sgpr44_sgpr45
	s_branch .LBB1605_480
.LBB1605_479:                           ;   in Loop: Header=BB1605_480 Depth=1
	s_or_b64 exec, exec, s[46:47]
	s_and_b64 s[2:3], exec, s[38:39]
	s_or_b64 s[34:35], s[2:3], s[34:35]
	s_andn2_b64 s[2:3], s[44:45], exec
	s_and_b64 s[44:45], s[40:41], exec
	s_or_b64 s[44:45], s[2:3], s[44:45]
	s_andn2_b64 s[2:3], s[36:37], exec
	s_and_b64 s[36:37], s[0:1], exec
	s_or_b64 s[36:37], s[2:3], s[36:37]
	s_andn2_b64 exec, exec, s[34:35]
	s_cbranch_execz .LBB1605_482
.LBB1605_480:                           ; =>This Inner Loop Header: Depth=1
	global_load_dwordx2 v[8:9], v[2:3], off
	global_load_dwordx2 v[10:11], v[6:7], off
	s_andn2_b64 s[46:47], s[0:1], exec
	s_andn2_b64 s[40:41], s[40:41], exec
	s_or_b64 s[38:39], s[38:39], exec
	s_waitcnt vmcnt(0)
	v_cmp_le_u64_e64 s[0:1], v[8:9], v[10:11]
	v_cmp_lt_u64_e32 vcc, v[8:9], v[10:11]
	s_and_b64 s[0:1], s[0:1], s[44:45]
	s_or_b64 s[48:49], vcc, s[0:1]
	s_and_b64 s[0:1], s[48:49], exec
	v_cmp_eq_u64_e64 s[2:3], v[8:9], v[10:11]
	s_or_b64 s[0:1], s[46:47], s[0:1]
	s_and_saveexec_b64 s[46:47], s[2:3]
	s_cbranch_execz .LBB1605_479
; %bb.481:                              ;   in Loop: Header=BB1605_480 Depth=1
	s_add_u32 s42, s42, -1
	s_addc_u32 s43, s43, -1
	v_add_co_u32_e32 v2, vcc, 8, v2
	s_cmp_eq_u64 s[42:43], 0
	v_addc_co_u32_e32 v3, vcc, 0, v3, vcc
	s_cselect_b64 s[2:3], -1, 0
	v_add_co_u32_e32 v6, vcc, 8, v6
	s_andn2_b64 s[40:41], s[40:41], exec
	s_and_b64 s[44:45], s[48:49], exec
	s_andn2_b64 s[38:39], s[38:39], exec
	s_and_b64 s[2:3], s[2:3], exec
	v_addc_co_u32_e32 v7, vcc, 0, v7, vcc
	s_or_b64 s[40:41], s[40:41], s[44:45]
	s_andn2_b64 s[0:1], s[0:1], exec
	s_or_b64 s[38:39], s[38:39], s[2:3]
                                        ; implicit-def: $sgpr44_sgpr45
	s_branch .LBB1605_479
.LBB1605_482:
	s_or_b64 exec, exec, s[34:35]
	s_xor_b64 s[0:1], s[36:37], -1
	s_branch .LBB1605_484
.LBB1605_483:
	s_mov_b64 s[0:1], -1
.LBB1605_484:
	s_andn2_b64 s[2:3], s[26:27], exec
	s_and_b64 s[0:1], s[0:1], exec
	s_or_b64 s[26:27], s[2:3], s[0:1]
.LBB1605_485:
	s_or_b64 exec, exec, s[30:31]
	v_cndmask_b32_e64 v2, v17, v16, s[26:27]
	v_add_u32_e32 v8, -1, v14
	v_mov_b32_e32 v18, 0x3ff
	v_add_u32_e32 v6, 1, v2
	v_cndmask_b32_e64 v2, v18, v8, s[26:27]
	v_min_u32_e32 v2, v6, v2
	v_lshlrev_b32_e32 v2, 3, v2
	ds_read_b64 v[2:3], v2
	v_cndmask_b32_e64 v19, v6, v17, s[26:27]
	s_movk_i32 s7, 0x400
	v_cndmask_b32_e64 v22, v16, v6, s[26:27]
	v_cmp_gt_u32_e32 vcc, s7, v19
	s_waitcnt lgkmcnt(0)
	v_cndmask_b32_e64 v9, v3, v5, s[26:27]
	v_cndmask_b32_e64 v10, v2, v4, s[26:27]
	;; [unrolled: 1-line block ×4, first 2 shown]
	s_and_saveexec_b64 s[30:31], vcc
	s_cbranch_execz .LBB1605_496
; %bb.486:
	v_cmp_lt_u32_e32 vcc, v22, v14
	s_mov_b64 s[0:1], 0
	s_and_saveexec_b64 s[28:29], vcc
	s_cbranch_execz .LBB1605_495
; %bb.487:
	s_andn2_b64 vcc, exec, s[24:25]
	s_cbranch_vccnz .LBB1605_493
; %bb.488:
	v_mul_lo_u32 v6, v9, s16
	v_mul_lo_u32 v7, v10, s17
	v_mad_u64_u32 v[2:3], s[0:1], v10, s16, 0
	v_add3_u32 v3, v3, v7, v6
	v_lshlrev_b64 v[2:3], 3, v[2:3]
	v_mov_b32_e32 v6, s19
	v_add_co_u32_e32 v2, vcc, s18, v2
	v_addc_co_u32_e32 v3, vcc, v6, v3, vcc
	v_mul_lo_u32 v16, v11, s16
	v_mul_lo_u32 v17, v15, s17
	v_mad_u64_u32 v[6:7], s[0:1], v15, s16, 0
	v_add3_u32 v7, v7, v17, v16
	v_lshlrev_b64 v[6:7], 3, v[6:7]
	v_mov_b32_e32 v16, s19
	v_add_co_u32_e32 v6, vcc, s18, v6
	v_addc_co_u32_e32 v7, vcc, v16, v7, vcc
	s_mov_b64 s[34:35], 0
	s_mov_b64 s[42:43], s[16:17]
                                        ; implicit-def: $sgpr36_sgpr37
                                        ; implicit-def: $sgpr38_sgpr39
                                        ; implicit-def: $sgpr0_sgpr1
                                        ; implicit-def: $sgpr40_sgpr41
                                        ; implicit-def: $sgpr44_sgpr45
	s_branch .LBB1605_490
.LBB1605_489:                           ;   in Loop: Header=BB1605_490 Depth=1
	s_or_b64 exec, exec, s[46:47]
	s_and_b64 s[2:3], exec, s[38:39]
	s_or_b64 s[34:35], s[2:3], s[34:35]
	s_andn2_b64 s[2:3], s[44:45], exec
	s_and_b64 s[44:45], s[40:41], exec
	s_or_b64 s[44:45], s[2:3], s[44:45]
	s_andn2_b64 s[2:3], s[36:37], exec
	s_and_b64 s[36:37], s[0:1], exec
	s_or_b64 s[36:37], s[2:3], s[36:37]
	s_andn2_b64 exec, exec, s[34:35]
	s_cbranch_execz .LBB1605_492
.LBB1605_490:                           ; =>This Inner Loop Header: Depth=1
	global_load_dwordx2 v[16:17], v[2:3], off
	global_load_dwordx2 v[20:21], v[6:7], off
	s_andn2_b64 s[46:47], s[0:1], exec
	s_andn2_b64 s[40:41], s[40:41], exec
	s_or_b64 s[38:39], s[38:39], exec
	s_waitcnt vmcnt(0)
	v_cmp_le_u64_e64 s[0:1], v[16:17], v[20:21]
	v_cmp_lt_u64_e32 vcc, v[16:17], v[20:21]
	s_and_b64 s[0:1], s[0:1], s[44:45]
	s_or_b64 s[48:49], vcc, s[0:1]
	s_and_b64 s[0:1], s[48:49], exec
	v_cmp_eq_u64_e64 s[2:3], v[16:17], v[20:21]
	s_or_b64 s[0:1], s[46:47], s[0:1]
	s_and_saveexec_b64 s[46:47], s[2:3]
	s_cbranch_execz .LBB1605_489
; %bb.491:                              ;   in Loop: Header=BB1605_490 Depth=1
	s_add_u32 s42, s42, -1
	s_addc_u32 s43, s43, -1
	v_add_co_u32_e32 v2, vcc, 8, v2
	s_cmp_eq_u64 s[42:43], 0
	v_addc_co_u32_e32 v3, vcc, 0, v3, vcc
	s_cselect_b64 s[2:3], -1, 0
	v_add_co_u32_e32 v6, vcc, 8, v6
	s_andn2_b64 s[40:41], s[40:41], exec
	s_and_b64 s[44:45], s[48:49], exec
	s_andn2_b64 s[38:39], s[38:39], exec
	s_and_b64 s[2:3], s[2:3], exec
	v_addc_co_u32_e32 v7, vcc, 0, v7, vcc
	s_or_b64 s[40:41], s[40:41], s[44:45]
	s_andn2_b64 s[0:1], s[0:1], exec
	s_or_b64 s[38:39], s[38:39], s[2:3]
                                        ; implicit-def: $sgpr44_sgpr45
	s_branch .LBB1605_489
.LBB1605_492:
	s_or_b64 exec, exec, s[34:35]
	s_xor_b64 s[0:1], s[36:37], -1
	s_branch .LBB1605_494
.LBB1605_493:
	s_mov_b64 s[0:1], -1
.LBB1605_494:
	s_and_b64 s[0:1], s[0:1], exec
.LBB1605_495:
	s_or_b64 exec, exec, s[28:29]
	s_orn2_b64 s[28:29], s[0:1], exec
.LBB1605_496:
	s_or_b64 exec, exec, s[30:31]
	v_cndmask_b32_e64 v2, v19, v22, s[28:29]
	v_add_u32_e32 v6, 1, v2
	v_cndmask_b32_e64 v2, v18, v8, s[28:29]
	v_min_u32_e32 v2, v6, v2
	v_lshlrev_b32_e32 v2, 3, v2
	ds_read_b64 v[2:3], v2
	v_cndmask_b32_e64 v19, v6, v19, s[28:29]
	v_cndmask_b32_e64 v18, v22, v6, s[28:29]
	v_cmp_gt_u32_e32 vcc, s7, v19
	s_mov_b64 s[0:1], -1
	s_waitcnt lgkmcnt(0)
	v_cndmask_b32_e64 v16, v3, v9, s[28:29]
	v_cndmask_b32_e64 v17, v2, v10, s[28:29]
	;; [unrolled: 1-line block ×4, first 2 shown]
	s_and_saveexec_b64 s[30:31], vcc
	s_cbranch_execz .LBB1605_507
; %bb.497:
	v_cmp_lt_u32_e32 vcc, v18, v14
	s_mov_b64 s[0:1], 0
	s_and_saveexec_b64 s[34:35], vcc
	s_cbranch_execz .LBB1605_506
; %bb.498:
	s_andn2_b64 vcc, exec, s[24:25]
	s_cbranch_vccnz .LBB1605_504
; %bb.499:
	v_mul_lo_u32 v6, v16, s16
	v_mul_lo_u32 v7, v17, s17
	v_mad_u64_u32 v[2:3], s[0:1], v17, s16, 0
	v_add3_u32 v3, v3, v7, v6
	v_lshlrev_b64 v[2:3], 3, v[2:3]
	v_mov_b32_e32 v6, s19
	v_add_co_u32_e32 v2, vcc, s18, v2
	v_addc_co_u32_e32 v3, vcc, v6, v3, vcc
	v_mul_lo_u32 v22, v20, s16
	v_mul_lo_u32 v23, v21, s17
	v_mad_u64_u32 v[6:7], s[0:1], v21, s16, 0
	v_add3_u32 v7, v7, v23, v22
	v_lshlrev_b64 v[6:7], 3, v[6:7]
	v_mov_b32_e32 v22, s19
	v_add_co_u32_e32 v6, vcc, s18, v6
	v_addc_co_u32_e32 v7, vcc, v22, v7, vcc
	s_mov_b64 s[36:37], 0
	s_mov_b64 s[44:45], s[16:17]
                                        ; implicit-def: $sgpr38_sgpr39
                                        ; implicit-def: $sgpr40_sgpr41
                                        ; implicit-def: $sgpr0_sgpr1
                                        ; implicit-def: $sgpr42_sgpr43
                                        ; implicit-def: $sgpr46_sgpr47
	s_branch .LBB1605_501
.LBB1605_500:                           ;   in Loop: Header=BB1605_501 Depth=1
	s_or_b64 exec, exec, s[48:49]
	s_and_b64 s[2:3], exec, s[40:41]
	s_or_b64 s[36:37], s[2:3], s[36:37]
	s_andn2_b64 s[2:3], s[46:47], exec
	s_and_b64 s[46:47], s[42:43], exec
	s_or_b64 s[46:47], s[2:3], s[46:47]
	s_andn2_b64 s[2:3], s[38:39], exec
	s_and_b64 s[38:39], s[0:1], exec
	s_or_b64 s[38:39], s[2:3], s[38:39]
	s_andn2_b64 exec, exec, s[36:37]
	s_cbranch_execz .LBB1605_503
.LBB1605_501:                           ; =>This Inner Loop Header: Depth=1
	global_load_dwordx2 v[22:23], v[2:3], off
	global_load_dwordx2 v[24:25], v[6:7], off
	s_andn2_b64 s[48:49], s[0:1], exec
	s_andn2_b64 s[42:43], s[42:43], exec
	s_or_b64 s[40:41], s[40:41], exec
	s_waitcnt vmcnt(0)
	v_cmp_le_u64_e64 s[0:1], v[22:23], v[24:25]
	v_cmp_lt_u64_e32 vcc, v[22:23], v[24:25]
	s_and_b64 s[0:1], s[0:1], s[46:47]
	s_or_b64 s[50:51], vcc, s[0:1]
	s_and_b64 s[0:1], s[50:51], exec
	v_cmp_eq_u64_e64 s[2:3], v[22:23], v[24:25]
	s_or_b64 s[0:1], s[48:49], s[0:1]
	s_and_saveexec_b64 s[48:49], s[2:3]
	s_cbranch_execz .LBB1605_500
; %bb.502:                              ;   in Loop: Header=BB1605_501 Depth=1
	s_add_u32 s44, s44, -1
	s_addc_u32 s45, s45, -1
	v_add_co_u32_e32 v2, vcc, 8, v2
	s_cmp_eq_u64 s[44:45], 0
	v_addc_co_u32_e32 v3, vcc, 0, v3, vcc
	s_cselect_b64 s[2:3], -1, 0
	v_add_co_u32_e32 v6, vcc, 8, v6
	s_andn2_b64 s[42:43], s[42:43], exec
	s_and_b64 s[46:47], s[50:51], exec
	s_andn2_b64 s[40:41], s[40:41], exec
	s_and_b64 s[2:3], s[2:3], exec
	v_addc_co_u32_e32 v7, vcc, 0, v7, vcc
	s_or_b64 s[42:43], s[42:43], s[46:47]
	s_andn2_b64 s[0:1], s[0:1], exec
	s_or_b64 s[40:41], s[40:41], s[2:3]
                                        ; implicit-def: $sgpr46_sgpr47
	s_branch .LBB1605_500
.LBB1605_503:
	s_or_b64 exec, exec, s[36:37]
	s_xor_b64 s[0:1], s[38:39], -1
	s_branch .LBB1605_505
.LBB1605_504:
	s_mov_b64 s[0:1], -1
.LBB1605_505:
	s_and_b64 s[0:1], s[0:1], exec
.LBB1605_506:
	s_or_b64 exec, exec, s[34:35]
	s_orn2_b64 s[0:1], s[0:1], exec
.LBB1605_507:
	s_or_b64 exec, exec, s[30:31]
	v_cndmask_b32_e64 v6, v19, v18, s[0:1]
	v_cndmask_b32_e64 v2, v10, v15, s[28:29]
	v_add_u32_e32 v10, 1, v6
	v_mov_b32_e32 v6, 0x3ff
	v_cndmask_b32_e64 v6, v6, v8, s[0:1]
	v_min_u32_e32 v6, v10, v6
	v_lshlrev_b32_e32 v6, 3, v6
	v_cndmask_b32_e64 v3, v9, v11, s[28:29]
	ds_read_b64 v[8:9], v6
	v_cndmask_b32_e64 v11, v10, v19, s[0:1]
	s_movk_i32 s2, 0x400
	v_cndmask_b32_e64 v1, v5, v1, s[26:27]
	v_cndmask_b32_e64 v0, v4, v0, s[26:27]
	;; [unrolled: 1-line block ×4, first 2 shown]
	s_waitcnt lgkmcnt(0)
	v_cndmask_b32_e64 v7, v20, v9, s[0:1]
	v_cndmask_b32_e64 v6, v21, v8, s[0:1]
	v_cmp_gt_u32_e32 vcc, s2, v11
	s_and_saveexec_b64 s[26:27], vcc
	s_cbranch_execz .LBB1605_517
; %bb.508:
	v_cndmask_b32_e64 v10, v18, v10, s[0:1]
	v_cndmask_b32_e64 v9, v9, v16, s[0:1]
	;; [unrolled: 1-line block ×3, first 2 shown]
	v_cmp_lt_u32_e32 vcc, v10, v14
	s_and_saveexec_b64 s[28:29], vcc
	s_cbranch_execz .LBB1605_516
; %bb.509:
	s_andn2_b64 vcc, exec, s[24:25]
	s_cbranch_vccnz .LBB1605_515
; %bb.510:
	v_mul_lo_u32 v14, v9, s16
	v_mul_lo_u32 v15, v8, s17
	v_mad_u64_u32 v[10:11], s[0:1], v8, s16, 0
	v_add3_u32 v11, v11, v15, v14
	v_lshlrev_b64 v[10:11], 3, v[10:11]
	v_mov_b32_e32 v14, s19
	v_add_co_u32_e32 v10, vcc, s18, v10
	v_addc_co_u32_e32 v11, vcc, v14, v11, vcc
	v_mul_lo_u32 v16, v7, s16
	v_mul_lo_u32 v17, v6, s17
	v_mad_u64_u32 v[14:15], s[0:1], v6, s16, 0
	v_add3_u32 v15, v15, v17, v16
	v_lshlrev_b64 v[14:15], 3, v[14:15]
	v_mov_b32_e32 v16, s19
	v_add_co_u32_e32 v14, vcc, s18, v14
	v_addc_co_u32_e32 v15, vcc, v16, v15, vcc
	s_mov_b64 s[24:25], 0
	s_mov_b64 s[38:39], s[16:17]
                                        ; implicit-def: $sgpr30_sgpr31
                                        ; implicit-def: $sgpr34_sgpr35
                                        ; implicit-def: $sgpr0_sgpr1
                                        ; implicit-def: $sgpr36_sgpr37
                                        ; implicit-def: $sgpr40_sgpr41
	s_branch .LBB1605_512
.LBB1605_511:                           ;   in Loop: Header=BB1605_512 Depth=1
	s_or_b64 exec, exec, s[42:43]
	s_and_b64 s[2:3], exec, s[34:35]
	s_or_b64 s[24:25], s[2:3], s[24:25]
	s_andn2_b64 s[2:3], s[40:41], exec
	s_and_b64 s[40:41], s[36:37], exec
	s_or_b64 s[40:41], s[2:3], s[40:41]
	s_andn2_b64 s[2:3], s[30:31], exec
	s_and_b64 s[30:31], s[0:1], exec
	s_or_b64 s[30:31], s[2:3], s[30:31]
	s_andn2_b64 exec, exec, s[24:25]
	s_cbranch_execz .LBB1605_514
.LBB1605_512:                           ; =>This Inner Loop Header: Depth=1
	global_load_dwordx2 v[16:17], v[10:11], off
	global_load_dwordx2 v[18:19], v[14:15], off
	s_andn2_b64 s[42:43], s[0:1], exec
	s_andn2_b64 s[36:37], s[36:37], exec
	s_or_b64 s[34:35], s[34:35], exec
	s_waitcnt vmcnt(0)
	v_cmp_le_u64_e64 s[0:1], v[16:17], v[18:19]
	v_cmp_lt_u64_e32 vcc, v[16:17], v[18:19]
	s_and_b64 s[0:1], s[0:1], s[40:41]
	s_or_b64 s[44:45], vcc, s[0:1]
	s_and_b64 s[0:1], s[44:45], exec
	v_cmp_eq_u64_e64 s[2:3], v[16:17], v[18:19]
	s_or_b64 s[0:1], s[42:43], s[0:1]
	s_and_saveexec_b64 s[42:43], s[2:3]
	s_cbranch_execz .LBB1605_511
; %bb.513:                              ;   in Loop: Header=BB1605_512 Depth=1
	s_add_u32 s38, s38, -1
	s_addc_u32 s39, s39, -1
	v_add_co_u32_e32 v10, vcc, 8, v10
	s_cmp_eq_u64 s[38:39], 0
	v_addc_co_u32_e32 v11, vcc, 0, v11, vcc
	s_cselect_b64 s[2:3], -1, 0
	v_add_co_u32_e32 v14, vcc, 8, v14
	s_andn2_b64 s[36:37], s[36:37], exec
	s_and_b64 s[40:41], s[44:45], exec
	s_andn2_b64 s[34:35], s[34:35], exec
	s_and_b64 s[2:3], s[2:3], exec
	v_addc_co_u32_e32 v15, vcc, 0, v15, vcc
	s_or_b64 s[36:37], s[36:37], s[40:41]
	s_andn2_b64 s[0:1], s[0:1], exec
	s_or_b64 s[34:35], s[34:35], s[2:3]
                                        ; implicit-def: $sgpr40_sgpr41
	s_branch .LBB1605_511
.LBB1605_514:
	s_or_b64 exec, exec, s[24:25]
	v_cndmask_b32_e64 v7, v7, v9, s[30:31]
	v_cndmask_b32_e64 v6, v6, v8, s[30:31]
.LBB1605_515:
	v_pk_mov_b32 v[8:9], v[6:7], v[6:7] op_sel:[0,1]
.LBB1605_516:
	s_or_b64 exec, exec, s[28:29]
	v_pk_mov_b32 v[6:7], v[8:9], v[8:9] op_sel:[0,1]
.LBB1605_517:
	s_or_b64 exec, exec, s[26:27]
.LBB1605_518:
	s_or_b64 exec, exec, s[4:5]
	s_barrier
	s_barrier
	ds_write2_b64 v33, v[0:1], v[2:3] offset1:1
	ds_write2_b64 v33, v[4:5], v[6:7] offset0:2 offset1:3
	s_waitcnt lgkmcnt(0)
	s_barrier
	ds_read_b64 v[2:3], v32
	ds_read_b64 v[4:5], v34 offset:2048
	ds_read_b64 v[6:7], v35 offset:4096
	;; [unrolled: 1-line block ×3, first 2 shown]
	v_mov_b32_e32 v8, s21
	v_add_co_u32_e32 v9, vcc, s20, v26
	v_addc_co_u32_e32 v8, vcc, 0, v8, vcc
	s_waitcnt lgkmcnt(3)
	global_store_dwordx2 v26, v[2:3], s[20:21]
	s_waitcnt lgkmcnt(2)
	global_store_dwordx2 v26, v[4:5], s[20:21] offset:2048
	v_add_co_u32_e32 v2, vcc, 0x1000, v9
	v_addc_co_u32_e32 v3, vcc, 0, v8, vcc
	s_waitcnt lgkmcnt(1)
	global_store_dwordx2 v[2:3], v[6:7], off
	s_mov_b64 s[24:25], -1
	s_branch .LBB1605_874
.LBB1605_519:
	s_lshl_b64 s[0:1], s[14:15], 10
	s_sub_i32 s33, s22, s0
	v_cmp_gt_u32_e64 s[0:1], s33, v12
                                        ; implicit-def: $vgpr0_vgpr1_vgpr2_vgpr3_vgpr4_vgpr5_vgpr6_vgpr7
	s_and_saveexec_b64 s[2:3], s[0:1]
	s_cbranch_execz .LBB1605_521
; %bb.520:
	s_waitcnt lgkmcnt(0)
	global_load_dwordx2 v[0:1], v26, s[8:9]
.LBB1605_521:
	s_or_b64 exec, exec, s[2:3]
	v_add_u32_e32 v8, 0x100, v12
	v_cmp_gt_u32_e64 s[2:3], s33, v8
	s_and_saveexec_b64 s[4:5], s[2:3]
	s_cbranch_execz .LBB1605_523
; %bb.522:
	global_load_dwordx2 v[2:3], v26, s[8:9] offset:2048
.LBB1605_523:
	s_or_b64 exec, exec, s[4:5]
	v_add_u32_e32 v9, 0x200, v12
	v_cmp_gt_u32_e64 s[4:5], s33, v9
	s_and_saveexec_b64 s[14:15], s[4:5]
	s_cbranch_execz .LBB1605_525
; %bb.524:
	v_lshlrev_b32_e32 v4, 3, v9
	global_load_dwordx2 v[4:5], v4, s[8:9]
.LBB1605_525:
	s_or_b64 exec, exec, s[14:15]
	v_add_u32_e32 v10, 0x300, v12
	v_cmp_gt_u32_e64 s[24:25], s33, v10
	s_and_saveexec_b64 s[14:15], s[24:25]
	s_cbranch_execz .LBB1605_527
; %bb.526:
	v_lshlrev_b32_e32 v6, 3, v10
	global_load_dwordx2 v[6:7], v6, s[8:9]
.LBB1605_527:
	s_or_b64 exec, exec, s[14:15]
	v_and_b32_e32 v11, 0xf8, v31
	v_add_u32_e32 v14, v11, v26
	s_waitcnt vmcnt(0) lgkmcnt(0)
	ds_write_b64 v14, v[0:1]
	v_lshrrev_b32_e32 v0, 2, v8
	v_and_b32_e32 v0, 0x1f8, v0
	v_add_u32_e32 v13, v0, v26
	v_lshrrev_b32_e32 v0, 2, v9
	v_and_b32_e32 v0, 0x1f8, v0
	v_add_u32_e32 v15, v0, v26
	;; [unrolled: 3-line block ×3, first 2 shown]
	v_add_lshl_u32 v17, v30, v27, 3
	ds_write_b64 v13, v[2:3] offset:2048
	ds_write_b64 v15, v[4:5] offset:4096
	;; [unrolled: 1-line block ×3, first 2 shown]
	s_waitcnt lgkmcnt(0)
	s_barrier
	ds_read2_b64 v[0:3], v17 offset1:1
	ds_read2_b64 v[4:7], v17 offset0:2 offset1:3
	s_waitcnt lgkmcnt(0)
	s_barrier
	s_load_dword s7, s[10:11], 0xc
	v_mov_b32_e32 v8, 0
	v_cmp_gt_i64_e64 s[22:23], s[16:17], 0
	s_waitcnt lgkmcnt(0)
	s_lshr_b32 s8, s7, 16
	s_cmp_lt_u32 s6, s12
	s_cselect_b32 s6, 12, 18
	s_add_u32 s6, s10, s6
	s_addc_u32 s7, s11, 0
	global_load_ushort v8, v8, s[6:7]
	v_mad_u32_u24 v9, v29, s8, v28
	s_waitcnt vmcnt(0)
	v_mul_lo_u32 v8, v9, v8
	v_add_lshl_u32 v18, v8, v12, 2
	v_sub_u32_e64 v19, s33, v18 clamp
	v_cmp_lt_u32_e64 s[6:7], 1, v19
	s_and_saveexec_b64 s[12:13], s[6:7]
	s_cbranch_execz .LBB1605_536
; %bb.528:
	s_andn2_b64 vcc, exec, s[22:23]
	s_cbranch_vccnz .LBB1605_536
; %bb.529:
	v_mul_lo_u32 v10, v3, s16
	v_mul_lo_u32 v11, v2, s17
	v_mad_u64_u32 v[8:9], s[8:9], v2, s16, 0
	v_add3_u32 v9, v9, v11, v10
	v_lshlrev_b64 v[8:9], 3, v[8:9]
	v_mov_b32_e32 v10, s19
	v_add_co_u32_e32 v8, vcc, s18, v8
	v_addc_co_u32_e32 v9, vcc, v10, v9, vcc
	v_mul_lo_u32 v20, v1, s16
	v_mul_lo_u32 v21, v0, s17
	v_mad_u64_u32 v[10:11], s[8:9], v0, s16, 0
	v_add3_u32 v11, v11, v21, v20
	v_lshlrev_b64 v[10:11], 3, v[10:11]
	v_mov_b32_e32 v20, s19
	v_add_co_u32_e32 v10, vcc, s18, v10
	v_addc_co_u32_e32 v11, vcc, v20, v11, vcc
	s_mov_b64 s[26:27], 0
	s_mov_b64 s[38:39], s[16:17]
                                        ; implicit-def: $sgpr14_sgpr15
                                        ; implicit-def: $sgpr28_sgpr29
                                        ; implicit-def: $sgpr34_sgpr35
                                        ; implicit-def: $sgpr30_sgpr31
                                        ; implicit-def: $sgpr36_sgpr37
                                        ; implicit-def: $sgpr40_sgpr41
	s_branch .LBB1605_531
.LBB1605_530:                           ;   in Loop: Header=BB1605_531 Depth=1
	s_or_b64 exec, exec, s[42:43]
	s_and_b64 s[10:11], exec, s[34:35]
	s_or_b64 s[26:27], s[10:11], s[26:27]
	s_andn2_b64 s[10:11], s[40:41], exec
	s_and_b64 s[40:41], s[36:37], exec
	s_or_b64 s[40:41], s[10:11], s[40:41]
	s_andn2_b64 s[10:11], s[28:29], exec
	s_and_b64 s[28:29], s[30:31], exec
	;; [unrolled: 3-line block ×3, first 2 shown]
	s_or_b64 s[14:15], s[10:11], s[8:9]
	s_andn2_b64 exec, exec, s[26:27]
	s_cbranch_execz .LBB1605_533
.LBB1605_531:                           ; =>This Inner Loop Header: Depth=1
	global_load_dwordx2 v[20:21], v[8:9], off
	global_load_dwordx2 v[22:23], v[10:11], off
	s_andn2_b64 s[36:37], s[36:37], exec
	s_or_b64 s[30:31], s[30:31], exec
	s_or_b64 s[34:35], s[34:35], exec
	s_waitcnt vmcnt(0)
	v_cmp_le_u64_e64 s[8:9], v[20:21], v[22:23]
	v_cmp_lt_u64_e32 vcc, v[20:21], v[22:23]
	s_and_b64 s[8:9], s[8:9], s[40:41]
	v_cmp_eq_u64_e64 s[10:11], v[20:21], v[22:23]
	s_or_b64 s[8:9], vcc, s[8:9]
	s_and_saveexec_b64 s[42:43], s[10:11]
	s_cbranch_execz .LBB1605_530
; %bb.532:                              ;   in Loop: Header=BB1605_531 Depth=1
	s_add_u32 s38, s38, -1
	s_addc_u32 s39, s39, -1
	v_add_co_u32_e32 v8, vcc, 8, v8
	s_cmp_eq_u64 s[38:39], 0
	v_addc_co_u32_e32 v9, vcc, 0, v9, vcc
	s_cselect_b64 s[10:11], -1, 0
	v_add_co_u32_e32 v10, vcc, 8, v10
	s_andn2_b64 s[36:37], s[36:37], exec
	s_and_b64 s[40:41], s[8:9], exec
	s_andn2_b64 s[34:35], s[34:35], exec
	s_and_b64 s[10:11], s[10:11], exec
	v_addc_co_u32_e32 v11, vcc, 0, v11, vcc
	s_or_b64 s[36:37], s[36:37], s[40:41]
	s_andn2_b64 s[30:31], s[30:31], exec
	s_or_b64 s[34:35], s[34:35], s[10:11]
                                        ; implicit-def: $sgpr40_sgpr41
	s_branch .LBB1605_530
.LBB1605_533:
	s_or_b64 exec, exec, s[26:27]
	s_and_saveexec_b64 s[8:9], s[28:29]
	s_xor_b64 s[8:9], exec, s[8:9]
	s_cbranch_execz .LBB1605_535
; %bb.534:
	v_cndmask_b32_e64 v29, v1, v3, s[14:15]
	v_cndmask_b32_e64 v28, v0, v2, s[14:15]
	;; [unrolled: 1-line block ×4, first 2 shown]
	v_mov_b32_e32 v32, v4
	v_mov_b32_e32 v33, v5
	;; [unrolled: 1-line block ×4, first 2 shown]
	v_pk_mov_b32 v[0:1], v[28:29], v[28:29] op_sel:[0,1]
	v_pk_mov_b32 v[2:3], v[30:31], v[30:31] op_sel:[0,1]
	;; [unrolled: 1-line block ×4, first 2 shown]
.LBB1605_535:
	s_or_b64 exec, exec, s[8:9]
.LBB1605_536:
	s_or_b64 exec, exec, s[12:13]
	v_cmp_lt_u32_e64 s[8:9], 3, v19
	s_and_saveexec_b64 s[14:15], s[8:9]
	s_cbranch_execz .LBB1605_545
; %bb.537:
	s_andn2_b64 vcc, exec, s[22:23]
	s_cbranch_vccnz .LBB1605_545
; %bb.538:
	v_mul_lo_u32 v10, v7, s16
	v_mul_lo_u32 v11, v6, s17
	v_mad_u64_u32 v[8:9], s[10:11], v6, s16, 0
	v_add3_u32 v9, v9, v11, v10
	v_lshlrev_b64 v[8:9], 3, v[8:9]
	v_mov_b32_e32 v10, s19
	v_add_co_u32_e32 v8, vcc, s18, v8
	v_addc_co_u32_e32 v9, vcc, v10, v9, vcc
	v_mul_lo_u32 v20, v5, s16
	v_mul_lo_u32 v21, v4, s17
	v_mad_u64_u32 v[10:11], s[10:11], v4, s16, 0
	v_add3_u32 v11, v11, v21, v20
	v_lshlrev_b64 v[10:11], 3, v[10:11]
	v_mov_b32_e32 v20, s19
	v_add_co_u32_e32 v10, vcc, s18, v10
	v_addc_co_u32_e32 v11, vcc, v20, v11, vcc
	s_mov_b64 s[28:29], 0
	s_mov_b64 s[40:41], s[16:17]
                                        ; implicit-def: $sgpr26_sgpr27
                                        ; implicit-def: $sgpr30_sgpr31
                                        ; implicit-def: $sgpr36_sgpr37
                                        ; implicit-def: $sgpr34_sgpr35
                                        ; implicit-def: $sgpr38_sgpr39
                                        ; implicit-def: $sgpr42_sgpr43
	s_branch .LBB1605_540
.LBB1605_539:                           ;   in Loop: Header=BB1605_540 Depth=1
	s_or_b64 exec, exec, s[44:45]
	s_and_b64 s[12:13], exec, s[36:37]
	s_or_b64 s[28:29], s[12:13], s[28:29]
	s_andn2_b64 s[12:13], s[42:43], exec
	s_and_b64 s[42:43], s[38:39], exec
	s_or_b64 s[42:43], s[12:13], s[42:43]
	s_andn2_b64 s[12:13], s[30:31], exec
	s_and_b64 s[30:31], s[34:35], exec
	;; [unrolled: 3-line block ×3, first 2 shown]
	s_or_b64 s[26:27], s[12:13], s[10:11]
	s_andn2_b64 exec, exec, s[28:29]
	s_cbranch_execz .LBB1605_542
.LBB1605_540:                           ; =>This Inner Loop Header: Depth=1
	global_load_dwordx2 v[20:21], v[8:9], off
	global_load_dwordx2 v[22:23], v[10:11], off
	s_andn2_b64 s[38:39], s[38:39], exec
	s_or_b64 s[34:35], s[34:35], exec
	s_or_b64 s[36:37], s[36:37], exec
	s_waitcnt vmcnt(0)
	v_cmp_le_u64_e64 s[10:11], v[20:21], v[22:23]
	v_cmp_lt_u64_e32 vcc, v[20:21], v[22:23]
	s_and_b64 s[10:11], s[10:11], s[42:43]
	v_cmp_eq_u64_e64 s[12:13], v[20:21], v[22:23]
	s_or_b64 s[10:11], vcc, s[10:11]
	s_and_saveexec_b64 s[44:45], s[12:13]
	s_cbranch_execz .LBB1605_539
; %bb.541:                              ;   in Loop: Header=BB1605_540 Depth=1
	s_add_u32 s40, s40, -1
	s_addc_u32 s41, s41, -1
	v_add_co_u32_e32 v8, vcc, 8, v8
	s_cmp_eq_u64 s[40:41], 0
	v_addc_co_u32_e32 v9, vcc, 0, v9, vcc
	s_cselect_b64 s[12:13], -1, 0
	v_add_co_u32_e32 v10, vcc, 8, v10
	s_andn2_b64 s[38:39], s[38:39], exec
	s_and_b64 s[42:43], s[10:11], exec
	s_andn2_b64 s[36:37], s[36:37], exec
	s_and_b64 s[12:13], s[12:13], exec
	v_addc_co_u32_e32 v11, vcc, 0, v11, vcc
	s_or_b64 s[38:39], s[38:39], s[42:43]
	s_andn2_b64 s[34:35], s[34:35], exec
	s_or_b64 s[36:37], s[36:37], s[12:13]
                                        ; implicit-def: $sgpr42_sgpr43
	s_branch .LBB1605_539
.LBB1605_542:
	s_or_b64 exec, exec, s[28:29]
	s_and_saveexec_b64 s[10:11], s[30:31]
	s_xor_b64 s[10:11], exec, s[10:11]
; %bb.543:
	v_cndmask_b32_e64 v8, v7, v5, s[26:27]
	v_cndmask_b32_e64 v9, v6, v4, s[26:27]
	;; [unrolled: 1-line block ×4, first 2 shown]
	v_mov_b32_e32 v6, v9
	v_mov_b32_e32 v7, v8
; %bb.544:
	s_or_b64 exec, exec, s[10:11]
.LBB1605_545:
	s_or_b64 exec, exec, s[14:15]
	v_cmp_lt_u32_e64 s[10:11], 2, v19
	s_and_saveexec_b64 s[12:13], s[10:11]
	s_xor_b64 s[26:27], exec, s[12:13]
	s_cbranch_execz .LBB1605_554
; %bb.546:
	s_andn2_b64 vcc, exec, s[22:23]
	s_cbranch_vccnz .LBB1605_554
; %bb.547:
	v_mul_lo_u32 v10, v5, s16
	v_mul_lo_u32 v11, v4, s17
	v_mad_u64_u32 v[8:9], s[12:13], v4, s16, 0
	v_add3_u32 v9, v9, v11, v10
	v_lshlrev_b64 v[8:9], 3, v[8:9]
	v_mov_b32_e32 v10, s19
	v_add_co_u32_e32 v8, vcc, s18, v8
	v_addc_co_u32_e32 v9, vcc, v10, v9, vcc
	v_mul_lo_u32 v19, v3, s16
	v_mul_lo_u32 v20, v2, s17
	v_mad_u64_u32 v[10:11], s[12:13], v2, s16, 0
	v_add3_u32 v11, v11, v20, v19
	v_lshlrev_b64 v[10:11], 3, v[10:11]
	v_mov_b32_e32 v19, s19
	v_add_co_u32_e32 v10, vcc, s18, v10
	v_addc_co_u32_e32 v11, vcc, v19, v11, vcc
	s_mov_b64 s[30:31], 0
	s_mov_b64 s[42:43], s[16:17]
                                        ; implicit-def: $sgpr28_sgpr29
                                        ; implicit-def: $sgpr34_sgpr35
                                        ; implicit-def: $sgpr38_sgpr39
                                        ; implicit-def: $sgpr36_sgpr37
                                        ; implicit-def: $sgpr40_sgpr41
                                        ; implicit-def: $sgpr44_sgpr45
	s_branch .LBB1605_549
.LBB1605_548:                           ;   in Loop: Header=BB1605_549 Depth=1
	s_or_b64 exec, exec, s[46:47]
	s_and_b64 s[14:15], exec, s[38:39]
	s_or_b64 s[30:31], s[14:15], s[30:31]
	s_andn2_b64 s[14:15], s[44:45], exec
	s_and_b64 s[44:45], s[40:41], exec
	s_or_b64 s[44:45], s[14:15], s[44:45]
	s_andn2_b64 s[14:15], s[34:35], exec
	s_and_b64 s[34:35], s[36:37], exec
	;; [unrolled: 3-line block ×3, first 2 shown]
	s_or_b64 s[28:29], s[14:15], s[12:13]
	s_andn2_b64 exec, exec, s[30:31]
	s_cbranch_execz .LBB1605_551
.LBB1605_549:                           ; =>This Inner Loop Header: Depth=1
	global_load_dwordx2 v[20:21], v[8:9], off
	global_load_dwordx2 v[22:23], v[10:11], off
	s_andn2_b64 s[40:41], s[40:41], exec
	s_or_b64 s[36:37], s[36:37], exec
	s_or_b64 s[38:39], s[38:39], exec
	s_waitcnt vmcnt(0)
	v_cmp_le_u64_e64 s[12:13], v[20:21], v[22:23]
	v_cmp_lt_u64_e32 vcc, v[20:21], v[22:23]
	s_and_b64 s[12:13], s[12:13], s[44:45]
	v_cmp_eq_u64_e64 s[14:15], v[20:21], v[22:23]
	s_or_b64 s[12:13], vcc, s[12:13]
	s_and_saveexec_b64 s[46:47], s[14:15]
	s_cbranch_execz .LBB1605_548
; %bb.550:                              ;   in Loop: Header=BB1605_549 Depth=1
	s_add_u32 s42, s42, -1
	s_addc_u32 s43, s43, -1
	v_add_co_u32_e32 v8, vcc, 8, v8
	s_cmp_eq_u64 s[42:43], 0
	v_addc_co_u32_e32 v9, vcc, 0, v9, vcc
	s_cselect_b64 s[14:15], -1, 0
	v_add_co_u32_e32 v10, vcc, 8, v10
	s_andn2_b64 s[40:41], s[40:41], exec
	s_and_b64 s[44:45], s[12:13], exec
	s_andn2_b64 s[38:39], s[38:39], exec
	s_and_b64 s[14:15], s[14:15], exec
	v_addc_co_u32_e32 v11, vcc, 0, v11, vcc
	s_or_b64 s[40:41], s[40:41], s[44:45]
	s_andn2_b64 s[36:37], s[36:37], exec
	s_or_b64 s[38:39], s[38:39], s[14:15]
                                        ; implicit-def: $sgpr44_sgpr45
	s_branch .LBB1605_548
.LBB1605_551:
	s_or_b64 exec, exec, s[30:31]
	s_and_saveexec_b64 s[12:13], s[34:35]
	s_xor_b64 s[12:13], exec, s[12:13]
; %bb.552:
	v_cndmask_b32_e64 v8, v5, v3, s[28:29]
	v_cndmask_b32_e64 v9, v4, v2, s[28:29]
	;; [unrolled: 1-line block ×4, first 2 shown]
	v_mov_b32_e32 v4, v9
	v_mov_b32_e32 v5, v8
; %bb.553:
	s_or_b64 exec, exec, s[12:13]
.LBB1605_554:
	s_or_b64 exec, exec, s[26:27]
	s_and_saveexec_b64 s[14:15], s[6:7]
	s_cbranch_execz .LBB1605_563
; %bb.555:
	s_andn2_b64 vcc, exec, s[22:23]
	s_cbranch_vccnz .LBB1605_563
; %bb.556:
	v_mul_lo_u32 v10, v3, s16
	v_mul_lo_u32 v11, v2, s17
	v_mad_u64_u32 v[8:9], s[6:7], v2, s16, 0
	v_add3_u32 v9, v9, v11, v10
	v_lshlrev_b64 v[8:9], 3, v[8:9]
	v_mov_b32_e32 v10, s19
	v_add_co_u32_e32 v8, vcc, s18, v8
	v_addc_co_u32_e32 v9, vcc, v10, v9, vcc
	v_mul_lo_u32 v19, v1, s16
	v_mul_lo_u32 v20, v0, s17
	v_mad_u64_u32 v[10:11], s[6:7], v0, s16, 0
	v_add3_u32 v11, v11, v20, v19
	v_lshlrev_b64 v[10:11], 3, v[10:11]
	v_mov_b32_e32 v19, s19
	v_add_co_u32_e32 v10, vcc, s18, v10
	v_addc_co_u32_e32 v11, vcc, v19, v11, vcc
	s_mov_b64 s[28:29], 0
	s_mov_b64 s[40:41], s[16:17]
                                        ; implicit-def: $sgpr26_sgpr27
                                        ; implicit-def: $sgpr30_sgpr31
                                        ; implicit-def: $sgpr36_sgpr37
                                        ; implicit-def: $sgpr34_sgpr35
                                        ; implicit-def: $sgpr38_sgpr39
                                        ; implicit-def: $sgpr42_sgpr43
	s_branch .LBB1605_558
.LBB1605_557:                           ;   in Loop: Header=BB1605_558 Depth=1
	s_or_b64 exec, exec, s[44:45]
	s_and_b64 s[12:13], exec, s[36:37]
	s_or_b64 s[28:29], s[12:13], s[28:29]
	s_andn2_b64 s[12:13], s[42:43], exec
	s_and_b64 s[42:43], s[38:39], exec
	s_or_b64 s[42:43], s[12:13], s[42:43]
	s_andn2_b64 s[12:13], s[30:31], exec
	s_and_b64 s[30:31], s[34:35], exec
	;; [unrolled: 3-line block ×3, first 2 shown]
	s_or_b64 s[26:27], s[12:13], s[6:7]
	s_andn2_b64 exec, exec, s[28:29]
	s_cbranch_execz .LBB1605_560
.LBB1605_558:                           ; =>This Inner Loop Header: Depth=1
	global_load_dwordx2 v[20:21], v[8:9], off
	global_load_dwordx2 v[22:23], v[10:11], off
	s_andn2_b64 s[38:39], s[38:39], exec
	s_or_b64 s[34:35], s[34:35], exec
	s_or_b64 s[36:37], s[36:37], exec
	s_waitcnt vmcnt(0)
	v_cmp_le_u64_e64 s[6:7], v[20:21], v[22:23]
	v_cmp_lt_u64_e32 vcc, v[20:21], v[22:23]
	s_and_b64 s[6:7], s[6:7], s[42:43]
	v_cmp_eq_u64_e64 s[12:13], v[20:21], v[22:23]
	s_or_b64 s[6:7], vcc, s[6:7]
	s_and_saveexec_b64 s[44:45], s[12:13]
	s_cbranch_execz .LBB1605_557
; %bb.559:                              ;   in Loop: Header=BB1605_558 Depth=1
	s_add_u32 s40, s40, -1
	s_addc_u32 s41, s41, -1
	v_add_co_u32_e32 v8, vcc, 8, v8
	s_cmp_eq_u64 s[40:41], 0
	v_addc_co_u32_e32 v9, vcc, 0, v9, vcc
	s_cselect_b64 s[12:13], -1, 0
	v_add_co_u32_e32 v10, vcc, 8, v10
	s_andn2_b64 s[38:39], s[38:39], exec
	s_and_b64 s[42:43], s[6:7], exec
	s_andn2_b64 s[36:37], s[36:37], exec
	s_and_b64 s[12:13], s[12:13], exec
	v_addc_co_u32_e32 v11, vcc, 0, v11, vcc
	s_or_b64 s[38:39], s[38:39], s[42:43]
	s_andn2_b64 s[34:35], s[34:35], exec
	s_or_b64 s[36:37], s[36:37], s[12:13]
                                        ; implicit-def: $sgpr42_sgpr43
	s_branch .LBB1605_557
.LBB1605_560:
	s_or_b64 exec, exec, s[28:29]
	s_and_saveexec_b64 s[6:7], s[30:31]
	s_xor_b64 s[6:7], exec, s[6:7]
	s_cbranch_execz .LBB1605_562
; %bb.561:
	v_cndmask_b32_e64 v29, v1, v3, s[26:27]
	v_cndmask_b32_e64 v28, v0, v2, s[26:27]
	;; [unrolled: 1-line block ×4, first 2 shown]
	v_mov_b32_e32 v32, v4
	v_mov_b32_e32 v33, v5
	;; [unrolled: 1-line block ×4, first 2 shown]
	v_pk_mov_b32 v[0:1], v[28:29], v[28:29] op_sel:[0,1]
	v_pk_mov_b32 v[2:3], v[30:31], v[30:31] op_sel:[0,1]
	;; [unrolled: 1-line block ×4, first 2 shown]
.LBB1605_562:
	s_or_b64 exec, exec, s[6:7]
.LBB1605_563:
	s_or_b64 exec, exec, s[14:15]
	s_and_saveexec_b64 s[12:13], s[8:9]
	s_cbranch_execz .LBB1605_572
; %bb.564:
	s_andn2_b64 vcc, exec, s[22:23]
	s_cbranch_vccnz .LBB1605_572
; %bb.565:
	v_mul_lo_u32 v10, v7, s16
	v_mul_lo_u32 v11, v6, s17
	v_mad_u64_u32 v[8:9], s[6:7], v6, s16, 0
	v_add3_u32 v9, v9, v11, v10
	v_lshlrev_b64 v[8:9], 3, v[8:9]
	v_mov_b32_e32 v10, s19
	v_add_co_u32_e32 v8, vcc, s18, v8
	v_addc_co_u32_e32 v9, vcc, v10, v9, vcc
	v_mul_lo_u32 v19, v5, s16
	v_mul_lo_u32 v20, v4, s17
	v_mad_u64_u32 v[10:11], s[6:7], v4, s16, 0
	v_add3_u32 v11, v11, v20, v19
	v_lshlrev_b64 v[10:11], 3, v[10:11]
	v_mov_b32_e32 v19, s19
	v_add_co_u32_e32 v10, vcc, s18, v10
	v_addc_co_u32_e32 v11, vcc, v19, v11, vcc
	s_mov_b64 s[26:27], 0
	s_mov_b64 s[38:39], s[16:17]
                                        ; implicit-def: $sgpr14_sgpr15
                                        ; implicit-def: $sgpr28_sgpr29
                                        ; implicit-def: $sgpr34_sgpr35
                                        ; implicit-def: $sgpr30_sgpr31
                                        ; implicit-def: $sgpr36_sgpr37
                                        ; implicit-def: $sgpr40_sgpr41
	s_branch .LBB1605_567
.LBB1605_566:                           ;   in Loop: Header=BB1605_567 Depth=1
	s_or_b64 exec, exec, s[42:43]
	s_and_b64 s[8:9], exec, s[34:35]
	s_or_b64 s[26:27], s[8:9], s[26:27]
	s_andn2_b64 s[8:9], s[40:41], exec
	s_and_b64 s[40:41], s[36:37], exec
	s_or_b64 s[40:41], s[8:9], s[40:41]
	s_andn2_b64 s[8:9], s[28:29], exec
	s_and_b64 s[28:29], s[30:31], exec
	;; [unrolled: 3-line block ×3, first 2 shown]
	s_or_b64 s[14:15], s[8:9], s[6:7]
	s_andn2_b64 exec, exec, s[26:27]
	s_cbranch_execz .LBB1605_569
.LBB1605_567:                           ; =>This Inner Loop Header: Depth=1
	global_load_dwordx2 v[20:21], v[8:9], off
	global_load_dwordx2 v[22:23], v[10:11], off
	s_andn2_b64 s[36:37], s[36:37], exec
	s_or_b64 s[30:31], s[30:31], exec
	s_or_b64 s[34:35], s[34:35], exec
	s_waitcnt vmcnt(0)
	v_cmp_le_u64_e64 s[6:7], v[20:21], v[22:23]
	v_cmp_lt_u64_e32 vcc, v[20:21], v[22:23]
	s_and_b64 s[6:7], s[6:7], s[40:41]
	v_cmp_eq_u64_e64 s[8:9], v[20:21], v[22:23]
	s_or_b64 s[6:7], vcc, s[6:7]
	s_and_saveexec_b64 s[42:43], s[8:9]
	s_cbranch_execz .LBB1605_566
; %bb.568:                              ;   in Loop: Header=BB1605_567 Depth=1
	s_add_u32 s38, s38, -1
	s_addc_u32 s39, s39, -1
	v_add_co_u32_e32 v8, vcc, 8, v8
	s_cmp_eq_u64 s[38:39], 0
	v_addc_co_u32_e32 v9, vcc, 0, v9, vcc
	s_cselect_b64 s[8:9], -1, 0
	v_add_co_u32_e32 v10, vcc, 8, v10
	s_andn2_b64 s[36:37], s[36:37], exec
	s_and_b64 s[40:41], s[6:7], exec
	s_andn2_b64 s[34:35], s[34:35], exec
	s_and_b64 s[8:9], s[8:9], exec
	v_addc_co_u32_e32 v11, vcc, 0, v11, vcc
	s_or_b64 s[36:37], s[36:37], s[40:41]
	s_andn2_b64 s[30:31], s[30:31], exec
	s_or_b64 s[34:35], s[34:35], s[8:9]
                                        ; implicit-def: $sgpr40_sgpr41
	s_branch .LBB1605_566
.LBB1605_569:
	s_or_b64 exec, exec, s[26:27]
	s_and_saveexec_b64 s[6:7], s[28:29]
	s_xor_b64 s[6:7], exec, s[6:7]
; %bb.570:
	v_cndmask_b32_e64 v8, v7, v5, s[14:15]
	v_cndmask_b32_e64 v9, v6, v4, s[14:15]
	;; [unrolled: 1-line block ×4, first 2 shown]
	v_mov_b32_e32 v6, v9
	v_mov_b32_e32 v7, v8
; %bb.571:
	s_or_b64 exec, exec, s[6:7]
.LBB1605_572:
	s_or_b64 exec, exec, s[12:13]
	s_and_saveexec_b64 s[12:13], s[10:11]
	s_cbranch_execz .LBB1605_581
; %bb.573:
	s_andn2_b64 vcc, exec, s[22:23]
	s_cbranch_vccnz .LBB1605_581
; %bb.574:
	v_mul_lo_u32 v10, v5, s16
	v_mul_lo_u32 v11, v4, s17
	v_mad_u64_u32 v[8:9], s[6:7], v4, s16, 0
	v_add3_u32 v9, v9, v11, v10
	v_lshlrev_b64 v[8:9], 3, v[8:9]
	v_mov_b32_e32 v10, s19
	v_add_co_u32_e32 v8, vcc, s18, v8
	v_addc_co_u32_e32 v9, vcc, v10, v9, vcc
	v_mul_lo_u32 v19, v3, s16
	v_mul_lo_u32 v20, v2, s17
	v_mad_u64_u32 v[10:11], s[6:7], v2, s16, 0
	v_add3_u32 v11, v11, v20, v19
	v_lshlrev_b64 v[10:11], 3, v[10:11]
	v_mov_b32_e32 v19, s19
	v_add_co_u32_e32 v10, vcc, s18, v10
	v_addc_co_u32_e32 v11, vcc, v19, v11, vcc
	s_mov_b64 s[14:15], 0
	s_mov_b64 s[36:37], s[16:17]
                                        ; implicit-def: $sgpr10_sgpr11
                                        ; implicit-def: $sgpr26_sgpr27
                                        ; implicit-def: $sgpr30_sgpr31
                                        ; implicit-def: $sgpr28_sgpr29
                                        ; implicit-def: $sgpr34_sgpr35
                                        ; implicit-def: $sgpr38_sgpr39
	s_branch .LBB1605_576
.LBB1605_575:                           ;   in Loop: Header=BB1605_576 Depth=1
	s_or_b64 exec, exec, s[40:41]
	s_and_b64 s[8:9], exec, s[30:31]
	s_or_b64 s[14:15], s[8:9], s[14:15]
	s_andn2_b64 s[8:9], s[38:39], exec
	s_and_b64 s[38:39], s[34:35], exec
	s_or_b64 s[38:39], s[8:9], s[38:39]
	s_andn2_b64 s[8:9], s[26:27], exec
	s_and_b64 s[26:27], s[28:29], exec
	;; [unrolled: 3-line block ×3, first 2 shown]
	s_or_b64 s[10:11], s[8:9], s[6:7]
	s_andn2_b64 exec, exec, s[14:15]
	s_cbranch_execz .LBB1605_578
.LBB1605_576:                           ; =>This Inner Loop Header: Depth=1
	global_load_dwordx2 v[20:21], v[8:9], off
	global_load_dwordx2 v[22:23], v[10:11], off
	s_andn2_b64 s[34:35], s[34:35], exec
	s_or_b64 s[28:29], s[28:29], exec
	s_or_b64 s[30:31], s[30:31], exec
	s_waitcnt vmcnt(0)
	v_cmp_le_u64_e64 s[6:7], v[20:21], v[22:23]
	v_cmp_lt_u64_e32 vcc, v[20:21], v[22:23]
	s_and_b64 s[6:7], s[6:7], s[38:39]
	v_cmp_eq_u64_e64 s[8:9], v[20:21], v[22:23]
	s_or_b64 s[6:7], vcc, s[6:7]
	s_and_saveexec_b64 s[40:41], s[8:9]
	s_cbranch_execz .LBB1605_575
; %bb.577:                              ;   in Loop: Header=BB1605_576 Depth=1
	s_add_u32 s36, s36, -1
	s_addc_u32 s37, s37, -1
	v_add_co_u32_e32 v8, vcc, 8, v8
	s_cmp_eq_u64 s[36:37], 0
	v_addc_co_u32_e32 v9, vcc, 0, v9, vcc
	s_cselect_b64 s[8:9], -1, 0
	v_add_co_u32_e32 v10, vcc, 8, v10
	s_andn2_b64 s[34:35], s[34:35], exec
	s_and_b64 s[38:39], s[6:7], exec
	s_andn2_b64 s[30:31], s[30:31], exec
	s_and_b64 s[8:9], s[8:9], exec
	v_addc_co_u32_e32 v11, vcc, 0, v11, vcc
	s_or_b64 s[34:35], s[34:35], s[38:39]
	s_andn2_b64 s[28:29], s[28:29], exec
	s_or_b64 s[30:31], s[30:31], s[8:9]
                                        ; implicit-def: $sgpr38_sgpr39
	s_branch .LBB1605_575
.LBB1605_578:
	s_or_b64 exec, exec, s[14:15]
	s_and_saveexec_b64 s[6:7], s[26:27]
	s_xor_b64 s[6:7], exec, s[6:7]
; %bb.579:
	v_cndmask_b32_e64 v8, v5, v3, s[10:11]
	v_cndmask_b32_e64 v9, v4, v2, s[10:11]
	;; [unrolled: 1-line block ×4, first 2 shown]
	v_mov_b32_e32 v4, v9
	v_mov_b32_e32 v5, v8
; %bb.580:
	s_or_b64 exec, exec, s[6:7]
.LBB1605_581:
	s_or_b64 exec, exec, s[12:13]
	v_mbcnt_lo_u32_b32 v8, -1, 0
	v_mbcnt_hi_u32_b32 v8, -1, v8
	v_and_b32_e32 v9, 0xffffff00, v18
	v_lshlrev_b32_e32 v18, 3, v9
	v_lshlrev_b32_e32 v20, 2, v8
	v_sub_u32_e64 v19, s33, v9 clamp
	v_lshl_add_u32 v21, v8, 5, v18
	v_or_b32_e32 v8, 4, v20
	v_min_u32_e32 v22, v19, v8
	v_add_u32_e32 v8, 4, v22
	v_and_b32_e32 v28, 0x1f8, v20
	v_min_u32_e32 v23, v19, v8
	v_and_b32_e32 v8, 4, v20
	v_min_u32_e32 v29, v19, v8
	v_sub_u32_e32 v8, v22, v28
	v_sub_u32_e32 v9, v23, v22
	v_sub_u32_e64 v25, v29, v9 clamp
	v_min_u32_e32 v30, v29, v8
	v_lshl_add_u32 v24, v28, 3, v18
	v_cmp_lt_u32_e32 vcc, v25, v30
	ds_write_b128 v21, v[0:3]
	ds_write_b128 v21, v[4:7] offset:16
	; wave barrier
	s_and_saveexec_b64 s[12:13], vcc
	s_cbranch_execz .LBB1605_591
; %bb.582:
	v_lshlrev_b32_e32 v8, 3, v22
	v_lshlrev_b32_e32 v9, 3, v29
	v_add3_u32 v31, v18, v8, v9
	v_cndmask_b32_e64 v8, 0, 1, s[22:23]
	s_lshl_b64 s[26:27], s[16:17], 3
	s_mov_b64 s[14:15], 0
	v_cmp_ne_u32_e64 s[6:7], 1, v8
	s_branch .LBB1605_585
.LBB1605_583:                           ;   in Loop: Header=BB1605_585 Depth=1
	s_or_b64 exec, exec, s[30:31]
.LBB1605_584:                           ;   in Loop: Header=BB1605_585 Depth=1
	v_add_u32_e32 v8, 1, v32
	v_cndmask_b32_e64 v30, v30, v32, s[28:29]
	v_cndmask_b32_e64 v25, v8, v25, s[28:29]
	v_cmp_ge_u32_e32 vcc, v25, v30
	s_or_b64 s[14:15], vcc, s[14:15]
	s_andn2_b64 exec, exec, s[14:15]
	s_cbranch_execz .LBB1605_590
.LBB1605_585:                           ; =>This Loop Header: Depth=1
                                        ;     Child Loop BB1605_588 Depth 2
	v_add_u32_e32 v8, v30, v25
	v_lshrrev_b32_e32 v32, 1, v8
	s_and_b64 vcc, exec, s[6:7]
	s_mov_b64 s[28:29], 0
	s_cbranch_vccnz .LBB1605_584
; %bb.586:                              ;   in Loop: Header=BB1605_585 Depth=1
	v_not_b32_e32 v8, v32
	v_lshl_add_u32 v8, v8, 3, v31
	ds_read_b64 v[8:9], v8
	v_lshl_add_u32 v33, v32, 3, v24
	ds_read_b64 v[34:35], v33
	v_pk_mov_b32 v[10:11], s[18:19], s[18:19] op_sel:[0,1]
	s_mov_b64 s[30:31], 0
	s_waitcnt lgkmcnt(1)
	v_mul_lo_u32 v33, s26, v9
	v_mul_lo_u32 v36, s27, v8
	v_mad_u64_u32 v[8:9], s[8:9], s26, v8, v[10:11]
	v_add3_u32 v9, v36, v9, v33
	s_waitcnt lgkmcnt(0)
	v_mul_lo_u32 v33, s26, v35
	v_mul_lo_u32 v35, s27, v34
	v_mad_u64_u32 v[10:11], s[8:9], s26, v34, v[10:11]
	v_add3_u32 v11, v35, v11, v33
	s_mov_b64 s[38:39], s[16:17]
                                        ; implicit-def: $sgpr28_sgpr29
                                        ; implicit-def: $sgpr34_sgpr35
                                        ; implicit-def: $sgpr36_sgpr37
                                        ; implicit-def: $sgpr8_sgpr9
                                        ; implicit-def: $sgpr40_sgpr41
	s_branch .LBB1605_588
.LBB1605_587:                           ;   in Loop: Header=BB1605_588 Depth=2
	s_or_b64 exec, exec, s[42:43]
	s_and_b64 s[10:11], exec, s[34:35]
	s_or_b64 s[30:31], s[10:11], s[30:31]
	s_andn2_b64 s[10:11], s[40:41], exec
	s_and_b64 s[40:41], s[36:37], exec
	s_or_b64 s[40:41], s[10:11], s[40:41]
	s_andn2_b64 s[10:11], s[28:29], exec
	s_and_b64 s[28:29], s[8:9], exec
	s_or_b64 s[28:29], s[10:11], s[28:29]
	s_andn2_b64 exec, exec, s[30:31]
	s_cbranch_execz .LBB1605_583
.LBB1605_588:                           ;   Parent Loop BB1605_585 Depth=1
                                        ; =>  This Inner Loop Header: Depth=2
	global_load_dwordx2 v[34:35], v[8:9], off
	global_load_dwordx2 v[36:37], v[10:11], off
	s_andn2_b64 s[42:43], s[8:9], exec
	s_andn2_b64 s[36:37], s[36:37], exec
	s_or_b64 s[34:35], s[34:35], exec
	s_waitcnt vmcnt(0)
	v_cmp_le_u64_e64 s[8:9], v[34:35], v[36:37]
	v_cmp_lt_u64_e32 vcc, v[34:35], v[36:37]
	s_and_b64 s[8:9], s[8:9], s[40:41]
	s_or_b64 s[44:45], vcc, s[8:9]
	s_and_b64 s[8:9], s[44:45], exec
	v_cmp_eq_u64_e64 s[10:11], v[34:35], v[36:37]
	s_or_b64 s[8:9], s[42:43], s[8:9]
	s_and_saveexec_b64 s[42:43], s[10:11]
	s_cbranch_execz .LBB1605_587
; %bb.589:                              ;   in Loop: Header=BB1605_588 Depth=2
	s_add_u32 s38, s38, -1
	s_addc_u32 s39, s39, -1
	v_add_co_u32_e32 v8, vcc, 8, v8
	s_cmp_eq_u64 s[38:39], 0
	v_addc_co_u32_e32 v9, vcc, 0, v9, vcc
	s_cselect_b64 s[10:11], -1, 0
	v_add_co_u32_e32 v10, vcc, 8, v10
	s_andn2_b64 s[36:37], s[36:37], exec
	s_and_b64 s[40:41], s[44:45], exec
	s_andn2_b64 s[34:35], s[34:35], exec
	s_and_b64 s[10:11], s[10:11], exec
	v_addc_co_u32_e32 v11, vcc, 0, v11, vcc
	s_andn2_b64 s[8:9], s[8:9], exec
	s_or_b64 s[36:37], s[36:37], s[40:41]
	s_or_b64 s[34:35], s[34:35], s[10:11]
                                        ; implicit-def: $sgpr40_sgpr41
	s_branch .LBB1605_587
.LBB1605_590:
	s_or_b64 exec, exec, s[14:15]
.LBB1605_591:
	s_or_b64 exec, exec, s[12:13]
	v_add_u32_e32 v9, v22, v29
	v_add_u32_e32 v8, v25, v28
	v_sub_u32_e32 v9, v9, v25
	v_cmp_le_u32_e32 vcc, v8, v22
	v_cmp_le_u32_e64 s[6:7], v9, v23
	s_or_b64 s[6:7], vcc, s[6:7]
	s_and_saveexec_b64 s[10:11], s[6:7]
	s_cbranch_execz .LBB1605_638
; %bb.592:
	v_cmp_ge_u32_e32 vcc, v8, v22
	v_cmp_lt_u32_e64 s[6:7], v8, v22
                                        ; implicit-def: $vgpr0_vgpr1
	s_and_saveexec_b64 s[8:9], s[6:7]
	s_cbranch_execz .LBB1605_594
; %bb.593:
	v_lshl_add_u32 v0, v25, 3, v24
	ds_read_b64 v[0:1], v0
.LBB1605_594:
	s_or_b64 exec, exec, s[8:9]
	v_cmp_ge_u32_e64 s[12:13], v9, v23
	v_cmp_lt_u32_e64 s[6:7], v9, v23
                                        ; implicit-def: $vgpr2_vgpr3
	s_and_saveexec_b64 s[8:9], s[6:7]
	s_cbranch_execz .LBB1605_596
; %bb.595:
	v_lshl_add_u32 v2, v9, 3, v18
	ds_read_b64 v[2:3], v2
.LBB1605_596:
	s_or_b64 exec, exec, s[8:9]
	s_or_b64 s[6:7], vcc, s[12:13]
	s_mov_b64 s[14:15], -1
	s_xor_b64 s[6:7], s[6:7], -1
	s_and_saveexec_b64 s[26:27], s[6:7]
	s_cbranch_execz .LBB1605_605
; %bb.597:
	s_andn2_b64 vcc, exec, s[22:23]
	s_cbranch_vccnz .LBB1605_603
; %bb.598:
	s_waitcnt lgkmcnt(0)
	v_mul_lo_u32 v6, v3, s16
	v_mul_lo_u32 v7, v2, s17
	v_mad_u64_u32 v[4:5], s[6:7], v2, s16, 0
	v_add3_u32 v5, v5, v7, v6
	v_lshlrev_b64 v[4:5], 3, v[4:5]
	v_mov_b32_e32 v6, s19
	v_add_co_u32_e32 v4, vcc, s18, v4
	v_addc_co_u32_e32 v5, vcc, v6, v5, vcc
	v_mul_lo_u32 v10, v1, s16
	v_mul_lo_u32 v11, v0, s17
	v_mad_u64_u32 v[6:7], s[6:7], v0, s16, 0
	v_add3_u32 v7, v7, v11, v10
	v_lshlrev_b64 v[6:7], 3, v[6:7]
	v_mov_b32_e32 v10, s19
	v_add_co_u32_e32 v6, vcc, s18, v6
	v_addc_co_u32_e32 v7, vcc, v10, v7, vcc
	s_mov_b64 s[28:29], 0
	s_mov_b64 s[38:39], s[16:17]
                                        ; implicit-def: $sgpr30_sgpr31
                                        ; implicit-def: $sgpr34_sgpr35
                                        ; implicit-def: $sgpr6_sgpr7
                                        ; implicit-def: $sgpr36_sgpr37
                                        ; implicit-def: $sgpr40_sgpr41
	s_branch .LBB1605_600
.LBB1605_599:                           ;   in Loop: Header=BB1605_600 Depth=1
	s_or_b64 exec, exec, s[42:43]
	s_and_b64 s[8:9], exec, s[34:35]
	s_or_b64 s[28:29], s[8:9], s[28:29]
	s_andn2_b64 s[8:9], s[40:41], exec
	s_and_b64 s[40:41], s[36:37], exec
	s_or_b64 s[40:41], s[8:9], s[40:41]
	s_andn2_b64 s[8:9], s[30:31], exec
	s_and_b64 s[30:31], s[6:7], exec
	s_or_b64 s[30:31], s[8:9], s[30:31]
	s_andn2_b64 exec, exec, s[28:29]
	s_cbranch_execz .LBB1605_602
.LBB1605_600:                           ; =>This Inner Loop Header: Depth=1
	global_load_dwordx2 v[10:11], v[4:5], off
	global_load_dwordx2 v[24:25], v[6:7], off
	s_andn2_b64 s[42:43], s[6:7], exec
	s_andn2_b64 s[36:37], s[36:37], exec
	s_or_b64 s[34:35], s[34:35], exec
	s_waitcnt vmcnt(0)
	v_cmp_le_u64_e64 s[6:7], v[10:11], v[24:25]
	v_cmp_lt_u64_e32 vcc, v[10:11], v[24:25]
	s_and_b64 s[6:7], s[6:7], s[40:41]
	s_or_b64 s[44:45], vcc, s[6:7]
	s_and_b64 s[6:7], s[44:45], exec
	v_cmp_eq_u64_e64 s[8:9], v[10:11], v[24:25]
	s_or_b64 s[6:7], s[42:43], s[6:7]
	s_and_saveexec_b64 s[42:43], s[8:9]
	s_cbranch_execz .LBB1605_599
; %bb.601:                              ;   in Loop: Header=BB1605_600 Depth=1
	s_add_u32 s38, s38, -1
	s_addc_u32 s39, s39, -1
	v_add_co_u32_e32 v4, vcc, 8, v4
	s_cmp_eq_u64 s[38:39], 0
	v_addc_co_u32_e32 v5, vcc, 0, v5, vcc
	s_cselect_b64 s[8:9], -1, 0
	v_add_co_u32_e32 v6, vcc, 8, v6
	s_andn2_b64 s[36:37], s[36:37], exec
	s_and_b64 s[40:41], s[44:45], exec
	s_andn2_b64 s[34:35], s[34:35], exec
	s_and_b64 s[8:9], s[8:9], exec
	v_addc_co_u32_e32 v7, vcc, 0, v7, vcc
	s_or_b64 s[36:37], s[36:37], s[40:41]
	s_andn2_b64 s[6:7], s[6:7], exec
	s_or_b64 s[34:35], s[34:35], s[8:9]
                                        ; implicit-def: $sgpr40_sgpr41
	s_branch .LBB1605_599
.LBB1605_602:
	s_or_b64 exec, exec, s[28:29]
	s_xor_b64 s[6:7], s[30:31], -1
	s_branch .LBB1605_604
.LBB1605_603:
	s_mov_b64 s[6:7], -1
.LBB1605_604:
	s_andn2_b64 s[8:9], s[12:13], exec
	s_and_b64 s[6:7], s[6:7], exec
	s_or_b64 s[12:13], s[8:9], s[6:7]
.LBB1605_605:
	s_or_b64 exec, exec, s[26:27]
	v_cndmask_b32_e64 v4, v9, v8, s[12:13]
	v_cndmask_b32_e64 v5, v23, v22, s[12:13]
	v_add_u32_e32 v6, 1, v4
	v_add_u32_e32 v4, -1, v5
	v_min_u32_e32 v4, v6, v4
	v_lshl_add_u32 v4, v4, 3, v18
	ds_read_b64 v[4:5], v4
	v_cndmask_b32_e64 v9, v6, v9, s[12:13]
	v_cndmask_b32_e64 v8, v8, v6, s[12:13]
	v_cmp_lt_u32_e32 vcc, v9, v23
	s_waitcnt lgkmcnt(0)
	v_cndmask_b32_e64 v24, v5, v3, s[12:13]
	v_cndmask_b32_e64 v25, v4, v2, s[12:13]
	;; [unrolled: 1-line block ×4, first 2 shown]
	s_and_saveexec_b64 s[26:27], vcc
	s_cbranch_execz .LBB1605_616
; %bb.606:
	v_cmp_lt_u32_e32 vcc, v8, v22
	s_mov_b64 s[6:7], 0
	s_and_saveexec_b64 s[14:15], vcc
	s_cbranch_execz .LBB1605_615
; %bb.607:
	s_andn2_b64 vcc, exec, s[22:23]
	s_cbranch_vccnz .LBB1605_613
; %bb.608:
	v_mul_lo_u32 v6, v24, s16
	v_mul_lo_u32 v7, v25, s17
	v_mad_u64_u32 v[4:5], s[6:7], v25, s16, 0
	v_add3_u32 v5, v5, v7, v6
	v_lshlrev_b64 v[4:5], 3, v[4:5]
	v_mov_b32_e32 v6, s19
	v_add_co_u32_e32 v4, vcc, s18, v4
	v_addc_co_u32_e32 v5, vcc, v6, v5, vcc
	v_mul_lo_u32 v10, v28, s16
	v_mul_lo_u32 v11, v29, s17
	v_mad_u64_u32 v[6:7], s[6:7], v29, s16, 0
	v_add3_u32 v7, v7, v11, v10
	v_lshlrev_b64 v[6:7], 3, v[6:7]
	v_mov_b32_e32 v10, s19
	v_add_co_u32_e32 v6, vcc, s18, v6
	v_addc_co_u32_e32 v7, vcc, v10, v7, vcc
	s_mov_b64 s[28:29], 0
	s_mov_b64 s[38:39], s[16:17]
                                        ; implicit-def: $sgpr30_sgpr31
                                        ; implicit-def: $sgpr34_sgpr35
                                        ; implicit-def: $sgpr6_sgpr7
                                        ; implicit-def: $sgpr36_sgpr37
                                        ; implicit-def: $sgpr40_sgpr41
	s_branch .LBB1605_610
.LBB1605_609:                           ;   in Loop: Header=BB1605_610 Depth=1
	s_or_b64 exec, exec, s[42:43]
	s_and_b64 s[8:9], exec, s[34:35]
	s_or_b64 s[28:29], s[8:9], s[28:29]
	s_andn2_b64 s[8:9], s[40:41], exec
	s_and_b64 s[40:41], s[36:37], exec
	s_or_b64 s[40:41], s[8:9], s[40:41]
	s_andn2_b64 s[8:9], s[30:31], exec
	s_and_b64 s[30:31], s[6:7], exec
	s_or_b64 s[30:31], s[8:9], s[30:31]
	s_andn2_b64 exec, exec, s[28:29]
	s_cbranch_execz .LBB1605_612
.LBB1605_610:                           ; =>This Inner Loop Header: Depth=1
	global_load_dwordx2 v[10:11], v[4:5], off
	global_load_dwordx2 v[30:31], v[6:7], off
	s_andn2_b64 s[42:43], s[6:7], exec
	s_andn2_b64 s[36:37], s[36:37], exec
	s_or_b64 s[34:35], s[34:35], exec
	s_waitcnt vmcnt(0)
	v_cmp_le_u64_e64 s[6:7], v[10:11], v[30:31]
	v_cmp_lt_u64_e32 vcc, v[10:11], v[30:31]
	s_and_b64 s[6:7], s[6:7], s[40:41]
	s_or_b64 s[44:45], vcc, s[6:7]
	s_and_b64 s[6:7], s[44:45], exec
	v_cmp_eq_u64_e64 s[8:9], v[10:11], v[30:31]
	s_or_b64 s[6:7], s[42:43], s[6:7]
	s_and_saveexec_b64 s[42:43], s[8:9]
	s_cbranch_execz .LBB1605_609
; %bb.611:                              ;   in Loop: Header=BB1605_610 Depth=1
	s_add_u32 s38, s38, -1
	s_addc_u32 s39, s39, -1
	v_add_co_u32_e32 v4, vcc, 8, v4
	s_cmp_eq_u64 s[38:39], 0
	v_addc_co_u32_e32 v5, vcc, 0, v5, vcc
	s_cselect_b64 s[8:9], -1, 0
	v_add_co_u32_e32 v6, vcc, 8, v6
	s_andn2_b64 s[36:37], s[36:37], exec
	s_and_b64 s[40:41], s[44:45], exec
	s_andn2_b64 s[34:35], s[34:35], exec
	s_and_b64 s[8:9], s[8:9], exec
	v_addc_co_u32_e32 v7, vcc, 0, v7, vcc
	s_or_b64 s[36:37], s[36:37], s[40:41]
	s_andn2_b64 s[6:7], s[6:7], exec
	s_or_b64 s[34:35], s[34:35], s[8:9]
                                        ; implicit-def: $sgpr40_sgpr41
	s_branch .LBB1605_609
.LBB1605_612:
	s_or_b64 exec, exec, s[28:29]
	s_xor_b64 s[6:7], s[30:31], -1
	s_branch .LBB1605_614
.LBB1605_613:
	s_mov_b64 s[6:7], -1
.LBB1605_614:
	s_and_b64 s[6:7], s[6:7], exec
.LBB1605_615:
	s_or_b64 exec, exec, s[14:15]
	s_orn2_b64 s[14:15], s[6:7], exec
.LBB1605_616:
	s_or_b64 exec, exec, s[26:27]
	v_cndmask_b32_e64 v4, v9, v8, s[14:15]
	v_cndmask_b32_e64 v5, v23, v22, s[14:15]
	v_add_u32_e32 v6, 1, v4
	v_add_u32_e32 v4, -1, v5
	v_min_u32_e32 v4, v6, v4
	v_lshl_add_u32 v4, v4, 3, v18
	ds_read_b64 v[4:5], v4
	v_cndmask_b32_e64 v9, v6, v9, s[14:15]
	v_cndmask_b32_e64 v8, v8, v6, s[14:15]
	v_cmp_lt_u32_e32 vcc, v9, v23
	s_mov_b64 s[26:27], -1
	s_waitcnt lgkmcnt(0)
	v_cndmask_b32_e64 v30, v5, v24, s[14:15]
	v_cndmask_b32_e64 v31, v4, v25, s[14:15]
	;; [unrolled: 1-line block ×4, first 2 shown]
	s_and_saveexec_b64 s[28:29], vcc
	s_cbranch_execz .LBB1605_627
; %bb.617:
	v_cmp_lt_u32_e32 vcc, v8, v22
	s_mov_b64 s[6:7], 0
	s_and_saveexec_b64 s[26:27], vcc
	s_cbranch_execz .LBB1605_626
; %bb.618:
	s_andn2_b64 vcc, exec, s[22:23]
	s_cbranch_vccnz .LBB1605_624
; %bb.619:
	v_mul_lo_u32 v6, v30, s16
	v_mul_lo_u32 v7, v31, s17
	v_mad_u64_u32 v[4:5], s[6:7], v31, s16, 0
	v_add3_u32 v5, v5, v7, v6
	v_lshlrev_b64 v[4:5], 3, v[4:5]
	v_mov_b32_e32 v6, s19
	v_add_co_u32_e32 v4, vcc, s18, v4
	v_addc_co_u32_e32 v5, vcc, v6, v5, vcc
	v_mul_lo_u32 v10, v32, s16
	v_mul_lo_u32 v11, v33, s17
	v_mad_u64_u32 v[6:7], s[6:7], v33, s16, 0
	v_add3_u32 v7, v7, v11, v10
	v_lshlrev_b64 v[6:7], 3, v[6:7]
	v_mov_b32_e32 v10, s19
	v_add_co_u32_e32 v6, vcc, s18, v6
	v_addc_co_u32_e32 v7, vcc, v10, v7, vcc
	s_mov_b64 s[30:31], 0
	s_mov_b64 s[40:41], s[16:17]
                                        ; implicit-def: $sgpr34_sgpr35
                                        ; implicit-def: $sgpr36_sgpr37
                                        ; implicit-def: $sgpr6_sgpr7
                                        ; implicit-def: $sgpr38_sgpr39
                                        ; implicit-def: $sgpr42_sgpr43
	s_branch .LBB1605_621
.LBB1605_620:                           ;   in Loop: Header=BB1605_621 Depth=1
	s_or_b64 exec, exec, s[44:45]
	s_and_b64 s[8:9], exec, s[36:37]
	s_or_b64 s[30:31], s[8:9], s[30:31]
	s_andn2_b64 s[8:9], s[42:43], exec
	s_and_b64 s[42:43], s[38:39], exec
	s_or_b64 s[42:43], s[8:9], s[42:43]
	s_andn2_b64 s[8:9], s[34:35], exec
	s_and_b64 s[34:35], s[6:7], exec
	s_or_b64 s[34:35], s[8:9], s[34:35]
	s_andn2_b64 exec, exec, s[30:31]
	s_cbranch_execz .LBB1605_623
.LBB1605_621:                           ; =>This Inner Loop Header: Depth=1
	global_load_dwordx2 v[10:11], v[4:5], off
	global_load_dwordx2 v[34:35], v[6:7], off
	s_andn2_b64 s[44:45], s[6:7], exec
	s_andn2_b64 s[38:39], s[38:39], exec
	s_or_b64 s[36:37], s[36:37], exec
	s_waitcnt vmcnt(0)
	v_cmp_le_u64_e64 s[6:7], v[10:11], v[34:35]
	v_cmp_lt_u64_e32 vcc, v[10:11], v[34:35]
	s_and_b64 s[6:7], s[6:7], s[42:43]
	s_or_b64 s[46:47], vcc, s[6:7]
	s_and_b64 s[6:7], s[46:47], exec
	v_cmp_eq_u64_e64 s[8:9], v[10:11], v[34:35]
	s_or_b64 s[6:7], s[44:45], s[6:7]
	s_and_saveexec_b64 s[44:45], s[8:9]
	s_cbranch_execz .LBB1605_620
; %bb.622:                              ;   in Loop: Header=BB1605_621 Depth=1
	s_add_u32 s40, s40, -1
	s_addc_u32 s41, s41, -1
	v_add_co_u32_e32 v4, vcc, 8, v4
	s_cmp_eq_u64 s[40:41], 0
	v_addc_co_u32_e32 v5, vcc, 0, v5, vcc
	s_cselect_b64 s[8:9], -1, 0
	v_add_co_u32_e32 v6, vcc, 8, v6
	s_andn2_b64 s[38:39], s[38:39], exec
	s_and_b64 s[42:43], s[46:47], exec
	s_andn2_b64 s[36:37], s[36:37], exec
	s_and_b64 s[8:9], s[8:9], exec
	v_addc_co_u32_e32 v7, vcc, 0, v7, vcc
	s_or_b64 s[38:39], s[38:39], s[42:43]
	s_andn2_b64 s[6:7], s[6:7], exec
	s_or_b64 s[36:37], s[36:37], s[8:9]
                                        ; implicit-def: $sgpr42_sgpr43
	s_branch .LBB1605_620
.LBB1605_623:
	s_or_b64 exec, exec, s[30:31]
	s_xor_b64 s[6:7], s[34:35], -1
	s_branch .LBB1605_625
.LBB1605_624:
	s_mov_b64 s[6:7], -1
.LBB1605_625:
	s_and_b64 s[6:7], s[6:7], exec
.LBB1605_626:
	s_or_b64 exec, exec, s[26:27]
	s_orn2_b64 s[26:27], s[6:7], exec
.LBB1605_627:
	s_or_b64 exec, exec, s[28:29]
	v_cndmask_b32_e64 v4, v9, v8, s[26:27]
	v_cndmask_b32_e64 v5, v23, v22, s[26:27]
	v_add_u32_e32 v10, 1, v4
	v_add_u32_e32 v4, -1, v5
	v_min_u32_e32 v4, v10, v4
	v_lshl_add_u32 v4, v4, 3, v18
	ds_read_b64 v[4:5], v4
	v_cndmask_b32_e64 v9, v10, v9, s[26:27]
	v_cmp_lt_u32_e32 vcc, v9, v23
	s_waitcnt lgkmcnt(0)
	v_cndmask_b32_e64 v7, v32, v5, s[26:27]
	v_cndmask_b32_e64 v6, v33, v4, s[26:27]
	s_and_saveexec_b64 s[28:29], vcc
	s_cbranch_execz .LBB1605_637
; %bb.628:
	v_cndmask_b32_e64 v8, v8, v10, s[26:27]
	v_cndmask_b32_e64 v5, v5, v30, s[26:27]
	;; [unrolled: 1-line block ×3, first 2 shown]
	v_cmp_lt_u32_e32 vcc, v8, v22
	s_and_saveexec_b64 s[30:31], vcc
	s_cbranch_execz .LBB1605_636
; %bb.629:
	s_andn2_b64 vcc, exec, s[22:23]
	s_cbranch_vccnz .LBB1605_635
; %bb.630:
	v_mul_lo_u32 v10, v5, s16
	v_mul_lo_u32 v11, v4, s17
	v_mad_u64_u32 v[8:9], s[6:7], v4, s16, 0
	v_add3_u32 v9, v9, v11, v10
	v_lshlrev_b64 v[8:9], 3, v[8:9]
	v_mov_b32_e32 v10, s19
	v_add_co_u32_e32 v8, vcc, s18, v8
	v_addc_co_u32_e32 v9, vcc, v10, v9, vcc
	v_mul_lo_u32 v22, v7, s16
	v_mul_lo_u32 v23, v6, s17
	v_mad_u64_u32 v[10:11], s[6:7], v6, s16, 0
	v_add3_u32 v11, v11, v23, v22
	v_lshlrev_b64 v[10:11], 3, v[10:11]
	v_mov_b32_e32 v22, s19
	v_add_co_u32_e32 v10, vcc, s18, v10
	v_addc_co_u32_e32 v11, vcc, v22, v11, vcc
	s_mov_b64 s[34:35], 0
	s_mov_b64 s[42:43], s[16:17]
                                        ; implicit-def: $sgpr36_sgpr37
                                        ; implicit-def: $sgpr38_sgpr39
                                        ; implicit-def: $sgpr6_sgpr7
                                        ; implicit-def: $sgpr40_sgpr41
                                        ; implicit-def: $sgpr44_sgpr45
	s_branch .LBB1605_632
.LBB1605_631:                           ;   in Loop: Header=BB1605_632 Depth=1
	s_or_b64 exec, exec, s[46:47]
	s_and_b64 s[8:9], exec, s[38:39]
	s_or_b64 s[34:35], s[8:9], s[34:35]
	s_andn2_b64 s[8:9], s[44:45], exec
	s_and_b64 s[44:45], s[40:41], exec
	s_or_b64 s[44:45], s[8:9], s[44:45]
	s_andn2_b64 s[8:9], s[36:37], exec
	s_and_b64 s[36:37], s[6:7], exec
	s_or_b64 s[36:37], s[8:9], s[36:37]
	s_andn2_b64 exec, exec, s[34:35]
	s_cbranch_execz .LBB1605_634
.LBB1605_632:                           ; =>This Inner Loop Header: Depth=1
	global_load_dwordx2 v[22:23], v[8:9], off
	global_load_dwordx2 v[34:35], v[10:11], off
	s_andn2_b64 s[46:47], s[6:7], exec
	s_andn2_b64 s[40:41], s[40:41], exec
	s_or_b64 s[38:39], s[38:39], exec
	s_waitcnt vmcnt(0)
	v_cmp_le_u64_e64 s[6:7], v[22:23], v[34:35]
	v_cmp_lt_u64_e32 vcc, v[22:23], v[34:35]
	s_and_b64 s[6:7], s[6:7], s[44:45]
	s_or_b64 s[48:49], vcc, s[6:7]
	s_and_b64 s[6:7], s[48:49], exec
	v_cmp_eq_u64_e64 s[8:9], v[22:23], v[34:35]
	s_or_b64 s[6:7], s[46:47], s[6:7]
	s_and_saveexec_b64 s[46:47], s[8:9]
	s_cbranch_execz .LBB1605_631
; %bb.633:                              ;   in Loop: Header=BB1605_632 Depth=1
	s_add_u32 s42, s42, -1
	s_addc_u32 s43, s43, -1
	v_add_co_u32_e32 v8, vcc, 8, v8
	s_cmp_eq_u64 s[42:43], 0
	v_addc_co_u32_e32 v9, vcc, 0, v9, vcc
	s_cselect_b64 s[8:9], -1, 0
	v_add_co_u32_e32 v10, vcc, 8, v10
	s_andn2_b64 s[40:41], s[40:41], exec
	s_and_b64 s[44:45], s[48:49], exec
	s_andn2_b64 s[38:39], s[38:39], exec
	s_and_b64 s[8:9], s[8:9], exec
	v_addc_co_u32_e32 v11, vcc, 0, v11, vcc
	s_or_b64 s[40:41], s[40:41], s[44:45]
	s_andn2_b64 s[6:7], s[6:7], exec
	s_or_b64 s[38:39], s[38:39], s[8:9]
                                        ; implicit-def: $sgpr44_sgpr45
	s_branch .LBB1605_631
.LBB1605_634:
	s_or_b64 exec, exec, s[34:35]
	v_cndmask_b32_e64 v7, v7, v5, s[36:37]
	v_cndmask_b32_e64 v6, v6, v4, s[36:37]
.LBB1605_635:
	v_pk_mov_b32 v[4:5], v[6:7], v[6:7] op_sel:[0,1]
.LBB1605_636:
	s_or_b64 exec, exec, s[30:31]
	v_pk_mov_b32 v[6:7], v[4:5], v[4:5] op_sel:[0,1]
.LBB1605_637:
	s_or_b64 exec, exec, s[28:29]
	v_cndmask_b32_e64 v1, v3, v1, s[12:13]
	v_cndmask_b32_e64 v0, v2, v0, s[12:13]
	;; [unrolled: 1-line block ×6, first 2 shown]
.LBB1605_638:
	s_or_b64 exec, exec, s[10:11]
	v_and_b32_e32 v28, 0x1f0, v20
	v_or_b32_e32 v8, 8, v28
	v_min_u32_e32 v22, v19, v8
	v_add_u32_e32 v8, 8, v22
	v_min_u32_e32 v23, v19, v8
	v_and_b32_e32 v8, 12, v20
	v_min_u32_e32 v29, v19, v8
	v_sub_u32_e32 v8, v22, v28
	v_sub_u32_e32 v9, v23, v22
	v_sub_u32_e64 v25, v29, v9 clamp
	v_min_u32_e32 v30, v29, v8
	v_lshl_add_u32 v24, v28, 3, v18
	v_cmp_lt_u32_e32 vcc, v25, v30
	; wave barrier
	ds_write_b128 v21, v[0:3]
	ds_write_b128 v21, v[4:7] offset:16
	; wave barrier
	s_and_saveexec_b64 s[12:13], vcc
	s_cbranch_execz .LBB1605_648
; %bb.639:
	v_lshlrev_b32_e32 v8, 3, v22
	v_lshlrev_b32_e32 v9, 3, v29
	v_add3_u32 v31, v18, v8, v9
	v_cndmask_b32_e64 v8, 0, 1, s[22:23]
	s_lshl_b64 s[26:27], s[16:17], 3
	s_mov_b64 s[14:15], 0
	v_cmp_ne_u32_e64 s[6:7], 1, v8
	s_branch .LBB1605_642
.LBB1605_640:                           ;   in Loop: Header=BB1605_642 Depth=1
	s_or_b64 exec, exec, s[30:31]
.LBB1605_641:                           ;   in Loop: Header=BB1605_642 Depth=1
	v_add_u32_e32 v8, 1, v32
	v_cndmask_b32_e64 v30, v30, v32, s[28:29]
	v_cndmask_b32_e64 v25, v8, v25, s[28:29]
	v_cmp_ge_u32_e32 vcc, v25, v30
	s_or_b64 s[14:15], vcc, s[14:15]
	s_andn2_b64 exec, exec, s[14:15]
	s_cbranch_execz .LBB1605_647
.LBB1605_642:                           ; =>This Loop Header: Depth=1
                                        ;     Child Loop BB1605_645 Depth 2
	v_add_u32_e32 v8, v30, v25
	v_lshrrev_b32_e32 v32, 1, v8
	s_and_b64 vcc, exec, s[6:7]
	s_mov_b64 s[28:29], 0
	s_cbranch_vccnz .LBB1605_641
; %bb.643:                              ;   in Loop: Header=BB1605_642 Depth=1
	v_not_b32_e32 v8, v32
	v_lshl_add_u32 v8, v8, 3, v31
	ds_read_b64 v[8:9], v8
	v_lshl_add_u32 v33, v32, 3, v24
	ds_read_b64 v[34:35], v33
	v_pk_mov_b32 v[10:11], s[18:19], s[18:19] op_sel:[0,1]
	s_mov_b64 s[30:31], 0
	s_waitcnt lgkmcnt(1)
	v_mul_lo_u32 v33, s26, v9
	v_mul_lo_u32 v36, s27, v8
	v_mad_u64_u32 v[8:9], s[8:9], s26, v8, v[10:11]
	v_add3_u32 v9, v36, v9, v33
	s_waitcnt lgkmcnt(0)
	v_mul_lo_u32 v33, s26, v35
	v_mul_lo_u32 v35, s27, v34
	v_mad_u64_u32 v[10:11], s[8:9], s26, v34, v[10:11]
	v_add3_u32 v11, v35, v11, v33
	s_mov_b64 s[38:39], s[16:17]
                                        ; implicit-def: $sgpr28_sgpr29
                                        ; implicit-def: $sgpr34_sgpr35
                                        ; implicit-def: $sgpr36_sgpr37
                                        ; implicit-def: $sgpr8_sgpr9
                                        ; implicit-def: $sgpr40_sgpr41
	s_branch .LBB1605_645
.LBB1605_644:                           ;   in Loop: Header=BB1605_645 Depth=2
	s_or_b64 exec, exec, s[42:43]
	s_and_b64 s[10:11], exec, s[34:35]
	s_or_b64 s[30:31], s[10:11], s[30:31]
	s_andn2_b64 s[10:11], s[40:41], exec
	s_and_b64 s[40:41], s[36:37], exec
	s_or_b64 s[40:41], s[10:11], s[40:41]
	s_andn2_b64 s[10:11], s[28:29], exec
	s_and_b64 s[28:29], s[8:9], exec
	s_or_b64 s[28:29], s[10:11], s[28:29]
	s_andn2_b64 exec, exec, s[30:31]
	s_cbranch_execz .LBB1605_640
.LBB1605_645:                           ;   Parent Loop BB1605_642 Depth=1
                                        ; =>  This Inner Loop Header: Depth=2
	global_load_dwordx2 v[34:35], v[8:9], off
	global_load_dwordx2 v[36:37], v[10:11], off
	s_andn2_b64 s[42:43], s[8:9], exec
	s_andn2_b64 s[36:37], s[36:37], exec
	s_or_b64 s[34:35], s[34:35], exec
	s_waitcnt vmcnt(0)
	v_cmp_le_u64_e64 s[8:9], v[34:35], v[36:37]
	v_cmp_lt_u64_e32 vcc, v[34:35], v[36:37]
	s_and_b64 s[8:9], s[8:9], s[40:41]
	s_or_b64 s[44:45], vcc, s[8:9]
	s_and_b64 s[8:9], s[44:45], exec
	v_cmp_eq_u64_e64 s[10:11], v[34:35], v[36:37]
	s_or_b64 s[8:9], s[42:43], s[8:9]
	s_and_saveexec_b64 s[42:43], s[10:11]
	s_cbranch_execz .LBB1605_644
; %bb.646:                              ;   in Loop: Header=BB1605_645 Depth=2
	s_add_u32 s38, s38, -1
	s_addc_u32 s39, s39, -1
	v_add_co_u32_e32 v8, vcc, 8, v8
	s_cmp_eq_u64 s[38:39], 0
	v_addc_co_u32_e32 v9, vcc, 0, v9, vcc
	s_cselect_b64 s[10:11], -1, 0
	v_add_co_u32_e32 v10, vcc, 8, v10
	s_andn2_b64 s[36:37], s[36:37], exec
	s_and_b64 s[40:41], s[44:45], exec
	s_andn2_b64 s[34:35], s[34:35], exec
	s_and_b64 s[10:11], s[10:11], exec
	v_addc_co_u32_e32 v11, vcc, 0, v11, vcc
	s_andn2_b64 s[8:9], s[8:9], exec
	s_or_b64 s[36:37], s[36:37], s[40:41]
	s_or_b64 s[34:35], s[34:35], s[10:11]
                                        ; implicit-def: $sgpr40_sgpr41
	s_branch .LBB1605_644
.LBB1605_647:
	s_or_b64 exec, exec, s[14:15]
.LBB1605_648:
	s_or_b64 exec, exec, s[12:13]
	v_add_u32_e32 v9, v22, v29
	v_add_u32_e32 v8, v25, v28
	v_sub_u32_e32 v9, v9, v25
	v_cmp_le_u32_e32 vcc, v8, v22
	v_cmp_le_u32_e64 s[6:7], v9, v23
	s_or_b64 s[6:7], vcc, s[6:7]
	s_and_saveexec_b64 s[10:11], s[6:7]
	s_cbranch_execz .LBB1605_695
; %bb.649:
	v_cmp_ge_u32_e32 vcc, v8, v22
	v_cmp_lt_u32_e64 s[6:7], v8, v22
                                        ; implicit-def: $vgpr0_vgpr1
	s_and_saveexec_b64 s[8:9], s[6:7]
	s_cbranch_execz .LBB1605_651
; %bb.650:
	v_lshl_add_u32 v0, v25, 3, v24
	ds_read_b64 v[0:1], v0
.LBB1605_651:
	s_or_b64 exec, exec, s[8:9]
	v_cmp_ge_u32_e64 s[12:13], v9, v23
	v_cmp_lt_u32_e64 s[6:7], v9, v23
                                        ; implicit-def: $vgpr2_vgpr3
	s_and_saveexec_b64 s[8:9], s[6:7]
	s_cbranch_execz .LBB1605_653
; %bb.652:
	v_lshl_add_u32 v2, v9, 3, v18
	ds_read_b64 v[2:3], v2
.LBB1605_653:
	s_or_b64 exec, exec, s[8:9]
	s_or_b64 s[6:7], vcc, s[12:13]
	s_mov_b64 s[14:15], -1
	s_xor_b64 s[6:7], s[6:7], -1
	s_and_saveexec_b64 s[26:27], s[6:7]
	s_cbranch_execz .LBB1605_662
; %bb.654:
	s_andn2_b64 vcc, exec, s[22:23]
	s_cbranch_vccnz .LBB1605_660
; %bb.655:
	s_waitcnt lgkmcnt(0)
	v_mul_lo_u32 v6, v3, s16
	v_mul_lo_u32 v7, v2, s17
	v_mad_u64_u32 v[4:5], s[6:7], v2, s16, 0
	v_add3_u32 v5, v5, v7, v6
	v_lshlrev_b64 v[4:5], 3, v[4:5]
	v_mov_b32_e32 v6, s19
	v_add_co_u32_e32 v4, vcc, s18, v4
	v_addc_co_u32_e32 v5, vcc, v6, v5, vcc
	v_mul_lo_u32 v10, v1, s16
	v_mul_lo_u32 v11, v0, s17
	v_mad_u64_u32 v[6:7], s[6:7], v0, s16, 0
	v_add3_u32 v7, v7, v11, v10
	v_lshlrev_b64 v[6:7], 3, v[6:7]
	v_mov_b32_e32 v10, s19
	v_add_co_u32_e32 v6, vcc, s18, v6
	v_addc_co_u32_e32 v7, vcc, v10, v7, vcc
	s_mov_b64 s[28:29], 0
	s_mov_b64 s[38:39], s[16:17]
                                        ; implicit-def: $sgpr30_sgpr31
                                        ; implicit-def: $sgpr34_sgpr35
                                        ; implicit-def: $sgpr6_sgpr7
                                        ; implicit-def: $sgpr36_sgpr37
                                        ; implicit-def: $sgpr40_sgpr41
	s_branch .LBB1605_657
.LBB1605_656:                           ;   in Loop: Header=BB1605_657 Depth=1
	s_or_b64 exec, exec, s[42:43]
	s_and_b64 s[8:9], exec, s[34:35]
	s_or_b64 s[28:29], s[8:9], s[28:29]
	s_andn2_b64 s[8:9], s[40:41], exec
	s_and_b64 s[40:41], s[36:37], exec
	s_or_b64 s[40:41], s[8:9], s[40:41]
	s_andn2_b64 s[8:9], s[30:31], exec
	s_and_b64 s[30:31], s[6:7], exec
	s_or_b64 s[30:31], s[8:9], s[30:31]
	s_andn2_b64 exec, exec, s[28:29]
	s_cbranch_execz .LBB1605_659
.LBB1605_657:                           ; =>This Inner Loop Header: Depth=1
	global_load_dwordx2 v[10:11], v[4:5], off
	global_load_dwordx2 v[24:25], v[6:7], off
	s_andn2_b64 s[42:43], s[6:7], exec
	s_andn2_b64 s[36:37], s[36:37], exec
	s_or_b64 s[34:35], s[34:35], exec
	s_waitcnt vmcnt(0)
	v_cmp_le_u64_e64 s[6:7], v[10:11], v[24:25]
	v_cmp_lt_u64_e32 vcc, v[10:11], v[24:25]
	s_and_b64 s[6:7], s[6:7], s[40:41]
	s_or_b64 s[44:45], vcc, s[6:7]
	s_and_b64 s[6:7], s[44:45], exec
	v_cmp_eq_u64_e64 s[8:9], v[10:11], v[24:25]
	s_or_b64 s[6:7], s[42:43], s[6:7]
	s_and_saveexec_b64 s[42:43], s[8:9]
	s_cbranch_execz .LBB1605_656
; %bb.658:                              ;   in Loop: Header=BB1605_657 Depth=1
	s_add_u32 s38, s38, -1
	s_addc_u32 s39, s39, -1
	v_add_co_u32_e32 v4, vcc, 8, v4
	s_cmp_eq_u64 s[38:39], 0
	v_addc_co_u32_e32 v5, vcc, 0, v5, vcc
	s_cselect_b64 s[8:9], -1, 0
	v_add_co_u32_e32 v6, vcc, 8, v6
	s_andn2_b64 s[36:37], s[36:37], exec
	s_and_b64 s[40:41], s[44:45], exec
	s_andn2_b64 s[34:35], s[34:35], exec
	s_and_b64 s[8:9], s[8:9], exec
	v_addc_co_u32_e32 v7, vcc, 0, v7, vcc
	s_or_b64 s[36:37], s[36:37], s[40:41]
	s_andn2_b64 s[6:7], s[6:7], exec
	s_or_b64 s[34:35], s[34:35], s[8:9]
                                        ; implicit-def: $sgpr40_sgpr41
	s_branch .LBB1605_656
.LBB1605_659:
	s_or_b64 exec, exec, s[28:29]
	s_xor_b64 s[6:7], s[30:31], -1
	s_branch .LBB1605_661
.LBB1605_660:
	s_mov_b64 s[6:7], -1
.LBB1605_661:
	s_andn2_b64 s[8:9], s[12:13], exec
	s_and_b64 s[6:7], s[6:7], exec
	s_or_b64 s[12:13], s[8:9], s[6:7]
.LBB1605_662:
	s_or_b64 exec, exec, s[26:27]
	v_cndmask_b32_e64 v4, v9, v8, s[12:13]
	v_cndmask_b32_e64 v5, v23, v22, s[12:13]
	v_add_u32_e32 v6, 1, v4
	v_add_u32_e32 v4, -1, v5
	v_min_u32_e32 v4, v6, v4
	v_lshl_add_u32 v4, v4, 3, v18
	ds_read_b64 v[4:5], v4
	v_cndmask_b32_e64 v9, v6, v9, s[12:13]
	v_cndmask_b32_e64 v8, v8, v6, s[12:13]
	v_cmp_lt_u32_e32 vcc, v9, v23
	s_waitcnt lgkmcnt(0)
	v_cndmask_b32_e64 v24, v5, v3, s[12:13]
	v_cndmask_b32_e64 v25, v4, v2, s[12:13]
	;; [unrolled: 1-line block ×4, first 2 shown]
	s_and_saveexec_b64 s[26:27], vcc
	s_cbranch_execz .LBB1605_673
; %bb.663:
	v_cmp_lt_u32_e32 vcc, v8, v22
	s_mov_b64 s[6:7], 0
	s_and_saveexec_b64 s[14:15], vcc
	s_cbranch_execz .LBB1605_672
; %bb.664:
	s_andn2_b64 vcc, exec, s[22:23]
	s_cbranch_vccnz .LBB1605_670
; %bb.665:
	v_mul_lo_u32 v6, v24, s16
	v_mul_lo_u32 v7, v25, s17
	v_mad_u64_u32 v[4:5], s[6:7], v25, s16, 0
	v_add3_u32 v5, v5, v7, v6
	v_lshlrev_b64 v[4:5], 3, v[4:5]
	v_mov_b32_e32 v6, s19
	v_add_co_u32_e32 v4, vcc, s18, v4
	v_addc_co_u32_e32 v5, vcc, v6, v5, vcc
	v_mul_lo_u32 v10, v28, s16
	v_mul_lo_u32 v11, v29, s17
	v_mad_u64_u32 v[6:7], s[6:7], v29, s16, 0
	v_add3_u32 v7, v7, v11, v10
	v_lshlrev_b64 v[6:7], 3, v[6:7]
	v_mov_b32_e32 v10, s19
	v_add_co_u32_e32 v6, vcc, s18, v6
	v_addc_co_u32_e32 v7, vcc, v10, v7, vcc
	s_mov_b64 s[28:29], 0
	s_mov_b64 s[38:39], s[16:17]
                                        ; implicit-def: $sgpr30_sgpr31
                                        ; implicit-def: $sgpr34_sgpr35
                                        ; implicit-def: $sgpr6_sgpr7
                                        ; implicit-def: $sgpr36_sgpr37
                                        ; implicit-def: $sgpr40_sgpr41
	s_branch .LBB1605_667
.LBB1605_666:                           ;   in Loop: Header=BB1605_667 Depth=1
	s_or_b64 exec, exec, s[42:43]
	s_and_b64 s[8:9], exec, s[34:35]
	s_or_b64 s[28:29], s[8:9], s[28:29]
	s_andn2_b64 s[8:9], s[40:41], exec
	s_and_b64 s[40:41], s[36:37], exec
	s_or_b64 s[40:41], s[8:9], s[40:41]
	s_andn2_b64 s[8:9], s[30:31], exec
	s_and_b64 s[30:31], s[6:7], exec
	s_or_b64 s[30:31], s[8:9], s[30:31]
	s_andn2_b64 exec, exec, s[28:29]
	s_cbranch_execz .LBB1605_669
.LBB1605_667:                           ; =>This Inner Loop Header: Depth=1
	global_load_dwordx2 v[10:11], v[4:5], off
	global_load_dwordx2 v[30:31], v[6:7], off
	s_andn2_b64 s[42:43], s[6:7], exec
	s_andn2_b64 s[36:37], s[36:37], exec
	s_or_b64 s[34:35], s[34:35], exec
	s_waitcnt vmcnt(0)
	v_cmp_le_u64_e64 s[6:7], v[10:11], v[30:31]
	v_cmp_lt_u64_e32 vcc, v[10:11], v[30:31]
	s_and_b64 s[6:7], s[6:7], s[40:41]
	s_or_b64 s[44:45], vcc, s[6:7]
	s_and_b64 s[6:7], s[44:45], exec
	v_cmp_eq_u64_e64 s[8:9], v[10:11], v[30:31]
	s_or_b64 s[6:7], s[42:43], s[6:7]
	s_and_saveexec_b64 s[42:43], s[8:9]
	s_cbranch_execz .LBB1605_666
; %bb.668:                              ;   in Loop: Header=BB1605_667 Depth=1
	s_add_u32 s38, s38, -1
	s_addc_u32 s39, s39, -1
	v_add_co_u32_e32 v4, vcc, 8, v4
	s_cmp_eq_u64 s[38:39], 0
	v_addc_co_u32_e32 v5, vcc, 0, v5, vcc
	s_cselect_b64 s[8:9], -1, 0
	v_add_co_u32_e32 v6, vcc, 8, v6
	s_andn2_b64 s[36:37], s[36:37], exec
	s_and_b64 s[40:41], s[44:45], exec
	s_andn2_b64 s[34:35], s[34:35], exec
	s_and_b64 s[8:9], s[8:9], exec
	v_addc_co_u32_e32 v7, vcc, 0, v7, vcc
	s_or_b64 s[36:37], s[36:37], s[40:41]
	s_andn2_b64 s[6:7], s[6:7], exec
	s_or_b64 s[34:35], s[34:35], s[8:9]
                                        ; implicit-def: $sgpr40_sgpr41
	s_branch .LBB1605_666
.LBB1605_669:
	s_or_b64 exec, exec, s[28:29]
	s_xor_b64 s[6:7], s[30:31], -1
	s_branch .LBB1605_671
.LBB1605_670:
	s_mov_b64 s[6:7], -1
.LBB1605_671:
	s_and_b64 s[6:7], s[6:7], exec
.LBB1605_672:
	s_or_b64 exec, exec, s[14:15]
	s_orn2_b64 s[14:15], s[6:7], exec
.LBB1605_673:
	s_or_b64 exec, exec, s[26:27]
	v_cndmask_b32_e64 v4, v9, v8, s[14:15]
	v_cndmask_b32_e64 v5, v23, v22, s[14:15]
	v_add_u32_e32 v6, 1, v4
	v_add_u32_e32 v4, -1, v5
	v_min_u32_e32 v4, v6, v4
	v_lshl_add_u32 v4, v4, 3, v18
	ds_read_b64 v[4:5], v4
	v_cndmask_b32_e64 v9, v6, v9, s[14:15]
	v_cndmask_b32_e64 v8, v8, v6, s[14:15]
	v_cmp_lt_u32_e32 vcc, v9, v23
	s_mov_b64 s[26:27], -1
	s_waitcnt lgkmcnt(0)
	v_cndmask_b32_e64 v30, v5, v24, s[14:15]
	v_cndmask_b32_e64 v31, v4, v25, s[14:15]
	;; [unrolled: 1-line block ×4, first 2 shown]
	s_and_saveexec_b64 s[28:29], vcc
	s_cbranch_execz .LBB1605_684
; %bb.674:
	v_cmp_lt_u32_e32 vcc, v8, v22
	s_mov_b64 s[6:7], 0
	s_and_saveexec_b64 s[26:27], vcc
	s_cbranch_execz .LBB1605_683
; %bb.675:
	s_andn2_b64 vcc, exec, s[22:23]
	s_cbranch_vccnz .LBB1605_681
; %bb.676:
	v_mul_lo_u32 v6, v30, s16
	v_mul_lo_u32 v7, v31, s17
	v_mad_u64_u32 v[4:5], s[6:7], v31, s16, 0
	v_add3_u32 v5, v5, v7, v6
	v_lshlrev_b64 v[4:5], 3, v[4:5]
	v_mov_b32_e32 v6, s19
	v_add_co_u32_e32 v4, vcc, s18, v4
	v_addc_co_u32_e32 v5, vcc, v6, v5, vcc
	v_mul_lo_u32 v10, v32, s16
	v_mul_lo_u32 v11, v33, s17
	v_mad_u64_u32 v[6:7], s[6:7], v33, s16, 0
	v_add3_u32 v7, v7, v11, v10
	v_lshlrev_b64 v[6:7], 3, v[6:7]
	v_mov_b32_e32 v10, s19
	v_add_co_u32_e32 v6, vcc, s18, v6
	v_addc_co_u32_e32 v7, vcc, v10, v7, vcc
	s_mov_b64 s[30:31], 0
	s_mov_b64 s[40:41], s[16:17]
                                        ; implicit-def: $sgpr34_sgpr35
                                        ; implicit-def: $sgpr36_sgpr37
                                        ; implicit-def: $sgpr6_sgpr7
                                        ; implicit-def: $sgpr38_sgpr39
                                        ; implicit-def: $sgpr42_sgpr43
	s_branch .LBB1605_678
.LBB1605_677:                           ;   in Loop: Header=BB1605_678 Depth=1
	s_or_b64 exec, exec, s[44:45]
	s_and_b64 s[8:9], exec, s[36:37]
	s_or_b64 s[30:31], s[8:9], s[30:31]
	s_andn2_b64 s[8:9], s[42:43], exec
	s_and_b64 s[42:43], s[38:39], exec
	s_or_b64 s[42:43], s[8:9], s[42:43]
	s_andn2_b64 s[8:9], s[34:35], exec
	s_and_b64 s[34:35], s[6:7], exec
	s_or_b64 s[34:35], s[8:9], s[34:35]
	s_andn2_b64 exec, exec, s[30:31]
	s_cbranch_execz .LBB1605_680
.LBB1605_678:                           ; =>This Inner Loop Header: Depth=1
	global_load_dwordx2 v[10:11], v[4:5], off
	global_load_dwordx2 v[34:35], v[6:7], off
	s_andn2_b64 s[44:45], s[6:7], exec
	s_andn2_b64 s[38:39], s[38:39], exec
	s_or_b64 s[36:37], s[36:37], exec
	s_waitcnt vmcnt(0)
	v_cmp_le_u64_e64 s[6:7], v[10:11], v[34:35]
	v_cmp_lt_u64_e32 vcc, v[10:11], v[34:35]
	s_and_b64 s[6:7], s[6:7], s[42:43]
	s_or_b64 s[46:47], vcc, s[6:7]
	s_and_b64 s[6:7], s[46:47], exec
	v_cmp_eq_u64_e64 s[8:9], v[10:11], v[34:35]
	s_or_b64 s[6:7], s[44:45], s[6:7]
	s_and_saveexec_b64 s[44:45], s[8:9]
	s_cbranch_execz .LBB1605_677
; %bb.679:                              ;   in Loop: Header=BB1605_678 Depth=1
	s_add_u32 s40, s40, -1
	s_addc_u32 s41, s41, -1
	v_add_co_u32_e32 v4, vcc, 8, v4
	s_cmp_eq_u64 s[40:41], 0
	v_addc_co_u32_e32 v5, vcc, 0, v5, vcc
	s_cselect_b64 s[8:9], -1, 0
	v_add_co_u32_e32 v6, vcc, 8, v6
	s_andn2_b64 s[38:39], s[38:39], exec
	s_and_b64 s[42:43], s[46:47], exec
	s_andn2_b64 s[36:37], s[36:37], exec
	s_and_b64 s[8:9], s[8:9], exec
	v_addc_co_u32_e32 v7, vcc, 0, v7, vcc
	s_or_b64 s[38:39], s[38:39], s[42:43]
	s_andn2_b64 s[6:7], s[6:7], exec
	s_or_b64 s[36:37], s[36:37], s[8:9]
                                        ; implicit-def: $sgpr42_sgpr43
	s_branch .LBB1605_677
.LBB1605_680:
	s_or_b64 exec, exec, s[30:31]
	s_xor_b64 s[6:7], s[34:35], -1
	s_branch .LBB1605_682
.LBB1605_681:
	s_mov_b64 s[6:7], -1
.LBB1605_682:
	s_and_b64 s[6:7], s[6:7], exec
.LBB1605_683:
	s_or_b64 exec, exec, s[26:27]
	s_orn2_b64 s[26:27], s[6:7], exec
.LBB1605_684:
	s_or_b64 exec, exec, s[28:29]
	v_cndmask_b32_e64 v4, v9, v8, s[26:27]
	v_cndmask_b32_e64 v5, v23, v22, s[26:27]
	v_add_u32_e32 v10, 1, v4
	v_add_u32_e32 v4, -1, v5
	v_min_u32_e32 v4, v10, v4
	v_lshl_add_u32 v4, v4, 3, v18
	ds_read_b64 v[4:5], v4
	v_cndmask_b32_e64 v9, v10, v9, s[26:27]
	v_cmp_lt_u32_e32 vcc, v9, v23
	s_waitcnt lgkmcnt(0)
	v_cndmask_b32_e64 v7, v32, v5, s[26:27]
	v_cndmask_b32_e64 v6, v33, v4, s[26:27]
	s_and_saveexec_b64 s[28:29], vcc
	s_cbranch_execz .LBB1605_694
; %bb.685:
	v_cndmask_b32_e64 v8, v8, v10, s[26:27]
	v_cndmask_b32_e64 v5, v5, v30, s[26:27]
	;; [unrolled: 1-line block ×3, first 2 shown]
	v_cmp_lt_u32_e32 vcc, v8, v22
	s_and_saveexec_b64 s[30:31], vcc
	s_cbranch_execz .LBB1605_693
; %bb.686:
	s_andn2_b64 vcc, exec, s[22:23]
	s_cbranch_vccnz .LBB1605_692
; %bb.687:
	v_mul_lo_u32 v10, v5, s16
	v_mul_lo_u32 v11, v4, s17
	v_mad_u64_u32 v[8:9], s[6:7], v4, s16, 0
	v_add3_u32 v9, v9, v11, v10
	v_lshlrev_b64 v[8:9], 3, v[8:9]
	v_mov_b32_e32 v10, s19
	v_add_co_u32_e32 v8, vcc, s18, v8
	v_addc_co_u32_e32 v9, vcc, v10, v9, vcc
	v_mul_lo_u32 v22, v7, s16
	v_mul_lo_u32 v23, v6, s17
	v_mad_u64_u32 v[10:11], s[6:7], v6, s16, 0
	v_add3_u32 v11, v11, v23, v22
	v_lshlrev_b64 v[10:11], 3, v[10:11]
	v_mov_b32_e32 v22, s19
	v_add_co_u32_e32 v10, vcc, s18, v10
	v_addc_co_u32_e32 v11, vcc, v22, v11, vcc
	s_mov_b64 s[34:35], 0
	s_mov_b64 s[42:43], s[16:17]
                                        ; implicit-def: $sgpr36_sgpr37
                                        ; implicit-def: $sgpr38_sgpr39
                                        ; implicit-def: $sgpr6_sgpr7
                                        ; implicit-def: $sgpr40_sgpr41
                                        ; implicit-def: $sgpr44_sgpr45
	s_branch .LBB1605_689
.LBB1605_688:                           ;   in Loop: Header=BB1605_689 Depth=1
	s_or_b64 exec, exec, s[46:47]
	s_and_b64 s[8:9], exec, s[38:39]
	s_or_b64 s[34:35], s[8:9], s[34:35]
	s_andn2_b64 s[8:9], s[44:45], exec
	s_and_b64 s[44:45], s[40:41], exec
	s_or_b64 s[44:45], s[8:9], s[44:45]
	s_andn2_b64 s[8:9], s[36:37], exec
	s_and_b64 s[36:37], s[6:7], exec
	s_or_b64 s[36:37], s[8:9], s[36:37]
	s_andn2_b64 exec, exec, s[34:35]
	s_cbranch_execz .LBB1605_691
.LBB1605_689:                           ; =>This Inner Loop Header: Depth=1
	global_load_dwordx2 v[22:23], v[8:9], off
	global_load_dwordx2 v[34:35], v[10:11], off
	s_andn2_b64 s[46:47], s[6:7], exec
	s_andn2_b64 s[40:41], s[40:41], exec
	s_or_b64 s[38:39], s[38:39], exec
	s_waitcnt vmcnt(0)
	v_cmp_le_u64_e64 s[6:7], v[22:23], v[34:35]
	v_cmp_lt_u64_e32 vcc, v[22:23], v[34:35]
	s_and_b64 s[6:7], s[6:7], s[44:45]
	s_or_b64 s[48:49], vcc, s[6:7]
	s_and_b64 s[6:7], s[48:49], exec
	v_cmp_eq_u64_e64 s[8:9], v[22:23], v[34:35]
	s_or_b64 s[6:7], s[46:47], s[6:7]
	s_and_saveexec_b64 s[46:47], s[8:9]
	s_cbranch_execz .LBB1605_688
; %bb.690:                              ;   in Loop: Header=BB1605_689 Depth=1
	s_add_u32 s42, s42, -1
	s_addc_u32 s43, s43, -1
	v_add_co_u32_e32 v8, vcc, 8, v8
	s_cmp_eq_u64 s[42:43], 0
	v_addc_co_u32_e32 v9, vcc, 0, v9, vcc
	s_cselect_b64 s[8:9], -1, 0
	v_add_co_u32_e32 v10, vcc, 8, v10
	s_andn2_b64 s[40:41], s[40:41], exec
	s_and_b64 s[44:45], s[48:49], exec
	s_andn2_b64 s[38:39], s[38:39], exec
	s_and_b64 s[8:9], s[8:9], exec
	v_addc_co_u32_e32 v11, vcc, 0, v11, vcc
	s_or_b64 s[40:41], s[40:41], s[44:45]
	s_andn2_b64 s[6:7], s[6:7], exec
	s_or_b64 s[38:39], s[38:39], s[8:9]
                                        ; implicit-def: $sgpr44_sgpr45
	s_branch .LBB1605_688
.LBB1605_691:
	s_or_b64 exec, exec, s[34:35]
	v_cndmask_b32_e64 v7, v7, v5, s[36:37]
	v_cndmask_b32_e64 v6, v6, v4, s[36:37]
.LBB1605_692:
	v_pk_mov_b32 v[4:5], v[6:7], v[6:7] op_sel:[0,1]
.LBB1605_693:
	s_or_b64 exec, exec, s[30:31]
	v_pk_mov_b32 v[6:7], v[4:5], v[4:5] op_sel:[0,1]
.LBB1605_694:
	s_or_b64 exec, exec, s[28:29]
	v_cndmask_b32_e64 v1, v3, v1, s[12:13]
	v_cndmask_b32_e64 v0, v2, v0, s[12:13]
	;; [unrolled: 1-line block ×6, first 2 shown]
.LBB1605_695:
	s_or_b64 exec, exec, s[10:11]
	v_and_b32_e32 v28, 0x1e0, v20
	v_or_b32_e32 v8, 16, v28
	v_min_u32_e32 v22, v19, v8
	v_add_u32_e32 v8, 16, v22
	v_min_u32_e32 v23, v19, v8
	v_and_b32_e32 v8, 28, v20
	v_min_u32_e32 v29, v19, v8
	v_sub_u32_e32 v8, v22, v28
	v_sub_u32_e32 v9, v23, v22
	v_sub_u32_e64 v25, v29, v9 clamp
	v_min_u32_e32 v30, v29, v8
	v_lshl_add_u32 v24, v28, 3, v18
	v_cmp_lt_u32_e32 vcc, v25, v30
	; wave barrier
	ds_write_b128 v21, v[0:3]
	ds_write_b128 v21, v[4:7] offset:16
	; wave barrier
	s_and_saveexec_b64 s[12:13], vcc
	s_cbranch_execz .LBB1605_705
; %bb.696:
	v_lshlrev_b32_e32 v8, 3, v22
	v_lshlrev_b32_e32 v9, 3, v29
	v_add3_u32 v31, v18, v8, v9
	v_cndmask_b32_e64 v8, 0, 1, s[22:23]
	s_lshl_b64 s[26:27], s[16:17], 3
	s_mov_b64 s[14:15], 0
	v_cmp_ne_u32_e64 s[6:7], 1, v8
	s_branch .LBB1605_699
.LBB1605_697:                           ;   in Loop: Header=BB1605_699 Depth=1
	s_or_b64 exec, exec, s[30:31]
.LBB1605_698:                           ;   in Loop: Header=BB1605_699 Depth=1
	v_add_u32_e32 v8, 1, v32
	v_cndmask_b32_e64 v30, v30, v32, s[28:29]
	v_cndmask_b32_e64 v25, v8, v25, s[28:29]
	v_cmp_ge_u32_e32 vcc, v25, v30
	s_or_b64 s[14:15], vcc, s[14:15]
	s_andn2_b64 exec, exec, s[14:15]
	s_cbranch_execz .LBB1605_704
.LBB1605_699:                           ; =>This Loop Header: Depth=1
                                        ;     Child Loop BB1605_702 Depth 2
	v_add_u32_e32 v8, v30, v25
	v_lshrrev_b32_e32 v32, 1, v8
	s_and_b64 vcc, exec, s[6:7]
	s_mov_b64 s[28:29], 0
	s_cbranch_vccnz .LBB1605_698
; %bb.700:                              ;   in Loop: Header=BB1605_699 Depth=1
	v_not_b32_e32 v8, v32
	v_lshl_add_u32 v8, v8, 3, v31
	ds_read_b64 v[8:9], v8
	v_lshl_add_u32 v33, v32, 3, v24
	ds_read_b64 v[34:35], v33
	v_pk_mov_b32 v[10:11], s[18:19], s[18:19] op_sel:[0,1]
	s_mov_b64 s[30:31], 0
	s_waitcnt lgkmcnt(1)
	v_mul_lo_u32 v33, s26, v9
	v_mul_lo_u32 v36, s27, v8
	v_mad_u64_u32 v[8:9], s[8:9], s26, v8, v[10:11]
	v_add3_u32 v9, v36, v9, v33
	s_waitcnt lgkmcnt(0)
	v_mul_lo_u32 v33, s26, v35
	v_mul_lo_u32 v35, s27, v34
	v_mad_u64_u32 v[10:11], s[8:9], s26, v34, v[10:11]
	v_add3_u32 v11, v35, v11, v33
	s_mov_b64 s[38:39], s[16:17]
                                        ; implicit-def: $sgpr28_sgpr29
                                        ; implicit-def: $sgpr34_sgpr35
                                        ; implicit-def: $sgpr36_sgpr37
                                        ; implicit-def: $sgpr8_sgpr9
                                        ; implicit-def: $sgpr40_sgpr41
	s_branch .LBB1605_702
.LBB1605_701:                           ;   in Loop: Header=BB1605_702 Depth=2
	s_or_b64 exec, exec, s[42:43]
	s_and_b64 s[10:11], exec, s[34:35]
	s_or_b64 s[30:31], s[10:11], s[30:31]
	s_andn2_b64 s[10:11], s[40:41], exec
	s_and_b64 s[40:41], s[36:37], exec
	s_or_b64 s[40:41], s[10:11], s[40:41]
	s_andn2_b64 s[10:11], s[28:29], exec
	s_and_b64 s[28:29], s[8:9], exec
	s_or_b64 s[28:29], s[10:11], s[28:29]
	s_andn2_b64 exec, exec, s[30:31]
	s_cbranch_execz .LBB1605_697
.LBB1605_702:                           ;   Parent Loop BB1605_699 Depth=1
                                        ; =>  This Inner Loop Header: Depth=2
	global_load_dwordx2 v[34:35], v[8:9], off
	global_load_dwordx2 v[36:37], v[10:11], off
	s_andn2_b64 s[42:43], s[8:9], exec
	s_andn2_b64 s[36:37], s[36:37], exec
	s_or_b64 s[34:35], s[34:35], exec
	s_waitcnt vmcnt(0)
	v_cmp_le_u64_e64 s[8:9], v[34:35], v[36:37]
	v_cmp_lt_u64_e32 vcc, v[34:35], v[36:37]
	s_and_b64 s[8:9], s[8:9], s[40:41]
	s_or_b64 s[44:45], vcc, s[8:9]
	s_and_b64 s[8:9], s[44:45], exec
	v_cmp_eq_u64_e64 s[10:11], v[34:35], v[36:37]
	s_or_b64 s[8:9], s[42:43], s[8:9]
	s_and_saveexec_b64 s[42:43], s[10:11]
	s_cbranch_execz .LBB1605_701
; %bb.703:                              ;   in Loop: Header=BB1605_702 Depth=2
	s_add_u32 s38, s38, -1
	s_addc_u32 s39, s39, -1
	v_add_co_u32_e32 v8, vcc, 8, v8
	s_cmp_eq_u64 s[38:39], 0
	v_addc_co_u32_e32 v9, vcc, 0, v9, vcc
	s_cselect_b64 s[10:11], -1, 0
	v_add_co_u32_e32 v10, vcc, 8, v10
	s_andn2_b64 s[36:37], s[36:37], exec
	s_and_b64 s[40:41], s[44:45], exec
	s_andn2_b64 s[34:35], s[34:35], exec
	s_and_b64 s[10:11], s[10:11], exec
	v_addc_co_u32_e32 v11, vcc, 0, v11, vcc
	s_andn2_b64 s[8:9], s[8:9], exec
	s_or_b64 s[36:37], s[36:37], s[40:41]
	s_or_b64 s[34:35], s[34:35], s[10:11]
                                        ; implicit-def: $sgpr40_sgpr41
	s_branch .LBB1605_701
.LBB1605_704:
	s_or_b64 exec, exec, s[14:15]
.LBB1605_705:
	s_or_b64 exec, exec, s[12:13]
	v_add_u32_e32 v9, v22, v29
	v_add_u32_e32 v8, v25, v28
	v_sub_u32_e32 v9, v9, v25
	v_cmp_le_u32_e32 vcc, v8, v22
	v_cmp_le_u32_e64 s[6:7], v9, v23
	s_or_b64 s[6:7], vcc, s[6:7]
	s_and_saveexec_b64 s[10:11], s[6:7]
	s_cbranch_execz .LBB1605_752
; %bb.706:
	v_cmp_ge_u32_e32 vcc, v8, v22
	v_cmp_lt_u32_e64 s[6:7], v8, v22
                                        ; implicit-def: $vgpr0_vgpr1
	s_and_saveexec_b64 s[8:9], s[6:7]
	s_cbranch_execz .LBB1605_708
; %bb.707:
	v_lshl_add_u32 v0, v25, 3, v24
	ds_read_b64 v[0:1], v0
.LBB1605_708:
	s_or_b64 exec, exec, s[8:9]
	v_cmp_ge_u32_e64 s[12:13], v9, v23
	v_cmp_lt_u32_e64 s[6:7], v9, v23
                                        ; implicit-def: $vgpr2_vgpr3
	s_and_saveexec_b64 s[8:9], s[6:7]
	s_cbranch_execz .LBB1605_710
; %bb.709:
	v_lshl_add_u32 v2, v9, 3, v18
	ds_read_b64 v[2:3], v2
.LBB1605_710:
	s_or_b64 exec, exec, s[8:9]
	s_or_b64 s[6:7], vcc, s[12:13]
	s_mov_b64 s[14:15], -1
	s_xor_b64 s[6:7], s[6:7], -1
	s_and_saveexec_b64 s[26:27], s[6:7]
	s_cbranch_execz .LBB1605_719
; %bb.711:
	s_andn2_b64 vcc, exec, s[22:23]
	s_cbranch_vccnz .LBB1605_717
; %bb.712:
	s_waitcnt lgkmcnt(0)
	v_mul_lo_u32 v6, v3, s16
	v_mul_lo_u32 v7, v2, s17
	v_mad_u64_u32 v[4:5], s[6:7], v2, s16, 0
	v_add3_u32 v5, v5, v7, v6
	v_lshlrev_b64 v[4:5], 3, v[4:5]
	v_mov_b32_e32 v6, s19
	v_add_co_u32_e32 v4, vcc, s18, v4
	v_addc_co_u32_e32 v5, vcc, v6, v5, vcc
	v_mul_lo_u32 v10, v1, s16
	v_mul_lo_u32 v11, v0, s17
	v_mad_u64_u32 v[6:7], s[6:7], v0, s16, 0
	v_add3_u32 v7, v7, v11, v10
	v_lshlrev_b64 v[6:7], 3, v[6:7]
	v_mov_b32_e32 v10, s19
	v_add_co_u32_e32 v6, vcc, s18, v6
	v_addc_co_u32_e32 v7, vcc, v10, v7, vcc
	s_mov_b64 s[28:29], 0
	s_mov_b64 s[38:39], s[16:17]
                                        ; implicit-def: $sgpr30_sgpr31
                                        ; implicit-def: $sgpr34_sgpr35
                                        ; implicit-def: $sgpr6_sgpr7
                                        ; implicit-def: $sgpr36_sgpr37
                                        ; implicit-def: $sgpr40_sgpr41
	s_branch .LBB1605_714
.LBB1605_713:                           ;   in Loop: Header=BB1605_714 Depth=1
	s_or_b64 exec, exec, s[42:43]
	s_and_b64 s[8:9], exec, s[34:35]
	s_or_b64 s[28:29], s[8:9], s[28:29]
	s_andn2_b64 s[8:9], s[40:41], exec
	s_and_b64 s[40:41], s[36:37], exec
	s_or_b64 s[40:41], s[8:9], s[40:41]
	s_andn2_b64 s[8:9], s[30:31], exec
	s_and_b64 s[30:31], s[6:7], exec
	s_or_b64 s[30:31], s[8:9], s[30:31]
	s_andn2_b64 exec, exec, s[28:29]
	s_cbranch_execz .LBB1605_716
.LBB1605_714:                           ; =>This Inner Loop Header: Depth=1
	global_load_dwordx2 v[10:11], v[4:5], off
	global_load_dwordx2 v[24:25], v[6:7], off
	s_andn2_b64 s[42:43], s[6:7], exec
	s_andn2_b64 s[36:37], s[36:37], exec
	s_or_b64 s[34:35], s[34:35], exec
	s_waitcnt vmcnt(0)
	v_cmp_le_u64_e64 s[6:7], v[10:11], v[24:25]
	v_cmp_lt_u64_e32 vcc, v[10:11], v[24:25]
	s_and_b64 s[6:7], s[6:7], s[40:41]
	s_or_b64 s[44:45], vcc, s[6:7]
	s_and_b64 s[6:7], s[44:45], exec
	v_cmp_eq_u64_e64 s[8:9], v[10:11], v[24:25]
	s_or_b64 s[6:7], s[42:43], s[6:7]
	s_and_saveexec_b64 s[42:43], s[8:9]
	s_cbranch_execz .LBB1605_713
; %bb.715:                              ;   in Loop: Header=BB1605_714 Depth=1
	s_add_u32 s38, s38, -1
	s_addc_u32 s39, s39, -1
	v_add_co_u32_e32 v4, vcc, 8, v4
	s_cmp_eq_u64 s[38:39], 0
	v_addc_co_u32_e32 v5, vcc, 0, v5, vcc
	s_cselect_b64 s[8:9], -1, 0
	v_add_co_u32_e32 v6, vcc, 8, v6
	s_andn2_b64 s[36:37], s[36:37], exec
	s_and_b64 s[40:41], s[44:45], exec
	s_andn2_b64 s[34:35], s[34:35], exec
	s_and_b64 s[8:9], s[8:9], exec
	v_addc_co_u32_e32 v7, vcc, 0, v7, vcc
	s_or_b64 s[36:37], s[36:37], s[40:41]
	s_andn2_b64 s[6:7], s[6:7], exec
	s_or_b64 s[34:35], s[34:35], s[8:9]
                                        ; implicit-def: $sgpr40_sgpr41
	s_branch .LBB1605_713
.LBB1605_716:
	s_or_b64 exec, exec, s[28:29]
	s_xor_b64 s[6:7], s[30:31], -1
	s_branch .LBB1605_718
.LBB1605_717:
	s_mov_b64 s[6:7], -1
.LBB1605_718:
	s_andn2_b64 s[8:9], s[12:13], exec
	s_and_b64 s[6:7], s[6:7], exec
	s_or_b64 s[12:13], s[8:9], s[6:7]
.LBB1605_719:
	s_or_b64 exec, exec, s[26:27]
	v_cndmask_b32_e64 v4, v9, v8, s[12:13]
	v_cndmask_b32_e64 v5, v23, v22, s[12:13]
	v_add_u32_e32 v6, 1, v4
	v_add_u32_e32 v4, -1, v5
	v_min_u32_e32 v4, v6, v4
	v_lshl_add_u32 v4, v4, 3, v18
	ds_read_b64 v[4:5], v4
	v_cndmask_b32_e64 v9, v6, v9, s[12:13]
	v_cndmask_b32_e64 v8, v8, v6, s[12:13]
	v_cmp_lt_u32_e32 vcc, v9, v23
	s_waitcnt lgkmcnt(0)
	v_cndmask_b32_e64 v24, v5, v3, s[12:13]
	v_cndmask_b32_e64 v25, v4, v2, s[12:13]
	;; [unrolled: 1-line block ×4, first 2 shown]
	s_and_saveexec_b64 s[26:27], vcc
	s_cbranch_execz .LBB1605_730
; %bb.720:
	v_cmp_lt_u32_e32 vcc, v8, v22
	s_mov_b64 s[6:7], 0
	s_and_saveexec_b64 s[14:15], vcc
	s_cbranch_execz .LBB1605_729
; %bb.721:
	s_andn2_b64 vcc, exec, s[22:23]
	s_cbranch_vccnz .LBB1605_727
; %bb.722:
	v_mul_lo_u32 v6, v24, s16
	v_mul_lo_u32 v7, v25, s17
	v_mad_u64_u32 v[4:5], s[6:7], v25, s16, 0
	v_add3_u32 v5, v5, v7, v6
	v_lshlrev_b64 v[4:5], 3, v[4:5]
	v_mov_b32_e32 v6, s19
	v_add_co_u32_e32 v4, vcc, s18, v4
	v_addc_co_u32_e32 v5, vcc, v6, v5, vcc
	v_mul_lo_u32 v10, v28, s16
	v_mul_lo_u32 v11, v29, s17
	v_mad_u64_u32 v[6:7], s[6:7], v29, s16, 0
	v_add3_u32 v7, v7, v11, v10
	v_lshlrev_b64 v[6:7], 3, v[6:7]
	v_mov_b32_e32 v10, s19
	v_add_co_u32_e32 v6, vcc, s18, v6
	v_addc_co_u32_e32 v7, vcc, v10, v7, vcc
	s_mov_b64 s[28:29], 0
	s_mov_b64 s[38:39], s[16:17]
                                        ; implicit-def: $sgpr30_sgpr31
                                        ; implicit-def: $sgpr34_sgpr35
                                        ; implicit-def: $sgpr6_sgpr7
                                        ; implicit-def: $sgpr36_sgpr37
                                        ; implicit-def: $sgpr40_sgpr41
	s_branch .LBB1605_724
.LBB1605_723:                           ;   in Loop: Header=BB1605_724 Depth=1
	s_or_b64 exec, exec, s[42:43]
	s_and_b64 s[8:9], exec, s[34:35]
	s_or_b64 s[28:29], s[8:9], s[28:29]
	s_andn2_b64 s[8:9], s[40:41], exec
	s_and_b64 s[40:41], s[36:37], exec
	s_or_b64 s[40:41], s[8:9], s[40:41]
	s_andn2_b64 s[8:9], s[30:31], exec
	s_and_b64 s[30:31], s[6:7], exec
	s_or_b64 s[30:31], s[8:9], s[30:31]
	s_andn2_b64 exec, exec, s[28:29]
	s_cbranch_execz .LBB1605_726
.LBB1605_724:                           ; =>This Inner Loop Header: Depth=1
	global_load_dwordx2 v[10:11], v[4:5], off
	global_load_dwordx2 v[30:31], v[6:7], off
	s_andn2_b64 s[42:43], s[6:7], exec
	s_andn2_b64 s[36:37], s[36:37], exec
	s_or_b64 s[34:35], s[34:35], exec
	s_waitcnt vmcnt(0)
	v_cmp_le_u64_e64 s[6:7], v[10:11], v[30:31]
	v_cmp_lt_u64_e32 vcc, v[10:11], v[30:31]
	s_and_b64 s[6:7], s[6:7], s[40:41]
	s_or_b64 s[44:45], vcc, s[6:7]
	s_and_b64 s[6:7], s[44:45], exec
	v_cmp_eq_u64_e64 s[8:9], v[10:11], v[30:31]
	s_or_b64 s[6:7], s[42:43], s[6:7]
	s_and_saveexec_b64 s[42:43], s[8:9]
	s_cbranch_execz .LBB1605_723
; %bb.725:                              ;   in Loop: Header=BB1605_724 Depth=1
	s_add_u32 s38, s38, -1
	s_addc_u32 s39, s39, -1
	v_add_co_u32_e32 v4, vcc, 8, v4
	s_cmp_eq_u64 s[38:39], 0
	v_addc_co_u32_e32 v5, vcc, 0, v5, vcc
	s_cselect_b64 s[8:9], -1, 0
	v_add_co_u32_e32 v6, vcc, 8, v6
	s_andn2_b64 s[36:37], s[36:37], exec
	s_and_b64 s[40:41], s[44:45], exec
	s_andn2_b64 s[34:35], s[34:35], exec
	s_and_b64 s[8:9], s[8:9], exec
	v_addc_co_u32_e32 v7, vcc, 0, v7, vcc
	s_or_b64 s[36:37], s[36:37], s[40:41]
	s_andn2_b64 s[6:7], s[6:7], exec
	s_or_b64 s[34:35], s[34:35], s[8:9]
                                        ; implicit-def: $sgpr40_sgpr41
	s_branch .LBB1605_723
.LBB1605_726:
	s_or_b64 exec, exec, s[28:29]
	s_xor_b64 s[6:7], s[30:31], -1
	s_branch .LBB1605_728
.LBB1605_727:
	s_mov_b64 s[6:7], -1
.LBB1605_728:
	s_and_b64 s[6:7], s[6:7], exec
.LBB1605_729:
	s_or_b64 exec, exec, s[14:15]
	s_orn2_b64 s[14:15], s[6:7], exec
.LBB1605_730:
	s_or_b64 exec, exec, s[26:27]
	v_cndmask_b32_e64 v4, v9, v8, s[14:15]
	v_cndmask_b32_e64 v5, v23, v22, s[14:15]
	v_add_u32_e32 v6, 1, v4
	v_add_u32_e32 v4, -1, v5
	v_min_u32_e32 v4, v6, v4
	v_lshl_add_u32 v4, v4, 3, v18
	ds_read_b64 v[4:5], v4
	v_cndmask_b32_e64 v9, v6, v9, s[14:15]
	v_cndmask_b32_e64 v8, v8, v6, s[14:15]
	v_cmp_lt_u32_e32 vcc, v9, v23
	s_mov_b64 s[26:27], -1
	s_waitcnt lgkmcnt(0)
	v_cndmask_b32_e64 v30, v5, v24, s[14:15]
	v_cndmask_b32_e64 v31, v4, v25, s[14:15]
	;; [unrolled: 1-line block ×4, first 2 shown]
	s_and_saveexec_b64 s[28:29], vcc
	s_cbranch_execz .LBB1605_741
; %bb.731:
	v_cmp_lt_u32_e32 vcc, v8, v22
	s_mov_b64 s[6:7], 0
	s_and_saveexec_b64 s[26:27], vcc
	s_cbranch_execz .LBB1605_740
; %bb.732:
	s_andn2_b64 vcc, exec, s[22:23]
	s_cbranch_vccnz .LBB1605_738
; %bb.733:
	v_mul_lo_u32 v6, v30, s16
	v_mul_lo_u32 v7, v31, s17
	v_mad_u64_u32 v[4:5], s[6:7], v31, s16, 0
	v_add3_u32 v5, v5, v7, v6
	v_lshlrev_b64 v[4:5], 3, v[4:5]
	v_mov_b32_e32 v6, s19
	v_add_co_u32_e32 v4, vcc, s18, v4
	v_addc_co_u32_e32 v5, vcc, v6, v5, vcc
	v_mul_lo_u32 v10, v32, s16
	v_mul_lo_u32 v11, v33, s17
	v_mad_u64_u32 v[6:7], s[6:7], v33, s16, 0
	v_add3_u32 v7, v7, v11, v10
	v_lshlrev_b64 v[6:7], 3, v[6:7]
	v_mov_b32_e32 v10, s19
	v_add_co_u32_e32 v6, vcc, s18, v6
	v_addc_co_u32_e32 v7, vcc, v10, v7, vcc
	s_mov_b64 s[30:31], 0
	s_mov_b64 s[40:41], s[16:17]
                                        ; implicit-def: $sgpr34_sgpr35
                                        ; implicit-def: $sgpr36_sgpr37
                                        ; implicit-def: $sgpr6_sgpr7
                                        ; implicit-def: $sgpr38_sgpr39
                                        ; implicit-def: $sgpr42_sgpr43
	s_branch .LBB1605_735
.LBB1605_734:                           ;   in Loop: Header=BB1605_735 Depth=1
	s_or_b64 exec, exec, s[44:45]
	s_and_b64 s[8:9], exec, s[36:37]
	s_or_b64 s[30:31], s[8:9], s[30:31]
	s_andn2_b64 s[8:9], s[42:43], exec
	s_and_b64 s[42:43], s[38:39], exec
	s_or_b64 s[42:43], s[8:9], s[42:43]
	s_andn2_b64 s[8:9], s[34:35], exec
	s_and_b64 s[34:35], s[6:7], exec
	s_or_b64 s[34:35], s[8:9], s[34:35]
	s_andn2_b64 exec, exec, s[30:31]
	s_cbranch_execz .LBB1605_737
.LBB1605_735:                           ; =>This Inner Loop Header: Depth=1
	global_load_dwordx2 v[10:11], v[4:5], off
	global_load_dwordx2 v[34:35], v[6:7], off
	s_andn2_b64 s[44:45], s[6:7], exec
	s_andn2_b64 s[38:39], s[38:39], exec
	s_or_b64 s[36:37], s[36:37], exec
	s_waitcnt vmcnt(0)
	v_cmp_le_u64_e64 s[6:7], v[10:11], v[34:35]
	v_cmp_lt_u64_e32 vcc, v[10:11], v[34:35]
	s_and_b64 s[6:7], s[6:7], s[42:43]
	s_or_b64 s[46:47], vcc, s[6:7]
	s_and_b64 s[6:7], s[46:47], exec
	v_cmp_eq_u64_e64 s[8:9], v[10:11], v[34:35]
	s_or_b64 s[6:7], s[44:45], s[6:7]
	s_and_saveexec_b64 s[44:45], s[8:9]
	s_cbranch_execz .LBB1605_734
; %bb.736:                              ;   in Loop: Header=BB1605_735 Depth=1
	s_add_u32 s40, s40, -1
	s_addc_u32 s41, s41, -1
	v_add_co_u32_e32 v4, vcc, 8, v4
	s_cmp_eq_u64 s[40:41], 0
	v_addc_co_u32_e32 v5, vcc, 0, v5, vcc
	s_cselect_b64 s[8:9], -1, 0
	v_add_co_u32_e32 v6, vcc, 8, v6
	s_andn2_b64 s[38:39], s[38:39], exec
	s_and_b64 s[42:43], s[46:47], exec
	s_andn2_b64 s[36:37], s[36:37], exec
	s_and_b64 s[8:9], s[8:9], exec
	v_addc_co_u32_e32 v7, vcc, 0, v7, vcc
	s_or_b64 s[38:39], s[38:39], s[42:43]
	s_andn2_b64 s[6:7], s[6:7], exec
	s_or_b64 s[36:37], s[36:37], s[8:9]
                                        ; implicit-def: $sgpr42_sgpr43
	s_branch .LBB1605_734
.LBB1605_737:
	s_or_b64 exec, exec, s[30:31]
	s_xor_b64 s[6:7], s[34:35], -1
	s_branch .LBB1605_739
.LBB1605_738:
	s_mov_b64 s[6:7], -1
.LBB1605_739:
	s_and_b64 s[6:7], s[6:7], exec
.LBB1605_740:
	s_or_b64 exec, exec, s[26:27]
	s_orn2_b64 s[26:27], s[6:7], exec
.LBB1605_741:
	s_or_b64 exec, exec, s[28:29]
	v_cndmask_b32_e64 v4, v9, v8, s[26:27]
	v_cndmask_b32_e64 v5, v23, v22, s[26:27]
	v_add_u32_e32 v10, 1, v4
	v_add_u32_e32 v4, -1, v5
	v_min_u32_e32 v4, v10, v4
	v_lshl_add_u32 v4, v4, 3, v18
	ds_read_b64 v[4:5], v4
	v_cndmask_b32_e64 v9, v10, v9, s[26:27]
	v_cmp_lt_u32_e32 vcc, v9, v23
	s_waitcnt lgkmcnt(0)
	v_cndmask_b32_e64 v7, v32, v5, s[26:27]
	v_cndmask_b32_e64 v6, v33, v4, s[26:27]
	s_and_saveexec_b64 s[28:29], vcc
	s_cbranch_execz .LBB1605_751
; %bb.742:
	v_cndmask_b32_e64 v8, v8, v10, s[26:27]
	v_cndmask_b32_e64 v5, v5, v30, s[26:27]
	v_cndmask_b32_e64 v4, v4, v31, s[26:27]
	v_cmp_lt_u32_e32 vcc, v8, v22
	s_and_saveexec_b64 s[30:31], vcc
	s_cbranch_execz .LBB1605_750
; %bb.743:
	s_andn2_b64 vcc, exec, s[22:23]
	s_cbranch_vccnz .LBB1605_749
; %bb.744:
	v_mul_lo_u32 v10, v5, s16
	v_mul_lo_u32 v11, v4, s17
	v_mad_u64_u32 v[8:9], s[6:7], v4, s16, 0
	v_add3_u32 v9, v9, v11, v10
	v_lshlrev_b64 v[8:9], 3, v[8:9]
	v_mov_b32_e32 v10, s19
	v_add_co_u32_e32 v8, vcc, s18, v8
	v_addc_co_u32_e32 v9, vcc, v10, v9, vcc
	v_mul_lo_u32 v22, v7, s16
	v_mul_lo_u32 v23, v6, s17
	v_mad_u64_u32 v[10:11], s[6:7], v6, s16, 0
	v_add3_u32 v11, v11, v23, v22
	v_lshlrev_b64 v[10:11], 3, v[10:11]
	v_mov_b32_e32 v22, s19
	v_add_co_u32_e32 v10, vcc, s18, v10
	v_addc_co_u32_e32 v11, vcc, v22, v11, vcc
	s_mov_b64 s[34:35], 0
	s_mov_b64 s[42:43], s[16:17]
                                        ; implicit-def: $sgpr36_sgpr37
                                        ; implicit-def: $sgpr38_sgpr39
                                        ; implicit-def: $sgpr6_sgpr7
                                        ; implicit-def: $sgpr40_sgpr41
                                        ; implicit-def: $sgpr44_sgpr45
	s_branch .LBB1605_746
.LBB1605_745:                           ;   in Loop: Header=BB1605_746 Depth=1
	s_or_b64 exec, exec, s[46:47]
	s_and_b64 s[8:9], exec, s[38:39]
	s_or_b64 s[34:35], s[8:9], s[34:35]
	s_andn2_b64 s[8:9], s[44:45], exec
	s_and_b64 s[44:45], s[40:41], exec
	s_or_b64 s[44:45], s[8:9], s[44:45]
	s_andn2_b64 s[8:9], s[36:37], exec
	s_and_b64 s[36:37], s[6:7], exec
	s_or_b64 s[36:37], s[8:9], s[36:37]
	s_andn2_b64 exec, exec, s[34:35]
	s_cbranch_execz .LBB1605_748
.LBB1605_746:                           ; =>This Inner Loop Header: Depth=1
	global_load_dwordx2 v[22:23], v[8:9], off
	global_load_dwordx2 v[34:35], v[10:11], off
	s_andn2_b64 s[46:47], s[6:7], exec
	s_andn2_b64 s[40:41], s[40:41], exec
	s_or_b64 s[38:39], s[38:39], exec
	s_waitcnt vmcnt(0)
	v_cmp_le_u64_e64 s[6:7], v[22:23], v[34:35]
	v_cmp_lt_u64_e32 vcc, v[22:23], v[34:35]
	s_and_b64 s[6:7], s[6:7], s[44:45]
	s_or_b64 s[48:49], vcc, s[6:7]
	s_and_b64 s[6:7], s[48:49], exec
	v_cmp_eq_u64_e64 s[8:9], v[22:23], v[34:35]
	s_or_b64 s[6:7], s[46:47], s[6:7]
	s_and_saveexec_b64 s[46:47], s[8:9]
	s_cbranch_execz .LBB1605_745
; %bb.747:                              ;   in Loop: Header=BB1605_746 Depth=1
	s_add_u32 s42, s42, -1
	s_addc_u32 s43, s43, -1
	v_add_co_u32_e32 v8, vcc, 8, v8
	s_cmp_eq_u64 s[42:43], 0
	v_addc_co_u32_e32 v9, vcc, 0, v9, vcc
	s_cselect_b64 s[8:9], -1, 0
	v_add_co_u32_e32 v10, vcc, 8, v10
	s_andn2_b64 s[40:41], s[40:41], exec
	s_and_b64 s[44:45], s[48:49], exec
	s_andn2_b64 s[38:39], s[38:39], exec
	s_and_b64 s[8:9], s[8:9], exec
	v_addc_co_u32_e32 v11, vcc, 0, v11, vcc
	s_or_b64 s[40:41], s[40:41], s[44:45]
	s_andn2_b64 s[6:7], s[6:7], exec
	s_or_b64 s[38:39], s[38:39], s[8:9]
                                        ; implicit-def: $sgpr44_sgpr45
	s_branch .LBB1605_745
.LBB1605_748:
	s_or_b64 exec, exec, s[34:35]
	v_cndmask_b32_e64 v7, v7, v5, s[36:37]
	v_cndmask_b32_e64 v6, v6, v4, s[36:37]
.LBB1605_749:
	v_pk_mov_b32 v[4:5], v[6:7], v[6:7] op_sel:[0,1]
.LBB1605_750:
	s_or_b64 exec, exec, s[30:31]
	v_pk_mov_b32 v[6:7], v[4:5], v[4:5] op_sel:[0,1]
.LBB1605_751:
	s_or_b64 exec, exec, s[28:29]
	v_cndmask_b32_e64 v1, v3, v1, s[12:13]
	v_cndmask_b32_e64 v0, v2, v0, s[12:13]
	;; [unrolled: 1-line block ×6, first 2 shown]
.LBB1605_752:
	s_or_b64 exec, exec, s[10:11]
	v_and_b32_e32 v23, 0x1c0, v20
	v_or_b32_e32 v8, 32, v23
	; wave barrier
	ds_write_b128 v21, v[0:3]
	ds_write_b128 v21, v[4:7] offset:16
	v_min_u32_e32 v21, v19, v8
	v_add_u32_e32 v8, 32, v21
	v_min_u32_e32 v22, v19, v8
	v_and_b32_e32 v8, 60, v20
	v_min_u32_e32 v24, v19, v8
	v_sub_u32_e32 v8, v21, v23
	v_sub_u32_e32 v9, v22, v21
	v_sub_u32_e64 v20, v24, v9 clamp
	v_min_u32_e32 v25, v24, v8
	v_lshl_add_u32 v19, v23, 3, v18
	v_cmp_lt_u32_e32 vcc, v20, v25
	; wave barrier
	s_and_saveexec_b64 s[12:13], vcc
	s_cbranch_execz .LBB1605_762
; %bb.753:
	v_lshlrev_b32_e32 v8, 3, v21
	v_lshlrev_b32_e32 v9, 3, v24
	v_add3_u32 v28, v18, v8, v9
	v_cndmask_b32_e64 v8, 0, 1, s[22:23]
	s_lshl_b64 s[26:27], s[16:17], 3
	s_mov_b64 s[14:15], 0
	v_cmp_ne_u32_e64 s[6:7], 1, v8
	s_branch .LBB1605_756
.LBB1605_754:                           ;   in Loop: Header=BB1605_756 Depth=1
	s_or_b64 exec, exec, s[30:31]
.LBB1605_755:                           ;   in Loop: Header=BB1605_756 Depth=1
	v_add_u32_e32 v8, 1, v29
	v_cndmask_b32_e64 v25, v25, v29, s[28:29]
	v_cndmask_b32_e64 v20, v8, v20, s[28:29]
	v_cmp_ge_u32_e32 vcc, v20, v25
	s_or_b64 s[14:15], vcc, s[14:15]
	s_andn2_b64 exec, exec, s[14:15]
	s_cbranch_execz .LBB1605_761
.LBB1605_756:                           ; =>This Loop Header: Depth=1
                                        ;     Child Loop BB1605_759 Depth 2
	v_add_u32_e32 v8, v25, v20
	v_lshrrev_b32_e32 v29, 1, v8
	s_and_b64 vcc, exec, s[6:7]
	s_mov_b64 s[28:29], 0
	s_cbranch_vccnz .LBB1605_755
; %bb.757:                              ;   in Loop: Header=BB1605_756 Depth=1
	v_not_b32_e32 v8, v29
	v_lshl_add_u32 v8, v8, 3, v28
	ds_read_b64 v[8:9], v8
	v_lshl_add_u32 v30, v29, 3, v19
	ds_read_b64 v[30:31], v30
	v_pk_mov_b32 v[10:11], s[18:19], s[18:19] op_sel:[0,1]
	s_mov_b64 s[30:31], 0
	s_waitcnt lgkmcnt(1)
	v_mul_lo_u32 v32, s26, v9
	v_mul_lo_u32 v33, s27, v8
	v_mad_u64_u32 v[8:9], s[8:9], s26, v8, v[10:11]
	v_add3_u32 v9, v33, v9, v32
	s_waitcnt lgkmcnt(0)
	v_mul_lo_u32 v31, s26, v31
	v_mul_lo_u32 v32, s27, v30
	v_mad_u64_u32 v[10:11], s[8:9], s26, v30, v[10:11]
	v_add3_u32 v11, v32, v11, v31
	s_mov_b64 s[38:39], s[16:17]
                                        ; implicit-def: $sgpr28_sgpr29
                                        ; implicit-def: $sgpr34_sgpr35
                                        ; implicit-def: $sgpr36_sgpr37
                                        ; implicit-def: $sgpr8_sgpr9
                                        ; implicit-def: $sgpr40_sgpr41
	s_branch .LBB1605_759
.LBB1605_758:                           ;   in Loop: Header=BB1605_759 Depth=2
	s_or_b64 exec, exec, s[42:43]
	s_and_b64 s[10:11], exec, s[34:35]
	s_or_b64 s[30:31], s[10:11], s[30:31]
	s_andn2_b64 s[10:11], s[40:41], exec
	s_and_b64 s[40:41], s[36:37], exec
	s_or_b64 s[40:41], s[10:11], s[40:41]
	s_andn2_b64 s[10:11], s[28:29], exec
	s_and_b64 s[28:29], s[8:9], exec
	s_or_b64 s[28:29], s[10:11], s[28:29]
	s_andn2_b64 exec, exec, s[30:31]
	s_cbranch_execz .LBB1605_754
.LBB1605_759:                           ;   Parent Loop BB1605_756 Depth=1
                                        ; =>  This Inner Loop Header: Depth=2
	global_load_dwordx2 v[30:31], v[8:9], off
	global_load_dwordx2 v[32:33], v[10:11], off
	s_andn2_b64 s[42:43], s[8:9], exec
	s_andn2_b64 s[36:37], s[36:37], exec
	s_or_b64 s[34:35], s[34:35], exec
	s_waitcnt vmcnt(0)
	v_cmp_le_u64_e64 s[8:9], v[30:31], v[32:33]
	v_cmp_lt_u64_e32 vcc, v[30:31], v[32:33]
	s_and_b64 s[8:9], s[8:9], s[40:41]
	s_or_b64 s[44:45], vcc, s[8:9]
	s_and_b64 s[8:9], s[44:45], exec
	v_cmp_eq_u64_e64 s[10:11], v[30:31], v[32:33]
	s_or_b64 s[8:9], s[42:43], s[8:9]
	s_and_saveexec_b64 s[42:43], s[10:11]
	s_cbranch_execz .LBB1605_758
; %bb.760:                              ;   in Loop: Header=BB1605_759 Depth=2
	s_add_u32 s38, s38, -1
	s_addc_u32 s39, s39, -1
	v_add_co_u32_e32 v8, vcc, 8, v8
	s_cmp_eq_u64 s[38:39], 0
	v_addc_co_u32_e32 v9, vcc, 0, v9, vcc
	s_cselect_b64 s[10:11], -1, 0
	v_add_co_u32_e32 v10, vcc, 8, v10
	s_andn2_b64 s[36:37], s[36:37], exec
	s_and_b64 s[40:41], s[44:45], exec
	s_andn2_b64 s[34:35], s[34:35], exec
	s_and_b64 s[10:11], s[10:11], exec
	v_addc_co_u32_e32 v11, vcc, 0, v11, vcc
	s_andn2_b64 s[8:9], s[8:9], exec
	s_or_b64 s[36:37], s[36:37], s[40:41]
	s_or_b64 s[34:35], s[34:35], s[10:11]
                                        ; implicit-def: $sgpr40_sgpr41
	s_branch .LBB1605_758
.LBB1605_761:
	s_or_b64 exec, exec, s[14:15]
.LBB1605_762:
	s_or_b64 exec, exec, s[12:13]
	v_add_u32_e32 v9, v21, v24
	v_add_u32_e32 v8, v20, v23
	v_sub_u32_e32 v9, v9, v20
	v_cmp_le_u32_e32 vcc, v8, v21
	v_cmp_le_u32_e64 s[6:7], v9, v22
	s_or_b64 s[6:7], vcc, s[6:7]
	s_and_saveexec_b64 s[10:11], s[6:7]
	s_cbranch_execz .LBB1605_809
; %bb.763:
	v_cmp_ge_u32_e32 vcc, v8, v21
	v_cmp_lt_u32_e64 s[6:7], v8, v21
                                        ; implicit-def: $vgpr0_vgpr1
	s_and_saveexec_b64 s[8:9], s[6:7]
	s_cbranch_execz .LBB1605_765
; %bb.764:
	v_lshl_add_u32 v0, v20, 3, v19
	ds_read_b64 v[0:1], v0
.LBB1605_765:
	s_or_b64 exec, exec, s[8:9]
	v_cmp_ge_u32_e64 s[12:13], v9, v22
	v_cmp_lt_u32_e64 s[6:7], v9, v22
                                        ; implicit-def: $vgpr2_vgpr3
	s_and_saveexec_b64 s[8:9], s[6:7]
	s_cbranch_execz .LBB1605_767
; %bb.766:
	v_lshl_add_u32 v2, v9, 3, v18
	ds_read_b64 v[2:3], v2
.LBB1605_767:
	s_or_b64 exec, exec, s[8:9]
	s_or_b64 s[6:7], vcc, s[12:13]
	s_mov_b64 s[14:15], -1
	s_xor_b64 s[6:7], s[6:7], -1
	s_and_saveexec_b64 s[26:27], s[6:7]
	s_cbranch_execz .LBB1605_776
; %bb.768:
	s_andn2_b64 vcc, exec, s[22:23]
	s_cbranch_vccnz .LBB1605_774
; %bb.769:
	s_waitcnt lgkmcnt(0)
	v_mul_lo_u32 v6, v3, s16
	v_mul_lo_u32 v7, v2, s17
	v_mad_u64_u32 v[4:5], s[6:7], v2, s16, 0
	v_add3_u32 v5, v5, v7, v6
	v_lshlrev_b64 v[4:5], 3, v[4:5]
	v_mov_b32_e32 v6, s19
	v_add_co_u32_e32 v4, vcc, s18, v4
	v_addc_co_u32_e32 v5, vcc, v6, v5, vcc
	v_mul_lo_u32 v10, v1, s16
	v_mul_lo_u32 v11, v0, s17
	v_mad_u64_u32 v[6:7], s[6:7], v0, s16, 0
	v_add3_u32 v7, v7, v11, v10
	v_lshlrev_b64 v[6:7], 3, v[6:7]
	v_mov_b32_e32 v10, s19
	v_add_co_u32_e32 v6, vcc, s18, v6
	v_addc_co_u32_e32 v7, vcc, v10, v7, vcc
	s_mov_b64 s[28:29], 0
	s_mov_b64 s[38:39], s[16:17]
                                        ; implicit-def: $sgpr30_sgpr31
                                        ; implicit-def: $sgpr34_sgpr35
                                        ; implicit-def: $sgpr6_sgpr7
                                        ; implicit-def: $sgpr36_sgpr37
                                        ; implicit-def: $sgpr40_sgpr41
	s_branch .LBB1605_771
.LBB1605_770:                           ;   in Loop: Header=BB1605_771 Depth=1
	s_or_b64 exec, exec, s[42:43]
	s_and_b64 s[8:9], exec, s[34:35]
	s_or_b64 s[28:29], s[8:9], s[28:29]
	s_andn2_b64 s[8:9], s[40:41], exec
	s_and_b64 s[40:41], s[36:37], exec
	s_or_b64 s[40:41], s[8:9], s[40:41]
	s_andn2_b64 s[8:9], s[30:31], exec
	s_and_b64 s[30:31], s[6:7], exec
	s_or_b64 s[30:31], s[8:9], s[30:31]
	s_andn2_b64 exec, exec, s[28:29]
	s_cbranch_execz .LBB1605_773
.LBB1605_771:                           ; =>This Inner Loop Header: Depth=1
	global_load_dwordx2 v[10:11], v[4:5], off
	global_load_dwordx2 v[24:25], v[6:7], off
	s_andn2_b64 s[42:43], s[6:7], exec
	s_andn2_b64 s[36:37], s[36:37], exec
	s_or_b64 s[34:35], s[34:35], exec
	s_waitcnt vmcnt(0)
	v_cmp_le_u64_e64 s[6:7], v[10:11], v[24:25]
	v_cmp_lt_u64_e32 vcc, v[10:11], v[24:25]
	s_and_b64 s[6:7], s[6:7], s[40:41]
	s_or_b64 s[44:45], vcc, s[6:7]
	s_and_b64 s[6:7], s[44:45], exec
	v_cmp_eq_u64_e64 s[8:9], v[10:11], v[24:25]
	s_or_b64 s[6:7], s[42:43], s[6:7]
	s_and_saveexec_b64 s[42:43], s[8:9]
	s_cbranch_execz .LBB1605_770
; %bb.772:                              ;   in Loop: Header=BB1605_771 Depth=1
	s_add_u32 s38, s38, -1
	s_addc_u32 s39, s39, -1
	v_add_co_u32_e32 v4, vcc, 8, v4
	s_cmp_eq_u64 s[38:39], 0
	v_addc_co_u32_e32 v5, vcc, 0, v5, vcc
	s_cselect_b64 s[8:9], -1, 0
	v_add_co_u32_e32 v6, vcc, 8, v6
	s_andn2_b64 s[36:37], s[36:37], exec
	s_and_b64 s[40:41], s[44:45], exec
	s_andn2_b64 s[34:35], s[34:35], exec
	s_and_b64 s[8:9], s[8:9], exec
	v_addc_co_u32_e32 v7, vcc, 0, v7, vcc
	s_or_b64 s[36:37], s[36:37], s[40:41]
	s_andn2_b64 s[6:7], s[6:7], exec
	s_or_b64 s[34:35], s[34:35], s[8:9]
                                        ; implicit-def: $sgpr40_sgpr41
	s_branch .LBB1605_770
.LBB1605_773:
	s_or_b64 exec, exec, s[28:29]
	s_xor_b64 s[6:7], s[30:31], -1
	s_branch .LBB1605_775
.LBB1605_774:
	s_mov_b64 s[6:7], -1
.LBB1605_775:
	s_andn2_b64 s[8:9], s[12:13], exec
	s_and_b64 s[6:7], s[6:7], exec
	s_or_b64 s[12:13], s[8:9], s[6:7]
.LBB1605_776:
	s_or_b64 exec, exec, s[26:27]
	v_cndmask_b32_e64 v4, v9, v8, s[12:13]
	v_cndmask_b32_e64 v5, v22, v21, s[12:13]
	v_add_u32_e32 v6, 1, v4
	v_add_u32_e32 v4, -1, v5
	v_min_u32_e32 v4, v6, v4
	v_lshl_add_u32 v4, v4, 3, v18
	ds_read_b64 v[4:5], v4
	v_cndmask_b32_e64 v9, v6, v9, s[12:13]
	v_cndmask_b32_e64 v8, v8, v6, s[12:13]
	v_cmp_lt_u32_e32 vcc, v9, v22
	s_waitcnt lgkmcnt(0)
	v_cndmask_b32_e64 v19, v5, v3, s[12:13]
	v_cndmask_b32_e64 v20, v4, v2, s[12:13]
	;; [unrolled: 1-line block ×4, first 2 shown]
	s_and_saveexec_b64 s[26:27], vcc
	s_cbranch_execz .LBB1605_787
; %bb.777:
	v_cmp_lt_u32_e32 vcc, v8, v21
	s_mov_b64 s[6:7], 0
	s_and_saveexec_b64 s[14:15], vcc
	s_cbranch_execz .LBB1605_786
; %bb.778:
	s_andn2_b64 vcc, exec, s[22:23]
	s_cbranch_vccnz .LBB1605_784
; %bb.779:
	v_mul_lo_u32 v6, v19, s16
	v_mul_lo_u32 v7, v20, s17
	v_mad_u64_u32 v[4:5], s[6:7], v20, s16, 0
	v_add3_u32 v5, v5, v7, v6
	v_lshlrev_b64 v[4:5], 3, v[4:5]
	v_mov_b32_e32 v6, s19
	v_add_co_u32_e32 v4, vcc, s18, v4
	v_addc_co_u32_e32 v5, vcc, v6, v5, vcc
	v_mul_lo_u32 v10, v23, s16
	v_mul_lo_u32 v11, v24, s17
	v_mad_u64_u32 v[6:7], s[6:7], v24, s16, 0
	v_add3_u32 v7, v7, v11, v10
	v_lshlrev_b64 v[6:7], 3, v[6:7]
	v_mov_b32_e32 v10, s19
	v_add_co_u32_e32 v6, vcc, s18, v6
	v_addc_co_u32_e32 v7, vcc, v10, v7, vcc
	s_mov_b64 s[28:29], 0
	s_mov_b64 s[38:39], s[16:17]
                                        ; implicit-def: $sgpr30_sgpr31
                                        ; implicit-def: $sgpr34_sgpr35
                                        ; implicit-def: $sgpr6_sgpr7
                                        ; implicit-def: $sgpr36_sgpr37
                                        ; implicit-def: $sgpr40_sgpr41
	s_branch .LBB1605_781
.LBB1605_780:                           ;   in Loop: Header=BB1605_781 Depth=1
	s_or_b64 exec, exec, s[42:43]
	s_and_b64 s[8:9], exec, s[34:35]
	s_or_b64 s[28:29], s[8:9], s[28:29]
	s_andn2_b64 s[8:9], s[40:41], exec
	s_and_b64 s[40:41], s[36:37], exec
	s_or_b64 s[40:41], s[8:9], s[40:41]
	s_andn2_b64 s[8:9], s[30:31], exec
	s_and_b64 s[30:31], s[6:7], exec
	s_or_b64 s[30:31], s[8:9], s[30:31]
	s_andn2_b64 exec, exec, s[28:29]
	s_cbranch_execz .LBB1605_783
.LBB1605_781:                           ; =>This Inner Loop Header: Depth=1
	global_load_dwordx2 v[10:11], v[4:5], off
	global_load_dwordx2 v[28:29], v[6:7], off
	s_andn2_b64 s[42:43], s[6:7], exec
	s_andn2_b64 s[36:37], s[36:37], exec
	s_or_b64 s[34:35], s[34:35], exec
	s_waitcnt vmcnt(0)
	v_cmp_le_u64_e64 s[6:7], v[10:11], v[28:29]
	v_cmp_lt_u64_e32 vcc, v[10:11], v[28:29]
	s_and_b64 s[6:7], s[6:7], s[40:41]
	s_or_b64 s[44:45], vcc, s[6:7]
	s_and_b64 s[6:7], s[44:45], exec
	v_cmp_eq_u64_e64 s[8:9], v[10:11], v[28:29]
	s_or_b64 s[6:7], s[42:43], s[6:7]
	s_and_saveexec_b64 s[42:43], s[8:9]
	s_cbranch_execz .LBB1605_780
; %bb.782:                              ;   in Loop: Header=BB1605_781 Depth=1
	s_add_u32 s38, s38, -1
	s_addc_u32 s39, s39, -1
	v_add_co_u32_e32 v4, vcc, 8, v4
	s_cmp_eq_u64 s[38:39], 0
	v_addc_co_u32_e32 v5, vcc, 0, v5, vcc
	s_cselect_b64 s[8:9], -1, 0
	v_add_co_u32_e32 v6, vcc, 8, v6
	s_andn2_b64 s[36:37], s[36:37], exec
	s_and_b64 s[40:41], s[44:45], exec
	s_andn2_b64 s[34:35], s[34:35], exec
	s_and_b64 s[8:9], s[8:9], exec
	v_addc_co_u32_e32 v7, vcc, 0, v7, vcc
	s_or_b64 s[36:37], s[36:37], s[40:41]
	s_andn2_b64 s[6:7], s[6:7], exec
	s_or_b64 s[34:35], s[34:35], s[8:9]
                                        ; implicit-def: $sgpr40_sgpr41
	s_branch .LBB1605_780
.LBB1605_783:
	s_or_b64 exec, exec, s[28:29]
	s_xor_b64 s[6:7], s[30:31], -1
	s_branch .LBB1605_785
.LBB1605_784:
	s_mov_b64 s[6:7], -1
.LBB1605_785:
	s_and_b64 s[6:7], s[6:7], exec
.LBB1605_786:
	s_or_b64 exec, exec, s[14:15]
	s_orn2_b64 s[14:15], s[6:7], exec
.LBB1605_787:
	s_or_b64 exec, exec, s[26:27]
	v_cndmask_b32_e64 v4, v9, v8, s[14:15]
	v_cndmask_b32_e64 v5, v22, v21, s[14:15]
	v_add_u32_e32 v6, 1, v4
	v_add_u32_e32 v4, -1, v5
	v_min_u32_e32 v4, v6, v4
	v_lshl_add_u32 v4, v4, 3, v18
	ds_read_b64 v[4:5], v4
	v_cndmask_b32_e64 v9, v6, v9, s[14:15]
	v_cndmask_b32_e64 v8, v8, v6, s[14:15]
	v_cmp_lt_u32_e32 vcc, v9, v22
	s_mov_b64 s[26:27], -1
	s_waitcnt lgkmcnt(0)
	v_cndmask_b32_e64 v25, v5, v19, s[14:15]
	v_cndmask_b32_e64 v28, v4, v20, s[14:15]
	v_cndmask_b32_e64 v29, v23, v5, s[14:15]
	v_cndmask_b32_e64 v30, v24, v4, s[14:15]
	s_and_saveexec_b64 s[28:29], vcc
	s_cbranch_execz .LBB1605_798
; %bb.788:
	v_cmp_lt_u32_e32 vcc, v8, v21
	s_mov_b64 s[6:7], 0
	s_and_saveexec_b64 s[26:27], vcc
	s_cbranch_execz .LBB1605_797
; %bb.789:
	s_andn2_b64 vcc, exec, s[22:23]
	s_cbranch_vccnz .LBB1605_795
; %bb.790:
	v_mul_lo_u32 v6, v25, s16
	v_mul_lo_u32 v7, v28, s17
	v_mad_u64_u32 v[4:5], s[6:7], v28, s16, 0
	v_add3_u32 v5, v5, v7, v6
	v_lshlrev_b64 v[4:5], 3, v[4:5]
	v_mov_b32_e32 v6, s19
	v_add_co_u32_e32 v4, vcc, s18, v4
	v_addc_co_u32_e32 v5, vcc, v6, v5, vcc
	v_mul_lo_u32 v10, v29, s16
	v_mul_lo_u32 v11, v30, s17
	v_mad_u64_u32 v[6:7], s[6:7], v30, s16, 0
	v_add3_u32 v7, v7, v11, v10
	v_lshlrev_b64 v[6:7], 3, v[6:7]
	v_mov_b32_e32 v10, s19
	v_add_co_u32_e32 v6, vcc, s18, v6
	v_addc_co_u32_e32 v7, vcc, v10, v7, vcc
	s_mov_b64 s[30:31], 0
	s_mov_b64 s[40:41], s[16:17]
                                        ; implicit-def: $sgpr34_sgpr35
                                        ; implicit-def: $sgpr36_sgpr37
                                        ; implicit-def: $sgpr6_sgpr7
                                        ; implicit-def: $sgpr38_sgpr39
                                        ; implicit-def: $sgpr42_sgpr43
	s_branch .LBB1605_792
.LBB1605_791:                           ;   in Loop: Header=BB1605_792 Depth=1
	s_or_b64 exec, exec, s[44:45]
	s_and_b64 s[8:9], exec, s[36:37]
	s_or_b64 s[30:31], s[8:9], s[30:31]
	s_andn2_b64 s[8:9], s[42:43], exec
	s_and_b64 s[42:43], s[38:39], exec
	s_or_b64 s[42:43], s[8:9], s[42:43]
	s_andn2_b64 s[8:9], s[34:35], exec
	s_and_b64 s[34:35], s[6:7], exec
	s_or_b64 s[34:35], s[8:9], s[34:35]
	s_andn2_b64 exec, exec, s[30:31]
	s_cbranch_execz .LBB1605_794
.LBB1605_792:                           ; =>This Inner Loop Header: Depth=1
	global_load_dwordx2 v[10:11], v[4:5], off
	global_load_dwordx2 v[32:33], v[6:7], off
	s_andn2_b64 s[44:45], s[6:7], exec
	s_andn2_b64 s[38:39], s[38:39], exec
	s_or_b64 s[36:37], s[36:37], exec
	s_waitcnt vmcnt(0)
	v_cmp_le_u64_e64 s[6:7], v[10:11], v[32:33]
	v_cmp_lt_u64_e32 vcc, v[10:11], v[32:33]
	s_and_b64 s[6:7], s[6:7], s[42:43]
	s_or_b64 s[46:47], vcc, s[6:7]
	s_and_b64 s[6:7], s[46:47], exec
	v_cmp_eq_u64_e64 s[8:9], v[10:11], v[32:33]
	s_or_b64 s[6:7], s[44:45], s[6:7]
	s_and_saveexec_b64 s[44:45], s[8:9]
	s_cbranch_execz .LBB1605_791
; %bb.793:                              ;   in Loop: Header=BB1605_792 Depth=1
	s_add_u32 s40, s40, -1
	s_addc_u32 s41, s41, -1
	v_add_co_u32_e32 v4, vcc, 8, v4
	s_cmp_eq_u64 s[40:41], 0
	v_addc_co_u32_e32 v5, vcc, 0, v5, vcc
	s_cselect_b64 s[8:9], -1, 0
	v_add_co_u32_e32 v6, vcc, 8, v6
	s_andn2_b64 s[38:39], s[38:39], exec
	s_and_b64 s[42:43], s[46:47], exec
	s_andn2_b64 s[36:37], s[36:37], exec
	s_and_b64 s[8:9], s[8:9], exec
	v_addc_co_u32_e32 v7, vcc, 0, v7, vcc
	s_or_b64 s[38:39], s[38:39], s[42:43]
	s_andn2_b64 s[6:7], s[6:7], exec
	s_or_b64 s[36:37], s[36:37], s[8:9]
                                        ; implicit-def: $sgpr42_sgpr43
	s_branch .LBB1605_791
.LBB1605_794:
	s_or_b64 exec, exec, s[30:31]
	s_xor_b64 s[6:7], s[34:35], -1
	s_branch .LBB1605_796
.LBB1605_795:
	s_mov_b64 s[6:7], -1
.LBB1605_796:
	s_and_b64 s[6:7], s[6:7], exec
.LBB1605_797:
	s_or_b64 exec, exec, s[26:27]
	s_orn2_b64 s[26:27], s[6:7], exec
.LBB1605_798:
	s_or_b64 exec, exec, s[28:29]
	v_cndmask_b32_e64 v4, v9, v8, s[26:27]
	v_cndmask_b32_e64 v5, v22, v21, s[26:27]
	v_add_u32_e32 v10, 1, v4
	v_add_u32_e32 v4, -1, v5
	v_min_u32_e32 v4, v10, v4
	v_lshl_add_u32 v4, v4, 3, v18
	ds_read_b64 v[4:5], v4
	v_cndmask_b32_e64 v9, v10, v9, s[26:27]
	v_cmp_lt_u32_e32 vcc, v9, v22
	s_waitcnt lgkmcnt(0)
	v_cndmask_b32_e64 v7, v29, v5, s[26:27]
	v_cndmask_b32_e64 v6, v30, v4, s[26:27]
	s_and_saveexec_b64 s[28:29], vcc
	s_cbranch_execz .LBB1605_808
; %bb.799:
	v_cndmask_b32_e64 v8, v8, v10, s[26:27]
	v_cndmask_b32_e64 v5, v5, v25, s[26:27]
	v_cndmask_b32_e64 v4, v4, v28, s[26:27]
	v_cmp_lt_u32_e32 vcc, v8, v21
	s_and_saveexec_b64 s[30:31], vcc
	s_cbranch_execz .LBB1605_807
; %bb.800:
	s_andn2_b64 vcc, exec, s[22:23]
	s_cbranch_vccnz .LBB1605_806
; %bb.801:
	v_mul_lo_u32 v10, v5, s16
	v_mul_lo_u32 v11, v4, s17
	v_mad_u64_u32 v[8:9], s[6:7], v4, s16, 0
	v_add3_u32 v9, v9, v11, v10
	v_lshlrev_b64 v[8:9], 3, v[8:9]
	v_mov_b32_e32 v10, s19
	v_add_co_u32_e32 v8, vcc, s18, v8
	v_addc_co_u32_e32 v9, vcc, v10, v9, vcc
	v_mul_lo_u32 v18, v7, s16
	v_mul_lo_u32 v21, v6, s17
	v_mad_u64_u32 v[10:11], s[6:7], v6, s16, 0
	v_add3_u32 v11, v11, v21, v18
	v_lshlrev_b64 v[10:11], 3, v[10:11]
	v_mov_b32_e32 v18, s19
	v_add_co_u32_e32 v10, vcc, s18, v10
	v_addc_co_u32_e32 v11, vcc, v18, v11, vcc
	s_mov_b64 s[34:35], 0
	s_mov_b64 s[42:43], s[16:17]
                                        ; implicit-def: $sgpr36_sgpr37
                                        ; implicit-def: $sgpr38_sgpr39
                                        ; implicit-def: $sgpr6_sgpr7
                                        ; implicit-def: $sgpr40_sgpr41
                                        ; implicit-def: $sgpr44_sgpr45
	s_branch .LBB1605_803
.LBB1605_802:                           ;   in Loop: Header=BB1605_803 Depth=1
	s_or_b64 exec, exec, s[46:47]
	s_and_b64 s[8:9], exec, s[38:39]
	s_or_b64 s[34:35], s[8:9], s[34:35]
	s_andn2_b64 s[8:9], s[44:45], exec
	s_and_b64 s[44:45], s[40:41], exec
	s_or_b64 s[44:45], s[8:9], s[44:45]
	s_andn2_b64 s[8:9], s[36:37], exec
	s_and_b64 s[36:37], s[6:7], exec
	s_or_b64 s[36:37], s[8:9], s[36:37]
	s_andn2_b64 exec, exec, s[34:35]
	s_cbranch_execz .LBB1605_805
.LBB1605_803:                           ; =>This Inner Loop Header: Depth=1
	global_load_dwordx2 v[32:33], v[8:9], off
	global_load_dwordx2 v[34:35], v[10:11], off
	s_andn2_b64 s[46:47], s[6:7], exec
	s_andn2_b64 s[40:41], s[40:41], exec
	s_or_b64 s[38:39], s[38:39], exec
	s_waitcnt vmcnt(0)
	v_cmp_le_u64_e64 s[6:7], v[32:33], v[34:35]
	v_cmp_lt_u64_e32 vcc, v[32:33], v[34:35]
	s_and_b64 s[6:7], s[6:7], s[44:45]
	s_or_b64 s[48:49], vcc, s[6:7]
	s_and_b64 s[6:7], s[48:49], exec
	v_cmp_eq_u64_e64 s[8:9], v[32:33], v[34:35]
	s_or_b64 s[6:7], s[46:47], s[6:7]
	s_and_saveexec_b64 s[46:47], s[8:9]
	s_cbranch_execz .LBB1605_802
; %bb.804:                              ;   in Loop: Header=BB1605_803 Depth=1
	s_add_u32 s42, s42, -1
	s_addc_u32 s43, s43, -1
	v_add_co_u32_e32 v8, vcc, 8, v8
	s_cmp_eq_u64 s[42:43], 0
	v_addc_co_u32_e32 v9, vcc, 0, v9, vcc
	s_cselect_b64 s[8:9], -1, 0
	v_add_co_u32_e32 v10, vcc, 8, v10
	s_andn2_b64 s[40:41], s[40:41], exec
	s_and_b64 s[44:45], s[48:49], exec
	s_andn2_b64 s[38:39], s[38:39], exec
	s_and_b64 s[8:9], s[8:9], exec
	v_addc_co_u32_e32 v11, vcc, 0, v11, vcc
	s_or_b64 s[40:41], s[40:41], s[44:45]
	s_andn2_b64 s[6:7], s[6:7], exec
	s_or_b64 s[38:39], s[38:39], s[8:9]
                                        ; implicit-def: $sgpr44_sgpr45
	s_branch .LBB1605_802
.LBB1605_805:
	s_or_b64 exec, exec, s[34:35]
	v_cndmask_b32_e64 v7, v7, v5, s[36:37]
	v_cndmask_b32_e64 v6, v6, v4, s[36:37]
.LBB1605_806:
	v_pk_mov_b32 v[4:5], v[6:7], v[6:7] op_sel:[0,1]
.LBB1605_807:
	s_or_b64 exec, exec, s[30:31]
	v_pk_mov_b32 v[6:7], v[4:5], v[4:5] op_sel:[0,1]
.LBB1605_808:
	s_or_b64 exec, exec, s[28:29]
	v_cndmask_b32_e64 v1, v3, v1, s[12:13]
	v_cndmask_b32_e64 v0, v2, v0, s[12:13]
	;; [unrolled: 1-line block ×6, first 2 shown]
.LBB1605_809:
	s_or_b64 exec, exec, s[10:11]
	s_cmpk_lt_u32 s33, 0x41
	; wave barrier
	s_waitcnt lgkmcnt(0)
	s_barrier
	s_cbranch_scc1 .LBB1605_869
; %bb.810:
	v_cndmask_b32_e64 v8, 0, 1, s[22:23]
	v_lshlrev_b32_e32 v18, 3, v27
	s_lshl_b64 s[12:13], s[16:17], 3
	s_mov_b32 s52, 64
	v_cmp_ne_u32_e64 s[6:7], 1, v8
	s_branch .LBB1605_816
.LBB1605_811:                           ;   in Loop: Header=BB1605_816 Depth=1
	s_or_b64 exec, exec, s[36:37]
	v_cndmask_b32_e64 v7, v7, v5, s[38:39]
	v_cndmask_b32_e64 v6, v6, v4, s[38:39]
.LBB1605_812:                           ;   in Loop: Header=BB1605_816 Depth=1
	v_pk_mov_b32 v[4:5], v[6:7], v[6:7] op_sel:[0,1]
.LBB1605_813:                           ;   in Loop: Header=BB1605_816 Depth=1
	s_or_b64 exec, exec, s[34:35]
	v_pk_mov_b32 v[6:7], v[4:5], v[4:5] op_sel:[0,1]
.LBB1605_814:                           ;   in Loop: Header=BB1605_816 Depth=1
	s_or_b64 exec, exec, s[30:31]
	v_cndmask_b32_e64 v1, v3, v1, s[22:23]
	v_cndmask_b32_e64 v0, v2, v0, s[22:23]
	;; [unrolled: 1-line block ×6, first 2 shown]
.LBB1605_815:                           ;   in Loop: Header=BB1605_816 Depth=1
	s_or_b64 exec, exec, s[14:15]
	s_cmp_lt_u32 s52, s33
	s_barrier
	s_cbranch_scc0 .LBB1605_869
.LBB1605_816:                           ; =>This Loop Header: Depth=1
                                        ;     Child Loop BB1605_820 Depth 2
                                        ;       Child Loop BB1605_823 Depth 3
                                        ;     Child Loop BB1605_835 Depth 2
                                        ;     Child Loop BB1605_845 Depth 2
	;; [unrolled: 1-line block ×4, first 2 shown]
	s_mov_b32 s8, s52
	s_lshl_b32 s52, s52, 1
	s_sub_i32 s10, 0, s52
	v_and_b32_e32 v23, s10, v27
	v_add_u32_e32 v8, s8, v23
	v_min_u32_e32 v19, s33, v8
	s_add_i32 s9, s52, -1
	v_add_u32_e32 v8, s8, v19
	v_min_u32_e32 v20, s33, v8
	v_and_b32_e32 v8, s9, v27
	v_min_u32_e32 v24, s33, v8
	v_sub_u32_e32 v8, v19, v23
	v_sub_u32_e32 v9, v20, v19
	v_sub_u32_e64 v22, v24, v9 clamp
	v_min_u32_e32 v25, v24, v8
	v_lshlrev_b32_e32 v21, 3, v23
	v_cmp_lt_u32_e32 vcc, v22, v25
	ds_write_b128 v18, v[0:3]
	ds_write_b128 v18, v[4:7] offset:16
	s_waitcnt lgkmcnt(0)
	s_barrier
	s_and_saveexec_b64 s[14:15], vcc
	s_cbranch_execz .LBB1605_826
; %bb.817:                              ;   in Loop: Header=BB1605_816 Depth=1
	v_lshlrev_b32_e32 v8, 3, v24
	v_lshl_add_u32 v28, v19, 3, v8
	s_mov_b64 s[22:23], 0
	s_branch .LBB1605_820
.LBB1605_818:                           ;   in Loop: Header=BB1605_820 Depth=2
	s_or_b64 exec, exec, s[28:29]
.LBB1605_819:                           ;   in Loop: Header=BB1605_820 Depth=2
	v_add_u32_e32 v8, 1, v29
	v_cndmask_b32_e64 v25, v25, v29, s[26:27]
	v_cndmask_b32_e64 v22, v8, v22, s[26:27]
	v_cmp_ge_u32_e32 vcc, v22, v25
	s_or_b64 s[22:23], vcc, s[22:23]
	s_andn2_b64 exec, exec, s[22:23]
	s_cbranch_execz .LBB1605_825
.LBB1605_820:                           ;   Parent Loop BB1605_816 Depth=1
                                        ; =>  This Loop Header: Depth=2
                                        ;       Child Loop BB1605_823 Depth 3
	v_add_u32_e32 v8, v25, v22
	v_lshrrev_b32_e32 v29, 1, v8
	s_and_b64 vcc, exec, s[6:7]
	s_mov_b64 s[26:27], 0
	s_cbranch_vccnz .LBB1605_819
; %bb.821:                              ;   in Loop: Header=BB1605_820 Depth=2
	v_not_b32_e32 v8, v29
	v_lshl_add_u32 v8, v8, 3, v28
	ds_read_b64 v[8:9], v8
	v_lshl_add_u32 v30, v29, 3, v21
	ds_read_b64 v[30:31], v30
	v_pk_mov_b32 v[10:11], s[18:19], s[18:19] op_sel:[0,1]
	s_mov_b64 s[28:29], 0
	s_waitcnt lgkmcnt(1)
	v_mul_lo_u32 v32, s12, v9
	v_mul_lo_u32 v33, s13, v8
	v_mad_u64_u32 v[8:9], s[8:9], s12, v8, v[10:11]
	v_add3_u32 v9, v33, v9, v32
	s_waitcnt lgkmcnt(0)
	v_mul_lo_u32 v31, s12, v31
	v_mul_lo_u32 v32, s13, v30
	v_mad_u64_u32 v[10:11], s[8:9], s12, v30, v[10:11]
	v_add3_u32 v11, v32, v11, v31
	s_mov_b64 s[36:37], s[16:17]
                                        ; implicit-def: $sgpr26_sgpr27
                                        ; implicit-def: $sgpr30_sgpr31
                                        ; implicit-def: $sgpr34_sgpr35
                                        ; implicit-def: $sgpr8_sgpr9
                                        ; implicit-def: $sgpr38_sgpr39
	s_branch .LBB1605_823
.LBB1605_822:                           ;   in Loop: Header=BB1605_823 Depth=3
	s_or_b64 exec, exec, s[40:41]
	s_and_b64 s[10:11], exec, s[30:31]
	s_or_b64 s[28:29], s[10:11], s[28:29]
	s_andn2_b64 s[10:11], s[38:39], exec
	s_and_b64 s[38:39], s[34:35], exec
	s_or_b64 s[38:39], s[10:11], s[38:39]
	s_andn2_b64 s[10:11], s[26:27], exec
	s_and_b64 s[26:27], s[8:9], exec
	s_or_b64 s[26:27], s[10:11], s[26:27]
	s_andn2_b64 exec, exec, s[28:29]
	s_cbranch_execz .LBB1605_818
.LBB1605_823:                           ;   Parent Loop BB1605_816 Depth=1
                                        ;     Parent Loop BB1605_820 Depth=2
                                        ; =>    This Inner Loop Header: Depth=3
	global_load_dwordx2 v[30:31], v[8:9], off
	global_load_dwordx2 v[32:33], v[10:11], off
	s_andn2_b64 s[40:41], s[8:9], exec
	s_andn2_b64 s[34:35], s[34:35], exec
	s_or_b64 s[30:31], s[30:31], exec
	s_waitcnt vmcnt(0)
	v_cmp_le_u64_e64 s[8:9], v[30:31], v[32:33]
	v_cmp_lt_u64_e32 vcc, v[30:31], v[32:33]
	s_and_b64 s[8:9], s[8:9], s[38:39]
	s_or_b64 s[42:43], vcc, s[8:9]
	s_and_b64 s[8:9], s[42:43], exec
	v_cmp_eq_u64_e64 s[10:11], v[30:31], v[32:33]
	s_or_b64 s[8:9], s[40:41], s[8:9]
	s_and_saveexec_b64 s[40:41], s[10:11]
	s_cbranch_execz .LBB1605_822
; %bb.824:                              ;   in Loop: Header=BB1605_823 Depth=3
	s_add_u32 s36, s36, -1
	s_addc_u32 s37, s37, -1
	v_add_co_u32_e32 v8, vcc, 8, v8
	s_cmp_eq_u64 s[36:37], 0
	v_addc_co_u32_e32 v9, vcc, 0, v9, vcc
	s_cselect_b64 s[10:11], -1, 0
	v_add_co_u32_e32 v10, vcc, 8, v10
	s_andn2_b64 s[34:35], s[34:35], exec
	s_and_b64 s[38:39], s[42:43], exec
	s_andn2_b64 s[30:31], s[30:31], exec
	s_and_b64 s[10:11], s[10:11], exec
	v_addc_co_u32_e32 v11, vcc, 0, v11, vcc
	s_andn2_b64 s[8:9], s[8:9], exec
	s_or_b64 s[34:35], s[34:35], s[38:39]
	s_or_b64 s[30:31], s[30:31], s[10:11]
                                        ; implicit-def: $sgpr38_sgpr39
	s_branch .LBB1605_822
.LBB1605_825:                           ;   in Loop: Header=BB1605_816 Depth=1
	s_or_b64 exec, exec, s[22:23]
.LBB1605_826:                           ;   in Loop: Header=BB1605_816 Depth=1
	s_or_b64 exec, exec, s[14:15]
	v_sub_u32_e32 v9, v24, v22
	v_add_u32_e32 v8, v22, v23
	v_add_u32_e32 v9, v9, v19
	v_cmp_le_u32_e32 vcc, v8, v19
	v_cmp_le_u32_e64 s[8:9], v9, v20
	s_or_b64 s[8:9], vcc, s[8:9]
	s_and_saveexec_b64 s[14:15], s[8:9]
	s_cbranch_execz .LBB1605_815
; %bb.827:                              ;   in Loop: Header=BB1605_816 Depth=1
	v_cmp_ge_u32_e32 vcc, v8, v19
	v_cmp_lt_u32_e64 s[8:9], v8, v19
                                        ; implicit-def: $vgpr0_vgpr1
	s_and_saveexec_b64 s[10:11], s[8:9]
	s_cbranch_execz .LBB1605_829
; %bb.828:                              ;   in Loop: Header=BB1605_816 Depth=1
	v_lshl_add_u32 v0, v22, 3, v21
	ds_read_b64 v[0:1], v0
.LBB1605_829:                           ;   in Loop: Header=BB1605_816 Depth=1
	s_or_b64 exec, exec, s[10:11]
	v_cmp_ge_u32_e64 s[22:23], v9, v20
	v_cmp_lt_u32_e64 s[8:9], v9, v20
                                        ; implicit-def: $vgpr2_vgpr3
	s_and_saveexec_b64 s[10:11], s[8:9]
	s_cbranch_execz .LBB1605_831
; %bb.830:                              ;   in Loop: Header=BB1605_816 Depth=1
	v_lshlrev_b32_e32 v2, 3, v9
	ds_read_b64 v[2:3], v2
.LBB1605_831:                           ;   in Loop: Header=BB1605_816 Depth=1
	s_or_b64 exec, exec, s[10:11]
	s_or_b64 s[8:9], vcc, s[22:23]
	s_xor_b64 s[8:9], s[8:9], -1
	s_and_saveexec_b64 s[26:27], s[8:9]
	s_cbranch_execz .LBB1605_840
; %bb.832:                              ;   in Loop: Header=BB1605_816 Depth=1
	s_and_b64 vcc, exec, s[6:7]
	s_cbranch_vccnz .LBB1605_838
; %bb.833:                              ;   in Loop: Header=BB1605_816 Depth=1
	v_pk_mov_b32 v[6:7], s[18:19], s[18:19] op_sel:[0,1]
	s_waitcnt lgkmcnt(0)
	v_mad_u64_u32 v[4:5], s[8:9], s12, v2, v[6:7]
	v_mul_lo_u32 v10, s12, v3
	v_mul_lo_u32 v11, s13, v2
	v_add3_u32 v5, v11, v5, v10
	v_mad_u64_u32 v[6:7], s[8:9], s12, v0, v[6:7]
	v_mul_lo_u32 v10, s12, v1
	v_mul_lo_u32 v11, s13, v0
	v_add3_u32 v7, v11, v7, v10
	s_mov_b64 s[28:29], 0
	s_mov_b64 s[38:39], s[16:17]
                                        ; implicit-def: $sgpr30_sgpr31
                                        ; implicit-def: $sgpr34_sgpr35
                                        ; implicit-def: $sgpr8_sgpr9
                                        ; implicit-def: $sgpr36_sgpr37
                                        ; implicit-def: $sgpr40_sgpr41
	s_branch .LBB1605_835
.LBB1605_834:                           ;   in Loop: Header=BB1605_835 Depth=2
	s_or_b64 exec, exec, s[42:43]
	s_and_b64 s[10:11], exec, s[34:35]
	s_or_b64 s[28:29], s[10:11], s[28:29]
	s_andn2_b64 s[10:11], s[40:41], exec
	s_and_b64 s[40:41], s[36:37], exec
	s_or_b64 s[40:41], s[10:11], s[40:41]
	s_andn2_b64 s[10:11], s[30:31], exec
	s_and_b64 s[30:31], s[8:9], exec
	s_or_b64 s[30:31], s[10:11], s[30:31]
	s_andn2_b64 exec, exec, s[28:29]
	s_cbranch_execz .LBB1605_837
.LBB1605_835:                           ;   Parent Loop BB1605_816 Depth=1
                                        ; =>  This Inner Loop Header: Depth=2
	global_load_dwordx2 v[10:11], v[4:5], off
	global_load_dwordx2 v[22:23], v[6:7], off
	s_andn2_b64 s[42:43], s[8:9], exec
	s_andn2_b64 s[36:37], s[36:37], exec
	s_or_b64 s[34:35], s[34:35], exec
	s_waitcnt vmcnt(0)
	v_cmp_le_u64_e64 s[8:9], v[10:11], v[22:23]
	v_cmp_lt_u64_e32 vcc, v[10:11], v[22:23]
	s_and_b64 s[8:9], s[8:9], s[40:41]
	s_or_b64 s[44:45], vcc, s[8:9]
	s_and_b64 s[8:9], s[44:45], exec
	v_cmp_eq_u64_e64 s[10:11], v[10:11], v[22:23]
	s_or_b64 s[8:9], s[42:43], s[8:9]
	s_and_saveexec_b64 s[42:43], s[10:11]
	s_cbranch_execz .LBB1605_834
; %bb.836:                              ;   in Loop: Header=BB1605_835 Depth=2
	s_add_u32 s38, s38, -1
	s_addc_u32 s39, s39, -1
	v_add_co_u32_e32 v4, vcc, 8, v4
	s_cmp_eq_u64 s[38:39], 0
	v_addc_co_u32_e32 v5, vcc, 0, v5, vcc
	s_cselect_b64 s[10:11], -1, 0
	v_add_co_u32_e32 v6, vcc, 8, v6
	s_andn2_b64 s[36:37], s[36:37], exec
	s_and_b64 s[40:41], s[44:45], exec
	s_andn2_b64 s[34:35], s[34:35], exec
	s_and_b64 s[10:11], s[10:11], exec
	v_addc_co_u32_e32 v7, vcc, 0, v7, vcc
	s_or_b64 s[36:37], s[36:37], s[40:41]
	s_andn2_b64 s[8:9], s[8:9], exec
	s_or_b64 s[34:35], s[34:35], s[10:11]
                                        ; implicit-def: $sgpr40_sgpr41
	s_branch .LBB1605_834
.LBB1605_837:                           ;   in Loop: Header=BB1605_816 Depth=1
	s_or_b64 exec, exec, s[28:29]
	s_xor_b64 s[8:9], s[30:31], -1
	s_branch .LBB1605_839
.LBB1605_838:                           ;   in Loop: Header=BB1605_816 Depth=1
	s_mov_b64 s[8:9], -1
.LBB1605_839:                           ;   in Loop: Header=BB1605_816 Depth=1
	s_andn2_b64 s[10:11], s[22:23], exec
	s_and_b64 s[8:9], s[8:9], exec
	s_or_b64 s[22:23], s[10:11], s[8:9]
.LBB1605_840:                           ;   in Loop: Header=BB1605_816 Depth=1
	s_or_b64 exec, exec, s[26:27]
	v_cndmask_b32_e64 v4, v9, v8, s[22:23]
	v_cndmask_b32_e64 v5, v20, v19, s[22:23]
	v_add_u32_e32 v6, 1, v4
	v_add_u32_e32 v4, -1, v5
	v_min_u32_e32 v4, v6, v4
	v_lshlrev_b32_e32 v4, 3, v4
	ds_read_b64 v[4:5], v4
	v_cndmask_b32_e64 v9, v6, v9, s[22:23]
	v_cndmask_b32_e64 v8, v8, v6, s[22:23]
	v_cmp_lt_u32_e32 vcc, v9, v20
	s_mov_b64 s[26:27], -1
	s_waitcnt lgkmcnt(0)
	v_cndmask_b32_e64 v21, v5, v3, s[22:23]
	v_cndmask_b32_e64 v22, v4, v2, s[22:23]
	;; [unrolled: 1-line block ×4, first 2 shown]
	s_mov_b64 s[28:29], -1
	s_and_saveexec_b64 s[30:31], vcc
	s_cbranch_execz .LBB1605_851
; %bb.841:                              ;   in Loop: Header=BB1605_816 Depth=1
	v_cmp_lt_u32_e32 vcc, v8, v19
	s_mov_b64 s[8:9], 0
	s_and_saveexec_b64 s[28:29], vcc
	s_cbranch_execz .LBB1605_850
; %bb.842:                              ;   in Loop: Header=BB1605_816 Depth=1
	s_and_b64 vcc, exec, s[6:7]
	s_cbranch_vccnz .LBB1605_848
; %bb.843:                              ;   in Loop: Header=BB1605_816 Depth=1
	v_pk_mov_b32 v[6:7], s[18:19], s[18:19] op_sel:[0,1]
	v_mad_u64_u32 v[4:5], s[8:9], s12, v22, v[6:7]
	v_mul_lo_u32 v10, s12, v21
	v_mul_lo_u32 v11, s13, v22
	v_add3_u32 v5, v11, v5, v10
	v_mad_u64_u32 v[6:7], s[8:9], s12, v24, v[6:7]
	v_mul_lo_u32 v10, s12, v23
	v_mul_lo_u32 v11, s13, v24
	v_add3_u32 v7, v11, v7, v10
	s_mov_b64 s[34:35], 0
	s_mov_b64 s[42:43], s[16:17]
                                        ; implicit-def: $sgpr36_sgpr37
                                        ; implicit-def: $sgpr38_sgpr39
                                        ; implicit-def: $sgpr8_sgpr9
                                        ; implicit-def: $sgpr40_sgpr41
                                        ; implicit-def: $sgpr44_sgpr45
	s_branch .LBB1605_845
.LBB1605_844:                           ;   in Loop: Header=BB1605_845 Depth=2
	s_or_b64 exec, exec, s[46:47]
	s_and_b64 s[10:11], exec, s[38:39]
	s_or_b64 s[34:35], s[10:11], s[34:35]
	s_andn2_b64 s[10:11], s[44:45], exec
	s_and_b64 s[44:45], s[40:41], exec
	s_or_b64 s[44:45], s[10:11], s[44:45]
	s_andn2_b64 s[10:11], s[36:37], exec
	s_and_b64 s[36:37], s[8:9], exec
	s_or_b64 s[36:37], s[10:11], s[36:37]
	s_andn2_b64 exec, exec, s[34:35]
	s_cbranch_execz .LBB1605_847
.LBB1605_845:                           ;   Parent Loop BB1605_816 Depth=1
                                        ; =>  This Inner Loop Header: Depth=2
	global_load_dwordx2 v[10:11], v[4:5], off
	global_load_dwordx2 v[28:29], v[6:7], off
	s_andn2_b64 s[46:47], s[8:9], exec
	s_andn2_b64 s[40:41], s[40:41], exec
	s_or_b64 s[38:39], s[38:39], exec
	s_waitcnt vmcnt(0)
	v_cmp_le_u64_e64 s[8:9], v[10:11], v[28:29]
	v_cmp_lt_u64_e32 vcc, v[10:11], v[28:29]
	s_and_b64 s[8:9], s[8:9], s[44:45]
	s_or_b64 s[48:49], vcc, s[8:9]
	s_and_b64 s[8:9], s[48:49], exec
	v_cmp_eq_u64_e64 s[10:11], v[10:11], v[28:29]
	s_or_b64 s[8:9], s[46:47], s[8:9]
	s_and_saveexec_b64 s[46:47], s[10:11]
	s_cbranch_execz .LBB1605_844
; %bb.846:                              ;   in Loop: Header=BB1605_845 Depth=2
	s_add_u32 s42, s42, -1
	s_addc_u32 s43, s43, -1
	v_add_co_u32_e32 v4, vcc, 8, v4
	s_cmp_eq_u64 s[42:43], 0
	v_addc_co_u32_e32 v5, vcc, 0, v5, vcc
	s_cselect_b64 s[10:11], -1, 0
	v_add_co_u32_e32 v6, vcc, 8, v6
	s_andn2_b64 s[40:41], s[40:41], exec
	s_and_b64 s[44:45], s[48:49], exec
	s_andn2_b64 s[38:39], s[38:39], exec
	s_and_b64 s[10:11], s[10:11], exec
	v_addc_co_u32_e32 v7, vcc, 0, v7, vcc
	s_or_b64 s[40:41], s[40:41], s[44:45]
	s_andn2_b64 s[8:9], s[8:9], exec
	s_or_b64 s[38:39], s[38:39], s[10:11]
                                        ; implicit-def: $sgpr44_sgpr45
	s_branch .LBB1605_844
.LBB1605_847:                           ;   in Loop: Header=BB1605_816 Depth=1
	s_or_b64 exec, exec, s[34:35]
	s_xor_b64 s[8:9], s[36:37], -1
	s_branch .LBB1605_849
.LBB1605_848:                           ;   in Loop: Header=BB1605_816 Depth=1
	s_mov_b64 s[8:9], -1
.LBB1605_849:                           ;   in Loop: Header=BB1605_816 Depth=1
	s_and_b64 s[8:9], s[8:9], exec
.LBB1605_850:                           ;   in Loop: Header=BB1605_816 Depth=1
	s_or_b64 exec, exec, s[28:29]
	s_orn2_b64 s[28:29], s[8:9], exec
.LBB1605_851:                           ;   in Loop: Header=BB1605_816 Depth=1
	s_or_b64 exec, exec, s[30:31]
	v_cndmask_b32_e64 v4, v9, v8, s[28:29]
	v_cndmask_b32_e64 v5, v20, v19, s[28:29]
	v_add_u32_e32 v6, 1, v4
	v_add_u32_e32 v4, -1, v5
	v_min_u32_e32 v4, v6, v4
	v_lshlrev_b32_e32 v4, 3, v4
	ds_read_b64 v[4:5], v4
	v_cndmask_b32_e64 v9, v6, v9, s[28:29]
	v_cndmask_b32_e64 v8, v8, v6, s[28:29]
	v_cmp_lt_u32_e32 vcc, v9, v20
	s_waitcnt lgkmcnt(0)
	v_cndmask_b32_e64 v25, v5, v21, s[28:29]
	v_cndmask_b32_e64 v28, v4, v22, s[28:29]
	;; [unrolled: 1-line block ×4, first 2 shown]
	s_and_saveexec_b64 s[30:31], vcc
	s_cbranch_execz .LBB1605_862
; %bb.852:                              ;   in Loop: Header=BB1605_816 Depth=1
	v_cmp_lt_u32_e32 vcc, v8, v19
	s_mov_b64 s[8:9], 0
	s_and_saveexec_b64 s[26:27], vcc
	s_cbranch_execz .LBB1605_861
; %bb.853:                              ;   in Loop: Header=BB1605_816 Depth=1
	s_and_b64 vcc, exec, s[6:7]
	s_cbranch_vccnz .LBB1605_859
; %bb.854:                              ;   in Loop: Header=BB1605_816 Depth=1
	v_pk_mov_b32 v[6:7], s[18:19], s[18:19] op_sel:[0,1]
	v_mad_u64_u32 v[4:5], s[8:9], s12, v28, v[6:7]
	v_mul_lo_u32 v10, s12, v25
	v_mul_lo_u32 v11, s13, v28
	v_add3_u32 v5, v11, v5, v10
	v_mad_u64_u32 v[6:7], s[8:9], s12, v30, v[6:7]
	v_mul_lo_u32 v10, s12, v29
	v_mul_lo_u32 v11, s13, v30
	v_add3_u32 v7, v11, v7, v10
	s_mov_b64 s[34:35], 0
	s_mov_b64 s[42:43], s[16:17]
                                        ; implicit-def: $sgpr36_sgpr37
                                        ; implicit-def: $sgpr38_sgpr39
                                        ; implicit-def: $sgpr8_sgpr9
                                        ; implicit-def: $sgpr40_sgpr41
                                        ; implicit-def: $sgpr44_sgpr45
	s_branch .LBB1605_856
.LBB1605_855:                           ;   in Loop: Header=BB1605_856 Depth=2
	s_or_b64 exec, exec, s[46:47]
	s_and_b64 s[10:11], exec, s[38:39]
	s_or_b64 s[34:35], s[10:11], s[34:35]
	s_andn2_b64 s[10:11], s[44:45], exec
	s_and_b64 s[44:45], s[40:41], exec
	s_or_b64 s[44:45], s[10:11], s[44:45]
	s_andn2_b64 s[10:11], s[36:37], exec
	s_and_b64 s[36:37], s[8:9], exec
	s_or_b64 s[36:37], s[10:11], s[36:37]
	s_andn2_b64 exec, exec, s[34:35]
	s_cbranch_execz .LBB1605_858
.LBB1605_856:                           ;   Parent Loop BB1605_816 Depth=1
                                        ; =>  This Inner Loop Header: Depth=2
	global_load_dwordx2 v[10:11], v[4:5], off
	global_load_dwordx2 v[32:33], v[6:7], off
	s_andn2_b64 s[46:47], s[8:9], exec
	s_andn2_b64 s[40:41], s[40:41], exec
	s_or_b64 s[38:39], s[38:39], exec
	s_waitcnt vmcnt(0)
	v_cmp_le_u64_e64 s[8:9], v[10:11], v[32:33]
	v_cmp_lt_u64_e32 vcc, v[10:11], v[32:33]
	s_and_b64 s[8:9], s[8:9], s[44:45]
	s_or_b64 s[48:49], vcc, s[8:9]
	s_and_b64 s[8:9], s[48:49], exec
	v_cmp_eq_u64_e64 s[10:11], v[10:11], v[32:33]
	s_or_b64 s[8:9], s[46:47], s[8:9]
	s_and_saveexec_b64 s[46:47], s[10:11]
	s_cbranch_execz .LBB1605_855
; %bb.857:                              ;   in Loop: Header=BB1605_856 Depth=2
	s_add_u32 s42, s42, -1
	s_addc_u32 s43, s43, -1
	v_add_co_u32_e32 v4, vcc, 8, v4
	s_cmp_eq_u64 s[42:43], 0
	v_addc_co_u32_e32 v5, vcc, 0, v5, vcc
	s_cselect_b64 s[10:11], -1, 0
	v_add_co_u32_e32 v6, vcc, 8, v6
	s_andn2_b64 s[40:41], s[40:41], exec
	s_and_b64 s[44:45], s[48:49], exec
	s_andn2_b64 s[38:39], s[38:39], exec
	s_and_b64 s[10:11], s[10:11], exec
	v_addc_co_u32_e32 v7, vcc, 0, v7, vcc
	s_or_b64 s[40:41], s[40:41], s[44:45]
	s_andn2_b64 s[8:9], s[8:9], exec
	s_or_b64 s[38:39], s[38:39], s[10:11]
                                        ; implicit-def: $sgpr44_sgpr45
	s_branch .LBB1605_855
.LBB1605_858:                           ;   in Loop: Header=BB1605_816 Depth=1
	s_or_b64 exec, exec, s[34:35]
	s_xor_b64 s[8:9], s[36:37], -1
	s_branch .LBB1605_860
.LBB1605_859:                           ;   in Loop: Header=BB1605_816 Depth=1
	s_mov_b64 s[8:9], -1
.LBB1605_860:                           ;   in Loop: Header=BB1605_816 Depth=1
	s_and_b64 s[8:9], s[8:9], exec
.LBB1605_861:                           ;   in Loop: Header=BB1605_816 Depth=1
	s_or_b64 exec, exec, s[26:27]
	s_orn2_b64 s[26:27], s[8:9], exec
.LBB1605_862:                           ;   in Loop: Header=BB1605_816 Depth=1
	s_or_b64 exec, exec, s[30:31]
	v_cndmask_b32_e64 v4, v9, v8, s[26:27]
	v_cndmask_b32_e64 v5, v20, v19, s[26:27]
	v_add_u32_e32 v10, 1, v4
	v_add_u32_e32 v4, -1, v5
	v_min_u32_e32 v4, v10, v4
	v_lshlrev_b32_e32 v4, 3, v4
	ds_read_b64 v[4:5], v4
	v_cndmask_b32_e64 v9, v10, v9, s[26:27]
	v_cmp_lt_u32_e32 vcc, v9, v20
	s_waitcnt lgkmcnt(0)
	v_cndmask_b32_e64 v7, v29, v5, s[26:27]
	v_cndmask_b32_e64 v6, v30, v4, s[26:27]
	s_and_saveexec_b64 s[30:31], vcc
	s_cbranch_execz .LBB1605_814
; %bb.863:                              ;   in Loop: Header=BB1605_816 Depth=1
	v_cndmask_b32_e64 v8, v8, v10, s[26:27]
	v_cndmask_b32_e64 v5, v5, v25, s[26:27]
	;; [unrolled: 1-line block ×3, first 2 shown]
	v_cmp_lt_u32_e32 vcc, v8, v19
	s_and_saveexec_b64 s[34:35], vcc
	s_cbranch_execz .LBB1605_813
; %bb.864:                              ;   in Loop: Header=BB1605_816 Depth=1
	s_and_b64 vcc, exec, s[6:7]
	s_cbranch_vccnz .LBB1605_812
; %bb.865:                              ;   in Loop: Header=BB1605_816 Depth=1
	v_pk_mov_b32 v[10:11], s[18:19], s[18:19] op_sel:[0,1]
	v_mad_u64_u32 v[8:9], s[8:9], s12, v4, v[10:11]
	v_mul_lo_u32 v19, s12, v5
	v_mul_lo_u32 v20, s13, v4
	v_add3_u32 v9, v20, v9, v19
	v_mad_u64_u32 v[10:11], s[8:9], s12, v6, v[10:11]
	v_mul_lo_u32 v19, s12, v7
	v_mul_lo_u32 v20, s13, v6
	v_add3_u32 v11, v20, v11, v19
	s_mov_b64 s[36:37], 0
	s_mov_b64 s[44:45], s[16:17]
                                        ; implicit-def: $sgpr38_sgpr39
                                        ; implicit-def: $sgpr40_sgpr41
                                        ; implicit-def: $sgpr8_sgpr9
                                        ; implicit-def: $sgpr42_sgpr43
                                        ; implicit-def: $sgpr46_sgpr47
	s_branch .LBB1605_867
.LBB1605_866:                           ;   in Loop: Header=BB1605_867 Depth=2
	s_or_b64 exec, exec, s[48:49]
	s_and_b64 s[10:11], exec, s[40:41]
	s_or_b64 s[36:37], s[10:11], s[36:37]
	s_andn2_b64 s[10:11], s[46:47], exec
	s_and_b64 s[46:47], s[42:43], exec
	s_or_b64 s[46:47], s[10:11], s[46:47]
	s_andn2_b64 s[10:11], s[38:39], exec
	s_and_b64 s[38:39], s[8:9], exec
	s_or_b64 s[38:39], s[10:11], s[38:39]
	s_andn2_b64 exec, exec, s[36:37]
	s_cbranch_execz .LBB1605_811
.LBB1605_867:                           ;   Parent Loop BB1605_816 Depth=1
                                        ; =>  This Inner Loop Header: Depth=2
	global_load_dwordx2 v[32:33], v[8:9], off
	global_load_dwordx2 v[34:35], v[10:11], off
	s_andn2_b64 s[48:49], s[8:9], exec
	s_andn2_b64 s[42:43], s[42:43], exec
	s_or_b64 s[40:41], s[40:41], exec
	s_waitcnt vmcnt(0)
	v_cmp_le_u64_e64 s[8:9], v[32:33], v[34:35]
	v_cmp_lt_u64_e32 vcc, v[32:33], v[34:35]
	s_and_b64 s[8:9], s[8:9], s[46:47]
	s_or_b64 s[50:51], vcc, s[8:9]
	s_and_b64 s[8:9], s[50:51], exec
	v_cmp_eq_u64_e64 s[10:11], v[32:33], v[34:35]
	s_or_b64 s[8:9], s[48:49], s[8:9]
	s_and_saveexec_b64 s[48:49], s[10:11]
	s_cbranch_execz .LBB1605_866
; %bb.868:                              ;   in Loop: Header=BB1605_867 Depth=2
	s_add_u32 s44, s44, -1
	s_addc_u32 s45, s45, -1
	v_add_co_u32_e32 v8, vcc, 8, v8
	s_cmp_eq_u64 s[44:45], 0
	v_addc_co_u32_e32 v9, vcc, 0, v9, vcc
	s_cselect_b64 s[10:11], -1, 0
	v_add_co_u32_e32 v10, vcc, 8, v10
	s_andn2_b64 s[42:43], s[42:43], exec
	s_and_b64 s[46:47], s[50:51], exec
	s_andn2_b64 s[40:41], s[40:41], exec
	s_and_b64 s[10:11], s[10:11], exec
	v_addc_co_u32_e32 v11, vcc, 0, v11, vcc
	s_or_b64 s[42:43], s[42:43], s[46:47]
	s_andn2_b64 s[8:9], s[8:9], exec
	s_or_b64 s[40:41], s[40:41], s[10:11]
                                        ; implicit-def: $sgpr46_sgpr47
	s_branch .LBB1605_866
.LBB1605_869:
	s_barrier
	ds_write2_b64 v17, v[0:1], v[2:3] offset1:1
	ds_write2_b64 v17, v[4:5], v[6:7] offset0:2 offset1:3
	s_waitcnt lgkmcnt(0)
	s_barrier
	ds_read_b64 v[6:7], v13 offset:2048
	ds_read_b64 v[2:3], v15 offset:4096
	;; [unrolled: 1-line block ×3, first 2 shown]
	v_mov_b32_e32 v5, s21
	v_add_co_u32_e32 v4, vcc, s20, v26
	v_mov_b32_e32 v13, 0
	v_addc_co_u32_e32 v5, vcc, 0, v5, vcc
	s_and_saveexec_b64 s[6:7], s[0:1]
	s_cbranch_execnz .LBB1605_877
; %bb.870:
	s_or_b64 exec, exec, s[6:7]
	s_and_saveexec_b64 s[0:1], s[2:3]
	s_cbranch_execnz .LBB1605_878
.LBB1605_871:
	s_or_b64 exec, exec, s[0:1]
	s_and_saveexec_b64 s[0:1], s[4:5]
	s_cbranch_execz .LBB1605_873
.LBB1605_872:
	v_add_co_u32_e32 v4, vcc, 0x1000, v4
	v_addc_co_u32_e32 v5, vcc, 0, v5, vcc
	s_waitcnt lgkmcnt(1)
	global_store_dwordx2 v[4:5], v[2:3], off
.LBB1605_873:
	s_or_b64 exec, exec, s[0:1]
.LBB1605_874:
	s_and_saveexec_b64 s[0:1], s[24:25]
	s_cbranch_execz .LBB1605_876
; %bb.875:
	s_waitcnt lgkmcnt(1)
	v_lshlrev_b64 v[2:3], 3, v[12:13]
	v_mov_b32_e32 v4, s21
	v_add_co_u32_e32 v2, vcc, s20, v2
	v_addc_co_u32_e32 v3, vcc, v4, v3, vcc
	v_add_co_u32_e32 v2, vcc, 0x1000, v2
	v_addc_co_u32_e32 v3, vcc, 0, v3, vcc
	s_waitcnt lgkmcnt(0)
	global_store_dwordx2 v[2:3], v[0:1], off offset:2048
.LBB1605_876:
	s_endpgm
.LBB1605_877:
	ds_read_b64 v[8:9], v14
	s_waitcnt lgkmcnt(0)
	global_store_dwordx2 v[4:5], v[8:9], off
	s_or_b64 exec, exec, s[6:7]
	s_and_saveexec_b64 s[0:1], s[2:3]
	s_cbranch_execz .LBB1605_871
.LBB1605_878:
	s_waitcnt lgkmcnt(2)
	global_store_dwordx2 v[4:5], v[6:7], off offset:2048
	s_or_b64 exec, exec, s[0:1]
	s_and_saveexec_b64 s[0:1], s[4:5]
	s_cbranch_execnz .LBB1605_872
	s_branch .LBB1605_873
	.section	.rodata,"a",@progbits
	.p2align	6, 0x0
	.amdhsa_kernel _ZN7rocprim17ROCPRIM_400000_NS6detail17trampoline_kernelINS0_14default_configENS1_37merge_sort_block_sort_config_selectorIlNS0_10empty_typeEEEZNS1_21merge_sort_block_sortIS3_PlS8_PS5_S9_ZN2at6native12_GLOBAL__N_124unique_dim_cuda_templateImEESt5tupleIJNSA_6TensorESF_SF_EERKSF_lbbbEUlllE_EE10hipError_tT0_T1_T2_T3_mRjT4_P12ihipStream_tbNS1_7vsmem_tEEUlT_E_NS1_11comp_targetILNS1_3genE4ELNS1_11target_archE910ELNS1_3gpuE8ELNS1_3repE0EEENS1_30default_config_static_selectorELNS0_4arch9wavefront6targetE1EEEvSM_
		.amdhsa_group_segment_fixed_size 8448
		.amdhsa_private_segment_fixed_size 0
		.amdhsa_kernarg_size 328
		.amdhsa_user_sgpr_count 6
		.amdhsa_user_sgpr_private_segment_buffer 1
		.amdhsa_user_sgpr_dispatch_ptr 0
		.amdhsa_user_sgpr_queue_ptr 0
		.amdhsa_user_sgpr_kernarg_segment_ptr 1
		.amdhsa_user_sgpr_dispatch_id 0
		.amdhsa_user_sgpr_flat_scratch_init 0
		.amdhsa_user_sgpr_kernarg_preload_length 0
		.amdhsa_user_sgpr_kernarg_preload_offset 0
		.amdhsa_user_sgpr_private_segment_size 0
		.amdhsa_uses_dynamic_stack 0
		.amdhsa_system_sgpr_private_segment_wavefront_offset 0
		.amdhsa_system_sgpr_workgroup_id_x 1
		.amdhsa_system_sgpr_workgroup_id_y 1
		.amdhsa_system_sgpr_workgroup_id_z 1
		.amdhsa_system_sgpr_workgroup_info 0
		.amdhsa_system_vgpr_workitem_id 2
		.amdhsa_next_free_vgpr 46
		.amdhsa_next_free_sgpr 54
		.amdhsa_accum_offset 48
		.amdhsa_reserve_vcc 1
		.amdhsa_reserve_flat_scratch 0
		.amdhsa_float_round_mode_32 0
		.amdhsa_float_round_mode_16_64 0
		.amdhsa_float_denorm_mode_32 3
		.amdhsa_float_denorm_mode_16_64 3
		.amdhsa_dx10_clamp 1
		.amdhsa_ieee_mode 1
		.amdhsa_fp16_overflow 0
		.amdhsa_tg_split 0
		.amdhsa_exception_fp_ieee_invalid_op 0
		.amdhsa_exception_fp_denorm_src 0
		.amdhsa_exception_fp_ieee_div_zero 0
		.amdhsa_exception_fp_ieee_overflow 0
		.amdhsa_exception_fp_ieee_underflow 0
		.amdhsa_exception_fp_ieee_inexact 0
		.amdhsa_exception_int_div_zero 0
	.end_amdhsa_kernel
	.section	.text._ZN7rocprim17ROCPRIM_400000_NS6detail17trampoline_kernelINS0_14default_configENS1_37merge_sort_block_sort_config_selectorIlNS0_10empty_typeEEEZNS1_21merge_sort_block_sortIS3_PlS8_PS5_S9_ZN2at6native12_GLOBAL__N_124unique_dim_cuda_templateImEESt5tupleIJNSA_6TensorESF_SF_EERKSF_lbbbEUlllE_EE10hipError_tT0_T1_T2_T3_mRjT4_P12ihipStream_tbNS1_7vsmem_tEEUlT_E_NS1_11comp_targetILNS1_3genE4ELNS1_11target_archE910ELNS1_3gpuE8ELNS1_3repE0EEENS1_30default_config_static_selectorELNS0_4arch9wavefront6targetE1EEEvSM_,"axG",@progbits,_ZN7rocprim17ROCPRIM_400000_NS6detail17trampoline_kernelINS0_14default_configENS1_37merge_sort_block_sort_config_selectorIlNS0_10empty_typeEEEZNS1_21merge_sort_block_sortIS3_PlS8_PS5_S9_ZN2at6native12_GLOBAL__N_124unique_dim_cuda_templateImEESt5tupleIJNSA_6TensorESF_SF_EERKSF_lbbbEUlllE_EE10hipError_tT0_T1_T2_T3_mRjT4_P12ihipStream_tbNS1_7vsmem_tEEUlT_E_NS1_11comp_targetILNS1_3genE4ELNS1_11target_archE910ELNS1_3gpuE8ELNS1_3repE0EEENS1_30default_config_static_selectorELNS0_4arch9wavefront6targetE1EEEvSM_,comdat
.Lfunc_end1605:
	.size	_ZN7rocprim17ROCPRIM_400000_NS6detail17trampoline_kernelINS0_14default_configENS1_37merge_sort_block_sort_config_selectorIlNS0_10empty_typeEEEZNS1_21merge_sort_block_sortIS3_PlS8_PS5_S9_ZN2at6native12_GLOBAL__N_124unique_dim_cuda_templateImEESt5tupleIJNSA_6TensorESF_SF_EERKSF_lbbbEUlllE_EE10hipError_tT0_T1_T2_T3_mRjT4_P12ihipStream_tbNS1_7vsmem_tEEUlT_E_NS1_11comp_targetILNS1_3genE4ELNS1_11target_archE910ELNS1_3gpuE8ELNS1_3repE0EEENS1_30default_config_static_selectorELNS0_4arch9wavefront6targetE1EEEvSM_, .Lfunc_end1605-_ZN7rocprim17ROCPRIM_400000_NS6detail17trampoline_kernelINS0_14default_configENS1_37merge_sort_block_sort_config_selectorIlNS0_10empty_typeEEEZNS1_21merge_sort_block_sortIS3_PlS8_PS5_S9_ZN2at6native12_GLOBAL__N_124unique_dim_cuda_templateImEESt5tupleIJNSA_6TensorESF_SF_EERKSF_lbbbEUlllE_EE10hipError_tT0_T1_T2_T3_mRjT4_P12ihipStream_tbNS1_7vsmem_tEEUlT_E_NS1_11comp_targetILNS1_3genE4ELNS1_11target_archE910ELNS1_3gpuE8ELNS1_3repE0EEENS1_30default_config_static_selectorELNS0_4arch9wavefront6targetE1EEEvSM_
                                        ; -- End function
	.section	.AMDGPU.csdata,"",@progbits
; Kernel info:
; codeLenInByte = 37876
; NumSgprs: 58
; NumVgprs: 46
; NumAgprs: 0
; TotalNumVgprs: 46
; ScratchSize: 0
; MemoryBound: 0
; FloatMode: 240
; IeeeMode: 1
; LDSByteSize: 8448 bytes/workgroup (compile time only)
; SGPRBlocks: 7
; VGPRBlocks: 5
; NumSGPRsForWavesPerEU: 58
; NumVGPRsForWavesPerEU: 46
; AccumOffset: 48
; Occupancy: 7
; WaveLimiterHint : 1
; COMPUTE_PGM_RSRC2:SCRATCH_EN: 0
; COMPUTE_PGM_RSRC2:USER_SGPR: 6
; COMPUTE_PGM_RSRC2:TRAP_HANDLER: 0
; COMPUTE_PGM_RSRC2:TGID_X_EN: 1
; COMPUTE_PGM_RSRC2:TGID_Y_EN: 1
; COMPUTE_PGM_RSRC2:TGID_Z_EN: 1
; COMPUTE_PGM_RSRC2:TIDIG_COMP_CNT: 2
; COMPUTE_PGM_RSRC3_GFX90A:ACCUM_OFFSET: 11
; COMPUTE_PGM_RSRC3_GFX90A:TG_SPLIT: 0
	.section	.text._ZN7rocprim17ROCPRIM_400000_NS6detail17trampoline_kernelINS0_14default_configENS1_37merge_sort_block_sort_config_selectorIlNS0_10empty_typeEEEZNS1_21merge_sort_block_sortIS3_PlS8_PS5_S9_ZN2at6native12_GLOBAL__N_124unique_dim_cuda_templateImEESt5tupleIJNSA_6TensorESF_SF_EERKSF_lbbbEUlllE_EE10hipError_tT0_T1_T2_T3_mRjT4_P12ihipStream_tbNS1_7vsmem_tEEUlT_E_NS1_11comp_targetILNS1_3genE3ELNS1_11target_archE908ELNS1_3gpuE7ELNS1_3repE0EEENS1_30default_config_static_selectorELNS0_4arch9wavefront6targetE1EEEvSM_,"axG",@progbits,_ZN7rocprim17ROCPRIM_400000_NS6detail17trampoline_kernelINS0_14default_configENS1_37merge_sort_block_sort_config_selectorIlNS0_10empty_typeEEEZNS1_21merge_sort_block_sortIS3_PlS8_PS5_S9_ZN2at6native12_GLOBAL__N_124unique_dim_cuda_templateImEESt5tupleIJNSA_6TensorESF_SF_EERKSF_lbbbEUlllE_EE10hipError_tT0_T1_T2_T3_mRjT4_P12ihipStream_tbNS1_7vsmem_tEEUlT_E_NS1_11comp_targetILNS1_3genE3ELNS1_11target_archE908ELNS1_3gpuE7ELNS1_3repE0EEENS1_30default_config_static_selectorELNS0_4arch9wavefront6targetE1EEEvSM_,comdat
	.globl	_ZN7rocprim17ROCPRIM_400000_NS6detail17trampoline_kernelINS0_14default_configENS1_37merge_sort_block_sort_config_selectorIlNS0_10empty_typeEEEZNS1_21merge_sort_block_sortIS3_PlS8_PS5_S9_ZN2at6native12_GLOBAL__N_124unique_dim_cuda_templateImEESt5tupleIJNSA_6TensorESF_SF_EERKSF_lbbbEUlllE_EE10hipError_tT0_T1_T2_T3_mRjT4_P12ihipStream_tbNS1_7vsmem_tEEUlT_E_NS1_11comp_targetILNS1_3genE3ELNS1_11target_archE908ELNS1_3gpuE7ELNS1_3repE0EEENS1_30default_config_static_selectorELNS0_4arch9wavefront6targetE1EEEvSM_ ; -- Begin function _ZN7rocprim17ROCPRIM_400000_NS6detail17trampoline_kernelINS0_14default_configENS1_37merge_sort_block_sort_config_selectorIlNS0_10empty_typeEEEZNS1_21merge_sort_block_sortIS3_PlS8_PS5_S9_ZN2at6native12_GLOBAL__N_124unique_dim_cuda_templateImEESt5tupleIJNSA_6TensorESF_SF_EERKSF_lbbbEUlllE_EE10hipError_tT0_T1_T2_T3_mRjT4_P12ihipStream_tbNS1_7vsmem_tEEUlT_E_NS1_11comp_targetILNS1_3genE3ELNS1_11target_archE908ELNS1_3gpuE7ELNS1_3repE0EEENS1_30default_config_static_selectorELNS0_4arch9wavefront6targetE1EEEvSM_
	.p2align	8
	.type	_ZN7rocprim17ROCPRIM_400000_NS6detail17trampoline_kernelINS0_14default_configENS1_37merge_sort_block_sort_config_selectorIlNS0_10empty_typeEEEZNS1_21merge_sort_block_sortIS3_PlS8_PS5_S9_ZN2at6native12_GLOBAL__N_124unique_dim_cuda_templateImEESt5tupleIJNSA_6TensorESF_SF_EERKSF_lbbbEUlllE_EE10hipError_tT0_T1_T2_T3_mRjT4_P12ihipStream_tbNS1_7vsmem_tEEUlT_E_NS1_11comp_targetILNS1_3genE3ELNS1_11target_archE908ELNS1_3gpuE7ELNS1_3repE0EEENS1_30default_config_static_selectorELNS0_4arch9wavefront6targetE1EEEvSM_,@function
_ZN7rocprim17ROCPRIM_400000_NS6detail17trampoline_kernelINS0_14default_configENS1_37merge_sort_block_sort_config_selectorIlNS0_10empty_typeEEEZNS1_21merge_sort_block_sortIS3_PlS8_PS5_S9_ZN2at6native12_GLOBAL__N_124unique_dim_cuda_templateImEESt5tupleIJNSA_6TensorESF_SF_EERKSF_lbbbEUlllE_EE10hipError_tT0_T1_T2_T3_mRjT4_P12ihipStream_tbNS1_7vsmem_tEEUlT_E_NS1_11comp_targetILNS1_3genE3ELNS1_11target_archE908ELNS1_3gpuE7ELNS1_3repE0EEENS1_30default_config_static_selectorELNS0_4arch9wavefront6targetE1EEEvSM_: ; @_ZN7rocprim17ROCPRIM_400000_NS6detail17trampoline_kernelINS0_14default_configENS1_37merge_sort_block_sort_config_selectorIlNS0_10empty_typeEEEZNS1_21merge_sort_block_sortIS3_PlS8_PS5_S9_ZN2at6native12_GLOBAL__N_124unique_dim_cuda_templateImEESt5tupleIJNSA_6TensorESF_SF_EERKSF_lbbbEUlllE_EE10hipError_tT0_T1_T2_T3_mRjT4_P12ihipStream_tbNS1_7vsmem_tEEUlT_E_NS1_11comp_targetILNS1_3genE3ELNS1_11target_archE908ELNS1_3gpuE7ELNS1_3repE0EEENS1_30default_config_static_selectorELNS0_4arch9wavefront6targetE1EEEvSM_
; %bb.0:
	.section	.rodata,"a",@progbits
	.p2align	6, 0x0
	.amdhsa_kernel _ZN7rocprim17ROCPRIM_400000_NS6detail17trampoline_kernelINS0_14default_configENS1_37merge_sort_block_sort_config_selectorIlNS0_10empty_typeEEEZNS1_21merge_sort_block_sortIS3_PlS8_PS5_S9_ZN2at6native12_GLOBAL__N_124unique_dim_cuda_templateImEESt5tupleIJNSA_6TensorESF_SF_EERKSF_lbbbEUlllE_EE10hipError_tT0_T1_T2_T3_mRjT4_P12ihipStream_tbNS1_7vsmem_tEEUlT_E_NS1_11comp_targetILNS1_3genE3ELNS1_11target_archE908ELNS1_3gpuE7ELNS1_3repE0EEENS1_30default_config_static_selectorELNS0_4arch9wavefront6targetE1EEEvSM_
		.amdhsa_group_segment_fixed_size 0
		.amdhsa_private_segment_fixed_size 0
		.amdhsa_kernarg_size 72
		.amdhsa_user_sgpr_count 6
		.amdhsa_user_sgpr_private_segment_buffer 1
		.amdhsa_user_sgpr_dispatch_ptr 0
		.amdhsa_user_sgpr_queue_ptr 0
		.amdhsa_user_sgpr_kernarg_segment_ptr 1
		.amdhsa_user_sgpr_dispatch_id 0
		.amdhsa_user_sgpr_flat_scratch_init 0
		.amdhsa_user_sgpr_kernarg_preload_length 0
		.amdhsa_user_sgpr_kernarg_preload_offset 0
		.amdhsa_user_sgpr_private_segment_size 0
		.amdhsa_uses_dynamic_stack 0
		.amdhsa_system_sgpr_private_segment_wavefront_offset 0
		.amdhsa_system_sgpr_workgroup_id_x 1
		.amdhsa_system_sgpr_workgroup_id_y 0
		.amdhsa_system_sgpr_workgroup_id_z 0
		.amdhsa_system_sgpr_workgroup_info 0
		.amdhsa_system_vgpr_workitem_id 0
		.amdhsa_next_free_vgpr 1
		.amdhsa_next_free_sgpr 0
		.amdhsa_accum_offset 4
		.amdhsa_reserve_vcc 0
		.amdhsa_reserve_flat_scratch 0
		.amdhsa_float_round_mode_32 0
		.amdhsa_float_round_mode_16_64 0
		.amdhsa_float_denorm_mode_32 3
		.amdhsa_float_denorm_mode_16_64 3
		.amdhsa_dx10_clamp 1
		.amdhsa_ieee_mode 1
		.amdhsa_fp16_overflow 0
		.amdhsa_tg_split 0
		.amdhsa_exception_fp_ieee_invalid_op 0
		.amdhsa_exception_fp_denorm_src 0
		.amdhsa_exception_fp_ieee_div_zero 0
		.amdhsa_exception_fp_ieee_overflow 0
		.amdhsa_exception_fp_ieee_underflow 0
		.amdhsa_exception_fp_ieee_inexact 0
		.amdhsa_exception_int_div_zero 0
	.end_amdhsa_kernel
	.section	.text._ZN7rocprim17ROCPRIM_400000_NS6detail17trampoline_kernelINS0_14default_configENS1_37merge_sort_block_sort_config_selectorIlNS0_10empty_typeEEEZNS1_21merge_sort_block_sortIS3_PlS8_PS5_S9_ZN2at6native12_GLOBAL__N_124unique_dim_cuda_templateImEESt5tupleIJNSA_6TensorESF_SF_EERKSF_lbbbEUlllE_EE10hipError_tT0_T1_T2_T3_mRjT4_P12ihipStream_tbNS1_7vsmem_tEEUlT_E_NS1_11comp_targetILNS1_3genE3ELNS1_11target_archE908ELNS1_3gpuE7ELNS1_3repE0EEENS1_30default_config_static_selectorELNS0_4arch9wavefront6targetE1EEEvSM_,"axG",@progbits,_ZN7rocprim17ROCPRIM_400000_NS6detail17trampoline_kernelINS0_14default_configENS1_37merge_sort_block_sort_config_selectorIlNS0_10empty_typeEEEZNS1_21merge_sort_block_sortIS3_PlS8_PS5_S9_ZN2at6native12_GLOBAL__N_124unique_dim_cuda_templateImEESt5tupleIJNSA_6TensorESF_SF_EERKSF_lbbbEUlllE_EE10hipError_tT0_T1_T2_T3_mRjT4_P12ihipStream_tbNS1_7vsmem_tEEUlT_E_NS1_11comp_targetILNS1_3genE3ELNS1_11target_archE908ELNS1_3gpuE7ELNS1_3repE0EEENS1_30default_config_static_selectorELNS0_4arch9wavefront6targetE1EEEvSM_,comdat
.Lfunc_end1606:
	.size	_ZN7rocprim17ROCPRIM_400000_NS6detail17trampoline_kernelINS0_14default_configENS1_37merge_sort_block_sort_config_selectorIlNS0_10empty_typeEEEZNS1_21merge_sort_block_sortIS3_PlS8_PS5_S9_ZN2at6native12_GLOBAL__N_124unique_dim_cuda_templateImEESt5tupleIJNSA_6TensorESF_SF_EERKSF_lbbbEUlllE_EE10hipError_tT0_T1_T2_T3_mRjT4_P12ihipStream_tbNS1_7vsmem_tEEUlT_E_NS1_11comp_targetILNS1_3genE3ELNS1_11target_archE908ELNS1_3gpuE7ELNS1_3repE0EEENS1_30default_config_static_selectorELNS0_4arch9wavefront6targetE1EEEvSM_, .Lfunc_end1606-_ZN7rocprim17ROCPRIM_400000_NS6detail17trampoline_kernelINS0_14default_configENS1_37merge_sort_block_sort_config_selectorIlNS0_10empty_typeEEEZNS1_21merge_sort_block_sortIS3_PlS8_PS5_S9_ZN2at6native12_GLOBAL__N_124unique_dim_cuda_templateImEESt5tupleIJNSA_6TensorESF_SF_EERKSF_lbbbEUlllE_EE10hipError_tT0_T1_T2_T3_mRjT4_P12ihipStream_tbNS1_7vsmem_tEEUlT_E_NS1_11comp_targetILNS1_3genE3ELNS1_11target_archE908ELNS1_3gpuE7ELNS1_3repE0EEENS1_30default_config_static_selectorELNS0_4arch9wavefront6targetE1EEEvSM_
                                        ; -- End function
	.section	.AMDGPU.csdata,"",@progbits
; Kernel info:
; codeLenInByte = 0
; NumSgprs: 4
; NumVgprs: 0
; NumAgprs: 0
; TotalNumVgprs: 0
; ScratchSize: 0
; MemoryBound: 0
; FloatMode: 240
; IeeeMode: 1
; LDSByteSize: 0 bytes/workgroup (compile time only)
; SGPRBlocks: 0
; VGPRBlocks: 0
; NumSGPRsForWavesPerEU: 4
; NumVGPRsForWavesPerEU: 1
; AccumOffset: 4
; Occupancy: 8
; WaveLimiterHint : 0
; COMPUTE_PGM_RSRC2:SCRATCH_EN: 0
; COMPUTE_PGM_RSRC2:USER_SGPR: 6
; COMPUTE_PGM_RSRC2:TRAP_HANDLER: 0
; COMPUTE_PGM_RSRC2:TGID_X_EN: 1
; COMPUTE_PGM_RSRC2:TGID_Y_EN: 0
; COMPUTE_PGM_RSRC2:TGID_Z_EN: 0
; COMPUTE_PGM_RSRC2:TIDIG_COMP_CNT: 0
; COMPUTE_PGM_RSRC3_GFX90A:ACCUM_OFFSET: 0
; COMPUTE_PGM_RSRC3_GFX90A:TG_SPLIT: 0
	.section	.text._ZN7rocprim17ROCPRIM_400000_NS6detail17trampoline_kernelINS0_14default_configENS1_37merge_sort_block_sort_config_selectorIlNS0_10empty_typeEEEZNS1_21merge_sort_block_sortIS3_PlS8_PS5_S9_ZN2at6native12_GLOBAL__N_124unique_dim_cuda_templateImEESt5tupleIJNSA_6TensorESF_SF_EERKSF_lbbbEUlllE_EE10hipError_tT0_T1_T2_T3_mRjT4_P12ihipStream_tbNS1_7vsmem_tEEUlT_E_NS1_11comp_targetILNS1_3genE2ELNS1_11target_archE906ELNS1_3gpuE6ELNS1_3repE0EEENS1_30default_config_static_selectorELNS0_4arch9wavefront6targetE1EEEvSM_,"axG",@progbits,_ZN7rocprim17ROCPRIM_400000_NS6detail17trampoline_kernelINS0_14default_configENS1_37merge_sort_block_sort_config_selectorIlNS0_10empty_typeEEEZNS1_21merge_sort_block_sortIS3_PlS8_PS5_S9_ZN2at6native12_GLOBAL__N_124unique_dim_cuda_templateImEESt5tupleIJNSA_6TensorESF_SF_EERKSF_lbbbEUlllE_EE10hipError_tT0_T1_T2_T3_mRjT4_P12ihipStream_tbNS1_7vsmem_tEEUlT_E_NS1_11comp_targetILNS1_3genE2ELNS1_11target_archE906ELNS1_3gpuE6ELNS1_3repE0EEENS1_30default_config_static_selectorELNS0_4arch9wavefront6targetE1EEEvSM_,comdat
	.globl	_ZN7rocprim17ROCPRIM_400000_NS6detail17trampoline_kernelINS0_14default_configENS1_37merge_sort_block_sort_config_selectorIlNS0_10empty_typeEEEZNS1_21merge_sort_block_sortIS3_PlS8_PS5_S9_ZN2at6native12_GLOBAL__N_124unique_dim_cuda_templateImEESt5tupleIJNSA_6TensorESF_SF_EERKSF_lbbbEUlllE_EE10hipError_tT0_T1_T2_T3_mRjT4_P12ihipStream_tbNS1_7vsmem_tEEUlT_E_NS1_11comp_targetILNS1_3genE2ELNS1_11target_archE906ELNS1_3gpuE6ELNS1_3repE0EEENS1_30default_config_static_selectorELNS0_4arch9wavefront6targetE1EEEvSM_ ; -- Begin function _ZN7rocprim17ROCPRIM_400000_NS6detail17trampoline_kernelINS0_14default_configENS1_37merge_sort_block_sort_config_selectorIlNS0_10empty_typeEEEZNS1_21merge_sort_block_sortIS3_PlS8_PS5_S9_ZN2at6native12_GLOBAL__N_124unique_dim_cuda_templateImEESt5tupleIJNSA_6TensorESF_SF_EERKSF_lbbbEUlllE_EE10hipError_tT0_T1_T2_T3_mRjT4_P12ihipStream_tbNS1_7vsmem_tEEUlT_E_NS1_11comp_targetILNS1_3genE2ELNS1_11target_archE906ELNS1_3gpuE6ELNS1_3repE0EEENS1_30default_config_static_selectorELNS0_4arch9wavefront6targetE1EEEvSM_
	.p2align	8
	.type	_ZN7rocprim17ROCPRIM_400000_NS6detail17trampoline_kernelINS0_14default_configENS1_37merge_sort_block_sort_config_selectorIlNS0_10empty_typeEEEZNS1_21merge_sort_block_sortIS3_PlS8_PS5_S9_ZN2at6native12_GLOBAL__N_124unique_dim_cuda_templateImEESt5tupleIJNSA_6TensorESF_SF_EERKSF_lbbbEUlllE_EE10hipError_tT0_T1_T2_T3_mRjT4_P12ihipStream_tbNS1_7vsmem_tEEUlT_E_NS1_11comp_targetILNS1_3genE2ELNS1_11target_archE906ELNS1_3gpuE6ELNS1_3repE0EEENS1_30default_config_static_selectorELNS0_4arch9wavefront6targetE1EEEvSM_,@function
_ZN7rocprim17ROCPRIM_400000_NS6detail17trampoline_kernelINS0_14default_configENS1_37merge_sort_block_sort_config_selectorIlNS0_10empty_typeEEEZNS1_21merge_sort_block_sortIS3_PlS8_PS5_S9_ZN2at6native12_GLOBAL__N_124unique_dim_cuda_templateImEESt5tupleIJNSA_6TensorESF_SF_EERKSF_lbbbEUlllE_EE10hipError_tT0_T1_T2_T3_mRjT4_P12ihipStream_tbNS1_7vsmem_tEEUlT_E_NS1_11comp_targetILNS1_3genE2ELNS1_11target_archE906ELNS1_3gpuE6ELNS1_3repE0EEENS1_30default_config_static_selectorELNS0_4arch9wavefront6targetE1EEEvSM_: ; @_ZN7rocprim17ROCPRIM_400000_NS6detail17trampoline_kernelINS0_14default_configENS1_37merge_sort_block_sort_config_selectorIlNS0_10empty_typeEEEZNS1_21merge_sort_block_sortIS3_PlS8_PS5_S9_ZN2at6native12_GLOBAL__N_124unique_dim_cuda_templateImEESt5tupleIJNSA_6TensorESF_SF_EERKSF_lbbbEUlllE_EE10hipError_tT0_T1_T2_T3_mRjT4_P12ihipStream_tbNS1_7vsmem_tEEUlT_E_NS1_11comp_targetILNS1_3genE2ELNS1_11target_archE906ELNS1_3gpuE6ELNS1_3repE0EEENS1_30default_config_static_selectorELNS0_4arch9wavefront6targetE1EEEvSM_
; %bb.0:
	.section	.rodata,"a",@progbits
	.p2align	6, 0x0
	.amdhsa_kernel _ZN7rocprim17ROCPRIM_400000_NS6detail17trampoline_kernelINS0_14default_configENS1_37merge_sort_block_sort_config_selectorIlNS0_10empty_typeEEEZNS1_21merge_sort_block_sortIS3_PlS8_PS5_S9_ZN2at6native12_GLOBAL__N_124unique_dim_cuda_templateImEESt5tupleIJNSA_6TensorESF_SF_EERKSF_lbbbEUlllE_EE10hipError_tT0_T1_T2_T3_mRjT4_P12ihipStream_tbNS1_7vsmem_tEEUlT_E_NS1_11comp_targetILNS1_3genE2ELNS1_11target_archE906ELNS1_3gpuE6ELNS1_3repE0EEENS1_30default_config_static_selectorELNS0_4arch9wavefront6targetE1EEEvSM_
		.amdhsa_group_segment_fixed_size 0
		.amdhsa_private_segment_fixed_size 0
		.amdhsa_kernarg_size 72
		.amdhsa_user_sgpr_count 6
		.amdhsa_user_sgpr_private_segment_buffer 1
		.amdhsa_user_sgpr_dispatch_ptr 0
		.amdhsa_user_sgpr_queue_ptr 0
		.amdhsa_user_sgpr_kernarg_segment_ptr 1
		.amdhsa_user_sgpr_dispatch_id 0
		.amdhsa_user_sgpr_flat_scratch_init 0
		.amdhsa_user_sgpr_kernarg_preload_length 0
		.amdhsa_user_sgpr_kernarg_preload_offset 0
		.amdhsa_user_sgpr_private_segment_size 0
		.amdhsa_uses_dynamic_stack 0
		.amdhsa_system_sgpr_private_segment_wavefront_offset 0
		.amdhsa_system_sgpr_workgroup_id_x 1
		.amdhsa_system_sgpr_workgroup_id_y 0
		.amdhsa_system_sgpr_workgroup_id_z 0
		.amdhsa_system_sgpr_workgroup_info 0
		.amdhsa_system_vgpr_workitem_id 0
		.amdhsa_next_free_vgpr 1
		.amdhsa_next_free_sgpr 0
		.amdhsa_accum_offset 4
		.amdhsa_reserve_vcc 0
		.amdhsa_reserve_flat_scratch 0
		.amdhsa_float_round_mode_32 0
		.amdhsa_float_round_mode_16_64 0
		.amdhsa_float_denorm_mode_32 3
		.amdhsa_float_denorm_mode_16_64 3
		.amdhsa_dx10_clamp 1
		.amdhsa_ieee_mode 1
		.amdhsa_fp16_overflow 0
		.amdhsa_tg_split 0
		.amdhsa_exception_fp_ieee_invalid_op 0
		.amdhsa_exception_fp_denorm_src 0
		.amdhsa_exception_fp_ieee_div_zero 0
		.amdhsa_exception_fp_ieee_overflow 0
		.amdhsa_exception_fp_ieee_underflow 0
		.amdhsa_exception_fp_ieee_inexact 0
		.amdhsa_exception_int_div_zero 0
	.end_amdhsa_kernel
	.section	.text._ZN7rocprim17ROCPRIM_400000_NS6detail17trampoline_kernelINS0_14default_configENS1_37merge_sort_block_sort_config_selectorIlNS0_10empty_typeEEEZNS1_21merge_sort_block_sortIS3_PlS8_PS5_S9_ZN2at6native12_GLOBAL__N_124unique_dim_cuda_templateImEESt5tupleIJNSA_6TensorESF_SF_EERKSF_lbbbEUlllE_EE10hipError_tT0_T1_T2_T3_mRjT4_P12ihipStream_tbNS1_7vsmem_tEEUlT_E_NS1_11comp_targetILNS1_3genE2ELNS1_11target_archE906ELNS1_3gpuE6ELNS1_3repE0EEENS1_30default_config_static_selectorELNS0_4arch9wavefront6targetE1EEEvSM_,"axG",@progbits,_ZN7rocprim17ROCPRIM_400000_NS6detail17trampoline_kernelINS0_14default_configENS1_37merge_sort_block_sort_config_selectorIlNS0_10empty_typeEEEZNS1_21merge_sort_block_sortIS3_PlS8_PS5_S9_ZN2at6native12_GLOBAL__N_124unique_dim_cuda_templateImEESt5tupleIJNSA_6TensorESF_SF_EERKSF_lbbbEUlllE_EE10hipError_tT0_T1_T2_T3_mRjT4_P12ihipStream_tbNS1_7vsmem_tEEUlT_E_NS1_11comp_targetILNS1_3genE2ELNS1_11target_archE906ELNS1_3gpuE6ELNS1_3repE0EEENS1_30default_config_static_selectorELNS0_4arch9wavefront6targetE1EEEvSM_,comdat
.Lfunc_end1607:
	.size	_ZN7rocprim17ROCPRIM_400000_NS6detail17trampoline_kernelINS0_14default_configENS1_37merge_sort_block_sort_config_selectorIlNS0_10empty_typeEEEZNS1_21merge_sort_block_sortIS3_PlS8_PS5_S9_ZN2at6native12_GLOBAL__N_124unique_dim_cuda_templateImEESt5tupleIJNSA_6TensorESF_SF_EERKSF_lbbbEUlllE_EE10hipError_tT0_T1_T2_T3_mRjT4_P12ihipStream_tbNS1_7vsmem_tEEUlT_E_NS1_11comp_targetILNS1_3genE2ELNS1_11target_archE906ELNS1_3gpuE6ELNS1_3repE0EEENS1_30default_config_static_selectorELNS0_4arch9wavefront6targetE1EEEvSM_, .Lfunc_end1607-_ZN7rocprim17ROCPRIM_400000_NS6detail17trampoline_kernelINS0_14default_configENS1_37merge_sort_block_sort_config_selectorIlNS0_10empty_typeEEEZNS1_21merge_sort_block_sortIS3_PlS8_PS5_S9_ZN2at6native12_GLOBAL__N_124unique_dim_cuda_templateImEESt5tupleIJNSA_6TensorESF_SF_EERKSF_lbbbEUlllE_EE10hipError_tT0_T1_T2_T3_mRjT4_P12ihipStream_tbNS1_7vsmem_tEEUlT_E_NS1_11comp_targetILNS1_3genE2ELNS1_11target_archE906ELNS1_3gpuE6ELNS1_3repE0EEENS1_30default_config_static_selectorELNS0_4arch9wavefront6targetE1EEEvSM_
                                        ; -- End function
	.section	.AMDGPU.csdata,"",@progbits
; Kernel info:
; codeLenInByte = 0
; NumSgprs: 4
; NumVgprs: 0
; NumAgprs: 0
; TotalNumVgprs: 0
; ScratchSize: 0
; MemoryBound: 0
; FloatMode: 240
; IeeeMode: 1
; LDSByteSize: 0 bytes/workgroup (compile time only)
; SGPRBlocks: 0
; VGPRBlocks: 0
; NumSGPRsForWavesPerEU: 4
; NumVGPRsForWavesPerEU: 1
; AccumOffset: 4
; Occupancy: 8
; WaveLimiterHint : 0
; COMPUTE_PGM_RSRC2:SCRATCH_EN: 0
; COMPUTE_PGM_RSRC2:USER_SGPR: 6
; COMPUTE_PGM_RSRC2:TRAP_HANDLER: 0
; COMPUTE_PGM_RSRC2:TGID_X_EN: 1
; COMPUTE_PGM_RSRC2:TGID_Y_EN: 0
; COMPUTE_PGM_RSRC2:TGID_Z_EN: 0
; COMPUTE_PGM_RSRC2:TIDIG_COMP_CNT: 0
; COMPUTE_PGM_RSRC3_GFX90A:ACCUM_OFFSET: 0
; COMPUTE_PGM_RSRC3_GFX90A:TG_SPLIT: 0
	.section	.text._ZN7rocprim17ROCPRIM_400000_NS6detail17trampoline_kernelINS0_14default_configENS1_37merge_sort_block_sort_config_selectorIlNS0_10empty_typeEEEZNS1_21merge_sort_block_sortIS3_PlS8_PS5_S9_ZN2at6native12_GLOBAL__N_124unique_dim_cuda_templateImEESt5tupleIJNSA_6TensorESF_SF_EERKSF_lbbbEUlllE_EE10hipError_tT0_T1_T2_T3_mRjT4_P12ihipStream_tbNS1_7vsmem_tEEUlT_E_NS1_11comp_targetILNS1_3genE10ELNS1_11target_archE1201ELNS1_3gpuE5ELNS1_3repE0EEENS1_30default_config_static_selectorELNS0_4arch9wavefront6targetE1EEEvSM_,"axG",@progbits,_ZN7rocprim17ROCPRIM_400000_NS6detail17trampoline_kernelINS0_14default_configENS1_37merge_sort_block_sort_config_selectorIlNS0_10empty_typeEEEZNS1_21merge_sort_block_sortIS3_PlS8_PS5_S9_ZN2at6native12_GLOBAL__N_124unique_dim_cuda_templateImEESt5tupleIJNSA_6TensorESF_SF_EERKSF_lbbbEUlllE_EE10hipError_tT0_T1_T2_T3_mRjT4_P12ihipStream_tbNS1_7vsmem_tEEUlT_E_NS1_11comp_targetILNS1_3genE10ELNS1_11target_archE1201ELNS1_3gpuE5ELNS1_3repE0EEENS1_30default_config_static_selectorELNS0_4arch9wavefront6targetE1EEEvSM_,comdat
	.globl	_ZN7rocprim17ROCPRIM_400000_NS6detail17trampoline_kernelINS0_14default_configENS1_37merge_sort_block_sort_config_selectorIlNS0_10empty_typeEEEZNS1_21merge_sort_block_sortIS3_PlS8_PS5_S9_ZN2at6native12_GLOBAL__N_124unique_dim_cuda_templateImEESt5tupleIJNSA_6TensorESF_SF_EERKSF_lbbbEUlllE_EE10hipError_tT0_T1_T2_T3_mRjT4_P12ihipStream_tbNS1_7vsmem_tEEUlT_E_NS1_11comp_targetILNS1_3genE10ELNS1_11target_archE1201ELNS1_3gpuE5ELNS1_3repE0EEENS1_30default_config_static_selectorELNS0_4arch9wavefront6targetE1EEEvSM_ ; -- Begin function _ZN7rocprim17ROCPRIM_400000_NS6detail17trampoline_kernelINS0_14default_configENS1_37merge_sort_block_sort_config_selectorIlNS0_10empty_typeEEEZNS1_21merge_sort_block_sortIS3_PlS8_PS5_S9_ZN2at6native12_GLOBAL__N_124unique_dim_cuda_templateImEESt5tupleIJNSA_6TensorESF_SF_EERKSF_lbbbEUlllE_EE10hipError_tT0_T1_T2_T3_mRjT4_P12ihipStream_tbNS1_7vsmem_tEEUlT_E_NS1_11comp_targetILNS1_3genE10ELNS1_11target_archE1201ELNS1_3gpuE5ELNS1_3repE0EEENS1_30default_config_static_selectorELNS0_4arch9wavefront6targetE1EEEvSM_
	.p2align	8
	.type	_ZN7rocprim17ROCPRIM_400000_NS6detail17trampoline_kernelINS0_14default_configENS1_37merge_sort_block_sort_config_selectorIlNS0_10empty_typeEEEZNS1_21merge_sort_block_sortIS3_PlS8_PS5_S9_ZN2at6native12_GLOBAL__N_124unique_dim_cuda_templateImEESt5tupleIJNSA_6TensorESF_SF_EERKSF_lbbbEUlllE_EE10hipError_tT0_T1_T2_T3_mRjT4_P12ihipStream_tbNS1_7vsmem_tEEUlT_E_NS1_11comp_targetILNS1_3genE10ELNS1_11target_archE1201ELNS1_3gpuE5ELNS1_3repE0EEENS1_30default_config_static_selectorELNS0_4arch9wavefront6targetE1EEEvSM_,@function
_ZN7rocprim17ROCPRIM_400000_NS6detail17trampoline_kernelINS0_14default_configENS1_37merge_sort_block_sort_config_selectorIlNS0_10empty_typeEEEZNS1_21merge_sort_block_sortIS3_PlS8_PS5_S9_ZN2at6native12_GLOBAL__N_124unique_dim_cuda_templateImEESt5tupleIJNSA_6TensorESF_SF_EERKSF_lbbbEUlllE_EE10hipError_tT0_T1_T2_T3_mRjT4_P12ihipStream_tbNS1_7vsmem_tEEUlT_E_NS1_11comp_targetILNS1_3genE10ELNS1_11target_archE1201ELNS1_3gpuE5ELNS1_3repE0EEENS1_30default_config_static_selectorELNS0_4arch9wavefront6targetE1EEEvSM_: ; @_ZN7rocprim17ROCPRIM_400000_NS6detail17trampoline_kernelINS0_14default_configENS1_37merge_sort_block_sort_config_selectorIlNS0_10empty_typeEEEZNS1_21merge_sort_block_sortIS3_PlS8_PS5_S9_ZN2at6native12_GLOBAL__N_124unique_dim_cuda_templateImEESt5tupleIJNSA_6TensorESF_SF_EERKSF_lbbbEUlllE_EE10hipError_tT0_T1_T2_T3_mRjT4_P12ihipStream_tbNS1_7vsmem_tEEUlT_E_NS1_11comp_targetILNS1_3genE10ELNS1_11target_archE1201ELNS1_3gpuE5ELNS1_3repE0EEENS1_30default_config_static_selectorELNS0_4arch9wavefront6targetE1EEEvSM_
; %bb.0:
	.section	.rodata,"a",@progbits
	.p2align	6, 0x0
	.amdhsa_kernel _ZN7rocprim17ROCPRIM_400000_NS6detail17trampoline_kernelINS0_14default_configENS1_37merge_sort_block_sort_config_selectorIlNS0_10empty_typeEEEZNS1_21merge_sort_block_sortIS3_PlS8_PS5_S9_ZN2at6native12_GLOBAL__N_124unique_dim_cuda_templateImEESt5tupleIJNSA_6TensorESF_SF_EERKSF_lbbbEUlllE_EE10hipError_tT0_T1_T2_T3_mRjT4_P12ihipStream_tbNS1_7vsmem_tEEUlT_E_NS1_11comp_targetILNS1_3genE10ELNS1_11target_archE1201ELNS1_3gpuE5ELNS1_3repE0EEENS1_30default_config_static_selectorELNS0_4arch9wavefront6targetE1EEEvSM_
		.amdhsa_group_segment_fixed_size 0
		.amdhsa_private_segment_fixed_size 0
		.amdhsa_kernarg_size 72
		.amdhsa_user_sgpr_count 6
		.amdhsa_user_sgpr_private_segment_buffer 1
		.amdhsa_user_sgpr_dispatch_ptr 0
		.amdhsa_user_sgpr_queue_ptr 0
		.amdhsa_user_sgpr_kernarg_segment_ptr 1
		.amdhsa_user_sgpr_dispatch_id 0
		.amdhsa_user_sgpr_flat_scratch_init 0
		.amdhsa_user_sgpr_kernarg_preload_length 0
		.amdhsa_user_sgpr_kernarg_preload_offset 0
		.amdhsa_user_sgpr_private_segment_size 0
		.amdhsa_uses_dynamic_stack 0
		.amdhsa_system_sgpr_private_segment_wavefront_offset 0
		.amdhsa_system_sgpr_workgroup_id_x 1
		.amdhsa_system_sgpr_workgroup_id_y 0
		.amdhsa_system_sgpr_workgroup_id_z 0
		.amdhsa_system_sgpr_workgroup_info 0
		.amdhsa_system_vgpr_workitem_id 0
		.amdhsa_next_free_vgpr 1
		.amdhsa_next_free_sgpr 0
		.amdhsa_accum_offset 4
		.amdhsa_reserve_vcc 0
		.amdhsa_reserve_flat_scratch 0
		.amdhsa_float_round_mode_32 0
		.amdhsa_float_round_mode_16_64 0
		.amdhsa_float_denorm_mode_32 3
		.amdhsa_float_denorm_mode_16_64 3
		.amdhsa_dx10_clamp 1
		.amdhsa_ieee_mode 1
		.amdhsa_fp16_overflow 0
		.amdhsa_tg_split 0
		.amdhsa_exception_fp_ieee_invalid_op 0
		.amdhsa_exception_fp_denorm_src 0
		.amdhsa_exception_fp_ieee_div_zero 0
		.amdhsa_exception_fp_ieee_overflow 0
		.amdhsa_exception_fp_ieee_underflow 0
		.amdhsa_exception_fp_ieee_inexact 0
		.amdhsa_exception_int_div_zero 0
	.end_amdhsa_kernel
	.section	.text._ZN7rocprim17ROCPRIM_400000_NS6detail17trampoline_kernelINS0_14default_configENS1_37merge_sort_block_sort_config_selectorIlNS0_10empty_typeEEEZNS1_21merge_sort_block_sortIS3_PlS8_PS5_S9_ZN2at6native12_GLOBAL__N_124unique_dim_cuda_templateImEESt5tupleIJNSA_6TensorESF_SF_EERKSF_lbbbEUlllE_EE10hipError_tT0_T1_T2_T3_mRjT4_P12ihipStream_tbNS1_7vsmem_tEEUlT_E_NS1_11comp_targetILNS1_3genE10ELNS1_11target_archE1201ELNS1_3gpuE5ELNS1_3repE0EEENS1_30default_config_static_selectorELNS0_4arch9wavefront6targetE1EEEvSM_,"axG",@progbits,_ZN7rocprim17ROCPRIM_400000_NS6detail17trampoline_kernelINS0_14default_configENS1_37merge_sort_block_sort_config_selectorIlNS0_10empty_typeEEEZNS1_21merge_sort_block_sortIS3_PlS8_PS5_S9_ZN2at6native12_GLOBAL__N_124unique_dim_cuda_templateImEESt5tupleIJNSA_6TensorESF_SF_EERKSF_lbbbEUlllE_EE10hipError_tT0_T1_T2_T3_mRjT4_P12ihipStream_tbNS1_7vsmem_tEEUlT_E_NS1_11comp_targetILNS1_3genE10ELNS1_11target_archE1201ELNS1_3gpuE5ELNS1_3repE0EEENS1_30default_config_static_selectorELNS0_4arch9wavefront6targetE1EEEvSM_,comdat
.Lfunc_end1608:
	.size	_ZN7rocprim17ROCPRIM_400000_NS6detail17trampoline_kernelINS0_14default_configENS1_37merge_sort_block_sort_config_selectorIlNS0_10empty_typeEEEZNS1_21merge_sort_block_sortIS3_PlS8_PS5_S9_ZN2at6native12_GLOBAL__N_124unique_dim_cuda_templateImEESt5tupleIJNSA_6TensorESF_SF_EERKSF_lbbbEUlllE_EE10hipError_tT0_T1_T2_T3_mRjT4_P12ihipStream_tbNS1_7vsmem_tEEUlT_E_NS1_11comp_targetILNS1_3genE10ELNS1_11target_archE1201ELNS1_3gpuE5ELNS1_3repE0EEENS1_30default_config_static_selectorELNS0_4arch9wavefront6targetE1EEEvSM_, .Lfunc_end1608-_ZN7rocprim17ROCPRIM_400000_NS6detail17trampoline_kernelINS0_14default_configENS1_37merge_sort_block_sort_config_selectorIlNS0_10empty_typeEEEZNS1_21merge_sort_block_sortIS3_PlS8_PS5_S9_ZN2at6native12_GLOBAL__N_124unique_dim_cuda_templateImEESt5tupleIJNSA_6TensorESF_SF_EERKSF_lbbbEUlllE_EE10hipError_tT0_T1_T2_T3_mRjT4_P12ihipStream_tbNS1_7vsmem_tEEUlT_E_NS1_11comp_targetILNS1_3genE10ELNS1_11target_archE1201ELNS1_3gpuE5ELNS1_3repE0EEENS1_30default_config_static_selectorELNS0_4arch9wavefront6targetE1EEEvSM_
                                        ; -- End function
	.section	.AMDGPU.csdata,"",@progbits
; Kernel info:
; codeLenInByte = 0
; NumSgprs: 4
; NumVgprs: 0
; NumAgprs: 0
; TotalNumVgprs: 0
; ScratchSize: 0
; MemoryBound: 0
; FloatMode: 240
; IeeeMode: 1
; LDSByteSize: 0 bytes/workgroup (compile time only)
; SGPRBlocks: 0
; VGPRBlocks: 0
; NumSGPRsForWavesPerEU: 4
; NumVGPRsForWavesPerEU: 1
; AccumOffset: 4
; Occupancy: 8
; WaveLimiterHint : 0
; COMPUTE_PGM_RSRC2:SCRATCH_EN: 0
; COMPUTE_PGM_RSRC2:USER_SGPR: 6
; COMPUTE_PGM_RSRC2:TRAP_HANDLER: 0
; COMPUTE_PGM_RSRC2:TGID_X_EN: 1
; COMPUTE_PGM_RSRC2:TGID_Y_EN: 0
; COMPUTE_PGM_RSRC2:TGID_Z_EN: 0
; COMPUTE_PGM_RSRC2:TIDIG_COMP_CNT: 0
; COMPUTE_PGM_RSRC3_GFX90A:ACCUM_OFFSET: 0
; COMPUTE_PGM_RSRC3_GFX90A:TG_SPLIT: 0
	.section	.text._ZN7rocprim17ROCPRIM_400000_NS6detail17trampoline_kernelINS0_14default_configENS1_37merge_sort_block_sort_config_selectorIlNS0_10empty_typeEEEZNS1_21merge_sort_block_sortIS3_PlS8_PS5_S9_ZN2at6native12_GLOBAL__N_124unique_dim_cuda_templateImEESt5tupleIJNSA_6TensorESF_SF_EERKSF_lbbbEUlllE_EE10hipError_tT0_T1_T2_T3_mRjT4_P12ihipStream_tbNS1_7vsmem_tEEUlT_E_NS1_11comp_targetILNS1_3genE10ELNS1_11target_archE1200ELNS1_3gpuE4ELNS1_3repE0EEENS1_30default_config_static_selectorELNS0_4arch9wavefront6targetE1EEEvSM_,"axG",@progbits,_ZN7rocprim17ROCPRIM_400000_NS6detail17trampoline_kernelINS0_14default_configENS1_37merge_sort_block_sort_config_selectorIlNS0_10empty_typeEEEZNS1_21merge_sort_block_sortIS3_PlS8_PS5_S9_ZN2at6native12_GLOBAL__N_124unique_dim_cuda_templateImEESt5tupleIJNSA_6TensorESF_SF_EERKSF_lbbbEUlllE_EE10hipError_tT0_T1_T2_T3_mRjT4_P12ihipStream_tbNS1_7vsmem_tEEUlT_E_NS1_11comp_targetILNS1_3genE10ELNS1_11target_archE1200ELNS1_3gpuE4ELNS1_3repE0EEENS1_30default_config_static_selectorELNS0_4arch9wavefront6targetE1EEEvSM_,comdat
	.globl	_ZN7rocprim17ROCPRIM_400000_NS6detail17trampoline_kernelINS0_14default_configENS1_37merge_sort_block_sort_config_selectorIlNS0_10empty_typeEEEZNS1_21merge_sort_block_sortIS3_PlS8_PS5_S9_ZN2at6native12_GLOBAL__N_124unique_dim_cuda_templateImEESt5tupleIJNSA_6TensorESF_SF_EERKSF_lbbbEUlllE_EE10hipError_tT0_T1_T2_T3_mRjT4_P12ihipStream_tbNS1_7vsmem_tEEUlT_E_NS1_11comp_targetILNS1_3genE10ELNS1_11target_archE1200ELNS1_3gpuE4ELNS1_3repE0EEENS1_30default_config_static_selectorELNS0_4arch9wavefront6targetE1EEEvSM_ ; -- Begin function _ZN7rocprim17ROCPRIM_400000_NS6detail17trampoline_kernelINS0_14default_configENS1_37merge_sort_block_sort_config_selectorIlNS0_10empty_typeEEEZNS1_21merge_sort_block_sortIS3_PlS8_PS5_S9_ZN2at6native12_GLOBAL__N_124unique_dim_cuda_templateImEESt5tupleIJNSA_6TensorESF_SF_EERKSF_lbbbEUlllE_EE10hipError_tT0_T1_T2_T3_mRjT4_P12ihipStream_tbNS1_7vsmem_tEEUlT_E_NS1_11comp_targetILNS1_3genE10ELNS1_11target_archE1200ELNS1_3gpuE4ELNS1_3repE0EEENS1_30default_config_static_selectorELNS0_4arch9wavefront6targetE1EEEvSM_
	.p2align	8
	.type	_ZN7rocprim17ROCPRIM_400000_NS6detail17trampoline_kernelINS0_14default_configENS1_37merge_sort_block_sort_config_selectorIlNS0_10empty_typeEEEZNS1_21merge_sort_block_sortIS3_PlS8_PS5_S9_ZN2at6native12_GLOBAL__N_124unique_dim_cuda_templateImEESt5tupleIJNSA_6TensorESF_SF_EERKSF_lbbbEUlllE_EE10hipError_tT0_T1_T2_T3_mRjT4_P12ihipStream_tbNS1_7vsmem_tEEUlT_E_NS1_11comp_targetILNS1_3genE10ELNS1_11target_archE1200ELNS1_3gpuE4ELNS1_3repE0EEENS1_30default_config_static_selectorELNS0_4arch9wavefront6targetE1EEEvSM_,@function
_ZN7rocprim17ROCPRIM_400000_NS6detail17trampoline_kernelINS0_14default_configENS1_37merge_sort_block_sort_config_selectorIlNS0_10empty_typeEEEZNS1_21merge_sort_block_sortIS3_PlS8_PS5_S9_ZN2at6native12_GLOBAL__N_124unique_dim_cuda_templateImEESt5tupleIJNSA_6TensorESF_SF_EERKSF_lbbbEUlllE_EE10hipError_tT0_T1_T2_T3_mRjT4_P12ihipStream_tbNS1_7vsmem_tEEUlT_E_NS1_11comp_targetILNS1_3genE10ELNS1_11target_archE1200ELNS1_3gpuE4ELNS1_3repE0EEENS1_30default_config_static_selectorELNS0_4arch9wavefront6targetE1EEEvSM_: ; @_ZN7rocprim17ROCPRIM_400000_NS6detail17trampoline_kernelINS0_14default_configENS1_37merge_sort_block_sort_config_selectorIlNS0_10empty_typeEEEZNS1_21merge_sort_block_sortIS3_PlS8_PS5_S9_ZN2at6native12_GLOBAL__N_124unique_dim_cuda_templateImEESt5tupleIJNSA_6TensorESF_SF_EERKSF_lbbbEUlllE_EE10hipError_tT0_T1_T2_T3_mRjT4_P12ihipStream_tbNS1_7vsmem_tEEUlT_E_NS1_11comp_targetILNS1_3genE10ELNS1_11target_archE1200ELNS1_3gpuE4ELNS1_3repE0EEENS1_30default_config_static_selectorELNS0_4arch9wavefront6targetE1EEEvSM_
; %bb.0:
	.section	.rodata,"a",@progbits
	.p2align	6, 0x0
	.amdhsa_kernel _ZN7rocprim17ROCPRIM_400000_NS6detail17trampoline_kernelINS0_14default_configENS1_37merge_sort_block_sort_config_selectorIlNS0_10empty_typeEEEZNS1_21merge_sort_block_sortIS3_PlS8_PS5_S9_ZN2at6native12_GLOBAL__N_124unique_dim_cuda_templateImEESt5tupleIJNSA_6TensorESF_SF_EERKSF_lbbbEUlllE_EE10hipError_tT0_T1_T2_T3_mRjT4_P12ihipStream_tbNS1_7vsmem_tEEUlT_E_NS1_11comp_targetILNS1_3genE10ELNS1_11target_archE1200ELNS1_3gpuE4ELNS1_3repE0EEENS1_30default_config_static_selectorELNS0_4arch9wavefront6targetE1EEEvSM_
		.amdhsa_group_segment_fixed_size 0
		.amdhsa_private_segment_fixed_size 0
		.amdhsa_kernarg_size 72
		.amdhsa_user_sgpr_count 6
		.amdhsa_user_sgpr_private_segment_buffer 1
		.amdhsa_user_sgpr_dispatch_ptr 0
		.amdhsa_user_sgpr_queue_ptr 0
		.amdhsa_user_sgpr_kernarg_segment_ptr 1
		.amdhsa_user_sgpr_dispatch_id 0
		.amdhsa_user_sgpr_flat_scratch_init 0
		.amdhsa_user_sgpr_kernarg_preload_length 0
		.amdhsa_user_sgpr_kernarg_preload_offset 0
		.amdhsa_user_sgpr_private_segment_size 0
		.amdhsa_uses_dynamic_stack 0
		.amdhsa_system_sgpr_private_segment_wavefront_offset 0
		.amdhsa_system_sgpr_workgroup_id_x 1
		.amdhsa_system_sgpr_workgroup_id_y 0
		.amdhsa_system_sgpr_workgroup_id_z 0
		.amdhsa_system_sgpr_workgroup_info 0
		.amdhsa_system_vgpr_workitem_id 0
		.amdhsa_next_free_vgpr 1
		.amdhsa_next_free_sgpr 0
		.amdhsa_accum_offset 4
		.amdhsa_reserve_vcc 0
		.amdhsa_reserve_flat_scratch 0
		.amdhsa_float_round_mode_32 0
		.amdhsa_float_round_mode_16_64 0
		.amdhsa_float_denorm_mode_32 3
		.amdhsa_float_denorm_mode_16_64 3
		.amdhsa_dx10_clamp 1
		.amdhsa_ieee_mode 1
		.amdhsa_fp16_overflow 0
		.amdhsa_tg_split 0
		.amdhsa_exception_fp_ieee_invalid_op 0
		.amdhsa_exception_fp_denorm_src 0
		.amdhsa_exception_fp_ieee_div_zero 0
		.amdhsa_exception_fp_ieee_overflow 0
		.amdhsa_exception_fp_ieee_underflow 0
		.amdhsa_exception_fp_ieee_inexact 0
		.amdhsa_exception_int_div_zero 0
	.end_amdhsa_kernel
	.section	.text._ZN7rocprim17ROCPRIM_400000_NS6detail17trampoline_kernelINS0_14default_configENS1_37merge_sort_block_sort_config_selectorIlNS0_10empty_typeEEEZNS1_21merge_sort_block_sortIS3_PlS8_PS5_S9_ZN2at6native12_GLOBAL__N_124unique_dim_cuda_templateImEESt5tupleIJNSA_6TensorESF_SF_EERKSF_lbbbEUlllE_EE10hipError_tT0_T1_T2_T3_mRjT4_P12ihipStream_tbNS1_7vsmem_tEEUlT_E_NS1_11comp_targetILNS1_3genE10ELNS1_11target_archE1200ELNS1_3gpuE4ELNS1_3repE0EEENS1_30default_config_static_selectorELNS0_4arch9wavefront6targetE1EEEvSM_,"axG",@progbits,_ZN7rocprim17ROCPRIM_400000_NS6detail17trampoline_kernelINS0_14default_configENS1_37merge_sort_block_sort_config_selectorIlNS0_10empty_typeEEEZNS1_21merge_sort_block_sortIS3_PlS8_PS5_S9_ZN2at6native12_GLOBAL__N_124unique_dim_cuda_templateImEESt5tupleIJNSA_6TensorESF_SF_EERKSF_lbbbEUlllE_EE10hipError_tT0_T1_T2_T3_mRjT4_P12ihipStream_tbNS1_7vsmem_tEEUlT_E_NS1_11comp_targetILNS1_3genE10ELNS1_11target_archE1200ELNS1_3gpuE4ELNS1_3repE0EEENS1_30default_config_static_selectorELNS0_4arch9wavefront6targetE1EEEvSM_,comdat
.Lfunc_end1609:
	.size	_ZN7rocprim17ROCPRIM_400000_NS6detail17trampoline_kernelINS0_14default_configENS1_37merge_sort_block_sort_config_selectorIlNS0_10empty_typeEEEZNS1_21merge_sort_block_sortIS3_PlS8_PS5_S9_ZN2at6native12_GLOBAL__N_124unique_dim_cuda_templateImEESt5tupleIJNSA_6TensorESF_SF_EERKSF_lbbbEUlllE_EE10hipError_tT0_T1_T2_T3_mRjT4_P12ihipStream_tbNS1_7vsmem_tEEUlT_E_NS1_11comp_targetILNS1_3genE10ELNS1_11target_archE1200ELNS1_3gpuE4ELNS1_3repE0EEENS1_30default_config_static_selectorELNS0_4arch9wavefront6targetE1EEEvSM_, .Lfunc_end1609-_ZN7rocprim17ROCPRIM_400000_NS6detail17trampoline_kernelINS0_14default_configENS1_37merge_sort_block_sort_config_selectorIlNS0_10empty_typeEEEZNS1_21merge_sort_block_sortIS3_PlS8_PS5_S9_ZN2at6native12_GLOBAL__N_124unique_dim_cuda_templateImEESt5tupleIJNSA_6TensorESF_SF_EERKSF_lbbbEUlllE_EE10hipError_tT0_T1_T2_T3_mRjT4_P12ihipStream_tbNS1_7vsmem_tEEUlT_E_NS1_11comp_targetILNS1_3genE10ELNS1_11target_archE1200ELNS1_3gpuE4ELNS1_3repE0EEENS1_30default_config_static_selectorELNS0_4arch9wavefront6targetE1EEEvSM_
                                        ; -- End function
	.section	.AMDGPU.csdata,"",@progbits
; Kernel info:
; codeLenInByte = 0
; NumSgprs: 4
; NumVgprs: 0
; NumAgprs: 0
; TotalNumVgprs: 0
; ScratchSize: 0
; MemoryBound: 0
; FloatMode: 240
; IeeeMode: 1
; LDSByteSize: 0 bytes/workgroup (compile time only)
; SGPRBlocks: 0
; VGPRBlocks: 0
; NumSGPRsForWavesPerEU: 4
; NumVGPRsForWavesPerEU: 1
; AccumOffset: 4
; Occupancy: 8
; WaveLimiterHint : 0
; COMPUTE_PGM_RSRC2:SCRATCH_EN: 0
; COMPUTE_PGM_RSRC2:USER_SGPR: 6
; COMPUTE_PGM_RSRC2:TRAP_HANDLER: 0
; COMPUTE_PGM_RSRC2:TGID_X_EN: 1
; COMPUTE_PGM_RSRC2:TGID_Y_EN: 0
; COMPUTE_PGM_RSRC2:TGID_Z_EN: 0
; COMPUTE_PGM_RSRC2:TIDIG_COMP_CNT: 0
; COMPUTE_PGM_RSRC3_GFX90A:ACCUM_OFFSET: 0
; COMPUTE_PGM_RSRC3_GFX90A:TG_SPLIT: 0
	.section	.text._ZN7rocprim17ROCPRIM_400000_NS6detail17trampoline_kernelINS0_14default_configENS1_37merge_sort_block_sort_config_selectorIlNS0_10empty_typeEEEZNS1_21merge_sort_block_sortIS3_PlS8_PS5_S9_ZN2at6native12_GLOBAL__N_124unique_dim_cuda_templateImEESt5tupleIJNSA_6TensorESF_SF_EERKSF_lbbbEUlllE_EE10hipError_tT0_T1_T2_T3_mRjT4_P12ihipStream_tbNS1_7vsmem_tEEUlT_E_NS1_11comp_targetILNS1_3genE9ELNS1_11target_archE1100ELNS1_3gpuE3ELNS1_3repE0EEENS1_30default_config_static_selectorELNS0_4arch9wavefront6targetE1EEEvSM_,"axG",@progbits,_ZN7rocprim17ROCPRIM_400000_NS6detail17trampoline_kernelINS0_14default_configENS1_37merge_sort_block_sort_config_selectorIlNS0_10empty_typeEEEZNS1_21merge_sort_block_sortIS3_PlS8_PS5_S9_ZN2at6native12_GLOBAL__N_124unique_dim_cuda_templateImEESt5tupleIJNSA_6TensorESF_SF_EERKSF_lbbbEUlllE_EE10hipError_tT0_T1_T2_T3_mRjT4_P12ihipStream_tbNS1_7vsmem_tEEUlT_E_NS1_11comp_targetILNS1_3genE9ELNS1_11target_archE1100ELNS1_3gpuE3ELNS1_3repE0EEENS1_30default_config_static_selectorELNS0_4arch9wavefront6targetE1EEEvSM_,comdat
	.globl	_ZN7rocprim17ROCPRIM_400000_NS6detail17trampoline_kernelINS0_14default_configENS1_37merge_sort_block_sort_config_selectorIlNS0_10empty_typeEEEZNS1_21merge_sort_block_sortIS3_PlS8_PS5_S9_ZN2at6native12_GLOBAL__N_124unique_dim_cuda_templateImEESt5tupleIJNSA_6TensorESF_SF_EERKSF_lbbbEUlllE_EE10hipError_tT0_T1_T2_T3_mRjT4_P12ihipStream_tbNS1_7vsmem_tEEUlT_E_NS1_11comp_targetILNS1_3genE9ELNS1_11target_archE1100ELNS1_3gpuE3ELNS1_3repE0EEENS1_30default_config_static_selectorELNS0_4arch9wavefront6targetE1EEEvSM_ ; -- Begin function _ZN7rocprim17ROCPRIM_400000_NS6detail17trampoline_kernelINS0_14default_configENS1_37merge_sort_block_sort_config_selectorIlNS0_10empty_typeEEEZNS1_21merge_sort_block_sortIS3_PlS8_PS5_S9_ZN2at6native12_GLOBAL__N_124unique_dim_cuda_templateImEESt5tupleIJNSA_6TensorESF_SF_EERKSF_lbbbEUlllE_EE10hipError_tT0_T1_T2_T3_mRjT4_P12ihipStream_tbNS1_7vsmem_tEEUlT_E_NS1_11comp_targetILNS1_3genE9ELNS1_11target_archE1100ELNS1_3gpuE3ELNS1_3repE0EEENS1_30default_config_static_selectorELNS0_4arch9wavefront6targetE1EEEvSM_
	.p2align	8
	.type	_ZN7rocprim17ROCPRIM_400000_NS6detail17trampoline_kernelINS0_14default_configENS1_37merge_sort_block_sort_config_selectorIlNS0_10empty_typeEEEZNS1_21merge_sort_block_sortIS3_PlS8_PS5_S9_ZN2at6native12_GLOBAL__N_124unique_dim_cuda_templateImEESt5tupleIJNSA_6TensorESF_SF_EERKSF_lbbbEUlllE_EE10hipError_tT0_T1_T2_T3_mRjT4_P12ihipStream_tbNS1_7vsmem_tEEUlT_E_NS1_11comp_targetILNS1_3genE9ELNS1_11target_archE1100ELNS1_3gpuE3ELNS1_3repE0EEENS1_30default_config_static_selectorELNS0_4arch9wavefront6targetE1EEEvSM_,@function
_ZN7rocprim17ROCPRIM_400000_NS6detail17trampoline_kernelINS0_14default_configENS1_37merge_sort_block_sort_config_selectorIlNS0_10empty_typeEEEZNS1_21merge_sort_block_sortIS3_PlS8_PS5_S9_ZN2at6native12_GLOBAL__N_124unique_dim_cuda_templateImEESt5tupleIJNSA_6TensorESF_SF_EERKSF_lbbbEUlllE_EE10hipError_tT0_T1_T2_T3_mRjT4_P12ihipStream_tbNS1_7vsmem_tEEUlT_E_NS1_11comp_targetILNS1_3genE9ELNS1_11target_archE1100ELNS1_3gpuE3ELNS1_3repE0EEENS1_30default_config_static_selectorELNS0_4arch9wavefront6targetE1EEEvSM_: ; @_ZN7rocprim17ROCPRIM_400000_NS6detail17trampoline_kernelINS0_14default_configENS1_37merge_sort_block_sort_config_selectorIlNS0_10empty_typeEEEZNS1_21merge_sort_block_sortIS3_PlS8_PS5_S9_ZN2at6native12_GLOBAL__N_124unique_dim_cuda_templateImEESt5tupleIJNSA_6TensorESF_SF_EERKSF_lbbbEUlllE_EE10hipError_tT0_T1_T2_T3_mRjT4_P12ihipStream_tbNS1_7vsmem_tEEUlT_E_NS1_11comp_targetILNS1_3genE9ELNS1_11target_archE1100ELNS1_3gpuE3ELNS1_3repE0EEENS1_30default_config_static_selectorELNS0_4arch9wavefront6targetE1EEEvSM_
; %bb.0:
	.section	.rodata,"a",@progbits
	.p2align	6, 0x0
	.amdhsa_kernel _ZN7rocprim17ROCPRIM_400000_NS6detail17trampoline_kernelINS0_14default_configENS1_37merge_sort_block_sort_config_selectorIlNS0_10empty_typeEEEZNS1_21merge_sort_block_sortIS3_PlS8_PS5_S9_ZN2at6native12_GLOBAL__N_124unique_dim_cuda_templateImEESt5tupleIJNSA_6TensorESF_SF_EERKSF_lbbbEUlllE_EE10hipError_tT0_T1_T2_T3_mRjT4_P12ihipStream_tbNS1_7vsmem_tEEUlT_E_NS1_11comp_targetILNS1_3genE9ELNS1_11target_archE1100ELNS1_3gpuE3ELNS1_3repE0EEENS1_30default_config_static_selectorELNS0_4arch9wavefront6targetE1EEEvSM_
		.amdhsa_group_segment_fixed_size 0
		.amdhsa_private_segment_fixed_size 0
		.amdhsa_kernarg_size 72
		.amdhsa_user_sgpr_count 6
		.amdhsa_user_sgpr_private_segment_buffer 1
		.amdhsa_user_sgpr_dispatch_ptr 0
		.amdhsa_user_sgpr_queue_ptr 0
		.amdhsa_user_sgpr_kernarg_segment_ptr 1
		.amdhsa_user_sgpr_dispatch_id 0
		.amdhsa_user_sgpr_flat_scratch_init 0
		.amdhsa_user_sgpr_kernarg_preload_length 0
		.amdhsa_user_sgpr_kernarg_preload_offset 0
		.amdhsa_user_sgpr_private_segment_size 0
		.amdhsa_uses_dynamic_stack 0
		.amdhsa_system_sgpr_private_segment_wavefront_offset 0
		.amdhsa_system_sgpr_workgroup_id_x 1
		.amdhsa_system_sgpr_workgroup_id_y 0
		.amdhsa_system_sgpr_workgroup_id_z 0
		.amdhsa_system_sgpr_workgroup_info 0
		.amdhsa_system_vgpr_workitem_id 0
		.amdhsa_next_free_vgpr 1
		.amdhsa_next_free_sgpr 0
		.amdhsa_accum_offset 4
		.amdhsa_reserve_vcc 0
		.amdhsa_reserve_flat_scratch 0
		.amdhsa_float_round_mode_32 0
		.amdhsa_float_round_mode_16_64 0
		.amdhsa_float_denorm_mode_32 3
		.amdhsa_float_denorm_mode_16_64 3
		.amdhsa_dx10_clamp 1
		.amdhsa_ieee_mode 1
		.amdhsa_fp16_overflow 0
		.amdhsa_tg_split 0
		.amdhsa_exception_fp_ieee_invalid_op 0
		.amdhsa_exception_fp_denorm_src 0
		.amdhsa_exception_fp_ieee_div_zero 0
		.amdhsa_exception_fp_ieee_overflow 0
		.amdhsa_exception_fp_ieee_underflow 0
		.amdhsa_exception_fp_ieee_inexact 0
		.amdhsa_exception_int_div_zero 0
	.end_amdhsa_kernel
	.section	.text._ZN7rocprim17ROCPRIM_400000_NS6detail17trampoline_kernelINS0_14default_configENS1_37merge_sort_block_sort_config_selectorIlNS0_10empty_typeEEEZNS1_21merge_sort_block_sortIS3_PlS8_PS5_S9_ZN2at6native12_GLOBAL__N_124unique_dim_cuda_templateImEESt5tupleIJNSA_6TensorESF_SF_EERKSF_lbbbEUlllE_EE10hipError_tT0_T1_T2_T3_mRjT4_P12ihipStream_tbNS1_7vsmem_tEEUlT_E_NS1_11comp_targetILNS1_3genE9ELNS1_11target_archE1100ELNS1_3gpuE3ELNS1_3repE0EEENS1_30default_config_static_selectorELNS0_4arch9wavefront6targetE1EEEvSM_,"axG",@progbits,_ZN7rocprim17ROCPRIM_400000_NS6detail17trampoline_kernelINS0_14default_configENS1_37merge_sort_block_sort_config_selectorIlNS0_10empty_typeEEEZNS1_21merge_sort_block_sortIS3_PlS8_PS5_S9_ZN2at6native12_GLOBAL__N_124unique_dim_cuda_templateImEESt5tupleIJNSA_6TensorESF_SF_EERKSF_lbbbEUlllE_EE10hipError_tT0_T1_T2_T3_mRjT4_P12ihipStream_tbNS1_7vsmem_tEEUlT_E_NS1_11comp_targetILNS1_3genE9ELNS1_11target_archE1100ELNS1_3gpuE3ELNS1_3repE0EEENS1_30default_config_static_selectorELNS0_4arch9wavefront6targetE1EEEvSM_,comdat
.Lfunc_end1610:
	.size	_ZN7rocprim17ROCPRIM_400000_NS6detail17trampoline_kernelINS0_14default_configENS1_37merge_sort_block_sort_config_selectorIlNS0_10empty_typeEEEZNS1_21merge_sort_block_sortIS3_PlS8_PS5_S9_ZN2at6native12_GLOBAL__N_124unique_dim_cuda_templateImEESt5tupleIJNSA_6TensorESF_SF_EERKSF_lbbbEUlllE_EE10hipError_tT0_T1_T2_T3_mRjT4_P12ihipStream_tbNS1_7vsmem_tEEUlT_E_NS1_11comp_targetILNS1_3genE9ELNS1_11target_archE1100ELNS1_3gpuE3ELNS1_3repE0EEENS1_30default_config_static_selectorELNS0_4arch9wavefront6targetE1EEEvSM_, .Lfunc_end1610-_ZN7rocprim17ROCPRIM_400000_NS6detail17trampoline_kernelINS0_14default_configENS1_37merge_sort_block_sort_config_selectorIlNS0_10empty_typeEEEZNS1_21merge_sort_block_sortIS3_PlS8_PS5_S9_ZN2at6native12_GLOBAL__N_124unique_dim_cuda_templateImEESt5tupleIJNSA_6TensorESF_SF_EERKSF_lbbbEUlllE_EE10hipError_tT0_T1_T2_T3_mRjT4_P12ihipStream_tbNS1_7vsmem_tEEUlT_E_NS1_11comp_targetILNS1_3genE9ELNS1_11target_archE1100ELNS1_3gpuE3ELNS1_3repE0EEENS1_30default_config_static_selectorELNS0_4arch9wavefront6targetE1EEEvSM_
                                        ; -- End function
	.section	.AMDGPU.csdata,"",@progbits
; Kernel info:
; codeLenInByte = 0
; NumSgprs: 4
; NumVgprs: 0
; NumAgprs: 0
; TotalNumVgprs: 0
; ScratchSize: 0
; MemoryBound: 0
; FloatMode: 240
; IeeeMode: 1
; LDSByteSize: 0 bytes/workgroup (compile time only)
; SGPRBlocks: 0
; VGPRBlocks: 0
; NumSGPRsForWavesPerEU: 4
; NumVGPRsForWavesPerEU: 1
; AccumOffset: 4
; Occupancy: 8
; WaveLimiterHint : 0
; COMPUTE_PGM_RSRC2:SCRATCH_EN: 0
; COMPUTE_PGM_RSRC2:USER_SGPR: 6
; COMPUTE_PGM_RSRC2:TRAP_HANDLER: 0
; COMPUTE_PGM_RSRC2:TGID_X_EN: 1
; COMPUTE_PGM_RSRC2:TGID_Y_EN: 0
; COMPUTE_PGM_RSRC2:TGID_Z_EN: 0
; COMPUTE_PGM_RSRC2:TIDIG_COMP_CNT: 0
; COMPUTE_PGM_RSRC3_GFX90A:ACCUM_OFFSET: 0
; COMPUTE_PGM_RSRC3_GFX90A:TG_SPLIT: 0
	.section	.text._ZN7rocprim17ROCPRIM_400000_NS6detail17trampoline_kernelINS0_14default_configENS1_37merge_sort_block_sort_config_selectorIlNS0_10empty_typeEEEZNS1_21merge_sort_block_sortIS3_PlS8_PS5_S9_ZN2at6native12_GLOBAL__N_124unique_dim_cuda_templateImEESt5tupleIJNSA_6TensorESF_SF_EERKSF_lbbbEUlllE_EE10hipError_tT0_T1_T2_T3_mRjT4_P12ihipStream_tbNS1_7vsmem_tEEUlT_E_NS1_11comp_targetILNS1_3genE8ELNS1_11target_archE1030ELNS1_3gpuE2ELNS1_3repE0EEENS1_30default_config_static_selectorELNS0_4arch9wavefront6targetE1EEEvSM_,"axG",@progbits,_ZN7rocprim17ROCPRIM_400000_NS6detail17trampoline_kernelINS0_14default_configENS1_37merge_sort_block_sort_config_selectorIlNS0_10empty_typeEEEZNS1_21merge_sort_block_sortIS3_PlS8_PS5_S9_ZN2at6native12_GLOBAL__N_124unique_dim_cuda_templateImEESt5tupleIJNSA_6TensorESF_SF_EERKSF_lbbbEUlllE_EE10hipError_tT0_T1_T2_T3_mRjT4_P12ihipStream_tbNS1_7vsmem_tEEUlT_E_NS1_11comp_targetILNS1_3genE8ELNS1_11target_archE1030ELNS1_3gpuE2ELNS1_3repE0EEENS1_30default_config_static_selectorELNS0_4arch9wavefront6targetE1EEEvSM_,comdat
	.globl	_ZN7rocprim17ROCPRIM_400000_NS6detail17trampoline_kernelINS0_14default_configENS1_37merge_sort_block_sort_config_selectorIlNS0_10empty_typeEEEZNS1_21merge_sort_block_sortIS3_PlS8_PS5_S9_ZN2at6native12_GLOBAL__N_124unique_dim_cuda_templateImEESt5tupleIJNSA_6TensorESF_SF_EERKSF_lbbbEUlllE_EE10hipError_tT0_T1_T2_T3_mRjT4_P12ihipStream_tbNS1_7vsmem_tEEUlT_E_NS1_11comp_targetILNS1_3genE8ELNS1_11target_archE1030ELNS1_3gpuE2ELNS1_3repE0EEENS1_30default_config_static_selectorELNS0_4arch9wavefront6targetE1EEEvSM_ ; -- Begin function _ZN7rocprim17ROCPRIM_400000_NS6detail17trampoline_kernelINS0_14default_configENS1_37merge_sort_block_sort_config_selectorIlNS0_10empty_typeEEEZNS1_21merge_sort_block_sortIS3_PlS8_PS5_S9_ZN2at6native12_GLOBAL__N_124unique_dim_cuda_templateImEESt5tupleIJNSA_6TensorESF_SF_EERKSF_lbbbEUlllE_EE10hipError_tT0_T1_T2_T3_mRjT4_P12ihipStream_tbNS1_7vsmem_tEEUlT_E_NS1_11comp_targetILNS1_3genE8ELNS1_11target_archE1030ELNS1_3gpuE2ELNS1_3repE0EEENS1_30default_config_static_selectorELNS0_4arch9wavefront6targetE1EEEvSM_
	.p2align	8
	.type	_ZN7rocprim17ROCPRIM_400000_NS6detail17trampoline_kernelINS0_14default_configENS1_37merge_sort_block_sort_config_selectorIlNS0_10empty_typeEEEZNS1_21merge_sort_block_sortIS3_PlS8_PS5_S9_ZN2at6native12_GLOBAL__N_124unique_dim_cuda_templateImEESt5tupleIJNSA_6TensorESF_SF_EERKSF_lbbbEUlllE_EE10hipError_tT0_T1_T2_T3_mRjT4_P12ihipStream_tbNS1_7vsmem_tEEUlT_E_NS1_11comp_targetILNS1_3genE8ELNS1_11target_archE1030ELNS1_3gpuE2ELNS1_3repE0EEENS1_30default_config_static_selectorELNS0_4arch9wavefront6targetE1EEEvSM_,@function
_ZN7rocprim17ROCPRIM_400000_NS6detail17trampoline_kernelINS0_14default_configENS1_37merge_sort_block_sort_config_selectorIlNS0_10empty_typeEEEZNS1_21merge_sort_block_sortIS3_PlS8_PS5_S9_ZN2at6native12_GLOBAL__N_124unique_dim_cuda_templateImEESt5tupleIJNSA_6TensorESF_SF_EERKSF_lbbbEUlllE_EE10hipError_tT0_T1_T2_T3_mRjT4_P12ihipStream_tbNS1_7vsmem_tEEUlT_E_NS1_11comp_targetILNS1_3genE8ELNS1_11target_archE1030ELNS1_3gpuE2ELNS1_3repE0EEENS1_30default_config_static_selectorELNS0_4arch9wavefront6targetE1EEEvSM_: ; @_ZN7rocprim17ROCPRIM_400000_NS6detail17trampoline_kernelINS0_14default_configENS1_37merge_sort_block_sort_config_selectorIlNS0_10empty_typeEEEZNS1_21merge_sort_block_sortIS3_PlS8_PS5_S9_ZN2at6native12_GLOBAL__N_124unique_dim_cuda_templateImEESt5tupleIJNSA_6TensorESF_SF_EERKSF_lbbbEUlllE_EE10hipError_tT0_T1_T2_T3_mRjT4_P12ihipStream_tbNS1_7vsmem_tEEUlT_E_NS1_11comp_targetILNS1_3genE8ELNS1_11target_archE1030ELNS1_3gpuE2ELNS1_3repE0EEENS1_30default_config_static_selectorELNS0_4arch9wavefront6targetE1EEEvSM_
; %bb.0:
	.section	.rodata,"a",@progbits
	.p2align	6, 0x0
	.amdhsa_kernel _ZN7rocprim17ROCPRIM_400000_NS6detail17trampoline_kernelINS0_14default_configENS1_37merge_sort_block_sort_config_selectorIlNS0_10empty_typeEEEZNS1_21merge_sort_block_sortIS3_PlS8_PS5_S9_ZN2at6native12_GLOBAL__N_124unique_dim_cuda_templateImEESt5tupleIJNSA_6TensorESF_SF_EERKSF_lbbbEUlllE_EE10hipError_tT0_T1_T2_T3_mRjT4_P12ihipStream_tbNS1_7vsmem_tEEUlT_E_NS1_11comp_targetILNS1_3genE8ELNS1_11target_archE1030ELNS1_3gpuE2ELNS1_3repE0EEENS1_30default_config_static_selectorELNS0_4arch9wavefront6targetE1EEEvSM_
		.amdhsa_group_segment_fixed_size 0
		.amdhsa_private_segment_fixed_size 0
		.amdhsa_kernarg_size 72
		.amdhsa_user_sgpr_count 6
		.amdhsa_user_sgpr_private_segment_buffer 1
		.amdhsa_user_sgpr_dispatch_ptr 0
		.amdhsa_user_sgpr_queue_ptr 0
		.amdhsa_user_sgpr_kernarg_segment_ptr 1
		.amdhsa_user_sgpr_dispatch_id 0
		.amdhsa_user_sgpr_flat_scratch_init 0
		.amdhsa_user_sgpr_kernarg_preload_length 0
		.amdhsa_user_sgpr_kernarg_preload_offset 0
		.amdhsa_user_sgpr_private_segment_size 0
		.amdhsa_uses_dynamic_stack 0
		.amdhsa_system_sgpr_private_segment_wavefront_offset 0
		.amdhsa_system_sgpr_workgroup_id_x 1
		.amdhsa_system_sgpr_workgroup_id_y 0
		.amdhsa_system_sgpr_workgroup_id_z 0
		.amdhsa_system_sgpr_workgroup_info 0
		.amdhsa_system_vgpr_workitem_id 0
		.amdhsa_next_free_vgpr 1
		.amdhsa_next_free_sgpr 0
		.amdhsa_accum_offset 4
		.amdhsa_reserve_vcc 0
		.amdhsa_reserve_flat_scratch 0
		.amdhsa_float_round_mode_32 0
		.amdhsa_float_round_mode_16_64 0
		.amdhsa_float_denorm_mode_32 3
		.amdhsa_float_denorm_mode_16_64 3
		.amdhsa_dx10_clamp 1
		.amdhsa_ieee_mode 1
		.amdhsa_fp16_overflow 0
		.amdhsa_tg_split 0
		.amdhsa_exception_fp_ieee_invalid_op 0
		.amdhsa_exception_fp_denorm_src 0
		.amdhsa_exception_fp_ieee_div_zero 0
		.amdhsa_exception_fp_ieee_overflow 0
		.amdhsa_exception_fp_ieee_underflow 0
		.amdhsa_exception_fp_ieee_inexact 0
		.amdhsa_exception_int_div_zero 0
	.end_amdhsa_kernel
	.section	.text._ZN7rocprim17ROCPRIM_400000_NS6detail17trampoline_kernelINS0_14default_configENS1_37merge_sort_block_sort_config_selectorIlNS0_10empty_typeEEEZNS1_21merge_sort_block_sortIS3_PlS8_PS5_S9_ZN2at6native12_GLOBAL__N_124unique_dim_cuda_templateImEESt5tupleIJNSA_6TensorESF_SF_EERKSF_lbbbEUlllE_EE10hipError_tT0_T1_T2_T3_mRjT4_P12ihipStream_tbNS1_7vsmem_tEEUlT_E_NS1_11comp_targetILNS1_3genE8ELNS1_11target_archE1030ELNS1_3gpuE2ELNS1_3repE0EEENS1_30default_config_static_selectorELNS0_4arch9wavefront6targetE1EEEvSM_,"axG",@progbits,_ZN7rocprim17ROCPRIM_400000_NS6detail17trampoline_kernelINS0_14default_configENS1_37merge_sort_block_sort_config_selectorIlNS0_10empty_typeEEEZNS1_21merge_sort_block_sortIS3_PlS8_PS5_S9_ZN2at6native12_GLOBAL__N_124unique_dim_cuda_templateImEESt5tupleIJNSA_6TensorESF_SF_EERKSF_lbbbEUlllE_EE10hipError_tT0_T1_T2_T3_mRjT4_P12ihipStream_tbNS1_7vsmem_tEEUlT_E_NS1_11comp_targetILNS1_3genE8ELNS1_11target_archE1030ELNS1_3gpuE2ELNS1_3repE0EEENS1_30default_config_static_selectorELNS0_4arch9wavefront6targetE1EEEvSM_,comdat
.Lfunc_end1611:
	.size	_ZN7rocprim17ROCPRIM_400000_NS6detail17trampoline_kernelINS0_14default_configENS1_37merge_sort_block_sort_config_selectorIlNS0_10empty_typeEEEZNS1_21merge_sort_block_sortIS3_PlS8_PS5_S9_ZN2at6native12_GLOBAL__N_124unique_dim_cuda_templateImEESt5tupleIJNSA_6TensorESF_SF_EERKSF_lbbbEUlllE_EE10hipError_tT0_T1_T2_T3_mRjT4_P12ihipStream_tbNS1_7vsmem_tEEUlT_E_NS1_11comp_targetILNS1_3genE8ELNS1_11target_archE1030ELNS1_3gpuE2ELNS1_3repE0EEENS1_30default_config_static_selectorELNS0_4arch9wavefront6targetE1EEEvSM_, .Lfunc_end1611-_ZN7rocprim17ROCPRIM_400000_NS6detail17trampoline_kernelINS0_14default_configENS1_37merge_sort_block_sort_config_selectorIlNS0_10empty_typeEEEZNS1_21merge_sort_block_sortIS3_PlS8_PS5_S9_ZN2at6native12_GLOBAL__N_124unique_dim_cuda_templateImEESt5tupleIJNSA_6TensorESF_SF_EERKSF_lbbbEUlllE_EE10hipError_tT0_T1_T2_T3_mRjT4_P12ihipStream_tbNS1_7vsmem_tEEUlT_E_NS1_11comp_targetILNS1_3genE8ELNS1_11target_archE1030ELNS1_3gpuE2ELNS1_3repE0EEENS1_30default_config_static_selectorELNS0_4arch9wavefront6targetE1EEEvSM_
                                        ; -- End function
	.section	.AMDGPU.csdata,"",@progbits
; Kernel info:
; codeLenInByte = 0
; NumSgprs: 4
; NumVgprs: 0
; NumAgprs: 0
; TotalNumVgprs: 0
; ScratchSize: 0
; MemoryBound: 0
; FloatMode: 240
; IeeeMode: 1
; LDSByteSize: 0 bytes/workgroup (compile time only)
; SGPRBlocks: 0
; VGPRBlocks: 0
; NumSGPRsForWavesPerEU: 4
; NumVGPRsForWavesPerEU: 1
; AccumOffset: 4
; Occupancy: 8
; WaveLimiterHint : 0
; COMPUTE_PGM_RSRC2:SCRATCH_EN: 0
; COMPUTE_PGM_RSRC2:USER_SGPR: 6
; COMPUTE_PGM_RSRC2:TRAP_HANDLER: 0
; COMPUTE_PGM_RSRC2:TGID_X_EN: 1
; COMPUTE_PGM_RSRC2:TGID_Y_EN: 0
; COMPUTE_PGM_RSRC2:TGID_Z_EN: 0
; COMPUTE_PGM_RSRC2:TIDIG_COMP_CNT: 0
; COMPUTE_PGM_RSRC3_GFX90A:ACCUM_OFFSET: 0
; COMPUTE_PGM_RSRC3_GFX90A:TG_SPLIT: 0
	.section	.text._ZN7rocprim17ROCPRIM_400000_NS6detail17trampoline_kernelINS0_14default_configENS1_38merge_sort_block_merge_config_selectorIlNS0_10empty_typeEEEZZNS1_27merge_sort_block_merge_implIS3_PlPS5_mZN2at6native12_GLOBAL__N_124unique_dim_cuda_templateImEESt5tupleIJNSA_6TensorESF_SF_EERKSF_lbbbEUlllE_EE10hipError_tT0_T1_T2_jT3_P12ihipStream_tbPNSt15iterator_traitsISL_E10value_typeEPNSR_ISM_E10value_typeEPSN_NS1_7vsmem_tEENKUlT_SL_SM_SN_E_clIS8_S8_S9_S9_EESK_S10_SL_SM_SN_EUlS10_E_NS1_11comp_targetILNS1_3genE0ELNS1_11target_archE4294967295ELNS1_3gpuE0ELNS1_3repE0EEENS1_48merge_mergepath_partition_config_static_selectorELNS0_4arch9wavefront6targetE1EEEvSM_,"axG",@progbits,_ZN7rocprim17ROCPRIM_400000_NS6detail17trampoline_kernelINS0_14default_configENS1_38merge_sort_block_merge_config_selectorIlNS0_10empty_typeEEEZZNS1_27merge_sort_block_merge_implIS3_PlPS5_mZN2at6native12_GLOBAL__N_124unique_dim_cuda_templateImEESt5tupleIJNSA_6TensorESF_SF_EERKSF_lbbbEUlllE_EE10hipError_tT0_T1_T2_jT3_P12ihipStream_tbPNSt15iterator_traitsISL_E10value_typeEPNSR_ISM_E10value_typeEPSN_NS1_7vsmem_tEENKUlT_SL_SM_SN_E_clIS8_S8_S9_S9_EESK_S10_SL_SM_SN_EUlS10_E_NS1_11comp_targetILNS1_3genE0ELNS1_11target_archE4294967295ELNS1_3gpuE0ELNS1_3repE0EEENS1_48merge_mergepath_partition_config_static_selectorELNS0_4arch9wavefront6targetE1EEEvSM_,comdat
	.globl	_ZN7rocprim17ROCPRIM_400000_NS6detail17trampoline_kernelINS0_14default_configENS1_38merge_sort_block_merge_config_selectorIlNS0_10empty_typeEEEZZNS1_27merge_sort_block_merge_implIS3_PlPS5_mZN2at6native12_GLOBAL__N_124unique_dim_cuda_templateImEESt5tupleIJNSA_6TensorESF_SF_EERKSF_lbbbEUlllE_EE10hipError_tT0_T1_T2_jT3_P12ihipStream_tbPNSt15iterator_traitsISL_E10value_typeEPNSR_ISM_E10value_typeEPSN_NS1_7vsmem_tEENKUlT_SL_SM_SN_E_clIS8_S8_S9_S9_EESK_S10_SL_SM_SN_EUlS10_E_NS1_11comp_targetILNS1_3genE0ELNS1_11target_archE4294967295ELNS1_3gpuE0ELNS1_3repE0EEENS1_48merge_mergepath_partition_config_static_selectorELNS0_4arch9wavefront6targetE1EEEvSM_ ; -- Begin function _ZN7rocprim17ROCPRIM_400000_NS6detail17trampoline_kernelINS0_14default_configENS1_38merge_sort_block_merge_config_selectorIlNS0_10empty_typeEEEZZNS1_27merge_sort_block_merge_implIS3_PlPS5_mZN2at6native12_GLOBAL__N_124unique_dim_cuda_templateImEESt5tupleIJNSA_6TensorESF_SF_EERKSF_lbbbEUlllE_EE10hipError_tT0_T1_T2_jT3_P12ihipStream_tbPNSt15iterator_traitsISL_E10value_typeEPNSR_ISM_E10value_typeEPSN_NS1_7vsmem_tEENKUlT_SL_SM_SN_E_clIS8_S8_S9_S9_EESK_S10_SL_SM_SN_EUlS10_E_NS1_11comp_targetILNS1_3genE0ELNS1_11target_archE4294967295ELNS1_3gpuE0ELNS1_3repE0EEENS1_48merge_mergepath_partition_config_static_selectorELNS0_4arch9wavefront6targetE1EEEvSM_
	.p2align	8
	.type	_ZN7rocprim17ROCPRIM_400000_NS6detail17trampoline_kernelINS0_14default_configENS1_38merge_sort_block_merge_config_selectorIlNS0_10empty_typeEEEZZNS1_27merge_sort_block_merge_implIS3_PlPS5_mZN2at6native12_GLOBAL__N_124unique_dim_cuda_templateImEESt5tupleIJNSA_6TensorESF_SF_EERKSF_lbbbEUlllE_EE10hipError_tT0_T1_T2_jT3_P12ihipStream_tbPNSt15iterator_traitsISL_E10value_typeEPNSR_ISM_E10value_typeEPSN_NS1_7vsmem_tEENKUlT_SL_SM_SN_E_clIS8_S8_S9_S9_EESK_S10_SL_SM_SN_EUlS10_E_NS1_11comp_targetILNS1_3genE0ELNS1_11target_archE4294967295ELNS1_3gpuE0ELNS1_3repE0EEENS1_48merge_mergepath_partition_config_static_selectorELNS0_4arch9wavefront6targetE1EEEvSM_,@function
_ZN7rocprim17ROCPRIM_400000_NS6detail17trampoline_kernelINS0_14default_configENS1_38merge_sort_block_merge_config_selectorIlNS0_10empty_typeEEEZZNS1_27merge_sort_block_merge_implIS3_PlPS5_mZN2at6native12_GLOBAL__N_124unique_dim_cuda_templateImEESt5tupleIJNSA_6TensorESF_SF_EERKSF_lbbbEUlllE_EE10hipError_tT0_T1_T2_jT3_P12ihipStream_tbPNSt15iterator_traitsISL_E10value_typeEPNSR_ISM_E10value_typeEPSN_NS1_7vsmem_tEENKUlT_SL_SM_SN_E_clIS8_S8_S9_S9_EESK_S10_SL_SM_SN_EUlS10_E_NS1_11comp_targetILNS1_3genE0ELNS1_11target_archE4294967295ELNS1_3gpuE0ELNS1_3repE0EEENS1_48merge_mergepath_partition_config_static_selectorELNS0_4arch9wavefront6targetE1EEEvSM_: ; @_ZN7rocprim17ROCPRIM_400000_NS6detail17trampoline_kernelINS0_14default_configENS1_38merge_sort_block_merge_config_selectorIlNS0_10empty_typeEEEZZNS1_27merge_sort_block_merge_implIS3_PlPS5_mZN2at6native12_GLOBAL__N_124unique_dim_cuda_templateImEESt5tupleIJNSA_6TensorESF_SF_EERKSF_lbbbEUlllE_EE10hipError_tT0_T1_T2_jT3_P12ihipStream_tbPNSt15iterator_traitsISL_E10value_typeEPNSR_ISM_E10value_typeEPSN_NS1_7vsmem_tEENKUlT_SL_SM_SN_E_clIS8_S8_S9_S9_EESK_S10_SL_SM_SN_EUlS10_E_NS1_11comp_targetILNS1_3genE0ELNS1_11target_archE4294967295ELNS1_3gpuE0ELNS1_3repE0EEENS1_48merge_mergepath_partition_config_static_selectorELNS0_4arch9wavefront6targetE1EEEvSM_
; %bb.0:
	.section	.rodata,"a",@progbits
	.p2align	6, 0x0
	.amdhsa_kernel _ZN7rocprim17ROCPRIM_400000_NS6detail17trampoline_kernelINS0_14default_configENS1_38merge_sort_block_merge_config_selectorIlNS0_10empty_typeEEEZZNS1_27merge_sort_block_merge_implIS3_PlPS5_mZN2at6native12_GLOBAL__N_124unique_dim_cuda_templateImEESt5tupleIJNSA_6TensorESF_SF_EERKSF_lbbbEUlllE_EE10hipError_tT0_T1_T2_jT3_P12ihipStream_tbPNSt15iterator_traitsISL_E10value_typeEPNSR_ISM_E10value_typeEPSN_NS1_7vsmem_tEENKUlT_SL_SM_SN_E_clIS8_S8_S9_S9_EESK_S10_SL_SM_SN_EUlS10_E_NS1_11comp_targetILNS1_3genE0ELNS1_11target_archE4294967295ELNS1_3gpuE0ELNS1_3repE0EEENS1_48merge_mergepath_partition_config_static_selectorELNS0_4arch9wavefront6targetE1EEEvSM_
		.amdhsa_group_segment_fixed_size 0
		.amdhsa_private_segment_fixed_size 0
		.amdhsa_kernarg_size 56
		.amdhsa_user_sgpr_count 6
		.amdhsa_user_sgpr_private_segment_buffer 1
		.amdhsa_user_sgpr_dispatch_ptr 0
		.amdhsa_user_sgpr_queue_ptr 0
		.amdhsa_user_sgpr_kernarg_segment_ptr 1
		.amdhsa_user_sgpr_dispatch_id 0
		.amdhsa_user_sgpr_flat_scratch_init 0
		.amdhsa_user_sgpr_kernarg_preload_length 0
		.amdhsa_user_sgpr_kernarg_preload_offset 0
		.amdhsa_user_sgpr_private_segment_size 0
		.amdhsa_uses_dynamic_stack 0
		.amdhsa_system_sgpr_private_segment_wavefront_offset 0
		.amdhsa_system_sgpr_workgroup_id_x 1
		.amdhsa_system_sgpr_workgroup_id_y 0
		.amdhsa_system_sgpr_workgroup_id_z 0
		.amdhsa_system_sgpr_workgroup_info 0
		.amdhsa_system_vgpr_workitem_id 0
		.amdhsa_next_free_vgpr 1
		.amdhsa_next_free_sgpr 0
		.amdhsa_accum_offset 4
		.amdhsa_reserve_vcc 0
		.amdhsa_reserve_flat_scratch 0
		.amdhsa_float_round_mode_32 0
		.amdhsa_float_round_mode_16_64 0
		.amdhsa_float_denorm_mode_32 3
		.amdhsa_float_denorm_mode_16_64 3
		.amdhsa_dx10_clamp 1
		.amdhsa_ieee_mode 1
		.amdhsa_fp16_overflow 0
		.amdhsa_tg_split 0
		.amdhsa_exception_fp_ieee_invalid_op 0
		.amdhsa_exception_fp_denorm_src 0
		.amdhsa_exception_fp_ieee_div_zero 0
		.amdhsa_exception_fp_ieee_overflow 0
		.amdhsa_exception_fp_ieee_underflow 0
		.amdhsa_exception_fp_ieee_inexact 0
		.amdhsa_exception_int_div_zero 0
	.end_amdhsa_kernel
	.section	.text._ZN7rocprim17ROCPRIM_400000_NS6detail17trampoline_kernelINS0_14default_configENS1_38merge_sort_block_merge_config_selectorIlNS0_10empty_typeEEEZZNS1_27merge_sort_block_merge_implIS3_PlPS5_mZN2at6native12_GLOBAL__N_124unique_dim_cuda_templateImEESt5tupleIJNSA_6TensorESF_SF_EERKSF_lbbbEUlllE_EE10hipError_tT0_T1_T2_jT3_P12ihipStream_tbPNSt15iterator_traitsISL_E10value_typeEPNSR_ISM_E10value_typeEPSN_NS1_7vsmem_tEENKUlT_SL_SM_SN_E_clIS8_S8_S9_S9_EESK_S10_SL_SM_SN_EUlS10_E_NS1_11comp_targetILNS1_3genE0ELNS1_11target_archE4294967295ELNS1_3gpuE0ELNS1_3repE0EEENS1_48merge_mergepath_partition_config_static_selectorELNS0_4arch9wavefront6targetE1EEEvSM_,"axG",@progbits,_ZN7rocprim17ROCPRIM_400000_NS6detail17trampoline_kernelINS0_14default_configENS1_38merge_sort_block_merge_config_selectorIlNS0_10empty_typeEEEZZNS1_27merge_sort_block_merge_implIS3_PlPS5_mZN2at6native12_GLOBAL__N_124unique_dim_cuda_templateImEESt5tupleIJNSA_6TensorESF_SF_EERKSF_lbbbEUlllE_EE10hipError_tT0_T1_T2_jT3_P12ihipStream_tbPNSt15iterator_traitsISL_E10value_typeEPNSR_ISM_E10value_typeEPSN_NS1_7vsmem_tEENKUlT_SL_SM_SN_E_clIS8_S8_S9_S9_EESK_S10_SL_SM_SN_EUlS10_E_NS1_11comp_targetILNS1_3genE0ELNS1_11target_archE4294967295ELNS1_3gpuE0ELNS1_3repE0EEENS1_48merge_mergepath_partition_config_static_selectorELNS0_4arch9wavefront6targetE1EEEvSM_,comdat
.Lfunc_end1612:
	.size	_ZN7rocprim17ROCPRIM_400000_NS6detail17trampoline_kernelINS0_14default_configENS1_38merge_sort_block_merge_config_selectorIlNS0_10empty_typeEEEZZNS1_27merge_sort_block_merge_implIS3_PlPS5_mZN2at6native12_GLOBAL__N_124unique_dim_cuda_templateImEESt5tupleIJNSA_6TensorESF_SF_EERKSF_lbbbEUlllE_EE10hipError_tT0_T1_T2_jT3_P12ihipStream_tbPNSt15iterator_traitsISL_E10value_typeEPNSR_ISM_E10value_typeEPSN_NS1_7vsmem_tEENKUlT_SL_SM_SN_E_clIS8_S8_S9_S9_EESK_S10_SL_SM_SN_EUlS10_E_NS1_11comp_targetILNS1_3genE0ELNS1_11target_archE4294967295ELNS1_3gpuE0ELNS1_3repE0EEENS1_48merge_mergepath_partition_config_static_selectorELNS0_4arch9wavefront6targetE1EEEvSM_, .Lfunc_end1612-_ZN7rocprim17ROCPRIM_400000_NS6detail17trampoline_kernelINS0_14default_configENS1_38merge_sort_block_merge_config_selectorIlNS0_10empty_typeEEEZZNS1_27merge_sort_block_merge_implIS3_PlPS5_mZN2at6native12_GLOBAL__N_124unique_dim_cuda_templateImEESt5tupleIJNSA_6TensorESF_SF_EERKSF_lbbbEUlllE_EE10hipError_tT0_T1_T2_jT3_P12ihipStream_tbPNSt15iterator_traitsISL_E10value_typeEPNSR_ISM_E10value_typeEPSN_NS1_7vsmem_tEENKUlT_SL_SM_SN_E_clIS8_S8_S9_S9_EESK_S10_SL_SM_SN_EUlS10_E_NS1_11comp_targetILNS1_3genE0ELNS1_11target_archE4294967295ELNS1_3gpuE0ELNS1_3repE0EEENS1_48merge_mergepath_partition_config_static_selectorELNS0_4arch9wavefront6targetE1EEEvSM_
                                        ; -- End function
	.section	.AMDGPU.csdata,"",@progbits
; Kernel info:
; codeLenInByte = 0
; NumSgprs: 4
; NumVgprs: 0
; NumAgprs: 0
; TotalNumVgprs: 0
; ScratchSize: 0
; MemoryBound: 0
; FloatMode: 240
; IeeeMode: 1
; LDSByteSize: 0 bytes/workgroup (compile time only)
; SGPRBlocks: 0
; VGPRBlocks: 0
; NumSGPRsForWavesPerEU: 4
; NumVGPRsForWavesPerEU: 1
; AccumOffset: 4
; Occupancy: 8
; WaveLimiterHint : 0
; COMPUTE_PGM_RSRC2:SCRATCH_EN: 0
; COMPUTE_PGM_RSRC2:USER_SGPR: 6
; COMPUTE_PGM_RSRC2:TRAP_HANDLER: 0
; COMPUTE_PGM_RSRC2:TGID_X_EN: 1
; COMPUTE_PGM_RSRC2:TGID_Y_EN: 0
; COMPUTE_PGM_RSRC2:TGID_Z_EN: 0
; COMPUTE_PGM_RSRC2:TIDIG_COMP_CNT: 0
; COMPUTE_PGM_RSRC3_GFX90A:ACCUM_OFFSET: 0
; COMPUTE_PGM_RSRC3_GFX90A:TG_SPLIT: 0
	.section	.text._ZN7rocprim17ROCPRIM_400000_NS6detail17trampoline_kernelINS0_14default_configENS1_38merge_sort_block_merge_config_selectorIlNS0_10empty_typeEEEZZNS1_27merge_sort_block_merge_implIS3_PlPS5_mZN2at6native12_GLOBAL__N_124unique_dim_cuda_templateImEESt5tupleIJNSA_6TensorESF_SF_EERKSF_lbbbEUlllE_EE10hipError_tT0_T1_T2_jT3_P12ihipStream_tbPNSt15iterator_traitsISL_E10value_typeEPNSR_ISM_E10value_typeEPSN_NS1_7vsmem_tEENKUlT_SL_SM_SN_E_clIS8_S8_S9_S9_EESK_S10_SL_SM_SN_EUlS10_E_NS1_11comp_targetILNS1_3genE10ELNS1_11target_archE1201ELNS1_3gpuE5ELNS1_3repE0EEENS1_48merge_mergepath_partition_config_static_selectorELNS0_4arch9wavefront6targetE1EEEvSM_,"axG",@progbits,_ZN7rocprim17ROCPRIM_400000_NS6detail17trampoline_kernelINS0_14default_configENS1_38merge_sort_block_merge_config_selectorIlNS0_10empty_typeEEEZZNS1_27merge_sort_block_merge_implIS3_PlPS5_mZN2at6native12_GLOBAL__N_124unique_dim_cuda_templateImEESt5tupleIJNSA_6TensorESF_SF_EERKSF_lbbbEUlllE_EE10hipError_tT0_T1_T2_jT3_P12ihipStream_tbPNSt15iterator_traitsISL_E10value_typeEPNSR_ISM_E10value_typeEPSN_NS1_7vsmem_tEENKUlT_SL_SM_SN_E_clIS8_S8_S9_S9_EESK_S10_SL_SM_SN_EUlS10_E_NS1_11comp_targetILNS1_3genE10ELNS1_11target_archE1201ELNS1_3gpuE5ELNS1_3repE0EEENS1_48merge_mergepath_partition_config_static_selectorELNS0_4arch9wavefront6targetE1EEEvSM_,comdat
	.globl	_ZN7rocprim17ROCPRIM_400000_NS6detail17trampoline_kernelINS0_14default_configENS1_38merge_sort_block_merge_config_selectorIlNS0_10empty_typeEEEZZNS1_27merge_sort_block_merge_implIS3_PlPS5_mZN2at6native12_GLOBAL__N_124unique_dim_cuda_templateImEESt5tupleIJNSA_6TensorESF_SF_EERKSF_lbbbEUlllE_EE10hipError_tT0_T1_T2_jT3_P12ihipStream_tbPNSt15iterator_traitsISL_E10value_typeEPNSR_ISM_E10value_typeEPSN_NS1_7vsmem_tEENKUlT_SL_SM_SN_E_clIS8_S8_S9_S9_EESK_S10_SL_SM_SN_EUlS10_E_NS1_11comp_targetILNS1_3genE10ELNS1_11target_archE1201ELNS1_3gpuE5ELNS1_3repE0EEENS1_48merge_mergepath_partition_config_static_selectorELNS0_4arch9wavefront6targetE1EEEvSM_ ; -- Begin function _ZN7rocprim17ROCPRIM_400000_NS6detail17trampoline_kernelINS0_14default_configENS1_38merge_sort_block_merge_config_selectorIlNS0_10empty_typeEEEZZNS1_27merge_sort_block_merge_implIS3_PlPS5_mZN2at6native12_GLOBAL__N_124unique_dim_cuda_templateImEESt5tupleIJNSA_6TensorESF_SF_EERKSF_lbbbEUlllE_EE10hipError_tT0_T1_T2_jT3_P12ihipStream_tbPNSt15iterator_traitsISL_E10value_typeEPNSR_ISM_E10value_typeEPSN_NS1_7vsmem_tEENKUlT_SL_SM_SN_E_clIS8_S8_S9_S9_EESK_S10_SL_SM_SN_EUlS10_E_NS1_11comp_targetILNS1_3genE10ELNS1_11target_archE1201ELNS1_3gpuE5ELNS1_3repE0EEENS1_48merge_mergepath_partition_config_static_selectorELNS0_4arch9wavefront6targetE1EEEvSM_
	.p2align	8
	.type	_ZN7rocprim17ROCPRIM_400000_NS6detail17trampoline_kernelINS0_14default_configENS1_38merge_sort_block_merge_config_selectorIlNS0_10empty_typeEEEZZNS1_27merge_sort_block_merge_implIS3_PlPS5_mZN2at6native12_GLOBAL__N_124unique_dim_cuda_templateImEESt5tupleIJNSA_6TensorESF_SF_EERKSF_lbbbEUlllE_EE10hipError_tT0_T1_T2_jT3_P12ihipStream_tbPNSt15iterator_traitsISL_E10value_typeEPNSR_ISM_E10value_typeEPSN_NS1_7vsmem_tEENKUlT_SL_SM_SN_E_clIS8_S8_S9_S9_EESK_S10_SL_SM_SN_EUlS10_E_NS1_11comp_targetILNS1_3genE10ELNS1_11target_archE1201ELNS1_3gpuE5ELNS1_3repE0EEENS1_48merge_mergepath_partition_config_static_selectorELNS0_4arch9wavefront6targetE1EEEvSM_,@function
_ZN7rocprim17ROCPRIM_400000_NS6detail17trampoline_kernelINS0_14default_configENS1_38merge_sort_block_merge_config_selectorIlNS0_10empty_typeEEEZZNS1_27merge_sort_block_merge_implIS3_PlPS5_mZN2at6native12_GLOBAL__N_124unique_dim_cuda_templateImEESt5tupleIJNSA_6TensorESF_SF_EERKSF_lbbbEUlllE_EE10hipError_tT0_T1_T2_jT3_P12ihipStream_tbPNSt15iterator_traitsISL_E10value_typeEPNSR_ISM_E10value_typeEPSN_NS1_7vsmem_tEENKUlT_SL_SM_SN_E_clIS8_S8_S9_S9_EESK_S10_SL_SM_SN_EUlS10_E_NS1_11comp_targetILNS1_3genE10ELNS1_11target_archE1201ELNS1_3gpuE5ELNS1_3repE0EEENS1_48merge_mergepath_partition_config_static_selectorELNS0_4arch9wavefront6targetE1EEEvSM_: ; @_ZN7rocprim17ROCPRIM_400000_NS6detail17trampoline_kernelINS0_14default_configENS1_38merge_sort_block_merge_config_selectorIlNS0_10empty_typeEEEZZNS1_27merge_sort_block_merge_implIS3_PlPS5_mZN2at6native12_GLOBAL__N_124unique_dim_cuda_templateImEESt5tupleIJNSA_6TensorESF_SF_EERKSF_lbbbEUlllE_EE10hipError_tT0_T1_T2_jT3_P12ihipStream_tbPNSt15iterator_traitsISL_E10value_typeEPNSR_ISM_E10value_typeEPSN_NS1_7vsmem_tEENKUlT_SL_SM_SN_E_clIS8_S8_S9_S9_EESK_S10_SL_SM_SN_EUlS10_E_NS1_11comp_targetILNS1_3genE10ELNS1_11target_archE1201ELNS1_3gpuE5ELNS1_3repE0EEENS1_48merge_mergepath_partition_config_static_selectorELNS0_4arch9wavefront6targetE1EEEvSM_
; %bb.0:
	.section	.rodata,"a",@progbits
	.p2align	6, 0x0
	.amdhsa_kernel _ZN7rocprim17ROCPRIM_400000_NS6detail17trampoline_kernelINS0_14default_configENS1_38merge_sort_block_merge_config_selectorIlNS0_10empty_typeEEEZZNS1_27merge_sort_block_merge_implIS3_PlPS5_mZN2at6native12_GLOBAL__N_124unique_dim_cuda_templateImEESt5tupleIJNSA_6TensorESF_SF_EERKSF_lbbbEUlllE_EE10hipError_tT0_T1_T2_jT3_P12ihipStream_tbPNSt15iterator_traitsISL_E10value_typeEPNSR_ISM_E10value_typeEPSN_NS1_7vsmem_tEENKUlT_SL_SM_SN_E_clIS8_S8_S9_S9_EESK_S10_SL_SM_SN_EUlS10_E_NS1_11comp_targetILNS1_3genE10ELNS1_11target_archE1201ELNS1_3gpuE5ELNS1_3repE0EEENS1_48merge_mergepath_partition_config_static_selectorELNS0_4arch9wavefront6targetE1EEEvSM_
		.amdhsa_group_segment_fixed_size 0
		.amdhsa_private_segment_fixed_size 0
		.amdhsa_kernarg_size 56
		.amdhsa_user_sgpr_count 6
		.amdhsa_user_sgpr_private_segment_buffer 1
		.amdhsa_user_sgpr_dispatch_ptr 0
		.amdhsa_user_sgpr_queue_ptr 0
		.amdhsa_user_sgpr_kernarg_segment_ptr 1
		.amdhsa_user_sgpr_dispatch_id 0
		.amdhsa_user_sgpr_flat_scratch_init 0
		.amdhsa_user_sgpr_kernarg_preload_length 0
		.amdhsa_user_sgpr_kernarg_preload_offset 0
		.amdhsa_user_sgpr_private_segment_size 0
		.amdhsa_uses_dynamic_stack 0
		.amdhsa_system_sgpr_private_segment_wavefront_offset 0
		.amdhsa_system_sgpr_workgroup_id_x 1
		.amdhsa_system_sgpr_workgroup_id_y 0
		.amdhsa_system_sgpr_workgroup_id_z 0
		.amdhsa_system_sgpr_workgroup_info 0
		.amdhsa_system_vgpr_workitem_id 0
		.amdhsa_next_free_vgpr 1
		.amdhsa_next_free_sgpr 0
		.amdhsa_accum_offset 4
		.amdhsa_reserve_vcc 0
		.amdhsa_reserve_flat_scratch 0
		.amdhsa_float_round_mode_32 0
		.amdhsa_float_round_mode_16_64 0
		.amdhsa_float_denorm_mode_32 3
		.amdhsa_float_denorm_mode_16_64 3
		.amdhsa_dx10_clamp 1
		.amdhsa_ieee_mode 1
		.amdhsa_fp16_overflow 0
		.amdhsa_tg_split 0
		.amdhsa_exception_fp_ieee_invalid_op 0
		.amdhsa_exception_fp_denorm_src 0
		.amdhsa_exception_fp_ieee_div_zero 0
		.amdhsa_exception_fp_ieee_overflow 0
		.amdhsa_exception_fp_ieee_underflow 0
		.amdhsa_exception_fp_ieee_inexact 0
		.amdhsa_exception_int_div_zero 0
	.end_amdhsa_kernel
	.section	.text._ZN7rocprim17ROCPRIM_400000_NS6detail17trampoline_kernelINS0_14default_configENS1_38merge_sort_block_merge_config_selectorIlNS0_10empty_typeEEEZZNS1_27merge_sort_block_merge_implIS3_PlPS5_mZN2at6native12_GLOBAL__N_124unique_dim_cuda_templateImEESt5tupleIJNSA_6TensorESF_SF_EERKSF_lbbbEUlllE_EE10hipError_tT0_T1_T2_jT3_P12ihipStream_tbPNSt15iterator_traitsISL_E10value_typeEPNSR_ISM_E10value_typeEPSN_NS1_7vsmem_tEENKUlT_SL_SM_SN_E_clIS8_S8_S9_S9_EESK_S10_SL_SM_SN_EUlS10_E_NS1_11comp_targetILNS1_3genE10ELNS1_11target_archE1201ELNS1_3gpuE5ELNS1_3repE0EEENS1_48merge_mergepath_partition_config_static_selectorELNS0_4arch9wavefront6targetE1EEEvSM_,"axG",@progbits,_ZN7rocprim17ROCPRIM_400000_NS6detail17trampoline_kernelINS0_14default_configENS1_38merge_sort_block_merge_config_selectorIlNS0_10empty_typeEEEZZNS1_27merge_sort_block_merge_implIS3_PlPS5_mZN2at6native12_GLOBAL__N_124unique_dim_cuda_templateImEESt5tupleIJNSA_6TensorESF_SF_EERKSF_lbbbEUlllE_EE10hipError_tT0_T1_T2_jT3_P12ihipStream_tbPNSt15iterator_traitsISL_E10value_typeEPNSR_ISM_E10value_typeEPSN_NS1_7vsmem_tEENKUlT_SL_SM_SN_E_clIS8_S8_S9_S9_EESK_S10_SL_SM_SN_EUlS10_E_NS1_11comp_targetILNS1_3genE10ELNS1_11target_archE1201ELNS1_3gpuE5ELNS1_3repE0EEENS1_48merge_mergepath_partition_config_static_selectorELNS0_4arch9wavefront6targetE1EEEvSM_,comdat
.Lfunc_end1613:
	.size	_ZN7rocprim17ROCPRIM_400000_NS6detail17trampoline_kernelINS0_14default_configENS1_38merge_sort_block_merge_config_selectorIlNS0_10empty_typeEEEZZNS1_27merge_sort_block_merge_implIS3_PlPS5_mZN2at6native12_GLOBAL__N_124unique_dim_cuda_templateImEESt5tupleIJNSA_6TensorESF_SF_EERKSF_lbbbEUlllE_EE10hipError_tT0_T1_T2_jT3_P12ihipStream_tbPNSt15iterator_traitsISL_E10value_typeEPNSR_ISM_E10value_typeEPSN_NS1_7vsmem_tEENKUlT_SL_SM_SN_E_clIS8_S8_S9_S9_EESK_S10_SL_SM_SN_EUlS10_E_NS1_11comp_targetILNS1_3genE10ELNS1_11target_archE1201ELNS1_3gpuE5ELNS1_3repE0EEENS1_48merge_mergepath_partition_config_static_selectorELNS0_4arch9wavefront6targetE1EEEvSM_, .Lfunc_end1613-_ZN7rocprim17ROCPRIM_400000_NS6detail17trampoline_kernelINS0_14default_configENS1_38merge_sort_block_merge_config_selectorIlNS0_10empty_typeEEEZZNS1_27merge_sort_block_merge_implIS3_PlPS5_mZN2at6native12_GLOBAL__N_124unique_dim_cuda_templateImEESt5tupleIJNSA_6TensorESF_SF_EERKSF_lbbbEUlllE_EE10hipError_tT0_T1_T2_jT3_P12ihipStream_tbPNSt15iterator_traitsISL_E10value_typeEPNSR_ISM_E10value_typeEPSN_NS1_7vsmem_tEENKUlT_SL_SM_SN_E_clIS8_S8_S9_S9_EESK_S10_SL_SM_SN_EUlS10_E_NS1_11comp_targetILNS1_3genE10ELNS1_11target_archE1201ELNS1_3gpuE5ELNS1_3repE0EEENS1_48merge_mergepath_partition_config_static_selectorELNS0_4arch9wavefront6targetE1EEEvSM_
                                        ; -- End function
	.section	.AMDGPU.csdata,"",@progbits
; Kernel info:
; codeLenInByte = 0
; NumSgprs: 4
; NumVgprs: 0
; NumAgprs: 0
; TotalNumVgprs: 0
; ScratchSize: 0
; MemoryBound: 0
; FloatMode: 240
; IeeeMode: 1
; LDSByteSize: 0 bytes/workgroup (compile time only)
; SGPRBlocks: 0
; VGPRBlocks: 0
; NumSGPRsForWavesPerEU: 4
; NumVGPRsForWavesPerEU: 1
; AccumOffset: 4
; Occupancy: 8
; WaveLimiterHint : 0
; COMPUTE_PGM_RSRC2:SCRATCH_EN: 0
; COMPUTE_PGM_RSRC2:USER_SGPR: 6
; COMPUTE_PGM_RSRC2:TRAP_HANDLER: 0
; COMPUTE_PGM_RSRC2:TGID_X_EN: 1
; COMPUTE_PGM_RSRC2:TGID_Y_EN: 0
; COMPUTE_PGM_RSRC2:TGID_Z_EN: 0
; COMPUTE_PGM_RSRC2:TIDIG_COMP_CNT: 0
; COMPUTE_PGM_RSRC3_GFX90A:ACCUM_OFFSET: 0
; COMPUTE_PGM_RSRC3_GFX90A:TG_SPLIT: 0
	.section	.text._ZN7rocprim17ROCPRIM_400000_NS6detail17trampoline_kernelINS0_14default_configENS1_38merge_sort_block_merge_config_selectorIlNS0_10empty_typeEEEZZNS1_27merge_sort_block_merge_implIS3_PlPS5_mZN2at6native12_GLOBAL__N_124unique_dim_cuda_templateImEESt5tupleIJNSA_6TensorESF_SF_EERKSF_lbbbEUlllE_EE10hipError_tT0_T1_T2_jT3_P12ihipStream_tbPNSt15iterator_traitsISL_E10value_typeEPNSR_ISM_E10value_typeEPSN_NS1_7vsmem_tEENKUlT_SL_SM_SN_E_clIS8_S8_S9_S9_EESK_S10_SL_SM_SN_EUlS10_E_NS1_11comp_targetILNS1_3genE5ELNS1_11target_archE942ELNS1_3gpuE9ELNS1_3repE0EEENS1_48merge_mergepath_partition_config_static_selectorELNS0_4arch9wavefront6targetE1EEEvSM_,"axG",@progbits,_ZN7rocprim17ROCPRIM_400000_NS6detail17trampoline_kernelINS0_14default_configENS1_38merge_sort_block_merge_config_selectorIlNS0_10empty_typeEEEZZNS1_27merge_sort_block_merge_implIS3_PlPS5_mZN2at6native12_GLOBAL__N_124unique_dim_cuda_templateImEESt5tupleIJNSA_6TensorESF_SF_EERKSF_lbbbEUlllE_EE10hipError_tT0_T1_T2_jT3_P12ihipStream_tbPNSt15iterator_traitsISL_E10value_typeEPNSR_ISM_E10value_typeEPSN_NS1_7vsmem_tEENKUlT_SL_SM_SN_E_clIS8_S8_S9_S9_EESK_S10_SL_SM_SN_EUlS10_E_NS1_11comp_targetILNS1_3genE5ELNS1_11target_archE942ELNS1_3gpuE9ELNS1_3repE0EEENS1_48merge_mergepath_partition_config_static_selectorELNS0_4arch9wavefront6targetE1EEEvSM_,comdat
	.globl	_ZN7rocprim17ROCPRIM_400000_NS6detail17trampoline_kernelINS0_14default_configENS1_38merge_sort_block_merge_config_selectorIlNS0_10empty_typeEEEZZNS1_27merge_sort_block_merge_implIS3_PlPS5_mZN2at6native12_GLOBAL__N_124unique_dim_cuda_templateImEESt5tupleIJNSA_6TensorESF_SF_EERKSF_lbbbEUlllE_EE10hipError_tT0_T1_T2_jT3_P12ihipStream_tbPNSt15iterator_traitsISL_E10value_typeEPNSR_ISM_E10value_typeEPSN_NS1_7vsmem_tEENKUlT_SL_SM_SN_E_clIS8_S8_S9_S9_EESK_S10_SL_SM_SN_EUlS10_E_NS1_11comp_targetILNS1_3genE5ELNS1_11target_archE942ELNS1_3gpuE9ELNS1_3repE0EEENS1_48merge_mergepath_partition_config_static_selectorELNS0_4arch9wavefront6targetE1EEEvSM_ ; -- Begin function _ZN7rocprim17ROCPRIM_400000_NS6detail17trampoline_kernelINS0_14default_configENS1_38merge_sort_block_merge_config_selectorIlNS0_10empty_typeEEEZZNS1_27merge_sort_block_merge_implIS3_PlPS5_mZN2at6native12_GLOBAL__N_124unique_dim_cuda_templateImEESt5tupleIJNSA_6TensorESF_SF_EERKSF_lbbbEUlllE_EE10hipError_tT0_T1_T2_jT3_P12ihipStream_tbPNSt15iterator_traitsISL_E10value_typeEPNSR_ISM_E10value_typeEPSN_NS1_7vsmem_tEENKUlT_SL_SM_SN_E_clIS8_S8_S9_S9_EESK_S10_SL_SM_SN_EUlS10_E_NS1_11comp_targetILNS1_3genE5ELNS1_11target_archE942ELNS1_3gpuE9ELNS1_3repE0EEENS1_48merge_mergepath_partition_config_static_selectorELNS0_4arch9wavefront6targetE1EEEvSM_
	.p2align	8
	.type	_ZN7rocprim17ROCPRIM_400000_NS6detail17trampoline_kernelINS0_14default_configENS1_38merge_sort_block_merge_config_selectorIlNS0_10empty_typeEEEZZNS1_27merge_sort_block_merge_implIS3_PlPS5_mZN2at6native12_GLOBAL__N_124unique_dim_cuda_templateImEESt5tupleIJNSA_6TensorESF_SF_EERKSF_lbbbEUlllE_EE10hipError_tT0_T1_T2_jT3_P12ihipStream_tbPNSt15iterator_traitsISL_E10value_typeEPNSR_ISM_E10value_typeEPSN_NS1_7vsmem_tEENKUlT_SL_SM_SN_E_clIS8_S8_S9_S9_EESK_S10_SL_SM_SN_EUlS10_E_NS1_11comp_targetILNS1_3genE5ELNS1_11target_archE942ELNS1_3gpuE9ELNS1_3repE0EEENS1_48merge_mergepath_partition_config_static_selectorELNS0_4arch9wavefront6targetE1EEEvSM_,@function
_ZN7rocprim17ROCPRIM_400000_NS6detail17trampoline_kernelINS0_14default_configENS1_38merge_sort_block_merge_config_selectorIlNS0_10empty_typeEEEZZNS1_27merge_sort_block_merge_implIS3_PlPS5_mZN2at6native12_GLOBAL__N_124unique_dim_cuda_templateImEESt5tupleIJNSA_6TensorESF_SF_EERKSF_lbbbEUlllE_EE10hipError_tT0_T1_T2_jT3_P12ihipStream_tbPNSt15iterator_traitsISL_E10value_typeEPNSR_ISM_E10value_typeEPSN_NS1_7vsmem_tEENKUlT_SL_SM_SN_E_clIS8_S8_S9_S9_EESK_S10_SL_SM_SN_EUlS10_E_NS1_11comp_targetILNS1_3genE5ELNS1_11target_archE942ELNS1_3gpuE9ELNS1_3repE0EEENS1_48merge_mergepath_partition_config_static_selectorELNS0_4arch9wavefront6targetE1EEEvSM_: ; @_ZN7rocprim17ROCPRIM_400000_NS6detail17trampoline_kernelINS0_14default_configENS1_38merge_sort_block_merge_config_selectorIlNS0_10empty_typeEEEZZNS1_27merge_sort_block_merge_implIS3_PlPS5_mZN2at6native12_GLOBAL__N_124unique_dim_cuda_templateImEESt5tupleIJNSA_6TensorESF_SF_EERKSF_lbbbEUlllE_EE10hipError_tT0_T1_T2_jT3_P12ihipStream_tbPNSt15iterator_traitsISL_E10value_typeEPNSR_ISM_E10value_typeEPSN_NS1_7vsmem_tEENKUlT_SL_SM_SN_E_clIS8_S8_S9_S9_EESK_S10_SL_SM_SN_EUlS10_E_NS1_11comp_targetILNS1_3genE5ELNS1_11target_archE942ELNS1_3gpuE9ELNS1_3repE0EEENS1_48merge_mergepath_partition_config_static_selectorELNS0_4arch9wavefront6targetE1EEEvSM_
; %bb.0:
	.section	.rodata,"a",@progbits
	.p2align	6, 0x0
	.amdhsa_kernel _ZN7rocprim17ROCPRIM_400000_NS6detail17trampoline_kernelINS0_14default_configENS1_38merge_sort_block_merge_config_selectorIlNS0_10empty_typeEEEZZNS1_27merge_sort_block_merge_implIS3_PlPS5_mZN2at6native12_GLOBAL__N_124unique_dim_cuda_templateImEESt5tupleIJNSA_6TensorESF_SF_EERKSF_lbbbEUlllE_EE10hipError_tT0_T1_T2_jT3_P12ihipStream_tbPNSt15iterator_traitsISL_E10value_typeEPNSR_ISM_E10value_typeEPSN_NS1_7vsmem_tEENKUlT_SL_SM_SN_E_clIS8_S8_S9_S9_EESK_S10_SL_SM_SN_EUlS10_E_NS1_11comp_targetILNS1_3genE5ELNS1_11target_archE942ELNS1_3gpuE9ELNS1_3repE0EEENS1_48merge_mergepath_partition_config_static_selectorELNS0_4arch9wavefront6targetE1EEEvSM_
		.amdhsa_group_segment_fixed_size 0
		.amdhsa_private_segment_fixed_size 0
		.amdhsa_kernarg_size 56
		.amdhsa_user_sgpr_count 6
		.amdhsa_user_sgpr_private_segment_buffer 1
		.amdhsa_user_sgpr_dispatch_ptr 0
		.amdhsa_user_sgpr_queue_ptr 0
		.amdhsa_user_sgpr_kernarg_segment_ptr 1
		.amdhsa_user_sgpr_dispatch_id 0
		.amdhsa_user_sgpr_flat_scratch_init 0
		.amdhsa_user_sgpr_kernarg_preload_length 0
		.amdhsa_user_sgpr_kernarg_preload_offset 0
		.amdhsa_user_sgpr_private_segment_size 0
		.amdhsa_uses_dynamic_stack 0
		.amdhsa_system_sgpr_private_segment_wavefront_offset 0
		.amdhsa_system_sgpr_workgroup_id_x 1
		.amdhsa_system_sgpr_workgroup_id_y 0
		.amdhsa_system_sgpr_workgroup_id_z 0
		.amdhsa_system_sgpr_workgroup_info 0
		.amdhsa_system_vgpr_workitem_id 0
		.amdhsa_next_free_vgpr 1
		.amdhsa_next_free_sgpr 0
		.amdhsa_accum_offset 4
		.amdhsa_reserve_vcc 0
		.amdhsa_reserve_flat_scratch 0
		.amdhsa_float_round_mode_32 0
		.amdhsa_float_round_mode_16_64 0
		.amdhsa_float_denorm_mode_32 3
		.amdhsa_float_denorm_mode_16_64 3
		.amdhsa_dx10_clamp 1
		.amdhsa_ieee_mode 1
		.amdhsa_fp16_overflow 0
		.amdhsa_tg_split 0
		.amdhsa_exception_fp_ieee_invalid_op 0
		.amdhsa_exception_fp_denorm_src 0
		.amdhsa_exception_fp_ieee_div_zero 0
		.amdhsa_exception_fp_ieee_overflow 0
		.amdhsa_exception_fp_ieee_underflow 0
		.amdhsa_exception_fp_ieee_inexact 0
		.amdhsa_exception_int_div_zero 0
	.end_amdhsa_kernel
	.section	.text._ZN7rocprim17ROCPRIM_400000_NS6detail17trampoline_kernelINS0_14default_configENS1_38merge_sort_block_merge_config_selectorIlNS0_10empty_typeEEEZZNS1_27merge_sort_block_merge_implIS3_PlPS5_mZN2at6native12_GLOBAL__N_124unique_dim_cuda_templateImEESt5tupleIJNSA_6TensorESF_SF_EERKSF_lbbbEUlllE_EE10hipError_tT0_T1_T2_jT3_P12ihipStream_tbPNSt15iterator_traitsISL_E10value_typeEPNSR_ISM_E10value_typeEPSN_NS1_7vsmem_tEENKUlT_SL_SM_SN_E_clIS8_S8_S9_S9_EESK_S10_SL_SM_SN_EUlS10_E_NS1_11comp_targetILNS1_3genE5ELNS1_11target_archE942ELNS1_3gpuE9ELNS1_3repE0EEENS1_48merge_mergepath_partition_config_static_selectorELNS0_4arch9wavefront6targetE1EEEvSM_,"axG",@progbits,_ZN7rocprim17ROCPRIM_400000_NS6detail17trampoline_kernelINS0_14default_configENS1_38merge_sort_block_merge_config_selectorIlNS0_10empty_typeEEEZZNS1_27merge_sort_block_merge_implIS3_PlPS5_mZN2at6native12_GLOBAL__N_124unique_dim_cuda_templateImEESt5tupleIJNSA_6TensorESF_SF_EERKSF_lbbbEUlllE_EE10hipError_tT0_T1_T2_jT3_P12ihipStream_tbPNSt15iterator_traitsISL_E10value_typeEPNSR_ISM_E10value_typeEPSN_NS1_7vsmem_tEENKUlT_SL_SM_SN_E_clIS8_S8_S9_S9_EESK_S10_SL_SM_SN_EUlS10_E_NS1_11comp_targetILNS1_3genE5ELNS1_11target_archE942ELNS1_3gpuE9ELNS1_3repE0EEENS1_48merge_mergepath_partition_config_static_selectorELNS0_4arch9wavefront6targetE1EEEvSM_,comdat
.Lfunc_end1614:
	.size	_ZN7rocprim17ROCPRIM_400000_NS6detail17trampoline_kernelINS0_14default_configENS1_38merge_sort_block_merge_config_selectorIlNS0_10empty_typeEEEZZNS1_27merge_sort_block_merge_implIS3_PlPS5_mZN2at6native12_GLOBAL__N_124unique_dim_cuda_templateImEESt5tupleIJNSA_6TensorESF_SF_EERKSF_lbbbEUlllE_EE10hipError_tT0_T1_T2_jT3_P12ihipStream_tbPNSt15iterator_traitsISL_E10value_typeEPNSR_ISM_E10value_typeEPSN_NS1_7vsmem_tEENKUlT_SL_SM_SN_E_clIS8_S8_S9_S9_EESK_S10_SL_SM_SN_EUlS10_E_NS1_11comp_targetILNS1_3genE5ELNS1_11target_archE942ELNS1_3gpuE9ELNS1_3repE0EEENS1_48merge_mergepath_partition_config_static_selectorELNS0_4arch9wavefront6targetE1EEEvSM_, .Lfunc_end1614-_ZN7rocprim17ROCPRIM_400000_NS6detail17trampoline_kernelINS0_14default_configENS1_38merge_sort_block_merge_config_selectorIlNS0_10empty_typeEEEZZNS1_27merge_sort_block_merge_implIS3_PlPS5_mZN2at6native12_GLOBAL__N_124unique_dim_cuda_templateImEESt5tupleIJNSA_6TensorESF_SF_EERKSF_lbbbEUlllE_EE10hipError_tT0_T1_T2_jT3_P12ihipStream_tbPNSt15iterator_traitsISL_E10value_typeEPNSR_ISM_E10value_typeEPSN_NS1_7vsmem_tEENKUlT_SL_SM_SN_E_clIS8_S8_S9_S9_EESK_S10_SL_SM_SN_EUlS10_E_NS1_11comp_targetILNS1_3genE5ELNS1_11target_archE942ELNS1_3gpuE9ELNS1_3repE0EEENS1_48merge_mergepath_partition_config_static_selectorELNS0_4arch9wavefront6targetE1EEEvSM_
                                        ; -- End function
	.section	.AMDGPU.csdata,"",@progbits
; Kernel info:
; codeLenInByte = 0
; NumSgprs: 4
; NumVgprs: 0
; NumAgprs: 0
; TotalNumVgprs: 0
; ScratchSize: 0
; MemoryBound: 0
; FloatMode: 240
; IeeeMode: 1
; LDSByteSize: 0 bytes/workgroup (compile time only)
; SGPRBlocks: 0
; VGPRBlocks: 0
; NumSGPRsForWavesPerEU: 4
; NumVGPRsForWavesPerEU: 1
; AccumOffset: 4
; Occupancy: 8
; WaveLimiterHint : 0
; COMPUTE_PGM_RSRC2:SCRATCH_EN: 0
; COMPUTE_PGM_RSRC2:USER_SGPR: 6
; COMPUTE_PGM_RSRC2:TRAP_HANDLER: 0
; COMPUTE_PGM_RSRC2:TGID_X_EN: 1
; COMPUTE_PGM_RSRC2:TGID_Y_EN: 0
; COMPUTE_PGM_RSRC2:TGID_Z_EN: 0
; COMPUTE_PGM_RSRC2:TIDIG_COMP_CNT: 0
; COMPUTE_PGM_RSRC3_GFX90A:ACCUM_OFFSET: 0
; COMPUTE_PGM_RSRC3_GFX90A:TG_SPLIT: 0
	.section	.text._ZN7rocprim17ROCPRIM_400000_NS6detail17trampoline_kernelINS0_14default_configENS1_38merge_sort_block_merge_config_selectorIlNS0_10empty_typeEEEZZNS1_27merge_sort_block_merge_implIS3_PlPS5_mZN2at6native12_GLOBAL__N_124unique_dim_cuda_templateImEESt5tupleIJNSA_6TensorESF_SF_EERKSF_lbbbEUlllE_EE10hipError_tT0_T1_T2_jT3_P12ihipStream_tbPNSt15iterator_traitsISL_E10value_typeEPNSR_ISM_E10value_typeEPSN_NS1_7vsmem_tEENKUlT_SL_SM_SN_E_clIS8_S8_S9_S9_EESK_S10_SL_SM_SN_EUlS10_E_NS1_11comp_targetILNS1_3genE4ELNS1_11target_archE910ELNS1_3gpuE8ELNS1_3repE0EEENS1_48merge_mergepath_partition_config_static_selectorELNS0_4arch9wavefront6targetE1EEEvSM_,"axG",@progbits,_ZN7rocprim17ROCPRIM_400000_NS6detail17trampoline_kernelINS0_14default_configENS1_38merge_sort_block_merge_config_selectorIlNS0_10empty_typeEEEZZNS1_27merge_sort_block_merge_implIS3_PlPS5_mZN2at6native12_GLOBAL__N_124unique_dim_cuda_templateImEESt5tupleIJNSA_6TensorESF_SF_EERKSF_lbbbEUlllE_EE10hipError_tT0_T1_T2_jT3_P12ihipStream_tbPNSt15iterator_traitsISL_E10value_typeEPNSR_ISM_E10value_typeEPSN_NS1_7vsmem_tEENKUlT_SL_SM_SN_E_clIS8_S8_S9_S9_EESK_S10_SL_SM_SN_EUlS10_E_NS1_11comp_targetILNS1_3genE4ELNS1_11target_archE910ELNS1_3gpuE8ELNS1_3repE0EEENS1_48merge_mergepath_partition_config_static_selectorELNS0_4arch9wavefront6targetE1EEEvSM_,comdat
	.globl	_ZN7rocprim17ROCPRIM_400000_NS6detail17trampoline_kernelINS0_14default_configENS1_38merge_sort_block_merge_config_selectorIlNS0_10empty_typeEEEZZNS1_27merge_sort_block_merge_implIS3_PlPS5_mZN2at6native12_GLOBAL__N_124unique_dim_cuda_templateImEESt5tupleIJNSA_6TensorESF_SF_EERKSF_lbbbEUlllE_EE10hipError_tT0_T1_T2_jT3_P12ihipStream_tbPNSt15iterator_traitsISL_E10value_typeEPNSR_ISM_E10value_typeEPSN_NS1_7vsmem_tEENKUlT_SL_SM_SN_E_clIS8_S8_S9_S9_EESK_S10_SL_SM_SN_EUlS10_E_NS1_11comp_targetILNS1_3genE4ELNS1_11target_archE910ELNS1_3gpuE8ELNS1_3repE0EEENS1_48merge_mergepath_partition_config_static_selectorELNS0_4arch9wavefront6targetE1EEEvSM_ ; -- Begin function _ZN7rocprim17ROCPRIM_400000_NS6detail17trampoline_kernelINS0_14default_configENS1_38merge_sort_block_merge_config_selectorIlNS0_10empty_typeEEEZZNS1_27merge_sort_block_merge_implIS3_PlPS5_mZN2at6native12_GLOBAL__N_124unique_dim_cuda_templateImEESt5tupleIJNSA_6TensorESF_SF_EERKSF_lbbbEUlllE_EE10hipError_tT0_T1_T2_jT3_P12ihipStream_tbPNSt15iterator_traitsISL_E10value_typeEPNSR_ISM_E10value_typeEPSN_NS1_7vsmem_tEENKUlT_SL_SM_SN_E_clIS8_S8_S9_S9_EESK_S10_SL_SM_SN_EUlS10_E_NS1_11comp_targetILNS1_3genE4ELNS1_11target_archE910ELNS1_3gpuE8ELNS1_3repE0EEENS1_48merge_mergepath_partition_config_static_selectorELNS0_4arch9wavefront6targetE1EEEvSM_
	.p2align	8
	.type	_ZN7rocprim17ROCPRIM_400000_NS6detail17trampoline_kernelINS0_14default_configENS1_38merge_sort_block_merge_config_selectorIlNS0_10empty_typeEEEZZNS1_27merge_sort_block_merge_implIS3_PlPS5_mZN2at6native12_GLOBAL__N_124unique_dim_cuda_templateImEESt5tupleIJNSA_6TensorESF_SF_EERKSF_lbbbEUlllE_EE10hipError_tT0_T1_T2_jT3_P12ihipStream_tbPNSt15iterator_traitsISL_E10value_typeEPNSR_ISM_E10value_typeEPSN_NS1_7vsmem_tEENKUlT_SL_SM_SN_E_clIS8_S8_S9_S9_EESK_S10_SL_SM_SN_EUlS10_E_NS1_11comp_targetILNS1_3genE4ELNS1_11target_archE910ELNS1_3gpuE8ELNS1_3repE0EEENS1_48merge_mergepath_partition_config_static_selectorELNS0_4arch9wavefront6targetE1EEEvSM_,@function
_ZN7rocprim17ROCPRIM_400000_NS6detail17trampoline_kernelINS0_14default_configENS1_38merge_sort_block_merge_config_selectorIlNS0_10empty_typeEEEZZNS1_27merge_sort_block_merge_implIS3_PlPS5_mZN2at6native12_GLOBAL__N_124unique_dim_cuda_templateImEESt5tupleIJNSA_6TensorESF_SF_EERKSF_lbbbEUlllE_EE10hipError_tT0_T1_T2_jT3_P12ihipStream_tbPNSt15iterator_traitsISL_E10value_typeEPNSR_ISM_E10value_typeEPSN_NS1_7vsmem_tEENKUlT_SL_SM_SN_E_clIS8_S8_S9_S9_EESK_S10_SL_SM_SN_EUlS10_E_NS1_11comp_targetILNS1_3genE4ELNS1_11target_archE910ELNS1_3gpuE8ELNS1_3repE0EEENS1_48merge_mergepath_partition_config_static_selectorELNS0_4arch9wavefront6targetE1EEEvSM_: ; @_ZN7rocprim17ROCPRIM_400000_NS6detail17trampoline_kernelINS0_14default_configENS1_38merge_sort_block_merge_config_selectorIlNS0_10empty_typeEEEZZNS1_27merge_sort_block_merge_implIS3_PlPS5_mZN2at6native12_GLOBAL__N_124unique_dim_cuda_templateImEESt5tupleIJNSA_6TensorESF_SF_EERKSF_lbbbEUlllE_EE10hipError_tT0_T1_T2_jT3_P12ihipStream_tbPNSt15iterator_traitsISL_E10value_typeEPNSR_ISM_E10value_typeEPSN_NS1_7vsmem_tEENKUlT_SL_SM_SN_E_clIS8_S8_S9_S9_EESK_S10_SL_SM_SN_EUlS10_E_NS1_11comp_targetILNS1_3genE4ELNS1_11target_archE910ELNS1_3gpuE8ELNS1_3repE0EEENS1_48merge_mergepath_partition_config_static_selectorELNS0_4arch9wavefront6targetE1EEEvSM_
; %bb.0:
	s_load_dword s0, s[4:5], 0x0
	v_lshl_or_b32 v0, s6, 7, v0
	s_waitcnt lgkmcnt(0)
	v_cmp_gt_u32_e32 vcc, s0, v0
	s_and_saveexec_b64 s[0:1], vcc
	s_cbranch_execz .LBB1615_12
; %bb.1:
	s_load_dwordx4 s[0:3], s[4:5], 0x8
	s_load_dwordx8 s[8:15], s[4:5], 0x18
	v_mov_b32_e32 v5, 0
	s_waitcnt lgkmcnt(0)
	v_mov_b32_e32 v1, s0
	v_alignbit_b32 v1, s1, v1, 9
	v_and_b32_e32 v1, -2, v1
	v_add_u32_e32 v2, -1, v1
	v_sub_u32_e32 v1, 0, v1
	v_and_b32_e32 v4, v0, v1
	v_lshlrev_b64 v[8:9], 10, v[4:5]
	v_mov_b32_e32 v1, s3
	v_cmp_lt_u64_e32 vcc, s[2:3], v[8:9]
	v_mov_b32_e32 v4, s2
	v_and_b32_e32 v6, v2, v0
	v_cndmask_b32_e32 v3, v9, v1, vcc
	v_cndmask_b32_e32 v2, v8, v4, vcc
	v_mov_b32_e32 v7, s1
	v_add_co_u32_e32 v8, vcc, s0, v8
	v_addc_co_u32_e32 v9, vcc, v9, v7, vcc
	v_cmp_lt_u64_e32 vcc, s[2:3], v[8:9]
	v_cndmask_b32_e32 v8, v8, v4, vcc
	v_cndmask_b32_e32 v9, v9, v1, vcc
	v_add_co_u32_e32 v10, vcc, s0, v8
	v_addc_co_u32_e32 v11, vcc, v9, v7, vcc
	v_cmp_lt_u64_e32 vcc, s[2:3], v[10:11]
	v_cndmask_b32_e32 v12, v10, v4, vcc
	v_cndmask_b32_e32 v1, v11, v1, vcc
	v_sub_co_u32_e32 v10, vcc, v12, v2
	v_mov_b32_e32 v7, v5
	v_subb_co_u32_e32 v11, vcc, v1, v3, vcc
	v_lshlrev_b64 v[4:5], 10, v[6:7]
	v_cmp_lt_u64_e32 vcc, v[10:11], v[4:5]
	v_cndmask_b32_e32 v11, v5, v11, vcc
	v_cndmask_b32_e32 v10, v4, v10, vcc
	v_sub_co_u32_e32 v6, vcc, v8, v2
	v_subb_co_u32_e32 v7, vcc, v9, v3, vcc
	v_sub_co_u32_e32 v4, vcc, v8, v12
	v_subb_co_u32_e32 v1, vcc, v9, v1, vcc
	v_add_co_u32_e32 v4, vcc, v10, v4
	v_addc_co_u32_e32 v5, vcc, v11, v1, vcc
	v_cmp_gt_u64_e32 vcc, v[4:5], v[10:11]
	v_cndmask_b32_e64 v5, v5, 0, vcc
	v_cndmask_b32_e64 v4, v4, 0, vcc
	v_cmp_lt_u64_e32 vcc, v[10:11], v[6:7]
	v_cndmask_b32_e32 v7, v7, v11, vcc
	v_cndmask_b32_e32 v6, v6, v10, vcc
	v_cmp_lt_u64_e32 vcc, v[4:5], v[6:7]
	s_and_saveexec_b64 s[6:7], vcc
	s_cbranch_execz .LBB1615_11
; %bb.2:
	v_lshlrev_b64 v[12:13], 3, v[2:3]
	v_mov_b32_e32 v14, s9
	v_add_co_u32_e32 v1, vcc, s8, v12
	v_addc_co_u32_e32 v14, vcc, v14, v13, vcc
	v_lshlrev_b64 v[8:9], 3, v[8:9]
	v_mov_b32_e32 v12, s9
	v_add_co_u32_e32 v13, vcc, s8, v8
	v_addc_co_u32_e32 v12, vcc, v12, v9, vcc
	v_lshlrev_b64 v[8:9], 3, v[10:11]
	v_cmp_gt_i64_e64 s[0:1], s[10:11], 0
	v_add_co_u32_e32 v15, vcc, v13, v8
	v_cndmask_b32_e64 v8, 0, 1, s[0:1]
	v_addc_co_u32_e32 v16, vcc, v12, v9, vcc
	s_mov_b64 s[8:9], 0
	s_lshl_b64 s[16:17], s[10:11], 3
	v_cmp_ne_u32_e64 s[0:1], 1, v8
	s_branch .LBB1615_5
.LBB1615_3:                             ;   in Loop: Header=BB1615_5 Depth=1
	s_or_b64 exec, exec, s[20:21]
.LBB1615_4:                             ;   in Loop: Header=BB1615_5 Depth=1
	v_add_co_u32_e32 v10, vcc, 1, v8
	v_addc_co_u32_e32 v11, vcc, 0, v9, vcc
	v_cndmask_b32_e64 v7, v7, v9, s[18:19]
	v_cndmask_b32_e64 v6, v6, v8, s[18:19]
	;; [unrolled: 1-line block ×4, first 2 shown]
	v_cmp_ge_u64_e32 vcc, v[4:5], v[6:7]
	s_or_b64 s[8:9], vcc, s[8:9]
	s_andn2_b64 exec, exec, s[8:9]
	s_cbranch_execz .LBB1615_10
.LBB1615_5:                             ; =>This Loop Header: Depth=1
                                        ;     Child Loop BB1615_8 Depth 2
	v_add_co_u32_e32 v8, vcc, v6, v4
	v_addc_co_u32_e32 v9, vcc, v7, v5, vcc
	v_lshrrev_b64 v[8:9], 1, v[8:9]
	s_and_b64 vcc, exec, s[0:1]
	s_mov_b64 s[18:19], 0
	s_cbranch_vccnz .LBB1615_4
; %bb.6:                                ;   in Loop: Header=BB1615_5 Depth=1
	v_not_b32_e32 v11, v9
	v_not_b32_e32 v10, v8
	v_lshlrev_b64 v[10:11], 3, v[10:11]
	v_add_co_u32_e32 v10, vcc, v15, v10
	v_addc_co_u32_e32 v11, vcc, v16, v11, vcc
	v_lshlrev_b64 v[12:13], 3, v[8:9]
	v_add_co_u32_e32 v12, vcc, v1, v12
	v_addc_co_u32_e32 v13, vcc, v14, v13, vcc
	global_load_dwordx2 v[10:11], v[10:11], off
	v_pk_mov_b32 v[18:19], s[12:13], s[12:13] op_sel:[0,1]
	global_load_dwordx2 v[12:13], v[12:13], off
	s_mov_b64 s[20:21], 0
	s_mov_b64 s[26:27], s[10:11]
                                        ; implicit-def: $sgpr18_sgpr19
                                        ; implicit-def: $sgpr22_sgpr23
                                        ; implicit-def: $sgpr24_sgpr25
                                        ; implicit-def: $sgpr2_sgpr3
                                        ; implicit-def: $sgpr28_sgpr29
	s_waitcnt vmcnt(1)
	v_mul_lo_u32 v17, s16, v11
	v_mul_lo_u32 v20, s17, v10
	v_mad_u64_u32 v[10:11], s[4:5], s16, v10, v[18:19]
	s_waitcnt vmcnt(0)
	v_mul_lo_u32 v21, s16, v13
	v_mul_lo_u32 v22, s17, v12
	v_mad_u64_u32 v[12:13], s[4:5], s16, v12, v[18:19]
	v_add3_u32 v11, v20, v11, v17
	v_add3_u32 v13, v22, v13, v21
	s_branch .LBB1615_8
.LBB1615_7:                             ;   in Loop: Header=BB1615_8 Depth=2
	s_or_b64 exec, exec, s[30:31]
	s_and_b64 s[4:5], exec, s[22:23]
	s_or_b64 s[20:21], s[4:5], s[20:21]
	s_andn2_b64 s[4:5], s[28:29], exec
	s_and_b64 s[28:29], s[24:25], exec
	s_or_b64 s[28:29], s[4:5], s[28:29]
	s_andn2_b64 s[4:5], s[18:19], exec
	s_and_b64 s[18:19], s[2:3], exec
	s_or_b64 s[18:19], s[4:5], s[18:19]
	s_andn2_b64 exec, exec, s[20:21]
	s_cbranch_execz .LBB1615_3
.LBB1615_8:                             ;   Parent Loop BB1615_5 Depth=1
                                        ; =>  This Inner Loop Header: Depth=2
	global_load_dwordx2 v[18:19], v[10:11], off
	global_load_dwordx2 v[20:21], v[12:13], off
	s_andn2_b64 s[30:31], s[2:3], exec
	s_andn2_b64 s[24:25], s[24:25], exec
	s_or_b64 s[22:23], s[22:23], exec
	s_waitcnt vmcnt(0)
	v_cmp_le_u64_e64 s[2:3], v[18:19], v[20:21]
	v_cmp_lt_u64_e32 vcc, v[18:19], v[20:21]
	s_and_b64 s[2:3], s[2:3], s[28:29]
	s_or_b64 s[34:35], vcc, s[2:3]
	s_and_b64 s[2:3], s[34:35], exec
	v_cmp_eq_u64_e64 s[4:5], v[18:19], v[20:21]
	s_or_b64 s[2:3], s[30:31], s[2:3]
	s_and_saveexec_b64 s[30:31], s[4:5]
	s_cbranch_execz .LBB1615_7
; %bb.9:                                ;   in Loop: Header=BB1615_8 Depth=2
	s_add_u32 s26, s26, -1
	s_addc_u32 s27, s27, -1
	v_add_co_u32_e32 v10, vcc, 8, v10
	s_cmp_eq_u64 s[26:27], 0
	v_addc_co_u32_e32 v11, vcc, 0, v11, vcc
	s_cselect_b64 s[4:5], -1, 0
	v_add_co_u32_e32 v12, vcc, 8, v12
	s_andn2_b64 s[24:25], s[24:25], exec
	s_and_b64 s[28:29], s[34:35], exec
	s_andn2_b64 s[22:23], s[22:23], exec
	s_and_b64 s[4:5], s[4:5], exec
	v_addc_co_u32_e32 v13, vcc, 0, v13, vcc
	s_andn2_b64 s[2:3], s[2:3], exec
	s_or_b64 s[24:25], s[24:25], s[28:29]
	s_or_b64 s[22:23], s[22:23], s[4:5]
                                        ; implicit-def: $sgpr28_sgpr29
	s_branch .LBB1615_7
.LBB1615_10:
	s_or_b64 exec, exec, s[8:9]
.LBB1615_11:
	s_or_b64 exec, exec, s[6:7]
	v_add_co_u32_e32 v2, vcc, v4, v2
	v_mov_b32_e32 v1, 0
	v_addc_co_u32_e32 v3, vcc, v5, v3, vcc
	v_lshlrev_b64 v[0:1], 3, v[0:1]
	v_mov_b32_e32 v4, s15
	v_add_co_u32_e32 v0, vcc, s14, v0
	v_addc_co_u32_e32 v1, vcc, v4, v1, vcc
	global_store_dwordx2 v[0:1], v[2:3], off
.LBB1615_12:
	s_endpgm
	.section	.rodata,"a",@progbits
	.p2align	6, 0x0
	.amdhsa_kernel _ZN7rocprim17ROCPRIM_400000_NS6detail17trampoline_kernelINS0_14default_configENS1_38merge_sort_block_merge_config_selectorIlNS0_10empty_typeEEEZZNS1_27merge_sort_block_merge_implIS3_PlPS5_mZN2at6native12_GLOBAL__N_124unique_dim_cuda_templateImEESt5tupleIJNSA_6TensorESF_SF_EERKSF_lbbbEUlllE_EE10hipError_tT0_T1_T2_jT3_P12ihipStream_tbPNSt15iterator_traitsISL_E10value_typeEPNSR_ISM_E10value_typeEPSN_NS1_7vsmem_tEENKUlT_SL_SM_SN_E_clIS8_S8_S9_S9_EESK_S10_SL_SM_SN_EUlS10_E_NS1_11comp_targetILNS1_3genE4ELNS1_11target_archE910ELNS1_3gpuE8ELNS1_3repE0EEENS1_48merge_mergepath_partition_config_static_selectorELNS0_4arch9wavefront6targetE1EEEvSM_
		.amdhsa_group_segment_fixed_size 0
		.amdhsa_private_segment_fixed_size 0
		.amdhsa_kernarg_size 56
		.amdhsa_user_sgpr_count 6
		.amdhsa_user_sgpr_private_segment_buffer 1
		.amdhsa_user_sgpr_dispatch_ptr 0
		.amdhsa_user_sgpr_queue_ptr 0
		.amdhsa_user_sgpr_kernarg_segment_ptr 1
		.amdhsa_user_sgpr_dispatch_id 0
		.amdhsa_user_sgpr_flat_scratch_init 0
		.amdhsa_user_sgpr_kernarg_preload_length 0
		.amdhsa_user_sgpr_kernarg_preload_offset 0
		.amdhsa_user_sgpr_private_segment_size 0
		.amdhsa_uses_dynamic_stack 0
		.amdhsa_system_sgpr_private_segment_wavefront_offset 0
		.amdhsa_system_sgpr_workgroup_id_x 1
		.amdhsa_system_sgpr_workgroup_id_y 0
		.amdhsa_system_sgpr_workgroup_id_z 0
		.amdhsa_system_sgpr_workgroup_info 0
		.amdhsa_system_vgpr_workitem_id 0
		.amdhsa_next_free_vgpr 23
		.amdhsa_next_free_sgpr 36
		.amdhsa_accum_offset 24
		.amdhsa_reserve_vcc 1
		.amdhsa_reserve_flat_scratch 0
		.amdhsa_float_round_mode_32 0
		.amdhsa_float_round_mode_16_64 0
		.amdhsa_float_denorm_mode_32 3
		.amdhsa_float_denorm_mode_16_64 3
		.amdhsa_dx10_clamp 1
		.amdhsa_ieee_mode 1
		.amdhsa_fp16_overflow 0
		.amdhsa_tg_split 0
		.amdhsa_exception_fp_ieee_invalid_op 0
		.amdhsa_exception_fp_denorm_src 0
		.amdhsa_exception_fp_ieee_div_zero 0
		.amdhsa_exception_fp_ieee_overflow 0
		.amdhsa_exception_fp_ieee_underflow 0
		.amdhsa_exception_fp_ieee_inexact 0
		.amdhsa_exception_int_div_zero 0
	.end_amdhsa_kernel
	.section	.text._ZN7rocprim17ROCPRIM_400000_NS6detail17trampoline_kernelINS0_14default_configENS1_38merge_sort_block_merge_config_selectorIlNS0_10empty_typeEEEZZNS1_27merge_sort_block_merge_implIS3_PlPS5_mZN2at6native12_GLOBAL__N_124unique_dim_cuda_templateImEESt5tupleIJNSA_6TensorESF_SF_EERKSF_lbbbEUlllE_EE10hipError_tT0_T1_T2_jT3_P12ihipStream_tbPNSt15iterator_traitsISL_E10value_typeEPNSR_ISM_E10value_typeEPSN_NS1_7vsmem_tEENKUlT_SL_SM_SN_E_clIS8_S8_S9_S9_EESK_S10_SL_SM_SN_EUlS10_E_NS1_11comp_targetILNS1_3genE4ELNS1_11target_archE910ELNS1_3gpuE8ELNS1_3repE0EEENS1_48merge_mergepath_partition_config_static_selectorELNS0_4arch9wavefront6targetE1EEEvSM_,"axG",@progbits,_ZN7rocprim17ROCPRIM_400000_NS6detail17trampoline_kernelINS0_14default_configENS1_38merge_sort_block_merge_config_selectorIlNS0_10empty_typeEEEZZNS1_27merge_sort_block_merge_implIS3_PlPS5_mZN2at6native12_GLOBAL__N_124unique_dim_cuda_templateImEESt5tupleIJNSA_6TensorESF_SF_EERKSF_lbbbEUlllE_EE10hipError_tT0_T1_T2_jT3_P12ihipStream_tbPNSt15iterator_traitsISL_E10value_typeEPNSR_ISM_E10value_typeEPSN_NS1_7vsmem_tEENKUlT_SL_SM_SN_E_clIS8_S8_S9_S9_EESK_S10_SL_SM_SN_EUlS10_E_NS1_11comp_targetILNS1_3genE4ELNS1_11target_archE910ELNS1_3gpuE8ELNS1_3repE0EEENS1_48merge_mergepath_partition_config_static_selectorELNS0_4arch9wavefront6targetE1EEEvSM_,comdat
.Lfunc_end1615:
	.size	_ZN7rocprim17ROCPRIM_400000_NS6detail17trampoline_kernelINS0_14default_configENS1_38merge_sort_block_merge_config_selectorIlNS0_10empty_typeEEEZZNS1_27merge_sort_block_merge_implIS3_PlPS5_mZN2at6native12_GLOBAL__N_124unique_dim_cuda_templateImEESt5tupleIJNSA_6TensorESF_SF_EERKSF_lbbbEUlllE_EE10hipError_tT0_T1_T2_jT3_P12ihipStream_tbPNSt15iterator_traitsISL_E10value_typeEPNSR_ISM_E10value_typeEPSN_NS1_7vsmem_tEENKUlT_SL_SM_SN_E_clIS8_S8_S9_S9_EESK_S10_SL_SM_SN_EUlS10_E_NS1_11comp_targetILNS1_3genE4ELNS1_11target_archE910ELNS1_3gpuE8ELNS1_3repE0EEENS1_48merge_mergepath_partition_config_static_selectorELNS0_4arch9wavefront6targetE1EEEvSM_, .Lfunc_end1615-_ZN7rocprim17ROCPRIM_400000_NS6detail17trampoline_kernelINS0_14default_configENS1_38merge_sort_block_merge_config_selectorIlNS0_10empty_typeEEEZZNS1_27merge_sort_block_merge_implIS3_PlPS5_mZN2at6native12_GLOBAL__N_124unique_dim_cuda_templateImEESt5tupleIJNSA_6TensorESF_SF_EERKSF_lbbbEUlllE_EE10hipError_tT0_T1_T2_jT3_P12ihipStream_tbPNSt15iterator_traitsISL_E10value_typeEPNSR_ISM_E10value_typeEPSN_NS1_7vsmem_tEENKUlT_SL_SM_SN_E_clIS8_S8_S9_S9_EESK_S10_SL_SM_SN_EUlS10_E_NS1_11comp_targetILNS1_3genE4ELNS1_11target_archE910ELNS1_3gpuE8ELNS1_3repE0EEENS1_48merge_mergepath_partition_config_static_selectorELNS0_4arch9wavefront6targetE1EEEvSM_
                                        ; -- End function
	.section	.AMDGPU.csdata,"",@progbits
; Kernel info:
; codeLenInByte = 824
; NumSgprs: 40
; NumVgprs: 23
; NumAgprs: 0
; TotalNumVgprs: 23
; ScratchSize: 0
; MemoryBound: 0
; FloatMode: 240
; IeeeMode: 1
; LDSByteSize: 0 bytes/workgroup (compile time only)
; SGPRBlocks: 4
; VGPRBlocks: 2
; NumSGPRsForWavesPerEU: 40
; NumVGPRsForWavesPerEU: 23
; AccumOffset: 24
; Occupancy: 8
; WaveLimiterHint : 0
; COMPUTE_PGM_RSRC2:SCRATCH_EN: 0
; COMPUTE_PGM_RSRC2:USER_SGPR: 6
; COMPUTE_PGM_RSRC2:TRAP_HANDLER: 0
; COMPUTE_PGM_RSRC2:TGID_X_EN: 1
; COMPUTE_PGM_RSRC2:TGID_Y_EN: 0
; COMPUTE_PGM_RSRC2:TGID_Z_EN: 0
; COMPUTE_PGM_RSRC2:TIDIG_COMP_CNT: 0
; COMPUTE_PGM_RSRC3_GFX90A:ACCUM_OFFSET: 5
; COMPUTE_PGM_RSRC3_GFX90A:TG_SPLIT: 0
	.section	.text._ZN7rocprim17ROCPRIM_400000_NS6detail17trampoline_kernelINS0_14default_configENS1_38merge_sort_block_merge_config_selectorIlNS0_10empty_typeEEEZZNS1_27merge_sort_block_merge_implIS3_PlPS5_mZN2at6native12_GLOBAL__N_124unique_dim_cuda_templateImEESt5tupleIJNSA_6TensorESF_SF_EERKSF_lbbbEUlllE_EE10hipError_tT0_T1_T2_jT3_P12ihipStream_tbPNSt15iterator_traitsISL_E10value_typeEPNSR_ISM_E10value_typeEPSN_NS1_7vsmem_tEENKUlT_SL_SM_SN_E_clIS8_S8_S9_S9_EESK_S10_SL_SM_SN_EUlS10_E_NS1_11comp_targetILNS1_3genE3ELNS1_11target_archE908ELNS1_3gpuE7ELNS1_3repE0EEENS1_48merge_mergepath_partition_config_static_selectorELNS0_4arch9wavefront6targetE1EEEvSM_,"axG",@progbits,_ZN7rocprim17ROCPRIM_400000_NS6detail17trampoline_kernelINS0_14default_configENS1_38merge_sort_block_merge_config_selectorIlNS0_10empty_typeEEEZZNS1_27merge_sort_block_merge_implIS3_PlPS5_mZN2at6native12_GLOBAL__N_124unique_dim_cuda_templateImEESt5tupleIJNSA_6TensorESF_SF_EERKSF_lbbbEUlllE_EE10hipError_tT0_T1_T2_jT3_P12ihipStream_tbPNSt15iterator_traitsISL_E10value_typeEPNSR_ISM_E10value_typeEPSN_NS1_7vsmem_tEENKUlT_SL_SM_SN_E_clIS8_S8_S9_S9_EESK_S10_SL_SM_SN_EUlS10_E_NS1_11comp_targetILNS1_3genE3ELNS1_11target_archE908ELNS1_3gpuE7ELNS1_3repE0EEENS1_48merge_mergepath_partition_config_static_selectorELNS0_4arch9wavefront6targetE1EEEvSM_,comdat
	.globl	_ZN7rocprim17ROCPRIM_400000_NS6detail17trampoline_kernelINS0_14default_configENS1_38merge_sort_block_merge_config_selectorIlNS0_10empty_typeEEEZZNS1_27merge_sort_block_merge_implIS3_PlPS5_mZN2at6native12_GLOBAL__N_124unique_dim_cuda_templateImEESt5tupleIJNSA_6TensorESF_SF_EERKSF_lbbbEUlllE_EE10hipError_tT0_T1_T2_jT3_P12ihipStream_tbPNSt15iterator_traitsISL_E10value_typeEPNSR_ISM_E10value_typeEPSN_NS1_7vsmem_tEENKUlT_SL_SM_SN_E_clIS8_S8_S9_S9_EESK_S10_SL_SM_SN_EUlS10_E_NS1_11comp_targetILNS1_3genE3ELNS1_11target_archE908ELNS1_3gpuE7ELNS1_3repE0EEENS1_48merge_mergepath_partition_config_static_selectorELNS0_4arch9wavefront6targetE1EEEvSM_ ; -- Begin function _ZN7rocprim17ROCPRIM_400000_NS6detail17trampoline_kernelINS0_14default_configENS1_38merge_sort_block_merge_config_selectorIlNS0_10empty_typeEEEZZNS1_27merge_sort_block_merge_implIS3_PlPS5_mZN2at6native12_GLOBAL__N_124unique_dim_cuda_templateImEESt5tupleIJNSA_6TensorESF_SF_EERKSF_lbbbEUlllE_EE10hipError_tT0_T1_T2_jT3_P12ihipStream_tbPNSt15iterator_traitsISL_E10value_typeEPNSR_ISM_E10value_typeEPSN_NS1_7vsmem_tEENKUlT_SL_SM_SN_E_clIS8_S8_S9_S9_EESK_S10_SL_SM_SN_EUlS10_E_NS1_11comp_targetILNS1_3genE3ELNS1_11target_archE908ELNS1_3gpuE7ELNS1_3repE0EEENS1_48merge_mergepath_partition_config_static_selectorELNS0_4arch9wavefront6targetE1EEEvSM_
	.p2align	8
	.type	_ZN7rocprim17ROCPRIM_400000_NS6detail17trampoline_kernelINS0_14default_configENS1_38merge_sort_block_merge_config_selectorIlNS0_10empty_typeEEEZZNS1_27merge_sort_block_merge_implIS3_PlPS5_mZN2at6native12_GLOBAL__N_124unique_dim_cuda_templateImEESt5tupleIJNSA_6TensorESF_SF_EERKSF_lbbbEUlllE_EE10hipError_tT0_T1_T2_jT3_P12ihipStream_tbPNSt15iterator_traitsISL_E10value_typeEPNSR_ISM_E10value_typeEPSN_NS1_7vsmem_tEENKUlT_SL_SM_SN_E_clIS8_S8_S9_S9_EESK_S10_SL_SM_SN_EUlS10_E_NS1_11comp_targetILNS1_3genE3ELNS1_11target_archE908ELNS1_3gpuE7ELNS1_3repE0EEENS1_48merge_mergepath_partition_config_static_selectorELNS0_4arch9wavefront6targetE1EEEvSM_,@function
_ZN7rocprim17ROCPRIM_400000_NS6detail17trampoline_kernelINS0_14default_configENS1_38merge_sort_block_merge_config_selectorIlNS0_10empty_typeEEEZZNS1_27merge_sort_block_merge_implIS3_PlPS5_mZN2at6native12_GLOBAL__N_124unique_dim_cuda_templateImEESt5tupleIJNSA_6TensorESF_SF_EERKSF_lbbbEUlllE_EE10hipError_tT0_T1_T2_jT3_P12ihipStream_tbPNSt15iterator_traitsISL_E10value_typeEPNSR_ISM_E10value_typeEPSN_NS1_7vsmem_tEENKUlT_SL_SM_SN_E_clIS8_S8_S9_S9_EESK_S10_SL_SM_SN_EUlS10_E_NS1_11comp_targetILNS1_3genE3ELNS1_11target_archE908ELNS1_3gpuE7ELNS1_3repE0EEENS1_48merge_mergepath_partition_config_static_selectorELNS0_4arch9wavefront6targetE1EEEvSM_: ; @_ZN7rocprim17ROCPRIM_400000_NS6detail17trampoline_kernelINS0_14default_configENS1_38merge_sort_block_merge_config_selectorIlNS0_10empty_typeEEEZZNS1_27merge_sort_block_merge_implIS3_PlPS5_mZN2at6native12_GLOBAL__N_124unique_dim_cuda_templateImEESt5tupleIJNSA_6TensorESF_SF_EERKSF_lbbbEUlllE_EE10hipError_tT0_T1_T2_jT3_P12ihipStream_tbPNSt15iterator_traitsISL_E10value_typeEPNSR_ISM_E10value_typeEPSN_NS1_7vsmem_tEENKUlT_SL_SM_SN_E_clIS8_S8_S9_S9_EESK_S10_SL_SM_SN_EUlS10_E_NS1_11comp_targetILNS1_3genE3ELNS1_11target_archE908ELNS1_3gpuE7ELNS1_3repE0EEENS1_48merge_mergepath_partition_config_static_selectorELNS0_4arch9wavefront6targetE1EEEvSM_
; %bb.0:
	.section	.rodata,"a",@progbits
	.p2align	6, 0x0
	.amdhsa_kernel _ZN7rocprim17ROCPRIM_400000_NS6detail17trampoline_kernelINS0_14default_configENS1_38merge_sort_block_merge_config_selectorIlNS0_10empty_typeEEEZZNS1_27merge_sort_block_merge_implIS3_PlPS5_mZN2at6native12_GLOBAL__N_124unique_dim_cuda_templateImEESt5tupleIJNSA_6TensorESF_SF_EERKSF_lbbbEUlllE_EE10hipError_tT0_T1_T2_jT3_P12ihipStream_tbPNSt15iterator_traitsISL_E10value_typeEPNSR_ISM_E10value_typeEPSN_NS1_7vsmem_tEENKUlT_SL_SM_SN_E_clIS8_S8_S9_S9_EESK_S10_SL_SM_SN_EUlS10_E_NS1_11comp_targetILNS1_3genE3ELNS1_11target_archE908ELNS1_3gpuE7ELNS1_3repE0EEENS1_48merge_mergepath_partition_config_static_selectorELNS0_4arch9wavefront6targetE1EEEvSM_
		.amdhsa_group_segment_fixed_size 0
		.amdhsa_private_segment_fixed_size 0
		.amdhsa_kernarg_size 56
		.amdhsa_user_sgpr_count 6
		.amdhsa_user_sgpr_private_segment_buffer 1
		.amdhsa_user_sgpr_dispatch_ptr 0
		.amdhsa_user_sgpr_queue_ptr 0
		.amdhsa_user_sgpr_kernarg_segment_ptr 1
		.amdhsa_user_sgpr_dispatch_id 0
		.amdhsa_user_sgpr_flat_scratch_init 0
		.amdhsa_user_sgpr_kernarg_preload_length 0
		.amdhsa_user_sgpr_kernarg_preload_offset 0
		.amdhsa_user_sgpr_private_segment_size 0
		.amdhsa_uses_dynamic_stack 0
		.amdhsa_system_sgpr_private_segment_wavefront_offset 0
		.amdhsa_system_sgpr_workgroup_id_x 1
		.amdhsa_system_sgpr_workgroup_id_y 0
		.amdhsa_system_sgpr_workgroup_id_z 0
		.amdhsa_system_sgpr_workgroup_info 0
		.amdhsa_system_vgpr_workitem_id 0
		.amdhsa_next_free_vgpr 1
		.amdhsa_next_free_sgpr 0
		.amdhsa_accum_offset 4
		.amdhsa_reserve_vcc 0
		.amdhsa_reserve_flat_scratch 0
		.amdhsa_float_round_mode_32 0
		.amdhsa_float_round_mode_16_64 0
		.amdhsa_float_denorm_mode_32 3
		.amdhsa_float_denorm_mode_16_64 3
		.amdhsa_dx10_clamp 1
		.amdhsa_ieee_mode 1
		.amdhsa_fp16_overflow 0
		.amdhsa_tg_split 0
		.amdhsa_exception_fp_ieee_invalid_op 0
		.amdhsa_exception_fp_denorm_src 0
		.amdhsa_exception_fp_ieee_div_zero 0
		.amdhsa_exception_fp_ieee_overflow 0
		.amdhsa_exception_fp_ieee_underflow 0
		.amdhsa_exception_fp_ieee_inexact 0
		.amdhsa_exception_int_div_zero 0
	.end_amdhsa_kernel
	.section	.text._ZN7rocprim17ROCPRIM_400000_NS6detail17trampoline_kernelINS0_14default_configENS1_38merge_sort_block_merge_config_selectorIlNS0_10empty_typeEEEZZNS1_27merge_sort_block_merge_implIS3_PlPS5_mZN2at6native12_GLOBAL__N_124unique_dim_cuda_templateImEESt5tupleIJNSA_6TensorESF_SF_EERKSF_lbbbEUlllE_EE10hipError_tT0_T1_T2_jT3_P12ihipStream_tbPNSt15iterator_traitsISL_E10value_typeEPNSR_ISM_E10value_typeEPSN_NS1_7vsmem_tEENKUlT_SL_SM_SN_E_clIS8_S8_S9_S9_EESK_S10_SL_SM_SN_EUlS10_E_NS1_11comp_targetILNS1_3genE3ELNS1_11target_archE908ELNS1_3gpuE7ELNS1_3repE0EEENS1_48merge_mergepath_partition_config_static_selectorELNS0_4arch9wavefront6targetE1EEEvSM_,"axG",@progbits,_ZN7rocprim17ROCPRIM_400000_NS6detail17trampoline_kernelINS0_14default_configENS1_38merge_sort_block_merge_config_selectorIlNS0_10empty_typeEEEZZNS1_27merge_sort_block_merge_implIS3_PlPS5_mZN2at6native12_GLOBAL__N_124unique_dim_cuda_templateImEESt5tupleIJNSA_6TensorESF_SF_EERKSF_lbbbEUlllE_EE10hipError_tT0_T1_T2_jT3_P12ihipStream_tbPNSt15iterator_traitsISL_E10value_typeEPNSR_ISM_E10value_typeEPSN_NS1_7vsmem_tEENKUlT_SL_SM_SN_E_clIS8_S8_S9_S9_EESK_S10_SL_SM_SN_EUlS10_E_NS1_11comp_targetILNS1_3genE3ELNS1_11target_archE908ELNS1_3gpuE7ELNS1_3repE0EEENS1_48merge_mergepath_partition_config_static_selectorELNS0_4arch9wavefront6targetE1EEEvSM_,comdat
.Lfunc_end1616:
	.size	_ZN7rocprim17ROCPRIM_400000_NS6detail17trampoline_kernelINS0_14default_configENS1_38merge_sort_block_merge_config_selectorIlNS0_10empty_typeEEEZZNS1_27merge_sort_block_merge_implIS3_PlPS5_mZN2at6native12_GLOBAL__N_124unique_dim_cuda_templateImEESt5tupleIJNSA_6TensorESF_SF_EERKSF_lbbbEUlllE_EE10hipError_tT0_T1_T2_jT3_P12ihipStream_tbPNSt15iterator_traitsISL_E10value_typeEPNSR_ISM_E10value_typeEPSN_NS1_7vsmem_tEENKUlT_SL_SM_SN_E_clIS8_S8_S9_S9_EESK_S10_SL_SM_SN_EUlS10_E_NS1_11comp_targetILNS1_3genE3ELNS1_11target_archE908ELNS1_3gpuE7ELNS1_3repE0EEENS1_48merge_mergepath_partition_config_static_selectorELNS0_4arch9wavefront6targetE1EEEvSM_, .Lfunc_end1616-_ZN7rocprim17ROCPRIM_400000_NS6detail17trampoline_kernelINS0_14default_configENS1_38merge_sort_block_merge_config_selectorIlNS0_10empty_typeEEEZZNS1_27merge_sort_block_merge_implIS3_PlPS5_mZN2at6native12_GLOBAL__N_124unique_dim_cuda_templateImEESt5tupleIJNSA_6TensorESF_SF_EERKSF_lbbbEUlllE_EE10hipError_tT0_T1_T2_jT3_P12ihipStream_tbPNSt15iterator_traitsISL_E10value_typeEPNSR_ISM_E10value_typeEPSN_NS1_7vsmem_tEENKUlT_SL_SM_SN_E_clIS8_S8_S9_S9_EESK_S10_SL_SM_SN_EUlS10_E_NS1_11comp_targetILNS1_3genE3ELNS1_11target_archE908ELNS1_3gpuE7ELNS1_3repE0EEENS1_48merge_mergepath_partition_config_static_selectorELNS0_4arch9wavefront6targetE1EEEvSM_
                                        ; -- End function
	.section	.AMDGPU.csdata,"",@progbits
; Kernel info:
; codeLenInByte = 0
; NumSgprs: 4
; NumVgprs: 0
; NumAgprs: 0
; TotalNumVgprs: 0
; ScratchSize: 0
; MemoryBound: 0
; FloatMode: 240
; IeeeMode: 1
; LDSByteSize: 0 bytes/workgroup (compile time only)
; SGPRBlocks: 0
; VGPRBlocks: 0
; NumSGPRsForWavesPerEU: 4
; NumVGPRsForWavesPerEU: 1
; AccumOffset: 4
; Occupancy: 8
; WaveLimiterHint : 0
; COMPUTE_PGM_RSRC2:SCRATCH_EN: 0
; COMPUTE_PGM_RSRC2:USER_SGPR: 6
; COMPUTE_PGM_RSRC2:TRAP_HANDLER: 0
; COMPUTE_PGM_RSRC2:TGID_X_EN: 1
; COMPUTE_PGM_RSRC2:TGID_Y_EN: 0
; COMPUTE_PGM_RSRC2:TGID_Z_EN: 0
; COMPUTE_PGM_RSRC2:TIDIG_COMP_CNT: 0
; COMPUTE_PGM_RSRC3_GFX90A:ACCUM_OFFSET: 0
; COMPUTE_PGM_RSRC3_GFX90A:TG_SPLIT: 0
	.section	.text._ZN7rocprim17ROCPRIM_400000_NS6detail17trampoline_kernelINS0_14default_configENS1_38merge_sort_block_merge_config_selectorIlNS0_10empty_typeEEEZZNS1_27merge_sort_block_merge_implIS3_PlPS5_mZN2at6native12_GLOBAL__N_124unique_dim_cuda_templateImEESt5tupleIJNSA_6TensorESF_SF_EERKSF_lbbbEUlllE_EE10hipError_tT0_T1_T2_jT3_P12ihipStream_tbPNSt15iterator_traitsISL_E10value_typeEPNSR_ISM_E10value_typeEPSN_NS1_7vsmem_tEENKUlT_SL_SM_SN_E_clIS8_S8_S9_S9_EESK_S10_SL_SM_SN_EUlS10_E_NS1_11comp_targetILNS1_3genE2ELNS1_11target_archE906ELNS1_3gpuE6ELNS1_3repE0EEENS1_48merge_mergepath_partition_config_static_selectorELNS0_4arch9wavefront6targetE1EEEvSM_,"axG",@progbits,_ZN7rocprim17ROCPRIM_400000_NS6detail17trampoline_kernelINS0_14default_configENS1_38merge_sort_block_merge_config_selectorIlNS0_10empty_typeEEEZZNS1_27merge_sort_block_merge_implIS3_PlPS5_mZN2at6native12_GLOBAL__N_124unique_dim_cuda_templateImEESt5tupleIJNSA_6TensorESF_SF_EERKSF_lbbbEUlllE_EE10hipError_tT0_T1_T2_jT3_P12ihipStream_tbPNSt15iterator_traitsISL_E10value_typeEPNSR_ISM_E10value_typeEPSN_NS1_7vsmem_tEENKUlT_SL_SM_SN_E_clIS8_S8_S9_S9_EESK_S10_SL_SM_SN_EUlS10_E_NS1_11comp_targetILNS1_3genE2ELNS1_11target_archE906ELNS1_3gpuE6ELNS1_3repE0EEENS1_48merge_mergepath_partition_config_static_selectorELNS0_4arch9wavefront6targetE1EEEvSM_,comdat
	.globl	_ZN7rocprim17ROCPRIM_400000_NS6detail17trampoline_kernelINS0_14default_configENS1_38merge_sort_block_merge_config_selectorIlNS0_10empty_typeEEEZZNS1_27merge_sort_block_merge_implIS3_PlPS5_mZN2at6native12_GLOBAL__N_124unique_dim_cuda_templateImEESt5tupleIJNSA_6TensorESF_SF_EERKSF_lbbbEUlllE_EE10hipError_tT0_T1_T2_jT3_P12ihipStream_tbPNSt15iterator_traitsISL_E10value_typeEPNSR_ISM_E10value_typeEPSN_NS1_7vsmem_tEENKUlT_SL_SM_SN_E_clIS8_S8_S9_S9_EESK_S10_SL_SM_SN_EUlS10_E_NS1_11comp_targetILNS1_3genE2ELNS1_11target_archE906ELNS1_3gpuE6ELNS1_3repE0EEENS1_48merge_mergepath_partition_config_static_selectorELNS0_4arch9wavefront6targetE1EEEvSM_ ; -- Begin function _ZN7rocprim17ROCPRIM_400000_NS6detail17trampoline_kernelINS0_14default_configENS1_38merge_sort_block_merge_config_selectorIlNS0_10empty_typeEEEZZNS1_27merge_sort_block_merge_implIS3_PlPS5_mZN2at6native12_GLOBAL__N_124unique_dim_cuda_templateImEESt5tupleIJNSA_6TensorESF_SF_EERKSF_lbbbEUlllE_EE10hipError_tT0_T1_T2_jT3_P12ihipStream_tbPNSt15iterator_traitsISL_E10value_typeEPNSR_ISM_E10value_typeEPSN_NS1_7vsmem_tEENKUlT_SL_SM_SN_E_clIS8_S8_S9_S9_EESK_S10_SL_SM_SN_EUlS10_E_NS1_11comp_targetILNS1_3genE2ELNS1_11target_archE906ELNS1_3gpuE6ELNS1_3repE0EEENS1_48merge_mergepath_partition_config_static_selectorELNS0_4arch9wavefront6targetE1EEEvSM_
	.p2align	8
	.type	_ZN7rocprim17ROCPRIM_400000_NS6detail17trampoline_kernelINS0_14default_configENS1_38merge_sort_block_merge_config_selectorIlNS0_10empty_typeEEEZZNS1_27merge_sort_block_merge_implIS3_PlPS5_mZN2at6native12_GLOBAL__N_124unique_dim_cuda_templateImEESt5tupleIJNSA_6TensorESF_SF_EERKSF_lbbbEUlllE_EE10hipError_tT0_T1_T2_jT3_P12ihipStream_tbPNSt15iterator_traitsISL_E10value_typeEPNSR_ISM_E10value_typeEPSN_NS1_7vsmem_tEENKUlT_SL_SM_SN_E_clIS8_S8_S9_S9_EESK_S10_SL_SM_SN_EUlS10_E_NS1_11comp_targetILNS1_3genE2ELNS1_11target_archE906ELNS1_3gpuE6ELNS1_3repE0EEENS1_48merge_mergepath_partition_config_static_selectorELNS0_4arch9wavefront6targetE1EEEvSM_,@function
_ZN7rocprim17ROCPRIM_400000_NS6detail17trampoline_kernelINS0_14default_configENS1_38merge_sort_block_merge_config_selectorIlNS0_10empty_typeEEEZZNS1_27merge_sort_block_merge_implIS3_PlPS5_mZN2at6native12_GLOBAL__N_124unique_dim_cuda_templateImEESt5tupleIJNSA_6TensorESF_SF_EERKSF_lbbbEUlllE_EE10hipError_tT0_T1_T2_jT3_P12ihipStream_tbPNSt15iterator_traitsISL_E10value_typeEPNSR_ISM_E10value_typeEPSN_NS1_7vsmem_tEENKUlT_SL_SM_SN_E_clIS8_S8_S9_S9_EESK_S10_SL_SM_SN_EUlS10_E_NS1_11comp_targetILNS1_3genE2ELNS1_11target_archE906ELNS1_3gpuE6ELNS1_3repE0EEENS1_48merge_mergepath_partition_config_static_selectorELNS0_4arch9wavefront6targetE1EEEvSM_: ; @_ZN7rocprim17ROCPRIM_400000_NS6detail17trampoline_kernelINS0_14default_configENS1_38merge_sort_block_merge_config_selectorIlNS0_10empty_typeEEEZZNS1_27merge_sort_block_merge_implIS3_PlPS5_mZN2at6native12_GLOBAL__N_124unique_dim_cuda_templateImEESt5tupleIJNSA_6TensorESF_SF_EERKSF_lbbbEUlllE_EE10hipError_tT0_T1_T2_jT3_P12ihipStream_tbPNSt15iterator_traitsISL_E10value_typeEPNSR_ISM_E10value_typeEPSN_NS1_7vsmem_tEENKUlT_SL_SM_SN_E_clIS8_S8_S9_S9_EESK_S10_SL_SM_SN_EUlS10_E_NS1_11comp_targetILNS1_3genE2ELNS1_11target_archE906ELNS1_3gpuE6ELNS1_3repE0EEENS1_48merge_mergepath_partition_config_static_selectorELNS0_4arch9wavefront6targetE1EEEvSM_
; %bb.0:
	.section	.rodata,"a",@progbits
	.p2align	6, 0x0
	.amdhsa_kernel _ZN7rocprim17ROCPRIM_400000_NS6detail17trampoline_kernelINS0_14default_configENS1_38merge_sort_block_merge_config_selectorIlNS0_10empty_typeEEEZZNS1_27merge_sort_block_merge_implIS3_PlPS5_mZN2at6native12_GLOBAL__N_124unique_dim_cuda_templateImEESt5tupleIJNSA_6TensorESF_SF_EERKSF_lbbbEUlllE_EE10hipError_tT0_T1_T2_jT3_P12ihipStream_tbPNSt15iterator_traitsISL_E10value_typeEPNSR_ISM_E10value_typeEPSN_NS1_7vsmem_tEENKUlT_SL_SM_SN_E_clIS8_S8_S9_S9_EESK_S10_SL_SM_SN_EUlS10_E_NS1_11comp_targetILNS1_3genE2ELNS1_11target_archE906ELNS1_3gpuE6ELNS1_3repE0EEENS1_48merge_mergepath_partition_config_static_selectorELNS0_4arch9wavefront6targetE1EEEvSM_
		.amdhsa_group_segment_fixed_size 0
		.amdhsa_private_segment_fixed_size 0
		.amdhsa_kernarg_size 56
		.amdhsa_user_sgpr_count 6
		.amdhsa_user_sgpr_private_segment_buffer 1
		.amdhsa_user_sgpr_dispatch_ptr 0
		.amdhsa_user_sgpr_queue_ptr 0
		.amdhsa_user_sgpr_kernarg_segment_ptr 1
		.amdhsa_user_sgpr_dispatch_id 0
		.amdhsa_user_sgpr_flat_scratch_init 0
		.amdhsa_user_sgpr_kernarg_preload_length 0
		.amdhsa_user_sgpr_kernarg_preload_offset 0
		.amdhsa_user_sgpr_private_segment_size 0
		.amdhsa_uses_dynamic_stack 0
		.amdhsa_system_sgpr_private_segment_wavefront_offset 0
		.amdhsa_system_sgpr_workgroup_id_x 1
		.amdhsa_system_sgpr_workgroup_id_y 0
		.amdhsa_system_sgpr_workgroup_id_z 0
		.amdhsa_system_sgpr_workgroup_info 0
		.amdhsa_system_vgpr_workitem_id 0
		.amdhsa_next_free_vgpr 1
		.amdhsa_next_free_sgpr 0
		.amdhsa_accum_offset 4
		.amdhsa_reserve_vcc 0
		.amdhsa_reserve_flat_scratch 0
		.amdhsa_float_round_mode_32 0
		.amdhsa_float_round_mode_16_64 0
		.amdhsa_float_denorm_mode_32 3
		.amdhsa_float_denorm_mode_16_64 3
		.amdhsa_dx10_clamp 1
		.amdhsa_ieee_mode 1
		.amdhsa_fp16_overflow 0
		.amdhsa_tg_split 0
		.amdhsa_exception_fp_ieee_invalid_op 0
		.amdhsa_exception_fp_denorm_src 0
		.amdhsa_exception_fp_ieee_div_zero 0
		.amdhsa_exception_fp_ieee_overflow 0
		.amdhsa_exception_fp_ieee_underflow 0
		.amdhsa_exception_fp_ieee_inexact 0
		.amdhsa_exception_int_div_zero 0
	.end_amdhsa_kernel
	.section	.text._ZN7rocprim17ROCPRIM_400000_NS6detail17trampoline_kernelINS0_14default_configENS1_38merge_sort_block_merge_config_selectorIlNS0_10empty_typeEEEZZNS1_27merge_sort_block_merge_implIS3_PlPS5_mZN2at6native12_GLOBAL__N_124unique_dim_cuda_templateImEESt5tupleIJNSA_6TensorESF_SF_EERKSF_lbbbEUlllE_EE10hipError_tT0_T1_T2_jT3_P12ihipStream_tbPNSt15iterator_traitsISL_E10value_typeEPNSR_ISM_E10value_typeEPSN_NS1_7vsmem_tEENKUlT_SL_SM_SN_E_clIS8_S8_S9_S9_EESK_S10_SL_SM_SN_EUlS10_E_NS1_11comp_targetILNS1_3genE2ELNS1_11target_archE906ELNS1_3gpuE6ELNS1_3repE0EEENS1_48merge_mergepath_partition_config_static_selectorELNS0_4arch9wavefront6targetE1EEEvSM_,"axG",@progbits,_ZN7rocprim17ROCPRIM_400000_NS6detail17trampoline_kernelINS0_14default_configENS1_38merge_sort_block_merge_config_selectorIlNS0_10empty_typeEEEZZNS1_27merge_sort_block_merge_implIS3_PlPS5_mZN2at6native12_GLOBAL__N_124unique_dim_cuda_templateImEESt5tupleIJNSA_6TensorESF_SF_EERKSF_lbbbEUlllE_EE10hipError_tT0_T1_T2_jT3_P12ihipStream_tbPNSt15iterator_traitsISL_E10value_typeEPNSR_ISM_E10value_typeEPSN_NS1_7vsmem_tEENKUlT_SL_SM_SN_E_clIS8_S8_S9_S9_EESK_S10_SL_SM_SN_EUlS10_E_NS1_11comp_targetILNS1_3genE2ELNS1_11target_archE906ELNS1_3gpuE6ELNS1_3repE0EEENS1_48merge_mergepath_partition_config_static_selectorELNS0_4arch9wavefront6targetE1EEEvSM_,comdat
.Lfunc_end1617:
	.size	_ZN7rocprim17ROCPRIM_400000_NS6detail17trampoline_kernelINS0_14default_configENS1_38merge_sort_block_merge_config_selectorIlNS0_10empty_typeEEEZZNS1_27merge_sort_block_merge_implIS3_PlPS5_mZN2at6native12_GLOBAL__N_124unique_dim_cuda_templateImEESt5tupleIJNSA_6TensorESF_SF_EERKSF_lbbbEUlllE_EE10hipError_tT0_T1_T2_jT3_P12ihipStream_tbPNSt15iterator_traitsISL_E10value_typeEPNSR_ISM_E10value_typeEPSN_NS1_7vsmem_tEENKUlT_SL_SM_SN_E_clIS8_S8_S9_S9_EESK_S10_SL_SM_SN_EUlS10_E_NS1_11comp_targetILNS1_3genE2ELNS1_11target_archE906ELNS1_3gpuE6ELNS1_3repE0EEENS1_48merge_mergepath_partition_config_static_selectorELNS0_4arch9wavefront6targetE1EEEvSM_, .Lfunc_end1617-_ZN7rocprim17ROCPRIM_400000_NS6detail17trampoline_kernelINS0_14default_configENS1_38merge_sort_block_merge_config_selectorIlNS0_10empty_typeEEEZZNS1_27merge_sort_block_merge_implIS3_PlPS5_mZN2at6native12_GLOBAL__N_124unique_dim_cuda_templateImEESt5tupleIJNSA_6TensorESF_SF_EERKSF_lbbbEUlllE_EE10hipError_tT0_T1_T2_jT3_P12ihipStream_tbPNSt15iterator_traitsISL_E10value_typeEPNSR_ISM_E10value_typeEPSN_NS1_7vsmem_tEENKUlT_SL_SM_SN_E_clIS8_S8_S9_S9_EESK_S10_SL_SM_SN_EUlS10_E_NS1_11comp_targetILNS1_3genE2ELNS1_11target_archE906ELNS1_3gpuE6ELNS1_3repE0EEENS1_48merge_mergepath_partition_config_static_selectorELNS0_4arch9wavefront6targetE1EEEvSM_
                                        ; -- End function
	.section	.AMDGPU.csdata,"",@progbits
; Kernel info:
; codeLenInByte = 0
; NumSgprs: 4
; NumVgprs: 0
; NumAgprs: 0
; TotalNumVgprs: 0
; ScratchSize: 0
; MemoryBound: 0
; FloatMode: 240
; IeeeMode: 1
; LDSByteSize: 0 bytes/workgroup (compile time only)
; SGPRBlocks: 0
; VGPRBlocks: 0
; NumSGPRsForWavesPerEU: 4
; NumVGPRsForWavesPerEU: 1
; AccumOffset: 4
; Occupancy: 8
; WaveLimiterHint : 0
; COMPUTE_PGM_RSRC2:SCRATCH_EN: 0
; COMPUTE_PGM_RSRC2:USER_SGPR: 6
; COMPUTE_PGM_RSRC2:TRAP_HANDLER: 0
; COMPUTE_PGM_RSRC2:TGID_X_EN: 1
; COMPUTE_PGM_RSRC2:TGID_Y_EN: 0
; COMPUTE_PGM_RSRC2:TGID_Z_EN: 0
; COMPUTE_PGM_RSRC2:TIDIG_COMP_CNT: 0
; COMPUTE_PGM_RSRC3_GFX90A:ACCUM_OFFSET: 0
; COMPUTE_PGM_RSRC3_GFX90A:TG_SPLIT: 0
	.section	.text._ZN7rocprim17ROCPRIM_400000_NS6detail17trampoline_kernelINS0_14default_configENS1_38merge_sort_block_merge_config_selectorIlNS0_10empty_typeEEEZZNS1_27merge_sort_block_merge_implIS3_PlPS5_mZN2at6native12_GLOBAL__N_124unique_dim_cuda_templateImEESt5tupleIJNSA_6TensorESF_SF_EERKSF_lbbbEUlllE_EE10hipError_tT0_T1_T2_jT3_P12ihipStream_tbPNSt15iterator_traitsISL_E10value_typeEPNSR_ISM_E10value_typeEPSN_NS1_7vsmem_tEENKUlT_SL_SM_SN_E_clIS8_S8_S9_S9_EESK_S10_SL_SM_SN_EUlS10_E_NS1_11comp_targetILNS1_3genE9ELNS1_11target_archE1100ELNS1_3gpuE3ELNS1_3repE0EEENS1_48merge_mergepath_partition_config_static_selectorELNS0_4arch9wavefront6targetE1EEEvSM_,"axG",@progbits,_ZN7rocprim17ROCPRIM_400000_NS6detail17trampoline_kernelINS0_14default_configENS1_38merge_sort_block_merge_config_selectorIlNS0_10empty_typeEEEZZNS1_27merge_sort_block_merge_implIS3_PlPS5_mZN2at6native12_GLOBAL__N_124unique_dim_cuda_templateImEESt5tupleIJNSA_6TensorESF_SF_EERKSF_lbbbEUlllE_EE10hipError_tT0_T1_T2_jT3_P12ihipStream_tbPNSt15iterator_traitsISL_E10value_typeEPNSR_ISM_E10value_typeEPSN_NS1_7vsmem_tEENKUlT_SL_SM_SN_E_clIS8_S8_S9_S9_EESK_S10_SL_SM_SN_EUlS10_E_NS1_11comp_targetILNS1_3genE9ELNS1_11target_archE1100ELNS1_3gpuE3ELNS1_3repE0EEENS1_48merge_mergepath_partition_config_static_selectorELNS0_4arch9wavefront6targetE1EEEvSM_,comdat
	.globl	_ZN7rocprim17ROCPRIM_400000_NS6detail17trampoline_kernelINS0_14default_configENS1_38merge_sort_block_merge_config_selectorIlNS0_10empty_typeEEEZZNS1_27merge_sort_block_merge_implIS3_PlPS5_mZN2at6native12_GLOBAL__N_124unique_dim_cuda_templateImEESt5tupleIJNSA_6TensorESF_SF_EERKSF_lbbbEUlllE_EE10hipError_tT0_T1_T2_jT3_P12ihipStream_tbPNSt15iterator_traitsISL_E10value_typeEPNSR_ISM_E10value_typeEPSN_NS1_7vsmem_tEENKUlT_SL_SM_SN_E_clIS8_S8_S9_S9_EESK_S10_SL_SM_SN_EUlS10_E_NS1_11comp_targetILNS1_3genE9ELNS1_11target_archE1100ELNS1_3gpuE3ELNS1_3repE0EEENS1_48merge_mergepath_partition_config_static_selectorELNS0_4arch9wavefront6targetE1EEEvSM_ ; -- Begin function _ZN7rocprim17ROCPRIM_400000_NS6detail17trampoline_kernelINS0_14default_configENS1_38merge_sort_block_merge_config_selectorIlNS0_10empty_typeEEEZZNS1_27merge_sort_block_merge_implIS3_PlPS5_mZN2at6native12_GLOBAL__N_124unique_dim_cuda_templateImEESt5tupleIJNSA_6TensorESF_SF_EERKSF_lbbbEUlllE_EE10hipError_tT0_T1_T2_jT3_P12ihipStream_tbPNSt15iterator_traitsISL_E10value_typeEPNSR_ISM_E10value_typeEPSN_NS1_7vsmem_tEENKUlT_SL_SM_SN_E_clIS8_S8_S9_S9_EESK_S10_SL_SM_SN_EUlS10_E_NS1_11comp_targetILNS1_3genE9ELNS1_11target_archE1100ELNS1_3gpuE3ELNS1_3repE0EEENS1_48merge_mergepath_partition_config_static_selectorELNS0_4arch9wavefront6targetE1EEEvSM_
	.p2align	8
	.type	_ZN7rocprim17ROCPRIM_400000_NS6detail17trampoline_kernelINS0_14default_configENS1_38merge_sort_block_merge_config_selectorIlNS0_10empty_typeEEEZZNS1_27merge_sort_block_merge_implIS3_PlPS5_mZN2at6native12_GLOBAL__N_124unique_dim_cuda_templateImEESt5tupleIJNSA_6TensorESF_SF_EERKSF_lbbbEUlllE_EE10hipError_tT0_T1_T2_jT3_P12ihipStream_tbPNSt15iterator_traitsISL_E10value_typeEPNSR_ISM_E10value_typeEPSN_NS1_7vsmem_tEENKUlT_SL_SM_SN_E_clIS8_S8_S9_S9_EESK_S10_SL_SM_SN_EUlS10_E_NS1_11comp_targetILNS1_3genE9ELNS1_11target_archE1100ELNS1_3gpuE3ELNS1_3repE0EEENS1_48merge_mergepath_partition_config_static_selectorELNS0_4arch9wavefront6targetE1EEEvSM_,@function
_ZN7rocprim17ROCPRIM_400000_NS6detail17trampoline_kernelINS0_14default_configENS1_38merge_sort_block_merge_config_selectorIlNS0_10empty_typeEEEZZNS1_27merge_sort_block_merge_implIS3_PlPS5_mZN2at6native12_GLOBAL__N_124unique_dim_cuda_templateImEESt5tupleIJNSA_6TensorESF_SF_EERKSF_lbbbEUlllE_EE10hipError_tT0_T1_T2_jT3_P12ihipStream_tbPNSt15iterator_traitsISL_E10value_typeEPNSR_ISM_E10value_typeEPSN_NS1_7vsmem_tEENKUlT_SL_SM_SN_E_clIS8_S8_S9_S9_EESK_S10_SL_SM_SN_EUlS10_E_NS1_11comp_targetILNS1_3genE9ELNS1_11target_archE1100ELNS1_3gpuE3ELNS1_3repE0EEENS1_48merge_mergepath_partition_config_static_selectorELNS0_4arch9wavefront6targetE1EEEvSM_: ; @_ZN7rocprim17ROCPRIM_400000_NS6detail17trampoline_kernelINS0_14default_configENS1_38merge_sort_block_merge_config_selectorIlNS0_10empty_typeEEEZZNS1_27merge_sort_block_merge_implIS3_PlPS5_mZN2at6native12_GLOBAL__N_124unique_dim_cuda_templateImEESt5tupleIJNSA_6TensorESF_SF_EERKSF_lbbbEUlllE_EE10hipError_tT0_T1_T2_jT3_P12ihipStream_tbPNSt15iterator_traitsISL_E10value_typeEPNSR_ISM_E10value_typeEPSN_NS1_7vsmem_tEENKUlT_SL_SM_SN_E_clIS8_S8_S9_S9_EESK_S10_SL_SM_SN_EUlS10_E_NS1_11comp_targetILNS1_3genE9ELNS1_11target_archE1100ELNS1_3gpuE3ELNS1_3repE0EEENS1_48merge_mergepath_partition_config_static_selectorELNS0_4arch9wavefront6targetE1EEEvSM_
; %bb.0:
	.section	.rodata,"a",@progbits
	.p2align	6, 0x0
	.amdhsa_kernel _ZN7rocprim17ROCPRIM_400000_NS6detail17trampoline_kernelINS0_14default_configENS1_38merge_sort_block_merge_config_selectorIlNS0_10empty_typeEEEZZNS1_27merge_sort_block_merge_implIS3_PlPS5_mZN2at6native12_GLOBAL__N_124unique_dim_cuda_templateImEESt5tupleIJNSA_6TensorESF_SF_EERKSF_lbbbEUlllE_EE10hipError_tT0_T1_T2_jT3_P12ihipStream_tbPNSt15iterator_traitsISL_E10value_typeEPNSR_ISM_E10value_typeEPSN_NS1_7vsmem_tEENKUlT_SL_SM_SN_E_clIS8_S8_S9_S9_EESK_S10_SL_SM_SN_EUlS10_E_NS1_11comp_targetILNS1_3genE9ELNS1_11target_archE1100ELNS1_3gpuE3ELNS1_3repE0EEENS1_48merge_mergepath_partition_config_static_selectorELNS0_4arch9wavefront6targetE1EEEvSM_
		.amdhsa_group_segment_fixed_size 0
		.amdhsa_private_segment_fixed_size 0
		.amdhsa_kernarg_size 56
		.amdhsa_user_sgpr_count 6
		.amdhsa_user_sgpr_private_segment_buffer 1
		.amdhsa_user_sgpr_dispatch_ptr 0
		.amdhsa_user_sgpr_queue_ptr 0
		.amdhsa_user_sgpr_kernarg_segment_ptr 1
		.amdhsa_user_sgpr_dispatch_id 0
		.amdhsa_user_sgpr_flat_scratch_init 0
		.amdhsa_user_sgpr_kernarg_preload_length 0
		.amdhsa_user_sgpr_kernarg_preload_offset 0
		.amdhsa_user_sgpr_private_segment_size 0
		.amdhsa_uses_dynamic_stack 0
		.amdhsa_system_sgpr_private_segment_wavefront_offset 0
		.amdhsa_system_sgpr_workgroup_id_x 1
		.amdhsa_system_sgpr_workgroup_id_y 0
		.amdhsa_system_sgpr_workgroup_id_z 0
		.amdhsa_system_sgpr_workgroup_info 0
		.amdhsa_system_vgpr_workitem_id 0
		.amdhsa_next_free_vgpr 1
		.amdhsa_next_free_sgpr 0
		.amdhsa_accum_offset 4
		.amdhsa_reserve_vcc 0
		.amdhsa_reserve_flat_scratch 0
		.amdhsa_float_round_mode_32 0
		.amdhsa_float_round_mode_16_64 0
		.amdhsa_float_denorm_mode_32 3
		.amdhsa_float_denorm_mode_16_64 3
		.amdhsa_dx10_clamp 1
		.amdhsa_ieee_mode 1
		.amdhsa_fp16_overflow 0
		.amdhsa_tg_split 0
		.amdhsa_exception_fp_ieee_invalid_op 0
		.amdhsa_exception_fp_denorm_src 0
		.amdhsa_exception_fp_ieee_div_zero 0
		.amdhsa_exception_fp_ieee_overflow 0
		.amdhsa_exception_fp_ieee_underflow 0
		.amdhsa_exception_fp_ieee_inexact 0
		.amdhsa_exception_int_div_zero 0
	.end_amdhsa_kernel
	.section	.text._ZN7rocprim17ROCPRIM_400000_NS6detail17trampoline_kernelINS0_14default_configENS1_38merge_sort_block_merge_config_selectorIlNS0_10empty_typeEEEZZNS1_27merge_sort_block_merge_implIS3_PlPS5_mZN2at6native12_GLOBAL__N_124unique_dim_cuda_templateImEESt5tupleIJNSA_6TensorESF_SF_EERKSF_lbbbEUlllE_EE10hipError_tT0_T1_T2_jT3_P12ihipStream_tbPNSt15iterator_traitsISL_E10value_typeEPNSR_ISM_E10value_typeEPSN_NS1_7vsmem_tEENKUlT_SL_SM_SN_E_clIS8_S8_S9_S9_EESK_S10_SL_SM_SN_EUlS10_E_NS1_11comp_targetILNS1_3genE9ELNS1_11target_archE1100ELNS1_3gpuE3ELNS1_3repE0EEENS1_48merge_mergepath_partition_config_static_selectorELNS0_4arch9wavefront6targetE1EEEvSM_,"axG",@progbits,_ZN7rocprim17ROCPRIM_400000_NS6detail17trampoline_kernelINS0_14default_configENS1_38merge_sort_block_merge_config_selectorIlNS0_10empty_typeEEEZZNS1_27merge_sort_block_merge_implIS3_PlPS5_mZN2at6native12_GLOBAL__N_124unique_dim_cuda_templateImEESt5tupleIJNSA_6TensorESF_SF_EERKSF_lbbbEUlllE_EE10hipError_tT0_T1_T2_jT3_P12ihipStream_tbPNSt15iterator_traitsISL_E10value_typeEPNSR_ISM_E10value_typeEPSN_NS1_7vsmem_tEENKUlT_SL_SM_SN_E_clIS8_S8_S9_S9_EESK_S10_SL_SM_SN_EUlS10_E_NS1_11comp_targetILNS1_3genE9ELNS1_11target_archE1100ELNS1_3gpuE3ELNS1_3repE0EEENS1_48merge_mergepath_partition_config_static_selectorELNS0_4arch9wavefront6targetE1EEEvSM_,comdat
.Lfunc_end1618:
	.size	_ZN7rocprim17ROCPRIM_400000_NS6detail17trampoline_kernelINS0_14default_configENS1_38merge_sort_block_merge_config_selectorIlNS0_10empty_typeEEEZZNS1_27merge_sort_block_merge_implIS3_PlPS5_mZN2at6native12_GLOBAL__N_124unique_dim_cuda_templateImEESt5tupleIJNSA_6TensorESF_SF_EERKSF_lbbbEUlllE_EE10hipError_tT0_T1_T2_jT3_P12ihipStream_tbPNSt15iterator_traitsISL_E10value_typeEPNSR_ISM_E10value_typeEPSN_NS1_7vsmem_tEENKUlT_SL_SM_SN_E_clIS8_S8_S9_S9_EESK_S10_SL_SM_SN_EUlS10_E_NS1_11comp_targetILNS1_3genE9ELNS1_11target_archE1100ELNS1_3gpuE3ELNS1_3repE0EEENS1_48merge_mergepath_partition_config_static_selectorELNS0_4arch9wavefront6targetE1EEEvSM_, .Lfunc_end1618-_ZN7rocprim17ROCPRIM_400000_NS6detail17trampoline_kernelINS0_14default_configENS1_38merge_sort_block_merge_config_selectorIlNS0_10empty_typeEEEZZNS1_27merge_sort_block_merge_implIS3_PlPS5_mZN2at6native12_GLOBAL__N_124unique_dim_cuda_templateImEESt5tupleIJNSA_6TensorESF_SF_EERKSF_lbbbEUlllE_EE10hipError_tT0_T1_T2_jT3_P12ihipStream_tbPNSt15iterator_traitsISL_E10value_typeEPNSR_ISM_E10value_typeEPSN_NS1_7vsmem_tEENKUlT_SL_SM_SN_E_clIS8_S8_S9_S9_EESK_S10_SL_SM_SN_EUlS10_E_NS1_11comp_targetILNS1_3genE9ELNS1_11target_archE1100ELNS1_3gpuE3ELNS1_3repE0EEENS1_48merge_mergepath_partition_config_static_selectorELNS0_4arch9wavefront6targetE1EEEvSM_
                                        ; -- End function
	.section	.AMDGPU.csdata,"",@progbits
; Kernel info:
; codeLenInByte = 0
; NumSgprs: 4
; NumVgprs: 0
; NumAgprs: 0
; TotalNumVgprs: 0
; ScratchSize: 0
; MemoryBound: 0
; FloatMode: 240
; IeeeMode: 1
; LDSByteSize: 0 bytes/workgroup (compile time only)
; SGPRBlocks: 0
; VGPRBlocks: 0
; NumSGPRsForWavesPerEU: 4
; NumVGPRsForWavesPerEU: 1
; AccumOffset: 4
; Occupancy: 8
; WaveLimiterHint : 0
; COMPUTE_PGM_RSRC2:SCRATCH_EN: 0
; COMPUTE_PGM_RSRC2:USER_SGPR: 6
; COMPUTE_PGM_RSRC2:TRAP_HANDLER: 0
; COMPUTE_PGM_RSRC2:TGID_X_EN: 1
; COMPUTE_PGM_RSRC2:TGID_Y_EN: 0
; COMPUTE_PGM_RSRC2:TGID_Z_EN: 0
; COMPUTE_PGM_RSRC2:TIDIG_COMP_CNT: 0
; COMPUTE_PGM_RSRC3_GFX90A:ACCUM_OFFSET: 0
; COMPUTE_PGM_RSRC3_GFX90A:TG_SPLIT: 0
	.section	.text._ZN7rocprim17ROCPRIM_400000_NS6detail17trampoline_kernelINS0_14default_configENS1_38merge_sort_block_merge_config_selectorIlNS0_10empty_typeEEEZZNS1_27merge_sort_block_merge_implIS3_PlPS5_mZN2at6native12_GLOBAL__N_124unique_dim_cuda_templateImEESt5tupleIJNSA_6TensorESF_SF_EERKSF_lbbbEUlllE_EE10hipError_tT0_T1_T2_jT3_P12ihipStream_tbPNSt15iterator_traitsISL_E10value_typeEPNSR_ISM_E10value_typeEPSN_NS1_7vsmem_tEENKUlT_SL_SM_SN_E_clIS8_S8_S9_S9_EESK_S10_SL_SM_SN_EUlS10_E_NS1_11comp_targetILNS1_3genE8ELNS1_11target_archE1030ELNS1_3gpuE2ELNS1_3repE0EEENS1_48merge_mergepath_partition_config_static_selectorELNS0_4arch9wavefront6targetE1EEEvSM_,"axG",@progbits,_ZN7rocprim17ROCPRIM_400000_NS6detail17trampoline_kernelINS0_14default_configENS1_38merge_sort_block_merge_config_selectorIlNS0_10empty_typeEEEZZNS1_27merge_sort_block_merge_implIS3_PlPS5_mZN2at6native12_GLOBAL__N_124unique_dim_cuda_templateImEESt5tupleIJNSA_6TensorESF_SF_EERKSF_lbbbEUlllE_EE10hipError_tT0_T1_T2_jT3_P12ihipStream_tbPNSt15iterator_traitsISL_E10value_typeEPNSR_ISM_E10value_typeEPSN_NS1_7vsmem_tEENKUlT_SL_SM_SN_E_clIS8_S8_S9_S9_EESK_S10_SL_SM_SN_EUlS10_E_NS1_11comp_targetILNS1_3genE8ELNS1_11target_archE1030ELNS1_3gpuE2ELNS1_3repE0EEENS1_48merge_mergepath_partition_config_static_selectorELNS0_4arch9wavefront6targetE1EEEvSM_,comdat
	.globl	_ZN7rocprim17ROCPRIM_400000_NS6detail17trampoline_kernelINS0_14default_configENS1_38merge_sort_block_merge_config_selectorIlNS0_10empty_typeEEEZZNS1_27merge_sort_block_merge_implIS3_PlPS5_mZN2at6native12_GLOBAL__N_124unique_dim_cuda_templateImEESt5tupleIJNSA_6TensorESF_SF_EERKSF_lbbbEUlllE_EE10hipError_tT0_T1_T2_jT3_P12ihipStream_tbPNSt15iterator_traitsISL_E10value_typeEPNSR_ISM_E10value_typeEPSN_NS1_7vsmem_tEENKUlT_SL_SM_SN_E_clIS8_S8_S9_S9_EESK_S10_SL_SM_SN_EUlS10_E_NS1_11comp_targetILNS1_3genE8ELNS1_11target_archE1030ELNS1_3gpuE2ELNS1_3repE0EEENS1_48merge_mergepath_partition_config_static_selectorELNS0_4arch9wavefront6targetE1EEEvSM_ ; -- Begin function _ZN7rocprim17ROCPRIM_400000_NS6detail17trampoline_kernelINS0_14default_configENS1_38merge_sort_block_merge_config_selectorIlNS0_10empty_typeEEEZZNS1_27merge_sort_block_merge_implIS3_PlPS5_mZN2at6native12_GLOBAL__N_124unique_dim_cuda_templateImEESt5tupleIJNSA_6TensorESF_SF_EERKSF_lbbbEUlllE_EE10hipError_tT0_T1_T2_jT3_P12ihipStream_tbPNSt15iterator_traitsISL_E10value_typeEPNSR_ISM_E10value_typeEPSN_NS1_7vsmem_tEENKUlT_SL_SM_SN_E_clIS8_S8_S9_S9_EESK_S10_SL_SM_SN_EUlS10_E_NS1_11comp_targetILNS1_3genE8ELNS1_11target_archE1030ELNS1_3gpuE2ELNS1_3repE0EEENS1_48merge_mergepath_partition_config_static_selectorELNS0_4arch9wavefront6targetE1EEEvSM_
	.p2align	8
	.type	_ZN7rocprim17ROCPRIM_400000_NS6detail17trampoline_kernelINS0_14default_configENS1_38merge_sort_block_merge_config_selectorIlNS0_10empty_typeEEEZZNS1_27merge_sort_block_merge_implIS3_PlPS5_mZN2at6native12_GLOBAL__N_124unique_dim_cuda_templateImEESt5tupleIJNSA_6TensorESF_SF_EERKSF_lbbbEUlllE_EE10hipError_tT0_T1_T2_jT3_P12ihipStream_tbPNSt15iterator_traitsISL_E10value_typeEPNSR_ISM_E10value_typeEPSN_NS1_7vsmem_tEENKUlT_SL_SM_SN_E_clIS8_S8_S9_S9_EESK_S10_SL_SM_SN_EUlS10_E_NS1_11comp_targetILNS1_3genE8ELNS1_11target_archE1030ELNS1_3gpuE2ELNS1_3repE0EEENS1_48merge_mergepath_partition_config_static_selectorELNS0_4arch9wavefront6targetE1EEEvSM_,@function
_ZN7rocprim17ROCPRIM_400000_NS6detail17trampoline_kernelINS0_14default_configENS1_38merge_sort_block_merge_config_selectorIlNS0_10empty_typeEEEZZNS1_27merge_sort_block_merge_implIS3_PlPS5_mZN2at6native12_GLOBAL__N_124unique_dim_cuda_templateImEESt5tupleIJNSA_6TensorESF_SF_EERKSF_lbbbEUlllE_EE10hipError_tT0_T1_T2_jT3_P12ihipStream_tbPNSt15iterator_traitsISL_E10value_typeEPNSR_ISM_E10value_typeEPSN_NS1_7vsmem_tEENKUlT_SL_SM_SN_E_clIS8_S8_S9_S9_EESK_S10_SL_SM_SN_EUlS10_E_NS1_11comp_targetILNS1_3genE8ELNS1_11target_archE1030ELNS1_3gpuE2ELNS1_3repE0EEENS1_48merge_mergepath_partition_config_static_selectorELNS0_4arch9wavefront6targetE1EEEvSM_: ; @_ZN7rocprim17ROCPRIM_400000_NS6detail17trampoline_kernelINS0_14default_configENS1_38merge_sort_block_merge_config_selectorIlNS0_10empty_typeEEEZZNS1_27merge_sort_block_merge_implIS3_PlPS5_mZN2at6native12_GLOBAL__N_124unique_dim_cuda_templateImEESt5tupleIJNSA_6TensorESF_SF_EERKSF_lbbbEUlllE_EE10hipError_tT0_T1_T2_jT3_P12ihipStream_tbPNSt15iterator_traitsISL_E10value_typeEPNSR_ISM_E10value_typeEPSN_NS1_7vsmem_tEENKUlT_SL_SM_SN_E_clIS8_S8_S9_S9_EESK_S10_SL_SM_SN_EUlS10_E_NS1_11comp_targetILNS1_3genE8ELNS1_11target_archE1030ELNS1_3gpuE2ELNS1_3repE0EEENS1_48merge_mergepath_partition_config_static_selectorELNS0_4arch9wavefront6targetE1EEEvSM_
; %bb.0:
	.section	.rodata,"a",@progbits
	.p2align	6, 0x0
	.amdhsa_kernel _ZN7rocprim17ROCPRIM_400000_NS6detail17trampoline_kernelINS0_14default_configENS1_38merge_sort_block_merge_config_selectorIlNS0_10empty_typeEEEZZNS1_27merge_sort_block_merge_implIS3_PlPS5_mZN2at6native12_GLOBAL__N_124unique_dim_cuda_templateImEESt5tupleIJNSA_6TensorESF_SF_EERKSF_lbbbEUlllE_EE10hipError_tT0_T1_T2_jT3_P12ihipStream_tbPNSt15iterator_traitsISL_E10value_typeEPNSR_ISM_E10value_typeEPSN_NS1_7vsmem_tEENKUlT_SL_SM_SN_E_clIS8_S8_S9_S9_EESK_S10_SL_SM_SN_EUlS10_E_NS1_11comp_targetILNS1_3genE8ELNS1_11target_archE1030ELNS1_3gpuE2ELNS1_3repE0EEENS1_48merge_mergepath_partition_config_static_selectorELNS0_4arch9wavefront6targetE1EEEvSM_
		.amdhsa_group_segment_fixed_size 0
		.amdhsa_private_segment_fixed_size 0
		.amdhsa_kernarg_size 56
		.amdhsa_user_sgpr_count 6
		.amdhsa_user_sgpr_private_segment_buffer 1
		.amdhsa_user_sgpr_dispatch_ptr 0
		.amdhsa_user_sgpr_queue_ptr 0
		.amdhsa_user_sgpr_kernarg_segment_ptr 1
		.amdhsa_user_sgpr_dispatch_id 0
		.amdhsa_user_sgpr_flat_scratch_init 0
		.amdhsa_user_sgpr_kernarg_preload_length 0
		.amdhsa_user_sgpr_kernarg_preload_offset 0
		.amdhsa_user_sgpr_private_segment_size 0
		.amdhsa_uses_dynamic_stack 0
		.amdhsa_system_sgpr_private_segment_wavefront_offset 0
		.amdhsa_system_sgpr_workgroup_id_x 1
		.amdhsa_system_sgpr_workgroup_id_y 0
		.amdhsa_system_sgpr_workgroup_id_z 0
		.amdhsa_system_sgpr_workgroup_info 0
		.amdhsa_system_vgpr_workitem_id 0
		.amdhsa_next_free_vgpr 1
		.amdhsa_next_free_sgpr 0
		.amdhsa_accum_offset 4
		.amdhsa_reserve_vcc 0
		.amdhsa_reserve_flat_scratch 0
		.amdhsa_float_round_mode_32 0
		.amdhsa_float_round_mode_16_64 0
		.amdhsa_float_denorm_mode_32 3
		.amdhsa_float_denorm_mode_16_64 3
		.amdhsa_dx10_clamp 1
		.amdhsa_ieee_mode 1
		.amdhsa_fp16_overflow 0
		.amdhsa_tg_split 0
		.amdhsa_exception_fp_ieee_invalid_op 0
		.amdhsa_exception_fp_denorm_src 0
		.amdhsa_exception_fp_ieee_div_zero 0
		.amdhsa_exception_fp_ieee_overflow 0
		.amdhsa_exception_fp_ieee_underflow 0
		.amdhsa_exception_fp_ieee_inexact 0
		.amdhsa_exception_int_div_zero 0
	.end_amdhsa_kernel
	.section	.text._ZN7rocprim17ROCPRIM_400000_NS6detail17trampoline_kernelINS0_14default_configENS1_38merge_sort_block_merge_config_selectorIlNS0_10empty_typeEEEZZNS1_27merge_sort_block_merge_implIS3_PlPS5_mZN2at6native12_GLOBAL__N_124unique_dim_cuda_templateImEESt5tupleIJNSA_6TensorESF_SF_EERKSF_lbbbEUlllE_EE10hipError_tT0_T1_T2_jT3_P12ihipStream_tbPNSt15iterator_traitsISL_E10value_typeEPNSR_ISM_E10value_typeEPSN_NS1_7vsmem_tEENKUlT_SL_SM_SN_E_clIS8_S8_S9_S9_EESK_S10_SL_SM_SN_EUlS10_E_NS1_11comp_targetILNS1_3genE8ELNS1_11target_archE1030ELNS1_3gpuE2ELNS1_3repE0EEENS1_48merge_mergepath_partition_config_static_selectorELNS0_4arch9wavefront6targetE1EEEvSM_,"axG",@progbits,_ZN7rocprim17ROCPRIM_400000_NS6detail17trampoline_kernelINS0_14default_configENS1_38merge_sort_block_merge_config_selectorIlNS0_10empty_typeEEEZZNS1_27merge_sort_block_merge_implIS3_PlPS5_mZN2at6native12_GLOBAL__N_124unique_dim_cuda_templateImEESt5tupleIJNSA_6TensorESF_SF_EERKSF_lbbbEUlllE_EE10hipError_tT0_T1_T2_jT3_P12ihipStream_tbPNSt15iterator_traitsISL_E10value_typeEPNSR_ISM_E10value_typeEPSN_NS1_7vsmem_tEENKUlT_SL_SM_SN_E_clIS8_S8_S9_S9_EESK_S10_SL_SM_SN_EUlS10_E_NS1_11comp_targetILNS1_3genE8ELNS1_11target_archE1030ELNS1_3gpuE2ELNS1_3repE0EEENS1_48merge_mergepath_partition_config_static_selectorELNS0_4arch9wavefront6targetE1EEEvSM_,comdat
.Lfunc_end1619:
	.size	_ZN7rocprim17ROCPRIM_400000_NS6detail17trampoline_kernelINS0_14default_configENS1_38merge_sort_block_merge_config_selectorIlNS0_10empty_typeEEEZZNS1_27merge_sort_block_merge_implIS3_PlPS5_mZN2at6native12_GLOBAL__N_124unique_dim_cuda_templateImEESt5tupleIJNSA_6TensorESF_SF_EERKSF_lbbbEUlllE_EE10hipError_tT0_T1_T2_jT3_P12ihipStream_tbPNSt15iterator_traitsISL_E10value_typeEPNSR_ISM_E10value_typeEPSN_NS1_7vsmem_tEENKUlT_SL_SM_SN_E_clIS8_S8_S9_S9_EESK_S10_SL_SM_SN_EUlS10_E_NS1_11comp_targetILNS1_3genE8ELNS1_11target_archE1030ELNS1_3gpuE2ELNS1_3repE0EEENS1_48merge_mergepath_partition_config_static_selectorELNS0_4arch9wavefront6targetE1EEEvSM_, .Lfunc_end1619-_ZN7rocprim17ROCPRIM_400000_NS6detail17trampoline_kernelINS0_14default_configENS1_38merge_sort_block_merge_config_selectorIlNS0_10empty_typeEEEZZNS1_27merge_sort_block_merge_implIS3_PlPS5_mZN2at6native12_GLOBAL__N_124unique_dim_cuda_templateImEESt5tupleIJNSA_6TensorESF_SF_EERKSF_lbbbEUlllE_EE10hipError_tT0_T1_T2_jT3_P12ihipStream_tbPNSt15iterator_traitsISL_E10value_typeEPNSR_ISM_E10value_typeEPSN_NS1_7vsmem_tEENKUlT_SL_SM_SN_E_clIS8_S8_S9_S9_EESK_S10_SL_SM_SN_EUlS10_E_NS1_11comp_targetILNS1_3genE8ELNS1_11target_archE1030ELNS1_3gpuE2ELNS1_3repE0EEENS1_48merge_mergepath_partition_config_static_selectorELNS0_4arch9wavefront6targetE1EEEvSM_
                                        ; -- End function
	.section	.AMDGPU.csdata,"",@progbits
; Kernel info:
; codeLenInByte = 0
; NumSgprs: 4
; NumVgprs: 0
; NumAgprs: 0
; TotalNumVgprs: 0
; ScratchSize: 0
; MemoryBound: 0
; FloatMode: 240
; IeeeMode: 1
; LDSByteSize: 0 bytes/workgroup (compile time only)
; SGPRBlocks: 0
; VGPRBlocks: 0
; NumSGPRsForWavesPerEU: 4
; NumVGPRsForWavesPerEU: 1
; AccumOffset: 4
; Occupancy: 8
; WaveLimiterHint : 0
; COMPUTE_PGM_RSRC2:SCRATCH_EN: 0
; COMPUTE_PGM_RSRC2:USER_SGPR: 6
; COMPUTE_PGM_RSRC2:TRAP_HANDLER: 0
; COMPUTE_PGM_RSRC2:TGID_X_EN: 1
; COMPUTE_PGM_RSRC2:TGID_Y_EN: 0
; COMPUTE_PGM_RSRC2:TGID_Z_EN: 0
; COMPUTE_PGM_RSRC2:TIDIG_COMP_CNT: 0
; COMPUTE_PGM_RSRC3_GFX90A:ACCUM_OFFSET: 0
; COMPUTE_PGM_RSRC3_GFX90A:TG_SPLIT: 0
	.section	.text._ZN7rocprim17ROCPRIM_400000_NS6detail17trampoline_kernelINS0_14default_configENS1_38merge_sort_block_merge_config_selectorIlNS0_10empty_typeEEEZZNS1_27merge_sort_block_merge_implIS3_PlPS5_mZN2at6native12_GLOBAL__N_124unique_dim_cuda_templateImEESt5tupleIJNSA_6TensorESF_SF_EERKSF_lbbbEUlllE_EE10hipError_tT0_T1_T2_jT3_P12ihipStream_tbPNSt15iterator_traitsISL_E10value_typeEPNSR_ISM_E10value_typeEPSN_NS1_7vsmem_tEENKUlT_SL_SM_SN_E_clIS8_S8_S9_S9_EESK_S10_SL_SM_SN_EUlS10_E0_NS1_11comp_targetILNS1_3genE0ELNS1_11target_archE4294967295ELNS1_3gpuE0ELNS1_3repE0EEENS1_38merge_mergepath_config_static_selectorELNS0_4arch9wavefront6targetE1EEEvSM_,"axG",@progbits,_ZN7rocprim17ROCPRIM_400000_NS6detail17trampoline_kernelINS0_14default_configENS1_38merge_sort_block_merge_config_selectorIlNS0_10empty_typeEEEZZNS1_27merge_sort_block_merge_implIS3_PlPS5_mZN2at6native12_GLOBAL__N_124unique_dim_cuda_templateImEESt5tupleIJNSA_6TensorESF_SF_EERKSF_lbbbEUlllE_EE10hipError_tT0_T1_T2_jT3_P12ihipStream_tbPNSt15iterator_traitsISL_E10value_typeEPNSR_ISM_E10value_typeEPSN_NS1_7vsmem_tEENKUlT_SL_SM_SN_E_clIS8_S8_S9_S9_EESK_S10_SL_SM_SN_EUlS10_E0_NS1_11comp_targetILNS1_3genE0ELNS1_11target_archE4294967295ELNS1_3gpuE0ELNS1_3repE0EEENS1_38merge_mergepath_config_static_selectorELNS0_4arch9wavefront6targetE1EEEvSM_,comdat
	.globl	_ZN7rocprim17ROCPRIM_400000_NS6detail17trampoline_kernelINS0_14default_configENS1_38merge_sort_block_merge_config_selectorIlNS0_10empty_typeEEEZZNS1_27merge_sort_block_merge_implIS3_PlPS5_mZN2at6native12_GLOBAL__N_124unique_dim_cuda_templateImEESt5tupleIJNSA_6TensorESF_SF_EERKSF_lbbbEUlllE_EE10hipError_tT0_T1_T2_jT3_P12ihipStream_tbPNSt15iterator_traitsISL_E10value_typeEPNSR_ISM_E10value_typeEPSN_NS1_7vsmem_tEENKUlT_SL_SM_SN_E_clIS8_S8_S9_S9_EESK_S10_SL_SM_SN_EUlS10_E0_NS1_11comp_targetILNS1_3genE0ELNS1_11target_archE4294967295ELNS1_3gpuE0ELNS1_3repE0EEENS1_38merge_mergepath_config_static_selectorELNS0_4arch9wavefront6targetE1EEEvSM_ ; -- Begin function _ZN7rocprim17ROCPRIM_400000_NS6detail17trampoline_kernelINS0_14default_configENS1_38merge_sort_block_merge_config_selectorIlNS0_10empty_typeEEEZZNS1_27merge_sort_block_merge_implIS3_PlPS5_mZN2at6native12_GLOBAL__N_124unique_dim_cuda_templateImEESt5tupleIJNSA_6TensorESF_SF_EERKSF_lbbbEUlllE_EE10hipError_tT0_T1_T2_jT3_P12ihipStream_tbPNSt15iterator_traitsISL_E10value_typeEPNSR_ISM_E10value_typeEPSN_NS1_7vsmem_tEENKUlT_SL_SM_SN_E_clIS8_S8_S9_S9_EESK_S10_SL_SM_SN_EUlS10_E0_NS1_11comp_targetILNS1_3genE0ELNS1_11target_archE4294967295ELNS1_3gpuE0ELNS1_3repE0EEENS1_38merge_mergepath_config_static_selectorELNS0_4arch9wavefront6targetE1EEEvSM_
	.p2align	8
	.type	_ZN7rocprim17ROCPRIM_400000_NS6detail17trampoline_kernelINS0_14default_configENS1_38merge_sort_block_merge_config_selectorIlNS0_10empty_typeEEEZZNS1_27merge_sort_block_merge_implIS3_PlPS5_mZN2at6native12_GLOBAL__N_124unique_dim_cuda_templateImEESt5tupleIJNSA_6TensorESF_SF_EERKSF_lbbbEUlllE_EE10hipError_tT0_T1_T2_jT3_P12ihipStream_tbPNSt15iterator_traitsISL_E10value_typeEPNSR_ISM_E10value_typeEPSN_NS1_7vsmem_tEENKUlT_SL_SM_SN_E_clIS8_S8_S9_S9_EESK_S10_SL_SM_SN_EUlS10_E0_NS1_11comp_targetILNS1_3genE0ELNS1_11target_archE4294967295ELNS1_3gpuE0ELNS1_3repE0EEENS1_38merge_mergepath_config_static_selectorELNS0_4arch9wavefront6targetE1EEEvSM_,@function
_ZN7rocprim17ROCPRIM_400000_NS6detail17trampoline_kernelINS0_14default_configENS1_38merge_sort_block_merge_config_selectorIlNS0_10empty_typeEEEZZNS1_27merge_sort_block_merge_implIS3_PlPS5_mZN2at6native12_GLOBAL__N_124unique_dim_cuda_templateImEESt5tupleIJNSA_6TensorESF_SF_EERKSF_lbbbEUlllE_EE10hipError_tT0_T1_T2_jT3_P12ihipStream_tbPNSt15iterator_traitsISL_E10value_typeEPNSR_ISM_E10value_typeEPSN_NS1_7vsmem_tEENKUlT_SL_SM_SN_E_clIS8_S8_S9_S9_EESK_S10_SL_SM_SN_EUlS10_E0_NS1_11comp_targetILNS1_3genE0ELNS1_11target_archE4294967295ELNS1_3gpuE0ELNS1_3repE0EEENS1_38merge_mergepath_config_static_selectorELNS0_4arch9wavefront6targetE1EEEvSM_: ; @_ZN7rocprim17ROCPRIM_400000_NS6detail17trampoline_kernelINS0_14default_configENS1_38merge_sort_block_merge_config_selectorIlNS0_10empty_typeEEEZZNS1_27merge_sort_block_merge_implIS3_PlPS5_mZN2at6native12_GLOBAL__N_124unique_dim_cuda_templateImEESt5tupleIJNSA_6TensorESF_SF_EERKSF_lbbbEUlllE_EE10hipError_tT0_T1_T2_jT3_P12ihipStream_tbPNSt15iterator_traitsISL_E10value_typeEPNSR_ISM_E10value_typeEPSN_NS1_7vsmem_tEENKUlT_SL_SM_SN_E_clIS8_S8_S9_S9_EESK_S10_SL_SM_SN_EUlS10_E0_NS1_11comp_targetILNS1_3genE0ELNS1_11target_archE4294967295ELNS1_3gpuE0ELNS1_3repE0EEENS1_38merge_mergepath_config_static_selectorELNS0_4arch9wavefront6targetE1EEEvSM_
; %bb.0:
	.section	.rodata,"a",@progbits
	.p2align	6, 0x0
	.amdhsa_kernel _ZN7rocprim17ROCPRIM_400000_NS6detail17trampoline_kernelINS0_14default_configENS1_38merge_sort_block_merge_config_selectorIlNS0_10empty_typeEEEZZNS1_27merge_sort_block_merge_implIS3_PlPS5_mZN2at6native12_GLOBAL__N_124unique_dim_cuda_templateImEESt5tupleIJNSA_6TensorESF_SF_EERKSF_lbbbEUlllE_EE10hipError_tT0_T1_T2_jT3_P12ihipStream_tbPNSt15iterator_traitsISL_E10value_typeEPNSR_ISM_E10value_typeEPSN_NS1_7vsmem_tEENKUlT_SL_SM_SN_E_clIS8_S8_S9_S9_EESK_S10_SL_SM_SN_EUlS10_E0_NS1_11comp_targetILNS1_3genE0ELNS1_11target_archE4294967295ELNS1_3gpuE0ELNS1_3repE0EEENS1_38merge_mergepath_config_static_selectorELNS0_4arch9wavefront6targetE1EEEvSM_
		.amdhsa_group_segment_fixed_size 0
		.amdhsa_private_segment_fixed_size 0
		.amdhsa_kernarg_size 88
		.amdhsa_user_sgpr_count 6
		.amdhsa_user_sgpr_private_segment_buffer 1
		.amdhsa_user_sgpr_dispatch_ptr 0
		.amdhsa_user_sgpr_queue_ptr 0
		.amdhsa_user_sgpr_kernarg_segment_ptr 1
		.amdhsa_user_sgpr_dispatch_id 0
		.amdhsa_user_sgpr_flat_scratch_init 0
		.amdhsa_user_sgpr_kernarg_preload_length 0
		.amdhsa_user_sgpr_kernarg_preload_offset 0
		.amdhsa_user_sgpr_private_segment_size 0
		.amdhsa_uses_dynamic_stack 0
		.amdhsa_system_sgpr_private_segment_wavefront_offset 0
		.amdhsa_system_sgpr_workgroup_id_x 1
		.amdhsa_system_sgpr_workgroup_id_y 0
		.amdhsa_system_sgpr_workgroup_id_z 0
		.amdhsa_system_sgpr_workgroup_info 0
		.amdhsa_system_vgpr_workitem_id 0
		.amdhsa_next_free_vgpr 1
		.amdhsa_next_free_sgpr 0
		.amdhsa_accum_offset 4
		.amdhsa_reserve_vcc 0
		.amdhsa_reserve_flat_scratch 0
		.amdhsa_float_round_mode_32 0
		.amdhsa_float_round_mode_16_64 0
		.amdhsa_float_denorm_mode_32 3
		.amdhsa_float_denorm_mode_16_64 3
		.amdhsa_dx10_clamp 1
		.amdhsa_ieee_mode 1
		.amdhsa_fp16_overflow 0
		.amdhsa_tg_split 0
		.amdhsa_exception_fp_ieee_invalid_op 0
		.amdhsa_exception_fp_denorm_src 0
		.amdhsa_exception_fp_ieee_div_zero 0
		.amdhsa_exception_fp_ieee_overflow 0
		.amdhsa_exception_fp_ieee_underflow 0
		.amdhsa_exception_fp_ieee_inexact 0
		.amdhsa_exception_int_div_zero 0
	.end_amdhsa_kernel
	.section	.text._ZN7rocprim17ROCPRIM_400000_NS6detail17trampoline_kernelINS0_14default_configENS1_38merge_sort_block_merge_config_selectorIlNS0_10empty_typeEEEZZNS1_27merge_sort_block_merge_implIS3_PlPS5_mZN2at6native12_GLOBAL__N_124unique_dim_cuda_templateImEESt5tupleIJNSA_6TensorESF_SF_EERKSF_lbbbEUlllE_EE10hipError_tT0_T1_T2_jT3_P12ihipStream_tbPNSt15iterator_traitsISL_E10value_typeEPNSR_ISM_E10value_typeEPSN_NS1_7vsmem_tEENKUlT_SL_SM_SN_E_clIS8_S8_S9_S9_EESK_S10_SL_SM_SN_EUlS10_E0_NS1_11comp_targetILNS1_3genE0ELNS1_11target_archE4294967295ELNS1_3gpuE0ELNS1_3repE0EEENS1_38merge_mergepath_config_static_selectorELNS0_4arch9wavefront6targetE1EEEvSM_,"axG",@progbits,_ZN7rocprim17ROCPRIM_400000_NS6detail17trampoline_kernelINS0_14default_configENS1_38merge_sort_block_merge_config_selectorIlNS0_10empty_typeEEEZZNS1_27merge_sort_block_merge_implIS3_PlPS5_mZN2at6native12_GLOBAL__N_124unique_dim_cuda_templateImEESt5tupleIJNSA_6TensorESF_SF_EERKSF_lbbbEUlllE_EE10hipError_tT0_T1_T2_jT3_P12ihipStream_tbPNSt15iterator_traitsISL_E10value_typeEPNSR_ISM_E10value_typeEPSN_NS1_7vsmem_tEENKUlT_SL_SM_SN_E_clIS8_S8_S9_S9_EESK_S10_SL_SM_SN_EUlS10_E0_NS1_11comp_targetILNS1_3genE0ELNS1_11target_archE4294967295ELNS1_3gpuE0ELNS1_3repE0EEENS1_38merge_mergepath_config_static_selectorELNS0_4arch9wavefront6targetE1EEEvSM_,comdat
.Lfunc_end1620:
	.size	_ZN7rocprim17ROCPRIM_400000_NS6detail17trampoline_kernelINS0_14default_configENS1_38merge_sort_block_merge_config_selectorIlNS0_10empty_typeEEEZZNS1_27merge_sort_block_merge_implIS3_PlPS5_mZN2at6native12_GLOBAL__N_124unique_dim_cuda_templateImEESt5tupleIJNSA_6TensorESF_SF_EERKSF_lbbbEUlllE_EE10hipError_tT0_T1_T2_jT3_P12ihipStream_tbPNSt15iterator_traitsISL_E10value_typeEPNSR_ISM_E10value_typeEPSN_NS1_7vsmem_tEENKUlT_SL_SM_SN_E_clIS8_S8_S9_S9_EESK_S10_SL_SM_SN_EUlS10_E0_NS1_11comp_targetILNS1_3genE0ELNS1_11target_archE4294967295ELNS1_3gpuE0ELNS1_3repE0EEENS1_38merge_mergepath_config_static_selectorELNS0_4arch9wavefront6targetE1EEEvSM_, .Lfunc_end1620-_ZN7rocprim17ROCPRIM_400000_NS6detail17trampoline_kernelINS0_14default_configENS1_38merge_sort_block_merge_config_selectorIlNS0_10empty_typeEEEZZNS1_27merge_sort_block_merge_implIS3_PlPS5_mZN2at6native12_GLOBAL__N_124unique_dim_cuda_templateImEESt5tupleIJNSA_6TensorESF_SF_EERKSF_lbbbEUlllE_EE10hipError_tT0_T1_T2_jT3_P12ihipStream_tbPNSt15iterator_traitsISL_E10value_typeEPNSR_ISM_E10value_typeEPSN_NS1_7vsmem_tEENKUlT_SL_SM_SN_E_clIS8_S8_S9_S9_EESK_S10_SL_SM_SN_EUlS10_E0_NS1_11comp_targetILNS1_3genE0ELNS1_11target_archE4294967295ELNS1_3gpuE0ELNS1_3repE0EEENS1_38merge_mergepath_config_static_selectorELNS0_4arch9wavefront6targetE1EEEvSM_
                                        ; -- End function
	.section	.AMDGPU.csdata,"",@progbits
; Kernel info:
; codeLenInByte = 0
; NumSgprs: 4
; NumVgprs: 0
; NumAgprs: 0
; TotalNumVgprs: 0
; ScratchSize: 0
; MemoryBound: 0
; FloatMode: 240
; IeeeMode: 1
; LDSByteSize: 0 bytes/workgroup (compile time only)
; SGPRBlocks: 0
; VGPRBlocks: 0
; NumSGPRsForWavesPerEU: 4
; NumVGPRsForWavesPerEU: 1
; AccumOffset: 4
; Occupancy: 8
; WaveLimiterHint : 0
; COMPUTE_PGM_RSRC2:SCRATCH_EN: 0
; COMPUTE_PGM_RSRC2:USER_SGPR: 6
; COMPUTE_PGM_RSRC2:TRAP_HANDLER: 0
; COMPUTE_PGM_RSRC2:TGID_X_EN: 1
; COMPUTE_PGM_RSRC2:TGID_Y_EN: 0
; COMPUTE_PGM_RSRC2:TGID_Z_EN: 0
; COMPUTE_PGM_RSRC2:TIDIG_COMP_CNT: 0
; COMPUTE_PGM_RSRC3_GFX90A:ACCUM_OFFSET: 0
; COMPUTE_PGM_RSRC3_GFX90A:TG_SPLIT: 0
	.section	.text._ZN7rocprim17ROCPRIM_400000_NS6detail17trampoline_kernelINS0_14default_configENS1_38merge_sort_block_merge_config_selectorIlNS0_10empty_typeEEEZZNS1_27merge_sort_block_merge_implIS3_PlPS5_mZN2at6native12_GLOBAL__N_124unique_dim_cuda_templateImEESt5tupleIJNSA_6TensorESF_SF_EERKSF_lbbbEUlllE_EE10hipError_tT0_T1_T2_jT3_P12ihipStream_tbPNSt15iterator_traitsISL_E10value_typeEPNSR_ISM_E10value_typeEPSN_NS1_7vsmem_tEENKUlT_SL_SM_SN_E_clIS8_S8_S9_S9_EESK_S10_SL_SM_SN_EUlS10_E0_NS1_11comp_targetILNS1_3genE10ELNS1_11target_archE1201ELNS1_3gpuE5ELNS1_3repE0EEENS1_38merge_mergepath_config_static_selectorELNS0_4arch9wavefront6targetE1EEEvSM_,"axG",@progbits,_ZN7rocprim17ROCPRIM_400000_NS6detail17trampoline_kernelINS0_14default_configENS1_38merge_sort_block_merge_config_selectorIlNS0_10empty_typeEEEZZNS1_27merge_sort_block_merge_implIS3_PlPS5_mZN2at6native12_GLOBAL__N_124unique_dim_cuda_templateImEESt5tupleIJNSA_6TensorESF_SF_EERKSF_lbbbEUlllE_EE10hipError_tT0_T1_T2_jT3_P12ihipStream_tbPNSt15iterator_traitsISL_E10value_typeEPNSR_ISM_E10value_typeEPSN_NS1_7vsmem_tEENKUlT_SL_SM_SN_E_clIS8_S8_S9_S9_EESK_S10_SL_SM_SN_EUlS10_E0_NS1_11comp_targetILNS1_3genE10ELNS1_11target_archE1201ELNS1_3gpuE5ELNS1_3repE0EEENS1_38merge_mergepath_config_static_selectorELNS0_4arch9wavefront6targetE1EEEvSM_,comdat
	.globl	_ZN7rocprim17ROCPRIM_400000_NS6detail17trampoline_kernelINS0_14default_configENS1_38merge_sort_block_merge_config_selectorIlNS0_10empty_typeEEEZZNS1_27merge_sort_block_merge_implIS3_PlPS5_mZN2at6native12_GLOBAL__N_124unique_dim_cuda_templateImEESt5tupleIJNSA_6TensorESF_SF_EERKSF_lbbbEUlllE_EE10hipError_tT0_T1_T2_jT3_P12ihipStream_tbPNSt15iterator_traitsISL_E10value_typeEPNSR_ISM_E10value_typeEPSN_NS1_7vsmem_tEENKUlT_SL_SM_SN_E_clIS8_S8_S9_S9_EESK_S10_SL_SM_SN_EUlS10_E0_NS1_11comp_targetILNS1_3genE10ELNS1_11target_archE1201ELNS1_3gpuE5ELNS1_3repE0EEENS1_38merge_mergepath_config_static_selectorELNS0_4arch9wavefront6targetE1EEEvSM_ ; -- Begin function _ZN7rocprim17ROCPRIM_400000_NS6detail17trampoline_kernelINS0_14default_configENS1_38merge_sort_block_merge_config_selectorIlNS0_10empty_typeEEEZZNS1_27merge_sort_block_merge_implIS3_PlPS5_mZN2at6native12_GLOBAL__N_124unique_dim_cuda_templateImEESt5tupleIJNSA_6TensorESF_SF_EERKSF_lbbbEUlllE_EE10hipError_tT0_T1_T2_jT3_P12ihipStream_tbPNSt15iterator_traitsISL_E10value_typeEPNSR_ISM_E10value_typeEPSN_NS1_7vsmem_tEENKUlT_SL_SM_SN_E_clIS8_S8_S9_S9_EESK_S10_SL_SM_SN_EUlS10_E0_NS1_11comp_targetILNS1_3genE10ELNS1_11target_archE1201ELNS1_3gpuE5ELNS1_3repE0EEENS1_38merge_mergepath_config_static_selectorELNS0_4arch9wavefront6targetE1EEEvSM_
	.p2align	8
	.type	_ZN7rocprim17ROCPRIM_400000_NS6detail17trampoline_kernelINS0_14default_configENS1_38merge_sort_block_merge_config_selectorIlNS0_10empty_typeEEEZZNS1_27merge_sort_block_merge_implIS3_PlPS5_mZN2at6native12_GLOBAL__N_124unique_dim_cuda_templateImEESt5tupleIJNSA_6TensorESF_SF_EERKSF_lbbbEUlllE_EE10hipError_tT0_T1_T2_jT3_P12ihipStream_tbPNSt15iterator_traitsISL_E10value_typeEPNSR_ISM_E10value_typeEPSN_NS1_7vsmem_tEENKUlT_SL_SM_SN_E_clIS8_S8_S9_S9_EESK_S10_SL_SM_SN_EUlS10_E0_NS1_11comp_targetILNS1_3genE10ELNS1_11target_archE1201ELNS1_3gpuE5ELNS1_3repE0EEENS1_38merge_mergepath_config_static_selectorELNS0_4arch9wavefront6targetE1EEEvSM_,@function
_ZN7rocprim17ROCPRIM_400000_NS6detail17trampoline_kernelINS0_14default_configENS1_38merge_sort_block_merge_config_selectorIlNS0_10empty_typeEEEZZNS1_27merge_sort_block_merge_implIS3_PlPS5_mZN2at6native12_GLOBAL__N_124unique_dim_cuda_templateImEESt5tupleIJNSA_6TensorESF_SF_EERKSF_lbbbEUlllE_EE10hipError_tT0_T1_T2_jT3_P12ihipStream_tbPNSt15iterator_traitsISL_E10value_typeEPNSR_ISM_E10value_typeEPSN_NS1_7vsmem_tEENKUlT_SL_SM_SN_E_clIS8_S8_S9_S9_EESK_S10_SL_SM_SN_EUlS10_E0_NS1_11comp_targetILNS1_3genE10ELNS1_11target_archE1201ELNS1_3gpuE5ELNS1_3repE0EEENS1_38merge_mergepath_config_static_selectorELNS0_4arch9wavefront6targetE1EEEvSM_: ; @_ZN7rocprim17ROCPRIM_400000_NS6detail17trampoline_kernelINS0_14default_configENS1_38merge_sort_block_merge_config_selectorIlNS0_10empty_typeEEEZZNS1_27merge_sort_block_merge_implIS3_PlPS5_mZN2at6native12_GLOBAL__N_124unique_dim_cuda_templateImEESt5tupleIJNSA_6TensorESF_SF_EERKSF_lbbbEUlllE_EE10hipError_tT0_T1_T2_jT3_P12ihipStream_tbPNSt15iterator_traitsISL_E10value_typeEPNSR_ISM_E10value_typeEPSN_NS1_7vsmem_tEENKUlT_SL_SM_SN_E_clIS8_S8_S9_S9_EESK_S10_SL_SM_SN_EUlS10_E0_NS1_11comp_targetILNS1_3genE10ELNS1_11target_archE1201ELNS1_3gpuE5ELNS1_3repE0EEENS1_38merge_mergepath_config_static_selectorELNS0_4arch9wavefront6targetE1EEEvSM_
; %bb.0:
	.section	.rodata,"a",@progbits
	.p2align	6, 0x0
	.amdhsa_kernel _ZN7rocprim17ROCPRIM_400000_NS6detail17trampoline_kernelINS0_14default_configENS1_38merge_sort_block_merge_config_selectorIlNS0_10empty_typeEEEZZNS1_27merge_sort_block_merge_implIS3_PlPS5_mZN2at6native12_GLOBAL__N_124unique_dim_cuda_templateImEESt5tupleIJNSA_6TensorESF_SF_EERKSF_lbbbEUlllE_EE10hipError_tT0_T1_T2_jT3_P12ihipStream_tbPNSt15iterator_traitsISL_E10value_typeEPNSR_ISM_E10value_typeEPSN_NS1_7vsmem_tEENKUlT_SL_SM_SN_E_clIS8_S8_S9_S9_EESK_S10_SL_SM_SN_EUlS10_E0_NS1_11comp_targetILNS1_3genE10ELNS1_11target_archE1201ELNS1_3gpuE5ELNS1_3repE0EEENS1_38merge_mergepath_config_static_selectorELNS0_4arch9wavefront6targetE1EEEvSM_
		.amdhsa_group_segment_fixed_size 0
		.amdhsa_private_segment_fixed_size 0
		.amdhsa_kernarg_size 88
		.amdhsa_user_sgpr_count 6
		.amdhsa_user_sgpr_private_segment_buffer 1
		.amdhsa_user_sgpr_dispatch_ptr 0
		.amdhsa_user_sgpr_queue_ptr 0
		.amdhsa_user_sgpr_kernarg_segment_ptr 1
		.amdhsa_user_sgpr_dispatch_id 0
		.amdhsa_user_sgpr_flat_scratch_init 0
		.amdhsa_user_sgpr_kernarg_preload_length 0
		.amdhsa_user_sgpr_kernarg_preload_offset 0
		.amdhsa_user_sgpr_private_segment_size 0
		.amdhsa_uses_dynamic_stack 0
		.amdhsa_system_sgpr_private_segment_wavefront_offset 0
		.amdhsa_system_sgpr_workgroup_id_x 1
		.amdhsa_system_sgpr_workgroup_id_y 0
		.amdhsa_system_sgpr_workgroup_id_z 0
		.amdhsa_system_sgpr_workgroup_info 0
		.amdhsa_system_vgpr_workitem_id 0
		.amdhsa_next_free_vgpr 1
		.amdhsa_next_free_sgpr 0
		.amdhsa_accum_offset 4
		.amdhsa_reserve_vcc 0
		.amdhsa_reserve_flat_scratch 0
		.amdhsa_float_round_mode_32 0
		.amdhsa_float_round_mode_16_64 0
		.amdhsa_float_denorm_mode_32 3
		.amdhsa_float_denorm_mode_16_64 3
		.amdhsa_dx10_clamp 1
		.amdhsa_ieee_mode 1
		.amdhsa_fp16_overflow 0
		.amdhsa_tg_split 0
		.amdhsa_exception_fp_ieee_invalid_op 0
		.amdhsa_exception_fp_denorm_src 0
		.amdhsa_exception_fp_ieee_div_zero 0
		.amdhsa_exception_fp_ieee_overflow 0
		.amdhsa_exception_fp_ieee_underflow 0
		.amdhsa_exception_fp_ieee_inexact 0
		.amdhsa_exception_int_div_zero 0
	.end_amdhsa_kernel
	.section	.text._ZN7rocprim17ROCPRIM_400000_NS6detail17trampoline_kernelINS0_14default_configENS1_38merge_sort_block_merge_config_selectorIlNS0_10empty_typeEEEZZNS1_27merge_sort_block_merge_implIS3_PlPS5_mZN2at6native12_GLOBAL__N_124unique_dim_cuda_templateImEESt5tupleIJNSA_6TensorESF_SF_EERKSF_lbbbEUlllE_EE10hipError_tT0_T1_T2_jT3_P12ihipStream_tbPNSt15iterator_traitsISL_E10value_typeEPNSR_ISM_E10value_typeEPSN_NS1_7vsmem_tEENKUlT_SL_SM_SN_E_clIS8_S8_S9_S9_EESK_S10_SL_SM_SN_EUlS10_E0_NS1_11comp_targetILNS1_3genE10ELNS1_11target_archE1201ELNS1_3gpuE5ELNS1_3repE0EEENS1_38merge_mergepath_config_static_selectorELNS0_4arch9wavefront6targetE1EEEvSM_,"axG",@progbits,_ZN7rocprim17ROCPRIM_400000_NS6detail17trampoline_kernelINS0_14default_configENS1_38merge_sort_block_merge_config_selectorIlNS0_10empty_typeEEEZZNS1_27merge_sort_block_merge_implIS3_PlPS5_mZN2at6native12_GLOBAL__N_124unique_dim_cuda_templateImEESt5tupleIJNSA_6TensorESF_SF_EERKSF_lbbbEUlllE_EE10hipError_tT0_T1_T2_jT3_P12ihipStream_tbPNSt15iterator_traitsISL_E10value_typeEPNSR_ISM_E10value_typeEPSN_NS1_7vsmem_tEENKUlT_SL_SM_SN_E_clIS8_S8_S9_S9_EESK_S10_SL_SM_SN_EUlS10_E0_NS1_11comp_targetILNS1_3genE10ELNS1_11target_archE1201ELNS1_3gpuE5ELNS1_3repE0EEENS1_38merge_mergepath_config_static_selectorELNS0_4arch9wavefront6targetE1EEEvSM_,comdat
.Lfunc_end1621:
	.size	_ZN7rocprim17ROCPRIM_400000_NS6detail17trampoline_kernelINS0_14default_configENS1_38merge_sort_block_merge_config_selectorIlNS0_10empty_typeEEEZZNS1_27merge_sort_block_merge_implIS3_PlPS5_mZN2at6native12_GLOBAL__N_124unique_dim_cuda_templateImEESt5tupleIJNSA_6TensorESF_SF_EERKSF_lbbbEUlllE_EE10hipError_tT0_T1_T2_jT3_P12ihipStream_tbPNSt15iterator_traitsISL_E10value_typeEPNSR_ISM_E10value_typeEPSN_NS1_7vsmem_tEENKUlT_SL_SM_SN_E_clIS8_S8_S9_S9_EESK_S10_SL_SM_SN_EUlS10_E0_NS1_11comp_targetILNS1_3genE10ELNS1_11target_archE1201ELNS1_3gpuE5ELNS1_3repE0EEENS1_38merge_mergepath_config_static_selectorELNS0_4arch9wavefront6targetE1EEEvSM_, .Lfunc_end1621-_ZN7rocprim17ROCPRIM_400000_NS6detail17trampoline_kernelINS0_14default_configENS1_38merge_sort_block_merge_config_selectorIlNS0_10empty_typeEEEZZNS1_27merge_sort_block_merge_implIS3_PlPS5_mZN2at6native12_GLOBAL__N_124unique_dim_cuda_templateImEESt5tupleIJNSA_6TensorESF_SF_EERKSF_lbbbEUlllE_EE10hipError_tT0_T1_T2_jT3_P12ihipStream_tbPNSt15iterator_traitsISL_E10value_typeEPNSR_ISM_E10value_typeEPSN_NS1_7vsmem_tEENKUlT_SL_SM_SN_E_clIS8_S8_S9_S9_EESK_S10_SL_SM_SN_EUlS10_E0_NS1_11comp_targetILNS1_3genE10ELNS1_11target_archE1201ELNS1_3gpuE5ELNS1_3repE0EEENS1_38merge_mergepath_config_static_selectorELNS0_4arch9wavefront6targetE1EEEvSM_
                                        ; -- End function
	.section	.AMDGPU.csdata,"",@progbits
; Kernel info:
; codeLenInByte = 0
; NumSgprs: 4
; NumVgprs: 0
; NumAgprs: 0
; TotalNumVgprs: 0
; ScratchSize: 0
; MemoryBound: 0
; FloatMode: 240
; IeeeMode: 1
; LDSByteSize: 0 bytes/workgroup (compile time only)
; SGPRBlocks: 0
; VGPRBlocks: 0
; NumSGPRsForWavesPerEU: 4
; NumVGPRsForWavesPerEU: 1
; AccumOffset: 4
; Occupancy: 8
; WaveLimiterHint : 0
; COMPUTE_PGM_RSRC2:SCRATCH_EN: 0
; COMPUTE_PGM_RSRC2:USER_SGPR: 6
; COMPUTE_PGM_RSRC2:TRAP_HANDLER: 0
; COMPUTE_PGM_RSRC2:TGID_X_EN: 1
; COMPUTE_PGM_RSRC2:TGID_Y_EN: 0
; COMPUTE_PGM_RSRC2:TGID_Z_EN: 0
; COMPUTE_PGM_RSRC2:TIDIG_COMP_CNT: 0
; COMPUTE_PGM_RSRC3_GFX90A:ACCUM_OFFSET: 0
; COMPUTE_PGM_RSRC3_GFX90A:TG_SPLIT: 0
	.section	.text._ZN7rocprim17ROCPRIM_400000_NS6detail17trampoline_kernelINS0_14default_configENS1_38merge_sort_block_merge_config_selectorIlNS0_10empty_typeEEEZZNS1_27merge_sort_block_merge_implIS3_PlPS5_mZN2at6native12_GLOBAL__N_124unique_dim_cuda_templateImEESt5tupleIJNSA_6TensorESF_SF_EERKSF_lbbbEUlllE_EE10hipError_tT0_T1_T2_jT3_P12ihipStream_tbPNSt15iterator_traitsISL_E10value_typeEPNSR_ISM_E10value_typeEPSN_NS1_7vsmem_tEENKUlT_SL_SM_SN_E_clIS8_S8_S9_S9_EESK_S10_SL_SM_SN_EUlS10_E0_NS1_11comp_targetILNS1_3genE5ELNS1_11target_archE942ELNS1_3gpuE9ELNS1_3repE0EEENS1_38merge_mergepath_config_static_selectorELNS0_4arch9wavefront6targetE1EEEvSM_,"axG",@progbits,_ZN7rocprim17ROCPRIM_400000_NS6detail17trampoline_kernelINS0_14default_configENS1_38merge_sort_block_merge_config_selectorIlNS0_10empty_typeEEEZZNS1_27merge_sort_block_merge_implIS3_PlPS5_mZN2at6native12_GLOBAL__N_124unique_dim_cuda_templateImEESt5tupleIJNSA_6TensorESF_SF_EERKSF_lbbbEUlllE_EE10hipError_tT0_T1_T2_jT3_P12ihipStream_tbPNSt15iterator_traitsISL_E10value_typeEPNSR_ISM_E10value_typeEPSN_NS1_7vsmem_tEENKUlT_SL_SM_SN_E_clIS8_S8_S9_S9_EESK_S10_SL_SM_SN_EUlS10_E0_NS1_11comp_targetILNS1_3genE5ELNS1_11target_archE942ELNS1_3gpuE9ELNS1_3repE0EEENS1_38merge_mergepath_config_static_selectorELNS0_4arch9wavefront6targetE1EEEvSM_,comdat
	.globl	_ZN7rocprim17ROCPRIM_400000_NS6detail17trampoline_kernelINS0_14default_configENS1_38merge_sort_block_merge_config_selectorIlNS0_10empty_typeEEEZZNS1_27merge_sort_block_merge_implIS3_PlPS5_mZN2at6native12_GLOBAL__N_124unique_dim_cuda_templateImEESt5tupleIJNSA_6TensorESF_SF_EERKSF_lbbbEUlllE_EE10hipError_tT0_T1_T2_jT3_P12ihipStream_tbPNSt15iterator_traitsISL_E10value_typeEPNSR_ISM_E10value_typeEPSN_NS1_7vsmem_tEENKUlT_SL_SM_SN_E_clIS8_S8_S9_S9_EESK_S10_SL_SM_SN_EUlS10_E0_NS1_11comp_targetILNS1_3genE5ELNS1_11target_archE942ELNS1_3gpuE9ELNS1_3repE0EEENS1_38merge_mergepath_config_static_selectorELNS0_4arch9wavefront6targetE1EEEvSM_ ; -- Begin function _ZN7rocprim17ROCPRIM_400000_NS6detail17trampoline_kernelINS0_14default_configENS1_38merge_sort_block_merge_config_selectorIlNS0_10empty_typeEEEZZNS1_27merge_sort_block_merge_implIS3_PlPS5_mZN2at6native12_GLOBAL__N_124unique_dim_cuda_templateImEESt5tupleIJNSA_6TensorESF_SF_EERKSF_lbbbEUlllE_EE10hipError_tT0_T1_T2_jT3_P12ihipStream_tbPNSt15iterator_traitsISL_E10value_typeEPNSR_ISM_E10value_typeEPSN_NS1_7vsmem_tEENKUlT_SL_SM_SN_E_clIS8_S8_S9_S9_EESK_S10_SL_SM_SN_EUlS10_E0_NS1_11comp_targetILNS1_3genE5ELNS1_11target_archE942ELNS1_3gpuE9ELNS1_3repE0EEENS1_38merge_mergepath_config_static_selectorELNS0_4arch9wavefront6targetE1EEEvSM_
	.p2align	8
	.type	_ZN7rocprim17ROCPRIM_400000_NS6detail17trampoline_kernelINS0_14default_configENS1_38merge_sort_block_merge_config_selectorIlNS0_10empty_typeEEEZZNS1_27merge_sort_block_merge_implIS3_PlPS5_mZN2at6native12_GLOBAL__N_124unique_dim_cuda_templateImEESt5tupleIJNSA_6TensorESF_SF_EERKSF_lbbbEUlllE_EE10hipError_tT0_T1_T2_jT3_P12ihipStream_tbPNSt15iterator_traitsISL_E10value_typeEPNSR_ISM_E10value_typeEPSN_NS1_7vsmem_tEENKUlT_SL_SM_SN_E_clIS8_S8_S9_S9_EESK_S10_SL_SM_SN_EUlS10_E0_NS1_11comp_targetILNS1_3genE5ELNS1_11target_archE942ELNS1_3gpuE9ELNS1_3repE0EEENS1_38merge_mergepath_config_static_selectorELNS0_4arch9wavefront6targetE1EEEvSM_,@function
_ZN7rocprim17ROCPRIM_400000_NS6detail17trampoline_kernelINS0_14default_configENS1_38merge_sort_block_merge_config_selectorIlNS0_10empty_typeEEEZZNS1_27merge_sort_block_merge_implIS3_PlPS5_mZN2at6native12_GLOBAL__N_124unique_dim_cuda_templateImEESt5tupleIJNSA_6TensorESF_SF_EERKSF_lbbbEUlllE_EE10hipError_tT0_T1_T2_jT3_P12ihipStream_tbPNSt15iterator_traitsISL_E10value_typeEPNSR_ISM_E10value_typeEPSN_NS1_7vsmem_tEENKUlT_SL_SM_SN_E_clIS8_S8_S9_S9_EESK_S10_SL_SM_SN_EUlS10_E0_NS1_11comp_targetILNS1_3genE5ELNS1_11target_archE942ELNS1_3gpuE9ELNS1_3repE0EEENS1_38merge_mergepath_config_static_selectorELNS0_4arch9wavefront6targetE1EEEvSM_: ; @_ZN7rocprim17ROCPRIM_400000_NS6detail17trampoline_kernelINS0_14default_configENS1_38merge_sort_block_merge_config_selectorIlNS0_10empty_typeEEEZZNS1_27merge_sort_block_merge_implIS3_PlPS5_mZN2at6native12_GLOBAL__N_124unique_dim_cuda_templateImEESt5tupleIJNSA_6TensorESF_SF_EERKSF_lbbbEUlllE_EE10hipError_tT0_T1_T2_jT3_P12ihipStream_tbPNSt15iterator_traitsISL_E10value_typeEPNSR_ISM_E10value_typeEPSN_NS1_7vsmem_tEENKUlT_SL_SM_SN_E_clIS8_S8_S9_S9_EESK_S10_SL_SM_SN_EUlS10_E0_NS1_11comp_targetILNS1_3genE5ELNS1_11target_archE942ELNS1_3gpuE9ELNS1_3repE0EEENS1_38merge_mergepath_config_static_selectorELNS0_4arch9wavefront6targetE1EEEvSM_
; %bb.0:
	.section	.rodata,"a",@progbits
	.p2align	6, 0x0
	.amdhsa_kernel _ZN7rocprim17ROCPRIM_400000_NS6detail17trampoline_kernelINS0_14default_configENS1_38merge_sort_block_merge_config_selectorIlNS0_10empty_typeEEEZZNS1_27merge_sort_block_merge_implIS3_PlPS5_mZN2at6native12_GLOBAL__N_124unique_dim_cuda_templateImEESt5tupleIJNSA_6TensorESF_SF_EERKSF_lbbbEUlllE_EE10hipError_tT0_T1_T2_jT3_P12ihipStream_tbPNSt15iterator_traitsISL_E10value_typeEPNSR_ISM_E10value_typeEPSN_NS1_7vsmem_tEENKUlT_SL_SM_SN_E_clIS8_S8_S9_S9_EESK_S10_SL_SM_SN_EUlS10_E0_NS1_11comp_targetILNS1_3genE5ELNS1_11target_archE942ELNS1_3gpuE9ELNS1_3repE0EEENS1_38merge_mergepath_config_static_selectorELNS0_4arch9wavefront6targetE1EEEvSM_
		.amdhsa_group_segment_fixed_size 0
		.amdhsa_private_segment_fixed_size 0
		.amdhsa_kernarg_size 88
		.amdhsa_user_sgpr_count 6
		.amdhsa_user_sgpr_private_segment_buffer 1
		.amdhsa_user_sgpr_dispatch_ptr 0
		.amdhsa_user_sgpr_queue_ptr 0
		.amdhsa_user_sgpr_kernarg_segment_ptr 1
		.amdhsa_user_sgpr_dispatch_id 0
		.amdhsa_user_sgpr_flat_scratch_init 0
		.amdhsa_user_sgpr_kernarg_preload_length 0
		.amdhsa_user_sgpr_kernarg_preload_offset 0
		.amdhsa_user_sgpr_private_segment_size 0
		.amdhsa_uses_dynamic_stack 0
		.amdhsa_system_sgpr_private_segment_wavefront_offset 0
		.amdhsa_system_sgpr_workgroup_id_x 1
		.amdhsa_system_sgpr_workgroup_id_y 0
		.amdhsa_system_sgpr_workgroup_id_z 0
		.amdhsa_system_sgpr_workgroup_info 0
		.amdhsa_system_vgpr_workitem_id 0
		.amdhsa_next_free_vgpr 1
		.amdhsa_next_free_sgpr 0
		.amdhsa_accum_offset 4
		.amdhsa_reserve_vcc 0
		.amdhsa_reserve_flat_scratch 0
		.amdhsa_float_round_mode_32 0
		.amdhsa_float_round_mode_16_64 0
		.amdhsa_float_denorm_mode_32 3
		.amdhsa_float_denorm_mode_16_64 3
		.amdhsa_dx10_clamp 1
		.amdhsa_ieee_mode 1
		.amdhsa_fp16_overflow 0
		.amdhsa_tg_split 0
		.amdhsa_exception_fp_ieee_invalid_op 0
		.amdhsa_exception_fp_denorm_src 0
		.amdhsa_exception_fp_ieee_div_zero 0
		.amdhsa_exception_fp_ieee_overflow 0
		.amdhsa_exception_fp_ieee_underflow 0
		.amdhsa_exception_fp_ieee_inexact 0
		.amdhsa_exception_int_div_zero 0
	.end_amdhsa_kernel
	.section	.text._ZN7rocprim17ROCPRIM_400000_NS6detail17trampoline_kernelINS0_14default_configENS1_38merge_sort_block_merge_config_selectorIlNS0_10empty_typeEEEZZNS1_27merge_sort_block_merge_implIS3_PlPS5_mZN2at6native12_GLOBAL__N_124unique_dim_cuda_templateImEESt5tupleIJNSA_6TensorESF_SF_EERKSF_lbbbEUlllE_EE10hipError_tT0_T1_T2_jT3_P12ihipStream_tbPNSt15iterator_traitsISL_E10value_typeEPNSR_ISM_E10value_typeEPSN_NS1_7vsmem_tEENKUlT_SL_SM_SN_E_clIS8_S8_S9_S9_EESK_S10_SL_SM_SN_EUlS10_E0_NS1_11comp_targetILNS1_3genE5ELNS1_11target_archE942ELNS1_3gpuE9ELNS1_3repE0EEENS1_38merge_mergepath_config_static_selectorELNS0_4arch9wavefront6targetE1EEEvSM_,"axG",@progbits,_ZN7rocprim17ROCPRIM_400000_NS6detail17trampoline_kernelINS0_14default_configENS1_38merge_sort_block_merge_config_selectorIlNS0_10empty_typeEEEZZNS1_27merge_sort_block_merge_implIS3_PlPS5_mZN2at6native12_GLOBAL__N_124unique_dim_cuda_templateImEESt5tupleIJNSA_6TensorESF_SF_EERKSF_lbbbEUlllE_EE10hipError_tT0_T1_T2_jT3_P12ihipStream_tbPNSt15iterator_traitsISL_E10value_typeEPNSR_ISM_E10value_typeEPSN_NS1_7vsmem_tEENKUlT_SL_SM_SN_E_clIS8_S8_S9_S9_EESK_S10_SL_SM_SN_EUlS10_E0_NS1_11comp_targetILNS1_3genE5ELNS1_11target_archE942ELNS1_3gpuE9ELNS1_3repE0EEENS1_38merge_mergepath_config_static_selectorELNS0_4arch9wavefront6targetE1EEEvSM_,comdat
.Lfunc_end1622:
	.size	_ZN7rocprim17ROCPRIM_400000_NS6detail17trampoline_kernelINS0_14default_configENS1_38merge_sort_block_merge_config_selectorIlNS0_10empty_typeEEEZZNS1_27merge_sort_block_merge_implIS3_PlPS5_mZN2at6native12_GLOBAL__N_124unique_dim_cuda_templateImEESt5tupleIJNSA_6TensorESF_SF_EERKSF_lbbbEUlllE_EE10hipError_tT0_T1_T2_jT3_P12ihipStream_tbPNSt15iterator_traitsISL_E10value_typeEPNSR_ISM_E10value_typeEPSN_NS1_7vsmem_tEENKUlT_SL_SM_SN_E_clIS8_S8_S9_S9_EESK_S10_SL_SM_SN_EUlS10_E0_NS1_11comp_targetILNS1_3genE5ELNS1_11target_archE942ELNS1_3gpuE9ELNS1_3repE0EEENS1_38merge_mergepath_config_static_selectorELNS0_4arch9wavefront6targetE1EEEvSM_, .Lfunc_end1622-_ZN7rocprim17ROCPRIM_400000_NS6detail17trampoline_kernelINS0_14default_configENS1_38merge_sort_block_merge_config_selectorIlNS0_10empty_typeEEEZZNS1_27merge_sort_block_merge_implIS3_PlPS5_mZN2at6native12_GLOBAL__N_124unique_dim_cuda_templateImEESt5tupleIJNSA_6TensorESF_SF_EERKSF_lbbbEUlllE_EE10hipError_tT0_T1_T2_jT3_P12ihipStream_tbPNSt15iterator_traitsISL_E10value_typeEPNSR_ISM_E10value_typeEPSN_NS1_7vsmem_tEENKUlT_SL_SM_SN_E_clIS8_S8_S9_S9_EESK_S10_SL_SM_SN_EUlS10_E0_NS1_11comp_targetILNS1_3genE5ELNS1_11target_archE942ELNS1_3gpuE9ELNS1_3repE0EEENS1_38merge_mergepath_config_static_selectorELNS0_4arch9wavefront6targetE1EEEvSM_
                                        ; -- End function
	.section	.AMDGPU.csdata,"",@progbits
; Kernel info:
; codeLenInByte = 0
; NumSgprs: 4
; NumVgprs: 0
; NumAgprs: 0
; TotalNumVgprs: 0
; ScratchSize: 0
; MemoryBound: 0
; FloatMode: 240
; IeeeMode: 1
; LDSByteSize: 0 bytes/workgroup (compile time only)
; SGPRBlocks: 0
; VGPRBlocks: 0
; NumSGPRsForWavesPerEU: 4
; NumVGPRsForWavesPerEU: 1
; AccumOffset: 4
; Occupancy: 8
; WaveLimiterHint : 0
; COMPUTE_PGM_RSRC2:SCRATCH_EN: 0
; COMPUTE_PGM_RSRC2:USER_SGPR: 6
; COMPUTE_PGM_RSRC2:TRAP_HANDLER: 0
; COMPUTE_PGM_RSRC2:TGID_X_EN: 1
; COMPUTE_PGM_RSRC2:TGID_Y_EN: 0
; COMPUTE_PGM_RSRC2:TGID_Z_EN: 0
; COMPUTE_PGM_RSRC2:TIDIG_COMP_CNT: 0
; COMPUTE_PGM_RSRC3_GFX90A:ACCUM_OFFSET: 0
; COMPUTE_PGM_RSRC3_GFX90A:TG_SPLIT: 0
	.section	.text._ZN7rocprim17ROCPRIM_400000_NS6detail17trampoline_kernelINS0_14default_configENS1_38merge_sort_block_merge_config_selectorIlNS0_10empty_typeEEEZZNS1_27merge_sort_block_merge_implIS3_PlPS5_mZN2at6native12_GLOBAL__N_124unique_dim_cuda_templateImEESt5tupleIJNSA_6TensorESF_SF_EERKSF_lbbbEUlllE_EE10hipError_tT0_T1_T2_jT3_P12ihipStream_tbPNSt15iterator_traitsISL_E10value_typeEPNSR_ISM_E10value_typeEPSN_NS1_7vsmem_tEENKUlT_SL_SM_SN_E_clIS8_S8_S9_S9_EESK_S10_SL_SM_SN_EUlS10_E0_NS1_11comp_targetILNS1_3genE4ELNS1_11target_archE910ELNS1_3gpuE8ELNS1_3repE0EEENS1_38merge_mergepath_config_static_selectorELNS0_4arch9wavefront6targetE1EEEvSM_,"axG",@progbits,_ZN7rocprim17ROCPRIM_400000_NS6detail17trampoline_kernelINS0_14default_configENS1_38merge_sort_block_merge_config_selectorIlNS0_10empty_typeEEEZZNS1_27merge_sort_block_merge_implIS3_PlPS5_mZN2at6native12_GLOBAL__N_124unique_dim_cuda_templateImEESt5tupleIJNSA_6TensorESF_SF_EERKSF_lbbbEUlllE_EE10hipError_tT0_T1_T2_jT3_P12ihipStream_tbPNSt15iterator_traitsISL_E10value_typeEPNSR_ISM_E10value_typeEPSN_NS1_7vsmem_tEENKUlT_SL_SM_SN_E_clIS8_S8_S9_S9_EESK_S10_SL_SM_SN_EUlS10_E0_NS1_11comp_targetILNS1_3genE4ELNS1_11target_archE910ELNS1_3gpuE8ELNS1_3repE0EEENS1_38merge_mergepath_config_static_selectorELNS0_4arch9wavefront6targetE1EEEvSM_,comdat
	.globl	_ZN7rocprim17ROCPRIM_400000_NS6detail17trampoline_kernelINS0_14default_configENS1_38merge_sort_block_merge_config_selectorIlNS0_10empty_typeEEEZZNS1_27merge_sort_block_merge_implIS3_PlPS5_mZN2at6native12_GLOBAL__N_124unique_dim_cuda_templateImEESt5tupleIJNSA_6TensorESF_SF_EERKSF_lbbbEUlllE_EE10hipError_tT0_T1_T2_jT3_P12ihipStream_tbPNSt15iterator_traitsISL_E10value_typeEPNSR_ISM_E10value_typeEPSN_NS1_7vsmem_tEENKUlT_SL_SM_SN_E_clIS8_S8_S9_S9_EESK_S10_SL_SM_SN_EUlS10_E0_NS1_11comp_targetILNS1_3genE4ELNS1_11target_archE910ELNS1_3gpuE8ELNS1_3repE0EEENS1_38merge_mergepath_config_static_selectorELNS0_4arch9wavefront6targetE1EEEvSM_ ; -- Begin function _ZN7rocprim17ROCPRIM_400000_NS6detail17trampoline_kernelINS0_14default_configENS1_38merge_sort_block_merge_config_selectorIlNS0_10empty_typeEEEZZNS1_27merge_sort_block_merge_implIS3_PlPS5_mZN2at6native12_GLOBAL__N_124unique_dim_cuda_templateImEESt5tupleIJNSA_6TensorESF_SF_EERKSF_lbbbEUlllE_EE10hipError_tT0_T1_T2_jT3_P12ihipStream_tbPNSt15iterator_traitsISL_E10value_typeEPNSR_ISM_E10value_typeEPSN_NS1_7vsmem_tEENKUlT_SL_SM_SN_E_clIS8_S8_S9_S9_EESK_S10_SL_SM_SN_EUlS10_E0_NS1_11comp_targetILNS1_3genE4ELNS1_11target_archE910ELNS1_3gpuE8ELNS1_3repE0EEENS1_38merge_mergepath_config_static_selectorELNS0_4arch9wavefront6targetE1EEEvSM_
	.p2align	8
	.type	_ZN7rocprim17ROCPRIM_400000_NS6detail17trampoline_kernelINS0_14default_configENS1_38merge_sort_block_merge_config_selectorIlNS0_10empty_typeEEEZZNS1_27merge_sort_block_merge_implIS3_PlPS5_mZN2at6native12_GLOBAL__N_124unique_dim_cuda_templateImEESt5tupleIJNSA_6TensorESF_SF_EERKSF_lbbbEUlllE_EE10hipError_tT0_T1_T2_jT3_P12ihipStream_tbPNSt15iterator_traitsISL_E10value_typeEPNSR_ISM_E10value_typeEPSN_NS1_7vsmem_tEENKUlT_SL_SM_SN_E_clIS8_S8_S9_S9_EESK_S10_SL_SM_SN_EUlS10_E0_NS1_11comp_targetILNS1_3genE4ELNS1_11target_archE910ELNS1_3gpuE8ELNS1_3repE0EEENS1_38merge_mergepath_config_static_selectorELNS0_4arch9wavefront6targetE1EEEvSM_,@function
_ZN7rocprim17ROCPRIM_400000_NS6detail17trampoline_kernelINS0_14default_configENS1_38merge_sort_block_merge_config_selectorIlNS0_10empty_typeEEEZZNS1_27merge_sort_block_merge_implIS3_PlPS5_mZN2at6native12_GLOBAL__N_124unique_dim_cuda_templateImEESt5tupleIJNSA_6TensorESF_SF_EERKSF_lbbbEUlllE_EE10hipError_tT0_T1_T2_jT3_P12ihipStream_tbPNSt15iterator_traitsISL_E10value_typeEPNSR_ISM_E10value_typeEPSN_NS1_7vsmem_tEENKUlT_SL_SM_SN_E_clIS8_S8_S9_S9_EESK_S10_SL_SM_SN_EUlS10_E0_NS1_11comp_targetILNS1_3genE4ELNS1_11target_archE910ELNS1_3gpuE8ELNS1_3repE0EEENS1_38merge_mergepath_config_static_selectorELNS0_4arch9wavefront6targetE1EEEvSM_: ; @_ZN7rocprim17ROCPRIM_400000_NS6detail17trampoline_kernelINS0_14default_configENS1_38merge_sort_block_merge_config_selectorIlNS0_10empty_typeEEEZZNS1_27merge_sort_block_merge_implIS3_PlPS5_mZN2at6native12_GLOBAL__N_124unique_dim_cuda_templateImEESt5tupleIJNSA_6TensorESF_SF_EERKSF_lbbbEUlllE_EE10hipError_tT0_T1_T2_jT3_P12ihipStream_tbPNSt15iterator_traitsISL_E10value_typeEPNSR_ISM_E10value_typeEPSN_NS1_7vsmem_tEENKUlT_SL_SM_SN_E_clIS8_S8_S9_S9_EESK_S10_SL_SM_SN_EUlS10_E0_NS1_11comp_targetILNS1_3genE4ELNS1_11target_archE910ELNS1_3gpuE8ELNS1_3repE0EEENS1_38merge_mergepath_config_static_selectorELNS0_4arch9wavefront6targetE1EEEvSM_
; %bb.0:
	s_load_dwordx2 s[22:23], s[4:5], 0x58
	s_load_dword s0, s[4:5], 0x38
	s_add_u32 s16, s4, 0x58
	s_addc_u32 s17, s5, 0
	s_waitcnt lgkmcnt(0)
	s_mul_i32 s1, s23, s8
	s_add_i32 s1, s1, s7
	s_mul_i32 s1, s1, s22
	s_add_i32 s18, s1, s6
	s_cmp_ge_u32 s18, s0
	s_cbranch_scc1 .LBB1623_82
; %bb.1:
	s_load_dwordx2 s[0:1], s[4:5], 0x50
	s_load_dwordx4 s[12:15], s[4:5], 0x8
	s_load_dwordx4 s[8:11], s[4:5], 0x28
	s_mov_b32 s19, 0
	s_lshl_b64 s[2:3], s[18:19], 3
	s_waitcnt lgkmcnt(0)
	s_add_u32 s0, s0, s2
	s_addc_u32 s1, s1, s3
	v_mov_b32_e32 v1, s10
	v_alignbit_b32 v1, s11, v1, 9
	v_readfirstlane_b32 s7, v1
	s_and_b32 s7, s7, -2
	s_sub_i32 s33, 0, s7
	s_and_b32 s26, s18, s33
	s_mov_b32 s27, s19
	s_lshl_b64 s[24:25], s[26:27], 10
	s_lshl_b64 s[20:21], s[18:19], 10
	s_sub_u32 s7, s20, s24
	s_load_dwordx4 s[0:3], s[0:1], 0x0
	s_subb_u32 s23, s21, s25
	s_lshl_b64 s[26:27], s[26:27], 11
	s_add_u32 s26, s26, s10
	s_addc_u32 s27, s27, s11
	s_add_u32 s7, s26, s7
	s_addc_u32 s23, s27, s23
	s_waitcnt lgkmcnt(0)
	s_sub_u32 s28, s7, s2
	s_subb_u32 s3, s23, s3
	s_add_u32 s28, s28, 0x400
	s_addc_u32 s29, s3, 0
	v_pk_mov_b32 v[2:3], s[28:29], s[28:29] op_sel:[0,1]
	v_cmp_lt_u64_e32 vcc, s[8:9], v[2:3]
	s_and_b64 s[30:31], vcc, exec
	s_cselect_b32 s3, s8, s28
	s_or_b32 s28, s18, s33
	s_cmp_lg_u32 s28, -1
	s_cbranch_scc1 .LBB1623_3
; %bb.2:
	s_sub_u32 s24, s26, s24
	s_subb_u32 s25, s27, s25
	v_pk_mov_b32 v[2:3], s[24:25], s[24:25] op_sel:[0,1]
	v_cmp_lt_u64_e32 vcc, s[8:9], v[2:3]
	s_and_b64 s[2:3], vcc, exec
	s_cselect_b32 s2, s8, s24
	s_add_u32 s10, s24, s10
	s_addc_u32 s11, s25, s11
	v_pk_mov_b32 v[2:3], s[10:11], s[10:11] op_sel:[0,1]
	v_cmp_lt_u64_e32 vcc, s[8:9], v[2:3]
	s_and_b64 s[24:25], vcc, exec
	s_cselect_b32 s3, s8, s10
.LBB1623_3:
	s_lshr_b64 s[26:27], s[8:9], 10
	s_cmp_lg_u64 s[26:27], s[18:19]
	s_cselect_b64 s[10:11], -1, 0
	s_sub_u32 s24, s7, s0
	s_subb_u32 s25, s23, s1
	v_pk_mov_b32 v[2:3], s[24:25], s[24:25] op_sel:[0,1]
	v_cmp_lt_u64_e32 vcc, s[8:9], v[2:3]
	s_and_b64 s[28:29], vcc, exec
	s_cselect_b32 s28, s8, s24
	s_cselect_b32 s29, s9, s25
	s_sub_i32 s9, s2, s0
	s_sub_i32 s7, s3, s28
	s_lshl_b64 s[0:1], s[0:1], 3
	s_add_u32 s23, s12, s0
	s_addc_u32 s24, s13, s1
	s_lshl_b64 s[0:1], s[28:29], 3
	s_add_u32 s12, s12, s0
	s_addc_u32 s13, s13, s1
	s_cmp_lt_u32 s6, s22
	v_mov_b32_e32 v9, 0
	s_cselect_b32 s0, 12, 18
	global_load_dword v1, v9, s[16:17] offset:14
	s_add_u32 s0, s16, s0
	s_addc_u32 s1, s17, 0
	global_load_ushort v2, v9, s[0:1]
	s_cmp_eq_u64 s[26:27], s[18:19]
	s_waitcnt vmcnt(1)
	v_lshrrev_b32_e32 v3, 16, v1
	v_and_b32_e32 v1, 0xffff, v1
	v_mul_lo_u32 v1, v1, v3
	s_waitcnt vmcnt(0)
	v_mul_lo_u32 v12, v1, v2
	v_lshlrev_b32_e32 v1, 3, v0
	s_cbranch_scc1 .LBB1623_5
; %bb.4:
	v_mov_b32_e32 v2, s24
	v_add_co_u32_e32 v4, vcc, s23, v1
	v_subrev_u32_e32 v8, s9, v0
	v_addc_co_u32_e32 v5, vcc, 0, v2, vcc
	v_lshlrev_b64 v[2:3], 3, v[8:9]
	v_mov_b32_e32 v6, s13
	v_add_co_u32_e32 v2, vcc, s12, v2
	v_addc_co_u32_e32 v3, vcc, v6, v3, vcc
	v_cmp_gt_u32_e32 vcc, s9, v0
	v_add_u32_e32 v8, v12, v0
	v_cndmask_b32_e32 v3, v3, v5, vcc
	v_cndmask_b32_e32 v2, v2, v4, vcc
	v_lshlrev_b64 v[4:5], 3, v[8:9]
	v_mov_b32_e32 v6, s24
	v_add_co_u32_e32 v7, vcc, s23, v4
	v_addc_co_u32_e32 v6, vcc, v6, v5, vcc
	v_subrev_u32_e32 v4, s9, v8
	v_mov_b32_e32 v5, v9
	v_lshlrev_b64 v[4:5], 3, v[4:5]
	v_mov_b32_e32 v10, s13
	v_add_co_u32_e32 v4, vcc, s12, v4
	v_addc_co_u32_e32 v5, vcc, v10, v5, vcc
	v_cmp_gt_u32_e32 vcc, s9, v8
	v_add_u32_e32 v8, v8, v12
	v_cndmask_b32_e32 v5, v5, v6, vcc
	v_cndmask_b32_e32 v4, v4, v7, vcc
	v_lshlrev_b64 v[6:7], 3, v[8:9]
	v_mov_b32_e32 v10, s24
	v_add_co_u32_e32 v11, vcc, s23, v6
	v_addc_co_u32_e32 v10, vcc, v10, v7, vcc
	v_subrev_u32_e32 v6, s9, v8
	v_mov_b32_e32 v7, v9
	v_lshlrev_b64 v[6:7], 3, v[6:7]
	v_mov_b32_e32 v13, s13
	v_add_co_u32_e32 v6, vcc, s12, v6
	v_addc_co_u32_e32 v7, vcc, v13, v7, vcc
	v_cmp_gt_u32_e32 vcc, s9, v8
	v_add_u32_e32 v8, v8, v12
	v_cndmask_b32_e32 v7, v7, v10, vcc
	v_cndmask_b32_e32 v6, v6, v11, vcc
	v_lshlrev_b64 v[10:11], 3, v[8:9]
	v_mov_b32_e32 v13, s24
	v_add_co_u32_e32 v10, vcc, s23, v10
	v_addc_co_u32_e32 v11, vcc, v13, v11, vcc
	v_cmp_gt_u32_e32 vcc, s9, v8
	v_subrev_u32_e32 v8, s9, v8
	v_lshlrev_b64 v[8:9], 3, v[8:9]
	v_mov_b32_e32 v13, s13
	v_add_co_u32_e64 v8, s[0:1], s12, v8
	v_addc_co_u32_e64 v9, s[0:1], v13, v9, s[0:1]
	v_cndmask_b32_e32 v9, v9, v11, vcc
	v_cndmask_b32_e32 v8, v8, v10, vcc
	global_load_dwordx2 v[2:3], v[2:3], off
	s_add_i32 s33, s9, s7
	global_load_dwordx2 v[4:5], v[4:5], off
	s_nop 0
	global_load_dwordx2 v[6:7], v[6:7], off
	s_nop 0
	global_load_dwordx2 v[8:9], v[8:9], off
	s_cbranch_execz .LBB1623_6
	s_branch .LBB1623_15
.LBB1623_5:
                                        ; implicit-def: $vgpr2_vgpr3_vgpr4_vgpr5_vgpr6_vgpr7_vgpr8_vgpr9
                                        ; implicit-def: $sgpr33
.LBB1623_6:
	s_add_i32 s33, s9, s7
	v_cmp_gt_u32_e32 vcc, s33, v0
                                        ; implicit-def: $vgpr2_vgpr3_vgpr4_vgpr5_vgpr6_vgpr7_vgpr8_vgpr9
	s_and_saveexec_b64 s[0:1], vcc
	s_cbranch_execz .LBB1623_8
; %bb.7:
	s_waitcnt vmcnt(3)
	v_mov_b32_e32 v2, s24
	s_waitcnt vmcnt(2)
	v_add_co_u32_e32 v4, vcc, s23, v1
	v_mov_b32_e32 v3, 0
	v_addc_co_u32_e32 v5, vcc, 0, v2, vcc
	v_subrev_u32_e32 v2, s9, v0
	v_lshlrev_b64 v[2:3], 3, v[2:3]
	s_waitcnt vmcnt(1)
	v_mov_b32_e32 v6, s13
	v_add_co_u32_e32 v2, vcc, s12, v2
	v_addc_co_u32_e32 v3, vcc, v6, v3, vcc
	v_cmp_gt_u32_e32 vcc, s9, v0
	v_cndmask_b32_e32 v3, v3, v5, vcc
	v_cndmask_b32_e32 v2, v2, v4, vcc
	global_load_dwordx2 v[2:3], v[2:3], off
.LBB1623_8:
	s_or_b64 exec, exec, s[0:1]
	v_add_u32_e32 v10, v12, v0
	v_cmp_gt_u32_e32 vcc, s33, v10
	s_and_saveexec_b64 s[0:1], vcc
	s_cbranch_execz .LBB1623_10
; %bb.9:
	v_mov_b32_e32 v11, 0
	s_waitcnt vmcnt(2)
	v_lshlrev_b64 v[4:5], 3, v[10:11]
	v_mov_b32_e32 v13, s24
	v_add_co_u32_e32 v14, vcc, s23, v4
	v_addc_co_u32_e32 v13, vcc, v13, v5, vcc
	v_subrev_u32_e32 v4, s9, v10
	v_mov_b32_e32 v5, v11
	v_lshlrev_b64 v[4:5], 3, v[4:5]
	v_mov_b32_e32 v11, s13
	v_add_co_u32_e32 v4, vcc, s12, v4
	v_addc_co_u32_e32 v5, vcc, v11, v5, vcc
	v_cmp_gt_u32_e32 vcc, s9, v10
	v_cndmask_b32_e32 v5, v5, v13, vcc
	v_cndmask_b32_e32 v4, v4, v14, vcc
	global_load_dwordx2 v[4:5], v[4:5], off
.LBB1623_10:
	s_or_b64 exec, exec, s[0:1]
	v_add_u32_e32 v10, v10, v12
	v_cmp_gt_u32_e32 vcc, s33, v10
	s_and_saveexec_b64 s[0:1], vcc
	s_cbranch_execz .LBB1623_12
; %bb.11:
	v_mov_b32_e32 v11, 0
	s_waitcnt vmcnt(1)
	v_lshlrev_b64 v[6:7], 3, v[10:11]
	v_mov_b32_e32 v13, s24
	v_add_co_u32_e32 v14, vcc, s23, v6
	v_addc_co_u32_e32 v13, vcc, v13, v7, vcc
	v_subrev_u32_e32 v6, s9, v10
	v_mov_b32_e32 v7, v11
	v_lshlrev_b64 v[6:7], 3, v[6:7]
	v_mov_b32_e32 v11, s13
	v_add_co_u32_e32 v6, vcc, s12, v6
	v_addc_co_u32_e32 v7, vcc, v11, v7, vcc
	v_cmp_gt_u32_e32 vcc, s9, v10
	v_cndmask_b32_e32 v7, v7, v13, vcc
	v_cndmask_b32_e32 v6, v6, v14, vcc
	global_load_dwordx2 v[6:7], v[6:7], off
.LBB1623_12:
	s_or_b64 exec, exec, s[0:1]
	v_add_u32_e32 v10, v10, v12
	v_cmp_gt_u32_e32 vcc, s33, v10
	s_and_saveexec_b64 s[2:3], vcc
	s_cbranch_execz .LBB1623_14
; %bb.13:
	v_mov_b32_e32 v11, 0
	s_waitcnt vmcnt(0)
	v_lshlrev_b64 v[8:9], 3, v[10:11]
	v_mov_b32_e32 v12, s24
	v_add_co_u32_e32 v13, vcc, s23, v8
	v_addc_co_u32_e32 v12, vcc, v12, v9, vcc
	v_cmp_gt_u32_e32 vcc, s9, v10
	v_subrev_u32_e32 v10, s9, v10
	v_lshlrev_b64 v[8:9], 3, v[10:11]
	v_mov_b32_e32 v10, s13
	v_add_co_u32_e64 v8, s[0:1], s12, v8
	v_addc_co_u32_e64 v9, s[0:1], v10, v9, s[0:1]
	v_cndmask_b32_e32 v9, v9, v12, vcc
	v_cndmask_b32_e32 v8, v8, v13, vcc
	global_load_dwordx2 v[8:9], v[8:9], off
.LBB1623_14:
	s_or_b64 exec, exec, s[2:3]
.LBB1623_15:
	s_load_dwordx4 s[16:19], s[4:5], 0x40
	v_lshlrev_b32_e32 v16, 2, v0
	v_min_u32_e32 v15, s33, v16
	v_sub_u32_e64 v14, v15, s7 clamp
	v_min_u32_e32 v17, s9, v15
	v_cmp_lt_u32_e32 vcc, v14, v17
	s_waitcnt vmcnt(0)
	ds_write2st64_b64 v1, v[2:3], v[4:5] offset1:4
	ds_write2st64_b64 v1, v[6:7], v[8:9] offset0:8 offset1:12
	s_waitcnt lgkmcnt(0)
	s_barrier
	s_and_saveexec_b64 s[6:7], vcc
	s_cbranch_execz .LBB1623_25
; %bb.16:
	v_lshlrev_b32_e32 v10, 3, v15
	v_cmp_gt_i64_e64 s[0:1], s[16:17], 0
	v_lshl_add_u32 v18, s9, 3, v10
	v_cndmask_b32_e64 v10, 0, 1, s[0:1]
	s_mov_b64 s[12:13], 0
	s_lshl_b64 s[22:23], s[16:17], 3
	v_cmp_ne_u32_e64 s[0:1], 1, v10
	s_branch .LBB1623_19
.LBB1623_17:                            ;   in Loop: Header=BB1623_19 Depth=1
	s_or_b64 exec, exec, s[26:27]
.LBB1623_18:                            ;   in Loop: Header=BB1623_19 Depth=1
	v_add_u32_e32 v10, 1, v19
	v_cndmask_b32_e64 v17, v17, v19, s[24:25]
	v_cndmask_b32_e64 v14, v10, v14, s[24:25]
	v_cmp_ge_u32_e32 vcc, v14, v17
	s_or_b64 s[12:13], vcc, s[12:13]
	s_andn2_b64 exec, exec, s[12:13]
	s_cbranch_execz .LBB1623_24
.LBB1623_19:                            ; =>This Loop Header: Depth=1
                                        ;     Child Loop BB1623_22 Depth 2
	v_add_u32_e32 v10, v17, v14
	v_lshrrev_b32_e32 v19, 1, v10
	s_and_b64 vcc, exec, s[0:1]
	s_mov_b64 s[24:25], 0
	s_cbranch_vccnz .LBB1623_18
; %bb.20:                               ;   in Loop: Header=BB1623_19 Depth=1
	v_not_b32_e32 v10, v19
	v_lshl_add_u32 v10, v10, 3, v18
	ds_read_b64 v[10:11], v10
	v_lshlrev_b32_e32 v20, 3, v19
	ds_read_b64 v[20:21], v20
	v_pk_mov_b32 v[12:13], s[18:19], s[18:19] op_sel:[0,1]
	s_mov_b64 s[26:27], 0
	s_waitcnt lgkmcnt(1)
	v_mul_lo_u32 v22, s22, v11
	v_mul_lo_u32 v23, s23, v10
	v_mad_u64_u32 v[10:11], s[2:3], s22, v10, v[12:13]
	v_add3_u32 v11, v23, v11, v22
	s_waitcnt lgkmcnt(0)
	v_mul_lo_u32 v21, s22, v21
	v_mul_lo_u32 v22, s23, v20
	v_mad_u64_u32 v[12:13], s[2:3], s22, v20, v[12:13]
	v_add3_u32 v13, v22, v13, v21
	s_mov_b64 s[34:35], s[16:17]
                                        ; implicit-def: $sgpr24_sgpr25
                                        ; implicit-def: $sgpr28_sgpr29
                                        ; implicit-def: $sgpr30_sgpr31
                                        ; implicit-def: $sgpr2_sgpr3
                                        ; implicit-def: $sgpr36_sgpr37
	s_branch .LBB1623_22
.LBB1623_21:                            ;   in Loop: Header=BB1623_22 Depth=2
	s_or_b64 exec, exec, s[38:39]
	s_and_b64 s[4:5], exec, s[28:29]
	s_or_b64 s[26:27], s[4:5], s[26:27]
	s_andn2_b64 s[4:5], s[36:37], exec
	s_and_b64 s[36:37], s[30:31], exec
	s_or_b64 s[36:37], s[4:5], s[36:37]
	s_andn2_b64 s[4:5], s[24:25], exec
	s_and_b64 s[24:25], s[2:3], exec
	s_or_b64 s[24:25], s[4:5], s[24:25]
	s_andn2_b64 exec, exec, s[26:27]
	s_cbranch_execz .LBB1623_17
.LBB1623_22:                            ;   Parent Loop BB1623_19 Depth=1
                                        ; =>  This Inner Loop Header: Depth=2
	global_load_dwordx2 v[20:21], v[10:11], off
	global_load_dwordx2 v[22:23], v[12:13], off
	s_andn2_b64 s[38:39], s[2:3], exec
	s_andn2_b64 s[30:31], s[30:31], exec
	s_or_b64 s[28:29], s[28:29], exec
	s_waitcnt vmcnt(0)
	v_cmp_le_u64_e64 s[2:3], v[20:21], v[22:23]
	v_cmp_lt_u64_e32 vcc, v[20:21], v[22:23]
	s_and_b64 s[2:3], s[2:3], s[36:37]
	s_or_b64 s[40:41], vcc, s[2:3]
	s_and_b64 s[2:3], s[40:41], exec
	v_cmp_eq_u64_e64 s[4:5], v[20:21], v[22:23]
	s_or_b64 s[2:3], s[38:39], s[2:3]
	s_and_saveexec_b64 s[38:39], s[4:5]
	s_cbranch_execz .LBB1623_21
; %bb.23:                               ;   in Loop: Header=BB1623_22 Depth=2
	s_add_u32 s34, s34, -1
	s_addc_u32 s35, s35, -1
	v_add_co_u32_e32 v10, vcc, 8, v10
	s_cmp_eq_u64 s[34:35], 0
	v_addc_co_u32_e32 v11, vcc, 0, v11, vcc
	s_cselect_b64 s[4:5], -1, 0
	v_add_co_u32_e32 v12, vcc, 8, v12
	s_andn2_b64 s[30:31], s[30:31], exec
	s_and_b64 s[36:37], s[40:41], exec
	s_andn2_b64 s[28:29], s[28:29], exec
	s_and_b64 s[4:5], s[4:5], exec
	v_addc_co_u32_e32 v13, vcc, 0, v13, vcc
	s_andn2_b64 s[2:3], s[2:3], exec
	s_or_b64 s[30:31], s[30:31], s[36:37]
	s_or_b64 s[28:29], s[28:29], s[4:5]
                                        ; implicit-def: $sgpr36_sgpr37
	s_branch .LBB1623_21
.LBB1623_24:
	s_or_b64 exec, exec, s[12:13]
.LBB1623_25:
	s_or_b64 exec, exec, s[6:7]
	v_sub_u32_e32 v10, v15, v14
	v_add_u32_e32 v15, s9, v10
	v_cmp_ge_u32_e32 vcc, s9, v14
	v_cmp_ge_u32_e64 s[0:1], s33, v15
	s_or_b64 s[0:1], vcc, s[0:1]
	s_and_saveexec_b64 s[4:5], s[0:1]
	s_cbranch_execz .LBB1623_72
; %bb.26:
	v_cmp_le_u32_e32 vcc, s9, v14
	v_cmp_gt_u32_e64 s[0:1], s9, v14
                                        ; implicit-def: $vgpr2_vgpr3
	s_and_saveexec_b64 s[2:3], s[0:1]
	s_cbranch_execz .LBB1623_28
; %bb.27:
	v_lshlrev_b32_e32 v2, 3, v14
	ds_read_b64 v[2:3], v2
.LBB1623_28:
	s_or_b64 exec, exec, s[2:3]
	v_cmp_le_u32_e64 s[12:13], s33, v15
	v_cmp_gt_u32_e64 s[0:1], s33, v15
                                        ; implicit-def: $vgpr6_vgpr7
	s_and_saveexec_b64 s[2:3], s[0:1]
	s_cbranch_execz .LBB1623_30
; %bb.29:
	v_lshlrev_b32_e32 v4, 3, v15
	ds_read_b64 v[6:7], v4
.LBB1623_30:
	s_or_b64 exec, exec, s[2:3]
	s_or_b64 s[0:1], vcc, s[12:13]
	v_cmp_gt_i64_e64 s[6:7], s[16:17], 0
	s_mov_b64 s[22:23], -1
	s_xor_b64 s[0:1], s[0:1], -1
	s_and_saveexec_b64 s[24:25], s[0:1]
	s_cbranch_execz .LBB1623_39
; %bb.31:
	s_andn2_b64 vcc, exec, s[6:7]
	s_cbranch_vccnz .LBB1623_37
; %bb.32:
	s_waitcnt lgkmcnt(0)
	v_mul_lo_u32 v8, v7, s16
	v_mul_lo_u32 v9, v6, s17
	v_mad_u64_u32 v[4:5], s[0:1], v6, s16, 0
	v_add3_u32 v5, v5, v9, v8
	v_lshlrev_b64 v[4:5], 3, v[4:5]
	v_mov_b32_e32 v8, s19
	v_add_co_u32_e32 v4, vcc, s18, v4
	v_addc_co_u32_e32 v5, vcc, v8, v5, vcc
	v_mul_lo_u32 v10, v3, s16
	v_mul_lo_u32 v11, v2, s17
	v_mad_u64_u32 v[8:9], s[0:1], v2, s16, 0
	v_add3_u32 v9, v9, v11, v10
	v_lshlrev_b64 v[8:9], 3, v[8:9]
	v_mov_b32_e32 v10, s19
	v_add_co_u32_e32 v8, vcc, s18, v8
	v_addc_co_u32_e32 v9, vcc, v10, v9, vcc
	s_mov_b64 s[26:27], 0
	s_mov_b64 s[36:37], s[16:17]
                                        ; implicit-def: $sgpr28_sgpr29
                                        ; implicit-def: $sgpr30_sgpr31
                                        ; implicit-def: $sgpr0_sgpr1
                                        ; implicit-def: $sgpr34_sgpr35
                                        ; implicit-def: $sgpr38_sgpr39
	s_branch .LBB1623_34
.LBB1623_33:                            ;   in Loop: Header=BB1623_34 Depth=1
	s_or_b64 exec, exec, s[40:41]
	s_and_b64 s[2:3], exec, s[30:31]
	s_or_b64 s[26:27], s[2:3], s[26:27]
	s_andn2_b64 s[2:3], s[38:39], exec
	s_and_b64 s[38:39], s[34:35], exec
	s_or_b64 s[38:39], s[2:3], s[38:39]
	s_andn2_b64 s[2:3], s[28:29], exec
	s_and_b64 s[28:29], s[0:1], exec
	s_or_b64 s[28:29], s[2:3], s[28:29]
	s_andn2_b64 exec, exec, s[26:27]
	s_cbranch_execz .LBB1623_36
.LBB1623_34:                            ; =>This Inner Loop Header: Depth=1
	global_load_dwordx2 v[10:11], v[4:5], off
	global_load_dwordx2 v[12:13], v[8:9], off
	s_andn2_b64 s[40:41], s[0:1], exec
	s_andn2_b64 s[34:35], s[34:35], exec
	s_or_b64 s[30:31], s[30:31], exec
	s_waitcnt vmcnt(0)
	v_cmp_le_u64_e64 s[0:1], v[10:11], v[12:13]
	v_cmp_lt_u64_e32 vcc, v[10:11], v[12:13]
	s_and_b64 s[0:1], s[0:1], s[38:39]
	s_or_b64 s[42:43], vcc, s[0:1]
	s_and_b64 s[0:1], s[42:43], exec
	v_cmp_eq_u64_e64 s[2:3], v[10:11], v[12:13]
	s_or_b64 s[0:1], s[40:41], s[0:1]
	s_and_saveexec_b64 s[40:41], s[2:3]
	s_cbranch_execz .LBB1623_33
; %bb.35:                               ;   in Loop: Header=BB1623_34 Depth=1
	s_add_u32 s36, s36, -1
	s_addc_u32 s37, s37, -1
	v_add_co_u32_e32 v4, vcc, 8, v4
	s_cmp_eq_u64 s[36:37], 0
	v_addc_co_u32_e32 v5, vcc, 0, v5, vcc
	s_cselect_b64 s[2:3], -1, 0
	v_add_co_u32_e32 v8, vcc, 8, v8
	s_andn2_b64 s[34:35], s[34:35], exec
	s_and_b64 s[38:39], s[42:43], exec
	s_andn2_b64 s[30:31], s[30:31], exec
	s_and_b64 s[2:3], s[2:3], exec
	v_addc_co_u32_e32 v9, vcc, 0, v9, vcc
	s_or_b64 s[34:35], s[34:35], s[38:39]
	s_andn2_b64 s[0:1], s[0:1], exec
	s_or_b64 s[30:31], s[30:31], s[2:3]
                                        ; implicit-def: $sgpr38_sgpr39
	s_branch .LBB1623_33
.LBB1623_36:
	s_or_b64 exec, exec, s[26:27]
	s_xor_b64 s[0:1], s[28:29], -1
	s_branch .LBB1623_38
.LBB1623_37:
	s_mov_b64 s[0:1], -1
.LBB1623_38:
	s_andn2_b64 s[2:3], s[12:13], exec
	s_and_b64 s[0:1], s[0:1], exec
	s_or_b64 s[12:13], s[2:3], s[0:1]
.LBB1623_39:
	s_or_b64 exec, exec, s[24:25]
	v_mov_b32_e32 v5, s33
	v_mov_b32_e32 v8, s9
	v_cndmask_b32_e64 v4, v15, v14, s[12:13]
	v_cndmask_b32_e64 v5, v5, v8, s[12:13]
	v_add_u32_e32 v8, 1, v4
	v_add_u32_e32 v4, -1, v5
	v_min_u32_e32 v4, v8, v4
	v_lshlrev_b32_e32 v4, 3, v4
	ds_read_b64 v[4:5], v4
	v_cndmask_b32_e64 v17, v8, v15, s[12:13]
	v_cndmask_b32_e64 v21, v14, v8, s[12:13]
	v_cmp_gt_u32_e32 vcc, s33, v17
	s_waitcnt lgkmcnt(0)
	v_cndmask_b32_e64 v10, v5, v7, s[12:13]
	v_cndmask_b32_e64 v11, v4, v6, s[12:13]
	v_cndmask_b32_e64 v12, v3, v5, s[12:13]
	v_cndmask_b32_e64 v13, v2, v4, s[12:13]
	s_and_saveexec_b64 s[24:25], vcc
	s_cbranch_execz .LBB1623_50
; %bb.40:
	v_cmp_gt_u32_e32 vcc, s9, v21
	s_mov_b64 s[0:1], 0
	s_and_saveexec_b64 s[22:23], vcc
	s_cbranch_execz .LBB1623_49
; %bb.41:
	s_andn2_b64 vcc, exec, s[6:7]
	s_cbranch_vccnz .LBB1623_47
; %bb.42:
	v_mul_lo_u32 v8, v10, s16
	v_mul_lo_u32 v9, v11, s17
	v_mad_u64_u32 v[4:5], s[0:1], v11, s16, 0
	v_add3_u32 v5, v5, v9, v8
	v_lshlrev_b64 v[4:5], 3, v[4:5]
	v_mov_b32_e32 v8, s19
	v_add_co_u32_e32 v4, vcc, s18, v4
	v_addc_co_u32_e32 v5, vcc, v8, v5, vcc
	v_mul_lo_u32 v14, v12, s16
	v_mul_lo_u32 v15, v13, s17
	v_mad_u64_u32 v[8:9], s[0:1], v13, s16, 0
	v_add3_u32 v9, v9, v15, v14
	v_lshlrev_b64 v[8:9], 3, v[8:9]
	v_mov_b32_e32 v14, s19
	v_add_co_u32_e32 v8, vcc, s18, v8
	v_addc_co_u32_e32 v9, vcc, v14, v9, vcc
	s_mov_b64 s[26:27], 0
	s_mov_b64 s[36:37], s[16:17]
                                        ; implicit-def: $sgpr28_sgpr29
                                        ; implicit-def: $sgpr30_sgpr31
                                        ; implicit-def: $sgpr0_sgpr1
                                        ; implicit-def: $sgpr34_sgpr35
                                        ; implicit-def: $sgpr38_sgpr39
	s_branch .LBB1623_44
.LBB1623_43:                            ;   in Loop: Header=BB1623_44 Depth=1
	s_or_b64 exec, exec, s[40:41]
	s_and_b64 s[2:3], exec, s[30:31]
	s_or_b64 s[26:27], s[2:3], s[26:27]
	s_andn2_b64 s[2:3], s[38:39], exec
	s_and_b64 s[38:39], s[34:35], exec
	s_or_b64 s[38:39], s[2:3], s[38:39]
	s_andn2_b64 s[2:3], s[28:29], exec
	s_and_b64 s[28:29], s[0:1], exec
	s_or_b64 s[28:29], s[2:3], s[28:29]
	s_andn2_b64 exec, exec, s[26:27]
	s_cbranch_execz .LBB1623_46
.LBB1623_44:                            ; =>This Inner Loop Header: Depth=1
	global_load_dwordx2 v[14:15], v[4:5], off
	global_load_dwordx2 v[18:19], v[8:9], off
	s_andn2_b64 s[40:41], s[0:1], exec
	s_andn2_b64 s[34:35], s[34:35], exec
	s_or_b64 s[30:31], s[30:31], exec
	s_waitcnt vmcnt(0)
	v_cmp_le_u64_e64 s[0:1], v[14:15], v[18:19]
	v_cmp_lt_u64_e32 vcc, v[14:15], v[18:19]
	s_and_b64 s[0:1], s[0:1], s[38:39]
	s_or_b64 s[42:43], vcc, s[0:1]
	s_and_b64 s[0:1], s[42:43], exec
	v_cmp_eq_u64_e64 s[2:3], v[14:15], v[18:19]
	s_or_b64 s[0:1], s[40:41], s[0:1]
	s_and_saveexec_b64 s[40:41], s[2:3]
	s_cbranch_execz .LBB1623_43
; %bb.45:                               ;   in Loop: Header=BB1623_44 Depth=1
	s_add_u32 s36, s36, -1
	s_addc_u32 s37, s37, -1
	v_add_co_u32_e32 v4, vcc, 8, v4
	s_cmp_eq_u64 s[36:37], 0
	v_addc_co_u32_e32 v5, vcc, 0, v5, vcc
	s_cselect_b64 s[2:3], -1, 0
	v_add_co_u32_e32 v8, vcc, 8, v8
	s_andn2_b64 s[34:35], s[34:35], exec
	s_and_b64 s[38:39], s[42:43], exec
	s_andn2_b64 s[30:31], s[30:31], exec
	s_and_b64 s[2:3], s[2:3], exec
	v_addc_co_u32_e32 v9, vcc, 0, v9, vcc
	s_or_b64 s[34:35], s[34:35], s[38:39]
	s_andn2_b64 s[0:1], s[0:1], exec
	s_or_b64 s[30:31], s[30:31], s[2:3]
                                        ; implicit-def: $sgpr38_sgpr39
	s_branch .LBB1623_43
.LBB1623_46:
	s_or_b64 exec, exec, s[26:27]
	s_xor_b64 s[0:1], s[28:29], -1
	s_branch .LBB1623_48
.LBB1623_47:
	s_mov_b64 s[0:1], -1
.LBB1623_48:
	s_and_b64 s[0:1], s[0:1], exec
.LBB1623_49:
	s_or_b64 exec, exec, s[22:23]
	s_orn2_b64 s[22:23], s[0:1], exec
.LBB1623_50:
	s_or_b64 exec, exec, s[24:25]
	v_mov_b32_e32 v5, s33
	v_mov_b32_e32 v8, s9
	v_cndmask_b32_e64 v4, v17, v21, s[22:23]
	v_cndmask_b32_e64 v5, v5, v8, s[22:23]
	v_add_u32_e32 v8, 1, v4
	v_add_u32_e32 v4, -1, v5
	v_min_u32_e32 v4, v8, v4
	v_lshlrev_b32_e32 v4, 3, v4
	ds_read_b64 v[4:5], v4
	v_cndmask_b32_e64 v18, v8, v17, s[22:23]
	v_cndmask_b32_e64 v17, v21, v8, s[22:23]
	v_cmp_gt_u32_e32 vcc, s33, v18
	s_mov_b64 s[0:1], -1
	s_waitcnt lgkmcnt(0)
	v_cndmask_b32_e64 v14, v5, v10, s[22:23]
	v_cndmask_b32_e64 v15, v4, v11, s[22:23]
	;; [unrolled: 1-line block ×4, first 2 shown]
	s_and_saveexec_b64 s[24:25], vcc
	s_cbranch_execz .LBB1623_61
; %bb.51:
	v_cmp_gt_u32_e32 vcc, s9, v17
	s_mov_b64 s[0:1], 0
	s_and_saveexec_b64 s[26:27], vcc
	s_cbranch_execz .LBB1623_60
; %bb.52:
	s_andn2_b64 vcc, exec, s[6:7]
	s_cbranch_vccnz .LBB1623_58
; %bb.53:
	v_mul_lo_u32 v8, v14, s16
	v_mul_lo_u32 v9, v15, s17
	v_mad_u64_u32 v[4:5], s[0:1], v15, s16, 0
	v_add3_u32 v5, v5, v9, v8
	v_lshlrev_b64 v[4:5], 3, v[4:5]
	v_mov_b32_e32 v8, s19
	v_add_co_u32_e32 v4, vcc, s18, v4
	v_addc_co_u32_e32 v5, vcc, v8, v5, vcc
	v_mul_lo_u32 v21, v19, s16
	v_mul_lo_u32 v22, v20, s17
	v_mad_u64_u32 v[8:9], s[0:1], v20, s16, 0
	v_add3_u32 v9, v9, v22, v21
	v_lshlrev_b64 v[8:9], 3, v[8:9]
	v_mov_b32_e32 v21, s19
	v_add_co_u32_e32 v8, vcc, s18, v8
	v_addc_co_u32_e32 v9, vcc, v21, v9, vcc
	s_mov_b64 s[28:29], 0
	s_mov_b64 s[38:39], s[16:17]
                                        ; implicit-def: $sgpr30_sgpr31
                                        ; implicit-def: $sgpr34_sgpr35
                                        ; implicit-def: $sgpr0_sgpr1
                                        ; implicit-def: $sgpr36_sgpr37
                                        ; implicit-def: $sgpr40_sgpr41
	s_branch .LBB1623_55
.LBB1623_54:                            ;   in Loop: Header=BB1623_55 Depth=1
	s_or_b64 exec, exec, s[42:43]
	s_and_b64 s[2:3], exec, s[34:35]
	s_or_b64 s[28:29], s[2:3], s[28:29]
	s_andn2_b64 s[2:3], s[40:41], exec
	s_and_b64 s[40:41], s[36:37], exec
	s_or_b64 s[40:41], s[2:3], s[40:41]
	s_andn2_b64 s[2:3], s[30:31], exec
	s_and_b64 s[30:31], s[0:1], exec
	s_or_b64 s[30:31], s[2:3], s[30:31]
	s_andn2_b64 exec, exec, s[28:29]
	s_cbranch_execz .LBB1623_57
.LBB1623_55:                            ; =>This Inner Loop Header: Depth=1
	global_load_dwordx2 v[22:23], v[4:5], off
	global_load_dwordx2 v[24:25], v[8:9], off
	s_andn2_b64 s[42:43], s[0:1], exec
	s_andn2_b64 s[36:37], s[36:37], exec
	s_or_b64 s[34:35], s[34:35], exec
	s_waitcnt vmcnt(0)
	v_cmp_le_u64_e64 s[0:1], v[22:23], v[24:25]
	v_cmp_lt_u64_e32 vcc, v[22:23], v[24:25]
	s_and_b64 s[0:1], s[0:1], s[40:41]
	s_or_b64 s[44:45], vcc, s[0:1]
	s_and_b64 s[0:1], s[44:45], exec
	v_cmp_eq_u64_e64 s[2:3], v[22:23], v[24:25]
	s_or_b64 s[0:1], s[42:43], s[0:1]
	s_and_saveexec_b64 s[42:43], s[2:3]
	s_cbranch_execz .LBB1623_54
; %bb.56:                               ;   in Loop: Header=BB1623_55 Depth=1
	s_add_u32 s38, s38, -1
	s_addc_u32 s39, s39, -1
	v_add_co_u32_e32 v4, vcc, 8, v4
	s_cmp_eq_u64 s[38:39], 0
	v_addc_co_u32_e32 v5, vcc, 0, v5, vcc
	s_cselect_b64 s[2:3], -1, 0
	v_add_co_u32_e32 v8, vcc, 8, v8
	s_andn2_b64 s[36:37], s[36:37], exec
	s_and_b64 s[40:41], s[44:45], exec
	s_andn2_b64 s[34:35], s[34:35], exec
	s_and_b64 s[2:3], s[2:3], exec
	v_addc_co_u32_e32 v9, vcc, 0, v9, vcc
	s_or_b64 s[36:37], s[36:37], s[40:41]
	s_andn2_b64 s[0:1], s[0:1], exec
	s_or_b64 s[34:35], s[34:35], s[2:3]
                                        ; implicit-def: $sgpr40_sgpr41
	s_branch .LBB1623_54
.LBB1623_57:
	s_or_b64 exec, exec, s[28:29]
	s_xor_b64 s[0:1], s[30:31], -1
	s_branch .LBB1623_59
.LBB1623_58:
	s_mov_b64 s[0:1], -1
.LBB1623_59:
	s_and_b64 s[0:1], s[0:1], exec
.LBB1623_60:
	s_or_b64 exec, exec, s[26:27]
	s_orn2_b64 s[0:1], s[0:1], exec
.LBB1623_61:
	s_or_b64 exec, exec, s[24:25]
	v_cndmask_b32_e64 v5, v10, v12, s[22:23]
	v_mov_b32_e32 v9, s33
	v_mov_b32_e32 v10, s9
	v_cndmask_b32_e64 v8, v18, v17, s[0:1]
	v_cndmask_b32_e64 v9, v9, v10, s[0:1]
	v_add_u32_e32 v12, 1, v8
	v_add_u32_e32 v8, -1, v9
	v_min_u32_e32 v8, v12, v8
	v_lshlrev_b32_e32 v8, 3, v8
	v_cndmask_b32_e64 v4, v11, v13, s[22:23]
	ds_read_b64 v[10:11], v8
	v_cndmask_b32_e64 v13, v12, v18, s[0:1]
	v_cndmask_b32_e64 v3, v7, v3, s[12:13]
	;; [unrolled: 1-line block ×5, first 2 shown]
	s_waitcnt lgkmcnt(0)
	v_cndmask_b32_e64 v9, v19, v11, s[0:1]
	v_cndmask_b32_e64 v8, v20, v10, s[0:1]
	v_cmp_gt_u32_e32 vcc, s33, v13
	s_and_saveexec_b64 s[12:13], vcc
	s_cbranch_execz .LBB1623_71
; %bb.62:
	v_cndmask_b32_e64 v12, v17, v12, s[0:1]
	v_cndmask_b32_e64 v11, v11, v14, s[0:1]
	;; [unrolled: 1-line block ×3, first 2 shown]
	v_cmp_gt_u32_e32 vcc, s9, v12
	s_and_saveexec_b64 s[22:23], vcc
	s_cbranch_execz .LBB1623_70
; %bb.63:
	s_andn2_b64 vcc, exec, s[6:7]
	s_cbranch_vccnz .LBB1623_69
; %bb.64:
	v_mul_lo_u32 v14, v11, s16
	v_mul_lo_u32 v15, v10, s17
	v_mad_u64_u32 v[12:13], s[0:1], v10, s16, 0
	v_add3_u32 v13, v13, v15, v14
	v_lshlrev_b64 v[12:13], 3, v[12:13]
	v_mov_b32_e32 v14, s19
	v_add_co_u32_e32 v12, vcc, s18, v12
	v_addc_co_u32_e32 v13, vcc, v14, v13, vcc
	v_mul_lo_u32 v17, v9, s16
	v_mul_lo_u32 v18, v8, s17
	v_mad_u64_u32 v[14:15], s[0:1], v8, s16, 0
	v_add3_u32 v15, v15, v18, v17
	v_lshlrev_b64 v[14:15], 3, v[14:15]
	v_mov_b32_e32 v17, s19
	v_add_co_u32_e32 v14, vcc, s18, v14
	v_addc_co_u32_e32 v15, vcc, v17, v15, vcc
	s_mov_b64 s[6:7], 0
                                        ; implicit-def: $sgpr18_sgpr19
                                        ; implicit-def: $sgpr24_sgpr25
                                        ; implicit-def: $sgpr0_sgpr1
                                        ; implicit-def: $sgpr26_sgpr27
                                        ; implicit-def: $sgpr28_sgpr29
	s_branch .LBB1623_66
.LBB1623_65:                            ;   in Loop: Header=BB1623_66 Depth=1
	s_or_b64 exec, exec, s[30:31]
	s_and_b64 s[2:3], exec, s[24:25]
	s_or_b64 s[6:7], s[2:3], s[6:7]
	s_andn2_b64 s[2:3], s[28:29], exec
	s_and_b64 s[28:29], s[26:27], exec
	s_or_b64 s[28:29], s[2:3], s[28:29]
	s_andn2_b64 s[2:3], s[18:19], exec
	s_and_b64 s[18:19], s[0:1], exec
	s_or_b64 s[18:19], s[2:3], s[18:19]
	s_andn2_b64 exec, exec, s[6:7]
	s_cbranch_execz .LBB1623_68
.LBB1623_66:                            ; =>This Inner Loop Header: Depth=1
	global_load_dwordx2 v[18:19], v[12:13], off
	global_load_dwordx2 v[20:21], v[14:15], off
	s_andn2_b64 s[30:31], s[0:1], exec
	s_andn2_b64 s[26:27], s[26:27], exec
	s_or_b64 s[24:25], s[24:25], exec
	s_waitcnt vmcnt(0)
	v_cmp_le_u64_e64 s[0:1], v[18:19], v[20:21]
	v_cmp_lt_u64_e32 vcc, v[18:19], v[20:21]
	s_and_b64 s[0:1], s[0:1], s[28:29]
	s_or_b64 s[34:35], vcc, s[0:1]
	s_and_b64 s[0:1], s[34:35], exec
	v_cmp_eq_u64_e64 s[2:3], v[18:19], v[20:21]
	s_or_b64 s[0:1], s[30:31], s[0:1]
	s_and_saveexec_b64 s[30:31], s[2:3]
	s_cbranch_execz .LBB1623_65
; %bb.67:                               ;   in Loop: Header=BB1623_66 Depth=1
	s_add_u32 s16, s16, -1
	s_addc_u32 s17, s17, -1
	v_add_co_u32_e32 v12, vcc, 8, v12
	s_cmp_eq_u64 s[16:17], 0
	v_addc_co_u32_e32 v13, vcc, 0, v13, vcc
	s_cselect_b64 s[2:3], -1, 0
	v_add_co_u32_e32 v14, vcc, 8, v14
	s_andn2_b64 s[26:27], s[26:27], exec
	s_and_b64 s[28:29], s[34:35], exec
	s_andn2_b64 s[24:25], s[24:25], exec
	s_and_b64 s[2:3], s[2:3], exec
	v_addc_co_u32_e32 v15, vcc, 0, v15, vcc
	s_or_b64 s[26:27], s[26:27], s[28:29]
	s_andn2_b64 s[0:1], s[0:1], exec
	s_or_b64 s[24:25], s[24:25], s[2:3]
                                        ; implicit-def: $sgpr28_sgpr29
	s_branch .LBB1623_65
.LBB1623_68:
	s_or_b64 exec, exec, s[6:7]
	v_cndmask_b32_e64 v9, v9, v11, s[18:19]
	v_cndmask_b32_e64 v8, v8, v10, s[18:19]
.LBB1623_69:
	v_pk_mov_b32 v[10:11], v[8:9], v[8:9] op_sel:[0,1]
.LBB1623_70:
	s_or_b64 exec, exec, s[22:23]
	v_pk_mov_b32 v[8:9], v[10:11], v[10:11] op_sel:[0,1]
.LBB1623_71:
	s_or_b64 exec, exec, s[12:13]
.LBB1623_72:
	s_or_b64 exec, exec, s[4:5]
	v_and_b32_e32 v10, 0xf8, v0
	v_lshl_add_u32 v10, v16, 3, v10
	s_barrier
	s_barrier
	ds_write2_b64 v10, v[2:3], v[4:5] offset1:1
	ds_write2_b64 v10, v[6:7], v[8:9] offset0:2 offset1:3
	v_lshrrev_b32_e32 v2, 2, v0
	v_and_b32_e32 v2, 56, v2
	v_or_b32_e32 v12, 0x100, v0
	v_add_u32_e32 v13, v1, v2
	v_lshrrev_b32_e32 v2, 2, v12
	v_and_b32_e32 v2, 0x78, v2
	v_or_b32_e32 v11, 0x200, v0
	v_add_u32_e32 v6, v1, v2
	v_lshrrev_b32_e32 v2, 2, v11
	s_lshl_b64 s[0:1], s[20:21], 3
	v_and_b32_e32 v2, 0xb8, v2
	v_or_b32_e32 v10, 0x300, v0
	s_add_u32 s0, s14, s0
	v_add_u32_e32 v7, v1, v2
	v_lshrrev_b32_e32 v2, 2, v10
	s_addc_u32 s1, s15, s1
	v_and_b32_e32 v2, 0xf8, v2
	v_add_u32_e32 v14, v1, v2
	v_mov_b32_e32 v3, s1
	v_add_co_u32_e32 v2, vcc, s0, v1
	v_addc_co_u32_e32 v3, vcc, 0, v3, vcc
	s_and_b64 vcc, exec, s[10:11]
	s_waitcnt lgkmcnt(0)
	s_cbranch_vccz .LBB1623_74
; %bb.73:
	s_barrier
	ds_read_b64 v[8:9], v13
	ds_read_b64 v[16:17], v6 offset:2048
	ds_read_b64 v[18:19], v7 offset:4096
	;; [unrolled: 1-line block ×3, first 2 shown]
	s_waitcnt lgkmcnt(3)
	global_store_dwordx2 v[2:3], v[8:9], off
	s_waitcnt lgkmcnt(2)
	global_store_dwordx2 v[2:3], v[16:17], off offset:2048
	v_add_co_u32_e32 v8, vcc, 0x1000, v2
	v_addc_co_u32_e32 v9, vcc, 0, v3, vcc
	s_waitcnt lgkmcnt(1)
	global_store_dwordx2 v[8:9], v[18:19], off
	s_mov_b64 s[0:1], -1
	s_cbranch_execz .LBB1623_75
	s_branch .LBB1623_80
.LBB1623_74:
	s_mov_b64 s[0:1], 0
                                        ; implicit-def: $vgpr4_vgpr5
.LBB1623_75:
	s_barrier
	s_waitcnt lgkmcnt(0)
	ds_read_b64 v[8:9], v6 offset:2048
	ds_read_b64 v[6:7], v7 offset:4096
	;; [unrolled: 1-line block ×3, first 2 shown]
	s_sub_i32 s2, s8, s20
	v_cmp_gt_u32_e32 vcc, s2, v0
	s_and_saveexec_b64 s[0:1], vcc
	s_cbranch_execnz .LBB1623_83
; %bb.76:
	s_or_b64 exec, exec, s[0:1]
	v_cmp_gt_u32_e32 vcc, s2, v12
	s_and_saveexec_b64 s[0:1], vcc
	s_cbranch_execnz .LBB1623_84
.LBB1623_77:
	s_or_b64 exec, exec, s[0:1]
	v_cmp_gt_u32_e32 vcc, s2, v11
	s_and_saveexec_b64 s[0:1], vcc
	s_cbranch_execz .LBB1623_79
.LBB1623_78:
	v_add_co_u32_e32 v0, vcc, 0x1000, v2
	v_addc_co_u32_e32 v1, vcc, 0, v3, vcc
	s_waitcnt lgkmcnt(1)
	global_store_dwordx2 v[0:1], v[6:7], off
.LBB1623_79:
	s_or_b64 exec, exec, s[0:1]
	v_cmp_gt_u32_e64 s[0:1], s2, v10
.LBB1623_80:
	s_and_saveexec_b64 s[2:3], s[0:1]
	s_cbranch_execz .LBB1623_82
; %bb.81:
	v_add_co_u32_e32 v0, vcc, 0x1000, v2
	v_addc_co_u32_e32 v1, vcc, 0, v3, vcc
	s_waitcnt lgkmcnt(0)
	global_store_dwordx2 v[0:1], v[4:5], off offset:2048
.LBB1623_82:
	s_endpgm
.LBB1623_83:
	ds_read_b64 v[0:1], v13
	s_waitcnt lgkmcnt(0)
	global_store_dwordx2 v[2:3], v[0:1], off
	s_or_b64 exec, exec, s[0:1]
	v_cmp_gt_u32_e32 vcc, s2, v12
	s_and_saveexec_b64 s[0:1], vcc
	s_cbranch_execz .LBB1623_77
.LBB1623_84:
	s_waitcnt lgkmcnt(2)
	global_store_dwordx2 v[2:3], v[8:9], off offset:2048
	s_or_b64 exec, exec, s[0:1]
	v_cmp_gt_u32_e32 vcc, s2, v11
	s_and_saveexec_b64 s[0:1], vcc
	s_cbranch_execnz .LBB1623_78
	s_branch .LBB1623_79
	.section	.rodata,"a",@progbits
	.p2align	6, 0x0
	.amdhsa_kernel _ZN7rocprim17ROCPRIM_400000_NS6detail17trampoline_kernelINS0_14default_configENS1_38merge_sort_block_merge_config_selectorIlNS0_10empty_typeEEEZZNS1_27merge_sort_block_merge_implIS3_PlPS5_mZN2at6native12_GLOBAL__N_124unique_dim_cuda_templateImEESt5tupleIJNSA_6TensorESF_SF_EERKSF_lbbbEUlllE_EE10hipError_tT0_T1_T2_jT3_P12ihipStream_tbPNSt15iterator_traitsISL_E10value_typeEPNSR_ISM_E10value_typeEPSN_NS1_7vsmem_tEENKUlT_SL_SM_SN_E_clIS8_S8_S9_S9_EESK_S10_SL_SM_SN_EUlS10_E0_NS1_11comp_targetILNS1_3genE4ELNS1_11target_archE910ELNS1_3gpuE8ELNS1_3repE0EEENS1_38merge_mergepath_config_static_selectorELNS0_4arch9wavefront6targetE1EEEvSM_
		.amdhsa_group_segment_fixed_size 8448
		.amdhsa_private_segment_fixed_size 0
		.amdhsa_kernarg_size 344
		.amdhsa_user_sgpr_count 6
		.amdhsa_user_sgpr_private_segment_buffer 1
		.amdhsa_user_sgpr_dispatch_ptr 0
		.amdhsa_user_sgpr_queue_ptr 0
		.amdhsa_user_sgpr_kernarg_segment_ptr 1
		.amdhsa_user_sgpr_dispatch_id 0
		.amdhsa_user_sgpr_flat_scratch_init 0
		.amdhsa_user_sgpr_kernarg_preload_length 0
		.amdhsa_user_sgpr_kernarg_preload_offset 0
		.amdhsa_user_sgpr_private_segment_size 0
		.amdhsa_uses_dynamic_stack 0
		.amdhsa_system_sgpr_private_segment_wavefront_offset 0
		.amdhsa_system_sgpr_workgroup_id_x 1
		.amdhsa_system_sgpr_workgroup_id_y 1
		.amdhsa_system_sgpr_workgroup_id_z 1
		.amdhsa_system_sgpr_workgroup_info 0
		.amdhsa_system_vgpr_workitem_id 0
		.amdhsa_next_free_vgpr 26
		.amdhsa_next_free_sgpr 46
		.amdhsa_accum_offset 28
		.amdhsa_reserve_vcc 1
		.amdhsa_reserve_flat_scratch 0
		.amdhsa_float_round_mode_32 0
		.amdhsa_float_round_mode_16_64 0
		.amdhsa_float_denorm_mode_32 3
		.amdhsa_float_denorm_mode_16_64 3
		.amdhsa_dx10_clamp 1
		.amdhsa_ieee_mode 1
		.amdhsa_fp16_overflow 0
		.amdhsa_tg_split 0
		.amdhsa_exception_fp_ieee_invalid_op 0
		.amdhsa_exception_fp_denorm_src 0
		.amdhsa_exception_fp_ieee_div_zero 0
		.amdhsa_exception_fp_ieee_overflow 0
		.amdhsa_exception_fp_ieee_underflow 0
		.amdhsa_exception_fp_ieee_inexact 0
		.amdhsa_exception_int_div_zero 0
	.end_amdhsa_kernel
	.section	.text._ZN7rocprim17ROCPRIM_400000_NS6detail17trampoline_kernelINS0_14default_configENS1_38merge_sort_block_merge_config_selectorIlNS0_10empty_typeEEEZZNS1_27merge_sort_block_merge_implIS3_PlPS5_mZN2at6native12_GLOBAL__N_124unique_dim_cuda_templateImEESt5tupleIJNSA_6TensorESF_SF_EERKSF_lbbbEUlllE_EE10hipError_tT0_T1_T2_jT3_P12ihipStream_tbPNSt15iterator_traitsISL_E10value_typeEPNSR_ISM_E10value_typeEPSN_NS1_7vsmem_tEENKUlT_SL_SM_SN_E_clIS8_S8_S9_S9_EESK_S10_SL_SM_SN_EUlS10_E0_NS1_11comp_targetILNS1_3genE4ELNS1_11target_archE910ELNS1_3gpuE8ELNS1_3repE0EEENS1_38merge_mergepath_config_static_selectorELNS0_4arch9wavefront6targetE1EEEvSM_,"axG",@progbits,_ZN7rocprim17ROCPRIM_400000_NS6detail17trampoline_kernelINS0_14default_configENS1_38merge_sort_block_merge_config_selectorIlNS0_10empty_typeEEEZZNS1_27merge_sort_block_merge_implIS3_PlPS5_mZN2at6native12_GLOBAL__N_124unique_dim_cuda_templateImEESt5tupleIJNSA_6TensorESF_SF_EERKSF_lbbbEUlllE_EE10hipError_tT0_T1_T2_jT3_P12ihipStream_tbPNSt15iterator_traitsISL_E10value_typeEPNSR_ISM_E10value_typeEPSN_NS1_7vsmem_tEENKUlT_SL_SM_SN_E_clIS8_S8_S9_S9_EESK_S10_SL_SM_SN_EUlS10_E0_NS1_11comp_targetILNS1_3genE4ELNS1_11target_archE910ELNS1_3gpuE8ELNS1_3repE0EEENS1_38merge_mergepath_config_static_selectorELNS0_4arch9wavefront6targetE1EEEvSM_,comdat
.Lfunc_end1623:
	.size	_ZN7rocprim17ROCPRIM_400000_NS6detail17trampoline_kernelINS0_14default_configENS1_38merge_sort_block_merge_config_selectorIlNS0_10empty_typeEEEZZNS1_27merge_sort_block_merge_implIS3_PlPS5_mZN2at6native12_GLOBAL__N_124unique_dim_cuda_templateImEESt5tupleIJNSA_6TensorESF_SF_EERKSF_lbbbEUlllE_EE10hipError_tT0_T1_T2_jT3_P12ihipStream_tbPNSt15iterator_traitsISL_E10value_typeEPNSR_ISM_E10value_typeEPSN_NS1_7vsmem_tEENKUlT_SL_SM_SN_E_clIS8_S8_S9_S9_EESK_S10_SL_SM_SN_EUlS10_E0_NS1_11comp_targetILNS1_3genE4ELNS1_11target_archE910ELNS1_3gpuE8ELNS1_3repE0EEENS1_38merge_mergepath_config_static_selectorELNS0_4arch9wavefront6targetE1EEEvSM_, .Lfunc_end1623-_ZN7rocprim17ROCPRIM_400000_NS6detail17trampoline_kernelINS0_14default_configENS1_38merge_sort_block_merge_config_selectorIlNS0_10empty_typeEEEZZNS1_27merge_sort_block_merge_implIS3_PlPS5_mZN2at6native12_GLOBAL__N_124unique_dim_cuda_templateImEESt5tupleIJNSA_6TensorESF_SF_EERKSF_lbbbEUlllE_EE10hipError_tT0_T1_T2_jT3_P12ihipStream_tbPNSt15iterator_traitsISL_E10value_typeEPNSR_ISM_E10value_typeEPSN_NS1_7vsmem_tEENKUlT_SL_SM_SN_E_clIS8_S8_S9_S9_EESK_S10_SL_SM_SN_EUlS10_E0_NS1_11comp_targetILNS1_3genE4ELNS1_11target_archE910ELNS1_3gpuE8ELNS1_3repE0EEENS1_38merge_mergepath_config_static_selectorELNS0_4arch9wavefront6targetE1EEEvSM_
                                        ; -- End function
	.section	.AMDGPU.csdata,"",@progbits
; Kernel info:
; codeLenInByte = 4044
; NumSgprs: 50
; NumVgprs: 26
; NumAgprs: 0
; TotalNumVgprs: 26
; ScratchSize: 0
; MemoryBound: 0
; FloatMode: 240
; IeeeMode: 1
; LDSByteSize: 8448 bytes/workgroup (compile time only)
; SGPRBlocks: 6
; VGPRBlocks: 3
; NumSGPRsForWavesPerEU: 50
; NumVGPRsForWavesPerEU: 26
; AccumOffset: 28
; Occupancy: 7
; WaveLimiterHint : 1
; COMPUTE_PGM_RSRC2:SCRATCH_EN: 0
; COMPUTE_PGM_RSRC2:USER_SGPR: 6
; COMPUTE_PGM_RSRC2:TRAP_HANDLER: 0
; COMPUTE_PGM_RSRC2:TGID_X_EN: 1
; COMPUTE_PGM_RSRC2:TGID_Y_EN: 1
; COMPUTE_PGM_RSRC2:TGID_Z_EN: 1
; COMPUTE_PGM_RSRC2:TIDIG_COMP_CNT: 0
; COMPUTE_PGM_RSRC3_GFX90A:ACCUM_OFFSET: 6
; COMPUTE_PGM_RSRC3_GFX90A:TG_SPLIT: 0
	.section	.text._ZN7rocprim17ROCPRIM_400000_NS6detail17trampoline_kernelINS0_14default_configENS1_38merge_sort_block_merge_config_selectorIlNS0_10empty_typeEEEZZNS1_27merge_sort_block_merge_implIS3_PlPS5_mZN2at6native12_GLOBAL__N_124unique_dim_cuda_templateImEESt5tupleIJNSA_6TensorESF_SF_EERKSF_lbbbEUlllE_EE10hipError_tT0_T1_T2_jT3_P12ihipStream_tbPNSt15iterator_traitsISL_E10value_typeEPNSR_ISM_E10value_typeEPSN_NS1_7vsmem_tEENKUlT_SL_SM_SN_E_clIS8_S8_S9_S9_EESK_S10_SL_SM_SN_EUlS10_E0_NS1_11comp_targetILNS1_3genE3ELNS1_11target_archE908ELNS1_3gpuE7ELNS1_3repE0EEENS1_38merge_mergepath_config_static_selectorELNS0_4arch9wavefront6targetE1EEEvSM_,"axG",@progbits,_ZN7rocprim17ROCPRIM_400000_NS6detail17trampoline_kernelINS0_14default_configENS1_38merge_sort_block_merge_config_selectorIlNS0_10empty_typeEEEZZNS1_27merge_sort_block_merge_implIS3_PlPS5_mZN2at6native12_GLOBAL__N_124unique_dim_cuda_templateImEESt5tupleIJNSA_6TensorESF_SF_EERKSF_lbbbEUlllE_EE10hipError_tT0_T1_T2_jT3_P12ihipStream_tbPNSt15iterator_traitsISL_E10value_typeEPNSR_ISM_E10value_typeEPSN_NS1_7vsmem_tEENKUlT_SL_SM_SN_E_clIS8_S8_S9_S9_EESK_S10_SL_SM_SN_EUlS10_E0_NS1_11comp_targetILNS1_3genE3ELNS1_11target_archE908ELNS1_3gpuE7ELNS1_3repE0EEENS1_38merge_mergepath_config_static_selectorELNS0_4arch9wavefront6targetE1EEEvSM_,comdat
	.globl	_ZN7rocprim17ROCPRIM_400000_NS6detail17trampoline_kernelINS0_14default_configENS1_38merge_sort_block_merge_config_selectorIlNS0_10empty_typeEEEZZNS1_27merge_sort_block_merge_implIS3_PlPS5_mZN2at6native12_GLOBAL__N_124unique_dim_cuda_templateImEESt5tupleIJNSA_6TensorESF_SF_EERKSF_lbbbEUlllE_EE10hipError_tT0_T1_T2_jT3_P12ihipStream_tbPNSt15iterator_traitsISL_E10value_typeEPNSR_ISM_E10value_typeEPSN_NS1_7vsmem_tEENKUlT_SL_SM_SN_E_clIS8_S8_S9_S9_EESK_S10_SL_SM_SN_EUlS10_E0_NS1_11comp_targetILNS1_3genE3ELNS1_11target_archE908ELNS1_3gpuE7ELNS1_3repE0EEENS1_38merge_mergepath_config_static_selectorELNS0_4arch9wavefront6targetE1EEEvSM_ ; -- Begin function _ZN7rocprim17ROCPRIM_400000_NS6detail17trampoline_kernelINS0_14default_configENS1_38merge_sort_block_merge_config_selectorIlNS0_10empty_typeEEEZZNS1_27merge_sort_block_merge_implIS3_PlPS5_mZN2at6native12_GLOBAL__N_124unique_dim_cuda_templateImEESt5tupleIJNSA_6TensorESF_SF_EERKSF_lbbbEUlllE_EE10hipError_tT0_T1_T2_jT3_P12ihipStream_tbPNSt15iterator_traitsISL_E10value_typeEPNSR_ISM_E10value_typeEPSN_NS1_7vsmem_tEENKUlT_SL_SM_SN_E_clIS8_S8_S9_S9_EESK_S10_SL_SM_SN_EUlS10_E0_NS1_11comp_targetILNS1_3genE3ELNS1_11target_archE908ELNS1_3gpuE7ELNS1_3repE0EEENS1_38merge_mergepath_config_static_selectorELNS0_4arch9wavefront6targetE1EEEvSM_
	.p2align	8
	.type	_ZN7rocprim17ROCPRIM_400000_NS6detail17trampoline_kernelINS0_14default_configENS1_38merge_sort_block_merge_config_selectorIlNS0_10empty_typeEEEZZNS1_27merge_sort_block_merge_implIS3_PlPS5_mZN2at6native12_GLOBAL__N_124unique_dim_cuda_templateImEESt5tupleIJNSA_6TensorESF_SF_EERKSF_lbbbEUlllE_EE10hipError_tT0_T1_T2_jT3_P12ihipStream_tbPNSt15iterator_traitsISL_E10value_typeEPNSR_ISM_E10value_typeEPSN_NS1_7vsmem_tEENKUlT_SL_SM_SN_E_clIS8_S8_S9_S9_EESK_S10_SL_SM_SN_EUlS10_E0_NS1_11comp_targetILNS1_3genE3ELNS1_11target_archE908ELNS1_3gpuE7ELNS1_3repE0EEENS1_38merge_mergepath_config_static_selectorELNS0_4arch9wavefront6targetE1EEEvSM_,@function
_ZN7rocprim17ROCPRIM_400000_NS6detail17trampoline_kernelINS0_14default_configENS1_38merge_sort_block_merge_config_selectorIlNS0_10empty_typeEEEZZNS1_27merge_sort_block_merge_implIS3_PlPS5_mZN2at6native12_GLOBAL__N_124unique_dim_cuda_templateImEESt5tupleIJNSA_6TensorESF_SF_EERKSF_lbbbEUlllE_EE10hipError_tT0_T1_T2_jT3_P12ihipStream_tbPNSt15iterator_traitsISL_E10value_typeEPNSR_ISM_E10value_typeEPSN_NS1_7vsmem_tEENKUlT_SL_SM_SN_E_clIS8_S8_S9_S9_EESK_S10_SL_SM_SN_EUlS10_E0_NS1_11comp_targetILNS1_3genE3ELNS1_11target_archE908ELNS1_3gpuE7ELNS1_3repE0EEENS1_38merge_mergepath_config_static_selectorELNS0_4arch9wavefront6targetE1EEEvSM_: ; @_ZN7rocprim17ROCPRIM_400000_NS6detail17trampoline_kernelINS0_14default_configENS1_38merge_sort_block_merge_config_selectorIlNS0_10empty_typeEEEZZNS1_27merge_sort_block_merge_implIS3_PlPS5_mZN2at6native12_GLOBAL__N_124unique_dim_cuda_templateImEESt5tupleIJNSA_6TensorESF_SF_EERKSF_lbbbEUlllE_EE10hipError_tT0_T1_T2_jT3_P12ihipStream_tbPNSt15iterator_traitsISL_E10value_typeEPNSR_ISM_E10value_typeEPSN_NS1_7vsmem_tEENKUlT_SL_SM_SN_E_clIS8_S8_S9_S9_EESK_S10_SL_SM_SN_EUlS10_E0_NS1_11comp_targetILNS1_3genE3ELNS1_11target_archE908ELNS1_3gpuE7ELNS1_3repE0EEENS1_38merge_mergepath_config_static_selectorELNS0_4arch9wavefront6targetE1EEEvSM_
; %bb.0:
	.section	.rodata,"a",@progbits
	.p2align	6, 0x0
	.amdhsa_kernel _ZN7rocprim17ROCPRIM_400000_NS6detail17trampoline_kernelINS0_14default_configENS1_38merge_sort_block_merge_config_selectorIlNS0_10empty_typeEEEZZNS1_27merge_sort_block_merge_implIS3_PlPS5_mZN2at6native12_GLOBAL__N_124unique_dim_cuda_templateImEESt5tupleIJNSA_6TensorESF_SF_EERKSF_lbbbEUlllE_EE10hipError_tT0_T1_T2_jT3_P12ihipStream_tbPNSt15iterator_traitsISL_E10value_typeEPNSR_ISM_E10value_typeEPSN_NS1_7vsmem_tEENKUlT_SL_SM_SN_E_clIS8_S8_S9_S9_EESK_S10_SL_SM_SN_EUlS10_E0_NS1_11comp_targetILNS1_3genE3ELNS1_11target_archE908ELNS1_3gpuE7ELNS1_3repE0EEENS1_38merge_mergepath_config_static_selectorELNS0_4arch9wavefront6targetE1EEEvSM_
		.amdhsa_group_segment_fixed_size 0
		.amdhsa_private_segment_fixed_size 0
		.amdhsa_kernarg_size 88
		.amdhsa_user_sgpr_count 6
		.amdhsa_user_sgpr_private_segment_buffer 1
		.amdhsa_user_sgpr_dispatch_ptr 0
		.amdhsa_user_sgpr_queue_ptr 0
		.amdhsa_user_sgpr_kernarg_segment_ptr 1
		.amdhsa_user_sgpr_dispatch_id 0
		.amdhsa_user_sgpr_flat_scratch_init 0
		.amdhsa_user_sgpr_kernarg_preload_length 0
		.amdhsa_user_sgpr_kernarg_preload_offset 0
		.amdhsa_user_sgpr_private_segment_size 0
		.amdhsa_uses_dynamic_stack 0
		.amdhsa_system_sgpr_private_segment_wavefront_offset 0
		.amdhsa_system_sgpr_workgroup_id_x 1
		.amdhsa_system_sgpr_workgroup_id_y 0
		.amdhsa_system_sgpr_workgroup_id_z 0
		.amdhsa_system_sgpr_workgroup_info 0
		.amdhsa_system_vgpr_workitem_id 0
		.amdhsa_next_free_vgpr 1
		.amdhsa_next_free_sgpr 0
		.amdhsa_accum_offset 4
		.amdhsa_reserve_vcc 0
		.amdhsa_reserve_flat_scratch 0
		.amdhsa_float_round_mode_32 0
		.amdhsa_float_round_mode_16_64 0
		.amdhsa_float_denorm_mode_32 3
		.amdhsa_float_denorm_mode_16_64 3
		.amdhsa_dx10_clamp 1
		.amdhsa_ieee_mode 1
		.amdhsa_fp16_overflow 0
		.amdhsa_tg_split 0
		.amdhsa_exception_fp_ieee_invalid_op 0
		.amdhsa_exception_fp_denorm_src 0
		.amdhsa_exception_fp_ieee_div_zero 0
		.amdhsa_exception_fp_ieee_overflow 0
		.amdhsa_exception_fp_ieee_underflow 0
		.amdhsa_exception_fp_ieee_inexact 0
		.amdhsa_exception_int_div_zero 0
	.end_amdhsa_kernel
	.section	.text._ZN7rocprim17ROCPRIM_400000_NS6detail17trampoline_kernelINS0_14default_configENS1_38merge_sort_block_merge_config_selectorIlNS0_10empty_typeEEEZZNS1_27merge_sort_block_merge_implIS3_PlPS5_mZN2at6native12_GLOBAL__N_124unique_dim_cuda_templateImEESt5tupleIJNSA_6TensorESF_SF_EERKSF_lbbbEUlllE_EE10hipError_tT0_T1_T2_jT3_P12ihipStream_tbPNSt15iterator_traitsISL_E10value_typeEPNSR_ISM_E10value_typeEPSN_NS1_7vsmem_tEENKUlT_SL_SM_SN_E_clIS8_S8_S9_S9_EESK_S10_SL_SM_SN_EUlS10_E0_NS1_11comp_targetILNS1_3genE3ELNS1_11target_archE908ELNS1_3gpuE7ELNS1_3repE0EEENS1_38merge_mergepath_config_static_selectorELNS0_4arch9wavefront6targetE1EEEvSM_,"axG",@progbits,_ZN7rocprim17ROCPRIM_400000_NS6detail17trampoline_kernelINS0_14default_configENS1_38merge_sort_block_merge_config_selectorIlNS0_10empty_typeEEEZZNS1_27merge_sort_block_merge_implIS3_PlPS5_mZN2at6native12_GLOBAL__N_124unique_dim_cuda_templateImEESt5tupleIJNSA_6TensorESF_SF_EERKSF_lbbbEUlllE_EE10hipError_tT0_T1_T2_jT3_P12ihipStream_tbPNSt15iterator_traitsISL_E10value_typeEPNSR_ISM_E10value_typeEPSN_NS1_7vsmem_tEENKUlT_SL_SM_SN_E_clIS8_S8_S9_S9_EESK_S10_SL_SM_SN_EUlS10_E0_NS1_11comp_targetILNS1_3genE3ELNS1_11target_archE908ELNS1_3gpuE7ELNS1_3repE0EEENS1_38merge_mergepath_config_static_selectorELNS0_4arch9wavefront6targetE1EEEvSM_,comdat
.Lfunc_end1624:
	.size	_ZN7rocprim17ROCPRIM_400000_NS6detail17trampoline_kernelINS0_14default_configENS1_38merge_sort_block_merge_config_selectorIlNS0_10empty_typeEEEZZNS1_27merge_sort_block_merge_implIS3_PlPS5_mZN2at6native12_GLOBAL__N_124unique_dim_cuda_templateImEESt5tupleIJNSA_6TensorESF_SF_EERKSF_lbbbEUlllE_EE10hipError_tT0_T1_T2_jT3_P12ihipStream_tbPNSt15iterator_traitsISL_E10value_typeEPNSR_ISM_E10value_typeEPSN_NS1_7vsmem_tEENKUlT_SL_SM_SN_E_clIS8_S8_S9_S9_EESK_S10_SL_SM_SN_EUlS10_E0_NS1_11comp_targetILNS1_3genE3ELNS1_11target_archE908ELNS1_3gpuE7ELNS1_3repE0EEENS1_38merge_mergepath_config_static_selectorELNS0_4arch9wavefront6targetE1EEEvSM_, .Lfunc_end1624-_ZN7rocprim17ROCPRIM_400000_NS6detail17trampoline_kernelINS0_14default_configENS1_38merge_sort_block_merge_config_selectorIlNS0_10empty_typeEEEZZNS1_27merge_sort_block_merge_implIS3_PlPS5_mZN2at6native12_GLOBAL__N_124unique_dim_cuda_templateImEESt5tupleIJNSA_6TensorESF_SF_EERKSF_lbbbEUlllE_EE10hipError_tT0_T1_T2_jT3_P12ihipStream_tbPNSt15iterator_traitsISL_E10value_typeEPNSR_ISM_E10value_typeEPSN_NS1_7vsmem_tEENKUlT_SL_SM_SN_E_clIS8_S8_S9_S9_EESK_S10_SL_SM_SN_EUlS10_E0_NS1_11comp_targetILNS1_3genE3ELNS1_11target_archE908ELNS1_3gpuE7ELNS1_3repE0EEENS1_38merge_mergepath_config_static_selectorELNS0_4arch9wavefront6targetE1EEEvSM_
                                        ; -- End function
	.section	.AMDGPU.csdata,"",@progbits
; Kernel info:
; codeLenInByte = 0
; NumSgprs: 4
; NumVgprs: 0
; NumAgprs: 0
; TotalNumVgprs: 0
; ScratchSize: 0
; MemoryBound: 0
; FloatMode: 240
; IeeeMode: 1
; LDSByteSize: 0 bytes/workgroup (compile time only)
; SGPRBlocks: 0
; VGPRBlocks: 0
; NumSGPRsForWavesPerEU: 4
; NumVGPRsForWavesPerEU: 1
; AccumOffset: 4
; Occupancy: 8
; WaveLimiterHint : 0
; COMPUTE_PGM_RSRC2:SCRATCH_EN: 0
; COMPUTE_PGM_RSRC2:USER_SGPR: 6
; COMPUTE_PGM_RSRC2:TRAP_HANDLER: 0
; COMPUTE_PGM_RSRC2:TGID_X_EN: 1
; COMPUTE_PGM_RSRC2:TGID_Y_EN: 0
; COMPUTE_PGM_RSRC2:TGID_Z_EN: 0
; COMPUTE_PGM_RSRC2:TIDIG_COMP_CNT: 0
; COMPUTE_PGM_RSRC3_GFX90A:ACCUM_OFFSET: 0
; COMPUTE_PGM_RSRC3_GFX90A:TG_SPLIT: 0
	.section	.text._ZN7rocprim17ROCPRIM_400000_NS6detail17trampoline_kernelINS0_14default_configENS1_38merge_sort_block_merge_config_selectorIlNS0_10empty_typeEEEZZNS1_27merge_sort_block_merge_implIS3_PlPS5_mZN2at6native12_GLOBAL__N_124unique_dim_cuda_templateImEESt5tupleIJNSA_6TensorESF_SF_EERKSF_lbbbEUlllE_EE10hipError_tT0_T1_T2_jT3_P12ihipStream_tbPNSt15iterator_traitsISL_E10value_typeEPNSR_ISM_E10value_typeEPSN_NS1_7vsmem_tEENKUlT_SL_SM_SN_E_clIS8_S8_S9_S9_EESK_S10_SL_SM_SN_EUlS10_E0_NS1_11comp_targetILNS1_3genE2ELNS1_11target_archE906ELNS1_3gpuE6ELNS1_3repE0EEENS1_38merge_mergepath_config_static_selectorELNS0_4arch9wavefront6targetE1EEEvSM_,"axG",@progbits,_ZN7rocprim17ROCPRIM_400000_NS6detail17trampoline_kernelINS0_14default_configENS1_38merge_sort_block_merge_config_selectorIlNS0_10empty_typeEEEZZNS1_27merge_sort_block_merge_implIS3_PlPS5_mZN2at6native12_GLOBAL__N_124unique_dim_cuda_templateImEESt5tupleIJNSA_6TensorESF_SF_EERKSF_lbbbEUlllE_EE10hipError_tT0_T1_T2_jT3_P12ihipStream_tbPNSt15iterator_traitsISL_E10value_typeEPNSR_ISM_E10value_typeEPSN_NS1_7vsmem_tEENKUlT_SL_SM_SN_E_clIS8_S8_S9_S9_EESK_S10_SL_SM_SN_EUlS10_E0_NS1_11comp_targetILNS1_3genE2ELNS1_11target_archE906ELNS1_3gpuE6ELNS1_3repE0EEENS1_38merge_mergepath_config_static_selectorELNS0_4arch9wavefront6targetE1EEEvSM_,comdat
	.globl	_ZN7rocprim17ROCPRIM_400000_NS6detail17trampoline_kernelINS0_14default_configENS1_38merge_sort_block_merge_config_selectorIlNS0_10empty_typeEEEZZNS1_27merge_sort_block_merge_implIS3_PlPS5_mZN2at6native12_GLOBAL__N_124unique_dim_cuda_templateImEESt5tupleIJNSA_6TensorESF_SF_EERKSF_lbbbEUlllE_EE10hipError_tT0_T1_T2_jT3_P12ihipStream_tbPNSt15iterator_traitsISL_E10value_typeEPNSR_ISM_E10value_typeEPSN_NS1_7vsmem_tEENKUlT_SL_SM_SN_E_clIS8_S8_S9_S9_EESK_S10_SL_SM_SN_EUlS10_E0_NS1_11comp_targetILNS1_3genE2ELNS1_11target_archE906ELNS1_3gpuE6ELNS1_3repE0EEENS1_38merge_mergepath_config_static_selectorELNS0_4arch9wavefront6targetE1EEEvSM_ ; -- Begin function _ZN7rocprim17ROCPRIM_400000_NS6detail17trampoline_kernelINS0_14default_configENS1_38merge_sort_block_merge_config_selectorIlNS0_10empty_typeEEEZZNS1_27merge_sort_block_merge_implIS3_PlPS5_mZN2at6native12_GLOBAL__N_124unique_dim_cuda_templateImEESt5tupleIJNSA_6TensorESF_SF_EERKSF_lbbbEUlllE_EE10hipError_tT0_T1_T2_jT3_P12ihipStream_tbPNSt15iterator_traitsISL_E10value_typeEPNSR_ISM_E10value_typeEPSN_NS1_7vsmem_tEENKUlT_SL_SM_SN_E_clIS8_S8_S9_S9_EESK_S10_SL_SM_SN_EUlS10_E0_NS1_11comp_targetILNS1_3genE2ELNS1_11target_archE906ELNS1_3gpuE6ELNS1_3repE0EEENS1_38merge_mergepath_config_static_selectorELNS0_4arch9wavefront6targetE1EEEvSM_
	.p2align	8
	.type	_ZN7rocprim17ROCPRIM_400000_NS6detail17trampoline_kernelINS0_14default_configENS1_38merge_sort_block_merge_config_selectorIlNS0_10empty_typeEEEZZNS1_27merge_sort_block_merge_implIS3_PlPS5_mZN2at6native12_GLOBAL__N_124unique_dim_cuda_templateImEESt5tupleIJNSA_6TensorESF_SF_EERKSF_lbbbEUlllE_EE10hipError_tT0_T1_T2_jT3_P12ihipStream_tbPNSt15iterator_traitsISL_E10value_typeEPNSR_ISM_E10value_typeEPSN_NS1_7vsmem_tEENKUlT_SL_SM_SN_E_clIS8_S8_S9_S9_EESK_S10_SL_SM_SN_EUlS10_E0_NS1_11comp_targetILNS1_3genE2ELNS1_11target_archE906ELNS1_3gpuE6ELNS1_3repE0EEENS1_38merge_mergepath_config_static_selectorELNS0_4arch9wavefront6targetE1EEEvSM_,@function
_ZN7rocprim17ROCPRIM_400000_NS6detail17trampoline_kernelINS0_14default_configENS1_38merge_sort_block_merge_config_selectorIlNS0_10empty_typeEEEZZNS1_27merge_sort_block_merge_implIS3_PlPS5_mZN2at6native12_GLOBAL__N_124unique_dim_cuda_templateImEESt5tupleIJNSA_6TensorESF_SF_EERKSF_lbbbEUlllE_EE10hipError_tT0_T1_T2_jT3_P12ihipStream_tbPNSt15iterator_traitsISL_E10value_typeEPNSR_ISM_E10value_typeEPSN_NS1_7vsmem_tEENKUlT_SL_SM_SN_E_clIS8_S8_S9_S9_EESK_S10_SL_SM_SN_EUlS10_E0_NS1_11comp_targetILNS1_3genE2ELNS1_11target_archE906ELNS1_3gpuE6ELNS1_3repE0EEENS1_38merge_mergepath_config_static_selectorELNS0_4arch9wavefront6targetE1EEEvSM_: ; @_ZN7rocprim17ROCPRIM_400000_NS6detail17trampoline_kernelINS0_14default_configENS1_38merge_sort_block_merge_config_selectorIlNS0_10empty_typeEEEZZNS1_27merge_sort_block_merge_implIS3_PlPS5_mZN2at6native12_GLOBAL__N_124unique_dim_cuda_templateImEESt5tupleIJNSA_6TensorESF_SF_EERKSF_lbbbEUlllE_EE10hipError_tT0_T1_T2_jT3_P12ihipStream_tbPNSt15iterator_traitsISL_E10value_typeEPNSR_ISM_E10value_typeEPSN_NS1_7vsmem_tEENKUlT_SL_SM_SN_E_clIS8_S8_S9_S9_EESK_S10_SL_SM_SN_EUlS10_E0_NS1_11comp_targetILNS1_3genE2ELNS1_11target_archE906ELNS1_3gpuE6ELNS1_3repE0EEENS1_38merge_mergepath_config_static_selectorELNS0_4arch9wavefront6targetE1EEEvSM_
; %bb.0:
	.section	.rodata,"a",@progbits
	.p2align	6, 0x0
	.amdhsa_kernel _ZN7rocprim17ROCPRIM_400000_NS6detail17trampoline_kernelINS0_14default_configENS1_38merge_sort_block_merge_config_selectorIlNS0_10empty_typeEEEZZNS1_27merge_sort_block_merge_implIS3_PlPS5_mZN2at6native12_GLOBAL__N_124unique_dim_cuda_templateImEESt5tupleIJNSA_6TensorESF_SF_EERKSF_lbbbEUlllE_EE10hipError_tT0_T1_T2_jT3_P12ihipStream_tbPNSt15iterator_traitsISL_E10value_typeEPNSR_ISM_E10value_typeEPSN_NS1_7vsmem_tEENKUlT_SL_SM_SN_E_clIS8_S8_S9_S9_EESK_S10_SL_SM_SN_EUlS10_E0_NS1_11comp_targetILNS1_3genE2ELNS1_11target_archE906ELNS1_3gpuE6ELNS1_3repE0EEENS1_38merge_mergepath_config_static_selectorELNS0_4arch9wavefront6targetE1EEEvSM_
		.amdhsa_group_segment_fixed_size 0
		.amdhsa_private_segment_fixed_size 0
		.amdhsa_kernarg_size 88
		.amdhsa_user_sgpr_count 6
		.amdhsa_user_sgpr_private_segment_buffer 1
		.amdhsa_user_sgpr_dispatch_ptr 0
		.amdhsa_user_sgpr_queue_ptr 0
		.amdhsa_user_sgpr_kernarg_segment_ptr 1
		.amdhsa_user_sgpr_dispatch_id 0
		.amdhsa_user_sgpr_flat_scratch_init 0
		.amdhsa_user_sgpr_kernarg_preload_length 0
		.amdhsa_user_sgpr_kernarg_preload_offset 0
		.amdhsa_user_sgpr_private_segment_size 0
		.amdhsa_uses_dynamic_stack 0
		.amdhsa_system_sgpr_private_segment_wavefront_offset 0
		.amdhsa_system_sgpr_workgroup_id_x 1
		.amdhsa_system_sgpr_workgroup_id_y 0
		.amdhsa_system_sgpr_workgroup_id_z 0
		.amdhsa_system_sgpr_workgroup_info 0
		.amdhsa_system_vgpr_workitem_id 0
		.amdhsa_next_free_vgpr 1
		.amdhsa_next_free_sgpr 0
		.amdhsa_accum_offset 4
		.amdhsa_reserve_vcc 0
		.amdhsa_reserve_flat_scratch 0
		.amdhsa_float_round_mode_32 0
		.amdhsa_float_round_mode_16_64 0
		.amdhsa_float_denorm_mode_32 3
		.amdhsa_float_denorm_mode_16_64 3
		.amdhsa_dx10_clamp 1
		.amdhsa_ieee_mode 1
		.amdhsa_fp16_overflow 0
		.amdhsa_tg_split 0
		.amdhsa_exception_fp_ieee_invalid_op 0
		.amdhsa_exception_fp_denorm_src 0
		.amdhsa_exception_fp_ieee_div_zero 0
		.amdhsa_exception_fp_ieee_overflow 0
		.amdhsa_exception_fp_ieee_underflow 0
		.amdhsa_exception_fp_ieee_inexact 0
		.amdhsa_exception_int_div_zero 0
	.end_amdhsa_kernel
	.section	.text._ZN7rocprim17ROCPRIM_400000_NS6detail17trampoline_kernelINS0_14default_configENS1_38merge_sort_block_merge_config_selectorIlNS0_10empty_typeEEEZZNS1_27merge_sort_block_merge_implIS3_PlPS5_mZN2at6native12_GLOBAL__N_124unique_dim_cuda_templateImEESt5tupleIJNSA_6TensorESF_SF_EERKSF_lbbbEUlllE_EE10hipError_tT0_T1_T2_jT3_P12ihipStream_tbPNSt15iterator_traitsISL_E10value_typeEPNSR_ISM_E10value_typeEPSN_NS1_7vsmem_tEENKUlT_SL_SM_SN_E_clIS8_S8_S9_S9_EESK_S10_SL_SM_SN_EUlS10_E0_NS1_11comp_targetILNS1_3genE2ELNS1_11target_archE906ELNS1_3gpuE6ELNS1_3repE0EEENS1_38merge_mergepath_config_static_selectorELNS0_4arch9wavefront6targetE1EEEvSM_,"axG",@progbits,_ZN7rocprim17ROCPRIM_400000_NS6detail17trampoline_kernelINS0_14default_configENS1_38merge_sort_block_merge_config_selectorIlNS0_10empty_typeEEEZZNS1_27merge_sort_block_merge_implIS3_PlPS5_mZN2at6native12_GLOBAL__N_124unique_dim_cuda_templateImEESt5tupleIJNSA_6TensorESF_SF_EERKSF_lbbbEUlllE_EE10hipError_tT0_T1_T2_jT3_P12ihipStream_tbPNSt15iterator_traitsISL_E10value_typeEPNSR_ISM_E10value_typeEPSN_NS1_7vsmem_tEENKUlT_SL_SM_SN_E_clIS8_S8_S9_S9_EESK_S10_SL_SM_SN_EUlS10_E0_NS1_11comp_targetILNS1_3genE2ELNS1_11target_archE906ELNS1_3gpuE6ELNS1_3repE0EEENS1_38merge_mergepath_config_static_selectorELNS0_4arch9wavefront6targetE1EEEvSM_,comdat
.Lfunc_end1625:
	.size	_ZN7rocprim17ROCPRIM_400000_NS6detail17trampoline_kernelINS0_14default_configENS1_38merge_sort_block_merge_config_selectorIlNS0_10empty_typeEEEZZNS1_27merge_sort_block_merge_implIS3_PlPS5_mZN2at6native12_GLOBAL__N_124unique_dim_cuda_templateImEESt5tupleIJNSA_6TensorESF_SF_EERKSF_lbbbEUlllE_EE10hipError_tT0_T1_T2_jT3_P12ihipStream_tbPNSt15iterator_traitsISL_E10value_typeEPNSR_ISM_E10value_typeEPSN_NS1_7vsmem_tEENKUlT_SL_SM_SN_E_clIS8_S8_S9_S9_EESK_S10_SL_SM_SN_EUlS10_E0_NS1_11comp_targetILNS1_3genE2ELNS1_11target_archE906ELNS1_3gpuE6ELNS1_3repE0EEENS1_38merge_mergepath_config_static_selectorELNS0_4arch9wavefront6targetE1EEEvSM_, .Lfunc_end1625-_ZN7rocprim17ROCPRIM_400000_NS6detail17trampoline_kernelINS0_14default_configENS1_38merge_sort_block_merge_config_selectorIlNS0_10empty_typeEEEZZNS1_27merge_sort_block_merge_implIS3_PlPS5_mZN2at6native12_GLOBAL__N_124unique_dim_cuda_templateImEESt5tupleIJNSA_6TensorESF_SF_EERKSF_lbbbEUlllE_EE10hipError_tT0_T1_T2_jT3_P12ihipStream_tbPNSt15iterator_traitsISL_E10value_typeEPNSR_ISM_E10value_typeEPSN_NS1_7vsmem_tEENKUlT_SL_SM_SN_E_clIS8_S8_S9_S9_EESK_S10_SL_SM_SN_EUlS10_E0_NS1_11comp_targetILNS1_3genE2ELNS1_11target_archE906ELNS1_3gpuE6ELNS1_3repE0EEENS1_38merge_mergepath_config_static_selectorELNS0_4arch9wavefront6targetE1EEEvSM_
                                        ; -- End function
	.section	.AMDGPU.csdata,"",@progbits
; Kernel info:
; codeLenInByte = 0
; NumSgprs: 4
; NumVgprs: 0
; NumAgprs: 0
; TotalNumVgprs: 0
; ScratchSize: 0
; MemoryBound: 0
; FloatMode: 240
; IeeeMode: 1
; LDSByteSize: 0 bytes/workgroup (compile time only)
; SGPRBlocks: 0
; VGPRBlocks: 0
; NumSGPRsForWavesPerEU: 4
; NumVGPRsForWavesPerEU: 1
; AccumOffset: 4
; Occupancy: 8
; WaveLimiterHint : 0
; COMPUTE_PGM_RSRC2:SCRATCH_EN: 0
; COMPUTE_PGM_RSRC2:USER_SGPR: 6
; COMPUTE_PGM_RSRC2:TRAP_HANDLER: 0
; COMPUTE_PGM_RSRC2:TGID_X_EN: 1
; COMPUTE_PGM_RSRC2:TGID_Y_EN: 0
; COMPUTE_PGM_RSRC2:TGID_Z_EN: 0
; COMPUTE_PGM_RSRC2:TIDIG_COMP_CNT: 0
; COMPUTE_PGM_RSRC3_GFX90A:ACCUM_OFFSET: 0
; COMPUTE_PGM_RSRC3_GFX90A:TG_SPLIT: 0
	.section	.text._ZN7rocprim17ROCPRIM_400000_NS6detail17trampoline_kernelINS0_14default_configENS1_38merge_sort_block_merge_config_selectorIlNS0_10empty_typeEEEZZNS1_27merge_sort_block_merge_implIS3_PlPS5_mZN2at6native12_GLOBAL__N_124unique_dim_cuda_templateImEESt5tupleIJNSA_6TensorESF_SF_EERKSF_lbbbEUlllE_EE10hipError_tT0_T1_T2_jT3_P12ihipStream_tbPNSt15iterator_traitsISL_E10value_typeEPNSR_ISM_E10value_typeEPSN_NS1_7vsmem_tEENKUlT_SL_SM_SN_E_clIS8_S8_S9_S9_EESK_S10_SL_SM_SN_EUlS10_E0_NS1_11comp_targetILNS1_3genE9ELNS1_11target_archE1100ELNS1_3gpuE3ELNS1_3repE0EEENS1_38merge_mergepath_config_static_selectorELNS0_4arch9wavefront6targetE1EEEvSM_,"axG",@progbits,_ZN7rocprim17ROCPRIM_400000_NS6detail17trampoline_kernelINS0_14default_configENS1_38merge_sort_block_merge_config_selectorIlNS0_10empty_typeEEEZZNS1_27merge_sort_block_merge_implIS3_PlPS5_mZN2at6native12_GLOBAL__N_124unique_dim_cuda_templateImEESt5tupleIJNSA_6TensorESF_SF_EERKSF_lbbbEUlllE_EE10hipError_tT0_T1_T2_jT3_P12ihipStream_tbPNSt15iterator_traitsISL_E10value_typeEPNSR_ISM_E10value_typeEPSN_NS1_7vsmem_tEENKUlT_SL_SM_SN_E_clIS8_S8_S9_S9_EESK_S10_SL_SM_SN_EUlS10_E0_NS1_11comp_targetILNS1_3genE9ELNS1_11target_archE1100ELNS1_3gpuE3ELNS1_3repE0EEENS1_38merge_mergepath_config_static_selectorELNS0_4arch9wavefront6targetE1EEEvSM_,comdat
	.globl	_ZN7rocprim17ROCPRIM_400000_NS6detail17trampoline_kernelINS0_14default_configENS1_38merge_sort_block_merge_config_selectorIlNS0_10empty_typeEEEZZNS1_27merge_sort_block_merge_implIS3_PlPS5_mZN2at6native12_GLOBAL__N_124unique_dim_cuda_templateImEESt5tupleIJNSA_6TensorESF_SF_EERKSF_lbbbEUlllE_EE10hipError_tT0_T1_T2_jT3_P12ihipStream_tbPNSt15iterator_traitsISL_E10value_typeEPNSR_ISM_E10value_typeEPSN_NS1_7vsmem_tEENKUlT_SL_SM_SN_E_clIS8_S8_S9_S9_EESK_S10_SL_SM_SN_EUlS10_E0_NS1_11comp_targetILNS1_3genE9ELNS1_11target_archE1100ELNS1_3gpuE3ELNS1_3repE0EEENS1_38merge_mergepath_config_static_selectorELNS0_4arch9wavefront6targetE1EEEvSM_ ; -- Begin function _ZN7rocprim17ROCPRIM_400000_NS6detail17trampoline_kernelINS0_14default_configENS1_38merge_sort_block_merge_config_selectorIlNS0_10empty_typeEEEZZNS1_27merge_sort_block_merge_implIS3_PlPS5_mZN2at6native12_GLOBAL__N_124unique_dim_cuda_templateImEESt5tupleIJNSA_6TensorESF_SF_EERKSF_lbbbEUlllE_EE10hipError_tT0_T1_T2_jT3_P12ihipStream_tbPNSt15iterator_traitsISL_E10value_typeEPNSR_ISM_E10value_typeEPSN_NS1_7vsmem_tEENKUlT_SL_SM_SN_E_clIS8_S8_S9_S9_EESK_S10_SL_SM_SN_EUlS10_E0_NS1_11comp_targetILNS1_3genE9ELNS1_11target_archE1100ELNS1_3gpuE3ELNS1_3repE0EEENS1_38merge_mergepath_config_static_selectorELNS0_4arch9wavefront6targetE1EEEvSM_
	.p2align	8
	.type	_ZN7rocprim17ROCPRIM_400000_NS6detail17trampoline_kernelINS0_14default_configENS1_38merge_sort_block_merge_config_selectorIlNS0_10empty_typeEEEZZNS1_27merge_sort_block_merge_implIS3_PlPS5_mZN2at6native12_GLOBAL__N_124unique_dim_cuda_templateImEESt5tupleIJNSA_6TensorESF_SF_EERKSF_lbbbEUlllE_EE10hipError_tT0_T1_T2_jT3_P12ihipStream_tbPNSt15iterator_traitsISL_E10value_typeEPNSR_ISM_E10value_typeEPSN_NS1_7vsmem_tEENKUlT_SL_SM_SN_E_clIS8_S8_S9_S9_EESK_S10_SL_SM_SN_EUlS10_E0_NS1_11comp_targetILNS1_3genE9ELNS1_11target_archE1100ELNS1_3gpuE3ELNS1_3repE0EEENS1_38merge_mergepath_config_static_selectorELNS0_4arch9wavefront6targetE1EEEvSM_,@function
_ZN7rocprim17ROCPRIM_400000_NS6detail17trampoline_kernelINS0_14default_configENS1_38merge_sort_block_merge_config_selectorIlNS0_10empty_typeEEEZZNS1_27merge_sort_block_merge_implIS3_PlPS5_mZN2at6native12_GLOBAL__N_124unique_dim_cuda_templateImEESt5tupleIJNSA_6TensorESF_SF_EERKSF_lbbbEUlllE_EE10hipError_tT0_T1_T2_jT3_P12ihipStream_tbPNSt15iterator_traitsISL_E10value_typeEPNSR_ISM_E10value_typeEPSN_NS1_7vsmem_tEENKUlT_SL_SM_SN_E_clIS8_S8_S9_S9_EESK_S10_SL_SM_SN_EUlS10_E0_NS1_11comp_targetILNS1_3genE9ELNS1_11target_archE1100ELNS1_3gpuE3ELNS1_3repE0EEENS1_38merge_mergepath_config_static_selectorELNS0_4arch9wavefront6targetE1EEEvSM_: ; @_ZN7rocprim17ROCPRIM_400000_NS6detail17trampoline_kernelINS0_14default_configENS1_38merge_sort_block_merge_config_selectorIlNS0_10empty_typeEEEZZNS1_27merge_sort_block_merge_implIS3_PlPS5_mZN2at6native12_GLOBAL__N_124unique_dim_cuda_templateImEESt5tupleIJNSA_6TensorESF_SF_EERKSF_lbbbEUlllE_EE10hipError_tT0_T1_T2_jT3_P12ihipStream_tbPNSt15iterator_traitsISL_E10value_typeEPNSR_ISM_E10value_typeEPSN_NS1_7vsmem_tEENKUlT_SL_SM_SN_E_clIS8_S8_S9_S9_EESK_S10_SL_SM_SN_EUlS10_E0_NS1_11comp_targetILNS1_3genE9ELNS1_11target_archE1100ELNS1_3gpuE3ELNS1_3repE0EEENS1_38merge_mergepath_config_static_selectorELNS0_4arch9wavefront6targetE1EEEvSM_
; %bb.0:
	.section	.rodata,"a",@progbits
	.p2align	6, 0x0
	.amdhsa_kernel _ZN7rocprim17ROCPRIM_400000_NS6detail17trampoline_kernelINS0_14default_configENS1_38merge_sort_block_merge_config_selectorIlNS0_10empty_typeEEEZZNS1_27merge_sort_block_merge_implIS3_PlPS5_mZN2at6native12_GLOBAL__N_124unique_dim_cuda_templateImEESt5tupleIJNSA_6TensorESF_SF_EERKSF_lbbbEUlllE_EE10hipError_tT0_T1_T2_jT3_P12ihipStream_tbPNSt15iterator_traitsISL_E10value_typeEPNSR_ISM_E10value_typeEPSN_NS1_7vsmem_tEENKUlT_SL_SM_SN_E_clIS8_S8_S9_S9_EESK_S10_SL_SM_SN_EUlS10_E0_NS1_11comp_targetILNS1_3genE9ELNS1_11target_archE1100ELNS1_3gpuE3ELNS1_3repE0EEENS1_38merge_mergepath_config_static_selectorELNS0_4arch9wavefront6targetE1EEEvSM_
		.amdhsa_group_segment_fixed_size 0
		.amdhsa_private_segment_fixed_size 0
		.amdhsa_kernarg_size 88
		.amdhsa_user_sgpr_count 6
		.amdhsa_user_sgpr_private_segment_buffer 1
		.amdhsa_user_sgpr_dispatch_ptr 0
		.amdhsa_user_sgpr_queue_ptr 0
		.amdhsa_user_sgpr_kernarg_segment_ptr 1
		.amdhsa_user_sgpr_dispatch_id 0
		.amdhsa_user_sgpr_flat_scratch_init 0
		.amdhsa_user_sgpr_kernarg_preload_length 0
		.amdhsa_user_sgpr_kernarg_preload_offset 0
		.amdhsa_user_sgpr_private_segment_size 0
		.amdhsa_uses_dynamic_stack 0
		.amdhsa_system_sgpr_private_segment_wavefront_offset 0
		.amdhsa_system_sgpr_workgroup_id_x 1
		.amdhsa_system_sgpr_workgroup_id_y 0
		.amdhsa_system_sgpr_workgroup_id_z 0
		.amdhsa_system_sgpr_workgroup_info 0
		.amdhsa_system_vgpr_workitem_id 0
		.amdhsa_next_free_vgpr 1
		.amdhsa_next_free_sgpr 0
		.amdhsa_accum_offset 4
		.amdhsa_reserve_vcc 0
		.amdhsa_reserve_flat_scratch 0
		.amdhsa_float_round_mode_32 0
		.amdhsa_float_round_mode_16_64 0
		.amdhsa_float_denorm_mode_32 3
		.amdhsa_float_denorm_mode_16_64 3
		.amdhsa_dx10_clamp 1
		.amdhsa_ieee_mode 1
		.amdhsa_fp16_overflow 0
		.amdhsa_tg_split 0
		.amdhsa_exception_fp_ieee_invalid_op 0
		.amdhsa_exception_fp_denorm_src 0
		.amdhsa_exception_fp_ieee_div_zero 0
		.amdhsa_exception_fp_ieee_overflow 0
		.amdhsa_exception_fp_ieee_underflow 0
		.amdhsa_exception_fp_ieee_inexact 0
		.amdhsa_exception_int_div_zero 0
	.end_amdhsa_kernel
	.section	.text._ZN7rocprim17ROCPRIM_400000_NS6detail17trampoline_kernelINS0_14default_configENS1_38merge_sort_block_merge_config_selectorIlNS0_10empty_typeEEEZZNS1_27merge_sort_block_merge_implIS3_PlPS5_mZN2at6native12_GLOBAL__N_124unique_dim_cuda_templateImEESt5tupleIJNSA_6TensorESF_SF_EERKSF_lbbbEUlllE_EE10hipError_tT0_T1_T2_jT3_P12ihipStream_tbPNSt15iterator_traitsISL_E10value_typeEPNSR_ISM_E10value_typeEPSN_NS1_7vsmem_tEENKUlT_SL_SM_SN_E_clIS8_S8_S9_S9_EESK_S10_SL_SM_SN_EUlS10_E0_NS1_11comp_targetILNS1_3genE9ELNS1_11target_archE1100ELNS1_3gpuE3ELNS1_3repE0EEENS1_38merge_mergepath_config_static_selectorELNS0_4arch9wavefront6targetE1EEEvSM_,"axG",@progbits,_ZN7rocprim17ROCPRIM_400000_NS6detail17trampoline_kernelINS0_14default_configENS1_38merge_sort_block_merge_config_selectorIlNS0_10empty_typeEEEZZNS1_27merge_sort_block_merge_implIS3_PlPS5_mZN2at6native12_GLOBAL__N_124unique_dim_cuda_templateImEESt5tupleIJNSA_6TensorESF_SF_EERKSF_lbbbEUlllE_EE10hipError_tT0_T1_T2_jT3_P12ihipStream_tbPNSt15iterator_traitsISL_E10value_typeEPNSR_ISM_E10value_typeEPSN_NS1_7vsmem_tEENKUlT_SL_SM_SN_E_clIS8_S8_S9_S9_EESK_S10_SL_SM_SN_EUlS10_E0_NS1_11comp_targetILNS1_3genE9ELNS1_11target_archE1100ELNS1_3gpuE3ELNS1_3repE0EEENS1_38merge_mergepath_config_static_selectorELNS0_4arch9wavefront6targetE1EEEvSM_,comdat
.Lfunc_end1626:
	.size	_ZN7rocprim17ROCPRIM_400000_NS6detail17trampoline_kernelINS0_14default_configENS1_38merge_sort_block_merge_config_selectorIlNS0_10empty_typeEEEZZNS1_27merge_sort_block_merge_implIS3_PlPS5_mZN2at6native12_GLOBAL__N_124unique_dim_cuda_templateImEESt5tupleIJNSA_6TensorESF_SF_EERKSF_lbbbEUlllE_EE10hipError_tT0_T1_T2_jT3_P12ihipStream_tbPNSt15iterator_traitsISL_E10value_typeEPNSR_ISM_E10value_typeEPSN_NS1_7vsmem_tEENKUlT_SL_SM_SN_E_clIS8_S8_S9_S9_EESK_S10_SL_SM_SN_EUlS10_E0_NS1_11comp_targetILNS1_3genE9ELNS1_11target_archE1100ELNS1_3gpuE3ELNS1_3repE0EEENS1_38merge_mergepath_config_static_selectorELNS0_4arch9wavefront6targetE1EEEvSM_, .Lfunc_end1626-_ZN7rocprim17ROCPRIM_400000_NS6detail17trampoline_kernelINS0_14default_configENS1_38merge_sort_block_merge_config_selectorIlNS0_10empty_typeEEEZZNS1_27merge_sort_block_merge_implIS3_PlPS5_mZN2at6native12_GLOBAL__N_124unique_dim_cuda_templateImEESt5tupleIJNSA_6TensorESF_SF_EERKSF_lbbbEUlllE_EE10hipError_tT0_T1_T2_jT3_P12ihipStream_tbPNSt15iterator_traitsISL_E10value_typeEPNSR_ISM_E10value_typeEPSN_NS1_7vsmem_tEENKUlT_SL_SM_SN_E_clIS8_S8_S9_S9_EESK_S10_SL_SM_SN_EUlS10_E0_NS1_11comp_targetILNS1_3genE9ELNS1_11target_archE1100ELNS1_3gpuE3ELNS1_3repE0EEENS1_38merge_mergepath_config_static_selectorELNS0_4arch9wavefront6targetE1EEEvSM_
                                        ; -- End function
	.section	.AMDGPU.csdata,"",@progbits
; Kernel info:
; codeLenInByte = 0
; NumSgprs: 4
; NumVgprs: 0
; NumAgprs: 0
; TotalNumVgprs: 0
; ScratchSize: 0
; MemoryBound: 0
; FloatMode: 240
; IeeeMode: 1
; LDSByteSize: 0 bytes/workgroup (compile time only)
; SGPRBlocks: 0
; VGPRBlocks: 0
; NumSGPRsForWavesPerEU: 4
; NumVGPRsForWavesPerEU: 1
; AccumOffset: 4
; Occupancy: 8
; WaveLimiterHint : 0
; COMPUTE_PGM_RSRC2:SCRATCH_EN: 0
; COMPUTE_PGM_RSRC2:USER_SGPR: 6
; COMPUTE_PGM_RSRC2:TRAP_HANDLER: 0
; COMPUTE_PGM_RSRC2:TGID_X_EN: 1
; COMPUTE_PGM_RSRC2:TGID_Y_EN: 0
; COMPUTE_PGM_RSRC2:TGID_Z_EN: 0
; COMPUTE_PGM_RSRC2:TIDIG_COMP_CNT: 0
; COMPUTE_PGM_RSRC3_GFX90A:ACCUM_OFFSET: 0
; COMPUTE_PGM_RSRC3_GFX90A:TG_SPLIT: 0
	.section	.text._ZN7rocprim17ROCPRIM_400000_NS6detail17trampoline_kernelINS0_14default_configENS1_38merge_sort_block_merge_config_selectorIlNS0_10empty_typeEEEZZNS1_27merge_sort_block_merge_implIS3_PlPS5_mZN2at6native12_GLOBAL__N_124unique_dim_cuda_templateImEESt5tupleIJNSA_6TensorESF_SF_EERKSF_lbbbEUlllE_EE10hipError_tT0_T1_T2_jT3_P12ihipStream_tbPNSt15iterator_traitsISL_E10value_typeEPNSR_ISM_E10value_typeEPSN_NS1_7vsmem_tEENKUlT_SL_SM_SN_E_clIS8_S8_S9_S9_EESK_S10_SL_SM_SN_EUlS10_E0_NS1_11comp_targetILNS1_3genE8ELNS1_11target_archE1030ELNS1_3gpuE2ELNS1_3repE0EEENS1_38merge_mergepath_config_static_selectorELNS0_4arch9wavefront6targetE1EEEvSM_,"axG",@progbits,_ZN7rocprim17ROCPRIM_400000_NS6detail17trampoline_kernelINS0_14default_configENS1_38merge_sort_block_merge_config_selectorIlNS0_10empty_typeEEEZZNS1_27merge_sort_block_merge_implIS3_PlPS5_mZN2at6native12_GLOBAL__N_124unique_dim_cuda_templateImEESt5tupleIJNSA_6TensorESF_SF_EERKSF_lbbbEUlllE_EE10hipError_tT0_T1_T2_jT3_P12ihipStream_tbPNSt15iterator_traitsISL_E10value_typeEPNSR_ISM_E10value_typeEPSN_NS1_7vsmem_tEENKUlT_SL_SM_SN_E_clIS8_S8_S9_S9_EESK_S10_SL_SM_SN_EUlS10_E0_NS1_11comp_targetILNS1_3genE8ELNS1_11target_archE1030ELNS1_3gpuE2ELNS1_3repE0EEENS1_38merge_mergepath_config_static_selectorELNS0_4arch9wavefront6targetE1EEEvSM_,comdat
	.globl	_ZN7rocprim17ROCPRIM_400000_NS6detail17trampoline_kernelINS0_14default_configENS1_38merge_sort_block_merge_config_selectorIlNS0_10empty_typeEEEZZNS1_27merge_sort_block_merge_implIS3_PlPS5_mZN2at6native12_GLOBAL__N_124unique_dim_cuda_templateImEESt5tupleIJNSA_6TensorESF_SF_EERKSF_lbbbEUlllE_EE10hipError_tT0_T1_T2_jT3_P12ihipStream_tbPNSt15iterator_traitsISL_E10value_typeEPNSR_ISM_E10value_typeEPSN_NS1_7vsmem_tEENKUlT_SL_SM_SN_E_clIS8_S8_S9_S9_EESK_S10_SL_SM_SN_EUlS10_E0_NS1_11comp_targetILNS1_3genE8ELNS1_11target_archE1030ELNS1_3gpuE2ELNS1_3repE0EEENS1_38merge_mergepath_config_static_selectorELNS0_4arch9wavefront6targetE1EEEvSM_ ; -- Begin function _ZN7rocprim17ROCPRIM_400000_NS6detail17trampoline_kernelINS0_14default_configENS1_38merge_sort_block_merge_config_selectorIlNS0_10empty_typeEEEZZNS1_27merge_sort_block_merge_implIS3_PlPS5_mZN2at6native12_GLOBAL__N_124unique_dim_cuda_templateImEESt5tupleIJNSA_6TensorESF_SF_EERKSF_lbbbEUlllE_EE10hipError_tT0_T1_T2_jT3_P12ihipStream_tbPNSt15iterator_traitsISL_E10value_typeEPNSR_ISM_E10value_typeEPSN_NS1_7vsmem_tEENKUlT_SL_SM_SN_E_clIS8_S8_S9_S9_EESK_S10_SL_SM_SN_EUlS10_E0_NS1_11comp_targetILNS1_3genE8ELNS1_11target_archE1030ELNS1_3gpuE2ELNS1_3repE0EEENS1_38merge_mergepath_config_static_selectorELNS0_4arch9wavefront6targetE1EEEvSM_
	.p2align	8
	.type	_ZN7rocprim17ROCPRIM_400000_NS6detail17trampoline_kernelINS0_14default_configENS1_38merge_sort_block_merge_config_selectorIlNS0_10empty_typeEEEZZNS1_27merge_sort_block_merge_implIS3_PlPS5_mZN2at6native12_GLOBAL__N_124unique_dim_cuda_templateImEESt5tupleIJNSA_6TensorESF_SF_EERKSF_lbbbEUlllE_EE10hipError_tT0_T1_T2_jT3_P12ihipStream_tbPNSt15iterator_traitsISL_E10value_typeEPNSR_ISM_E10value_typeEPSN_NS1_7vsmem_tEENKUlT_SL_SM_SN_E_clIS8_S8_S9_S9_EESK_S10_SL_SM_SN_EUlS10_E0_NS1_11comp_targetILNS1_3genE8ELNS1_11target_archE1030ELNS1_3gpuE2ELNS1_3repE0EEENS1_38merge_mergepath_config_static_selectorELNS0_4arch9wavefront6targetE1EEEvSM_,@function
_ZN7rocprim17ROCPRIM_400000_NS6detail17trampoline_kernelINS0_14default_configENS1_38merge_sort_block_merge_config_selectorIlNS0_10empty_typeEEEZZNS1_27merge_sort_block_merge_implIS3_PlPS5_mZN2at6native12_GLOBAL__N_124unique_dim_cuda_templateImEESt5tupleIJNSA_6TensorESF_SF_EERKSF_lbbbEUlllE_EE10hipError_tT0_T1_T2_jT3_P12ihipStream_tbPNSt15iterator_traitsISL_E10value_typeEPNSR_ISM_E10value_typeEPSN_NS1_7vsmem_tEENKUlT_SL_SM_SN_E_clIS8_S8_S9_S9_EESK_S10_SL_SM_SN_EUlS10_E0_NS1_11comp_targetILNS1_3genE8ELNS1_11target_archE1030ELNS1_3gpuE2ELNS1_3repE0EEENS1_38merge_mergepath_config_static_selectorELNS0_4arch9wavefront6targetE1EEEvSM_: ; @_ZN7rocprim17ROCPRIM_400000_NS6detail17trampoline_kernelINS0_14default_configENS1_38merge_sort_block_merge_config_selectorIlNS0_10empty_typeEEEZZNS1_27merge_sort_block_merge_implIS3_PlPS5_mZN2at6native12_GLOBAL__N_124unique_dim_cuda_templateImEESt5tupleIJNSA_6TensorESF_SF_EERKSF_lbbbEUlllE_EE10hipError_tT0_T1_T2_jT3_P12ihipStream_tbPNSt15iterator_traitsISL_E10value_typeEPNSR_ISM_E10value_typeEPSN_NS1_7vsmem_tEENKUlT_SL_SM_SN_E_clIS8_S8_S9_S9_EESK_S10_SL_SM_SN_EUlS10_E0_NS1_11comp_targetILNS1_3genE8ELNS1_11target_archE1030ELNS1_3gpuE2ELNS1_3repE0EEENS1_38merge_mergepath_config_static_selectorELNS0_4arch9wavefront6targetE1EEEvSM_
; %bb.0:
	.section	.rodata,"a",@progbits
	.p2align	6, 0x0
	.amdhsa_kernel _ZN7rocprim17ROCPRIM_400000_NS6detail17trampoline_kernelINS0_14default_configENS1_38merge_sort_block_merge_config_selectorIlNS0_10empty_typeEEEZZNS1_27merge_sort_block_merge_implIS3_PlPS5_mZN2at6native12_GLOBAL__N_124unique_dim_cuda_templateImEESt5tupleIJNSA_6TensorESF_SF_EERKSF_lbbbEUlllE_EE10hipError_tT0_T1_T2_jT3_P12ihipStream_tbPNSt15iterator_traitsISL_E10value_typeEPNSR_ISM_E10value_typeEPSN_NS1_7vsmem_tEENKUlT_SL_SM_SN_E_clIS8_S8_S9_S9_EESK_S10_SL_SM_SN_EUlS10_E0_NS1_11comp_targetILNS1_3genE8ELNS1_11target_archE1030ELNS1_3gpuE2ELNS1_3repE0EEENS1_38merge_mergepath_config_static_selectorELNS0_4arch9wavefront6targetE1EEEvSM_
		.amdhsa_group_segment_fixed_size 0
		.amdhsa_private_segment_fixed_size 0
		.amdhsa_kernarg_size 88
		.amdhsa_user_sgpr_count 6
		.amdhsa_user_sgpr_private_segment_buffer 1
		.amdhsa_user_sgpr_dispatch_ptr 0
		.amdhsa_user_sgpr_queue_ptr 0
		.amdhsa_user_sgpr_kernarg_segment_ptr 1
		.amdhsa_user_sgpr_dispatch_id 0
		.amdhsa_user_sgpr_flat_scratch_init 0
		.amdhsa_user_sgpr_kernarg_preload_length 0
		.amdhsa_user_sgpr_kernarg_preload_offset 0
		.amdhsa_user_sgpr_private_segment_size 0
		.amdhsa_uses_dynamic_stack 0
		.amdhsa_system_sgpr_private_segment_wavefront_offset 0
		.amdhsa_system_sgpr_workgroup_id_x 1
		.amdhsa_system_sgpr_workgroup_id_y 0
		.amdhsa_system_sgpr_workgroup_id_z 0
		.amdhsa_system_sgpr_workgroup_info 0
		.amdhsa_system_vgpr_workitem_id 0
		.amdhsa_next_free_vgpr 1
		.amdhsa_next_free_sgpr 0
		.amdhsa_accum_offset 4
		.amdhsa_reserve_vcc 0
		.amdhsa_reserve_flat_scratch 0
		.amdhsa_float_round_mode_32 0
		.amdhsa_float_round_mode_16_64 0
		.amdhsa_float_denorm_mode_32 3
		.amdhsa_float_denorm_mode_16_64 3
		.amdhsa_dx10_clamp 1
		.amdhsa_ieee_mode 1
		.amdhsa_fp16_overflow 0
		.amdhsa_tg_split 0
		.amdhsa_exception_fp_ieee_invalid_op 0
		.amdhsa_exception_fp_denorm_src 0
		.amdhsa_exception_fp_ieee_div_zero 0
		.amdhsa_exception_fp_ieee_overflow 0
		.amdhsa_exception_fp_ieee_underflow 0
		.amdhsa_exception_fp_ieee_inexact 0
		.amdhsa_exception_int_div_zero 0
	.end_amdhsa_kernel
	.section	.text._ZN7rocprim17ROCPRIM_400000_NS6detail17trampoline_kernelINS0_14default_configENS1_38merge_sort_block_merge_config_selectorIlNS0_10empty_typeEEEZZNS1_27merge_sort_block_merge_implIS3_PlPS5_mZN2at6native12_GLOBAL__N_124unique_dim_cuda_templateImEESt5tupleIJNSA_6TensorESF_SF_EERKSF_lbbbEUlllE_EE10hipError_tT0_T1_T2_jT3_P12ihipStream_tbPNSt15iterator_traitsISL_E10value_typeEPNSR_ISM_E10value_typeEPSN_NS1_7vsmem_tEENKUlT_SL_SM_SN_E_clIS8_S8_S9_S9_EESK_S10_SL_SM_SN_EUlS10_E0_NS1_11comp_targetILNS1_3genE8ELNS1_11target_archE1030ELNS1_3gpuE2ELNS1_3repE0EEENS1_38merge_mergepath_config_static_selectorELNS0_4arch9wavefront6targetE1EEEvSM_,"axG",@progbits,_ZN7rocprim17ROCPRIM_400000_NS6detail17trampoline_kernelINS0_14default_configENS1_38merge_sort_block_merge_config_selectorIlNS0_10empty_typeEEEZZNS1_27merge_sort_block_merge_implIS3_PlPS5_mZN2at6native12_GLOBAL__N_124unique_dim_cuda_templateImEESt5tupleIJNSA_6TensorESF_SF_EERKSF_lbbbEUlllE_EE10hipError_tT0_T1_T2_jT3_P12ihipStream_tbPNSt15iterator_traitsISL_E10value_typeEPNSR_ISM_E10value_typeEPSN_NS1_7vsmem_tEENKUlT_SL_SM_SN_E_clIS8_S8_S9_S9_EESK_S10_SL_SM_SN_EUlS10_E0_NS1_11comp_targetILNS1_3genE8ELNS1_11target_archE1030ELNS1_3gpuE2ELNS1_3repE0EEENS1_38merge_mergepath_config_static_selectorELNS0_4arch9wavefront6targetE1EEEvSM_,comdat
.Lfunc_end1627:
	.size	_ZN7rocprim17ROCPRIM_400000_NS6detail17trampoline_kernelINS0_14default_configENS1_38merge_sort_block_merge_config_selectorIlNS0_10empty_typeEEEZZNS1_27merge_sort_block_merge_implIS3_PlPS5_mZN2at6native12_GLOBAL__N_124unique_dim_cuda_templateImEESt5tupleIJNSA_6TensorESF_SF_EERKSF_lbbbEUlllE_EE10hipError_tT0_T1_T2_jT3_P12ihipStream_tbPNSt15iterator_traitsISL_E10value_typeEPNSR_ISM_E10value_typeEPSN_NS1_7vsmem_tEENKUlT_SL_SM_SN_E_clIS8_S8_S9_S9_EESK_S10_SL_SM_SN_EUlS10_E0_NS1_11comp_targetILNS1_3genE8ELNS1_11target_archE1030ELNS1_3gpuE2ELNS1_3repE0EEENS1_38merge_mergepath_config_static_selectorELNS0_4arch9wavefront6targetE1EEEvSM_, .Lfunc_end1627-_ZN7rocprim17ROCPRIM_400000_NS6detail17trampoline_kernelINS0_14default_configENS1_38merge_sort_block_merge_config_selectorIlNS0_10empty_typeEEEZZNS1_27merge_sort_block_merge_implIS3_PlPS5_mZN2at6native12_GLOBAL__N_124unique_dim_cuda_templateImEESt5tupleIJNSA_6TensorESF_SF_EERKSF_lbbbEUlllE_EE10hipError_tT0_T1_T2_jT3_P12ihipStream_tbPNSt15iterator_traitsISL_E10value_typeEPNSR_ISM_E10value_typeEPSN_NS1_7vsmem_tEENKUlT_SL_SM_SN_E_clIS8_S8_S9_S9_EESK_S10_SL_SM_SN_EUlS10_E0_NS1_11comp_targetILNS1_3genE8ELNS1_11target_archE1030ELNS1_3gpuE2ELNS1_3repE0EEENS1_38merge_mergepath_config_static_selectorELNS0_4arch9wavefront6targetE1EEEvSM_
                                        ; -- End function
	.section	.AMDGPU.csdata,"",@progbits
; Kernel info:
; codeLenInByte = 0
; NumSgprs: 4
; NumVgprs: 0
; NumAgprs: 0
; TotalNumVgprs: 0
; ScratchSize: 0
; MemoryBound: 0
; FloatMode: 240
; IeeeMode: 1
; LDSByteSize: 0 bytes/workgroup (compile time only)
; SGPRBlocks: 0
; VGPRBlocks: 0
; NumSGPRsForWavesPerEU: 4
; NumVGPRsForWavesPerEU: 1
; AccumOffset: 4
; Occupancy: 8
; WaveLimiterHint : 0
; COMPUTE_PGM_RSRC2:SCRATCH_EN: 0
; COMPUTE_PGM_RSRC2:USER_SGPR: 6
; COMPUTE_PGM_RSRC2:TRAP_HANDLER: 0
; COMPUTE_PGM_RSRC2:TGID_X_EN: 1
; COMPUTE_PGM_RSRC2:TGID_Y_EN: 0
; COMPUTE_PGM_RSRC2:TGID_Z_EN: 0
; COMPUTE_PGM_RSRC2:TIDIG_COMP_CNT: 0
; COMPUTE_PGM_RSRC3_GFX90A:ACCUM_OFFSET: 0
; COMPUTE_PGM_RSRC3_GFX90A:TG_SPLIT: 0
	.section	.text._ZN7rocprim17ROCPRIM_400000_NS6detail17trampoline_kernelINS0_14default_configENS1_38merge_sort_block_merge_config_selectorIlNS0_10empty_typeEEEZZNS1_27merge_sort_block_merge_implIS3_PlPS5_mZN2at6native12_GLOBAL__N_124unique_dim_cuda_templateImEESt5tupleIJNSA_6TensorESF_SF_EERKSF_lbbbEUlllE_EE10hipError_tT0_T1_T2_jT3_P12ihipStream_tbPNSt15iterator_traitsISL_E10value_typeEPNSR_ISM_E10value_typeEPSN_NS1_7vsmem_tEENKUlT_SL_SM_SN_E_clIS8_S8_S9_S9_EESK_S10_SL_SM_SN_EUlS10_E1_NS1_11comp_targetILNS1_3genE0ELNS1_11target_archE4294967295ELNS1_3gpuE0ELNS1_3repE0EEENS1_36merge_oddeven_config_static_selectorELNS0_4arch9wavefront6targetE1EEEvSM_,"axG",@progbits,_ZN7rocprim17ROCPRIM_400000_NS6detail17trampoline_kernelINS0_14default_configENS1_38merge_sort_block_merge_config_selectorIlNS0_10empty_typeEEEZZNS1_27merge_sort_block_merge_implIS3_PlPS5_mZN2at6native12_GLOBAL__N_124unique_dim_cuda_templateImEESt5tupleIJNSA_6TensorESF_SF_EERKSF_lbbbEUlllE_EE10hipError_tT0_T1_T2_jT3_P12ihipStream_tbPNSt15iterator_traitsISL_E10value_typeEPNSR_ISM_E10value_typeEPSN_NS1_7vsmem_tEENKUlT_SL_SM_SN_E_clIS8_S8_S9_S9_EESK_S10_SL_SM_SN_EUlS10_E1_NS1_11comp_targetILNS1_3genE0ELNS1_11target_archE4294967295ELNS1_3gpuE0ELNS1_3repE0EEENS1_36merge_oddeven_config_static_selectorELNS0_4arch9wavefront6targetE1EEEvSM_,comdat
	.globl	_ZN7rocprim17ROCPRIM_400000_NS6detail17trampoline_kernelINS0_14default_configENS1_38merge_sort_block_merge_config_selectorIlNS0_10empty_typeEEEZZNS1_27merge_sort_block_merge_implIS3_PlPS5_mZN2at6native12_GLOBAL__N_124unique_dim_cuda_templateImEESt5tupleIJNSA_6TensorESF_SF_EERKSF_lbbbEUlllE_EE10hipError_tT0_T1_T2_jT3_P12ihipStream_tbPNSt15iterator_traitsISL_E10value_typeEPNSR_ISM_E10value_typeEPSN_NS1_7vsmem_tEENKUlT_SL_SM_SN_E_clIS8_S8_S9_S9_EESK_S10_SL_SM_SN_EUlS10_E1_NS1_11comp_targetILNS1_3genE0ELNS1_11target_archE4294967295ELNS1_3gpuE0ELNS1_3repE0EEENS1_36merge_oddeven_config_static_selectorELNS0_4arch9wavefront6targetE1EEEvSM_ ; -- Begin function _ZN7rocprim17ROCPRIM_400000_NS6detail17trampoline_kernelINS0_14default_configENS1_38merge_sort_block_merge_config_selectorIlNS0_10empty_typeEEEZZNS1_27merge_sort_block_merge_implIS3_PlPS5_mZN2at6native12_GLOBAL__N_124unique_dim_cuda_templateImEESt5tupleIJNSA_6TensorESF_SF_EERKSF_lbbbEUlllE_EE10hipError_tT0_T1_T2_jT3_P12ihipStream_tbPNSt15iterator_traitsISL_E10value_typeEPNSR_ISM_E10value_typeEPSN_NS1_7vsmem_tEENKUlT_SL_SM_SN_E_clIS8_S8_S9_S9_EESK_S10_SL_SM_SN_EUlS10_E1_NS1_11comp_targetILNS1_3genE0ELNS1_11target_archE4294967295ELNS1_3gpuE0ELNS1_3repE0EEENS1_36merge_oddeven_config_static_selectorELNS0_4arch9wavefront6targetE1EEEvSM_
	.p2align	8
	.type	_ZN7rocprim17ROCPRIM_400000_NS6detail17trampoline_kernelINS0_14default_configENS1_38merge_sort_block_merge_config_selectorIlNS0_10empty_typeEEEZZNS1_27merge_sort_block_merge_implIS3_PlPS5_mZN2at6native12_GLOBAL__N_124unique_dim_cuda_templateImEESt5tupleIJNSA_6TensorESF_SF_EERKSF_lbbbEUlllE_EE10hipError_tT0_T1_T2_jT3_P12ihipStream_tbPNSt15iterator_traitsISL_E10value_typeEPNSR_ISM_E10value_typeEPSN_NS1_7vsmem_tEENKUlT_SL_SM_SN_E_clIS8_S8_S9_S9_EESK_S10_SL_SM_SN_EUlS10_E1_NS1_11comp_targetILNS1_3genE0ELNS1_11target_archE4294967295ELNS1_3gpuE0ELNS1_3repE0EEENS1_36merge_oddeven_config_static_selectorELNS0_4arch9wavefront6targetE1EEEvSM_,@function
_ZN7rocprim17ROCPRIM_400000_NS6detail17trampoline_kernelINS0_14default_configENS1_38merge_sort_block_merge_config_selectorIlNS0_10empty_typeEEEZZNS1_27merge_sort_block_merge_implIS3_PlPS5_mZN2at6native12_GLOBAL__N_124unique_dim_cuda_templateImEESt5tupleIJNSA_6TensorESF_SF_EERKSF_lbbbEUlllE_EE10hipError_tT0_T1_T2_jT3_P12ihipStream_tbPNSt15iterator_traitsISL_E10value_typeEPNSR_ISM_E10value_typeEPSN_NS1_7vsmem_tEENKUlT_SL_SM_SN_E_clIS8_S8_S9_S9_EESK_S10_SL_SM_SN_EUlS10_E1_NS1_11comp_targetILNS1_3genE0ELNS1_11target_archE4294967295ELNS1_3gpuE0ELNS1_3repE0EEENS1_36merge_oddeven_config_static_selectorELNS0_4arch9wavefront6targetE1EEEvSM_: ; @_ZN7rocprim17ROCPRIM_400000_NS6detail17trampoline_kernelINS0_14default_configENS1_38merge_sort_block_merge_config_selectorIlNS0_10empty_typeEEEZZNS1_27merge_sort_block_merge_implIS3_PlPS5_mZN2at6native12_GLOBAL__N_124unique_dim_cuda_templateImEESt5tupleIJNSA_6TensorESF_SF_EERKSF_lbbbEUlllE_EE10hipError_tT0_T1_T2_jT3_P12ihipStream_tbPNSt15iterator_traitsISL_E10value_typeEPNSR_ISM_E10value_typeEPSN_NS1_7vsmem_tEENKUlT_SL_SM_SN_E_clIS8_S8_S9_S9_EESK_S10_SL_SM_SN_EUlS10_E1_NS1_11comp_targetILNS1_3genE0ELNS1_11target_archE4294967295ELNS1_3gpuE0ELNS1_3repE0EEENS1_36merge_oddeven_config_static_selectorELNS0_4arch9wavefront6targetE1EEEvSM_
; %bb.0:
	.section	.rodata,"a",@progbits
	.p2align	6, 0x0
	.amdhsa_kernel _ZN7rocprim17ROCPRIM_400000_NS6detail17trampoline_kernelINS0_14default_configENS1_38merge_sort_block_merge_config_selectorIlNS0_10empty_typeEEEZZNS1_27merge_sort_block_merge_implIS3_PlPS5_mZN2at6native12_GLOBAL__N_124unique_dim_cuda_templateImEESt5tupleIJNSA_6TensorESF_SF_EERKSF_lbbbEUlllE_EE10hipError_tT0_T1_T2_jT3_P12ihipStream_tbPNSt15iterator_traitsISL_E10value_typeEPNSR_ISM_E10value_typeEPSN_NS1_7vsmem_tEENKUlT_SL_SM_SN_E_clIS8_S8_S9_S9_EESK_S10_SL_SM_SN_EUlS10_E1_NS1_11comp_targetILNS1_3genE0ELNS1_11target_archE4294967295ELNS1_3gpuE0ELNS1_3repE0EEENS1_36merge_oddeven_config_static_selectorELNS0_4arch9wavefront6targetE1EEEvSM_
		.amdhsa_group_segment_fixed_size 0
		.amdhsa_private_segment_fixed_size 0
		.amdhsa_kernarg_size 64
		.amdhsa_user_sgpr_count 6
		.amdhsa_user_sgpr_private_segment_buffer 1
		.amdhsa_user_sgpr_dispatch_ptr 0
		.amdhsa_user_sgpr_queue_ptr 0
		.amdhsa_user_sgpr_kernarg_segment_ptr 1
		.amdhsa_user_sgpr_dispatch_id 0
		.amdhsa_user_sgpr_flat_scratch_init 0
		.amdhsa_user_sgpr_kernarg_preload_length 0
		.amdhsa_user_sgpr_kernarg_preload_offset 0
		.amdhsa_user_sgpr_private_segment_size 0
		.amdhsa_uses_dynamic_stack 0
		.amdhsa_system_sgpr_private_segment_wavefront_offset 0
		.amdhsa_system_sgpr_workgroup_id_x 1
		.amdhsa_system_sgpr_workgroup_id_y 0
		.amdhsa_system_sgpr_workgroup_id_z 0
		.amdhsa_system_sgpr_workgroup_info 0
		.amdhsa_system_vgpr_workitem_id 0
		.amdhsa_next_free_vgpr 1
		.amdhsa_next_free_sgpr 0
		.amdhsa_accum_offset 4
		.amdhsa_reserve_vcc 0
		.amdhsa_reserve_flat_scratch 0
		.amdhsa_float_round_mode_32 0
		.amdhsa_float_round_mode_16_64 0
		.amdhsa_float_denorm_mode_32 3
		.amdhsa_float_denorm_mode_16_64 3
		.amdhsa_dx10_clamp 1
		.amdhsa_ieee_mode 1
		.amdhsa_fp16_overflow 0
		.amdhsa_tg_split 0
		.amdhsa_exception_fp_ieee_invalid_op 0
		.amdhsa_exception_fp_denorm_src 0
		.amdhsa_exception_fp_ieee_div_zero 0
		.amdhsa_exception_fp_ieee_overflow 0
		.amdhsa_exception_fp_ieee_underflow 0
		.amdhsa_exception_fp_ieee_inexact 0
		.amdhsa_exception_int_div_zero 0
	.end_amdhsa_kernel
	.section	.text._ZN7rocprim17ROCPRIM_400000_NS6detail17trampoline_kernelINS0_14default_configENS1_38merge_sort_block_merge_config_selectorIlNS0_10empty_typeEEEZZNS1_27merge_sort_block_merge_implIS3_PlPS5_mZN2at6native12_GLOBAL__N_124unique_dim_cuda_templateImEESt5tupleIJNSA_6TensorESF_SF_EERKSF_lbbbEUlllE_EE10hipError_tT0_T1_T2_jT3_P12ihipStream_tbPNSt15iterator_traitsISL_E10value_typeEPNSR_ISM_E10value_typeEPSN_NS1_7vsmem_tEENKUlT_SL_SM_SN_E_clIS8_S8_S9_S9_EESK_S10_SL_SM_SN_EUlS10_E1_NS1_11comp_targetILNS1_3genE0ELNS1_11target_archE4294967295ELNS1_3gpuE0ELNS1_3repE0EEENS1_36merge_oddeven_config_static_selectorELNS0_4arch9wavefront6targetE1EEEvSM_,"axG",@progbits,_ZN7rocprim17ROCPRIM_400000_NS6detail17trampoline_kernelINS0_14default_configENS1_38merge_sort_block_merge_config_selectorIlNS0_10empty_typeEEEZZNS1_27merge_sort_block_merge_implIS3_PlPS5_mZN2at6native12_GLOBAL__N_124unique_dim_cuda_templateImEESt5tupleIJNSA_6TensorESF_SF_EERKSF_lbbbEUlllE_EE10hipError_tT0_T1_T2_jT3_P12ihipStream_tbPNSt15iterator_traitsISL_E10value_typeEPNSR_ISM_E10value_typeEPSN_NS1_7vsmem_tEENKUlT_SL_SM_SN_E_clIS8_S8_S9_S9_EESK_S10_SL_SM_SN_EUlS10_E1_NS1_11comp_targetILNS1_3genE0ELNS1_11target_archE4294967295ELNS1_3gpuE0ELNS1_3repE0EEENS1_36merge_oddeven_config_static_selectorELNS0_4arch9wavefront6targetE1EEEvSM_,comdat
.Lfunc_end1628:
	.size	_ZN7rocprim17ROCPRIM_400000_NS6detail17trampoline_kernelINS0_14default_configENS1_38merge_sort_block_merge_config_selectorIlNS0_10empty_typeEEEZZNS1_27merge_sort_block_merge_implIS3_PlPS5_mZN2at6native12_GLOBAL__N_124unique_dim_cuda_templateImEESt5tupleIJNSA_6TensorESF_SF_EERKSF_lbbbEUlllE_EE10hipError_tT0_T1_T2_jT3_P12ihipStream_tbPNSt15iterator_traitsISL_E10value_typeEPNSR_ISM_E10value_typeEPSN_NS1_7vsmem_tEENKUlT_SL_SM_SN_E_clIS8_S8_S9_S9_EESK_S10_SL_SM_SN_EUlS10_E1_NS1_11comp_targetILNS1_3genE0ELNS1_11target_archE4294967295ELNS1_3gpuE0ELNS1_3repE0EEENS1_36merge_oddeven_config_static_selectorELNS0_4arch9wavefront6targetE1EEEvSM_, .Lfunc_end1628-_ZN7rocprim17ROCPRIM_400000_NS6detail17trampoline_kernelINS0_14default_configENS1_38merge_sort_block_merge_config_selectorIlNS0_10empty_typeEEEZZNS1_27merge_sort_block_merge_implIS3_PlPS5_mZN2at6native12_GLOBAL__N_124unique_dim_cuda_templateImEESt5tupleIJNSA_6TensorESF_SF_EERKSF_lbbbEUlllE_EE10hipError_tT0_T1_T2_jT3_P12ihipStream_tbPNSt15iterator_traitsISL_E10value_typeEPNSR_ISM_E10value_typeEPSN_NS1_7vsmem_tEENKUlT_SL_SM_SN_E_clIS8_S8_S9_S9_EESK_S10_SL_SM_SN_EUlS10_E1_NS1_11comp_targetILNS1_3genE0ELNS1_11target_archE4294967295ELNS1_3gpuE0ELNS1_3repE0EEENS1_36merge_oddeven_config_static_selectorELNS0_4arch9wavefront6targetE1EEEvSM_
                                        ; -- End function
	.section	.AMDGPU.csdata,"",@progbits
; Kernel info:
; codeLenInByte = 0
; NumSgprs: 4
; NumVgprs: 0
; NumAgprs: 0
; TotalNumVgprs: 0
; ScratchSize: 0
; MemoryBound: 0
; FloatMode: 240
; IeeeMode: 1
; LDSByteSize: 0 bytes/workgroup (compile time only)
; SGPRBlocks: 0
; VGPRBlocks: 0
; NumSGPRsForWavesPerEU: 4
; NumVGPRsForWavesPerEU: 1
; AccumOffset: 4
; Occupancy: 8
; WaveLimiterHint : 0
; COMPUTE_PGM_RSRC2:SCRATCH_EN: 0
; COMPUTE_PGM_RSRC2:USER_SGPR: 6
; COMPUTE_PGM_RSRC2:TRAP_HANDLER: 0
; COMPUTE_PGM_RSRC2:TGID_X_EN: 1
; COMPUTE_PGM_RSRC2:TGID_Y_EN: 0
; COMPUTE_PGM_RSRC2:TGID_Z_EN: 0
; COMPUTE_PGM_RSRC2:TIDIG_COMP_CNT: 0
; COMPUTE_PGM_RSRC3_GFX90A:ACCUM_OFFSET: 0
; COMPUTE_PGM_RSRC3_GFX90A:TG_SPLIT: 0
	.section	.text._ZN7rocprim17ROCPRIM_400000_NS6detail17trampoline_kernelINS0_14default_configENS1_38merge_sort_block_merge_config_selectorIlNS0_10empty_typeEEEZZNS1_27merge_sort_block_merge_implIS3_PlPS5_mZN2at6native12_GLOBAL__N_124unique_dim_cuda_templateImEESt5tupleIJNSA_6TensorESF_SF_EERKSF_lbbbEUlllE_EE10hipError_tT0_T1_T2_jT3_P12ihipStream_tbPNSt15iterator_traitsISL_E10value_typeEPNSR_ISM_E10value_typeEPSN_NS1_7vsmem_tEENKUlT_SL_SM_SN_E_clIS8_S8_S9_S9_EESK_S10_SL_SM_SN_EUlS10_E1_NS1_11comp_targetILNS1_3genE10ELNS1_11target_archE1201ELNS1_3gpuE5ELNS1_3repE0EEENS1_36merge_oddeven_config_static_selectorELNS0_4arch9wavefront6targetE1EEEvSM_,"axG",@progbits,_ZN7rocprim17ROCPRIM_400000_NS6detail17trampoline_kernelINS0_14default_configENS1_38merge_sort_block_merge_config_selectorIlNS0_10empty_typeEEEZZNS1_27merge_sort_block_merge_implIS3_PlPS5_mZN2at6native12_GLOBAL__N_124unique_dim_cuda_templateImEESt5tupleIJNSA_6TensorESF_SF_EERKSF_lbbbEUlllE_EE10hipError_tT0_T1_T2_jT3_P12ihipStream_tbPNSt15iterator_traitsISL_E10value_typeEPNSR_ISM_E10value_typeEPSN_NS1_7vsmem_tEENKUlT_SL_SM_SN_E_clIS8_S8_S9_S9_EESK_S10_SL_SM_SN_EUlS10_E1_NS1_11comp_targetILNS1_3genE10ELNS1_11target_archE1201ELNS1_3gpuE5ELNS1_3repE0EEENS1_36merge_oddeven_config_static_selectorELNS0_4arch9wavefront6targetE1EEEvSM_,comdat
	.globl	_ZN7rocprim17ROCPRIM_400000_NS6detail17trampoline_kernelINS0_14default_configENS1_38merge_sort_block_merge_config_selectorIlNS0_10empty_typeEEEZZNS1_27merge_sort_block_merge_implIS3_PlPS5_mZN2at6native12_GLOBAL__N_124unique_dim_cuda_templateImEESt5tupleIJNSA_6TensorESF_SF_EERKSF_lbbbEUlllE_EE10hipError_tT0_T1_T2_jT3_P12ihipStream_tbPNSt15iterator_traitsISL_E10value_typeEPNSR_ISM_E10value_typeEPSN_NS1_7vsmem_tEENKUlT_SL_SM_SN_E_clIS8_S8_S9_S9_EESK_S10_SL_SM_SN_EUlS10_E1_NS1_11comp_targetILNS1_3genE10ELNS1_11target_archE1201ELNS1_3gpuE5ELNS1_3repE0EEENS1_36merge_oddeven_config_static_selectorELNS0_4arch9wavefront6targetE1EEEvSM_ ; -- Begin function _ZN7rocprim17ROCPRIM_400000_NS6detail17trampoline_kernelINS0_14default_configENS1_38merge_sort_block_merge_config_selectorIlNS0_10empty_typeEEEZZNS1_27merge_sort_block_merge_implIS3_PlPS5_mZN2at6native12_GLOBAL__N_124unique_dim_cuda_templateImEESt5tupleIJNSA_6TensorESF_SF_EERKSF_lbbbEUlllE_EE10hipError_tT0_T1_T2_jT3_P12ihipStream_tbPNSt15iterator_traitsISL_E10value_typeEPNSR_ISM_E10value_typeEPSN_NS1_7vsmem_tEENKUlT_SL_SM_SN_E_clIS8_S8_S9_S9_EESK_S10_SL_SM_SN_EUlS10_E1_NS1_11comp_targetILNS1_3genE10ELNS1_11target_archE1201ELNS1_3gpuE5ELNS1_3repE0EEENS1_36merge_oddeven_config_static_selectorELNS0_4arch9wavefront6targetE1EEEvSM_
	.p2align	8
	.type	_ZN7rocprim17ROCPRIM_400000_NS6detail17trampoline_kernelINS0_14default_configENS1_38merge_sort_block_merge_config_selectorIlNS0_10empty_typeEEEZZNS1_27merge_sort_block_merge_implIS3_PlPS5_mZN2at6native12_GLOBAL__N_124unique_dim_cuda_templateImEESt5tupleIJNSA_6TensorESF_SF_EERKSF_lbbbEUlllE_EE10hipError_tT0_T1_T2_jT3_P12ihipStream_tbPNSt15iterator_traitsISL_E10value_typeEPNSR_ISM_E10value_typeEPSN_NS1_7vsmem_tEENKUlT_SL_SM_SN_E_clIS8_S8_S9_S9_EESK_S10_SL_SM_SN_EUlS10_E1_NS1_11comp_targetILNS1_3genE10ELNS1_11target_archE1201ELNS1_3gpuE5ELNS1_3repE0EEENS1_36merge_oddeven_config_static_selectorELNS0_4arch9wavefront6targetE1EEEvSM_,@function
_ZN7rocprim17ROCPRIM_400000_NS6detail17trampoline_kernelINS0_14default_configENS1_38merge_sort_block_merge_config_selectorIlNS0_10empty_typeEEEZZNS1_27merge_sort_block_merge_implIS3_PlPS5_mZN2at6native12_GLOBAL__N_124unique_dim_cuda_templateImEESt5tupleIJNSA_6TensorESF_SF_EERKSF_lbbbEUlllE_EE10hipError_tT0_T1_T2_jT3_P12ihipStream_tbPNSt15iterator_traitsISL_E10value_typeEPNSR_ISM_E10value_typeEPSN_NS1_7vsmem_tEENKUlT_SL_SM_SN_E_clIS8_S8_S9_S9_EESK_S10_SL_SM_SN_EUlS10_E1_NS1_11comp_targetILNS1_3genE10ELNS1_11target_archE1201ELNS1_3gpuE5ELNS1_3repE0EEENS1_36merge_oddeven_config_static_selectorELNS0_4arch9wavefront6targetE1EEEvSM_: ; @_ZN7rocprim17ROCPRIM_400000_NS6detail17trampoline_kernelINS0_14default_configENS1_38merge_sort_block_merge_config_selectorIlNS0_10empty_typeEEEZZNS1_27merge_sort_block_merge_implIS3_PlPS5_mZN2at6native12_GLOBAL__N_124unique_dim_cuda_templateImEESt5tupleIJNSA_6TensorESF_SF_EERKSF_lbbbEUlllE_EE10hipError_tT0_T1_T2_jT3_P12ihipStream_tbPNSt15iterator_traitsISL_E10value_typeEPNSR_ISM_E10value_typeEPSN_NS1_7vsmem_tEENKUlT_SL_SM_SN_E_clIS8_S8_S9_S9_EESK_S10_SL_SM_SN_EUlS10_E1_NS1_11comp_targetILNS1_3genE10ELNS1_11target_archE1201ELNS1_3gpuE5ELNS1_3repE0EEENS1_36merge_oddeven_config_static_selectorELNS0_4arch9wavefront6targetE1EEEvSM_
; %bb.0:
	.section	.rodata,"a",@progbits
	.p2align	6, 0x0
	.amdhsa_kernel _ZN7rocprim17ROCPRIM_400000_NS6detail17trampoline_kernelINS0_14default_configENS1_38merge_sort_block_merge_config_selectorIlNS0_10empty_typeEEEZZNS1_27merge_sort_block_merge_implIS3_PlPS5_mZN2at6native12_GLOBAL__N_124unique_dim_cuda_templateImEESt5tupleIJNSA_6TensorESF_SF_EERKSF_lbbbEUlllE_EE10hipError_tT0_T1_T2_jT3_P12ihipStream_tbPNSt15iterator_traitsISL_E10value_typeEPNSR_ISM_E10value_typeEPSN_NS1_7vsmem_tEENKUlT_SL_SM_SN_E_clIS8_S8_S9_S9_EESK_S10_SL_SM_SN_EUlS10_E1_NS1_11comp_targetILNS1_3genE10ELNS1_11target_archE1201ELNS1_3gpuE5ELNS1_3repE0EEENS1_36merge_oddeven_config_static_selectorELNS0_4arch9wavefront6targetE1EEEvSM_
		.amdhsa_group_segment_fixed_size 0
		.amdhsa_private_segment_fixed_size 0
		.amdhsa_kernarg_size 64
		.amdhsa_user_sgpr_count 6
		.amdhsa_user_sgpr_private_segment_buffer 1
		.amdhsa_user_sgpr_dispatch_ptr 0
		.amdhsa_user_sgpr_queue_ptr 0
		.amdhsa_user_sgpr_kernarg_segment_ptr 1
		.amdhsa_user_sgpr_dispatch_id 0
		.amdhsa_user_sgpr_flat_scratch_init 0
		.amdhsa_user_sgpr_kernarg_preload_length 0
		.amdhsa_user_sgpr_kernarg_preload_offset 0
		.amdhsa_user_sgpr_private_segment_size 0
		.amdhsa_uses_dynamic_stack 0
		.amdhsa_system_sgpr_private_segment_wavefront_offset 0
		.amdhsa_system_sgpr_workgroup_id_x 1
		.amdhsa_system_sgpr_workgroup_id_y 0
		.amdhsa_system_sgpr_workgroup_id_z 0
		.amdhsa_system_sgpr_workgroup_info 0
		.amdhsa_system_vgpr_workitem_id 0
		.amdhsa_next_free_vgpr 1
		.amdhsa_next_free_sgpr 0
		.amdhsa_accum_offset 4
		.amdhsa_reserve_vcc 0
		.amdhsa_reserve_flat_scratch 0
		.amdhsa_float_round_mode_32 0
		.amdhsa_float_round_mode_16_64 0
		.amdhsa_float_denorm_mode_32 3
		.amdhsa_float_denorm_mode_16_64 3
		.amdhsa_dx10_clamp 1
		.amdhsa_ieee_mode 1
		.amdhsa_fp16_overflow 0
		.amdhsa_tg_split 0
		.amdhsa_exception_fp_ieee_invalid_op 0
		.amdhsa_exception_fp_denorm_src 0
		.amdhsa_exception_fp_ieee_div_zero 0
		.amdhsa_exception_fp_ieee_overflow 0
		.amdhsa_exception_fp_ieee_underflow 0
		.amdhsa_exception_fp_ieee_inexact 0
		.amdhsa_exception_int_div_zero 0
	.end_amdhsa_kernel
	.section	.text._ZN7rocprim17ROCPRIM_400000_NS6detail17trampoline_kernelINS0_14default_configENS1_38merge_sort_block_merge_config_selectorIlNS0_10empty_typeEEEZZNS1_27merge_sort_block_merge_implIS3_PlPS5_mZN2at6native12_GLOBAL__N_124unique_dim_cuda_templateImEESt5tupleIJNSA_6TensorESF_SF_EERKSF_lbbbEUlllE_EE10hipError_tT0_T1_T2_jT3_P12ihipStream_tbPNSt15iterator_traitsISL_E10value_typeEPNSR_ISM_E10value_typeEPSN_NS1_7vsmem_tEENKUlT_SL_SM_SN_E_clIS8_S8_S9_S9_EESK_S10_SL_SM_SN_EUlS10_E1_NS1_11comp_targetILNS1_3genE10ELNS1_11target_archE1201ELNS1_3gpuE5ELNS1_3repE0EEENS1_36merge_oddeven_config_static_selectorELNS0_4arch9wavefront6targetE1EEEvSM_,"axG",@progbits,_ZN7rocprim17ROCPRIM_400000_NS6detail17trampoline_kernelINS0_14default_configENS1_38merge_sort_block_merge_config_selectorIlNS0_10empty_typeEEEZZNS1_27merge_sort_block_merge_implIS3_PlPS5_mZN2at6native12_GLOBAL__N_124unique_dim_cuda_templateImEESt5tupleIJNSA_6TensorESF_SF_EERKSF_lbbbEUlllE_EE10hipError_tT0_T1_T2_jT3_P12ihipStream_tbPNSt15iterator_traitsISL_E10value_typeEPNSR_ISM_E10value_typeEPSN_NS1_7vsmem_tEENKUlT_SL_SM_SN_E_clIS8_S8_S9_S9_EESK_S10_SL_SM_SN_EUlS10_E1_NS1_11comp_targetILNS1_3genE10ELNS1_11target_archE1201ELNS1_3gpuE5ELNS1_3repE0EEENS1_36merge_oddeven_config_static_selectorELNS0_4arch9wavefront6targetE1EEEvSM_,comdat
.Lfunc_end1629:
	.size	_ZN7rocprim17ROCPRIM_400000_NS6detail17trampoline_kernelINS0_14default_configENS1_38merge_sort_block_merge_config_selectorIlNS0_10empty_typeEEEZZNS1_27merge_sort_block_merge_implIS3_PlPS5_mZN2at6native12_GLOBAL__N_124unique_dim_cuda_templateImEESt5tupleIJNSA_6TensorESF_SF_EERKSF_lbbbEUlllE_EE10hipError_tT0_T1_T2_jT3_P12ihipStream_tbPNSt15iterator_traitsISL_E10value_typeEPNSR_ISM_E10value_typeEPSN_NS1_7vsmem_tEENKUlT_SL_SM_SN_E_clIS8_S8_S9_S9_EESK_S10_SL_SM_SN_EUlS10_E1_NS1_11comp_targetILNS1_3genE10ELNS1_11target_archE1201ELNS1_3gpuE5ELNS1_3repE0EEENS1_36merge_oddeven_config_static_selectorELNS0_4arch9wavefront6targetE1EEEvSM_, .Lfunc_end1629-_ZN7rocprim17ROCPRIM_400000_NS6detail17trampoline_kernelINS0_14default_configENS1_38merge_sort_block_merge_config_selectorIlNS0_10empty_typeEEEZZNS1_27merge_sort_block_merge_implIS3_PlPS5_mZN2at6native12_GLOBAL__N_124unique_dim_cuda_templateImEESt5tupleIJNSA_6TensorESF_SF_EERKSF_lbbbEUlllE_EE10hipError_tT0_T1_T2_jT3_P12ihipStream_tbPNSt15iterator_traitsISL_E10value_typeEPNSR_ISM_E10value_typeEPSN_NS1_7vsmem_tEENKUlT_SL_SM_SN_E_clIS8_S8_S9_S9_EESK_S10_SL_SM_SN_EUlS10_E1_NS1_11comp_targetILNS1_3genE10ELNS1_11target_archE1201ELNS1_3gpuE5ELNS1_3repE0EEENS1_36merge_oddeven_config_static_selectorELNS0_4arch9wavefront6targetE1EEEvSM_
                                        ; -- End function
	.section	.AMDGPU.csdata,"",@progbits
; Kernel info:
; codeLenInByte = 0
; NumSgprs: 4
; NumVgprs: 0
; NumAgprs: 0
; TotalNumVgprs: 0
; ScratchSize: 0
; MemoryBound: 0
; FloatMode: 240
; IeeeMode: 1
; LDSByteSize: 0 bytes/workgroup (compile time only)
; SGPRBlocks: 0
; VGPRBlocks: 0
; NumSGPRsForWavesPerEU: 4
; NumVGPRsForWavesPerEU: 1
; AccumOffset: 4
; Occupancy: 8
; WaveLimiterHint : 0
; COMPUTE_PGM_RSRC2:SCRATCH_EN: 0
; COMPUTE_PGM_RSRC2:USER_SGPR: 6
; COMPUTE_PGM_RSRC2:TRAP_HANDLER: 0
; COMPUTE_PGM_RSRC2:TGID_X_EN: 1
; COMPUTE_PGM_RSRC2:TGID_Y_EN: 0
; COMPUTE_PGM_RSRC2:TGID_Z_EN: 0
; COMPUTE_PGM_RSRC2:TIDIG_COMP_CNT: 0
; COMPUTE_PGM_RSRC3_GFX90A:ACCUM_OFFSET: 0
; COMPUTE_PGM_RSRC3_GFX90A:TG_SPLIT: 0
	.section	.text._ZN7rocprim17ROCPRIM_400000_NS6detail17trampoline_kernelINS0_14default_configENS1_38merge_sort_block_merge_config_selectorIlNS0_10empty_typeEEEZZNS1_27merge_sort_block_merge_implIS3_PlPS5_mZN2at6native12_GLOBAL__N_124unique_dim_cuda_templateImEESt5tupleIJNSA_6TensorESF_SF_EERKSF_lbbbEUlllE_EE10hipError_tT0_T1_T2_jT3_P12ihipStream_tbPNSt15iterator_traitsISL_E10value_typeEPNSR_ISM_E10value_typeEPSN_NS1_7vsmem_tEENKUlT_SL_SM_SN_E_clIS8_S8_S9_S9_EESK_S10_SL_SM_SN_EUlS10_E1_NS1_11comp_targetILNS1_3genE5ELNS1_11target_archE942ELNS1_3gpuE9ELNS1_3repE0EEENS1_36merge_oddeven_config_static_selectorELNS0_4arch9wavefront6targetE1EEEvSM_,"axG",@progbits,_ZN7rocprim17ROCPRIM_400000_NS6detail17trampoline_kernelINS0_14default_configENS1_38merge_sort_block_merge_config_selectorIlNS0_10empty_typeEEEZZNS1_27merge_sort_block_merge_implIS3_PlPS5_mZN2at6native12_GLOBAL__N_124unique_dim_cuda_templateImEESt5tupleIJNSA_6TensorESF_SF_EERKSF_lbbbEUlllE_EE10hipError_tT0_T1_T2_jT3_P12ihipStream_tbPNSt15iterator_traitsISL_E10value_typeEPNSR_ISM_E10value_typeEPSN_NS1_7vsmem_tEENKUlT_SL_SM_SN_E_clIS8_S8_S9_S9_EESK_S10_SL_SM_SN_EUlS10_E1_NS1_11comp_targetILNS1_3genE5ELNS1_11target_archE942ELNS1_3gpuE9ELNS1_3repE0EEENS1_36merge_oddeven_config_static_selectorELNS0_4arch9wavefront6targetE1EEEvSM_,comdat
	.globl	_ZN7rocprim17ROCPRIM_400000_NS6detail17trampoline_kernelINS0_14default_configENS1_38merge_sort_block_merge_config_selectorIlNS0_10empty_typeEEEZZNS1_27merge_sort_block_merge_implIS3_PlPS5_mZN2at6native12_GLOBAL__N_124unique_dim_cuda_templateImEESt5tupleIJNSA_6TensorESF_SF_EERKSF_lbbbEUlllE_EE10hipError_tT0_T1_T2_jT3_P12ihipStream_tbPNSt15iterator_traitsISL_E10value_typeEPNSR_ISM_E10value_typeEPSN_NS1_7vsmem_tEENKUlT_SL_SM_SN_E_clIS8_S8_S9_S9_EESK_S10_SL_SM_SN_EUlS10_E1_NS1_11comp_targetILNS1_3genE5ELNS1_11target_archE942ELNS1_3gpuE9ELNS1_3repE0EEENS1_36merge_oddeven_config_static_selectorELNS0_4arch9wavefront6targetE1EEEvSM_ ; -- Begin function _ZN7rocprim17ROCPRIM_400000_NS6detail17trampoline_kernelINS0_14default_configENS1_38merge_sort_block_merge_config_selectorIlNS0_10empty_typeEEEZZNS1_27merge_sort_block_merge_implIS3_PlPS5_mZN2at6native12_GLOBAL__N_124unique_dim_cuda_templateImEESt5tupleIJNSA_6TensorESF_SF_EERKSF_lbbbEUlllE_EE10hipError_tT0_T1_T2_jT3_P12ihipStream_tbPNSt15iterator_traitsISL_E10value_typeEPNSR_ISM_E10value_typeEPSN_NS1_7vsmem_tEENKUlT_SL_SM_SN_E_clIS8_S8_S9_S9_EESK_S10_SL_SM_SN_EUlS10_E1_NS1_11comp_targetILNS1_3genE5ELNS1_11target_archE942ELNS1_3gpuE9ELNS1_3repE0EEENS1_36merge_oddeven_config_static_selectorELNS0_4arch9wavefront6targetE1EEEvSM_
	.p2align	8
	.type	_ZN7rocprim17ROCPRIM_400000_NS6detail17trampoline_kernelINS0_14default_configENS1_38merge_sort_block_merge_config_selectorIlNS0_10empty_typeEEEZZNS1_27merge_sort_block_merge_implIS3_PlPS5_mZN2at6native12_GLOBAL__N_124unique_dim_cuda_templateImEESt5tupleIJNSA_6TensorESF_SF_EERKSF_lbbbEUlllE_EE10hipError_tT0_T1_T2_jT3_P12ihipStream_tbPNSt15iterator_traitsISL_E10value_typeEPNSR_ISM_E10value_typeEPSN_NS1_7vsmem_tEENKUlT_SL_SM_SN_E_clIS8_S8_S9_S9_EESK_S10_SL_SM_SN_EUlS10_E1_NS1_11comp_targetILNS1_3genE5ELNS1_11target_archE942ELNS1_3gpuE9ELNS1_3repE0EEENS1_36merge_oddeven_config_static_selectorELNS0_4arch9wavefront6targetE1EEEvSM_,@function
_ZN7rocprim17ROCPRIM_400000_NS6detail17trampoline_kernelINS0_14default_configENS1_38merge_sort_block_merge_config_selectorIlNS0_10empty_typeEEEZZNS1_27merge_sort_block_merge_implIS3_PlPS5_mZN2at6native12_GLOBAL__N_124unique_dim_cuda_templateImEESt5tupleIJNSA_6TensorESF_SF_EERKSF_lbbbEUlllE_EE10hipError_tT0_T1_T2_jT3_P12ihipStream_tbPNSt15iterator_traitsISL_E10value_typeEPNSR_ISM_E10value_typeEPSN_NS1_7vsmem_tEENKUlT_SL_SM_SN_E_clIS8_S8_S9_S9_EESK_S10_SL_SM_SN_EUlS10_E1_NS1_11comp_targetILNS1_3genE5ELNS1_11target_archE942ELNS1_3gpuE9ELNS1_3repE0EEENS1_36merge_oddeven_config_static_selectorELNS0_4arch9wavefront6targetE1EEEvSM_: ; @_ZN7rocprim17ROCPRIM_400000_NS6detail17trampoline_kernelINS0_14default_configENS1_38merge_sort_block_merge_config_selectorIlNS0_10empty_typeEEEZZNS1_27merge_sort_block_merge_implIS3_PlPS5_mZN2at6native12_GLOBAL__N_124unique_dim_cuda_templateImEESt5tupleIJNSA_6TensorESF_SF_EERKSF_lbbbEUlllE_EE10hipError_tT0_T1_T2_jT3_P12ihipStream_tbPNSt15iterator_traitsISL_E10value_typeEPNSR_ISM_E10value_typeEPSN_NS1_7vsmem_tEENKUlT_SL_SM_SN_E_clIS8_S8_S9_S9_EESK_S10_SL_SM_SN_EUlS10_E1_NS1_11comp_targetILNS1_3genE5ELNS1_11target_archE942ELNS1_3gpuE9ELNS1_3repE0EEENS1_36merge_oddeven_config_static_selectorELNS0_4arch9wavefront6targetE1EEEvSM_
; %bb.0:
	.section	.rodata,"a",@progbits
	.p2align	6, 0x0
	.amdhsa_kernel _ZN7rocprim17ROCPRIM_400000_NS6detail17trampoline_kernelINS0_14default_configENS1_38merge_sort_block_merge_config_selectorIlNS0_10empty_typeEEEZZNS1_27merge_sort_block_merge_implIS3_PlPS5_mZN2at6native12_GLOBAL__N_124unique_dim_cuda_templateImEESt5tupleIJNSA_6TensorESF_SF_EERKSF_lbbbEUlllE_EE10hipError_tT0_T1_T2_jT3_P12ihipStream_tbPNSt15iterator_traitsISL_E10value_typeEPNSR_ISM_E10value_typeEPSN_NS1_7vsmem_tEENKUlT_SL_SM_SN_E_clIS8_S8_S9_S9_EESK_S10_SL_SM_SN_EUlS10_E1_NS1_11comp_targetILNS1_3genE5ELNS1_11target_archE942ELNS1_3gpuE9ELNS1_3repE0EEENS1_36merge_oddeven_config_static_selectorELNS0_4arch9wavefront6targetE1EEEvSM_
		.amdhsa_group_segment_fixed_size 0
		.amdhsa_private_segment_fixed_size 0
		.amdhsa_kernarg_size 64
		.amdhsa_user_sgpr_count 6
		.amdhsa_user_sgpr_private_segment_buffer 1
		.amdhsa_user_sgpr_dispatch_ptr 0
		.amdhsa_user_sgpr_queue_ptr 0
		.amdhsa_user_sgpr_kernarg_segment_ptr 1
		.amdhsa_user_sgpr_dispatch_id 0
		.amdhsa_user_sgpr_flat_scratch_init 0
		.amdhsa_user_sgpr_kernarg_preload_length 0
		.amdhsa_user_sgpr_kernarg_preload_offset 0
		.amdhsa_user_sgpr_private_segment_size 0
		.amdhsa_uses_dynamic_stack 0
		.amdhsa_system_sgpr_private_segment_wavefront_offset 0
		.amdhsa_system_sgpr_workgroup_id_x 1
		.amdhsa_system_sgpr_workgroup_id_y 0
		.amdhsa_system_sgpr_workgroup_id_z 0
		.amdhsa_system_sgpr_workgroup_info 0
		.amdhsa_system_vgpr_workitem_id 0
		.amdhsa_next_free_vgpr 1
		.amdhsa_next_free_sgpr 0
		.amdhsa_accum_offset 4
		.amdhsa_reserve_vcc 0
		.amdhsa_reserve_flat_scratch 0
		.amdhsa_float_round_mode_32 0
		.amdhsa_float_round_mode_16_64 0
		.amdhsa_float_denorm_mode_32 3
		.amdhsa_float_denorm_mode_16_64 3
		.amdhsa_dx10_clamp 1
		.amdhsa_ieee_mode 1
		.amdhsa_fp16_overflow 0
		.amdhsa_tg_split 0
		.amdhsa_exception_fp_ieee_invalid_op 0
		.amdhsa_exception_fp_denorm_src 0
		.amdhsa_exception_fp_ieee_div_zero 0
		.amdhsa_exception_fp_ieee_overflow 0
		.amdhsa_exception_fp_ieee_underflow 0
		.amdhsa_exception_fp_ieee_inexact 0
		.amdhsa_exception_int_div_zero 0
	.end_amdhsa_kernel
	.section	.text._ZN7rocprim17ROCPRIM_400000_NS6detail17trampoline_kernelINS0_14default_configENS1_38merge_sort_block_merge_config_selectorIlNS0_10empty_typeEEEZZNS1_27merge_sort_block_merge_implIS3_PlPS5_mZN2at6native12_GLOBAL__N_124unique_dim_cuda_templateImEESt5tupleIJNSA_6TensorESF_SF_EERKSF_lbbbEUlllE_EE10hipError_tT0_T1_T2_jT3_P12ihipStream_tbPNSt15iterator_traitsISL_E10value_typeEPNSR_ISM_E10value_typeEPSN_NS1_7vsmem_tEENKUlT_SL_SM_SN_E_clIS8_S8_S9_S9_EESK_S10_SL_SM_SN_EUlS10_E1_NS1_11comp_targetILNS1_3genE5ELNS1_11target_archE942ELNS1_3gpuE9ELNS1_3repE0EEENS1_36merge_oddeven_config_static_selectorELNS0_4arch9wavefront6targetE1EEEvSM_,"axG",@progbits,_ZN7rocprim17ROCPRIM_400000_NS6detail17trampoline_kernelINS0_14default_configENS1_38merge_sort_block_merge_config_selectorIlNS0_10empty_typeEEEZZNS1_27merge_sort_block_merge_implIS3_PlPS5_mZN2at6native12_GLOBAL__N_124unique_dim_cuda_templateImEESt5tupleIJNSA_6TensorESF_SF_EERKSF_lbbbEUlllE_EE10hipError_tT0_T1_T2_jT3_P12ihipStream_tbPNSt15iterator_traitsISL_E10value_typeEPNSR_ISM_E10value_typeEPSN_NS1_7vsmem_tEENKUlT_SL_SM_SN_E_clIS8_S8_S9_S9_EESK_S10_SL_SM_SN_EUlS10_E1_NS1_11comp_targetILNS1_3genE5ELNS1_11target_archE942ELNS1_3gpuE9ELNS1_3repE0EEENS1_36merge_oddeven_config_static_selectorELNS0_4arch9wavefront6targetE1EEEvSM_,comdat
.Lfunc_end1630:
	.size	_ZN7rocprim17ROCPRIM_400000_NS6detail17trampoline_kernelINS0_14default_configENS1_38merge_sort_block_merge_config_selectorIlNS0_10empty_typeEEEZZNS1_27merge_sort_block_merge_implIS3_PlPS5_mZN2at6native12_GLOBAL__N_124unique_dim_cuda_templateImEESt5tupleIJNSA_6TensorESF_SF_EERKSF_lbbbEUlllE_EE10hipError_tT0_T1_T2_jT3_P12ihipStream_tbPNSt15iterator_traitsISL_E10value_typeEPNSR_ISM_E10value_typeEPSN_NS1_7vsmem_tEENKUlT_SL_SM_SN_E_clIS8_S8_S9_S9_EESK_S10_SL_SM_SN_EUlS10_E1_NS1_11comp_targetILNS1_3genE5ELNS1_11target_archE942ELNS1_3gpuE9ELNS1_3repE0EEENS1_36merge_oddeven_config_static_selectorELNS0_4arch9wavefront6targetE1EEEvSM_, .Lfunc_end1630-_ZN7rocprim17ROCPRIM_400000_NS6detail17trampoline_kernelINS0_14default_configENS1_38merge_sort_block_merge_config_selectorIlNS0_10empty_typeEEEZZNS1_27merge_sort_block_merge_implIS3_PlPS5_mZN2at6native12_GLOBAL__N_124unique_dim_cuda_templateImEESt5tupleIJNSA_6TensorESF_SF_EERKSF_lbbbEUlllE_EE10hipError_tT0_T1_T2_jT3_P12ihipStream_tbPNSt15iterator_traitsISL_E10value_typeEPNSR_ISM_E10value_typeEPSN_NS1_7vsmem_tEENKUlT_SL_SM_SN_E_clIS8_S8_S9_S9_EESK_S10_SL_SM_SN_EUlS10_E1_NS1_11comp_targetILNS1_3genE5ELNS1_11target_archE942ELNS1_3gpuE9ELNS1_3repE0EEENS1_36merge_oddeven_config_static_selectorELNS0_4arch9wavefront6targetE1EEEvSM_
                                        ; -- End function
	.section	.AMDGPU.csdata,"",@progbits
; Kernel info:
; codeLenInByte = 0
; NumSgprs: 4
; NumVgprs: 0
; NumAgprs: 0
; TotalNumVgprs: 0
; ScratchSize: 0
; MemoryBound: 0
; FloatMode: 240
; IeeeMode: 1
; LDSByteSize: 0 bytes/workgroup (compile time only)
; SGPRBlocks: 0
; VGPRBlocks: 0
; NumSGPRsForWavesPerEU: 4
; NumVGPRsForWavesPerEU: 1
; AccumOffset: 4
; Occupancy: 8
; WaveLimiterHint : 0
; COMPUTE_PGM_RSRC2:SCRATCH_EN: 0
; COMPUTE_PGM_RSRC2:USER_SGPR: 6
; COMPUTE_PGM_RSRC2:TRAP_HANDLER: 0
; COMPUTE_PGM_RSRC2:TGID_X_EN: 1
; COMPUTE_PGM_RSRC2:TGID_Y_EN: 0
; COMPUTE_PGM_RSRC2:TGID_Z_EN: 0
; COMPUTE_PGM_RSRC2:TIDIG_COMP_CNT: 0
; COMPUTE_PGM_RSRC3_GFX90A:ACCUM_OFFSET: 0
; COMPUTE_PGM_RSRC3_GFX90A:TG_SPLIT: 0
	.section	.text._ZN7rocprim17ROCPRIM_400000_NS6detail17trampoline_kernelINS0_14default_configENS1_38merge_sort_block_merge_config_selectorIlNS0_10empty_typeEEEZZNS1_27merge_sort_block_merge_implIS3_PlPS5_mZN2at6native12_GLOBAL__N_124unique_dim_cuda_templateImEESt5tupleIJNSA_6TensorESF_SF_EERKSF_lbbbEUlllE_EE10hipError_tT0_T1_T2_jT3_P12ihipStream_tbPNSt15iterator_traitsISL_E10value_typeEPNSR_ISM_E10value_typeEPSN_NS1_7vsmem_tEENKUlT_SL_SM_SN_E_clIS8_S8_S9_S9_EESK_S10_SL_SM_SN_EUlS10_E1_NS1_11comp_targetILNS1_3genE4ELNS1_11target_archE910ELNS1_3gpuE8ELNS1_3repE0EEENS1_36merge_oddeven_config_static_selectorELNS0_4arch9wavefront6targetE1EEEvSM_,"axG",@progbits,_ZN7rocprim17ROCPRIM_400000_NS6detail17trampoline_kernelINS0_14default_configENS1_38merge_sort_block_merge_config_selectorIlNS0_10empty_typeEEEZZNS1_27merge_sort_block_merge_implIS3_PlPS5_mZN2at6native12_GLOBAL__N_124unique_dim_cuda_templateImEESt5tupleIJNSA_6TensorESF_SF_EERKSF_lbbbEUlllE_EE10hipError_tT0_T1_T2_jT3_P12ihipStream_tbPNSt15iterator_traitsISL_E10value_typeEPNSR_ISM_E10value_typeEPSN_NS1_7vsmem_tEENKUlT_SL_SM_SN_E_clIS8_S8_S9_S9_EESK_S10_SL_SM_SN_EUlS10_E1_NS1_11comp_targetILNS1_3genE4ELNS1_11target_archE910ELNS1_3gpuE8ELNS1_3repE0EEENS1_36merge_oddeven_config_static_selectorELNS0_4arch9wavefront6targetE1EEEvSM_,comdat
	.globl	_ZN7rocprim17ROCPRIM_400000_NS6detail17trampoline_kernelINS0_14default_configENS1_38merge_sort_block_merge_config_selectorIlNS0_10empty_typeEEEZZNS1_27merge_sort_block_merge_implIS3_PlPS5_mZN2at6native12_GLOBAL__N_124unique_dim_cuda_templateImEESt5tupleIJNSA_6TensorESF_SF_EERKSF_lbbbEUlllE_EE10hipError_tT0_T1_T2_jT3_P12ihipStream_tbPNSt15iterator_traitsISL_E10value_typeEPNSR_ISM_E10value_typeEPSN_NS1_7vsmem_tEENKUlT_SL_SM_SN_E_clIS8_S8_S9_S9_EESK_S10_SL_SM_SN_EUlS10_E1_NS1_11comp_targetILNS1_3genE4ELNS1_11target_archE910ELNS1_3gpuE8ELNS1_3repE0EEENS1_36merge_oddeven_config_static_selectorELNS0_4arch9wavefront6targetE1EEEvSM_ ; -- Begin function _ZN7rocprim17ROCPRIM_400000_NS6detail17trampoline_kernelINS0_14default_configENS1_38merge_sort_block_merge_config_selectorIlNS0_10empty_typeEEEZZNS1_27merge_sort_block_merge_implIS3_PlPS5_mZN2at6native12_GLOBAL__N_124unique_dim_cuda_templateImEESt5tupleIJNSA_6TensorESF_SF_EERKSF_lbbbEUlllE_EE10hipError_tT0_T1_T2_jT3_P12ihipStream_tbPNSt15iterator_traitsISL_E10value_typeEPNSR_ISM_E10value_typeEPSN_NS1_7vsmem_tEENKUlT_SL_SM_SN_E_clIS8_S8_S9_S9_EESK_S10_SL_SM_SN_EUlS10_E1_NS1_11comp_targetILNS1_3genE4ELNS1_11target_archE910ELNS1_3gpuE8ELNS1_3repE0EEENS1_36merge_oddeven_config_static_selectorELNS0_4arch9wavefront6targetE1EEEvSM_
	.p2align	8
	.type	_ZN7rocprim17ROCPRIM_400000_NS6detail17trampoline_kernelINS0_14default_configENS1_38merge_sort_block_merge_config_selectorIlNS0_10empty_typeEEEZZNS1_27merge_sort_block_merge_implIS3_PlPS5_mZN2at6native12_GLOBAL__N_124unique_dim_cuda_templateImEESt5tupleIJNSA_6TensorESF_SF_EERKSF_lbbbEUlllE_EE10hipError_tT0_T1_T2_jT3_P12ihipStream_tbPNSt15iterator_traitsISL_E10value_typeEPNSR_ISM_E10value_typeEPSN_NS1_7vsmem_tEENKUlT_SL_SM_SN_E_clIS8_S8_S9_S9_EESK_S10_SL_SM_SN_EUlS10_E1_NS1_11comp_targetILNS1_3genE4ELNS1_11target_archE910ELNS1_3gpuE8ELNS1_3repE0EEENS1_36merge_oddeven_config_static_selectorELNS0_4arch9wavefront6targetE1EEEvSM_,@function
_ZN7rocprim17ROCPRIM_400000_NS6detail17trampoline_kernelINS0_14default_configENS1_38merge_sort_block_merge_config_selectorIlNS0_10empty_typeEEEZZNS1_27merge_sort_block_merge_implIS3_PlPS5_mZN2at6native12_GLOBAL__N_124unique_dim_cuda_templateImEESt5tupleIJNSA_6TensorESF_SF_EERKSF_lbbbEUlllE_EE10hipError_tT0_T1_T2_jT3_P12ihipStream_tbPNSt15iterator_traitsISL_E10value_typeEPNSR_ISM_E10value_typeEPSN_NS1_7vsmem_tEENKUlT_SL_SM_SN_E_clIS8_S8_S9_S9_EESK_S10_SL_SM_SN_EUlS10_E1_NS1_11comp_targetILNS1_3genE4ELNS1_11target_archE910ELNS1_3gpuE8ELNS1_3repE0EEENS1_36merge_oddeven_config_static_selectorELNS0_4arch9wavefront6targetE1EEEvSM_: ; @_ZN7rocprim17ROCPRIM_400000_NS6detail17trampoline_kernelINS0_14default_configENS1_38merge_sort_block_merge_config_selectorIlNS0_10empty_typeEEEZZNS1_27merge_sort_block_merge_implIS3_PlPS5_mZN2at6native12_GLOBAL__N_124unique_dim_cuda_templateImEESt5tupleIJNSA_6TensorESF_SF_EERKSF_lbbbEUlllE_EE10hipError_tT0_T1_T2_jT3_P12ihipStream_tbPNSt15iterator_traitsISL_E10value_typeEPNSR_ISM_E10value_typeEPSN_NS1_7vsmem_tEENKUlT_SL_SM_SN_E_clIS8_S8_S9_S9_EESK_S10_SL_SM_SN_EUlS10_E1_NS1_11comp_targetILNS1_3genE4ELNS1_11target_archE910ELNS1_3gpuE8ELNS1_3repE0EEENS1_36merge_oddeven_config_static_selectorELNS0_4arch9wavefront6targetE1EEEvSM_
; %bb.0:
	s_load_dword s22, s[4:5], 0x20
	s_waitcnt lgkmcnt(0)
	s_lshr_b32 s0, s22, 8
	s_cmp_lg_u32 s6, s0
	s_cselect_b64 s[12:13], -1, 0
	s_cmp_eq_u32 s6, s0
	s_cselect_b64 s[2:3], -1, 0
	s_lshl_b32 s20, s6, 8
	s_sub_i32 s0, s22, s20
	v_cmp_gt_u32_e64 s[0:1], s0, v0
	s_or_b64 s[8:9], s[12:13], s[0:1]
	s_and_saveexec_b64 s[10:11], s[8:9]
	s_cbranch_execz .LBB1631_54
; %bb.1:
	s_load_dwordx4 s[8:11], s[4:5], 0x0
	s_load_dword s23, s[4:5], 0x28
	s_mov_b32 s21, 0
	s_lshl_b64 s[14:15], s[20:21], 3
	v_lshlrev_b32_e32 v1, 3, v0
	s_waitcnt lgkmcnt(0)
	s_add_u32 s14, s8, s14
	s_addc_u32 s15, s9, s15
	global_load_dwordx2 v[2:3], v1, s[14:15]
	s_lshr_b32 s7, s23, 8
	s_sub_i32 s14, 0, s7
	s_and_b32 s6, s6, s14
	s_and_b32 s7, s6, s7
	s_cmp_lg_u32 s7, 0
	s_cselect_b64 s[16:17], -1, 0
	s_lshl_b32 s21, s6, 8
	s_sub_i32 s6, 0, s23
	s_cmp_eq_u32 s7, 0
	s_cselect_b32 s33, s23, s6
	s_add_i32 s33, s33, s21
	s_cmp_lt_u32 s33, s22
	s_cbranch_scc1 .LBB1631_3
; %bb.2:
	v_add_u32_e32 v4, s20, v0
	v_cmp_gt_u32_e32 vcc, s22, v4
	s_or_b64 s[12:13], vcc, s[12:13]
	s_and_b64 s[18:19], s[12:13], exec
	s_cbranch_execz .LBB1631_4
	s_branch .LBB1631_52
.LBB1631_3:
	s_mov_b64 s[18:19], 0
                                        ; implicit-def: $vgpr4
.LBB1631_4:
	s_load_dwordx4 s[12:15], s[4:5], 0x30
	s_min_u32 s44, s33, s22
	s_add_i32 s4, s44, s23
	s_min_u32 s45, s4, s22
	s_min_u32 s4, s21, s44
	v_add_u32_e32 v0, s20, v0
	s_add_i32 s21, s21, s44
	v_subrev_u32_e32 v0, s21, v0
	v_add_u32_e32 v12, s4, v0
	s_and_b64 vcc, exec, s[2:3]
	s_cbranch_vccz .LBB1631_26
; %bb.5:
                                        ; implicit-def: $vgpr4
	s_and_saveexec_b64 s[20:21], s[0:1]
	s_cbranch_execz .LBB1631_29
; %bb.6:
	s_cmp_ge_u32 s33, s45
	v_mov_b32_e32 v13, s44
	s_cbranch_scc1 .LBB1631_28
; %bb.7:
	s_waitcnt vmcnt(0) lgkmcnt(0)
	v_mul_lo_u32 v4, v3, s12
	v_mul_lo_u32 v5, v2, s13
	v_mad_u64_u32 v[0:1], s[0:1], v2, s12, 0
	v_add3_u32 v1, v1, v5, v4
	v_lshlrev_b64 v[0:1], 3, v[0:1]
	v_mov_b32_e32 v4, s15
	v_add_co_u32_e32 v0, vcc, s14, v0
	v_addc_co_u32_e32 v1, vcc, v4, v1, vcc
	v_cndmask_b32_e64 v4, 0, 1, s[16:17]
	v_cmp_gt_i64_e64 s[2:3], s[12:13], 0
	v_cmp_ne_u32_e64 s[0:1], 1, v4
	v_cndmask_b32_e64 v4, 0, 1, s[2:3]
	s_mov_b64 s[22:23], 0
	s_lshl_b64 s[24:25], s[12:13], 3
	v_mov_b32_e32 v14, s45
	v_mov_b32_e32 v13, s44
	;; [unrolled: 1-line block ×4, first 2 shown]
	v_cmp_ne_u32_e64 s[2:3], 1, v4
	s_branch .LBB1631_10
.LBB1631_8:                             ;   in Loop: Header=BB1631_10 Depth=1
	s_or_b64 exec, exec, s[28:29]
.LBB1631_9:                             ;   in Loop: Header=BB1631_10 Depth=1
	s_waitcnt vmcnt(0)
	v_add_u32_e32 v6, 1, v4
	v_cndmask_b32_e64 v14, v4, v14, s[26:27]
	v_cndmask_b32_e64 v13, v13, v6, s[26:27]
	v_cmp_ge_u32_e32 vcc, v13, v14
	s_or_b64 s[22:23], vcc, s[22:23]
	s_andn2_b64 exec, exec, s[22:23]
	s_cbranch_execz .LBB1631_27
.LBB1631_10:                            ; =>This Loop Header: Depth=1
                                        ;     Child Loop BB1631_14 Depth 2
                                        ;     Child Loop BB1631_23 Depth 2
	v_add_u32_e32 v4, v13, v14
	v_lshrrev_b32_e32 v4, 1, v4
	v_lshlrev_b64 v[6:7], 3, v[4:5]
	v_add_co_u32_e32 v6, vcc, s8, v6
	v_addc_co_u32_e32 v7, vcc, v15, v7, vcc
	global_load_dwordx2 v[6:7], v[6:7], off
	s_and_b64 vcc, exec, s[0:1]
	s_mov_b64 s[4:5], -1
                                        ; implicit-def: $sgpr26_sgpr27
	s_cbranch_vccnz .LBB1631_19
; %bb.11:                               ;   in Loop: Header=BB1631_10 Depth=1
	s_and_b64 vcc, exec, s[2:3]
	s_cbranch_vccnz .LBB1631_17
; %bb.12:                               ;   in Loop: Header=BB1631_10 Depth=1
	v_pk_mov_b32 v[8:9], s[14:15], s[14:15] op_sel:[0,1]
	s_waitcnt vmcnt(0)
	v_mad_u64_u32 v[8:9], s[4:5], s24, v6, v[8:9]
	v_mul_lo_u32 v10, s24, v7
	v_mul_lo_u32 v11, s25, v6
	v_add3_u32 v9, v11, v9, v10
	s_mov_b64 s[28:29], 0
	s_mov_b64 s[36:37], s[12:13]
	v_pk_mov_b32 v[10:11], v[0:1], v[0:1] op_sel:[0,1]
                                        ; implicit-def: $sgpr26_sgpr27
                                        ; implicit-def: $sgpr30_sgpr31
                                        ; implicit-def: $sgpr34_sgpr35
                                        ; implicit-def: $sgpr4_sgpr5
                                        ; implicit-def: $sgpr38_sgpr39
	s_branch .LBB1631_14
.LBB1631_13:                            ;   in Loop: Header=BB1631_14 Depth=2
	s_or_b64 exec, exec, s[40:41]
	s_and_b64 s[6:7], exec, s[30:31]
	s_or_b64 s[28:29], s[6:7], s[28:29]
	s_andn2_b64 s[6:7], s[38:39], exec
	s_and_b64 s[38:39], s[34:35], exec
	s_or_b64 s[38:39], s[6:7], s[38:39]
	s_andn2_b64 s[6:7], s[26:27], exec
	s_and_b64 s[26:27], s[4:5], exec
	s_or_b64 s[26:27], s[6:7], s[26:27]
	s_andn2_b64 exec, exec, s[28:29]
	s_cbranch_execz .LBB1631_16
.LBB1631_14:                            ;   Parent Loop BB1631_10 Depth=1
                                        ; =>  This Inner Loop Header: Depth=2
	global_load_dwordx2 v[16:17], v[10:11], off
	global_load_dwordx2 v[18:19], v[8:9], off
	s_andn2_b64 s[40:41], s[4:5], exec
	s_andn2_b64 s[34:35], s[34:35], exec
	s_or_b64 s[30:31], s[30:31], exec
	s_waitcnt vmcnt(0)
	v_cmp_le_u64_e64 s[4:5], v[16:17], v[18:19]
	v_cmp_lt_u64_e32 vcc, v[16:17], v[18:19]
	s_and_b64 s[4:5], s[4:5], s[38:39]
	s_or_b64 s[42:43], vcc, s[4:5]
	s_and_b64 s[4:5], s[42:43], exec
	v_cmp_eq_u64_e64 s[6:7], v[16:17], v[18:19]
	s_or_b64 s[4:5], s[40:41], s[4:5]
	s_and_saveexec_b64 s[40:41], s[6:7]
	s_cbranch_execz .LBB1631_13
; %bb.15:                               ;   in Loop: Header=BB1631_14 Depth=2
	s_add_u32 s36, s36, -1
	s_addc_u32 s37, s37, -1
	v_add_co_u32_e32 v10, vcc, 8, v10
	s_cmp_eq_u64 s[36:37], 0
	v_addc_co_u32_e32 v11, vcc, 0, v11, vcc
	s_cselect_b64 s[6:7], -1, 0
	v_add_co_u32_e32 v8, vcc, 8, v8
	s_andn2_b64 s[34:35], s[34:35], exec
	s_and_b64 s[38:39], s[42:43], exec
	s_andn2_b64 s[30:31], s[30:31], exec
	s_and_b64 s[6:7], s[6:7], exec
	v_addc_co_u32_e32 v9, vcc, 0, v9, vcc
	s_andn2_b64 s[4:5], s[4:5], exec
	s_or_b64 s[34:35], s[34:35], s[38:39]
	s_or_b64 s[30:31], s[30:31], s[6:7]
                                        ; implicit-def: $sgpr38_sgpr39
	s_branch .LBB1631_13
.LBB1631_16:                            ;   in Loop: Header=BB1631_10 Depth=1
	s_or_b64 exec, exec, s[28:29]
	s_branch .LBB1631_18
.LBB1631_17:                            ;   in Loop: Header=BB1631_10 Depth=1
	s_mov_b64 s[26:27], 0
.LBB1631_18:                            ;   in Loop: Header=BB1631_10 Depth=1
	s_xor_b64 s[26:27], s[26:27], -1
	s_mov_b64 s[4:5], 0
.LBB1631_19:                            ;   in Loop: Header=BB1631_10 Depth=1
	s_and_b64 vcc, exec, s[4:5]
	s_cbranch_vccz .LBB1631_9
; %bb.20:                               ;   in Loop: Header=BB1631_10 Depth=1
	s_and_b64 vcc, exec, s[2:3]
	s_cbranch_vccnz .LBB1631_25
; %bb.21:                               ;   in Loop: Header=BB1631_10 Depth=1
	v_pk_mov_b32 v[8:9], s[14:15], s[14:15] op_sel:[0,1]
	s_waitcnt vmcnt(0)
	v_mad_u64_u32 v[8:9], s[4:5], s24, v6, v[8:9]
	v_mul_lo_u32 v7, s24, v7
	v_mul_lo_u32 v6, s25, v6
	v_add3_u32 v9, v6, v9, v7
	s_mov_b64 s[28:29], 0
	s_mov_b64 s[36:37], s[12:13]
	v_pk_mov_b32 v[6:7], v[0:1], v[0:1] op_sel:[0,1]
                                        ; implicit-def: $sgpr26_sgpr27
                                        ; implicit-def: $sgpr30_sgpr31
                                        ; implicit-def: $sgpr34_sgpr35
                                        ; implicit-def: $sgpr4_sgpr5
                                        ; implicit-def: $sgpr38_sgpr39
	s_branch .LBB1631_23
.LBB1631_22:                            ;   in Loop: Header=BB1631_23 Depth=2
	s_or_b64 exec, exec, s[40:41]
	s_and_b64 s[6:7], exec, s[30:31]
	s_or_b64 s[28:29], s[6:7], s[28:29]
	s_andn2_b64 s[6:7], s[38:39], exec
	s_and_b64 s[38:39], s[34:35], exec
	s_or_b64 s[38:39], s[6:7], s[38:39]
	s_andn2_b64 s[6:7], s[26:27], exec
	s_and_b64 s[26:27], s[4:5], exec
	s_or_b64 s[26:27], s[6:7], s[26:27]
	s_andn2_b64 exec, exec, s[28:29]
	s_cbranch_execz .LBB1631_8
.LBB1631_23:                            ;   Parent Loop BB1631_10 Depth=1
                                        ; =>  This Inner Loop Header: Depth=2
	global_load_dwordx2 v[10:11], v[8:9], off
	global_load_dwordx2 v[16:17], v[6:7], off
	s_andn2_b64 s[40:41], s[4:5], exec
	s_andn2_b64 s[34:35], s[34:35], exec
	s_or_b64 s[30:31], s[30:31], exec
	s_waitcnt vmcnt(0)
	v_cmp_le_u64_e64 s[4:5], v[10:11], v[16:17]
	v_cmp_lt_u64_e32 vcc, v[10:11], v[16:17]
	s_and_b64 s[4:5], s[4:5], s[38:39]
	s_or_b64 s[42:43], vcc, s[4:5]
	s_and_b64 s[4:5], s[42:43], exec
	v_cmp_eq_u64_e64 s[6:7], v[10:11], v[16:17]
	s_or_b64 s[4:5], s[40:41], s[4:5]
	s_and_saveexec_b64 s[40:41], s[6:7]
	s_cbranch_execz .LBB1631_22
; %bb.24:                               ;   in Loop: Header=BB1631_23 Depth=2
	s_add_u32 s36, s36, -1
	s_addc_u32 s37, s37, -1
	v_add_co_u32_e32 v8, vcc, 8, v8
	s_cmp_eq_u64 s[36:37], 0
	v_addc_co_u32_e32 v9, vcc, 0, v9, vcc
	s_cselect_b64 s[6:7], -1, 0
	v_add_co_u32_e32 v6, vcc, 8, v6
	s_andn2_b64 s[34:35], s[34:35], exec
	s_and_b64 s[38:39], s[42:43], exec
	s_andn2_b64 s[30:31], s[30:31], exec
	s_and_b64 s[6:7], s[6:7], exec
	v_addc_co_u32_e32 v7, vcc, 0, v7, vcc
	s_andn2_b64 s[4:5], s[4:5], exec
	s_or_b64 s[34:35], s[34:35], s[38:39]
	s_or_b64 s[30:31], s[30:31], s[6:7]
                                        ; implicit-def: $sgpr38_sgpr39
	s_branch .LBB1631_22
.LBB1631_25:                            ;   in Loop: Header=BB1631_10 Depth=1
	s_mov_b64 s[26:27], 0
	s_branch .LBB1631_9
.LBB1631_26:
                                        ; implicit-def: $vgpr4
	s_cbranch_execnz .LBB1631_30
	s_branch .LBB1631_52
.LBB1631_27:
	s_or_b64 exec, exec, s[22:23]
.LBB1631_28:
	v_add_u32_e32 v4, v13, v12
	s_or_b64 s[18:19], s[18:19], exec
.LBB1631_29:
	s_or_b64 exec, exec, s[20:21]
	s_branch .LBB1631_52
.LBB1631_30:
	s_cmp_ge_u32 s33, s45
	v_mov_b32_e32 v13, s44
	s_cbranch_scc1 .LBB1631_51
; %bb.31:
	s_waitcnt vmcnt(0) lgkmcnt(0)
	v_mul_lo_u32 v4, v3, s12
	v_mul_lo_u32 v5, v2, s13
	v_mad_u64_u32 v[0:1], s[0:1], v2, s12, 0
	v_add3_u32 v1, v1, v5, v4
	v_lshlrev_b64 v[0:1], 3, v[0:1]
	v_mov_b32_e32 v4, s15
	v_add_co_u32_e32 v0, vcc, s14, v0
	v_addc_co_u32_e32 v1, vcc, v4, v1, vcc
	v_cndmask_b32_e64 v4, 0, 1, s[16:17]
	v_cmp_gt_i64_e64 s[2:3], s[12:13], 0
	v_cmp_ne_u32_e64 s[0:1], 1, v4
	v_cndmask_b32_e64 v4, 0, 1, s[2:3]
	s_mov_b64 s[18:19], 0
	s_lshl_b64 s[20:21], s[12:13], 3
	v_mov_b32_e32 v14, s45
	v_mov_b32_e32 v13, s44
	;; [unrolled: 1-line block ×4, first 2 shown]
	v_cmp_ne_u32_e64 s[2:3], 1, v4
	s_branch .LBB1631_34
.LBB1631_32:                            ;   in Loop: Header=BB1631_34 Depth=1
	s_or_b64 exec, exec, s[22:23]
.LBB1631_33:                            ;   in Loop: Header=BB1631_34 Depth=1
	s_waitcnt vmcnt(0)
	v_add_u32_e32 v6, 1, v4
	v_cndmask_b32_e64 v14, v4, v14, s[16:17]
	v_cndmask_b32_e64 v13, v13, v6, s[16:17]
	v_cmp_ge_u32_e32 vcc, v13, v14
	s_or_b64 s[18:19], vcc, s[18:19]
	s_andn2_b64 exec, exec, s[18:19]
	s_cbranch_execz .LBB1631_50
.LBB1631_34:                            ; =>This Loop Header: Depth=1
                                        ;     Child Loop BB1631_38 Depth 2
                                        ;     Child Loop BB1631_47 Depth 2
	v_add_u32_e32 v4, v13, v14
	v_lshrrev_b32_e32 v4, 1, v4
	v_lshlrev_b64 v[6:7], 3, v[4:5]
	v_add_co_u32_e32 v6, vcc, s8, v6
	v_addc_co_u32_e32 v7, vcc, v15, v7, vcc
	global_load_dwordx2 v[6:7], v[6:7], off
	s_and_b64 vcc, exec, s[0:1]
	s_mov_b64 s[4:5], -1
                                        ; implicit-def: $sgpr16_sgpr17
	s_cbranch_vccnz .LBB1631_43
; %bb.35:                               ;   in Loop: Header=BB1631_34 Depth=1
	s_and_b64 vcc, exec, s[2:3]
	s_cbranch_vccnz .LBB1631_41
; %bb.36:                               ;   in Loop: Header=BB1631_34 Depth=1
	v_pk_mov_b32 v[8:9], s[14:15], s[14:15] op_sel:[0,1]
	s_waitcnt vmcnt(0)
	v_mad_u64_u32 v[8:9], s[4:5], s20, v6, v[8:9]
	v_mul_lo_u32 v10, s20, v7
	v_mul_lo_u32 v11, s21, v6
	v_add3_u32 v9, v11, v9, v10
	s_mov_b64 s[22:23], 0
	s_mov_b64 s[28:29], s[12:13]
	v_pk_mov_b32 v[10:11], v[0:1], v[0:1] op_sel:[0,1]
                                        ; implicit-def: $sgpr16_sgpr17
                                        ; implicit-def: $sgpr24_sgpr25
                                        ; implicit-def: $sgpr26_sgpr27
                                        ; implicit-def: $sgpr4_sgpr5
                                        ; implicit-def: $sgpr30_sgpr31
	s_branch .LBB1631_38
.LBB1631_37:                            ;   in Loop: Header=BB1631_38 Depth=2
	s_or_b64 exec, exec, s[34:35]
	s_and_b64 s[6:7], exec, s[24:25]
	s_or_b64 s[22:23], s[6:7], s[22:23]
	s_andn2_b64 s[6:7], s[30:31], exec
	s_and_b64 s[30:31], s[26:27], exec
	s_or_b64 s[30:31], s[6:7], s[30:31]
	s_andn2_b64 s[6:7], s[16:17], exec
	s_and_b64 s[16:17], s[4:5], exec
	s_or_b64 s[16:17], s[6:7], s[16:17]
	s_andn2_b64 exec, exec, s[22:23]
	s_cbranch_execz .LBB1631_40
.LBB1631_38:                            ;   Parent Loop BB1631_34 Depth=1
                                        ; =>  This Inner Loop Header: Depth=2
	global_load_dwordx2 v[16:17], v[10:11], off
	global_load_dwordx2 v[18:19], v[8:9], off
	s_andn2_b64 s[34:35], s[4:5], exec
	s_andn2_b64 s[26:27], s[26:27], exec
	s_or_b64 s[24:25], s[24:25], exec
	s_waitcnt vmcnt(0)
	v_cmp_le_u64_e64 s[4:5], v[16:17], v[18:19]
	v_cmp_lt_u64_e32 vcc, v[16:17], v[18:19]
	s_and_b64 s[4:5], s[4:5], s[30:31]
	s_or_b64 s[36:37], vcc, s[4:5]
	s_and_b64 s[4:5], s[36:37], exec
	v_cmp_eq_u64_e64 s[6:7], v[16:17], v[18:19]
	s_or_b64 s[4:5], s[34:35], s[4:5]
	s_and_saveexec_b64 s[34:35], s[6:7]
	s_cbranch_execz .LBB1631_37
; %bb.39:                               ;   in Loop: Header=BB1631_38 Depth=2
	s_add_u32 s28, s28, -1
	s_addc_u32 s29, s29, -1
	v_add_co_u32_e32 v10, vcc, 8, v10
	s_cmp_eq_u64 s[28:29], 0
	v_addc_co_u32_e32 v11, vcc, 0, v11, vcc
	s_cselect_b64 s[6:7], -1, 0
	v_add_co_u32_e32 v8, vcc, 8, v8
	s_andn2_b64 s[26:27], s[26:27], exec
	s_and_b64 s[30:31], s[36:37], exec
	s_andn2_b64 s[24:25], s[24:25], exec
	s_and_b64 s[6:7], s[6:7], exec
	v_addc_co_u32_e32 v9, vcc, 0, v9, vcc
	s_andn2_b64 s[4:5], s[4:5], exec
	s_or_b64 s[26:27], s[26:27], s[30:31]
	s_or_b64 s[24:25], s[24:25], s[6:7]
                                        ; implicit-def: $sgpr30_sgpr31
	s_branch .LBB1631_37
.LBB1631_40:                            ;   in Loop: Header=BB1631_34 Depth=1
	s_or_b64 exec, exec, s[22:23]
	s_branch .LBB1631_42
.LBB1631_41:                            ;   in Loop: Header=BB1631_34 Depth=1
	s_mov_b64 s[16:17], 0
.LBB1631_42:                            ;   in Loop: Header=BB1631_34 Depth=1
	s_xor_b64 s[16:17], s[16:17], -1
	s_mov_b64 s[4:5], 0
.LBB1631_43:                            ;   in Loop: Header=BB1631_34 Depth=1
	s_and_b64 vcc, exec, s[4:5]
	s_cbranch_vccz .LBB1631_33
; %bb.44:                               ;   in Loop: Header=BB1631_34 Depth=1
	s_and_b64 vcc, exec, s[2:3]
	s_cbranch_vccnz .LBB1631_49
; %bb.45:                               ;   in Loop: Header=BB1631_34 Depth=1
	v_pk_mov_b32 v[8:9], s[14:15], s[14:15] op_sel:[0,1]
	s_waitcnt vmcnt(0)
	v_mad_u64_u32 v[8:9], s[4:5], s20, v6, v[8:9]
	v_mul_lo_u32 v7, s20, v7
	v_mul_lo_u32 v6, s21, v6
	v_add3_u32 v9, v6, v9, v7
	s_mov_b64 s[22:23], 0
	s_mov_b64 s[28:29], s[12:13]
	v_pk_mov_b32 v[6:7], v[0:1], v[0:1] op_sel:[0,1]
                                        ; implicit-def: $sgpr16_sgpr17
                                        ; implicit-def: $sgpr24_sgpr25
                                        ; implicit-def: $sgpr26_sgpr27
                                        ; implicit-def: $sgpr4_sgpr5
                                        ; implicit-def: $sgpr30_sgpr31
	s_branch .LBB1631_47
.LBB1631_46:                            ;   in Loop: Header=BB1631_47 Depth=2
	s_or_b64 exec, exec, s[34:35]
	s_and_b64 s[6:7], exec, s[24:25]
	s_or_b64 s[22:23], s[6:7], s[22:23]
	s_andn2_b64 s[6:7], s[30:31], exec
	s_and_b64 s[30:31], s[26:27], exec
	s_or_b64 s[30:31], s[6:7], s[30:31]
	s_andn2_b64 s[6:7], s[16:17], exec
	s_and_b64 s[16:17], s[4:5], exec
	s_or_b64 s[16:17], s[6:7], s[16:17]
	s_andn2_b64 exec, exec, s[22:23]
	s_cbranch_execz .LBB1631_32
.LBB1631_47:                            ;   Parent Loop BB1631_34 Depth=1
                                        ; =>  This Inner Loop Header: Depth=2
	global_load_dwordx2 v[10:11], v[8:9], off
	global_load_dwordx2 v[16:17], v[6:7], off
	s_andn2_b64 s[34:35], s[4:5], exec
	s_andn2_b64 s[26:27], s[26:27], exec
	s_or_b64 s[24:25], s[24:25], exec
	s_waitcnt vmcnt(0)
	v_cmp_le_u64_e64 s[4:5], v[10:11], v[16:17]
	v_cmp_lt_u64_e32 vcc, v[10:11], v[16:17]
	s_and_b64 s[4:5], s[4:5], s[30:31]
	s_or_b64 s[36:37], vcc, s[4:5]
	s_and_b64 s[4:5], s[36:37], exec
	v_cmp_eq_u64_e64 s[6:7], v[10:11], v[16:17]
	s_or_b64 s[4:5], s[34:35], s[4:5]
	s_and_saveexec_b64 s[34:35], s[6:7]
	s_cbranch_execz .LBB1631_46
; %bb.48:                               ;   in Loop: Header=BB1631_47 Depth=2
	s_add_u32 s28, s28, -1
	s_addc_u32 s29, s29, -1
	v_add_co_u32_e32 v8, vcc, 8, v8
	s_cmp_eq_u64 s[28:29], 0
	v_addc_co_u32_e32 v9, vcc, 0, v9, vcc
	s_cselect_b64 s[6:7], -1, 0
	v_add_co_u32_e32 v6, vcc, 8, v6
	s_andn2_b64 s[26:27], s[26:27], exec
	s_and_b64 s[30:31], s[36:37], exec
	s_andn2_b64 s[24:25], s[24:25], exec
	s_and_b64 s[6:7], s[6:7], exec
	v_addc_co_u32_e32 v7, vcc, 0, v7, vcc
	s_andn2_b64 s[4:5], s[4:5], exec
	s_or_b64 s[26:27], s[26:27], s[30:31]
	s_or_b64 s[24:25], s[24:25], s[6:7]
                                        ; implicit-def: $sgpr30_sgpr31
	s_branch .LBB1631_46
.LBB1631_49:                            ;   in Loop: Header=BB1631_34 Depth=1
	s_mov_b64 s[16:17], 0
	s_branch .LBB1631_33
.LBB1631_50:
	s_or_b64 exec, exec, s[18:19]
.LBB1631_51:
	v_add_u32_e32 v4, v13, v12
	s_mov_b64 s[18:19], -1
.LBB1631_52:
	s_and_b64 exec, exec, s[18:19]
	s_cbranch_execz .LBB1631_54
; %bb.53:
	v_mov_b32_e32 v5, 0
	v_lshlrev_b64 v[0:1], 3, v[4:5]
	v_mov_b32_e32 v4, s11
	v_add_co_u32_e32 v0, vcc, s10, v0
	v_addc_co_u32_e32 v1, vcc, v4, v1, vcc
	s_waitcnt vmcnt(0)
	global_store_dwordx2 v[0:1], v[2:3], off
.LBB1631_54:
	s_endpgm
	.section	.rodata,"a",@progbits
	.p2align	6, 0x0
	.amdhsa_kernel _ZN7rocprim17ROCPRIM_400000_NS6detail17trampoline_kernelINS0_14default_configENS1_38merge_sort_block_merge_config_selectorIlNS0_10empty_typeEEEZZNS1_27merge_sort_block_merge_implIS3_PlPS5_mZN2at6native12_GLOBAL__N_124unique_dim_cuda_templateImEESt5tupleIJNSA_6TensorESF_SF_EERKSF_lbbbEUlllE_EE10hipError_tT0_T1_T2_jT3_P12ihipStream_tbPNSt15iterator_traitsISL_E10value_typeEPNSR_ISM_E10value_typeEPSN_NS1_7vsmem_tEENKUlT_SL_SM_SN_E_clIS8_S8_S9_S9_EESK_S10_SL_SM_SN_EUlS10_E1_NS1_11comp_targetILNS1_3genE4ELNS1_11target_archE910ELNS1_3gpuE8ELNS1_3repE0EEENS1_36merge_oddeven_config_static_selectorELNS0_4arch9wavefront6targetE1EEEvSM_
		.amdhsa_group_segment_fixed_size 0
		.amdhsa_private_segment_fixed_size 0
		.amdhsa_kernarg_size 64
		.amdhsa_user_sgpr_count 6
		.amdhsa_user_sgpr_private_segment_buffer 1
		.amdhsa_user_sgpr_dispatch_ptr 0
		.amdhsa_user_sgpr_queue_ptr 0
		.amdhsa_user_sgpr_kernarg_segment_ptr 1
		.amdhsa_user_sgpr_dispatch_id 0
		.amdhsa_user_sgpr_flat_scratch_init 0
		.amdhsa_user_sgpr_kernarg_preload_length 0
		.amdhsa_user_sgpr_kernarg_preload_offset 0
		.amdhsa_user_sgpr_private_segment_size 0
		.amdhsa_uses_dynamic_stack 0
		.amdhsa_system_sgpr_private_segment_wavefront_offset 0
		.amdhsa_system_sgpr_workgroup_id_x 1
		.amdhsa_system_sgpr_workgroup_id_y 0
		.amdhsa_system_sgpr_workgroup_id_z 0
		.amdhsa_system_sgpr_workgroup_info 0
		.amdhsa_system_vgpr_workitem_id 0
		.amdhsa_next_free_vgpr 20
		.amdhsa_next_free_sgpr 46
		.amdhsa_accum_offset 20
		.amdhsa_reserve_vcc 1
		.amdhsa_reserve_flat_scratch 0
		.amdhsa_float_round_mode_32 0
		.amdhsa_float_round_mode_16_64 0
		.amdhsa_float_denorm_mode_32 3
		.amdhsa_float_denorm_mode_16_64 3
		.amdhsa_dx10_clamp 1
		.amdhsa_ieee_mode 1
		.amdhsa_fp16_overflow 0
		.amdhsa_tg_split 0
		.amdhsa_exception_fp_ieee_invalid_op 0
		.amdhsa_exception_fp_denorm_src 0
		.amdhsa_exception_fp_ieee_div_zero 0
		.amdhsa_exception_fp_ieee_overflow 0
		.amdhsa_exception_fp_ieee_underflow 0
		.amdhsa_exception_fp_ieee_inexact 0
		.amdhsa_exception_int_div_zero 0
	.end_amdhsa_kernel
	.section	.text._ZN7rocprim17ROCPRIM_400000_NS6detail17trampoline_kernelINS0_14default_configENS1_38merge_sort_block_merge_config_selectorIlNS0_10empty_typeEEEZZNS1_27merge_sort_block_merge_implIS3_PlPS5_mZN2at6native12_GLOBAL__N_124unique_dim_cuda_templateImEESt5tupleIJNSA_6TensorESF_SF_EERKSF_lbbbEUlllE_EE10hipError_tT0_T1_T2_jT3_P12ihipStream_tbPNSt15iterator_traitsISL_E10value_typeEPNSR_ISM_E10value_typeEPSN_NS1_7vsmem_tEENKUlT_SL_SM_SN_E_clIS8_S8_S9_S9_EESK_S10_SL_SM_SN_EUlS10_E1_NS1_11comp_targetILNS1_3genE4ELNS1_11target_archE910ELNS1_3gpuE8ELNS1_3repE0EEENS1_36merge_oddeven_config_static_selectorELNS0_4arch9wavefront6targetE1EEEvSM_,"axG",@progbits,_ZN7rocprim17ROCPRIM_400000_NS6detail17trampoline_kernelINS0_14default_configENS1_38merge_sort_block_merge_config_selectorIlNS0_10empty_typeEEEZZNS1_27merge_sort_block_merge_implIS3_PlPS5_mZN2at6native12_GLOBAL__N_124unique_dim_cuda_templateImEESt5tupleIJNSA_6TensorESF_SF_EERKSF_lbbbEUlllE_EE10hipError_tT0_T1_T2_jT3_P12ihipStream_tbPNSt15iterator_traitsISL_E10value_typeEPNSR_ISM_E10value_typeEPSN_NS1_7vsmem_tEENKUlT_SL_SM_SN_E_clIS8_S8_S9_S9_EESK_S10_SL_SM_SN_EUlS10_E1_NS1_11comp_targetILNS1_3genE4ELNS1_11target_archE910ELNS1_3gpuE8ELNS1_3repE0EEENS1_36merge_oddeven_config_static_selectorELNS0_4arch9wavefront6targetE1EEEvSM_,comdat
.Lfunc_end1631:
	.size	_ZN7rocprim17ROCPRIM_400000_NS6detail17trampoline_kernelINS0_14default_configENS1_38merge_sort_block_merge_config_selectorIlNS0_10empty_typeEEEZZNS1_27merge_sort_block_merge_implIS3_PlPS5_mZN2at6native12_GLOBAL__N_124unique_dim_cuda_templateImEESt5tupleIJNSA_6TensorESF_SF_EERKSF_lbbbEUlllE_EE10hipError_tT0_T1_T2_jT3_P12ihipStream_tbPNSt15iterator_traitsISL_E10value_typeEPNSR_ISM_E10value_typeEPSN_NS1_7vsmem_tEENKUlT_SL_SM_SN_E_clIS8_S8_S9_S9_EESK_S10_SL_SM_SN_EUlS10_E1_NS1_11comp_targetILNS1_3genE4ELNS1_11target_archE910ELNS1_3gpuE8ELNS1_3repE0EEENS1_36merge_oddeven_config_static_selectorELNS0_4arch9wavefront6targetE1EEEvSM_, .Lfunc_end1631-_ZN7rocprim17ROCPRIM_400000_NS6detail17trampoline_kernelINS0_14default_configENS1_38merge_sort_block_merge_config_selectorIlNS0_10empty_typeEEEZZNS1_27merge_sort_block_merge_implIS3_PlPS5_mZN2at6native12_GLOBAL__N_124unique_dim_cuda_templateImEESt5tupleIJNSA_6TensorESF_SF_EERKSF_lbbbEUlllE_EE10hipError_tT0_T1_T2_jT3_P12ihipStream_tbPNSt15iterator_traitsISL_E10value_typeEPNSR_ISM_E10value_typeEPSN_NS1_7vsmem_tEENKUlT_SL_SM_SN_E_clIS8_S8_S9_S9_EESK_S10_SL_SM_SN_EUlS10_E1_NS1_11comp_targetILNS1_3genE4ELNS1_11target_archE910ELNS1_3gpuE8ELNS1_3repE0EEENS1_36merge_oddeven_config_static_selectorELNS0_4arch9wavefront6targetE1EEEvSM_
                                        ; -- End function
	.section	.AMDGPU.csdata,"",@progbits
; Kernel info:
; codeLenInByte = 1876
; NumSgprs: 50
; NumVgprs: 20
; NumAgprs: 0
; TotalNumVgprs: 20
; ScratchSize: 0
; MemoryBound: 0
; FloatMode: 240
; IeeeMode: 1
; LDSByteSize: 0 bytes/workgroup (compile time only)
; SGPRBlocks: 6
; VGPRBlocks: 2
; NumSGPRsForWavesPerEU: 50
; NumVGPRsForWavesPerEU: 20
; AccumOffset: 20
; Occupancy: 8
; WaveLimiterHint : 0
; COMPUTE_PGM_RSRC2:SCRATCH_EN: 0
; COMPUTE_PGM_RSRC2:USER_SGPR: 6
; COMPUTE_PGM_RSRC2:TRAP_HANDLER: 0
; COMPUTE_PGM_RSRC2:TGID_X_EN: 1
; COMPUTE_PGM_RSRC2:TGID_Y_EN: 0
; COMPUTE_PGM_RSRC2:TGID_Z_EN: 0
; COMPUTE_PGM_RSRC2:TIDIG_COMP_CNT: 0
; COMPUTE_PGM_RSRC3_GFX90A:ACCUM_OFFSET: 4
; COMPUTE_PGM_RSRC3_GFX90A:TG_SPLIT: 0
	.section	.text._ZN7rocprim17ROCPRIM_400000_NS6detail17trampoline_kernelINS0_14default_configENS1_38merge_sort_block_merge_config_selectorIlNS0_10empty_typeEEEZZNS1_27merge_sort_block_merge_implIS3_PlPS5_mZN2at6native12_GLOBAL__N_124unique_dim_cuda_templateImEESt5tupleIJNSA_6TensorESF_SF_EERKSF_lbbbEUlllE_EE10hipError_tT0_T1_T2_jT3_P12ihipStream_tbPNSt15iterator_traitsISL_E10value_typeEPNSR_ISM_E10value_typeEPSN_NS1_7vsmem_tEENKUlT_SL_SM_SN_E_clIS8_S8_S9_S9_EESK_S10_SL_SM_SN_EUlS10_E1_NS1_11comp_targetILNS1_3genE3ELNS1_11target_archE908ELNS1_3gpuE7ELNS1_3repE0EEENS1_36merge_oddeven_config_static_selectorELNS0_4arch9wavefront6targetE1EEEvSM_,"axG",@progbits,_ZN7rocprim17ROCPRIM_400000_NS6detail17trampoline_kernelINS0_14default_configENS1_38merge_sort_block_merge_config_selectorIlNS0_10empty_typeEEEZZNS1_27merge_sort_block_merge_implIS3_PlPS5_mZN2at6native12_GLOBAL__N_124unique_dim_cuda_templateImEESt5tupleIJNSA_6TensorESF_SF_EERKSF_lbbbEUlllE_EE10hipError_tT0_T1_T2_jT3_P12ihipStream_tbPNSt15iterator_traitsISL_E10value_typeEPNSR_ISM_E10value_typeEPSN_NS1_7vsmem_tEENKUlT_SL_SM_SN_E_clIS8_S8_S9_S9_EESK_S10_SL_SM_SN_EUlS10_E1_NS1_11comp_targetILNS1_3genE3ELNS1_11target_archE908ELNS1_3gpuE7ELNS1_3repE0EEENS1_36merge_oddeven_config_static_selectorELNS0_4arch9wavefront6targetE1EEEvSM_,comdat
	.globl	_ZN7rocprim17ROCPRIM_400000_NS6detail17trampoline_kernelINS0_14default_configENS1_38merge_sort_block_merge_config_selectorIlNS0_10empty_typeEEEZZNS1_27merge_sort_block_merge_implIS3_PlPS5_mZN2at6native12_GLOBAL__N_124unique_dim_cuda_templateImEESt5tupleIJNSA_6TensorESF_SF_EERKSF_lbbbEUlllE_EE10hipError_tT0_T1_T2_jT3_P12ihipStream_tbPNSt15iterator_traitsISL_E10value_typeEPNSR_ISM_E10value_typeEPSN_NS1_7vsmem_tEENKUlT_SL_SM_SN_E_clIS8_S8_S9_S9_EESK_S10_SL_SM_SN_EUlS10_E1_NS1_11comp_targetILNS1_3genE3ELNS1_11target_archE908ELNS1_3gpuE7ELNS1_3repE0EEENS1_36merge_oddeven_config_static_selectorELNS0_4arch9wavefront6targetE1EEEvSM_ ; -- Begin function _ZN7rocprim17ROCPRIM_400000_NS6detail17trampoline_kernelINS0_14default_configENS1_38merge_sort_block_merge_config_selectorIlNS0_10empty_typeEEEZZNS1_27merge_sort_block_merge_implIS3_PlPS5_mZN2at6native12_GLOBAL__N_124unique_dim_cuda_templateImEESt5tupleIJNSA_6TensorESF_SF_EERKSF_lbbbEUlllE_EE10hipError_tT0_T1_T2_jT3_P12ihipStream_tbPNSt15iterator_traitsISL_E10value_typeEPNSR_ISM_E10value_typeEPSN_NS1_7vsmem_tEENKUlT_SL_SM_SN_E_clIS8_S8_S9_S9_EESK_S10_SL_SM_SN_EUlS10_E1_NS1_11comp_targetILNS1_3genE3ELNS1_11target_archE908ELNS1_3gpuE7ELNS1_3repE0EEENS1_36merge_oddeven_config_static_selectorELNS0_4arch9wavefront6targetE1EEEvSM_
	.p2align	8
	.type	_ZN7rocprim17ROCPRIM_400000_NS6detail17trampoline_kernelINS0_14default_configENS1_38merge_sort_block_merge_config_selectorIlNS0_10empty_typeEEEZZNS1_27merge_sort_block_merge_implIS3_PlPS5_mZN2at6native12_GLOBAL__N_124unique_dim_cuda_templateImEESt5tupleIJNSA_6TensorESF_SF_EERKSF_lbbbEUlllE_EE10hipError_tT0_T1_T2_jT3_P12ihipStream_tbPNSt15iterator_traitsISL_E10value_typeEPNSR_ISM_E10value_typeEPSN_NS1_7vsmem_tEENKUlT_SL_SM_SN_E_clIS8_S8_S9_S9_EESK_S10_SL_SM_SN_EUlS10_E1_NS1_11comp_targetILNS1_3genE3ELNS1_11target_archE908ELNS1_3gpuE7ELNS1_3repE0EEENS1_36merge_oddeven_config_static_selectorELNS0_4arch9wavefront6targetE1EEEvSM_,@function
_ZN7rocprim17ROCPRIM_400000_NS6detail17trampoline_kernelINS0_14default_configENS1_38merge_sort_block_merge_config_selectorIlNS0_10empty_typeEEEZZNS1_27merge_sort_block_merge_implIS3_PlPS5_mZN2at6native12_GLOBAL__N_124unique_dim_cuda_templateImEESt5tupleIJNSA_6TensorESF_SF_EERKSF_lbbbEUlllE_EE10hipError_tT0_T1_T2_jT3_P12ihipStream_tbPNSt15iterator_traitsISL_E10value_typeEPNSR_ISM_E10value_typeEPSN_NS1_7vsmem_tEENKUlT_SL_SM_SN_E_clIS8_S8_S9_S9_EESK_S10_SL_SM_SN_EUlS10_E1_NS1_11comp_targetILNS1_3genE3ELNS1_11target_archE908ELNS1_3gpuE7ELNS1_3repE0EEENS1_36merge_oddeven_config_static_selectorELNS0_4arch9wavefront6targetE1EEEvSM_: ; @_ZN7rocprim17ROCPRIM_400000_NS6detail17trampoline_kernelINS0_14default_configENS1_38merge_sort_block_merge_config_selectorIlNS0_10empty_typeEEEZZNS1_27merge_sort_block_merge_implIS3_PlPS5_mZN2at6native12_GLOBAL__N_124unique_dim_cuda_templateImEESt5tupleIJNSA_6TensorESF_SF_EERKSF_lbbbEUlllE_EE10hipError_tT0_T1_T2_jT3_P12ihipStream_tbPNSt15iterator_traitsISL_E10value_typeEPNSR_ISM_E10value_typeEPSN_NS1_7vsmem_tEENKUlT_SL_SM_SN_E_clIS8_S8_S9_S9_EESK_S10_SL_SM_SN_EUlS10_E1_NS1_11comp_targetILNS1_3genE3ELNS1_11target_archE908ELNS1_3gpuE7ELNS1_3repE0EEENS1_36merge_oddeven_config_static_selectorELNS0_4arch9wavefront6targetE1EEEvSM_
; %bb.0:
	.section	.rodata,"a",@progbits
	.p2align	6, 0x0
	.amdhsa_kernel _ZN7rocprim17ROCPRIM_400000_NS6detail17trampoline_kernelINS0_14default_configENS1_38merge_sort_block_merge_config_selectorIlNS0_10empty_typeEEEZZNS1_27merge_sort_block_merge_implIS3_PlPS5_mZN2at6native12_GLOBAL__N_124unique_dim_cuda_templateImEESt5tupleIJNSA_6TensorESF_SF_EERKSF_lbbbEUlllE_EE10hipError_tT0_T1_T2_jT3_P12ihipStream_tbPNSt15iterator_traitsISL_E10value_typeEPNSR_ISM_E10value_typeEPSN_NS1_7vsmem_tEENKUlT_SL_SM_SN_E_clIS8_S8_S9_S9_EESK_S10_SL_SM_SN_EUlS10_E1_NS1_11comp_targetILNS1_3genE3ELNS1_11target_archE908ELNS1_3gpuE7ELNS1_3repE0EEENS1_36merge_oddeven_config_static_selectorELNS0_4arch9wavefront6targetE1EEEvSM_
		.amdhsa_group_segment_fixed_size 0
		.amdhsa_private_segment_fixed_size 0
		.amdhsa_kernarg_size 64
		.amdhsa_user_sgpr_count 6
		.amdhsa_user_sgpr_private_segment_buffer 1
		.amdhsa_user_sgpr_dispatch_ptr 0
		.amdhsa_user_sgpr_queue_ptr 0
		.amdhsa_user_sgpr_kernarg_segment_ptr 1
		.amdhsa_user_sgpr_dispatch_id 0
		.amdhsa_user_sgpr_flat_scratch_init 0
		.amdhsa_user_sgpr_kernarg_preload_length 0
		.amdhsa_user_sgpr_kernarg_preload_offset 0
		.amdhsa_user_sgpr_private_segment_size 0
		.amdhsa_uses_dynamic_stack 0
		.amdhsa_system_sgpr_private_segment_wavefront_offset 0
		.amdhsa_system_sgpr_workgroup_id_x 1
		.amdhsa_system_sgpr_workgroup_id_y 0
		.amdhsa_system_sgpr_workgroup_id_z 0
		.amdhsa_system_sgpr_workgroup_info 0
		.amdhsa_system_vgpr_workitem_id 0
		.amdhsa_next_free_vgpr 1
		.amdhsa_next_free_sgpr 0
		.amdhsa_accum_offset 4
		.amdhsa_reserve_vcc 0
		.amdhsa_reserve_flat_scratch 0
		.amdhsa_float_round_mode_32 0
		.amdhsa_float_round_mode_16_64 0
		.amdhsa_float_denorm_mode_32 3
		.amdhsa_float_denorm_mode_16_64 3
		.amdhsa_dx10_clamp 1
		.amdhsa_ieee_mode 1
		.amdhsa_fp16_overflow 0
		.amdhsa_tg_split 0
		.amdhsa_exception_fp_ieee_invalid_op 0
		.amdhsa_exception_fp_denorm_src 0
		.amdhsa_exception_fp_ieee_div_zero 0
		.amdhsa_exception_fp_ieee_overflow 0
		.amdhsa_exception_fp_ieee_underflow 0
		.amdhsa_exception_fp_ieee_inexact 0
		.amdhsa_exception_int_div_zero 0
	.end_amdhsa_kernel
	.section	.text._ZN7rocprim17ROCPRIM_400000_NS6detail17trampoline_kernelINS0_14default_configENS1_38merge_sort_block_merge_config_selectorIlNS0_10empty_typeEEEZZNS1_27merge_sort_block_merge_implIS3_PlPS5_mZN2at6native12_GLOBAL__N_124unique_dim_cuda_templateImEESt5tupleIJNSA_6TensorESF_SF_EERKSF_lbbbEUlllE_EE10hipError_tT0_T1_T2_jT3_P12ihipStream_tbPNSt15iterator_traitsISL_E10value_typeEPNSR_ISM_E10value_typeEPSN_NS1_7vsmem_tEENKUlT_SL_SM_SN_E_clIS8_S8_S9_S9_EESK_S10_SL_SM_SN_EUlS10_E1_NS1_11comp_targetILNS1_3genE3ELNS1_11target_archE908ELNS1_3gpuE7ELNS1_3repE0EEENS1_36merge_oddeven_config_static_selectorELNS0_4arch9wavefront6targetE1EEEvSM_,"axG",@progbits,_ZN7rocprim17ROCPRIM_400000_NS6detail17trampoline_kernelINS0_14default_configENS1_38merge_sort_block_merge_config_selectorIlNS0_10empty_typeEEEZZNS1_27merge_sort_block_merge_implIS3_PlPS5_mZN2at6native12_GLOBAL__N_124unique_dim_cuda_templateImEESt5tupleIJNSA_6TensorESF_SF_EERKSF_lbbbEUlllE_EE10hipError_tT0_T1_T2_jT3_P12ihipStream_tbPNSt15iterator_traitsISL_E10value_typeEPNSR_ISM_E10value_typeEPSN_NS1_7vsmem_tEENKUlT_SL_SM_SN_E_clIS8_S8_S9_S9_EESK_S10_SL_SM_SN_EUlS10_E1_NS1_11comp_targetILNS1_3genE3ELNS1_11target_archE908ELNS1_3gpuE7ELNS1_3repE0EEENS1_36merge_oddeven_config_static_selectorELNS0_4arch9wavefront6targetE1EEEvSM_,comdat
.Lfunc_end1632:
	.size	_ZN7rocprim17ROCPRIM_400000_NS6detail17trampoline_kernelINS0_14default_configENS1_38merge_sort_block_merge_config_selectorIlNS0_10empty_typeEEEZZNS1_27merge_sort_block_merge_implIS3_PlPS5_mZN2at6native12_GLOBAL__N_124unique_dim_cuda_templateImEESt5tupleIJNSA_6TensorESF_SF_EERKSF_lbbbEUlllE_EE10hipError_tT0_T1_T2_jT3_P12ihipStream_tbPNSt15iterator_traitsISL_E10value_typeEPNSR_ISM_E10value_typeEPSN_NS1_7vsmem_tEENKUlT_SL_SM_SN_E_clIS8_S8_S9_S9_EESK_S10_SL_SM_SN_EUlS10_E1_NS1_11comp_targetILNS1_3genE3ELNS1_11target_archE908ELNS1_3gpuE7ELNS1_3repE0EEENS1_36merge_oddeven_config_static_selectorELNS0_4arch9wavefront6targetE1EEEvSM_, .Lfunc_end1632-_ZN7rocprim17ROCPRIM_400000_NS6detail17trampoline_kernelINS0_14default_configENS1_38merge_sort_block_merge_config_selectorIlNS0_10empty_typeEEEZZNS1_27merge_sort_block_merge_implIS3_PlPS5_mZN2at6native12_GLOBAL__N_124unique_dim_cuda_templateImEESt5tupleIJNSA_6TensorESF_SF_EERKSF_lbbbEUlllE_EE10hipError_tT0_T1_T2_jT3_P12ihipStream_tbPNSt15iterator_traitsISL_E10value_typeEPNSR_ISM_E10value_typeEPSN_NS1_7vsmem_tEENKUlT_SL_SM_SN_E_clIS8_S8_S9_S9_EESK_S10_SL_SM_SN_EUlS10_E1_NS1_11comp_targetILNS1_3genE3ELNS1_11target_archE908ELNS1_3gpuE7ELNS1_3repE0EEENS1_36merge_oddeven_config_static_selectorELNS0_4arch9wavefront6targetE1EEEvSM_
                                        ; -- End function
	.section	.AMDGPU.csdata,"",@progbits
; Kernel info:
; codeLenInByte = 0
; NumSgprs: 4
; NumVgprs: 0
; NumAgprs: 0
; TotalNumVgprs: 0
; ScratchSize: 0
; MemoryBound: 0
; FloatMode: 240
; IeeeMode: 1
; LDSByteSize: 0 bytes/workgroup (compile time only)
; SGPRBlocks: 0
; VGPRBlocks: 0
; NumSGPRsForWavesPerEU: 4
; NumVGPRsForWavesPerEU: 1
; AccumOffset: 4
; Occupancy: 8
; WaveLimiterHint : 0
; COMPUTE_PGM_RSRC2:SCRATCH_EN: 0
; COMPUTE_PGM_RSRC2:USER_SGPR: 6
; COMPUTE_PGM_RSRC2:TRAP_HANDLER: 0
; COMPUTE_PGM_RSRC2:TGID_X_EN: 1
; COMPUTE_PGM_RSRC2:TGID_Y_EN: 0
; COMPUTE_PGM_RSRC2:TGID_Z_EN: 0
; COMPUTE_PGM_RSRC2:TIDIG_COMP_CNT: 0
; COMPUTE_PGM_RSRC3_GFX90A:ACCUM_OFFSET: 0
; COMPUTE_PGM_RSRC3_GFX90A:TG_SPLIT: 0
	.section	.text._ZN7rocprim17ROCPRIM_400000_NS6detail17trampoline_kernelINS0_14default_configENS1_38merge_sort_block_merge_config_selectorIlNS0_10empty_typeEEEZZNS1_27merge_sort_block_merge_implIS3_PlPS5_mZN2at6native12_GLOBAL__N_124unique_dim_cuda_templateImEESt5tupleIJNSA_6TensorESF_SF_EERKSF_lbbbEUlllE_EE10hipError_tT0_T1_T2_jT3_P12ihipStream_tbPNSt15iterator_traitsISL_E10value_typeEPNSR_ISM_E10value_typeEPSN_NS1_7vsmem_tEENKUlT_SL_SM_SN_E_clIS8_S8_S9_S9_EESK_S10_SL_SM_SN_EUlS10_E1_NS1_11comp_targetILNS1_3genE2ELNS1_11target_archE906ELNS1_3gpuE6ELNS1_3repE0EEENS1_36merge_oddeven_config_static_selectorELNS0_4arch9wavefront6targetE1EEEvSM_,"axG",@progbits,_ZN7rocprim17ROCPRIM_400000_NS6detail17trampoline_kernelINS0_14default_configENS1_38merge_sort_block_merge_config_selectorIlNS0_10empty_typeEEEZZNS1_27merge_sort_block_merge_implIS3_PlPS5_mZN2at6native12_GLOBAL__N_124unique_dim_cuda_templateImEESt5tupleIJNSA_6TensorESF_SF_EERKSF_lbbbEUlllE_EE10hipError_tT0_T1_T2_jT3_P12ihipStream_tbPNSt15iterator_traitsISL_E10value_typeEPNSR_ISM_E10value_typeEPSN_NS1_7vsmem_tEENKUlT_SL_SM_SN_E_clIS8_S8_S9_S9_EESK_S10_SL_SM_SN_EUlS10_E1_NS1_11comp_targetILNS1_3genE2ELNS1_11target_archE906ELNS1_3gpuE6ELNS1_3repE0EEENS1_36merge_oddeven_config_static_selectorELNS0_4arch9wavefront6targetE1EEEvSM_,comdat
	.globl	_ZN7rocprim17ROCPRIM_400000_NS6detail17trampoline_kernelINS0_14default_configENS1_38merge_sort_block_merge_config_selectorIlNS0_10empty_typeEEEZZNS1_27merge_sort_block_merge_implIS3_PlPS5_mZN2at6native12_GLOBAL__N_124unique_dim_cuda_templateImEESt5tupleIJNSA_6TensorESF_SF_EERKSF_lbbbEUlllE_EE10hipError_tT0_T1_T2_jT3_P12ihipStream_tbPNSt15iterator_traitsISL_E10value_typeEPNSR_ISM_E10value_typeEPSN_NS1_7vsmem_tEENKUlT_SL_SM_SN_E_clIS8_S8_S9_S9_EESK_S10_SL_SM_SN_EUlS10_E1_NS1_11comp_targetILNS1_3genE2ELNS1_11target_archE906ELNS1_3gpuE6ELNS1_3repE0EEENS1_36merge_oddeven_config_static_selectorELNS0_4arch9wavefront6targetE1EEEvSM_ ; -- Begin function _ZN7rocprim17ROCPRIM_400000_NS6detail17trampoline_kernelINS0_14default_configENS1_38merge_sort_block_merge_config_selectorIlNS0_10empty_typeEEEZZNS1_27merge_sort_block_merge_implIS3_PlPS5_mZN2at6native12_GLOBAL__N_124unique_dim_cuda_templateImEESt5tupleIJNSA_6TensorESF_SF_EERKSF_lbbbEUlllE_EE10hipError_tT0_T1_T2_jT3_P12ihipStream_tbPNSt15iterator_traitsISL_E10value_typeEPNSR_ISM_E10value_typeEPSN_NS1_7vsmem_tEENKUlT_SL_SM_SN_E_clIS8_S8_S9_S9_EESK_S10_SL_SM_SN_EUlS10_E1_NS1_11comp_targetILNS1_3genE2ELNS1_11target_archE906ELNS1_3gpuE6ELNS1_3repE0EEENS1_36merge_oddeven_config_static_selectorELNS0_4arch9wavefront6targetE1EEEvSM_
	.p2align	8
	.type	_ZN7rocprim17ROCPRIM_400000_NS6detail17trampoline_kernelINS0_14default_configENS1_38merge_sort_block_merge_config_selectorIlNS0_10empty_typeEEEZZNS1_27merge_sort_block_merge_implIS3_PlPS5_mZN2at6native12_GLOBAL__N_124unique_dim_cuda_templateImEESt5tupleIJNSA_6TensorESF_SF_EERKSF_lbbbEUlllE_EE10hipError_tT0_T1_T2_jT3_P12ihipStream_tbPNSt15iterator_traitsISL_E10value_typeEPNSR_ISM_E10value_typeEPSN_NS1_7vsmem_tEENKUlT_SL_SM_SN_E_clIS8_S8_S9_S9_EESK_S10_SL_SM_SN_EUlS10_E1_NS1_11comp_targetILNS1_3genE2ELNS1_11target_archE906ELNS1_3gpuE6ELNS1_3repE0EEENS1_36merge_oddeven_config_static_selectorELNS0_4arch9wavefront6targetE1EEEvSM_,@function
_ZN7rocprim17ROCPRIM_400000_NS6detail17trampoline_kernelINS0_14default_configENS1_38merge_sort_block_merge_config_selectorIlNS0_10empty_typeEEEZZNS1_27merge_sort_block_merge_implIS3_PlPS5_mZN2at6native12_GLOBAL__N_124unique_dim_cuda_templateImEESt5tupleIJNSA_6TensorESF_SF_EERKSF_lbbbEUlllE_EE10hipError_tT0_T1_T2_jT3_P12ihipStream_tbPNSt15iterator_traitsISL_E10value_typeEPNSR_ISM_E10value_typeEPSN_NS1_7vsmem_tEENKUlT_SL_SM_SN_E_clIS8_S8_S9_S9_EESK_S10_SL_SM_SN_EUlS10_E1_NS1_11comp_targetILNS1_3genE2ELNS1_11target_archE906ELNS1_3gpuE6ELNS1_3repE0EEENS1_36merge_oddeven_config_static_selectorELNS0_4arch9wavefront6targetE1EEEvSM_: ; @_ZN7rocprim17ROCPRIM_400000_NS6detail17trampoline_kernelINS0_14default_configENS1_38merge_sort_block_merge_config_selectorIlNS0_10empty_typeEEEZZNS1_27merge_sort_block_merge_implIS3_PlPS5_mZN2at6native12_GLOBAL__N_124unique_dim_cuda_templateImEESt5tupleIJNSA_6TensorESF_SF_EERKSF_lbbbEUlllE_EE10hipError_tT0_T1_T2_jT3_P12ihipStream_tbPNSt15iterator_traitsISL_E10value_typeEPNSR_ISM_E10value_typeEPSN_NS1_7vsmem_tEENKUlT_SL_SM_SN_E_clIS8_S8_S9_S9_EESK_S10_SL_SM_SN_EUlS10_E1_NS1_11comp_targetILNS1_3genE2ELNS1_11target_archE906ELNS1_3gpuE6ELNS1_3repE0EEENS1_36merge_oddeven_config_static_selectorELNS0_4arch9wavefront6targetE1EEEvSM_
; %bb.0:
	.section	.rodata,"a",@progbits
	.p2align	6, 0x0
	.amdhsa_kernel _ZN7rocprim17ROCPRIM_400000_NS6detail17trampoline_kernelINS0_14default_configENS1_38merge_sort_block_merge_config_selectorIlNS0_10empty_typeEEEZZNS1_27merge_sort_block_merge_implIS3_PlPS5_mZN2at6native12_GLOBAL__N_124unique_dim_cuda_templateImEESt5tupleIJNSA_6TensorESF_SF_EERKSF_lbbbEUlllE_EE10hipError_tT0_T1_T2_jT3_P12ihipStream_tbPNSt15iterator_traitsISL_E10value_typeEPNSR_ISM_E10value_typeEPSN_NS1_7vsmem_tEENKUlT_SL_SM_SN_E_clIS8_S8_S9_S9_EESK_S10_SL_SM_SN_EUlS10_E1_NS1_11comp_targetILNS1_3genE2ELNS1_11target_archE906ELNS1_3gpuE6ELNS1_3repE0EEENS1_36merge_oddeven_config_static_selectorELNS0_4arch9wavefront6targetE1EEEvSM_
		.amdhsa_group_segment_fixed_size 0
		.amdhsa_private_segment_fixed_size 0
		.amdhsa_kernarg_size 64
		.amdhsa_user_sgpr_count 6
		.amdhsa_user_sgpr_private_segment_buffer 1
		.amdhsa_user_sgpr_dispatch_ptr 0
		.amdhsa_user_sgpr_queue_ptr 0
		.amdhsa_user_sgpr_kernarg_segment_ptr 1
		.amdhsa_user_sgpr_dispatch_id 0
		.amdhsa_user_sgpr_flat_scratch_init 0
		.amdhsa_user_sgpr_kernarg_preload_length 0
		.amdhsa_user_sgpr_kernarg_preload_offset 0
		.amdhsa_user_sgpr_private_segment_size 0
		.amdhsa_uses_dynamic_stack 0
		.amdhsa_system_sgpr_private_segment_wavefront_offset 0
		.amdhsa_system_sgpr_workgroup_id_x 1
		.amdhsa_system_sgpr_workgroup_id_y 0
		.amdhsa_system_sgpr_workgroup_id_z 0
		.amdhsa_system_sgpr_workgroup_info 0
		.amdhsa_system_vgpr_workitem_id 0
		.amdhsa_next_free_vgpr 1
		.amdhsa_next_free_sgpr 0
		.amdhsa_accum_offset 4
		.amdhsa_reserve_vcc 0
		.amdhsa_reserve_flat_scratch 0
		.amdhsa_float_round_mode_32 0
		.amdhsa_float_round_mode_16_64 0
		.amdhsa_float_denorm_mode_32 3
		.amdhsa_float_denorm_mode_16_64 3
		.amdhsa_dx10_clamp 1
		.amdhsa_ieee_mode 1
		.amdhsa_fp16_overflow 0
		.amdhsa_tg_split 0
		.amdhsa_exception_fp_ieee_invalid_op 0
		.amdhsa_exception_fp_denorm_src 0
		.amdhsa_exception_fp_ieee_div_zero 0
		.amdhsa_exception_fp_ieee_overflow 0
		.amdhsa_exception_fp_ieee_underflow 0
		.amdhsa_exception_fp_ieee_inexact 0
		.amdhsa_exception_int_div_zero 0
	.end_amdhsa_kernel
	.section	.text._ZN7rocprim17ROCPRIM_400000_NS6detail17trampoline_kernelINS0_14default_configENS1_38merge_sort_block_merge_config_selectorIlNS0_10empty_typeEEEZZNS1_27merge_sort_block_merge_implIS3_PlPS5_mZN2at6native12_GLOBAL__N_124unique_dim_cuda_templateImEESt5tupleIJNSA_6TensorESF_SF_EERKSF_lbbbEUlllE_EE10hipError_tT0_T1_T2_jT3_P12ihipStream_tbPNSt15iterator_traitsISL_E10value_typeEPNSR_ISM_E10value_typeEPSN_NS1_7vsmem_tEENKUlT_SL_SM_SN_E_clIS8_S8_S9_S9_EESK_S10_SL_SM_SN_EUlS10_E1_NS1_11comp_targetILNS1_3genE2ELNS1_11target_archE906ELNS1_3gpuE6ELNS1_3repE0EEENS1_36merge_oddeven_config_static_selectorELNS0_4arch9wavefront6targetE1EEEvSM_,"axG",@progbits,_ZN7rocprim17ROCPRIM_400000_NS6detail17trampoline_kernelINS0_14default_configENS1_38merge_sort_block_merge_config_selectorIlNS0_10empty_typeEEEZZNS1_27merge_sort_block_merge_implIS3_PlPS5_mZN2at6native12_GLOBAL__N_124unique_dim_cuda_templateImEESt5tupleIJNSA_6TensorESF_SF_EERKSF_lbbbEUlllE_EE10hipError_tT0_T1_T2_jT3_P12ihipStream_tbPNSt15iterator_traitsISL_E10value_typeEPNSR_ISM_E10value_typeEPSN_NS1_7vsmem_tEENKUlT_SL_SM_SN_E_clIS8_S8_S9_S9_EESK_S10_SL_SM_SN_EUlS10_E1_NS1_11comp_targetILNS1_3genE2ELNS1_11target_archE906ELNS1_3gpuE6ELNS1_3repE0EEENS1_36merge_oddeven_config_static_selectorELNS0_4arch9wavefront6targetE1EEEvSM_,comdat
.Lfunc_end1633:
	.size	_ZN7rocprim17ROCPRIM_400000_NS6detail17trampoline_kernelINS0_14default_configENS1_38merge_sort_block_merge_config_selectorIlNS0_10empty_typeEEEZZNS1_27merge_sort_block_merge_implIS3_PlPS5_mZN2at6native12_GLOBAL__N_124unique_dim_cuda_templateImEESt5tupleIJNSA_6TensorESF_SF_EERKSF_lbbbEUlllE_EE10hipError_tT0_T1_T2_jT3_P12ihipStream_tbPNSt15iterator_traitsISL_E10value_typeEPNSR_ISM_E10value_typeEPSN_NS1_7vsmem_tEENKUlT_SL_SM_SN_E_clIS8_S8_S9_S9_EESK_S10_SL_SM_SN_EUlS10_E1_NS1_11comp_targetILNS1_3genE2ELNS1_11target_archE906ELNS1_3gpuE6ELNS1_3repE0EEENS1_36merge_oddeven_config_static_selectorELNS0_4arch9wavefront6targetE1EEEvSM_, .Lfunc_end1633-_ZN7rocprim17ROCPRIM_400000_NS6detail17trampoline_kernelINS0_14default_configENS1_38merge_sort_block_merge_config_selectorIlNS0_10empty_typeEEEZZNS1_27merge_sort_block_merge_implIS3_PlPS5_mZN2at6native12_GLOBAL__N_124unique_dim_cuda_templateImEESt5tupleIJNSA_6TensorESF_SF_EERKSF_lbbbEUlllE_EE10hipError_tT0_T1_T2_jT3_P12ihipStream_tbPNSt15iterator_traitsISL_E10value_typeEPNSR_ISM_E10value_typeEPSN_NS1_7vsmem_tEENKUlT_SL_SM_SN_E_clIS8_S8_S9_S9_EESK_S10_SL_SM_SN_EUlS10_E1_NS1_11comp_targetILNS1_3genE2ELNS1_11target_archE906ELNS1_3gpuE6ELNS1_3repE0EEENS1_36merge_oddeven_config_static_selectorELNS0_4arch9wavefront6targetE1EEEvSM_
                                        ; -- End function
	.section	.AMDGPU.csdata,"",@progbits
; Kernel info:
; codeLenInByte = 0
; NumSgprs: 4
; NumVgprs: 0
; NumAgprs: 0
; TotalNumVgprs: 0
; ScratchSize: 0
; MemoryBound: 0
; FloatMode: 240
; IeeeMode: 1
; LDSByteSize: 0 bytes/workgroup (compile time only)
; SGPRBlocks: 0
; VGPRBlocks: 0
; NumSGPRsForWavesPerEU: 4
; NumVGPRsForWavesPerEU: 1
; AccumOffset: 4
; Occupancy: 8
; WaveLimiterHint : 0
; COMPUTE_PGM_RSRC2:SCRATCH_EN: 0
; COMPUTE_PGM_RSRC2:USER_SGPR: 6
; COMPUTE_PGM_RSRC2:TRAP_HANDLER: 0
; COMPUTE_PGM_RSRC2:TGID_X_EN: 1
; COMPUTE_PGM_RSRC2:TGID_Y_EN: 0
; COMPUTE_PGM_RSRC2:TGID_Z_EN: 0
; COMPUTE_PGM_RSRC2:TIDIG_COMP_CNT: 0
; COMPUTE_PGM_RSRC3_GFX90A:ACCUM_OFFSET: 0
; COMPUTE_PGM_RSRC3_GFX90A:TG_SPLIT: 0
	.section	.text._ZN7rocprim17ROCPRIM_400000_NS6detail17trampoline_kernelINS0_14default_configENS1_38merge_sort_block_merge_config_selectorIlNS0_10empty_typeEEEZZNS1_27merge_sort_block_merge_implIS3_PlPS5_mZN2at6native12_GLOBAL__N_124unique_dim_cuda_templateImEESt5tupleIJNSA_6TensorESF_SF_EERKSF_lbbbEUlllE_EE10hipError_tT0_T1_T2_jT3_P12ihipStream_tbPNSt15iterator_traitsISL_E10value_typeEPNSR_ISM_E10value_typeEPSN_NS1_7vsmem_tEENKUlT_SL_SM_SN_E_clIS8_S8_S9_S9_EESK_S10_SL_SM_SN_EUlS10_E1_NS1_11comp_targetILNS1_3genE9ELNS1_11target_archE1100ELNS1_3gpuE3ELNS1_3repE0EEENS1_36merge_oddeven_config_static_selectorELNS0_4arch9wavefront6targetE1EEEvSM_,"axG",@progbits,_ZN7rocprim17ROCPRIM_400000_NS6detail17trampoline_kernelINS0_14default_configENS1_38merge_sort_block_merge_config_selectorIlNS0_10empty_typeEEEZZNS1_27merge_sort_block_merge_implIS3_PlPS5_mZN2at6native12_GLOBAL__N_124unique_dim_cuda_templateImEESt5tupleIJNSA_6TensorESF_SF_EERKSF_lbbbEUlllE_EE10hipError_tT0_T1_T2_jT3_P12ihipStream_tbPNSt15iterator_traitsISL_E10value_typeEPNSR_ISM_E10value_typeEPSN_NS1_7vsmem_tEENKUlT_SL_SM_SN_E_clIS8_S8_S9_S9_EESK_S10_SL_SM_SN_EUlS10_E1_NS1_11comp_targetILNS1_3genE9ELNS1_11target_archE1100ELNS1_3gpuE3ELNS1_3repE0EEENS1_36merge_oddeven_config_static_selectorELNS0_4arch9wavefront6targetE1EEEvSM_,comdat
	.globl	_ZN7rocprim17ROCPRIM_400000_NS6detail17trampoline_kernelINS0_14default_configENS1_38merge_sort_block_merge_config_selectorIlNS0_10empty_typeEEEZZNS1_27merge_sort_block_merge_implIS3_PlPS5_mZN2at6native12_GLOBAL__N_124unique_dim_cuda_templateImEESt5tupleIJNSA_6TensorESF_SF_EERKSF_lbbbEUlllE_EE10hipError_tT0_T1_T2_jT3_P12ihipStream_tbPNSt15iterator_traitsISL_E10value_typeEPNSR_ISM_E10value_typeEPSN_NS1_7vsmem_tEENKUlT_SL_SM_SN_E_clIS8_S8_S9_S9_EESK_S10_SL_SM_SN_EUlS10_E1_NS1_11comp_targetILNS1_3genE9ELNS1_11target_archE1100ELNS1_3gpuE3ELNS1_3repE0EEENS1_36merge_oddeven_config_static_selectorELNS0_4arch9wavefront6targetE1EEEvSM_ ; -- Begin function _ZN7rocprim17ROCPRIM_400000_NS6detail17trampoline_kernelINS0_14default_configENS1_38merge_sort_block_merge_config_selectorIlNS0_10empty_typeEEEZZNS1_27merge_sort_block_merge_implIS3_PlPS5_mZN2at6native12_GLOBAL__N_124unique_dim_cuda_templateImEESt5tupleIJNSA_6TensorESF_SF_EERKSF_lbbbEUlllE_EE10hipError_tT0_T1_T2_jT3_P12ihipStream_tbPNSt15iterator_traitsISL_E10value_typeEPNSR_ISM_E10value_typeEPSN_NS1_7vsmem_tEENKUlT_SL_SM_SN_E_clIS8_S8_S9_S9_EESK_S10_SL_SM_SN_EUlS10_E1_NS1_11comp_targetILNS1_3genE9ELNS1_11target_archE1100ELNS1_3gpuE3ELNS1_3repE0EEENS1_36merge_oddeven_config_static_selectorELNS0_4arch9wavefront6targetE1EEEvSM_
	.p2align	8
	.type	_ZN7rocprim17ROCPRIM_400000_NS6detail17trampoline_kernelINS0_14default_configENS1_38merge_sort_block_merge_config_selectorIlNS0_10empty_typeEEEZZNS1_27merge_sort_block_merge_implIS3_PlPS5_mZN2at6native12_GLOBAL__N_124unique_dim_cuda_templateImEESt5tupleIJNSA_6TensorESF_SF_EERKSF_lbbbEUlllE_EE10hipError_tT0_T1_T2_jT3_P12ihipStream_tbPNSt15iterator_traitsISL_E10value_typeEPNSR_ISM_E10value_typeEPSN_NS1_7vsmem_tEENKUlT_SL_SM_SN_E_clIS8_S8_S9_S9_EESK_S10_SL_SM_SN_EUlS10_E1_NS1_11comp_targetILNS1_3genE9ELNS1_11target_archE1100ELNS1_3gpuE3ELNS1_3repE0EEENS1_36merge_oddeven_config_static_selectorELNS0_4arch9wavefront6targetE1EEEvSM_,@function
_ZN7rocprim17ROCPRIM_400000_NS6detail17trampoline_kernelINS0_14default_configENS1_38merge_sort_block_merge_config_selectorIlNS0_10empty_typeEEEZZNS1_27merge_sort_block_merge_implIS3_PlPS5_mZN2at6native12_GLOBAL__N_124unique_dim_cuda_templateImEESt5tupleIJNSA_6TensorESF_SF_EERKSF_lbbbEUlllE_EE10hipError_tT0_T1_T2_jT3_P12ihipStream_tbPNSt15iterator_traitsISL_E10value_typeEPNSR_ISM_E10value_typeEPSN_NS1_7vsmem_tEENKUlT_SL_SM_SN_E_clIS8_S8_S9_S9_EESK_S10_SL_SM_SN_EUlS10_E1_NS1_11comp_targetILNS1_3genE9ELNS1_11target_archE1100ELNS1_3gpuE3ELNS1_3repE0EEENS1_36merge_oddeven_config_static_selectorELNS0_4arch9wavefront6targetE1EEEvSM_: ; @_ZN7rocprim17ROCPRIM_400000_NS6detail17trampoline_kernelINS0_14default_configENS1_38merge_sort_block_merge_config_selectorIlNS0_10empty_typeEEEZZNS1_27merge_sort_block_merge_implIS3_PlPS5_mZN2at6native12_GLOBAL__N_124unique_dim_cuda_templateImEESt5tupleIJNSA_6TensorESF_SF_EERKSF_lbbbEUlllE_EE10hipError_tT0_T1_T2_jT3_P12ihipStream_tbPNSt15iterator_traitsISL_E10value_typeEPNSR_ISM_E10value_typeEPSN_NS1_7vsmem_tEENKUlT_SL_SM_SN_E_clIS8_S8_S9_S9_EESK_S10_SL_SM_SN_EUlS10_E1_NS1_11comp_targetILNS1_3genE9ELNS1_11target_archE1100ELNS1_3gpuE3ELNS1_3repE0EEENS1_36merge_oddeven_config_static_selectorELNS0_4arch9wavefront6targetE1EEEvSM_
; %bb.0:
	.section	.rodata,"a",@progbits
	.p2align	6, 0x0
	.amdhsa_kernel _ZN7rocprim17ROCPRIM_400000_NS6detail17trampoline_kernelINS0_14default_configENS1_38merge_sort_block_merge_config_selectorIlNS0_10empty_typeEEEZZNS1_27merge_sort_block_merge_implIS3_PlPS5_mZN2at6native12_GLOBAL__N_124unique_dim_cuda_templateImEESt5tupleIJNSA_6TensorESF_SF_EERKSF_lbbbEUlllE_EE10hipError_tT0_T1_T2_jT3_P12ihipStream_tbPNSt15iterator_traitsISL_E10value_typeEPNSR_ISM_E10value_typeEPSN_NS1_7vsmem_tEENKUlT_SL_SM_SN_E_clIS8_S8_S9_S9_EESK_S10_SL_SM_SN_EUlS10_E1_NS1_11comp_targetILNS1_3genE9ELNS1_11target_archE1100ELNS1_3gpuE3ELNS1_3repE0EEENS1_36merge_oddeven_config_static_selectorELNS0_4arch9wavefront6targetE1EEEvSM_
		.amdhsa_group_segment_fixed_size 0
		.amdhsa_private_segment_fixed_size 0
		.amdhsa_kernarg_size 64
		.amdhsa_user_sgpr_count 6
		.amdhsa_user_sgpr_private_segment_buffer 1
		.amdhsa_user_sgpr_dispatch_ptr 0
		.amdhsa_user_sgpr_queue_ptr 0
		.amdhsa_user_sgpr_kernarg_segment_ptr 1
		.amdhsa_user_sgpr_dispatch_id 0
		.amdhsa_user_sgpr_flat_scratch_init 0
		.amdhsa_user_sgpr_kernarg_preload_length 0
		.amdhsa_user_sgpr_kernarg_preload_offset 0
		.amdhsa_user_sgpr_private_segment_size 0
		.amdhsa_uses_dynamic_stack 0
		.amdhsa_system_sgpr_private_segment_wavefront_offset 0
		.amdhsa_system_sgpr_workgroup_id_x 1
		.amdhsa_system_sgpr_workgroup_id_y 0
		.amdhsa_system_sgpr_workgroup_id_z 0
		.amdhsa_system_sgpr_workgroup_info 0
		.amdhsa_system_vgpr_workitem_id 0
		.amdhsa_next_free_vgpr 1
		.amdhsa_next_free_sgpr 0
		.amdhsa_accum_offset 4
		.amdhsa_reserve_vcc 0
		.amdhsa_reserve_flat_scratch 0
		.amdhsa_float_round_mode_32 0
		.amdhsa_float_round_mode_16_64 0
		.amdhsa_float_denorm_mode_32 3
		.amdhsa_float_denorm_mode_16_64 3
		.amdhsa_dx10_clamp 1
		.amdhsa_ieee_mode 1
		.amdhsa_fp16_overflow 0
		.amdhsa_tg_split 0
		.amdhsa_exception_fp_ieee_invalid_op 0
		.amdhsa_exception_fp_denorm_src 0
		.amdhsa_exception_fp_ieee_div_zero 0
		.amdhsa_exception_fp_ieee_overflow 0
		.amdhsa_exception_fp_ieee_underflow 0
		.amdhsa_exception_fp_ieee_inexact 0
		.amdhsa_exception_int_div_zero 0
	.end_amdhsa_kernel
	.section	.text._ZN7rocprim17ROCPRIM_400000_NS6detail17trampoline_kernelINS0_14default_configENS1_38merge_sort_block_merge_config_selectorIlNS0_10empty_typeEEEZZNS1_27merge_sort_block_merge_implIS3_PlPS5_mZN2at6native12_GLOBAL__N_124unique_dim_cuda_templateImEESt5tupleIJNSA_6TensorESF_SF_EERKSF_lbbbEUlllE_EE10hipError_tT0_T1_T2_jT3_P12ihipStream_tbPNSt15iterator_traitsISL_E10value_typeEPNSR_ISM_E10value_typeEPSN_NS1_7vsmem_tEENKUlT_SL_SM_SN_E_clIS8_S8_S9_S9_EESK_S10_SL_SM_SN_EUlS10_E1_NS1_11comp_targetILNS1_3genE9ELNS1_11target_archE1100ELNS1_3gpuE3ELNS1_3repE0EEENS1_36merge_oddeven_config_static_selectorELNS0_4arch9wavefront6targetE1EEEvSM_,"axG",@progbits,_ZN7rocprim17ROCPRIM_400000_NS6detail17trampoline_kernelINS0_14default_configENS1_38merge_sort_block_merge_config_selectorIlNS0_10empty_typeEEEZZNS1_27merge_sort_block_merge_implIS3_PlPS5_mZN2at6native12_GLOBAL__N_124unique_dim_cuda_templateImEESt5tupleIJNSA_6TensorESF_SF_EERKSF_lbbbEUlllE_EE10hipError_tT0_T1_T2_jT3_P12ihipStream_tbPNSt15iterator_traitsISL_E10value_typeEPNSR_ISM_E10value_typeEPSN_NS1_7vsmem_tEENKUlT_SL_SM_SN_E_clIS8_S8_S9_S9_EESK_S10_SL_SM_SN_EUlS10_E1_NS1_11comp_targetILNS1_3genE9ELNS1_11target_archE1100ELNS1_3gpuE3ELNS1_3repE0EEENS1_36merge_oddeven_config_static_selectorELNS0_4arch9wavefront6targetE1EEEvSM_,comdat
.Lfunc_end1634:
	.size	_ZN7rocprim17ROCPRIM_400000_NS6detail17trampoline_kernelINS0_14default_configENS1_38merge_sort_block_merge_config_selectorIlNS0_10empty_typeEEEZZNS1_27merge_sort_block_merge_implIS3_PlPS5_mZN2at6native12_GLOBAL__N_124unique_dim_cuda_templateImEESt5tupleIJNSA_6TensorESF_SF_EERKSF_lbbbEUlllE_EE10hipError_tT0_T1_T2_jT3_P12ihipStream_tbPNSt15iterator_traitsISL_E10value_typeEPNSR_ISM_E10value_typeEPSN_NS1_7vsmem_tEENKUlT_SL_SM_SN_E_clIS8_S8_S9_S9_EESK_S10_SL_SM_SN_EUlS10_E1_NS1_11comp_targetILNS1_3genE9ELNS1_11target_archE1100ELNS1_3gpuE3ELNS1_3repE0EEENS1_36merge_oddeven_config_static_selectorELNS0_4arch9wavefront6targetE1EEEvSM_, .Lfunc_end1634-_ZN7rocprim17ROCPRIM_400000_NS6detail17trampoline_kernelINS0_14default_configENS1_38merge_sort_block_merge_config_selectorIlNS0_10empty_typeEEEZZNS1_27merge_sort_block_merge_implIS3_PlPS5_mZN2at6native12_GLOBAL__N_124unique_dim_cuda_templateImEESt5tupleIJNSA_6TensorESF_SF_EERKSF_lbbbEUlllE_EE10hipError_tT0_T1_T2_jT3_P12ihipStream_tbPNSt15iterator_traitsISL_E10value_typeEPNSR_ISM_E10value_typeEPSN_NS1_7vsmem_tEENKUlT_SL_SM_SN_E_clIS8_S8_S9_S9_EESK_S10_SL_SM_SN_EUlS10_E1_NS1_11comp_targetILNS1_3genE9ELNS1_11target_archE1100ELNS1_3gpuE3ELNS1_3repE0EEENS1_36merge_oddeven_config_static_selectorELNS0_4arch9wavefront6targetE1EEEvSM_
                                        ; -- End function
	.section	.AMDGPU.csdata,"",@progbits
; Kernel info:
; codeLenInByte = 0
; NumSgprs: 4
; NumVgprs: 0
; NumAgprs: 0
; TotalNumVgprs: 0
; ScratchSize: 0
; MemoryBound: 0
; FloatMode: 240
; IeeeMode: 1
; LDSByteSize: 0 bytes/workgroup (compile time only)
; SGPRBlocks: 0
; VGPRBlocks: 0
; NumSGPRsForWavesPerEU: 4
; NumVGPRsForWavesPerEU: 1
; AccumOffset: 4
; Occupancy: 8
; WaveLimiterHint : 0
; COMPUTE_PGM_RSRC2:SCRATCH_EN: 0
; COMPUTE_PGM_RSRC2:USER_SGPR: 6
; COMPUTE_PGM_RSRC2:TRAP_HANDLER: 0
; COMPUTE_PGM_RSRC2:TGID_X_EN: 1
; COMPUTE_PGM_RSRC2:TGID_Y_EN: 0
; COMPUTE_PGM_RSRC2:TGID_Z_EN: 0
; COMPUTE_PGM_RSRC2:TIDIG_COMP_CNT: 0
; COMPUTE_PGM_RSRC3_GFX90A:ACCUM_OFFSET: 0
; COMPUTE_PGM_RSRC3_GFX90A:TG_SPLIT: 0
	.section	.text._ZN7rocprim17ROCPRIM_400000_NS6detail17trampoline_kernelINS0_14default_configENS1_38merge_sort_block_merge_config_selectorIlNS0_10empty_typeEEEZZNS1_27merge_sort_block_merge_implIS3_PlPS5_mZN2at6native12_GLOBAL__N_124unique_dim_cuda_templateImEESt5tupleIJNSA_6TensorESF_SF_EERKSF_lbbbEUlllE_EE10hipError_tT0_T1_T2_jT3_P12ihipStream_tbPNSt15iterator_traitsISL_E10value_typeEPNSR_ISM_E10value_typeEPSN_NS1_7vsmem_tEENKUlT_SL_SM_SN_E_clIS8_S8_S9_S9_EESK_S10_SL_SM_SN_EUlS10_E1_NS1_11comp_targetILNS1_3genE8ELNS1_11target_archE1030ELNS1_3gpuE2ELNS1_3repE0EEENS1_36merge_oddeven_config_static_selectorELNS0_4arch9wavefront6targetE1EEEvSM_,"axG",@progbits,_ZN7rocprim17ROCPRIM_400000_NS6detail17trampoline_kernelINS0_14default_configENS1_38merge_sort_block_merge_config_selectorIlNS0_10empty_typeEEEZZNS1_27merge_sort_block_merge_implIS3_PlPS5_mZN2at6native12_GLOBAL__N_124unique_dim_cuda_templateImEESt5tupleIJNSA_6TensorESF_SF_EERKSF_lbbbEUlllE_EE10hipError_tT0_T1_T2_jT3_P12ihipStream_tbPNSt15iterator_traitsISL_E10value_typeEPNSR_ISM_E10value_typeEPSN_NS1_7vsmem_tEENKUlT_SL_SM_SN_E_clIS8_S8_S9_S9_EESK_S10_SL_SM_SN_EUlS10_E1_NS1_11comp_targetILNS1_3genE8ELNS1_11target_archE1030ELNS1_3gpuE2ELNS1_3repE0EEENS1_36merge_oddeven_config_static_selectorELNS0_4arch9wavefront6targetE1EEEvSM_,comdat
	.globl	_ZN7rocprim17ROCPRIM_400000_NS6detail17trampoline_kernelINS0_14default_configENS1_38merge_sort_block_merge_config_selectorIlNS0_10empty_typeEEEZZNS1_27merge_sort_block_merge_implIS3_PlPS5_mZN2at6native12_GLOBAL__N_124unique_dim_cuda_templateImEESt5tupleIJNSA_6TensorESF_SF_EERKSF_lbbbEUlllE_EE10hipError_tT0_T1_T2_jT3_P12ihipStream_tbPNSt15iterator_traitsISL_E10value_typeEPNSR_ISM_E10value_typeEPSN_NS1_7vsmem_tEENKUlT_SL_SM_SN_E_clIS8_S8_S9_S9_EESK_S10_SL_SM_SN_EUlS10_E1_NS1_11comp_targetILNS1_3genE8ELNS1_11target_archE1030ELNS1_3gpuE2ELNS1_3repE0EEENS1_36merge_oddeven_config_static_selectorELNS0_4arch9wavefront6targetE1EEEvSM_ ; -- Begin function _ZN7rocprim17ROCPRIM_400000_NS6detail17trampoline_kernelINS0_14default_configENS1_38merge_sort_block_merge_config_selectorIlNS0_10empty_typeEEEZZNS1_27merge_sort_block_merge_implIS3_PlPS5_mZN2at6native12_GLOBAL__N_124unique_dim_cuda_templateImEESt5tupleIJNSA_6TensorESF_SF_EERKSF_lbbbEUlllE_EE10hipError_tT0_T1_T2_jT3_P12ihipStream_tbPNSt15iterator_traitsISL_E10value_typeEPNSR_ISM_E10value_typeEPSN_NS1_7vsmem_tEENKUlT_SL_SM_SN_E_clIS8_S8_S9_S9_EESK_S10_SL_SM_SN_EUlS10_E1_NS1_11comp_targetILNS1_3genE8ELNS1_11target_archE1030ELNS1_3gpuE2ELNS1_3repE0EEENS1_36merge_oddeven_config_static_selectorELNS0_4arch9wavefront6targetE1EEEvSM_
	.p2align	8
	.type	_ZN7rocprim17ROCPRIM_400000_NS6detail17trampoline_kernelINS0_14default_configENS1_38merge_sort_block_merge_config_selectorIlNS0_10empty_typeEEEZZNS1_27merge_sort_block_merge_implIS3_PlPS5_mZN2at6native12_GLOBAL__N_124unique_dim_cuda_templateImEESt5tupleIJNSA_6TensorESF_SF_EERKSF_lbbbEUlllE_EE10hipError_tT0_T1_T2_jT3_P12ihipStream_tbPNSt15iterator_traitsISL_E10value_typeEPNSR_ISM_E10value_typeEPSN_NS1_7vsmem_tEENKUlT_SL_SM_SN_E_clIS8_S8_S9_S9_EESK_S10_SL_SM_SN_EUlS10_E1_NS1_11comp_targetILNS1_3genE8ELNS1_11target_archE1030ELNS1_3gpuE2ELNS1_3repE0EEENS1_36merge_oddeven_config_static_selectorELNS0_4arch9wavefront6targetE1EEEvSM_,@function
_ZN7rocprim17ROCPRIM_400000_NS6detail17trampoline_kernelINS0_14default_configENS1_38merge_sort_block_merge_config_selectorIlNS0_10empty_typeEEEZZNS1_27merge_sort_block_merge_implIS3_PlPS5_mZN2at6native12_GLOBAL__N_124unique_dim_cuda_templateImEESt5tupleIJNSA_6TensorESF_SF_EERKSF_lbbbEUlllE_EE10hipError_tT0_T1_T2_jT3_P12ihipStream_tbPNSt15iterator_traitsISL_E10value_typeEPNSR_ISM_E10value_typeEPSN_NS1_7vsmem_tEENKUlT_SL_SM_SN_E_clIS8_S8_S9_S9_EESK_S10_SL_SM_SN_EUlS10_E1_NS1_11comp_targetILNS1_3genE8ELNS1_11target_archE1030ELNS1_3gpuE2ELNS1_3repE0EEENS1_36merge_oddeven_config_static_selectorELNS0_4arch9wavefront6targetE1EEEvSM_: ; @_ZN7rocprim17ROCPRIM_400000_NS6detail17trampoline_kernelINS0_14default_configENS1_38merge_sort_block_merge_config_selectorIlNS0_10empty_typeEEEZZNS1_27merge_sort_block_merge_implIS3_PlPS5_mZN2at6native12_GLOBAL__N_124unique_dim_cuda_templateImEESt5tupleIJNSA_6TensorESF_SF_EERKSF_lbbbEUlllE_EE10hipError_tT0_T1_T2_jT3_P12ihipStream_tbPNSt15iterator_traitsISL_E10value_typeEPNSR_ISM_E10value_typeEPSN_NS1_7vsmem_tEENKUlT_SL_SM_SN_E_clIS8_S8_S9_S9_EESK_S10_SL_SM_SN_EUlS10_E1_NS1_11comp_targetILNS1_3genE8ELNS1_11target_archE1030ELNS1_3gpuE2ELNS1_3repE0EEENS1_36merge_oddeven_config_static_selectorELNS0_4arch9wavefront6targetE1EEEvSM_
; %bb.0:
	.section	.rodata,"a",@progbits
	.p2align	6, 0x0
	.amdhsa_kernel _ZN7rocprim17ROCPRIM_400000_NS6detail17trampoline_kernelINS0_14default_configENS1_38merge_sort_block_merge_config_selectorIlNS0_10empty_typeEEEZZNS1_27merge_sort_block_merge_implIS3_PlPS5_mZN2at6native12_GLOBAL__N_124unique_dim_cuda_templateImEESt5tupleIJNSA_6TensorESF_SF_EERKSF_lbbbEUlllE_EE10hipError_tT0_T1_T2_jT3_P12ihipStream_tbPNSt15iterator_traitsISL_E10value_typeEPNSR_ISM_E10value_typeEPSN_NS1_7vsmem_tEENKUlT_SL_SM_SN_E_clIS8_S8_S9_S9_EESK_S10_SL_SM_SN_EUlS10_E1_NS1_11comp_targetILNS1_3genE8ELNS1_11target_archE1030ELNS1_3gpuE2ELNS1_3repE0EEENS1_36merge_oddeven_config_static_selectorELNS0_4arch9wavefront6targetE1EEEvSM_
		.amdhsa_group_segment_fixed_size 0
		.amdhsa_private_segment_fixed_size 0
		.amdhsa_kernarg_size 64
		.amdhsa_user_sgpr_count 6
		.amdhsa_user_sgpr_private_segment_buffer 1
		.amdhsa_user_sgpr_dispatch_ptr 0
		.amdhsa_user_sgpr_queue_ptr 0
		.amdhsa_user_sgpr_kernarg_segment_ptr 1
		.amdhsa_user_sgpr_dispatch_id 0
		.amdhsa_user_sgpr_flat_scratch_init 0
		.amdhsa_user_sgpr_kernarg_preload_length 0
		.amdhsa_user_sgpr_kernarg_preload_offset 0
		.amdhsa_user_sgpr_private_segment_size 0
		.amdhsa_uses_dynamic_stack 0
		.amdhsa_system_sgpr_private_segment_wavefront_offset 0
		.amdhsa_system_sgpr_workgroup_id_x 1
		.amdhsa_system_sgpr_workgroup_id_y 0
		.amdhsa_system_sgpr_workgroup_id_z 0
		.amdhsa_system_sgpr_workgroup_info 0
		.amdhsa_system_vgpr_workitem_id 0
		.amdhsa_next_free_vgpr 1
		.amdhsa_next_free_sgpr 0
		.amdhsa_accum_offset 4
		.amdhsa_reserve_vcc 0
		.amdhsa_reserve_flat_scratch 0
		.amdhsa_float_round_mode_32 0
		.amdhsa_float_round_mode_16_64 0
		.amdhsa_float_denorm_mode_32 3
		.amdhsa_float_denorm_mode_16_64 3
		.amdhsa_dx10_clamp 1
		.amdhsa_ieee_mode 1
		.amdhsa_fp16_overflow 0
		.amdhsa_tg_split 0
		.amdhsa_exception_fp_ieee_invalid_op 0
		.amdhsa_exception_fp_denorm_src 0
		.amdhsa_exception_fp_ieee_div_zero 0
		.amdhsa_exception_fp_ieee_overflow 0
		.amdhsa_exception_fp_ieee_underflow 0
		.amdhsa_exception_fp_ieee_inexact 0
		.amdhsa_exception_int_div_zero 0
	.end_amdhsa_kernel
	.section	.text._ZN7rocprim17ROCPRIM_400000_NS6detail17trampoline_kernelINS0_14default_configENS1_38merge_sort_block_merge_config_selectorIlNS0_10empty_typeEEEZZNS1_27merge_sort_block_merge_implIS3_PlPS5_mZN2at6native12_GLOBAL__N_124unique_dim_cuda_templateImEESt5tupleIJNSA_6TensorESF_SF_EERKSF_lbbbEUlllE_EE10hipError_tT0_T1_T2_jT3_P12ihipStream_tbPNSt15iterator_traitsISL_E10value_typeEPNSR_ISM_E10value_typeEPSN_NS1_7vsmem_tEENKUlT_SL_SM_SN_E_clIS8_S8_S9_S9_EESK_S10_SL_SM_SN_EUlS10_E1_NS1_11comp_targetILNS1_3genE8ELNS1_11target_archE1030ELNS1_3gpuE2ELNS1_3repE0EEENS1_36merge_oddeven_config_static_selectorELNS0_4arch9wavefront6targetE1EEEvSM_,"axG",@progbits,_ZN7rocprim17ROCPRIM_400000_NS6detail17trampoline_kernelINS0_14default_configENS1_38merge_sort_block_merge_config_selectorIlNS0_10empty_typeEEEZZNS1_27merge_sort_block_merge_implIS3_PlPS5_mZN2at6native12_GLOBAL__N_124unique_dim_cuda_templateImEESt5tupleIJNSA_6TensorESF_SF_EERKSF_lbbbEUlllE_EE10hipError_tT0_T1_T2_jT3_P12ihipStream_tbPNSt15iterator_traitsISL_E10value_typeEPNSR_ISM_E10value_typeEPSN_NS1_7vsmem_tEENKUlT_SL_SM_SN_E_clIS8_S8_S9_S9_EESK_S10_SL_SM_SN_EUlS10_E1_NS1_11comp_targetILNS1_3genE8ELNS1_11target_archE1030ELNS1_3gpuE2ELNS1_3repE0EEENS1_36merge_oddeven_config_static_selectorELNS0_4arch9wavefront6targetE1EEEvSM_,comdat
.Lfunc_end1635:
	.size	_ZN7rocprim17ROCPRIM_400000_NS6detail17trampoline_kernelINS0_14default_configENS1_38merge_sort_block_merge_config_selectorIlNS0_10empty_typeEEEZZNS1_27merge_sort_block_merge_implIS3_PlPS5_mZN2at6native12_GLOBAL__N_124unique_dim_cuda_templateImEESt5tupleIJNSA_6TensorESF_SF_EERKSF_lbbbEUlllE_EE10hipError_tT0_T1_T2_jT3_P12ihipStream_tbPNSt15iterator_traitsISL_E10value_typeEPNSR_ISM_E10value_typeEPSN_NS1_7vsmem_tEENKUlT_SL_SM_SN_E_clIS8_S8_S9_S9_EESK_S10_SL_SM_SN_EUlS10_E1_NS1_11comp_targetILNS1_3genE8ELNS1_11target_archE1030ELNS1_3gpuE2ELNS1_3repE0EEENS1_36merge_oddeven_config_static_selectorELNS0_4arch9wavefront6targetE1EEEvSM_, .Lfunc_end1635-_ZN7rocprim17ROCPRIM_400000_NS6detail17trampoline_kernelINS0_14default_configENS1_38merge_sort_block_merge_config_selectorIlNS0_10empty_typeEEEZZNS1_27merge_sort_block_merge_implIS3_PlPS5_mZN2at6native12_GLOBAL__N_124unique_dim_cuda_templateImEESt5tupleIJNSA_6TensorESF_SF_EERKSF_lbbbEUlllE_EE10hipError_tT0_T1_T2_jT3_P12ihipStream_tbPNSt15iterator_traitsISL_E10value_typeEPNSR_ISM_E10value_typeEPSN_NS1_7vsmem_tEENKUlT_SL_SM_SN_E_clIS8_S8_S9_S9_EESK_S10_SL_SM_SN_EUlS10_E1_NS1_11comp_targetILNS1_3genE8ELNS1_11target_archE1030ELNS1_3gpuE2ELNS1_3repE0EEENS1_36merge_oddeven_config_static_selectorELNS0_4arch9wavefront6targetE1EEEvSM_
                                        ; -- End function
	.section	.AMDGPU.csdata,"",@progbits
; Kernel info:
; codeLenInByte = 0
; NumSgprs: 4
; NumVgprs: 0
; NumAgprs: 0
; TotalNumVgprs: 0
; ScratchSize: 0
; MemoryBound: 0
; FloatMode: 240
; IeeeMode: 1
; LDSByteSize: 0 bytes/workgroup (compile time only)
; SGPRBlocks: 0
; VGPRBlocks: 0
; NumSGPRsForWavesPerEU: 4
; NumVGPRsForWavesPerEU: 1
; AccumOffset: 4
; Occupancy: 8
; WaveLimiterHint : 0
; COMPUTE_PGM_RSRC2:SCRATCH_EN: 0
; COMPUTE_PGM_RSRC2:USER_SGPR: 6
; COMPUTE_PGM_RSRC2:TRAP_HANDLER: 0
; COMPUTE_PGM_RSRC2:TGID_X_EN: 1
; COMPUTE_PGM_RSRC2:TGID_Y_EN: 0
; COMPUTE_PGM_RSRC2:TGID_Z_EN: 0
; COMPUTE_PGM_RSRC2:TIDIG_COMP_CNT: 0
; COMPUTE_PGM_RSRC3_GFX90A:ACCUM_OFFSET: 0
; COMPUTE_PGM_RSRC3_GFX90A:TG_SPLIT: 0
	.section	.text._ZN7rocprim17ROCPRIM_400000_NS6detail17trampoline_kernelINS0_14default_configENS1_35adjacent_difference_config_selectorILb0ElEEZNS1_24adjacent_difference_implIS3_Lb0ELb0EPlS7_ZN2at6native12_GLOBAL__N_124unique_dim_cuda_templateImEESt5tupleIJNS8_6TensorESD_SD_EERKSD_lbbbEUlllE1_EE10hipError_tPvRmT2_T3_mT4_P12ihipStream_tbEUlT_E_NS1_11comp_targetILNS1_3genE0ELNS1_11target_archE4294967295ELNS1_3gpuE0ELNS1_3repE0EEENS1_30default_config_static_selectorELNS0_4arch9wavefront6targetE1EEEvT1_,"axG",@progbits,_ZN7rocprim17ROCPRIM_400000_NS6detail17trampoline_kernelINS0_14default_configENS1_35adjacent_difference_config_selectorILb0ElEEZNS1_24adjacent_difference_implIS3_Lb0ELb0EPlS7_ZN2at6native12_GLOBAL__N_124unique_dim_cuda_templateImEESt5tupleIJNS8_6TensorESD_SD_EERKSD_lbbbEUlllE1_EE10hipError_tPvRmT2_T3_mT4_P12ihipStream_tbEUlT_E_NS1_11comp_targetILNS1_3genE0ELNS1_11target_archE4294967295ELNS1_3gpuE0ELNS1_3repE0EEENS1_30default_config_static_selectorELNS0_4arch9wavefront6targetE1EEEvT1_,comdat
	.globl	_ZN7rocprim17ROCPRIM_400000_NS6detail17trampoline_kernelINS0_14default_configENS1_35adjacent_difference_config_selectorILb0ElEEZNS1_24adjacent_difference_implIS3_Lb0ELb0EPlS7_ZN2at6native12_GLOBAL__N_124unique_dim_cuda_templateImEESt5tupleIJNS8_6TensorESD_SD_EERKSD_lbbbEUlllE1_EE10hipError_tPvRmT2_T3_mT4_P12ihipStream_tbEUlT_E_NS1_11comp_targetILNS1_3genE0ELNS1_11target_archE4294967295ELNS1_3gpuE0ELNS1_3repE0EEENS1_30default_config_static_selectorELNS0_4arch9wavefront6targetE1EEEvT1_ ; -- Begin function _ZN7rocprim17ROCPRIM_400000_NS6detail17trampoline_kernelINS0_14default_configENS1_35adjacent_difference_config_selectorILb0ElEEZNS1_24adjacent_difference_implIS3_Lb0ELb0EPlS7_ZN2at6native12_GLOBAL__N_124unique_dim_cuda_templateImEESt5tupleIJNS8_6TensorESD_SD_EERKSD_lbbbEUlllE1_EE10hipError_tPvRmT2_T3_mT4_P12ihipStream_tbEUlT_E_NS1_11comp_targetILNS1_3genE0ELNS1_11target_archE4294967295ELNS1_3gpuE0ELNS1_3repE0EEENS1_30default_config_static_selectorELNS0_4arch9wavefront6targetE1EEEvT1_
	.p2align	8
	.type	_ZN7rocprim17ROCPRIM_400000_NS6detail17trampoline_kernelINS0_14default_configENS1_35adjacent_difference_config_selectorILb0ElEEZNS1_24adjacent_difference_implIS3_Lb0ELb0EPlS7_ZN2at6native12_GLOBAL__N_124unique_dim_cuda_templateImEESt5tupleIJNS8_6TensorESD_SD_EERKSD_lbbbEUlllE1_EE10hipError_tPvRmT2_T3_mT4_P12ihipStream_tbEUlT_E_NS1_11comp_targetILNS1_3genE0ELNS1_11target_archE4294967295ELNS1_3gpuE0ELNS1_3repE0EEENS1_30default_config_static_selectorELNS0_4arch9wavefront6targetE1EEEvT1_,@function
_ZN7rocprim17ROCPRIM_400000_NS6detail17trampoline_kernelINS0_14default_configENS1_35adjacent_difference_config_selectorILb0ElEEZNS1_24adjacent_difference_implIS3_Lb0ELb0EPlS7_ZN2at6native12_GLOBAL__N_124unique_dim_cuda_templateImEESt5tupleIJNS8_6TensorESD_SD_EERKSD_lbbbEUlllE1_EE10hipError_tPvRmT2_T3_mT4_P12ihipStream_tbEUlT_E_NS1_11comp_targetILNS1_3genE0ELNS1_11target_archE4294967295ELNS1_3gpuE0ELNS1_3repE0EEENS1_30default_config_static_selectorELNS0_4arch9wavefront6targetE1EEEvT1_: ; @_ZN7rocprim17ROCPRIM_400000_NS6detail17trampoline_kernelINS0_14default_configENS1_35adjacent_difference_config_selectorILb0ElEEZNS1_24adjacent_difference_implIS3_Lb0ELb0EPlS7_ZN2at6native12_GLOBAL__N_124unique_dim_cuda_templateImEESt5tupleIJNS8_6TensorESD_SD_EERKSD_lbbbEUlllE1_EE10hipError_tPvRmT2_T3_mT4_P12ihipStream_tbEUlT_E_NS1_11comp_targetILNS1_3genE0ELNS1_11target_archE4294967295ELNS1_3gpuE0ELNS1_3repE0EEENS1_30default_config_static_selectorELNS0_4arch9wavefront6targetE1EEEvT1_
; %bb.0:
	.section	.rodata,"a",@progbits
	.p2align	6, 0x0
	.amdhsa_kernel _ZN7rocprim17ROCPRIM_400000_NS6detail17trampoline_kernelINS0_14default_configENS1_35adjacent_difference_config_selectorILb0ElEEZNS1_24adjacent_difference_implIS3_Lb0ELb0EPlS7_ZN2at6native12_GLOBAL__N_124unique_dim_cuda_templateImEESt5tupleIJNS8_6TensorESD_SD_EERKSD_lbbbEUlllE1_EE10hipError_tPvRmT2_T3_mT4_P12ihipStream_tbEUlT_E_NS1_11comp_targetILNS1_3genE0ELNS1_11target_archE4294967295ELNS1_3gpuE0ELNS1_3repE0EEENS1_30default_config_static_selectorELNS0_4arch9wavefront6targetE1EEEvT1_
		.amdhsa_group_segment_fixed_size 0
		.amdhsa_private_segment_fixed_size 0
		.amdhsa_kernarg_size 64
		.amdhsa_user_sgpr_count 6
		.amdhsa_user_sgpr_private_segment_buffer 1
		.amdhsa_user_sgpr_dispatch_ptr 0
		.amdhsa_user_sgpr_queue_ptr 0
		.amdhsa_user_sgpr_kernarg_segment_ptr 1
		.amdhsa_user_sgpr_dispatch_id 0
		.amdhsa_user_sgpr_flat_scratch_init 0
		.amdhsa_user_sgpr_kernarg_preload_length 0
		.amdhsa_user_sgpr_kernarg_preload_offset 0
		.amdhsa_user_sgpr_private_segment_size 0
		.amdhsa_uses_dynamic_stack 0
		.amdhsa_system_sgpr_private_segment_wavefront_offset 0
		.amdhsa_system_sgpr_workgroup_id_x 1
		.amdhsa_system_sgpr_workgroup_id_y 0
		.amdhsa_system_sgpr_workgroup_id_z 0
		.amdhsa_system_sgpr_workgroup_info 0
		.amdhsa_system_vgpr_workitem_id 0
		.amdhsa_next_free_vgpr 1
		.amdhsa_next_free_sgpr 0
		.amdhsa_accum_offset 4
		.amdhsa_reserve_vcc 0
		.amdhsa_reserve_flat_scratch 0
		.amdhsa_float_round_mode_32 0
		.amdhsa_float_round_mode_16_64 0
		.amdhsa_float_denorm_mode_32 3
		.amdhsa_float_denorm_mode_16_64 3
		.amdhsa_dx10_clamp 1
		.amdhsa_ieee_mode 1
		.amdhsa_fp16_overflow 0
		.amdhsa_tg_split 0
		.amdhsa_exception_fp_ieee_invalid_op 0
		.amdhsa_exception_fp_denorm_src 0
		.amdhsa_exception_fp_ieee_div_zero 0
		.amdhsa_exception_fp_ieee_overflow 0
		.amdhsa_exception_fp_ieee_underflow 0
		.amdhsa_exception_fp_ieee_inexact 0
		.amdhsa_exception_int_div_zero 0
	.end_amdhsa_kernel
	.section	.text._ZN7rocprim17ROCPRIM_400000_NS6detail17trampoline_kernelINS0_14default_configENS1_35adjacent_difference_config_selectorILb0ElEEZNS1_24adjacent_difference_implIS3_Lb0ELb0EPlS7_ZN2at6native12_GLOBAL__N_124unique_dim_cuda_templateImEESt5tupleIJNS8_6TensorESD_SD_EERKSD_lbbbEUlllE1_EE10hipError_tPvRmT2_T3_mT4_P12ihipStream_tbEUlT_E_NS1_11comp_targetILNS1_3genE0ELNS1_11target_archE4294967295ELNS1_3gpuE0ELNS1_3repE0EEENS1_30default_config_static_selectorELNS0_4arch9wavefront6targetE1EEEvT1_,"axG",@progbits,_ZN7rocprim17ROCPRIM_400000_NS6detail17trampoline_kernelINS0_14default_configENS1_35adjacent_difference_config_selectorILb0ElEEZNS1_24adjacent_difference_implIS3_Lb0ELb0EPlS7_ZN2at6native12_GLOBAL__N_124unique_dim_cuda_templateImEESt5tupleIJNS8_6TensorESD_SD_EERKSD_lbbbEUlllE1_EE10hipError_tPvRmT2_T3_mT4_P12ihipStream_tbEUlT_E_NS1_11comp_targetILNS1_3genE0ELNS1_11target_archE4294967295ELNS1_3gpuE0ELNS1_3repE0EEENS1_30default_config_static_selectorELNS0_4arch9wavefront6targetE1EEEvT1_,comdat
.Lfunc_end1636:
	.size	_ZN7rocprim17ROCPRIM_400000_NS6detail17trampoline_kernelINS0_14default_configENS1_35adjacent_difference_config_selectorILb0ElEEZNS1_24adjacent_difference_implIS3_Lb0ELb0EPlS7_ZN2at6native12_GLOBAL__N_124unique_dim_cuda_templateImEESt5tupleIJNS8_6TensorESD_SD_EERKSD_lbbbEUlllE1_EE10hipError_tPvRmT2_T3_mT4_P12ihipStream_tbEUlT_E_NS1_11comp_targetILNS1_3genE0ELNS1_11target_archE4294967295ELNS1_3gpuE0ELNS1_3repE0EEENS1_30default_config_static_selectorELNS0_4arch9wavefront6targetE1EEEvT1_, .Lfunc_end1636-_ZN7rocprim17ROCPRIM_400000_NS6detail17trampoline_kernelINS0_14default_configENS1_35adjacent_difference_config_selectorILb0ElEEZNS1_24adjacent_difference_implIS3_Lb0ELb0EPlS7_ZN2at6native12_GLOBAL__N_124unique_dim_cuda_templateImEESt5tupleIJNS8_6TensorESD_SD_EERKSD_lbbbEUlllE1_EE10hipError_tPvRmT2_T3_mT4_P12ihipStream_tbEUlT_E_NS1_11comp_targetILNS1_3genE0ELNS1_11target_archE4294967295ELNS1_3gpuE0ELNS1_3repE0EEENS1_30default_config_static_selectorELNS0_4arch9wavefront6targetE1EEEvT1_
                                        ; -- End function
	.section	.AMDGPU.csdata,"",@progbits
; Kernel info:
; codeLenInByte = 0
; NumSgprs: 4
; NumVgprs: 0
; NumAgprs: 0
; TotalNumVgprs: 0
; ScratchSize: 0
; MemoryBound: 0
; FloatMode: 240
; IeeeMode: 1
; LDSByteSize: 0 bytes/workgroup (compile time only)
; SGPRBlocks: 0
; VGPRBlocks: 0
; NumSGPRsForWavesPerEU: 4
; NumVGPRsForWavesPerEU: 1
; AccumOffset: 4
; Occupancy: 8
; WaveLimiterHint : 0
; COMPUTE_PGM_RSRC2:SCRATCH_EN: 0
; COMPUTE_PGM_RSRC2:USER_SGPR: 6
; COMPUTE_PGM_RSRC2:TRAP_HANDLER: 0
; COMPUTE_PGM_RSRC2:TGID_X_EN: 1
; COMPUTE_PGM_RSRC2:TGID_Y_EN: 0
; COMPUTE_PGM_RSRC2:TGID_Z_EN: 0
; COMPUTE_PGM_RSRC2:TIDIG_COMP_CNT: 0
; COMPUTE_PGM_RSRC3_GFX90A:ACCUM_OFFSET: 0
; COMPUTE_PGM_RSRC3_GFX90A:TG_SPLIT: 0
	.section	.text._ZN7rocprim17ROCPRIM_400000_NS6detail17trampoline_kernelINS0_14default_configENS1_35adjacent_difference_config_selectorILb0ElEEZNS1_24adjacent_difference_implIS3_Lb0ELb0EPlS7_ZN2at6native12_GLOBAL__N_124unique_dim_cuda_templateImEESt5tupleIJNS8_6TensorESD_SD_EERKSD_lbbbEUlllE1_EE10hipError_tPvRmT2_T3_mT4_P12ihipStream_tbEUlT_E_NS1_11comp_targetILNS1_3genE10ELNS1_11target_archE1201ELNS1_3gpuE5ELNS1_3repE0EEENS1_30default_config_static_selectorELNS0_4arch9wavefront6targetE1EEEvT1_,"axG",@progbits,_ZN7rocprim17ROCPRIM_400000_NS6detail17trampoline_kernelINS0_14default_configENS1_35adjacent_difference_config_selectorILb0ElEEZNS1_24adjacent_difference_implIS3_Lb0ELb0EPlS7_ZN2at6native12_GLOBAL__N_124unique_dim_cuda_templateImEESt5tupleIJNS8_6TensorESD_SD_EERKSD_lbbbEUlllE1_EE10hipError_tPvRmT2_T3_mT4_P12ihipStream_tbEUlT_E_NS1_11comp_targetILNS1_3genE10ELNS1_11target_archE1201ELNS1_3gpuE5ELNS1_3repE0EEENS1_30default_config_static_selectorELNS0_4arch9wavefront6targetE1EEEvT1_,comdat
	.globl	_ZN7rocprim17ROCPRIM_400000_NS6detail17trampoline_kernelINS0_14default_configENS1_35adjacent_difference_config_selectorILb0ElEEZNS1_24adjacent_difference_implIS3_Lb0ELb0EPlS7_ZN2at6native12_GLOBAL__N_124unique_dim_cuda_templateImEESt5tupleIJNS8_6TensorESD_SD_EERKSD_lbbbEUlllE1_EE10hipError_tPvRmT2_T3_mT4_P12ihipStream_tbEUlT_E_NS1_11comp_targetILNS1_3genE10ELNS1_11target_archE1201ELNS1_3gpuE5ELNS1_3repE0EEENS1_30default_config_static_selectorELNS0_4arch9wavefront6targetE1EEEvT1_ ; -- Begin function _ZN7rocprim17ROCPRIM_400000_NS6detail17trampoline_kernelINS0_14default_configENS1_35adjacent_difference_config_selectorILb0ElEEZNS1_24adjacent_difference_implIS3_Lb0ELb0EPlS7_ZN2at6native12_GLOBAL__N_124unique_dim_cuda_templateImEESt5tupleIJNS8_6TensorESD_SD_EERKSD_lbbbEUlllE1_EE10hipError_tPvRmT2_T3_mT4_P12ihipStream_tbEUlT_E_NS1_11comp_targetILNS1_3genE10ELNS1_11target_archE1201ELNS1_3gpuE5ELNS1_3repE0EEENS1_30default_config_static_selectorELNS0_4arch9wavefront6targetE1EEEvT1_
	.p2align	8
	.type	_ZN7rocprim17ROCPRIM_400000_NS6detail17trampoline_kernelINS0_14default_configENS1_35adjacent_difference_config_selectorILb0ElEEZNS1_24adjacent_difference_implIS3_Lb0ELb0EPlS7_ZN2at6native12_GLOBAL__N_124unique_dim_cuda_templateImEESt5tupleIJNS8_6TensorESD_SD_EERKSD_lbbbEUlllE1_EE10hipError_tPvRmT2_T3_mT4_P12ihipStream_tbEUlT_E_NS1_11comp_targetILNS1_3genE10ELNS1_11target_archE1201ELNS1_3gpuE5ELNS1_3repE0EEENS1_30default_config_static_selectorELNS0_4arch9wavefront6targetE1EEEvT1_,@function
_ZN7rocprim17ROCPRIM_400000_NS6detail17trampoline_kernelINS0_14default_configENS1_35adjacent_difference_config_selectorILb0ElEEZNS1_24adjacent_difference_implIS3_Lb0ELb0EPlS7_ZN2at6native12_GLOBAL__N_124unique_dim_cuda_templateImEESt5tupleIJNS8_6TensorESD_SD_EERKSD_lbbbEUlllE1_EE10hipError_tPvRmT2_T3_mT4_P12ihipStream_tbEUlT_E_NS1_11comp_targetILNS1_3genE10ELNS1_11target_archE1201ELNS1_3gpuE5ELNS1_3repE0EEENS1_30default_config_static_selectorELNS0_4arch9wavefront6targetE1EEEvT1_: ; @_ZN7rocprim17ROCPRIM_400000_NS6detail17trampoline_kernelINS0_14default_configENS1_35adjacent_difference_config_selectorILb0ElEEZNS1_24adjacent_difference_implIS3_Lb0ELb0EPlS7_ZN2at6native12_GLOBAL__N_124unique_dim_cuda_templateImEESt5tupleIJNS8_6TensorESD_SD_EERKSD_lbbbEUlllE1_EE10hipError_tPvRmT2_T3_mT4_P12ihipStream_tbEUlT_E_NS1_11comp_targetILNS1_3genE10ELNS1_11target_archE1201ELNS1_3gpuE5ELNS1_3repE0EEENS1_30default_config_static_selectorELNS0_4arch9wavefront6targetE1EEEvT1_
; %bb.0:
	.section	.rodata,"a",@progbits
	.p2align	6, 0x0
	.amdhsa_kernel _ZN7rocprim17ROCPRIM_400000_NS6detail17trampoline_kernelINS0_14default_configENS1_35adjacent_difference_config_selectorILb0ElEEZNS1_24adjacent_difference_implIS3_Lb0ELb0EPlS7_ZN2at6native12_GLOBAL__N_124unique_dim_cuda_templateImEESt5tupleIJNS8_6TensorESD_SD_EERKSD_lbbbEUlllE1_EE10hipError_tPvRmT2_T3_mT4_P12ihipStream_tbEUlT_E_NS1_11comp_targetILNS1_3genE10ELNS1_11target_archE1201ELNS1_3gpuE5ELNS1_3repE0EEENS1_30default_config_static_selectorELNS0_4arch9wavefront6targetE1EEEvT1_
		.amdhsa_group_segment_fixed_size 0
		.amdhsa_private_segment_fixed_size 0
		.amdhsa_kernarg_size 64
		.amdhsa_user_sgpr_count 6
		.amdhsa_user_sgpr_private_segment_buffer 1
		.amdhsa_user_sgpr_dispatch_ptr 0
		.amdhsa_user_sgpr_queue_ptr 0
		.amdhsa_user_sgpr_kernarg_segment_ptr 1
		.amdhsa_user_sgpr_dispatch_id 0
		.amdhsa_user_sgpr_flat_scratch_init 0
		.amdhsa_user_sgpr_kernarg_preload_length 0
		.amdhsa_user_sgpr_kernarg_preload_offset 0
		.amdhsa_user_sgpr_private_segment_size 0
		.amdhsa_uses_dynamic_stack 0
		.amdhsa_system_sgpr_private_segment_wavefront_offset 0
		.amdhsa_system_sgpr_workgroup_id_x 1
		.amdhsa_system_sgpr_workgroup_id_y 0
		.amdhsa_system_sgpr_workgroup_id_z 0
		.amdhsa_system_sgpr_workgroup_info 0
		.amdhsa_system_vgpr_workitem_id 0
		.amdhsa_next_free_vgpr 1
		.amdhsa_next_free_sgpr 0
		.amdhsa_accum_offset 4
		.amdhsa_reserve_vcc 0
		.amdhsa_reserve_flat_scratch 0
		.amdhsa_float_round_mode_32 0
		.amdhsa_float_round_mode_16_64 0
		.amdhsa_float_denorm_mode_32 3
		.amdhsa_float_denorm_mode_16_64 3
		.amdhsa_dx10_clamp 1
		.amdhsa_ieee_mode 1
		.amdhsa_fp16_overflow 0
		.amdhsa_tg_split 0
		.amdhsa_exception_fp_ieee_invalid_op 0
		.amdhsa_exception_fp_denorm_src 0
		.amdhsa_exception_fp_ieee_div_zero 0
		.amdhsa_exception_fp_ieee_overflow 0
		.amdhsa_exception_fp_ieee_underflow 0
		.amdhsa_exception_fp_ieee_inexact 0
		.amdhsa_exception_int_div_zero 0
	.end_amdhsa_kernel
	.section	.text._ZN7rocprim17ROCPRIM_400000_NS6detail17trampoline_kernelINS0_14default_configENS1_35adjacent_difference_config_selectorILb0ElEEZNS1_24adjacent_difference_implIS3_Lb0ELb0EPlS7_ZN2at6native12_GLOBAL__N_124unique_dim_cuda_templateImEESt5tupleIJNS8_6TensorESD_SD_EERKSD_lbbbEUlllE1_EE10hipError_tPvRmT2_T3_mT4_P12ihipStream_tbEUlT_E_NS1_11comp_targetILNS1_3genE10ELNS1_11target_archE1201ELNS1_3gpuE5ELNS1_3repE0EEENS1_30default_config_static_selectorELNS0_4arch9wavefront6targetE1EEEvT1_,"axG",@progbits,_ZN7rocprim17ROCPRIM_400000_NS6detail17trampoline_kernelINS0_14default_configENS1_35adjacent_difference_config_selectorILb0ElEEZNS1_24adjacent_difference_implIS3_Lb0ELb0EPlS7_ZN2at6native12_GLOBAL__N_124unique_dim_cuda_templateImEESt5tupleIJNS8_6TensorESD_SD_EERKSD_lbbbEUlllE1_EE10hipError_tPvRmT2_T3_mT4_P12ihipStream_tbEUlT_E_NS1_11comp_targetILNS1_3genE10ELNS1_11target_archE1201ELNS1_3gpuE5ELNS1_3repE0EEENS1_30default_config_static_selectorELNS0_4arch9wavefront6targetE1EEEvT1_,comdat
.Lfunc_end1637:
	.size	_ZN7rocprim17ROCPRIM_400000_NS6detail17trampoline_kernelINS0_14default_configENS1_35adjacent_difference_config_selectorILb0ElEEZNS1_24adjacent_difference_implIS3_Lb0ELb0EPlS7_ZN2at6native12_GLOBAL__N_124unique_dim_cuda_templateImEESt5tupleIJNS8_6TensorESD_SD_EERKSD_lbbbEUlllE1_EE10hipError_tPvRmT2_T3_mT4_P12ihipStream_tbEUlT_E_NS1_11comp_targetILNS1_3genE10ELNS1_11target_archE1201ELNS1_3gpuE5ELNS1_3repE0EEENS1_30default_config_static_selectorELNS0_4arch9wavefront6targetE1EEEvT1_, .Lfunc_end1637-_ZN7rocprim17ROCPRIM_400000_NS6detail17trampoline_kernelINS0_14default_configENS1_35adjacent_difference_config_selectorILb0ElEEZNS1_24adjacent_difference_implIS3_Lb0ELb0EPlS7_ZN2at6native12_GLOBAL__N_124unique_dim_cuda_templateImEESt5tupleIJNS8_6TensorESD_SD_EERKSD_lbbbEUlllE1_EE10hipError_tPvRmT2_T3_mT4_P12ihipStream_tbEUlT_E_NS1_11comp_targetILNS1_3genE10ELNS1_11target_archE1201ELNS1_3gpuE5ELNS1_3repE0EEENS1_30default_config_static_selectorELNS0_4arch9wavefront6targetE1EEEvT1_
                                        ; -- End function
	.section	.AMDGPU.csdata,"",@progbits
; Kernel info:
; codeLenInByte = 0
; NumSgprs: 4
; NumVgprs: 0
; NumAgprs: 0
; TotalNumVgprs: 0
; ScratchSize: 0
; MemoryBound: 0
; FloatMode: 240
; IeeeMode: 1
; LDSByteSize: 0 bytes/workgroup (compile time only)
; SGPRBlocks: 0
; VGPRBlocks: 0
; NumSGPRsForWavesPerEU: 4
; NumVGPRsForWavesPerEU: 1
; AccumOffset: 4
; Occupancy: 8
; WaveLimiterHint : 0
; COMPUTE_PGM_RSRC2:SCRATCH_EN: 0
; COMPUTE_PGM_RSRC2:USER_SGPR: 6
; COMPUTE_PGM_RSRC2:TRAP_HANDLER: 0
; COMPUTE_PGM_RSRC2:TGID_X_EN: 1
; COMPUTE_PGM_RSRC2:TGID_Y_EN: 0
; COMPUTE_PGM_RSRC2:TGID_Z_EN: 0
; COMPUTE_PGM_RSRC2:TIDIG_COMP_CNT: 0
; COMPUTE_PGM_RSRC3_GFX90A:ACCUM_OFFSET: 0
; COMPUTE_PGM_RSRC3_GFX90A:TG_SPLIT: 0
	.section	.text._ZN7rocprim17ROCPRIM_400000_NS6detail17trampoline_kernelINS0_14default_configENS1_35adjacent_difference_config_selectorILb0ElEEZNS1_24adjacent_difference_implIS3_Lb0ELb0EPlS7_ZN2at6native12_GLOBAL__N_124unique_dim_cuda_templateImEESt5tupleIJNS8_6TensorESD_SD_EERKSD_lbbbEUlllE1_EE10hipError_tPvRmT2_T3_mT4_P12ihipStream_tbEUlT_E_NS1_11comp_targetILNS1_3genE5ELNS1_11target_archE942ELNS1_3gpuE9ELNS1_3repE0EEENS1_30default_config_static_selectorELNS0_4arch9wavefront6targetE1EEEvT1_,"axG",@progbits,_ZN7rocprim17ROCPRIM_400000_NS6detail17trampoline_kernelINS0_14default_configENS1_35adjacent_difference_config_selectorILb0ElEEZNS1_24adjacent_difference_implIS3_Lb0ELb0EPlS7_ZN2at6native12_GLOBAL__N_124unique_dim_cuda_templateImEESt5tupleIJNS8_6TensorESD_SD_EERKSD_lbbbEUlllE1_EE10hipError_tPvRmT2_T3_mT4_P12ihipStream_tbEUlT_E_NS1_11comp_targetILNS1_3genE5ELNS1_11target_archE942ELNS1_3gpuE9ELNS1_3repE0EEENS1_30default_config_static_selectorELNS0_4arch9wavefront6targetE1EEEvT1_,comdat
	.globl	_ZN7rocprim17ROCPRIM_400000_NS6detail17trampoline_kernelINS0_14default_configENS1_35adjacent_difference_config_selectorILb0ElEEZNS1_24adjacent_difference_implIS3_Lb0ELb0EPlS7_ZN2at6native12_GLOBAL__N_124unique_dim_cuda_templateImEESt5tupleIJNS8_6TensorESD_SD_EERKSD_lbbbEUlllE1_EE10hipError_tPvRmT2_T3_mT4_P12ihipStream_tbEUlT_E_NS1_11comp_targetILNS1_3genE5ELNS1_11target_archE942ELNS1_3gpuE9ELNS1_3repE0EEENS1_30default_config_static_selectorELNS0_4arch9wavefront6targetE1EEEvT1_ ; -- Begin function _ZN7rocprim17ROCPRIM_400000_NS6detail17trampoline_kernelINS0_14default_configENS1_35adjacent_difference_config_selectorILb0ElEEZNS1_24adjacent_difference_implIS3_Lb0ELb0EPlS7_ZN2at6native12_GLOBAL__N_124unique_dim_cuda_templateImEESt5tupleIJNS8_6TensorESD_SD_EERKSD_lbbbEUlllE1_EE10hipError_tPvRmT2_T3_mT4_P12ihipStream_tbEUlT_E_NS1_11comp_targetILNS1_3genE5ELNS1_11target_archE942ELNS1_3gpuE9ELNS1_3repE0EEENS1_30default_config_static_selectorELNS0_4arch9wavefront6targetE1EEEvT1_
	.p2align	8
	.type	_ZN7rocprim17ROCPRIM_400000_NS6detail17trampoline_kernelINS0_14default_configENS1_35adjacent_difference_config_selectorILb0ElEEZNS1_24adjacent_difference_implIS3_Lb0ELb0EPlS7_ZN2at6native12_GLOBAL__N_124unique_dim_cuda_templateImEESt5tupleIJNS8_6TensorESD_SD_EERKSD_lbbbEUlllE1_EE10hipError_tPvRmT2_T3_mT4_P12ihipStream_tbEUlT_E_NS1_11comp_targetILNS1_3genE5ELNS1_11target_archE942ELNS1_3gpuE9ELNS1_3repE0EEENS1_30default_config_static_selectorELNS0_4arch9wavefront6targetE1EEEvT1_,@function
_ZN7rocprim17ROCPRIM_400000_NS6detail17trampoline_kernelINS0_14default_configENS1_35adjacent_difference_config_selectorILb0ElEEZNS1_24adjacent_difference_implIS3_Lb0ELb0EPlS7_ZN2at6native12_GLOBAL__N_124unique_dim_cuda_templateImEESt5tupleIJNS8_6TensorESD_SD_EERKSD_lbbbEUlllE1_EE10hipError_tPvRmT2_T3_mT4_P12ihipStream_tbEUlT_E_NS1_11comp_targetILNS1_3genE5ELNS1_11target_archE942ELNS1_3gpuE9ELNS1_3repE0EEENS1_30default_config_static_selectorELNS0_4arch9wavefront6targetE1EEEvT1_: ; @_ZN7rocprim17ROCPRIM_400000_NS6detail17trampoline_kernelINS0_14default_configENS1_35adjacent_difference_config_selectorILb0ElEEZNS1_24adjacent_difference_implIS3_Lb0ELb0EPlS7_ZN2at6native12_GLOBAL__N_124unique_dim_cuda_templateImEESt5tupleIJNS8_6TensorESD_SD_EERKSD_lbbbEUlllE1_EE10hipError_tPvRmT2_T3_mT4_P12ihipStream_tbEUlT_E_NS1_11comp_targetILNS1_3genE5ELNS1_11target_archE942ELNS1_3gpuE9ELNS1_3repE0EEENS1_30default_config_static_selectorELNS0_4arch9wavefront6targetE1EEEvT1_
; %bb.0:
	.section	.rodata,"a",@progbits
	.p2align	6, 0x0
	.amdhsa_kernel _ZN7rocprim17ROCPRIM_400000_NS6detail17trampoline_kernelINS0_14default_configENS1_35adjacent_difference_config_selectorILb0ElEEZNS1_24adjacent_difference_implIS3_Lb0ELb0EPlS7_ZN2at6native12_GLOBAL__N_124unique_dim_cuda_templateImEESt5tupleIJNS8_6TensorESD_SD_EERKSD_lbbbEUlllE1_EE10hipError_tPvRmT2_T3_mT4_P12ihipStream_tbEUlT_E_NS1_11comp_targetILNS1_3genE5ELNS1_11target_archE942ELNS1_3gpuE9ELNS1_3repE0EEENS1_30default_config_static_selectorELNS0_4arch9wavefront6targetE1EEEvT1_
		.amdhsa_group_segment_fixed_size 0
		.amdhsa_private_segment_fixed_size 0
		.amdhsa_kernarg_size 64
		.amdhsa_user_sgpr_count 6
		.amdhsa_user_sgpr_private_segment_buffer 1
		.amdhsa_user_sgpr_dispatch_ptr 0
		.amdhsa_user_sgpr_queue_ptr 0
		.amdhsa_user_sgpr_kernarg_segment_ptr 1
		.amdhsa_user_sgpr_dispatch_id 0
		.amdhsa_user_sgpr_flat_scratch_init 0
		.amdhsa_user_sgpr_kernarg_preload_length 0
		.amdhsa_user_sgpr_kernarg_preload_offset 0
		.amdhsa_user_sgpr_private_segment_size 0
		.amdhsa_uses_dynamic_stack 0
		.amdhsa_system_sgpr_private_segment_wavefront_offset 0
		.amdhsa_system_sgpr_workgroup_id_x 1
		.amdhsa_system_sgpr_workgroup_id_y 0
		.amdhsa_system_sgpr_workgroup_id_z 0
		.amdhsa_system_sgpr_workgroup_info 0
		.amdhsa_system_vgpr_workitem_id 0
		.amdhsa_next_free_vgpr 1
		.amdhsa_next_free_sgpr 0
		.amdhsa_accum_offset 4
		.amdhsa_reserve_vcc 0
		.amdhsa_reserve_flat_scratch 0
		.amdhsa_float_round_mode_32 0
		.amdhsa_float_round_mode_16_64 0
		.amdhsa_float_denorm_mode_32 3
		.amdhsa_float_denorm_mode_16_64 3
		.amdhsa_dx10_clamp 1
		.amdhsa_ieee_mode 1
		.amdhsa_fp16_overflow 0
		.amdhsa_tg_split 0
		.amdhsa_exception_fp_ieee_invalid_op 0
		.amdhsa_exception_fp_denorm_src 0
		.amdhsa_exception_fp_ieee_div_zero 0
		.amdhsa_exception_fp_ieee_overflow 0
		.amdhsa_exception_fp_ieee_underflow 0
		.amdhsa_exception_fp_ieee_inexact 0
		.amdhsa_exception_int_div_zero 0
	.end_amdhsa_kernel
	.section	.text._ZN7rocprim17ROCPRIM_400000_NS6detail17trampoline_kernelINS0_14default_configENS1_35adjacent_difference_config_selectorILb0ElEEZNS1_24adjacent_difference_implIS3_Lb0ELb0EPlS7_ZN2at6native12_GLOBAL__N_124unique_dim_cuda_templateImEESt5tupleIJNS8_6TensorESD_SD_EERKSD_lbbbEUlllE1_EE10hipError_tPvRmT2_T3_mT4_P12ihipStream_tbEUlT_E_NS1_11comp_targetILNS1_3genE5ELNS1_11target_archE942ELNS1_3gpuE9ELNS1_3repE0EEENS1_30default_config_static_selectorELNS0_4arch9wavefront6targetE1EEEvT1_,"axG",@progbits,_ZN7rocprim17ROCPRIM_400000_NS6detail17trampoline_kernelINS0_14default_configENS1_35adjacent_difference_config_selectorILb0ElEEZNS1_24adjacent_difference_implIS3_Lb0ELb0EPlS7_ZN2at6native12_GLOBAL__N_124unique_dim_cuda_templateImEESt5tupleIJNS8_6TensorESD_SD_EERKSD_lbbbEUlllE1_EE10hipError_tPvRmT2_T3_mT4_P12ihipStream_tbEUlT_E_NS1_11comp_targetILNS1_3genE5ELNS1_11target_archE942ELNS1_3gpuE9ELNS1_3repE0EEENS1_30default_config_static_selectorELNS0_4arch9wavefront6targetE1EEEvT1_,comdat
.Lfunc_end1638:
	.size	_ZN7rocprim17ROCPRIM_400000_NS6detail17trampoline_kernelINS0_14default_configENS1_35adjacent_difference_config_selectorILb0ElEEZNS1_24adjacent_difference_implIS3_Lb0ELb0EPlS7_ZN2at6native12_GLOBAL__N_124unique_dim_cuda_templateImEESt5tupleIJNS8_6TensorESD_SD_EERKSD_lbbbEUlllE1_EE10hipError_tPvRmT2_T3_mT4_P12ihipStream_tbEUlT_E_NS1_11comp_targetILNS1_3genE5ELNS1_11target_archE942ELNS1_3gpuE9ELNS1_3repE0EEENS1_30default_config_static_selectorELNS0_4arch9wavefront6targetE1EEEvT1_, .Lfunc_end1638-_ZN7rocprim17ROCPRIM_400000_NS6detail17trampoline_kernelINS0_14default_configENS1_35adjacent_difference_config_selectorILb0ElEEZNS1_24adjacent_difference_implIS3_Lb0ELb0EPlS7_ZN2at6native12_GLOBAL__N_124unique_dim_cuda_templateImEESt5tupleIJNS8_6TensorESD_SD_EERKSD_lbbbEUlllE1_EE10hipError_tPvRmT2_T3_mT4_P12ihipStream_tbEUlT_E_NS1_11comp_targetILNS1_3genE5ELNS1_11target_archE942ELNS1_3gpuE9ELNS1_3repE0EEENS1_30default_config_static_selectorELNS0_4arch9wavefront6targetE1EEEvT1_
                                        ; -- End function
	.section	.AMDGPU.csdata,"",@progbits
; Kernel info:
; codeLenInByte = 0
; NumSgprs: 4
; NumVgprs: 0
; NumAgprs: 0
; TotalNumVgprs: 0
; ScratchSize: 0
; MemoryBound: 0
; FloatMode: 240
; IeeeMode: 1
; LDSByteSize: 0 bytes/workgroup (compile time only)
; SGPRBlocks: 0
; VGPRBlocks: 0
; NumSGPRsForWavesPerEU: 4
; NumVGPRsForWavesPerEU: 1
; AccumOffset: 4
; Occupancy: 8
; WaveLimiterHint : 0
; COMPUTE_PGM_RSRC2:SCRATCH_EN: 0
; COMPUTE_PGM_RSRC2:USER_SGPR: 6
; COMPUTE_PGM_RSRC2:TRAP_HANDLER: 0
; COMPUTE_PGM_RSRC2:TGID_X_EN: 1
; COMPUTE_PGM_RSRC2:TGID_Y_EN: 0
; COMPUTE_PGM_RSRC2:TGID_Z_EN: 0
; COMPUTE_PGM_RSRC2:TIDIG_COMP_CNT: 0
; COMPUTE_PGM_RSRC3_GFX90A:ACCUM_OFFSET: 0
; COMPUTE_PGM_RSRC3_GFX90A:TG_SPLIT: 0
	.section	.text._ZN7rocprim17ROCPRIM_400000_NS6detail17trampoline_kernelINS0_14default_configENS1_35adjacent_difference_config_selectorILb0ElEEZNS1_24adjacent_difference_implIS3_Lb0ELb0EPlS7_ZN2at6native12_GLOBAL__N_124unique_dim_cuda_templateImEESt5tupleIJNS8_6TensorESD_SD_EERKSD_lbbbEUlllE1_EE10hipError_tPvRmT2_T3_mT4_P12ihipStream_tbEUlT_E_NS1_11comp_targetILNS1_3genE4ELNS1_11target_archE910ELNS1_3gpuE8ELNS1_3repE0EEENS1_30default_config_static_selectorELNS0_4arch9wavefront6targetE1EEEvT1_,"axG",@progbits,_ZN7rocprim17ROCPRIM_400000_NS6detail17trampoline_kernelINS0_14default_configENS1_35adjacent_difference_config_selectorILb0ElEEZNS1_24adjacent_difference_implIS3_Lb0ELb0EPlS7_ZN2at6native12_GLOBAL__N_124unique_dim_cuda_templateImEESt5tupleIJNS8_6TensorESD_SD_EERKSD_lbbbEUlllE1_EE10hipError_tPvRmT2_T3_mT4_P12ihipStream_tbEUlT_E_NS1_11comp_targetILNS1_3genE4ELNS1_11target_archE910ELNS1_3gpuE8ELNS1_3repE0EEENS1_30default_config_static_selectorELNS0_4arch9wavefront6targetE1EEEvT1_,comdat
	.globl	_ZN7rocprim17ROCPRIM_400000_NS6detail17trampoline_kernelINS0_14default_configENS1_35adjacent_difference_config_selectorILb0ElEEZNS1_24adjacent_difference_implIS3_Lb0ELb0EPlS7_ZN2at6native12_GLOBAL__N_124unique_dim_cuda_templateImEESt5tupleIJNS8_6TensorESD_SD_EERKSD_lbbbEUlllE1_EE10hipError_tPvRmT2_T3_mT4_P12ihipStream_tbEUlT_E_NS1_11comp_targetILNS1_3genE4ELNS1_11target_archE910ELNS1_3gpuE8ELNS1_3repE0EEENS1_30default_config_static_selectorELNS0_4arch9wavefront6targetE1EEEvT1_ ; -- Begin function _ZN7rocprim17ROCPRIM_400000_NS6detail17trampoline_kernelINS0_14default_configENS1_35adjacent_difference_config_selectorILb0ElEEZNS1_24adjacent_difference_implIS3_Lb0ELb0EPlS7_ZN2at6native12_GLOBAL__N_124unique_dim_cuda_templateImEESt5tupleIJNS8_6TensorESD_SD_EERKSD_lbbbEUlllE1_EE10hipError_tPvRmT2_T3_mT4_P12ihipStream_tbEUlT_E_NS1_11comp_targetILNS1_3genE4ELNS1_11target_archE910ELNS1_3gpuE8ELNS1_3repE0EEENS1_30default_config_static_selectorELNS0_4arch9wavefront6targetE1EEEvT1_
	.p2align	8
	.type	_ZN7rocprim17ROCPRIM_400000_NS6detail17trampoline_kernelINS0_14default_configENS1_35adjacent_difference_config_selectorILb0ElEEZNS1_24adjacent_difference_implIS3_Lb0ELb0EPlS7_ZN2at6native12_GLOBAL__N_124unique_dim_cuda_templateImEESt5tupleIJNS8_6TensorESD_SD_EERKSD_lbbbEUlllE1_EE10hipError_tPvRmT2_T3_mT4_P12ihipStream_tbEUlT_E_NS1_11comp_targetILNS1_3genE4ELNS1_11target_archE910ELNS1_3gpuE8ELNS1_3repE0EEENS1_30default_config_static_selectorELNS0_4arch9wavefront6targetE1EEEvT1_,@function
_ZN7rocprim17ROCPRIM_400000_NS6detail17trampoline_kernelINS0_14default_configENS1_35adjacent_difference_config_selectorILb0ElEEZNS1_24adjacent_difference_implIS3_Lb0ELb0EPlS7_ZN2at6native12_GLOBAL__N_124unique_dim_cuda_templateImEESt5tupleIJNS8_6TensorESD_SD_EERKSD_lbbbEUlllE1_EE10hipError_tPvRmT2_T3_mT4_P12ihipStream_tbEUlT_E_NS1_11comp_targetILNS1_3genE4ELNS1_11target_archE910ELNS1_3gpuE8ELNS1_3repE0EEENS1_30default_config_static_selectorELNS0_4arch9wavefront6targetE1EEEvT1_: ; @_ZN7rocprim17ROCPRIM_400000_NS6detail17trampoline_kernelINS0_14default_configENS1_35adjacent_difference_config_selectorILb0ElEEZNS1_24adjacent_difference_implIS3_Lb0ELb0EPlS7_ZN2at6native12_GLOBAL__N_124unique_dim_cuda_templateImEESt5tupleIJNS8_6TensorESD_SD_EERKSD_lbbbEUlllE1_EE10hipError_tPvRmT2_T3_mT4_P12ihipStream_tbEUlT_E_NS1_11comp_targetILNS1_3genE4ELNS1_11target_archE910ELNS1_3gpuE8ELNS1_3repE0EEENS1_30default_config_static_selectorELNS0_4arch9wavefront6targetE1EEEvT1_
; %bb.0:
	s_load_dwordx8 s[8:15], s[4:5], 0x0
	s_load_dwordx4 s[16:19], s[4:5], 0x20
	s_load_dwordx2 s[0:1], s[4:5], 0x38
	s_waitcnt lgkmcnt(0)
	s_lshl_b64 s[10:11], s[10:11], 3
	s_add_u32 s24, s8, s10
	s_addc_u32 s25, s9, s11
	s_mov_b32 s9, 0
	s_lshl_b32 s8, s6, 9
	s_lshr_b64 s[2:3], s[14:15], 9
	s_and_b32 s4, s14, 0x1ff
	s_mov_b32 s5, s9
	s_cmp_lg_u64 s[4:5], 0
	s_cselect_b64 s[4:5], -1, 0
	v_cndmask_b32_e64 v1, 0, 1, s[4:5]
	v_readfirstlane_b32 s4, v1
	s_add_u32 s22, s2, s4
	s_addc_u32 s23, s3, 0
	s_add_u32 s26, s0, s6
	s_addc_u32 s27, s1, 0
	s_add_u32 s6, s22, -1
	s_addc_u32 s7, s23, -1
	v_pk_mov_b32 v[2:3], s[6:7], s[6:7] op_sel:[0,1]
	v_cmp_ge_u64_e64 s[0:1], s[26:27], v[2:3]
	s_mov_b64 s[2:3], -1
	s_and_b64 vcc, exec, s[0:1]
	s_cbranch_vccz .LBB1639_6
; %bb.1:
	s_lshl_b32 s2, s6, 9
	s_sub_i32 s15, s14, s2
	s_lshl_b64 s[2:3], s[8:9], 3
	s_add_u32 s2, s24, s2
	s_addc_u32 s3, s25, s3
	v_cmp_gt_u32_e32 vcc, s15, v0
                                        ; implicit-def: $vgpr2_vgpr3_vgpr4_vgpr5
	s_and_saveexec_b64 s[4:5], vcc
	s_cbranch_execz .LBB1639_3
; %bb.2:
	v_lshlrev_b32_e32 v1, 3, v0
	global_load_dwordx2 v[2:3], v1, s[2:3]
.LBB1639_3:
	s_or_b64 exec, exec, s[4:5]
	v_or_b32_e32 v1, 0x100, v0
	v_cmp_gt_u32_e32 vcc, s15, v1
	s_and_saveexec_b64 s[4:5], vcc
	s_cbranch_execz .LBB1639_5
; %bb.4:
	v_lshlrev_b32_e32 v4, 3, v0
	global_load_dwordx2 v[4:5], v4, s[2:3] offset:2048
.LBB1639_5:
	s_or_b64 exec, exec, s[4:5]
	v_lshrrev_b32_e32 v6, 2, v0
	v_lshrrev_b32_e32 v1, 2, v1
	v_and_b32_e32 v6, 56, v6
	v_lshlrev_b32_e32 v7, 3, v0
	v_and_b32_e32 v1, 0x78, v1
	v_add_u32_e32 v6, v6, v7
	v_add_u32_e32 v1, v1, v7
	s_mov_b64 s[2:3], 0
	s_waitcnt vmcnt(0)
	ds_write_b64 v6, v[2:3]
	ds_write_b64 v1, v[4:5] offset:2048
	s_waitcnt lgkmcnt(0)
	s_barrier
.LBB1639_6:
	s_and_b64 vcc, exec, s[2:3]
	v_lshlrev_b32_e32 v1, 3, v0
	s_cbranch_vccz .LBB1639_8
; %bb.7:
	s_lshl_b64 s[2:3], s[8:9], 3
	s_add_u32 s2, s24, s2
	s_addc_u32 s3, s25, s3
	global_load_dwordx2 v[2:3], v1, s[2:3]
	global_load_dwordx2 v[4:5], v1, s[2:3] offset:2048
	v_lshrrev_b32_e32 v6, 2, v0
	v_or_b32_e32 v7, 0x100, v0
	v_and_b32_e32 v6, 56, v6
	v_lshrrev_b32_e32 v7, 2, v7
	v_add_u32_e32 v6, v6, v1
	v_and_b32_e32 v7, 0x78, v7
	v_add_u32_e32 v7, v7, v1
	s_waitcnt vmcnt(1)
	ds_write_b64 v6, v[2:3]
	s_waitcnt vmcnt(0)
	ds_write_b64 v7, v[4:5] offset:2048
	s_waitcnt lgkmcnt(0)
	s_barrier
.LBB1639_8:
	v_lshlrev_b32_e32 v2, 1, v0
	v_lshrrev_b32_e32 v3, 4, v0
	v_add_lshl_u32 v2, v3, v2, 3
	ds_read2_b64 v[2:5], v2 offset1:1
	s_cmp_eq_u64 s[26:27], 0
	s_mov_b64 s[20:21], 0
	s_waitcnt lgkmcnt(0)
	s_barrier
	s_cbranch_scc1 .LBB1639_17
; %bb.9:
	s_lshl_b64 s[2:3], s[8:9], 3
	s_add_u32 s2, s24, s2
	s_addc_u32 s3, s25, s3
	s_add_u32 s2, s2, -8
	s_addc_u32 s3, s3, -1
	s_load_dwordx2 s[24:25], s[2:3], 0x0
	s_cmp_lg_u64 s[26:27], s[6:7]
	s_cbranch_scc0 .LBB1639_18
; %bb.10:
	v_cmp_lt_i64_e64 s[2:3], s[16:17], 1
	v_pk_mov_b32 v[8:9], 0, 0
	v_cmp_gt_i64_e64 s[20:21], s[16:17], 0
	s_and_b64 vcc, exec, s[2:3]
	ds_write_b64 v1, v[4:5]
	s_cbranch_vccnz .LBB1639_21
; %bb.11:
	v_mul_lo_u32 v8, v5, s16
	v_mul_lo_u32 v9, v4, s17
	v_mad_u64_u32 v[6:7], s[2:3], v4, s16, 0
	v_add3_u32 v7, v7, v9, v8
	v_mul_lo_u32 v10, v3, s16
	v_mul_lo_u32 v11, v2, s17
	v_mad_u64_u32 v[8:9], s[2:3], v2, s16, 0
	v_add3_u32 v9, v9, v11, v10
	v_lshlrev_b64 v[10:11], 3, v[6:7]
	v_mov_b32_e32 v6, s19
	v_add_co_u32_e32 v12, vcc, s18, v10
	v_addc_co_u32_e64 v13, s[2:3], v6, v11, vcc
	v_lshlrev_b64 v[6:7], 3, v[8:9]
	v_mov_b32_e32 v8, s19
	v_add_co_u32_e64 v14, s[2:3], s18, v6
	v_addc_co_u32_e64 v15, s[4:5], v8, v7, s[2:3]
	global_load_dwordx2 v[8:9], v[12:13], off
	global_load_dwordx2 v[16:17], v[14:15], off
	s_waitcnt vmcnt(0)
	v_cmp_eq_u64_e64 s[4:5], v[8:9], v[16:17]
	v_mov_b32_e32 v8, 1
	v_mov_b32_e32 v9, 0
	s_and_saveexec_b64 s[28:29], s[4:5]
	s_cbranch_execz .LBB1639_20
; %bb.12:
	v_mov_b32_e32 v6, s19
	v_addc_co_u32_e64 v7, s[2:3], v7, v6, s[2:3]
	v_add_co_u32_e64 v6, s[2:3], 8, v14
	v_mov_b32_e32 v8, s19
	v_addc_co_u32_e64 v7, s[2:3], 0, v7, s[2:3]
	v_addc_co_u32_e32 v9, vcc, v11, v8, vcc
	v_add_co_u32_e32 v8, vcc, 8, v12
	s_add_u32 s2, s16, -1
	v_addc_co_u32_e32 v9, vcc, 0, v9, vcc
	s_addc_u32 s3, s17, -1
	s_mov_b64 s[4:5], 0
	s_mov_b64 s[34:35], 0
                                        ; implicit-def: $sgpr30_sgpr31
	s_branch .LBB1639_15
.LBB1639_13:                            ;   in Loop: Header=BB1639_15 Depth=1
	global_load_dwordx2 v[10:11], v[8:9], off
	global_load_dwordx2 v[12:13], v[6:7], off
	v_add_co_u32_e32 v6, vcc, 8, v6
	v_addc_co_u32_e32 v7, vcc, 0, v7, vcc
	v_add_co_u32_e32 v8, vcc, 8, v8
	v_addc_co_u32_e32 v9, vcc, 0, v9, vcc
	s_add_u32 s34, s34, 1
	s_addc_u32 s35, s35, 0
	s_andn2_b64 s[30:31], s[30:31], exec
	s_waitcnt vmcnt(0)
	v_cmp_ne_u64_e32 vcc, v[10:11], v[12:13]
	s_and_b64 s[36:37], vcc, exec
	s_or_b64 s[30:31], s[30:31], s[36:37]
.LBB1639_14:                            ;   in Loop: Header=BB1639_15 Depth=1
	s_and_b64 s[36:37], exec, s[30:31]
	s_or_b64 s[4:5], s[36:37], s[4:5]
	v_pk_mov_b32 v[10:11], s[34:35], s[34:35] op_sel:[0,1]
	s_andn2_b64 exec, exec, s[4:5]
	s_cbranch_execz .LBB1639_19
.LBB1639_15:                            ; =>This Inner Loop Header: Depth=1
	s_or_b64 s[30:31], s[30:31], exec
	s_cmp_eq_u64 s[2:3], s[34:35]
	s_cbranch_scc0 .LBB1639_13
; %bb.16:                               ;   in Loop: Header=BB1639_15 Depth=1
                                        ; implicit-def: $vgpr6_vgpr7
                                        ; implicit-def: $vgpr8_vgpr9
	s_mov_b64 s[34:35], s[16:17]
	s_branch .LBB1639_14
.LBB1639_17:
                                        ; implicit-def: $sgpr28_sgpr29
                                        ; implicit-def: $vgpr8_vgpr9
	s_cbranch_execnz .LBB1639_60
	s_branch .LBB1639_108
.LBB1639_18:
                                        ; implicit-def: $sgpr28_sgpr29
                                        ; implicit-def: $vgpr8_vgpr9
	s_cbranch_execnz .LBB1639_33
	s_branch .LBB1639_59
.LBB1639_19:
	s_or_b64 exec, exec, s[4:5]
	v_cmp_gt_i64_e32 vcc, s[16:17], v[10:11]
	s_mov_b32 s2, 0
	v_cndmask_b32_e64 v8, 0, 1, vcc
	v_mov_b32_e32 v9, s2
.LBB1639_20:
	s_or_b64 exec, exec, s[28:29]
.LBB1639_21:
	v_cmp_ne_u32_e32 vcc, 0, v0
	s_waitcnt lgkmcnt(0)
	v_pk_mov_b32 v[6:7], s[24:25], s[24:25] op_sel:[0,1]
	s_barrier
	s_and_saveexec_b64 s[2:3], vcc
	s_cbranch_execz .LBB1639_23
; %bb.22:
	v_add_u32_e32 v6, -8, v1
	ds_read_b64 v[6:7], v6
.LBB1639_23:
	s_or_b64 exec, exec, s[2:3]
	s_mov_b64 s[30:31], 0
	s_andn2_b64 vcc, exec, s[20:21]
	s_mov_b64 s[28:29], 0
	s_cbranch_vccnz .LBB1639_32
; %bb.24:
	v_mul_lo_u32 v12, v3, s16
	v_mul_lo_u32 v13, v2, s17
	v_mad_u64_u32 v[10:11], s[2:3], v2, s16, 0
	v_add3_u32 v11, v11, v13, v12
	s_waitcnt lgkmcnt(0)
	v_mul_lo_u32 v12, v7, s16
	v_mul_lo_u32 v13, v6, s17
	v_mad_u64_u32 v[6:7], s[2:3], v6, s16, 0
	v_lshlrev_b64 v[10:11], 3, v[10:11]
	v_add3_u32 v7, v7, v13, v12
	v_mov_b32_e32 v13, s19
	v_add_co_u32_e32 v12, vcc, s18, v10
	v_addc_co_u32_e64 v13, s[2:3], v13, v11, vcc
	v_lshlrev_b64 v[6:7], 3, v[6:7]
	v_mov_b32_e32 v10, s19
	v_add_co_u32_e64 v14, s[2:3], s18, v6
	v_addc_co_u32_e64 v15, s[4:5], v10, v7, s[2:3]
	global_load_dwordx2 v[16:17], v[12:13], off
	global_load_dwordx2 v[18:19], v[14:15], off
	s_mov_b64 s[28:29], -1
	s_waitcnt vmcnt(0)
	v_cmp_eq_u64_e64 s[4:5], v[16:17], v[18:19]
	s_and_saveexec_b64 s[20:21], s[4:5]
	s_cbranch_execz .LBB1639_31
; %bb.25:
	v_mov_b32_e32 v6, s19
	v_addc_co_u32_e64 v7, s[2:3], v7, v6, s[2:3]
	v_add_co_u32_e64 v6, s[2:3], 8, v14
	v_mov_b32_e32 v10, s19
	v_addc_co_u32_e64 v7, s[2:3], 0, v7, s[2:3]
	v_addc_co_u32_e32 v11, vcc, v11, v10, vcc
	v_add_co_u32_e32 v10, vcc, 8, v12
	s_add_u32 s2, s16, -1
	v_addc_co_u32_e32 v11, vcc, 0, v11, vcc
	s_addc_u32 s3, s17, -1
	s_mov_b64 s[4:5], 0
	s_mov_b64 s[34:35], 0
                                        ; implicit-def: $sgpr28_sgpr29
	s_branch .LBB1639_28
.LBB1639_26:                            ;   in Loop: Header=BB1639_28 Depth=1
	global_load_dwordx2 v[12:13], v[10:11], off
	global_load_dwordx2 v[14:15], v[6:7], off
	v_add_co_u32_e32 v6, vcc, 8, v6
	v_addc_co_u32_e32 v7, vcc, 0, v7, vcc
	v_add_co_u32_e32 v10, vcc, 8, v10
	v_addc_co_u32_e32 v11, vcc, 0, v11, vcc
	s_add_u32 s34, s34, 1
	s_addc_u32 s35, s35, 0
	s_andn2_b64 s[28:29], s[28:29], exec
	s_waitcnt vmcnt(0)
	v_cmp_ne_u64_e32 vcc, v[12:13], v[14:15]
	s_and_b64 s[36:37], vcc, exec
	s_or_b64 s[28:29], s[28:29], s[36:37]
.LBB1639_27:                            ;   in Loop: Header=BB1639_28 Depth=1
	s_and_b64 s[36:37], exec, s[28:29]
	s_or_b64 s[4:5], s[36:37], s[4:5]
	v_pk_mov_b32 v[12:13], s[34:35], s[34:35] op_sel:[0,1]
	s_andn2_b64 exec, exec, s[4:5]
	s_cbranch_execz .LBB1639_30
.LBB1639_28:                            ; =>This Inner Loop Header: Depth=1
	s_or_b64 s[28:29], s[28:29], exec
	s_cmp_eq_u64 s[2:3], s[34:35]
	s_cbranch_scc0 .LBB1639_26
; %bb.29:                               ;   in Loop: Header=BB1639_28 Depth=1
                                        ; implicit-def: $vgpr6_vgpr7
                                        ; implicit-def: $vgpr10_vgpr11
	s_mov_b64 s[34:35], s[16:17]
	s_branch .LBB1639_27
.LBB1639_30:
	s_or_b64 exec, exec, s[4:5]
	v_cmp_gt_i64_e32 vcc, s[16:17], v[12:13]
	s_orn2_b64 s[28:29], vcc, exec
.LBB1639_31:
	s_or_b64 exec, exec, s[20:21]
.LBB1639_32:
	s_mov_b64 s[20:21], -1
	s_and_b64 vcc, exec, s[30:31]
	s_cbranch_vccz .LBB1639_59
.LBB1639_33:
	s_lshl_b32 s2, s26, 9
	v_lshlrev_b32_e32 v16, 1, v0
	s_sub_i32 s7, s14, s2
	s_waitcnt lgkmcnt(0)
	v_or_b32_e32 v6, 1, v16
	v_cmp_gt_u32_e32 vcc, s7, v6
	v_pk_mov_b32 v[8:9], v[4:5], v[4:5] op_sel:[0,1]
	ds_write_b64 v1, v[4:5]
	v_pk_mov_b32 v[6:7], v[2:3], v[2:3] op_sel:[0,1]
	s_and_saveexec_b64 s[26:27], vcc
	s_cbranch_execz .LBB1639_44
; %bb.34:
	v_cmp_lt_i64_e64 s[2:3], s[16:17], 1
	s_and_b64 vcc, exec, s[2:3]
	s_cbranch_vccnz .LBB1639_41
; %bb.35:
	v_mul_lo_u32 v8, v5, s16
	v_mul_lo_u32 v9, v4, s17
	v_mad_u64_u32 v[6:7], s[2:3], v4, s16, 0
	v_add3_u32 v7, v7, v9, v8
	v_mul_lo_u32 v10, v3, s16
	v_mul_lo_u32 v11, v2, s17
	v_mad_u64_u32 v[8:9], s[2:3], v2, s16, 0
	v_add3_u32 v9, v9, v11, v10
	v_lshlrev_b64 v[10:11], 3, v[6:7]
	v_mov_b32_e32 v6, s19
	v_add_co_u32_e32 v12, vcc, s18, v10
	v_addc_co_u32_e64 v13, s[2:3], v6, v11, vcc
	v_lshlrev_b64 v[6:7], 3, v[8:9]
	v_mov_b32_e32 v8, s19
	v_add_co_u32_e64 v14, s[2:3], s18, v6
	v_addc_co_u32_e64 v15, s[4:5], v8, v7, s[2:3]
	global_load_dwordx2 v[8:9], v[12:13], off
	global_load_dwordx2 v[18:19], v[14:15], off
	s_waitcnt vmcnt(0)
	v_cmp_eq_u64_e64 s[4:5], v[8:9], v[18:19]
	v_mov_b32_e32 v8, 1
	v_mov_b32_e32 v9, 0
	s_and_saveexec_b64 s[28:29], s[4:5]
	s_cbranch_execz .LBB1639_43
; %bb.36:
	v_mov_b32_e32 v6, s19
	v_addc_co_u32_e64 v7, s[2:3], v7, v6, s[2:3]
	v_add_co_u32_e64 v6, s[2:3], 8, v14
	v_mov_b32_e32 v8, s19
	v_addc_co_u32_e64 v7, s[2:3], 0, v7, s[2:3]
	v_addc_co_u32_e32 v9, vcc, v11, v8, vcc
	v_add_co_u32_e32 v8, vcc, 8, v12
	s_add_u32 s2, s16, -1
	v_addc_co_u32_e32 v9, vcc, 0, v9, vcc
	s_addc_u32 s3, s17, -1
	s_mov_b64 s[4:5], 0
	s_mov_b64 s[34:35], 0
                                        ; implicit-def: $sgpr30_sgpr31
	s_branch .LBB1639_39
.LBB1639_37:                            ;   in Loop: Header=BB1639_39 Depth=1
	global_load_dwordx2 v[10:11], v[8:9], off
	global_load_dwordx2 v[12:13], v[6:7], off
	v_add_co_u32_e32 v6, vcc, 8, v6
	v_addc_co_u32_e32 v7, vcc, 0, v7, vcc
	v_add_co_u32_e32 v8, vcc, 8, v8
	v_addc_co_u32_e32 v9, vcc, 0, v9, vcc
	s_add_u32 s34, s34, 1
	s_addc_u32 s35, s35, 0
	s_andn2_b64 s[30:31], s[30:31], exec
	s_waitcnt vmcnt(0)
	v_cmp_ne_u64_e32 vcc, v[10:11], v[12:13]
	s_and_b64 s[36:37], vcc, exec
	s_or_b64 s[30:31], s[30:31], s[36:37]
.LBB1639_38:                            ;   in Loop: Header=BB1639_39 Depth=1
	s_and_b64 s[36:37], exec, s[30:31]
	s_or_b64 s[4:5], s[36:37], s[4:5]
	v_pk_mov_b32 v[10:11], s[34:35], s[34:35] op_sel:[0,1]
	s_andn2_b64 exec, exec, s[4:5]
	s_cbranch_execz .LBB1639_42
.LBB1639_39:                            ; =>This Inner Loop Header: Depth=1
	s_or_b64 s[30:31], s[30:31], exec
	s_cmp_eq_u64 s[2:3], s[34:35]
	s_cbranch_scc0 .LBB1639_37
; %bb.40:                               ;   in Loop: Header=BB1639_39 Depth=1
                                        ; implicit-def: $vgpr6_vgpr7
                                        ; implicit-def: $vgpr8_vgpr9
	s_mov_b64 s[34:35], s[16:17]
	s_branch .LBB1639_38
.LBB1639_41:
	v_pk_mov_b32 v[8:9], 0, 0
	s_branch .LBB1639_44
.LBB1639_42:
	s_or_b64 exec, exec, s[4:5]
	v_cmp_gt_i64_e32 vcc, s[16:17], v[10:11]
	s_mov_b32 s2, 0
	v_cndmask_b32_e64 v8, 0, 1, vcc
	v_mov_b32_e32 v9, s2
.LBB1639_43:
	s_or_b64 exec, exec, s[28:29]
.LBB1639_44:
	s_or_b64 exec, exec, s[26:27]
	v_cmp_ne_u32_e32 vcc, 0, v0
	v_pk_mov_b32 v[6:7], s[24:25], s[24:25] op_sel:[0,1]
	s_waitcnt lgkmcnt(0)
	s_barrier
	s_and_saveexec_b64 s[2:3], vcc
	s_cbranch_execz .LBB1639_46
; %bb.45:
	v_add_u32_e32 v6, -8, v1
	ds_read_b64 v[6:7], v6
.LBB1639_46:
	s_or_b64 exec, exec, s[2:3]
	v_cmp_gt_u32_e32 vcc, s7, v16
                                        ; implicit-def: $sgpr28_sgpr29
	s_and_saveexec_b64 s[24:25], vcc
	s_cbranch_execz .LBB1639_58
; %bb.47:
	v_cmp_lt_i64_e64 s[2:3], s[16:17], 1
	s_and_b64 vcc, exec, s[2:3]
	s_cbranch_vccnz .LBB1639_54
; %bb.48:
	v_mul_lo_u32 v12, v3, s16
	v_mul_lo_u32 v13, v2, s17
	v_mad_u64_u32 v[10:11], s[2:3], v2, s16, 0
	v_add3_u32 v11, v11, v13, v12
	s_waitcnt lgkmcnt(0)
	v_mul_lo_u32 v12, v7, s16
	v_mul_lo_u32 v13, v6, s17
	v_mad_u64_u32 v[6:7], s[2:3], v6, s16, 0
	v_lshlrev_b64 v[10:11], 3, v[10:11]
	v_add3_u32 v7, v7, v13, v12
	v_mov_b32_e32 v13, s19
	v_add_co_u32_e32 v12, vcc, s18, v10
	v_addc_co_u32_e64 v13, s[2:3], v13, v11, vcc
	v_lshlrev_b64 v[6:7], 3, v[6:7]
	v_mov_b32_e32 v10, s19
	v_add_co_u32_e64 v14, s[2:3], s18, v6
	v_addc_co_u32_e64 v15, s[4:5], v10, v7, s[2:3]
	global_load_dwordx2 v[16:17], v[12:13], off
	global_load_dwordx2 v[18:19], v[14:15], off
	s_mov_b64 s[28:29], -1
	s_waitcnt vmcnt(0)
	v_cmp_eq_u64_e64 s[4:5], v[16:17], v[18:19]
	s_and_saveexec_b64 s[26:27], s[4:5]
	s_cbranch_execz .LBB1639_56
; %bb.49:
	v_mov_b32_e32 v6, s19
	v_addc_co_u32_e64 v7, s[2:3], v7, v6, s[2:3]
	v_add_co_u32_e64 v6, s[2:3], 8, v14
	v_mov_b32_e32 v10, s19
	v_addc_co_u32_e64 v7, s[2:3], 0, v7, s[2:3]
	v_addc_co_u32_e32 v11, vcc, v11, v10, vcc
	v_add_co_u32_e32 v10, vcc, 8, v12
	s_add_u32 s2, s16, -1
	v_addc_co_u32_e32 v11, vcc, 0, v11, vcc
	s_addc_u32 s3, s17, -1
	s_mov_b64 s[4:5], 0
	s_mov_b64 s[30:31], 0
                                        ; implicit-def: $sgpr28_sgpr29
	s_branch .LBB1639_52
.LBB1639_50:                            ;   in Loop: Header=BB1639_52 Depth=1
	global_load_dwordx2 v[12:13], v[10:11], off
	global_load_dwordx2 v[14:15], v[6:7], off
	v_add_co_u32_e32 v6, vcc, 8, v6
	v_addc_co_u32_e32 v7, vcc, 0, v7, vcc
	v_add_co_u32_e32 v10, vcc, 8, v10
	v_addc_co_u32_e32 v11, vcc, 0, v11, vcc
	s_add_u32 s30, s30, 1
	s_addc_u32 s31, s31, 0
	s_andn2_b64 s[28:29], s[28:29], exec
	s_waitcnt vmcnt(0)
	v_cmp_ne_u64_e32 vcc, v[12:13], v[14:15]
	s_and_b64 s[34:35], vcc, exec
	s_or_b64 s[28:29], s[28:29], s[34:35]
.LBB1639_51:                            ;   in Loop: Header=BB1639_52 Depth=1
	s_and_b64 s[34:35], exec, s[28:29]
	s_or_b64 s[4:5], s[34:35], s[4:5]
	v_pk_mov_b32 v[12:13], s[30:31], s[30:31] op_sel:[0,1]
	s_andn2_b64 exec, exec, s[4:5]
	s_cbranch_execz .LBB1639_55
.LBB1639_52:                            ; =>This Inner Loop Header: Depth=1
	s_or_b64 s[28:29], s[28:29], exec
	s_cmp_eq_u64 s[2:3], s[30:31]
	s_cbranch_scc0 .LBB1639_50
; %bb.53:                               ;   in Loop: Header=BB1639_52 Depth=1
                                        ; implicit-def: $vgpr6_vgpr7
                                        ; implicit-def: $vgpr10_vgpr11
	s_mov_b64 s[30:31], s[16:17]
	s_branch .LBB1639_51
.LBB1639_54:
	s_mov_b64 s[28:29], 0
	s_branch .LBB1639_57
.LBB1639_55:
	s_or_b64 exec, exec, s[4:5]
	v_cmp_gt_i64_e32 vcc, s[16:17], v[12:13]
	s_orn2_b64 s[28:29], vcc, exec
.LBB1639_56:
	s_or_b64 exec, exec, s[26:27]
.LBB1639_57:
	s_and_b64 s[28:29], s[28:29], exec
	s_or_b64 s[20:21], s[20:21], exec
.LBB1639_58:
	s_or_b64 exec, exec, s[24:25]
.LBB1639_59:
	s_branch .LBB1639_108
.LBB1639_60:
	s_cmp_lg_u64 s[22:23], 1
	s_cbranch_scc0 .LBB1639_68
; %bb.61:
	v_cmp_lt_i64_e64 s[2:3], s[16:17], 1
	v_pk_mov_b32 v[8:9], 0, 0
	s_waitcnt lgkmcnt(0)
	v_cmp_gt_i64_e64 s[24:25], s[16:17], 0
	s_and_b64 vcc, exec, s[2:3]
	ds_write_b64 v1, v[4:5]
	s_cbranch_vccnz .LBB1639_71
; %bb.62:
	v_mul_lo_u32 v8, v5, s16
	v_mul_lo_u32 v9, v4, s17
	v_mad_u64_u32 v[6:7], s[2:3], v4, s16, 0
	v_add3_u32 v7, v7, v9, v8
	v_mul_lo_u32 v10, v3, s16
	v_mul_lo_u32 v11, v2, s17
	v_mad_u64_u32 v[8:9], s[2:3], v2, s16, 0
	v_add3_u32 v9, v9, v11, v10
	v_lshlrev_b64 v[10:11], 3, v[6:7]
	v_mov_b32_e32 v6, s19
	v_add_co_u32_e32 v12, vcc, s18, v10
	v_addc_co_u32_e64 v13, s[2:3], v6, v11, vcc
	v_lshlrev_b64 v[6:7], 3, v[8:9]
	v_mov_b32_e32 v8, s19
	v_add_co_u32_e64 v14, s[2:3], s18, v6
	v_addc_co_u32_e64 v15, s[4:5], v8, v7, s[2:3]
	global_load_dwordx2 v[8:9], v[12:13], off
	global_load_dwordx2 v[16:17], v[14:15], off
	s_waitcnt vmcnt(0)
	v_cmp_eq_u64_e64 s[4:5], v[8:9], v[16:17]
	v_mov_b32_e32 v8, 1
	v_mov_b32_e32 v9, 0
	s_and_saveexec_b64 s[22:23], s[4:5]
	s_cbranch_execz .LBB1639_70
; %bb.63:
	v_mov_b32_e32 v6, s19
	v_addc_co_u32_e64 v7, s[2:3], v7, v6, s[2:3]
	v_add_co_u32_e64 v6, s[2:3], 8, v14
	v_mov_b32_e32 v8, s19
	v_addc_co_u32_e64 v7, s[2:3], 0, v7, s[2:3]
	v_addc_co_u32_e32 v9, vcc, v11, v8, vcc
	v_add_co_u32_e32 v8, vcc, 8, v12
	s_add_u32 s2, s16, -1
	v_addc_co_u32_e32 v9, vcc, 0, v9, vcc
	s_addc_u32 s3, s17, -1
	s_mov_b64 s[4:5], 0
	s_mov_b64 s[28:29], 0
                                        ; implicit-def: $sgpr26_sgpr27
	s_branch .LBB1639_66
.LBB1639_64:                            ;   in Loop: Header=BB1639_66 Depth=1
	global_load_dwordx2 v[10:11], v[8:9], off
	global_load_dwordx2 v[12:13], v[6:7], off
	v_add_co_u32_e32 v6, vcc, 8, v6
	v_addc_co_u32_e32 v7, vcc, 0, v7, vcc
	v_add_co_u32_e32 v8, vcc, 8, v8
	v_addc_co_u32_e32 v9, vcc, 0, v9, vcc
	s_add_u32 s28, s28, 1
	s_addc_u32 s29, s29, 0
	s_andn2_b64 s[26:27], s[26:27], exec
	s_waitcnt vmcnt(0)
	v_cmp_ne_u64_e32 vcc, v[10:11], v[12:13]
	s_and_b64 s[30:31], vcc, exec
	s_or_b64 s[26:27], s[26:27], s[30:31]
.LBB1639_65:                            ;   in Loop: Header=BB1639_66 Depth=1
	s_and_b64 s[30:31], exec, s[26:27]
	s_or_b64 s[4:5], s[30:31], s[4:5]
	v_pk_mov_b32 v[10:11], s[28:29], s[28:29] op_sel:[0,1]
	s_andn2_b64 exec, exec, s[4:5]
	s_cbranch_execz .LBB1639_69
.LBB1639_66:                            ; =>This Inner Loop Header: Depth=1
	s_or_b64 s[26:27], s[26:27], exec
	s_cmp_eq_u64 s[2:3], s[28:29]
	s_cbranch_scc0 .LBB1639_64
; %bb.67:                               ;   in Loop: Header=BB1639_66 Depth=1
                                        ; implicit-def: $vgpr6_vgpr7
                                        ; implicit-def: $vgpr8_vgpr9
	s_mov_b64 s[28:29], s[16:17]
	s_branch .LBB1639_65
.LBB1639_68:
                                        ; implicit-def: $sgpr28_sgpr29
                                        ; implicit-def: $vgpr8_vgpr9
	s_cbranch_execnz .LBB1639_84
	s_branch .LBB1639_108
.LBB1639_69:
	s_or_b64 exec, exec, s[4:5]
	v_cmp_gt_i64_e32 vcc, s[16:17], v[10:11]
	s_mov_b32 s2, 0
	v_cndmask_b32_e64 v8, 0, 1, vcc
	v_mov_b32_e32 v9, s2
.LBB1639_70:
	s_or_b64 exec, exec, s[22:23]
.LBB1639_71:
	v_cmp_ne_u32_e32 vcc, 0, v0
	s_waitcnt lgkmcnt(0)
	s_barrier
	s_waitcnt lgkmcnt(0)
                                        ; implicit-def: $sgpr28_sgpr29
	s_and_saveexec_b64 s[22:23], vcc
	s_cbranch_execz .LBB1639_83
; %bb.72:
	s_andn2_b64 vcc, exec, s[24:25]
	s_cbranch_vccnz .LBB1639_79
; %bb.73:
	v_add_u32_e32 v6, -8, v1
	ds_read_b64 v[6:7], v6
	v_mul_lo_u32 v12, v3, s16
	v_mul_lo_u32 v13, v2, s17
	v_mad_u64_u32 v[10:11], s[2:3], v2, s16, 0
	v_add3_u32 v11, v11, v13, v12
	s_waitcnt lgkmcnt(0)
	v_mul_lo_u32 v12, v7, s16
	v_mul_lo_u32 v13, v6, s17
	v_mad_u64_u32 v[6:7], s[2:3], v6, s16, 0
	v_lshlrev_b64 v[10:11], 3, v[10:11]
	v_add3_u32 v7, v7, v13, v12
	v_mov_b32_e32 v13, s19
	v_add_co_u32_e32 v12, vcc, s18, v10
	v_addc_co_u32_e64 v13, s[2:3], v13, v11, vcc
	v_lshlrev_b64 v[6:7], 3, v[6:7]
	v_mov_b32_e32 v10, s19
	v_add_co_u32_e64 v14, s[2:3], s18, v6
	v_addc_co_u32_e64 v15, s[4:5], v10, v7, s[2:3]
	global_load_dwordx2 v[16:17], v[12:13], off
	global_load_dwordx2 v[18:19], v[14:15], off
	s_mov_b64 s[26:27], -1
	s_waitcnt vmcnt(0)
	v_cmp_eq_u64_e64 s[4:5], v[16:17], v[18:19]
	s_and_saveexec_b64 s[24:25], s[4:5]
	s_cbranch_execz .LBB1639_81
; %bb.74:
	v_mov_b32_e32 v6, s19
	v_addc_co_u32_e64 v7, s[2:3], v7, v6, s[2:3]
	v_add_co_u32_e64 v6, s[2:3], 8, v14
	v_mov_b32_e32 v10, s19
	v_addc_co_u32_e64 v7, s[2:3], 0, v7, s[2:3]
	v_addc_co_u32_e32 v11, vcc, v11, v10, vcc
	v_add_co_u32_e32 v10, vcc, 8, v12
	s_add_u32 s2, s16, -1
	v_addc_co_u32_e32 v11, vcc, 0, v11, vcc
	s_addc_u32 s3, s17, -1
	s_mov_b64 s[4:5], 0
	s_mov_b64 s[28:29], 0
                                        ; implicit-def: $sgpr26_sgpr27
	s_branch .LBB1639_77
.LBB1639_75:                            ;   in Loop: Header=BB1639_77 Depth=1
	global_load_dwordx2 v[12:13], v[10:11], off
	global_load_dwordx2 v[14:15], v[6:7], off
	v_add_co_u32_e32 v6, vcc, 8, v6
	v_addc_co_u32_e32 v7, vcc, 0, v7, vcc
	v_add_co_u32_e32 v10, vcc, 8, v10
	v_addc_co_u32_e32 v11, vcc, 0, v11, vcc
	s_add_u32 s28, s28, 1
	s_addc_u32 s29, s29, 0
	s_andn2_b64 s[26:27], s[26:27], exec
	s_waitcnt vmcnt(0)
	v_cmp_ne_u64_e32 vcc, v[12:13], v[14:15]
	s_and_b64 s[30:31], vcc, exec
	s_or_b64 s[26:27], s[26:27], s[30:31]
.LBB1639_76:                            ;   in Loop: Header=BB1639_77 Depth=1
	s_and_b64 s[30:31], exec, s[26:27]
	s_or_b64 s[4:5], s[30:31], s[4:5]
	v_pk_mov_b32 v[12:13], s[28:29], s[28:29] op_sel:[0,1]
	s_andn2_b64 exec, exec, s[4:5]
	s_cbranch_execz .LBB1639_80
.LBB1639_77:                            ; =>This Inner Loop Header: Depth=1
	s_or_b64 s[26:27], s[26:27], exec
	s_cmp_eq_u64 s[2:3], s[28:29]
	s_cbranch_scc0 .LBB1639_75
; %bb.78:                               ;   in Loop: Header=BB1639_77 Depth=1
                                        ; implicit-def: $vgpr6_vgpr7
                                        ; implicit-def: $vgpr10_vgpr11
	s_mov_b64 s[28:29], s[16:17]
	s_branch .LBB1639_76
.LBB1639_79:
	s_mov_b64 s[26:27], 0
	s_branch .LBB1639_82
.LBB1639_80:
	s_or_b64 exec, exec, s[4:5]
	v_cmp_gt_i64_e32 vcc, s[16:17], v[12:13]
	s_orn2_b64 s[26:27], vcc, exec
.LBB1639_81:
	s_or_b64 exec, exec, s[24:25]
.LBB1639_82:
	s_and_b64 s[28:29], s[26:27], exec
	s_or_b64 s[20:21], s[20:21], exec
.LBB1639_83:
	s_or_b64 exec, exec, s[22:23]
	s_branch .LBB1639_108
.LBB1639_84:
	v_lshlrev_b32_e32 v14, 1, v0
	s_waitcnt lgkmcnt(0)
	v_or_b32_e32 v6, 1, v14
	v_cmp_gt_u32_e32 vcc, s14, v6
	v_cmp_lt_i64_e64 s[22:23], s[16:17], 1
	v_pk_mov_b32 v[8:9], v[4:5], v[4:5] op_sel:[0,1]
	ds_write_b64 v1, v[4:5]
	v_pk_mov_b32 v[6:7], v[2:3], v[2:3] op_sel:[0,1]
	s_and_saveexec_b64 s[24:25], vcc
	s_cbranch_execz .LBB1639_95
; %bb.85:
	s_and_b64 vcc, exec, s[22:23]
	s_cbranch_vccnz .LBB1639_92
; %bb.86:
	v_mul_lo_u32 v6, v5, s16
	v_mul_lo_u32 v7, v4, s17
	v_mad_u64_u32 v[4:5], s[2:3], v4, s16, 0
	v_add3_u32 v5, v5, v7, v6
	v_mul_lo_u32 v6, v3, s16
	v_mul_lo_u32 v7, v2, s17
	v_mad_u64_u32 v[8:9], s[2:3], v2, s16, 0
	v_add3_u32 v9, v9, v7, v6
	v_lshlrev_b64 v[6:7], 3, v[4:5]
	v_mov_b32_e32 v4, s19
	v_add_co_u32_e32 v10, vcc, s18, v6
	v_addc_co_u32_e64 v11, s[2:3], v4, v7, vcc
	v_lshlrev_b64 v[4:5], 3, v[8:9]
	v_mov_b32_e32 v6, s19
	v_add_co_u32_e64 v12, s[2:3], s18, v4
	v_addc_co_u32_e64 v13, s[4:5], v6, v5, s[2:3]
	global_load_dwordx2 v[8:9], v[10:11], off
	global_load_dwordx2 v[16:17], v[12:13], off
	s_waitcnt vmcnt(0)
	v_cmp_eq_u64_e64 s[4:5], v[8:9], v[16:17]
	v_mov_b32_e32 v8, 1
	v_mov_b32_e32 v9, 0
	s_and_saveexec_b64 s[26:27], s[4:5]
	s_cbranch_execz .LBB1639_94
; %bb.87:
	v_mov_b32_e32 v4, s19
	v_addc_co_u32_e64 v5, s[2:3], v5, v4, s[2:3]
	v_add_co_u32_e64 v4, s[2:3], 8, v12
	v_mov_b32_e32 v6, s19
	v_addc_co_u32_e64 v5, s[2:3], 0, v5, s[2:3]
	v_addc_co_u32_e32 v7, vcc, v7, v6, vcc
	v_add_co_u32_e32 v6, vcc, 8, v10
	s_add_u32 s2, s16, -1
	v_addc_co_u32_e32 v7, vcc, 0, v7, vcc
	s_addc_u32 s3, s17, -1
	s_mov_b64 s[4:5], 0
	s_mov_b64 s[30:31], 0
                                        ; implicit-def: $sgpr28_sgpr29
	s_branch .LBB1639_90
.LBB1639_88:                            ;   in Loop: Header=BB1639_90 Depth=1
	global_load_dwordx2 v[8:9], v[6:7], off
	global_load_dwordx2 v[10:11], v[4:5], off
	v_add_co_u32_e32 v4, vcc, 8, v4
	v_addc_co_u32_e32 v5, vcc, 0, v5, vcc
	v_add_co_u32_e32 v6, vcc, 8, v6
	v_addc_co_u32_e32 v7, vcc, 0, v7, vcc
	s_add_u32 s30, s30, 1
	s_addc_u32 s31, s31, 0
	s_andn2_b64 s[28:29], s[28:29], exec
	s_waitcnt vmcnt(0)
	v_cmp_ne_u64_e32 vcc, v[8:9], v[10:11]
	s_and_b64 s[34:35], vcc, exec
	s_or_b64 s[28:29], s[28:29], s[34:35]
.LBB1639_89:                            ;   in Loop: Header=BB1639_90 Depth=1
	s_and_b64 s[34:35], exec, s[28:29]
	s_or_b64 s[4:5], s[34:35], s[4:5]
	v_pk_mov_b32 v[8:9], s[30:31], s[30:31] op_sel:[0,1]
	s_andn2_b64 exec, exec, s[4:5]
	s_cbranch_execz .LBB1639_93
.LBB1639_90:                            ; =>This Inner Loop Header: Depth=1
	s_or_b64 s[28:29], s[28:29], exec
	s_cmp_eq_u64 s[2:3], s[30:31]
	s_cbranch_scc0 .LBB1639_88
; %bb.91:                               ;   in Loop: Header=BB1639_90 Depth=1
                                        ; implicit-def: $vgpr4_vgpr5
                                        ; implicit-def: $vgpr6_vgpr7
	s_mov_b64 s[30:31], s[16:17]
	s_branch .LBB1639_89
.LBB1639_92:
	v_pk_mov_b32 v[8:9], 0, 0
	s_branch .LBB1639_95
.LBB1639_93:
	s_or_b64 exec, exec, s[4:5]
	v_cmp_gt_i64_e32 vcc, s[16:17], v[8:9]
	s_mov_b32 s2, 0
	v_cndmask_b32_e64 v8, 0, 1, vcc
	v_mov_b32_e32 v9, s2
.LBB1639_94:
	s_or_b64 exec, exec, s[26:27]
.LBB1639_95:
	s_or_b64 exec, exec, s[24:25]
	v_cmp_ne_u32_e32 vcc, 0, v0
	v_cmp_gt_u32_e64 s[2:3], s14, v14
	s_and_b64 s[2:3], vcc, s[2:3]
	s_waitcnt lgkmcnt(0)
	s_barrier
	s_waitcnt lgkmcnt(0)
                                        ; implicit-def: $sgpr28_sgpr29
	s_and_saveexec_b64 s[24:25], s[2:3]
	s_cbranch_execz .LBB1639_107
; %bb.96:
	s_and_b64 vcc, exec, s[22:23]
	s_cbranch_vccnz .LBB1639_103
; %bb.97:
	v_mul_lo_u32 v6, v3, s16
	v_add_u32_e32 v3, -8, v1
	ds_read_b64 v[4:5], v3
	v_mul_lo_u32 v7, v2, s17
	v_mad_u64_u32 v[2:3], s[2:3], v2, s16, 0
	v_add3_u32 v3, v3, v7, v6
	s_waitcnt lgkmcnt(0)
	v_mul_lo_u32 v5, v5, s16
	v_mul_lo_u32 v6, v4, s17
	v_mad_u64_u32 v[10:11], s[2:3], v4, s16, 0
	v_add3_u32 v11, v11, v6, v5
	v_lshlrev_b64 v[4:5], 3, v[2:3]
	v_mov_b32_e32 v2, s19
	v_add_co_u32_e32 v6, vcc, s18, v4
	v_addc_co_u32_e64 v7, s[2:3], v2, v5, vcc
	v_lshlrev_b64 v[2:3], 3, v[10:11]
	v_mov_b32_e32 v4, s19
	v_add_co_u32_e64 v10, s[2:3], s18, v2
	v_addc_co_u32_e64 v11, s[4:5], v4, v3, s[2:3]
	global_load_dwordx2 v[12:13], v[6:7], off
	global_load_dwordx2 v[14:15], v[10:11], off
	s_mov_b64 s[26:27], -1
	s_waitcnt vmcnt(0)
	v_cmp_eq_u64_e64 s[4:5], v[12:13], v[14:15]
	s_and_saveexec_b64 s[22:23], s[4:5]
	s_cbranch_execz .LBB1639_105
; %bb.98:
	v_mov_b32_e32 v2, s19
	v_addc_co_u32_e64 v3, s[2:3], v3, v2, s[2:3]
	v_add_co_u32_e64 v2, s[2:3], 8, v10
	v_mov_b32_e32 v4, s19
	v_addc_co_u32_e64 v3, s[2:3], 0, v3, s[2:3]
	v_addc_co_u32_e32 v5, vcc, v5, v4, vcc
	v_add_co_u32_e32 v4, vcc, 8, v6
	s_add_u32 s2, s16, -1
	v_addc_co_u32_e32 v5, vcc, 0, v5, vcc
	s_addc_u32 s3, s17, -1
	s_mov_b64 s[4:5], 0
	s_mov_b64 s[26:27], 0
                                        ; implicit-def: $sgpr18_sgpr19
	s_branch .LBB1639_101
.LBB1639_99:                            ;   in Loop: Header=BB1639_101 Depth=1
	global_load_dwordx2 v[6:7], v[4:5], off
	global_load_dwordx2 v[10:11], v[2:3], off
	v_add_co_u32_e32 v2, vcc, 8, v2
	v_addc_co_u32_e32 v3, vcc, 0, v3, vcc
	v_add_co_u32_e32 v4, vcc, 8, v4
	v_addc_co_u32_e32 v5, vcc, 0, v5, vcc
	s_add_u32 s26, s26, 1
	s_addc_u32 s27, s27, 0
	s_andn2_b64 s[18:19], s[18:19], exec
	s_waitcnt vmcnt(0)
	v_cmp_ne_u64_e32 vcc, v[6:7], v[10:11]
	s_and_b64 s[28:29], vcc, exec
	s_or_b64 s[18:19], s[18:19], s[28:29]
.LBB1639_100:                           ;   in Loop: Header=BB1639_101 Depth=1
	s_and_b64 s[28:29], exec, s[18:19]
	s_or_b64 s[4:5], s[28:29], s[4:5]
	v_pk_mov_b32 v[6:7], s[26:27], s[26:27] op_sel:[0,1]
	s_andn2_b64 exec, exec, s[4:5]
	s_cbranch_execz .LBB1639_104
.LBB1639_101:                           ; =>This Inner Loop Header: Depth=1
	s_or_b64 s[18:19], s[18:19], exec
	s_cmp_eq_u64 s[2:3], s[26:27]
	s_cbranch_scc0 .LBB1639_99
; %bb.102:                              ;   in Loop: Header=BB1639_101 Depth=1
                                        ; implicit-def: $vgpr2_vgpr3
                                        ; implicit-def: $vgpr4_vgpr5
	s_mov_b64 s[26:27], s[16:17]
	s_branch .LBB1639_100
.LBB1639_103:
	s_mov_b64 s[26:27], 0
	s_branch .LBB1639_106
.LBB1639_104:
	s_or_b64 exec, exec, s[4:5]
	v_cmp_gt_i64_e32 vcc, s[16:17], v[6:7]
	s_orn2_b64 s[26:27], vcc, exec
.LBB1639_105:
	s_or_b64 exec, exec, s[22:23]
.LBB1639_106:
	s_and_b64 s[28:29], s[26:27], exec
	s_or_b64 s[20:21], s[20:21], exec
                                        ; implicit-def: $vgpr2_vgpr3
.LBB1639_107:
	s_or_b64 exec, exec, s[24:25]
.LBB1639_108:
	s_and_saveexec_b64 s[2:3], s[20:21]
; %bb.109:
	s_mov_b32 s4, 0
	v_cndmask_b32_e64 v2, 0, 1, s[28:29]
	v_mov_b32_e32 v3, s4
; %bb.110:
	s_or_b64 exec, exec, s[2:3]
	s_add_u32 s4, s12, s10
	s_addc_u32 s5, s13, s11
	s_and_b64 vcc, exec, s[0:1]
	v_lshrrev_b32_e32 v10, 1, v0
	s_waitcnt lgkmcnt(0)
	s_barrier
	s_cbranch_vccz .LBB1639_114
; %bb.111:
	v_and_b32_e32 v4, 0x78, v10
	v_lshl_add_u32 v6, v0, 4, v4
	v_mov_b32_e32 v4, v8
	v_mov_b32_e32 v5, v9
	v_or_b32_e32 v11, 0x100, v0
	s_lshl_b32 s0, s6, 9
	s_mov_b32 s9, 0
	ds_write2_b64 v6, v[2:3], v[4:5] offset1:1
	v_lshrrev_b32_e32 v4, 5, v11
	s_sub_i32 s2, s14, s0
	s_lshl_b64 s[0:1], s[8:9], 3
	v_add_lshl_u32 v4, v4, v0, 3
	s_add_u32 s0, s4, s0
	s_waitcnt lgkmcnt(0)
	s_barrier
	ds_read_b64 v[4:5], v4 offset:2048
	s_addc_u32 s1, s5, s1
	v_mov_b32_e32 v7, s1
	v_add_co_u32_e32 v6, vcc, s0, v1
	v_addc_co_u32_e32 v7, vcc, 0, v7, vcc
	v_cmp_gt_u32_e32 vcc, s2, v0
	s_and_saveexec_b64 s[0:1], vcc
	s_cbranch_execz .LBB1639_113
; %bb.112:
	v_lshrrev_b32_e32 v12, 5, v0
	v_add_lshl_u32 v12, v12, v0, 3
	ds_read_b64 v[12:13], v12
	s_waitcnt lgkmcnt(0)
	global_store_dwordx2 v[6:7], v[12:13], off
.LBB1639_113:
	s_or_b64 exec, exec, s[0:1]
	v_cmp_gt_u32_e64 s[0:1], s2, v11
	s_branch .LBB1639_116
.LBB1639_114:
	s_mov_b64 s[0:1], 0
                                        ; implicit-def: $vgpr4_vgpr5
                                        ; implicit-def: $vgpr6_vgpr7
	s_cbranch_execz .LBB1639_116
; %bb.115:
	s_waitcnt lgkmcnt(0)
	v_and_b32_e32 v4, 0x78, v10
	v_lshl_add_u32 v6, v0, 4, v4
	v_mov_b32_e32 v4, v8
	v_mov_b32_e32 v5, v9
	s_mov_b32 s9, 0
	ds_write2_b64 v6, v[2:3], v[4:5] offset1:1
	v_lshrrev_b32_e32 v2, 5, v0
	v_or_b32_e32 v3, 0x100, v0
	s_lshl_b64 s[2:3], s[8:9], 3
	v_add_lshl_u32 v2, v2, v0, 3
	v_lshrrev_b32_e32 v3, 5, v3
	s_add_u32 s2, s4, s2
	s_waitcnt lgkmcnt(0)
	s_barrier
	v_add_lshl_u32 v0, v3, v0, 3
	ds_read_b64 v[2:3], v2
	ds_read_b64 v[4:5], v0 offset:2048
	s_addc_u32 s3, s5, s3
	v_mov_b32_e32 v0, s3
	v_add_co_u32_e32 v6, vcc, s2, v1
	v_addc_co_u32_e32 v7, vcc, 0, v0, vcc
	s_or_b64 s[0:1], s[0:1], exec
	s_waitcnt lgkmcnt(1)
	global_store_dwordx2 v1, v[2:3], s[2:3]
.LBB1639_116:
	s_and_saveexec_b64 s[2:3], s[0:1]
	s_cbranch_execnz .LBB1639_118
; %bb.117:
	s_endpgm
.LBB1639_118:
	s_waitcnt lgkmcnt(0)
	global_store_dwordx2 v[6:7], v[4:5], off offset:2048
	s_endpgm
	.section	.rodata,"a",@progbits
	.p2align	6, 0x0
	.amdhsa_kernel _ZN7rocprim17ROCPRIM_400000_NS6detail17trampoline_kernelINS0_14default_configENS1_35adjacent_difference_config_selectorILb0ElEEZNS1_24adjacent_difference_implIS3_Lb0ELb0EPlS7_ZN2at6native12_GLOBAL__N_124unique_dim_cuda_templateImEESt5tupleIJNS8_6TensorESD_SD_EERKSD_lbbbEUlllE1_EE10hipError_tPvRmT2_T3_mT4_P12ihipStream_tbEUlT_E_NS1_11comp_targetILNS1_3genE4ELNS1_11target_archE910ELNS1_3gpuE8ELNS1_3repE0EEENS1_30default_config_static_selectorELNS0_4arch9wavefront6targetE1EEEvT1_
		.amdhsa_group_segment_fixed_size 4224
		.amdhsa_private_segment_fixed_size 0
		.amdhsa_kernarg_size 64
		.amdhsa_user_sgpr_count 6
		.amdhsa_user_sgpr_private_segment_buffer 1
		.amdhsa_user_sgpr_dispatch_ptr 0
		.amdhsa_user_sgpr_queue_ptr 0
		.amdhsa_user_sgpr_kernarg_segment_ptr 1
		.amdhsa_user_sgpr_dispatch_id 0
		.amdhsa_user_sgpr_flat_scratch_init 0
		.amdhsa_user_sgpr_kernarg_preload_length 0
		.amdhsa_user_sgpr_kernarg_preload_offset 0
		.amdhsa_user_sgpr_private_segment_size 0
		.amdhsa_uses_dynamic_stack 0
		.amdhsa_system_sgpr_private_segment_wavefront_offset 0
		.amdhsa_system_sgpr_workgroup_id_x 1
		.amdhsa_system_sgpr_workgroup_id_y 0
		.amdhsa_system_sgpr_workgroup_id_z 0
		.amdhsa_system_sgpr_workgroup_info 0
		.amdhsa_system_vgpr_workitem_id 0
		.amdhsa_next_free_vgpr 20
		.amdhsa_next_free_sgpr 38
		.amdhsa_accum_offset 20
		.amdhsa_reserve_vcc 1
		.amdhsa_reserve_flat_scratch 0
		.amdhsa_float_round_mode_32 0
		.amdhsa_float_round_mode_16_64 0
		.amdhsa_float_denorm_mode_32 3
		.amdhsa_float_denorm_mode_16_64 3
		.amdhsa_dx10_clamp 1
		.amdhsa_ieee_mode 1
		.amdhsa_fp16_overflow 0
		.amdhsa_tg_split 0
		.amdhsa_exception_fp_ieee_invalid_op 0
		.amdhsa_exception_fp_denorm_src 0
		.amdhsa_exception_fp_ieee_div_zero 0
		.amdhsa_exception_fp_ieee_overflow 0
		.amdhsa_exception_fp_ieee_underflow 0
		.amdhsa_exception_fp_ieee_inexact 0
		.amdhsa_exception_int_div_zero 0
	.end_amdhsa_kernel
	.section	.text._ZN7rocprim17ROCPRIM_400000_NS6detail17trampoline_kernelINS0_14default_configENS1_35adjacent_difference_config_selectorILb0ElEEZNS1_24adjacent_difference_implIS3_Lb0ELb0EPlS7_ZN2at6native12_GLOBAL__N_124unique_dim_cuda_templateImEESt5tupleIJNS8_6TensorESD_SD_EERKSD_lbbbEUlllE1_EE10hipError_tPvRmT2_T3_mT4_P12ihipStream_tbEUlT_E_NS1_11comp_targetILNS1_3genE4ELNS1_11target_archE910ELNS1_3gpuE8ELNS1_3repE0EEENS1_30default_config_static_selectorELNS0_4arch9wavefront6targetE1EEEvT1_,"axG",@progbits,_ZN7rocprim17ROCPRIM_400000_NS6detail17trampoline_kernelINS0_14default_configENS1_35adjacent_difference_config_selectorILb0ElEEZNS1_24adjacent_difference_implIS3_Lb0ELb0EPlS7_ZN2at6native12_GLOBAL__N_124unique_dim_cuda_templateImEESt5tupleIJNS8_6TensorESD_SD_EERKSD_lbbbEUlllE1_EE10hipError_tPvRmT2_T3_mT4_P12ihipStream_tbEUlT_E_NS1_11comp_targetILNS1_3genE4ELNS1_11target_archE910ELNS1_3gpuE8ELNS1_3repE0EEENS1_30default_config_static_selectorELNS0_4arch9wavefront6targetE1EEEvT1_,comdat
.Lfunc_end1639:
	.size	_ZN7rocprim17ROCPRIM_400000_NS6detail17trampoline_kernelINS0_14default_configENS1_35adjacent_difference_config_selectorILb0ElEEZNS1_24adjacent_difference_implIS3_Lb0ELb0EPlS7_ZN2at6native12_GLOBAL__N_124unique_dim_cuda_templateImEESt5tupleIJNS8_6TensorESD_SD_EERKSD_lbbbEUlllE1_EE10hipError_tPvRmT2_T3_mT4_P12ihipStream_tbEUlT_E_NS1_11comp_targetILNS1_3genE4ELNS1_11target_archE910ELNS1_3gpuE8ELNS1_3repE0EEENS1_30default_config_static_selectorELNS0_4arch9wavefront6targetE1EEEvT1_, .Lfunc_end1639-_ZN7rocprim17ROCPRIM_400000_NS6detail17trampoline_kernelINS0_14default_configENS1_35adjacent_difference_config_selectorILb0ElEEZNS1_24adjacent_difference_implIS3_Lb0ELb0EPlS7_ZN2at6native12_GLOBAL__N_124unique_dim_cuda_templateImEESt5tupleIJNS8_6TensorESD_SD_EERKSD_lbbbEUlllE1_EE10hipError_tPvRmT2_T3_mT4_P12ihipStream_tbEUlT_E_NS1_11comp_targetILNS1_3genE4ELNS1_11target_archE910ELNS1_3gpuE8ELNS1_3repE0EEENS1_30default_config_static_selectorELNS0_4arch9wavefront6targetE1EEEvT1_
                                        ; -- End function
	.section	.AMDGPU.csdata,"",@progbits
; Kernel info:
; codeLenInByte = 4256
; NumSgprs: 42
; NumVgprs: 20
; NumAgprs: 0
; TotalNumVgprs: 20
; ScratchSize: 0
; MemoryBound: 1
; FloatMode: 240
; IeeeMode: 1
; LDSByteSize: 4224 bytes/workgroup (compile time only)
; SGPRBlocks: 5
; VGPRBlocks: 2
; NumSGPRsForWavesPerEU: 42
; NumVGPRsForWavesPerEU: 20
; AccumOffset: 20
; Occupancy: 8
; WaveLimiterHint : 1
; COMPUTE_PGM_RSRC2:SCRATCH_EN: 0
; COMPUTE_PGM_RSRC2:USER_SGPR: 6
; COMPUTE_PGM_RSRC2:TRAP_HANDLER: 0
; COMPUTE_PGM_RSRC2:TGID_X_EN: 1
; COMPUTE_PGM_RSRC2:TGID_Y_EN: 0
; COMPUTE_PGM_RSRC2:TGID_Z_EN: 0
; COMPUTE_PGM_RSRC2:TIDIG_COMP_CNT: 0
; COMPUTE_PGM_RSRC3_GFX90A:ACCUM_OFFSET: 4
; COMPUTE_PGM_RSRC3_GFX90A:TG_SPLIT: 0
	.section	.text._ZN7rocprim17ROCPRIM_400000_NS6detail17trampoline_kernelINS0_14default_configENS1_35adjacent_difference_config_selectorILb0ElEEZNS1_24adjacent_difference_implIS3_Lb0ELb0EPlS7_ZN2at6native12_GLOBAL__N_124unique_dim_cuda_templateImEESt5tupleIJNS8_6TensorESD_SD_EERKSD_lbbbEUlllE1_EE10hipError_tPvRmT2_T3_mT4_P12ihipStream_tbEUlT_E_NS1_11comp_targetILNS1_3genE3ELNS1_11target_archE908ELNS1_3gpuE7ELNS1_3repE0EEENS1_30default_config_static_selectorELNS0_4arch9wavefront6targetE1EEEvT1_,"axG",@progbits,_ZN7rocprim17ROCPRIM_400000_NS6detail17trampoline_kernelINS0_14default_configENS1_35adjacent_difference_config_selectorILb0ElEEZNS1_24adjacent_difference_implIS3_Lb0ELb0EPlS7_ZN2at6native12_GLOBAL__N_124unique_dim_cuda_templateImEESt5tupleIJNS8_6TensorESD_SD_EERKSD_lbbbEUlllE1_EE10hipError_tPvRmT2_T3_mT4_P12ihipStream_tbEUlT_E_NS1_11comp_targetILNS1_3genE3ELNS1_11target_archE908ELNS1_3gpuE7ELNS1_3repE0EEENS1_30default_config_static_selectorELNS0_4arch9wavefront6targetE1EEEvT1_,comdat
	.globl	_ZN7rocprim17ROCPRIM_400000_NS6detail17trampoline_kernelINS0_14default_configENS1_35adjacent_difference_config_selectorILb0ElEEZNS1_24adjacent_difference_implIS3_Lb0ELb0EPlS7_ZN2at6native12_GLOBAL__N_124unique_dim_cuda_templateImEESt5tupleIJNS8_6TensorESD_SD_EERKSD_lbbbEUlllE1_EE10hipError_tPvRmT2_T3_mT4_P12ihipStream_tbEUlT_E_NS1_11comp_targetILNS1_3genE3ELNS1_11target_archE908ELNS1_3gpuE7ELNS1_3repE0EEENS1_30default_config_static_selectorELNS0_4arch9wavefront6targetE1EEEvT1_ ; -- Begin function _ZN7rocprim17ROCPRIM_400000_NS6detail17trampoline_kernelINS0_14default_configENS1_35adjacent_difference_config_selectorILb0ElEEZNS1_24adjacent_difference_implIS3_Lb0ELb0EPlS7_ZN2at6native12_GLOBAL__N_124unique_dim_cuda_templateImEESt5tupleIJNS8_6TensorESD_SD_EERKSD_lbbbEUlllE1_EE10hipError_tPvRmT2_T3_mT4_P12ihipStream_tbEUlT_E_NS1_11comp_targetILNS1_3genE3ELNS1_11target_archE908ELNS1_3gpuE7ELNS1_3repE0EEENS1_30default_config_static_selectorELNS0_4arch9wavefront6targetE1EEEvT1_
	.p2align	8
	.type	_ZN7rocprim17ROCPRIM_400000_NS6detail17trampoline_kernelINS0_14default_configENS1_35adjacent_difference_config_selectorILb0ElEEZNS1_24adjacent_difference_implIS3_Lb0ELb0EPlS7_ZN2at6native12_GLOBAL__N_124unique_dim_cuda_templateImEESt5tupleIJNS8_6TensorESD_SD_EERKSD_lbbbEUlllE1_EE10hipError_tPvRmT2_T3_mT4_P12ihipStream_tbEUlT_E_NS1_11comp_targetILNS1_3genE3ELNS1_11target_archE908ELNS1_3gpuE7ELNS1_3repE0EEENS1_30default_config_static_selectorELNS0_4arch9wavefront6targetE1EEEvT1_,@function
_ZN7rocprim17ROCPRIM_400000_NS6detail17trampoline_kernelINS0_14default_configENS1_35adjacent_difference_config_selectorILb0ElEEZNS1_24adjacent_difference_implIS3_Lb0ELb0EPlS7_ZN2at6native12_GLOBAL__N_124unique_dim_cuda_templateImEESt5tupleIJNS8_6TensorESD_SD_EERKSD_lbbbEUlllE1_EE10hipError_tPvRmT2_T3_mT4_P12ihipStream_tbEUlT_E_NS1_11comp_targetILNS1_3genE3ELNS1_11target_archE908ELNS1_3gpuE7ELNS1_3repE0EEENS1_30default_config_static_selectorELNS0_4arch9wavefront6targetE1EEEvT1_: ; @_ZN7rocprim17ROCPRIM_400000_NS6detail17trampoline_kernelINS0_14default_configENS1_35adjacent_difference_config_selectorILb0ElEEZNS1_24adjacent_difference_implIS3_Lb0ELb0EPlS7_ZN2at6native12_GLOBAL__N_124unique_dim_cuda_templateImEESt5tupleIJNS8_6TensorESD_SD_EERKSD_lbbbEUlllE1_EE10hipError_tPvRmT2_T3_mT4_P12ihipStream_tbEUlT_E_NS1_11comp_targetILNS1_3genE3ELNS1_11target_archE908ELNS1_3gpuE7ELNS1_3repE0EEENS1_30default_config_static_selectorELNS0_4arch9wavefront6targetE1EEEvT1_
; %bb.0:
	.section	.rodata,"a",@progbits
	.p2align	6, 0x0
	.amdhsa_kernel _ZN7rocprim17ROCPRIM_400000_NS6detail17trampoline_kernelINS0_14default_configENS1_35adjacent_difference_config_selectorILb0ElEEZNS1_24adjacent_difference_implIS3_Lb0ELb0EPlS7_ZN2at6native12_GLOBAL__N_124unique_dim_cuda_templateImEESt5tupleIJNS8_6TensorESD_SD_EERKSD_lbbbEUlllE1_EE10hipError_tPvRmT2_T3_mT4_P12ihipStream_tbEUlT_E_NS1_11comp_targetILNS1_3genE3ELNS1_11target_archE908ELNS1_3gpuE7ELNS1_3repE0EEENS1_30default_config_static_selectorELNS0_4arch9wavefront6targetE1EEEvT1_
		.amdhsa_group_segment_fixed_size 0
		.amdhsa_private_segment_fixed_size 0
		.amdhsa_kernarg_size 64
		.amdhsa_user_sgpr_count 6
		.amdhsa_user_sgpr_private_segment_buffer 1
		.amdhsa_user_sgpr_dispatch_ptr 0
		.amdhsa_user_sgpr_queue_ptr 0
		.amdhsa_user_sgpr_kernarg_segment_ptr 1
		.amdhsa_user_sgpr_dispatch_id 0
		.amdhsa_user_sgpr_flat_scratch_init 0
		.amdhsa_user_sgpr_kernarg_preload_length 0
		.amdhsa_user_sgpr_kernarg_preload_offset 0
		.amdhsa_user_sgpr_private_segment_size 0
		.amdhsa_uses_dynamic_stack 0
		.amdhsa_system_sgpr_private_segment_wavefront_offset 0
		.amdhsa_system_sgpr_workgroup_id_x 1
		.amdhsa_system_sgpr_workgroup_id_y 0
		.amdhsa_system_sgpr_workgroup_id_z 0
		.amdhsa_system_sgpr_workgroup_info 0
		.amdhsa_system_vgpr_workitem_id 0
		.amdhsa_next_free_vgpr 1
		.amdhsa_next_free_sgpr 0
		.amdhsa_accum_offset 4
		.amdhsa_reserve_vcc 0
		.amdhsa_reserve_flat_scratch 0
		.amdhsa_float_round_mode_32 0
		.amdhsa_float_round_mode_16_64 0
		.amdhsa_float_denorm_mode_32 3
		.amdhsa_float_denorm_mode_16_64 3
		.amdhsa_dx10_clamp 1
		.amdhsa_ieee_mode 1
		.amdhsa_fp16_overflow 0
		.amdhsa_tg_split 0
		.amdhsa_exception_fp_ieee_invalid_op 0
		.amdhsa_exception_fp_denorm_src 0
		.amdhsa_exception_fp_ieee_div_zero 0
		.amdhsa_exception_fp_ieee_overflow 0
		.amdhsa_exception_fp_ieee_underflow 0
		.amdhsa_exception_fp_ieee_inexact 0
		.amdhsa_exception_int_div_zero 0
	.end_amdhsa_kernel
	.section	.text._ZN7rocprim17ROCPRIM_400000_NS6detail17trampoline_kernelINS0_14default_configENS1_35adjacent_difference_config_selectorILb0ElEEZNS1_24adjacent_difference_implIS3_Lb0ELb0EPlS7_ZN2at6native12_GLOBAL__N_124unique_dim_cuda_templateImEESt5tupleIJNS8_6TensorESD_SD_EERKSD_lbbbEUlllE1_EE10hipError_tPvRmT2_T3_mT4_P12ihipStream_tbEUlT_E_NS1_11comp_targetILNS1_3genE3ELNS1_11target_archE908ELNS1_3gpuE7ELNS1_3repE0EEENS1_30default_config_static_selectorELNS0_4arch9wavefront6targetE1EEEvT1_,"axG",@progbits,_ZN7rocprim17ROCPRIM_400000_NS6detail17trampoline_kernelINS0_14default_configENS1_35adjacent_difference_config_selectorILb0ElEEZNS1_24adjacent_difference_implIS3_Lb0ELb0EPlS7_ZN2at6native12_GLOBAL__N_124unique_dim_cuda_templateImEESt5tupleIJNS8_6TensorESD_SD_EERKSD_lbbbEUlllE1_EE10hipError_tPvRmT2_T3_mT4_P12ihipStream_tbEUlT_E_NS1_11comp_targetILNS1_3genE3ELNS1_11target_archE908ELNS1_3gpuE7ELNS1_3repE0EEENS1_30default_config_static_selectorELNS0_4arch9wavefront6targetE1EEEvT1_,comdat
.Lfunc_end1640:
	.size	_ZN7rocprim17ROCPRIM_400000_NS6detail17trampoline_kernelINS0_14default_configENS1_35adjacent_difference_config_selectorILb0ElEEZNS1_24adjacent_difference_implIS3_Lb0ELb0EPlS7_ZN2at6native12_GLOBAL__N_124unique_dim_cuda_templateImEESt5tupleIJNS8_6TensorESD_SD_EERKSD_lbbbEUlllE1_EE10hipError_tPvRmT2_T3_mT4_P12ihipStream_tbEUlT_E_NS1_11comp_targetILNS1_3genE3ELNS1_11target_archE908ELNS1_3gpuE7ELNS1_3repE0EEENS1_30default_config_static_selectorELNS0_4arch9wavefront6targetE1EEEvT1_, .Lfunc_end1640-_ZN7rocprim17ROCPRIM_400000_NS6detail17trampoline_kernelINS0_14default_configENS1_35adjacent_difference_config_selectorILb0ElEEZNS1_24adjacent_difference_implIS3_Lb0ELb0EPlS7_ZN2at6native12_GLOBAL__N_124unique_dim_cuda_templateImEESt5tupleIJNS8_6TensorESD_SD_EERKSD_lbbbEUlllE1_EE10hipError_tPvRmT2_T3_mT4_P12ihipStream_tbEUlT_E_NS1_11comp_targetILNS1_3genE3ELNS1_11target_archE908ELNS1_3gpuE7ELNS1_3repE0EEENS1_30default_config_static_selectorELNS0_4arch9wavefront6targetE1EEEvT1_
                                        ; -- End function
	.section	.AMDGPU.csdata,"",@progbits
; Kernel info:
; codeLenInByte = 0
; NumSgprs: 4
; NumVgprs: 0
; NumAgprs: 0
; TotalNumVgprs: 0
; ScratchSize: 0
; MemoryBound: 0
; FloatMode: 240
; IeeeMode: 1
; LDSByteSize: 0 bytes/workgroup (compile time only)
; SGPRBlocks: 0
; VGPRBlocks: 0
; NumSGPRsForWavesPerEU: 4
; NumVGPRsForWavesPerEU: 1
; AccumOffset: 4
; Occupancy: 8
; WaveLimiterHint : 0
; COMPUTE_PGM_RSRC2:SCRATCH_EN: 0
; COMPUTE_PGM_RSRC2:USER_SGPR: 6
; COMPUTE_PGM_RSRC2:TRAP_HANDLER: 0
; COMPUTE_PGM_RSRC2:TGID_X_EN: 1
; COMPUTE_PGM_RSRC2:TGID_Y_EN: 0
; COMPUTE_PGM_RSRC2:TGID_Z_EN: 0
; COMPUTE_PGM_RSRC2:TIDIG_COMP_CNT: 0
; COMPUTE_PGM_RSRC3_GFX90A:ACCUM_OFFSET: 0
; COMPUTE_PGM_RSRC3_GFX90A:TG_SPLIT: 0
	.section	.text._ZN7rocprim17ROCPRIM_400000_NS6detail17trampoline_kernelINS0_14default_configENS1_35adjacent_difference_config_selectorILb0ElEEZNS1_24adjacent_difference_implIS3_Lb0ELb0EPlS7_ZN2at6native12_GLOBAL__N_124unique_dim_cuda_templateImEESt5tupleIJNS8_6TensorESD_SD_EERKSD_lbbbEUlllE1_EE10hipError_tPvRmT2_T3_mT4_P12ihipStream_tbEUlT_E_NS1_11comp_targetILNS1_3genE2ELNS1_11target_archE906ELNS1_3gpuE6ELNS1_3repE0EEENS1_30default_config_static_selectorELNS0_4arch9wavefront6targetE1EEEvT1_,"axG",@progbits,_ZN7rocprim17ROCPRIM_400000_NS6detail17trampoline_kernelINS0_14default_configENS1_35adjacent_difference_config_selectorILb0ElEEZNS1_24adjacent_difference_implIS3_Lb0ELb0EPlS7_ZN2at6native12_GLOBAL__N_124unique_dim_cuda_templateImEESt5tupleIJNS8_6TensorESD_SD_EERKSD_lbbbEUlllE1_EE10hipError_tPvRmT2_T3_mT4_P12ihipStream_tbEUlT_E_NS1_11comp_targetILNS1_3genE2ELNS1_11target_archE906ELNS1_3gpuE6ELNS1_3repE0EEENS1_30default_config_static_selectorELNS0_4arch9wavefront6targetE1EEEvT1_,comdat
	.globl	_ZN7rocprim17ROCPRIM_400000_NS6detail17trampoline_kernelINS0_14default_configENS1_35adjacent_difference_config_selectorILb0ElEEZNS1_24adjacent_difference_implIS3_Lb0ELb0EPlS7_ZN2at6native12_GLOBAL__N_124unique_dim_cuda_templateImEESt5tupleIJNS8_6TensorESD_SD_EERKSD_lbbbEUlllE1_EE10hipError_tPvRmT2_T3_mT4_P12ihipStream_tbEUlT_E_NS1_11comp_targetILNS1_3genE2ELNS1_11target_archE906ELNS1_3gpuE6ELNS1_3repE0EEENS1_30default_config_static_selectorELNS0_4arch9wavefront6targetE1EEEvT1_ ; -- Begin function _ZN7rocprim17ROCPRIM_400000_NS6detail17trampoline_kernelINS0_14default_configENS1_35adjacent_difference_config_selectorILb0ElEEZNS1_24adjacent_difference_implIS3_Lb0ELb0EPlS7_ZN2at6native12_GLOBAL__N_124unique_dim_cuda_templateImEESt5tupleIJNS8_6TensorESD_SD_EERKSD_lbbbEUlllE1_EE10hipError_tPvRmT2_T3_mT4_P12ihipStream_tbEUlT_E_NS1_11comp_targetILNS1_3genE2ELNS1_11target_archE906ELNS1_3gpuE6ELNS1_3repE0EEENS1_30default_config_static_selectorELNS0_4arch9wavefront6targetE1EEEvT1_
	.p2align	8
	.type	_ZN7rocprim17ROCPRIM_400000_NS6detail17trampoline_kernelINS0_14default_configENS1_35adjacent_difference_config_selectorILb0ElEEZNS1_24adjacent_difference_implIS3_Lb0ELb0EPlS7_ZN2at6native12_GLOBAL__N_124unique_dim_cuda_templateImEESt5tupleIJNS8_6TensorESD_SD_EERKSD_lbbbEUlllE1_EE10hipError_tPvRmT2_T3_mT4_P12ihipStream_tbEUlT_E_NS1_11comp_targetILNS1_3genE2ELNS1_11target_archE906ELNS1_3gpuE6ELNS1_3repE0EEENS1_30default_config_static_selectorELNS0_4arch9wavefront6targetE1EEEvT1_,@function
_ZN7rocprim17ROCPRIM_400000_NS6detail17trampoline_kernelINS0_14default_configENS1_35adjacent_difference_config_selectorILb0ElEEZNS1_24adjacent_difference_implIS3_Lb0ELb0EPlS7_ZN2at6native12_GLOBAL__N_124unique_dim_cuda_templateImEESt5tupleIJNS8_6TensorESD_SD_EERKSD_lbbbEUlllE1_EE10hipError_tPvRmT2_T3_mT4_P12ihipStream_tbEUlT_E_NS1_11comp_targetILNS1_3genE2ELNS1_11target_archE906ELNS1_3gpuE6ELNS1_3repE0EEENS1_30default_config_static_selectorELNS0_4arch9wavefront6targetE1EEEvT1_: ; @_ZN7rocprim17ROCPRIM_400000_NS6detail17trampoline_kernelINS0_14default_configENS1_35adjacent_difference_config_selectorILb0ElEEZNS1_24adjacent_difference_implIS3_Lb0ELb0EPlS7_ZN2at6native12_GLOBAL__N_124unique_dim_cuda_templateImEESt5tupleIJNS8_6TensorESD_SD_EERKSD_lbbbEUlllE1_EE10hipError_tPvRmT2_T3_mT4_P12ihipStream_tbEUlT_E_NS1_11comp_targetILNS1_3genE2ELNS1_11target_archE906ELNS1_3gpuE6ELNS1_3repE0EEENS1_30default_config_static_selectorELNS0_4arch9wavefront6targetE1EEEvT1_
; %bb.0:
	.section	.rodata,"a",@progbits
	.p2align	6, 0x0
	.amdhsa_kernel _ZN7rocprim17ROCPRIM_400000_NS6detail17trampoline_kernelINS0_14default_configENS1_35adjacent_difference_config_selectorILb0ElEEZNS1_24adjacent_difference_implIS3_Lb0ELb0EPlS7_ZN2at6native12_GLOBAL__N_124unique_dim_cuda_templateImEESt5tupleIJNS8_6TensorESD_SD_EERKSD_lbbbEUlllE1_EE10hipError_tPvRmT2_T3_mT4_P12ihipStream_tbEUlT_E_NS1_11comp_targetILNS1_3genE2ELNS1_11target_archE906ELNS1_3gpuE6ELNS1_3repE0EEENS1_30default_config_static_selectorELNS0_4arch9wavefront6targetE1EEEvT1_
		.amdhsa_group_segment_fixed_size 0
		.amdhsa_private_segment_fixed_size 0
		.amdhsa_kernarg_size 64
		.amdhsa_user_sgpr_count 6
		.amdhsa_user_sgpr_private_segment_buffer 1
		.amdhsa_user_sgpr_dispatch_ptr 0
		.amdhsa_user_sgpr_queue_ptr 0
		.amdhsa_user_sgpr_kernarg_segment_ptr 1
		.amdhsa_user_sgpr_dispatch_id 0
		.amdhsa_user_sgpr_flat_scratch_init 0
		.amdhsa_user_sgpr_kernarg_preload_length 0
		.amdhsa_user_sgpr_kernarg_preload_offset 0
		.amdhsa_user_sgpr_private_segment_size 0
		.amdhsa_uses_dynamic_stack 0
		.amdhsa_system_sgpr_private_segment_wavefront_offset 0
		.amdhsa_system_sgpr_workgroup_id_x 1
		.amdhsa_system_sgpr_workgroup_id_y 0
		.amdhsa_system_sgpr_workgroup_id_z 0
		.amdhsa_system_sgpr_workgroup_info 0
		.amdhsa_system_vgpr_workitem_id 0
		.amdhsa_next_free_vgpr 1
		.amdhsa_next_free_sgpr 0
		.amdhsa_accum_offset 4
		.amdhsa_reserve_vcc 0
		.amdhsa_reserve_flat_scratch 0
		.amdhsa_float_round_mode_32 0
		.amdhsa_float_round_mode_16_64 0
		.amdhsa_float_denorm_mode_32 3
		.amdhsa_float_denorm_mode_16_64 3
		.amdhsa_dx10_clamp 1
		.amdhsa_ieee_mode 1
		.amdhsa_fp16_overflow 0
		.amdhsa_tg_split 0
		.amdhsa_exception_fp_ieee_invalid_op 0
		.amdhsa_exception_fp_denorm_src 0
		.amdhsa_exception_fp_ieee_div_zero 0
		.amdhsa_exception_fp_ieee_overflow 0
		.amdhsa_exception_fp_ieee_underflow 0
		.amdhsa_exception_fp_ieee_inexact 0
		.amdhsa_exception_int_div_zero 0
	.end_amdhsa_kernel
	.section	.text._ZN7rocprim17ROCPRIM_400000_NS6detail17trampoline_kernelINS0_14default_configENS1_35adjacent_difference_config_selectorILb0ElEEZNS1_24adjacent_difference_implIS3_Lb0ELb0EPlS7_ZN2at6native12_GLOBAL__N_124unique_dim_cuda_templateImEESt5tupleIJNS8_6TensorESD_SD_EERKSD_lbbbEUlllE1_EE10hipError_tPvRmT2_T3_mT4_P12ihipStream_tbEUlT_E_NS1_11comp_targetILNS1_3genE2ELNS1_11target_archE906ELNS1_3gpuE6ELNS1_3repE0EEENS1_30default_config_static_selectorELNS0_4arch9wavefront6targetE1EEEvT1_,"axG",@progbits,_ZN7rocprim17ROCPRIM_400000_NS6detail17trampoline_kernelINS0_14default_configENS1_35adjacent_difference_config_selectorILb0ElEEZNS1_24adjacent_difference_implIS3_Lb0ELb0EPlS7_ZN2at6native12_GLOBAL__N_124unique_dim_cuda_templateImEESt5tupleIJNS8_6TensorESD_SD_EERKSD_lbbbEUlllE1_EE10hipError_tPvRmT2_T3_mT4_P12ihipStream_tbEUlT_E_NS1_11comp_targetILNS1_3genE2ELNS1_11target_archE906ELNS1_3gpuE6ELNS1_3repE0EEENS1_30default_config_static_selectorELNS0_4arch9wavefront6targetE1EEEvT1_,comdat
.Lfunc_end1641:
	.size	_ZN7rocprim17ROCPRIM_400000_NS6detail17trampoline_kernelINS0_14default_configENS1_35adjacent_difference_config_selectorILb0ElEEZNS1_24adjacent_difference_implIS3_Lb0ELb0EPlS7_ZN2at6native12_GLOBAL__N_124unique_dim_cuda_templateImEESt5tupleIJNS8_6TensorESD_SD_EERKSD_lbbbEUlllE1_EE10hipError_tPvRmT2_T3_mT4_P12ihipStream_tbEUlT_E_NS1_11comp_targetILNS1_3genE2ELNS1_11target_archE906ELNS1_3gpuE6ELNS1_3repE0EEENS1_30default_config_static_selectorELNS0_4arch9wavefront6targetE1EEEvT1_, .Lfunc_end1641-_ZN7rocprim17ROCPRIM_400000_NS6detail17trampoline_kernelINS0_14default_configENS1_35adjacent_difference_config_selectorILb0ElEEZNS1_24adjacent_difference_implIS3_Lb0ELb0EPlS7_ZN2at6native12_GLOBAL__N_124unique_dim_cuda_templateImEESt5tupleIJNS8_6TensorESD_SD_EERKSD_lbbbEUlllE1_EE10hipError_tPvRmT2_T3_mT4_P12ihipStream_tbEUlT_E_NS1_11comp_targetILNS1_3genE2ELNS1_11target_archE906ELNS1_3gpuE6ELNS1_3repE0EEENS1_30default_config_static_selectorELNS0_4arch9wavefront6targetE1EEEvT1_
                                        ; -- End function
	.section	.AMDGPU.csdata,"",@progbits
; Kernel info:
; codeLenInByte = 0
; NumSgprs: 4
; NumVgprs: 0
; NumAgprs: 0
; TotalNumVgprs: 0
; ScratchSize: 0
; MemoryBound: 0
; FloatMode: 240
; IeeeMode: 1
; LDSByteSize: 0 bytes/workgroup (compile time only)
; SGPRBlocks: 0
; VGPRBlocks: 0
; NumSGPRsForWavesPerEU: 4
; NumVGPRsForWavesPerEU: 1
; AccumOffset: 4
; Occupancy: 8
; WaveLimiterHint : 0
; COMPUTE_PGM_RSRC2:SCRATCH_EN: 0
; COMPUTE_PGM_RSRC2:USER_SGPR: 6
; COMPUTE_PGM_RSRC2:TRAP_HANDLER: 0
; COMPUTE_PGM_RSRC2:TGID_X_EN: 1
; COMPUTE_PGM_RSRC2:TGID_Y_EN: 0
; COMPUTE_PGM_RSRC2:TGID_Z_EN: 0
; COMPUTE_PGM_RSRC2:TIDIG_COMP_CNT: 0
; COMPUTE_PGM_RSRC3_GFX90A:ACCUM_OFFSET: 0
; COMPUTE_PGM_RSRC3_GFX90A:TG_SPLIT: 0
	.section	.text._ZN7rocprim17ROCPRIM_400000_NS6detail17trampoline_kernelINS0_14default_configENS1_35adjacent_difference_config_selectorILb0ElEEZNS1_24adjacent_difference_implIS3_Lb0ELb0EPlS7_ZN2at6native12_GLOBAL__N_124unique_dim_cuda_templateImEESt5tupleIJNS8_6TensorESD_SD_EERKSD_lbbbEUlllE1_EE10hipError_tPvRmT2_T3_mT4_P12ihipStream_tbEUlT_E_NS1_11comp_targetILNS1_3genE9ELNS1_11target_archE1100ELNS1_3gpuE3ELNS1_3repE0EEENS1_30default_config_static_selectorELNS0_4arch9wavefront6targetE1EEEvT1_,"axG",@progbits,_ZN7rocprim17ROCPRIM_400000_NS6detail17trampoline_kernelINS0_14default_configENS1_35adjacent_difference_config_selectorILb0ElEEZNS1_24adjacent_difference_implIS3_Lb0ELb0EPlS7_ZN2at6native12_GLOBAL__N_124unique_dim_cuda_templateImEESt5tupleIJNS8_6TensorESD_SD_EERKSD_lbbbEUlllE1_EE10hipError_tPvRmT2_T3_mT4_P12ihipStream_tbEUlT_E_NS1_11comp_targetILNS1_3genE9ELNS1_11target_archE1100ELNS1_3gpuE3ELNS1_3repE0EEENS1_30default_config_static_selectorELNS0_4arch9wavefront6targetE1EEEvT1_,comdat
	.globl	_ZN7rocprim17ROCPRIM_400000_NS6detail17trampoline_kernelINS0_14default_configENS1_35adjacent_difference_config_selectorILb0ElEEZNS1_24adjacent_difference_implIS3_Lb0ELb0EPlS7_ZN2at6native12_GLOBAL__N_124unique_dim_cuda_templateImEESt5tupleIJNS8_6TensorESD_SD_EERKSD_lbbbEUlllE1_EE10hipError_tPvRmT2_T3_mT4_P12ihipStream_tbEUlT_E_NS1_11comp_targetILNS1_3genE9ELNS1_11target_archE1100ELNS1_3gpuE3ELNS1_3repE0EEENS1_30default_config_static_selectorELNS0_4arch9wavefront6targetE1EEEvT1_ ; -- Begin function _ZN7rocprim17ROCPRIM_400000_NS6detail17trampoline_kernelINS0_14default_configENS1_35adjacent_difference_config_selectorILb0ElEEZNS1_24adjacent_difference_implIS3_Lb0ELb0EPlS7_ZN2at6native12_GLOBAL__N_124unique_dim_cuda_templateImEESt5tupleIJNS8_6TensorESD_SD_EERKSD_lbbbEUlllE1_EE10hipError_tPvRmT2_T3_mT4_P12ihipStream_tbEUlT_E_NS1_11comp_targetILNS1_3genE9ELNS1_11target_archE1100ELNS1_3gpuE3ELNS1_3repE0EEENS1_30default_config_static_selectorELNS0_4arch9wavefront6targetE1EEEvT1_
	.p2align	8
	.type	_ZN7rocprim17ROCPRIM_400000_NS6detail17trampoline_kernelINS0_14default_configENS1_35adjacent_difference_config_selectorILb0ElEEZNS1_24adjacent_difference_implIS3_Lb0ELb0EPlS7_ZN2at6native12_GLOBAL__N_124unique_dim_cuda_templateImEESt5tupleIJNS8_6TensorESD_SD_EERKSD_lbbbEUlllE1_EE10hipError_tPvRmT2_T3_mT4_P12ihipStream_tbEUlT_E_NS1_11comp_targetILNS1_3genE9ELNS1_11target_archE1100ELNS1_3gpuE3ELNS1_3repE0EEENS1_30default_config_static_selectorELNS0_4arch9wavefront6targetE1EEEvT1_,@function
_ZN7rocprim17ROCPRIM_400000_NS6detail17trampoline_kernelINS0_14default_configENS1_35adjacent_difference_config_selectorILb0ElEEZNS1_24adjacent_difference_implIS3_Lb0ELb0EPlS7_ZN2at6native12_GLOBAL__N_124unique_dim_cuda_templateImEESt5tupleIJNS8_6TensorESD_SD_EERKSD_lbbbEUlllE1_EE10hipError_tPvRmT2_T3_mT4_P12ihipStream_tbEUlT_E_NS1_11comp_targetILNS1_3genE9ELNS1_11target_archE1100ELNS1_3gpuE3ELNS1_3repE0EEENS1_30default_config_static_selectorELNS0_4arch9wavefront6targetE1EEEvT1_: ; @_ZN7rocprim17ROCPRIM_400000_NS6detail17trampoline_kernelINS0_14default_configENS1_35adjacent_difference_config_selectorILb0ElEEZNS1_24adjacent_difference_implIS3_Lb0ELb0EPlS7_ZN2at6native12_GLOBAL__N_124unique_dim_cuda_templateImEESt5tupleIJNS8_6TensorESD_SD_EERKSD_lbbbEUlllE1_EE10hipError_tPvRmT2_T3_mT4_P12ihipStream_tbEUlT_E_NS1_11comp_targetILNS1_3genE9ELNS1_11target_archE1100ELNS1_3gpuE3ELNS1_3repE0EEENS1_30default_config_static_selectorELNS0_4arch9wavefront6targetE1EEEvT1_
; %bb.0:
	.section	.rodata,"a",@progbits
	.p2align	6, 0x0
	.amdhsa_kernel _ZN7rocprim17ROCPRIM_400000_NS6detail17trampoline_kernelINS0_14default_configENS1_35adjacent_difference_config_selectorILb0ElEEZNS1_24adjacent_difference_implIS3_Lb0ELb0EPlS7_ZN2at6native12_GLOBAL__N_124unique_dim_cuda_templateImEESt5tupleIJNS8_6TensorESD_SD_EERKSD_lbbbEUlllE1_EE10hipError_tPvRmT2_T3_mT4_P12ihipStream_tbEUlT_E_NS1_11comp_targetILNS1_3genE9ELNS1_11target_archE1100ELNS1_3gpuE3ELNS1_3repE0EEENS1_30default_config_static_selectorELNS0_4arch9wavefront6targetE1EEEvT1_
		.amdhsa_group_segment_fixed_size 0
		.amdhsa_private_segment_fixed_size 0
		.amdhsa_kernarg_size 64
		.amdhsa_user_sgpr_count 6
		.amdhsa_user_sgpr_private_segment_buffer 1
		.amdhsa_user_sgpr_dispatch_ptr 0
		.amdhsa_user_sgpr_queue_ptr 0
		.amdhsa_user_sgpr_kernarg_segment_ptr 1
		.amdhsa_user_sgpr_dispatch_id 0
		.amdhsa_user_sgpr_flat_scratch_init 0
		.amdhsa_user_sgpr_kernarg_preload_length 0
		.amdhsa_user_sgpr_kernarg_preload_offset 0
		.amdhsa_user_sgpr_private_segment_size 0
		.amdhsa_uses_dynamic_stack 0
		.amdhsa_system_sgpr_private_segment_wavefront_offset 0
		.amdhsa_system_sgpr_workgroup_id_x 1
		.amdhsa_system_sgpr_workgroup_id_y 0
		.amdhsa_system_sgpr_workgroup_id_z 0
		.amdhsa_system_sgpr_workgroup_info 0
		.amdhsa_system_vgpr_workitem_id 0
		.amdhsa_next_free_vgpr 1
		.amdhsa_next_free_sgpr 0
		.amdhsa_accum_offset 4
		.amdhsa_reserve_vcc 0
		.amdhsa_reserve_flat_scratch 0
		.amdhsa_float_round_mode_32 0
		.amdhsa_float_round_mode_16_64 0
		.amdhsa_float_denorm_mode_32 3
		.amdhsa_float_denorm_mode_16_64 3
		.amdhsa_dx10_clamp 1
		.amdhsa_ieee_mode 1
		.amdhsa_fp16_overflow 0
		.amdhsa_tg_split 0
		.amdhsa_exception_fp_ieee_invalid_op 0
		.amdhsa_exception_fp_denorm_src 0
		.amdhsa_exception_fp_ieee_div_zero 0
		.amdhsa_exception_fp_ieee_overflow 0
		.amdhsa_exception_fp_ieee_underflow 0
		.amdhsa_exception_fp_ieee_inexact 0
		.amdhsa_exception_int_div_zero 0
	.end_amdhsa_kernel
	.section	.text._ZN7rocprim17ROCPRIM_400000_NS6detail17trampoline_kernelINS0_14default_configENS1_35adjacent_difference_config_selectorILb0ElEEZNS1_24adjacent_difference_implIS3_Lb0ELb0EPlS7_ZN2at6native12_GLOBAL__N_124unique_dim_cuda_templateImEESt5tupleIJNS8_6TensorESD_SD_EERKSD_lbbbEUlllE1_EE10hipError_tPvRmT2_T3_mT4_P12ihipStream_tbEUlT_E_NS1_11comp_targetILNS1_3genE9ELNS1_11target_archE1100ELNS1_3gpuE3ELNS1_3repE0EEENS1_30default_config_static_selectorELNS0_4arch9wavefront6targetE1EEEvT1_,"axG",@progbits,_ZN7rocprim17ROCPRIM_400000_NS6detail17trampoline_kernelINS0_14default_configENS1_35adjacent_difference_config_selectorILb0ElEEZNS1_24adjacent_difference_implIS3_Lb0ELb0EPlS7_ZN2at6native12_GLOBAL__N_124unique_dim_cuda_templateImEESt5tupleIJNS8_6TensorESD_SD_EERKSD_lbbbEUlllE1_EE10hipError_tPvRmT2_T3_mT4_P12ihipStream_tbEUlT_E_NS1_11comp_targetILNS1_3genE9ELNS1_11target_archE1100ELNS1_3gpuE3ELNS1_3repE0EEENS1_30default_config_static_selectorELNS0_4arch9wavefront6targetE1EEEvT1_,comdat
.Lfunc_end1642:
	.size	_ZN7rocprim17ROCPRIM_400000_NS6detail17trampoline_kernelINS0_14default_configENS1_35adjacent_difference_config_selectorILb0ElEEZNS1_24adjacent_difference_implIS3_Lb0ELb0EPlS7_ZN2at6native12_GLOBAL__N_124unique_dim_cuda_templateImEESt5tupleIJNS8_6TensorESD_SD_EERKSD_lbbbEUlllE1_EE10hipError_tPvRmT2_T3_mT4_P12ihipStream_tbEUlT_E_NS1_11comp_targetILNS1_3genE9ELNS1_11target_archE1100ELNS1_3gpuE3ELNS1_3repE0EEENS1_30default_config_static_selectorELNS0_4arch9wavefront6targetE1EEEvT1_, .Lfunc_end1642-_ZN7rocprim17ROCPRIM_400000_NS6detail17trampoline_kernelINS0_14default_configENS1_35adjacent_difference_config_selectorILb0ElEEZNS1_24adjacent_difference_implIS3_Lb0ELb0EPlS7_ZN2at6native12_GLOBAL__N_124unique_dim_cuda_templateImEESt5tupleIJNS8_6TensorESD_SD_EERKSD_lbbbEUlllE1_EE10hipError_tPvRmT2_T3_mT4_P12ihipStream_tbEUlT_E_NS1_11comp_targetILNS1_3genE9ELNS1_11target_archE1100ELNS1_3gpuE3ELNS1_3repE0EEENS1_30default_config_static_selectorELNS0_4arch9wavefront6targetE1EEEvT1_
                                        ; -- End function
	.section	.AMDGPU.csdata,"",@progbits
; Kernel info:
; codeLenInByte = 0
; NumSgprs: 4
; NumVgprs: 0
; NumAgprs: 0
; TotalNumVgprs: 0
; ScratchSize: 0
; MemoryBound: 0
; FloatMode: 240
; IeeeMode: 1
; LDSByteSize: 0 bytes/workgroup (compile time only)
; SGPRBlocks: 0
; VGPRBlocks: 0
; NumSGPRsForWavesPerEU: 4
; NumVGPRsForWavesPerEU: 1
; AccumOffset: 4
; Occupancy: 8
; WaveLimiterHint : 0
; COMPUTE_PGM_RSRC2:SCRATCH_EN: 0
; COMPUTE_PGM_RSRC2:USER_SGPR: 6
; COMPUTE_PGM_RSRC2:TRAP_HANDLER: 0
; COMPUTE_PGM_RSRC2:TGID_X_EN: 1
; COMPUTE_PGM_RSRC2:TGID_Y_EN: 0
; COMPUTE_PGM_RSRC2:TGID_Z_EN: 0
; COMPUTE_PGM_RSRC2:TIDIG_COMP_CNT: 0
; COMPUTE_PGM_RSRC3_GFX90A:ACCUM_OFFSET: 0
; COMPUTE_PGM_RSRC3_GFX90A:TG_SPLIT: 0
	.section	.text._ZN7rocprim17ROCPRIM_400000_NS6detail17trampoline_kernelINS0_14default_configENS1_35adjacent_difference_config_selectorILb0ElEEZNS1_24adjacent_difference_implIS3_Lb0ELb0EPlS7_ZN2at6native12_GLOBAL__N_124unique_dim_cuda_templateImEESt5tupleIJNS8_6TensorESD_SD_EERKSD_lbbbEUlllE1_EE10hipError_tPvRmT2_T3_mT4_P12ihipStream_tbEUlT_E_NS1_11comp_targetILNS1_3genE8ELNS1_11target_archE1030ELNS1_3gpuE2ELNS1_3repE0EEENS1_30default_config_static_selectorELNS0_4arch9wavefront6targetE1EEEvT1_,"axG",@progbits,_ZN7rocprim17ROCPRIM_400000_NS6detail17trampoline_kernelINS0_14default_configENS1_35adjacent_difference_config_selectorILb0ElEEZNS1_24adjacent_difference_implIS3_Lb0ELb0EPlS7_ZN2at6native12_GLOBAL__N_124unique_dim_cuda_templateImEESt5tupleIJNS8_6TensorESD_SD_EERKSD_lbbbEUlllE1_EE10hipError_tPvRmT2_T3_mT4_P12ihipStream_tbEUlT_E_NS1_11comp_targetILNS1_3genE8ELNS1_11target_archE1030ELNS1_3gpuE2ELNS1_3repE0EEENS1_30default_config_static_selectorELNS0_4arch9wavefront6targetE1EEEvT1_,comdat
	.globl	_ZN7rocprim17ROCPRIM_400000_NS6detail17trampoline_kernelINS0_14default_configENS1_35adjacent_difference_config_selectorILb0ElEEZNS1_24adjacent_difference_implIS3_Lb0ELb0EPlS7_ZN2at6native12_GLOBAL__N_124unique_dim_cuda_templateImEESt5tupleIJNS8_6TensorESD_SD_EERKSD_lbbbEUlllE1_EE10hipError_tPvRmT2_T3_mT4_P12ihipStream_tbEUlT_E_NS1_11comp_targetILNS1_3genE8ELNS1_11target_archE1030ELNS1_3gpuE2ELNS1_3repE0EEENS1_30default_config_static_selectorELNS0_4arch9wavefront6targetE1EEEvT1_ ; -- Begin function _ZN7rocprim17ROCPRIM_400000_NS6detail17trampoline_kernelINS0_14default_configENS1_35adjacent_difference_config_selectorILb0ElEEZNS1_24adjacent_difference_implIS3_Lb0ELb0EPlS7_ZN2at6native12_GLOBAL__N_124unique_dim_cuda_templateImEESt5tupleIJNS8_6TensorESD_SD_EERKSD_lbbbEUlllE1_EE10hipError_tPvRmT2_T3_mT4_P12ihipStream_tbEUlT_E_NS1_11comp_targetILNS1_3genE8ELNS1_11target_archE1030ELNS1_3gpuE2ELNS1_3repE0EEENS1_30default_config_static_selectorELNS0_4arch9wavefront6targetE1EEEvT1_
	.p2align	8
	.type	_ZN7rocprim17ROCPRIM_400000_NS6detail17trampoline_kernelINS0_14default_configENS1_35adjacent_difference_config_selectorILb0ElEEZNS1_24adjacent_difference_implIS3_Lb0ELb0EPlS7_ZN2at6native12_GLOBAL__N_124unique_dim_cuda_templateImEESt5tupleIJNS8_6TensorESD_SD_EERKSD_lbbbEUlllE1_EE10hipError_tPvRmT2_T3_mT4_P12ihipStream_tbEUlT_E_NS1_11comp_targetILNS1_3genE8ELNS1_11target_archE1030ELNS1_3gpuE2ELNS1_3repE0EEENS1_30default_config_static_selectorELNS0_4arch9wavefront6targetE1EEEvT1_,@function
_ZN7rocprim17ROCPRIM_400000_NS6detail17trampoline_kernelINS0_14default_configENS1_35adjacent_difference_config_selectorILb0ElEEZNS1_24adjacent_difference_implIS3_Lb0ELb0EPlS7_ZN2at6native12_GLOBAL__N_124unique_dim_cuda_templateImEESt5tupleIJNS8_6TensorESD_SD_EERKSD_lbbbEUlllE1_EE10hipError_tPvRmT2_T3_mT4_P12ihipStream_tbEUlT_E_NS1_11comp_targetILNS1_3genE8ELNS1_11target_archE1030ELNS1_3gpuE2ELNS1_3repE0EEENS1_30default_config_static_selectorELNS0_4arch9wavefront6targetE1EEEvT1_: ; @_ZN7rocprim17ROCPRIM_400000_NS6detail17trampoline_kernelINS0_14default_configENS1_35adjacent_difference_config_selectorILb0ElEEZNS1_24adjacent_difference_implIS3_Lb0ELb0EPlS7_ZN2at6native12_GLOBAL__N_124unique_dim_cuda_templateImEESt5tupleIJNS8_6TensorESD_SD_EERKSD_lbbbEUlllE1_EE10hipError_tPvRmT2_T3_mT4_P12ihipStream_tbEUlT_E_NS1_11comp_targetILNS1_3genE8ELNS1_11target_archE1030ELNS1_3gpuE2ELNS1_3repE0EEENS1_30default_config_static_selectorELNS0_4arch9wavefront6targetE1EEEvT1_
; %bb.0:
	.section	.rodata,"a",@progbits
	.p2align	6, 0x0
	.amdhsa_kernel _ZN7rocprim17ROCPRIM_400000_NS6detail17trampoline_kernelINS0_14default_configENS1_35adjacent_difference_config_selectorILb0ElEEZNS1_24adjacent_difference_implIS3_Lb0ELb0EPlS7_ZN2at6native12_GLOBAL__N_124unique_dim_cuda_templateImEESt5tupleIJNS8_6TensorESD_SD_EERKSD_lbbbEUlllE1_EE10hipError_tPvRmT2_T3_mT4_P12ihipStream_tbEUlT_E_NS1_11comp_targetILNS1_3genE8ELNS1_11target_archE1030ELNS1_3gpuE2ELNS1_3repE0EEENS1_30default_config_static_selectorELNS0_4arch9wavefront6targetE1EEEvT1_
		.amdhsa_group_segment_fixed_size 0
		.amdhsa_private_segment_fixed_size 0
		.amdhsa_kernarg_size 64
		.amdhsa_user_sgpr_count 6
		.amdhsa_user_sgpr_private_segment_buffer 1
		.amdhsa_user_sgpr_dispatch_ptr 0
		.amdhsa_user_sgpr_queue_ptr 0
		.amdhsa_user_sgpr_kernarg_segment_ptr 1
		.amdhsa_user_sgpr_dispatch_id 0
		.amdhsa_user_sgpr_flat_scratch_init 0
		.amdhsa_user_sgpr_kernarg_preload_length 0
		.amdhsa_user_sgpr_kernarg_preload_offset 0
		.amdhsa_user_sgpr_private_segment_size 0
		.amdhsa_uses_dynamic_stack 0
		.amdhsa_system_sgpr_private_segment_wavefront_offset 0
		.amdhsa_system_sgpr_workgroup_id_x 1
		.amdhsa_system_sgpr_workgroup_id_y 0
		.amdhsa_system_sgpr_workgroup_id_z 0
		.amdhsa_system_sgpr_workgroup_info 0
		.amdhsa_system_vgpr_workitem_id 0
		.amdhsa_next_free_vgpr 1
		.amdhsa_next_free_sgpr 0
		.amdhsa_accum_offset 4
		.amdhsa_reserve_vcc 0
		.amdhsa_reserve_flat_scratch 0
		.amdhsa_float_round_mode_32 0
		.amdhsa_float_round_mode_16_64 0
		.amdhsa_float_denorm_mode_32 3
		.amdhsa_float_denorm_mode_16_64 3
		.amdhsa_dx10_clamp 1
		.amdhsa_ieee_mode 1
		.amdhsa_fp16_overflow 0
		.amdhsa_tg_split 0
		.amdhsa_exception_fp_ieee_invalid_op 0
		.amdhsa_exception_fp_denorm_src 0
		.amdhsa_exception_fp_ieee_div_zero 0
		.amdhsa_exception_fp_ieee_overflow 0
		.amdhsa_exception_fp_ieee_underflow 0
		.amdhsa_exception_fp_ieee_inexact 0
		.amdhsa_exception_int_div_zero 0
	.end_amdhsa_kernel
	.section	.text._ZN7rocprim17ROCPRIM_400000_NS6detail17trampoline_kernelINS0_14default_configENS1_35adjacent_difference_config_selectorILb0ElEEZNS1_24adjacent_difference_implIS3_Lb0ELb0EPlS7_ZN2at6native12_GLOBAL__N_124unique_dim_cuda_templateImEESt5tupleIJNS8_6TensorESD_SD_EERKSD_lbbbEUlllE1_EE10hipError_tPvRmT2_T3_mT4_P12ihipStream_tbEUlT_E_NS1_11comp_targetILNS1_3genE8ELNS1_11target_archE1030ELNS1_3gpuE2ELNS1_3repE0EEENS1_30default_config_static_selectorELNS0_4arch9wavefront6targetE1EEEvT1_,"axG",@progbits,_ZN7rocprim17ROCPRIM_400000_NS6detail17trampoline_kernelINS0_14default_configENS1_35adjacent_difference_config_selectorILb0ElEEZNS1_24adjacent_difference_implIS3_Lb0ELb0EPlS7_ZN2at6native12_GLOBAL__N_124unique_dim_cuda_templateImEESt5tupleIJNS8_6TensorESD_SD_EERKSD_lbbbEUlllE1_EE10hipError_tPvRmT2_T3_mT4_P12ihipStream_tbEUlT_E_NS1_11comp_targetILNS1_3genE8ELNS1_11target_archE1030ELNS1_3gpuE2ELNS1_3repE0EEENS1_30default_config_static_selectorELNS0_4arch9wavefront6targetE1EEEvT1_,comdat
.Lfunc_end1643:
	.size	_ZN7rocprim17ROCPRIM_400000_NS6detail17trampoline_kernelINS0_14default_configENS1_35adjacent_difference_config_selectorILb0ElEEZNS1_24adjacent_difference_implIS3_Lb0ELb0EPlS7_ZN2at6native12_GLOBAL__N_124unique_dim_cuda_templateImEESt5tupleIJNS8_6TensorESD_SD_EERKSD_lbbbEUlllE1_EE10hipError_tPvRmT2_T3_mT4_P12ihipStream_tbEUlT_E_NS1_11comp_targetILNS1_3genE8ELNS1_11target_archE1030ELNS1_3gpuE2ELNS1_3repE0EEENS1_30default_config_static_selectorELNS0_4arch9wavefront6targetE1EEEvT1_, .Lfunc_end1643-_ZN7rocprim17ROCPRIM_400000_NS6detail17trampoline_kernelINS0_14default_configENS1_35adjacent_difference_config_selectorILb0ElEEZNS1_24adjacent_difference_implIS3_Lb0ELb0EPlS7_ZN2at6native12_GLOBAL__N_124unique_dim_cuda_templateImEESt5tupleIJNS8_6TensorESD_SD_EERKSD_lbbbEUlllE1_EE10hipError_tPvRmT2_T3_mT4_P12ihipStream_tbEUlT_E_NS1_11comp_targetILNS1_3genE8ELNS1_11target_archE1030ELNS1_3gpuE2ELNS1_3repE0EEENS1_30default_config_static_selectorELNS0_4arch9wavefront6targetE1EEEvT1_
                                        ; -- End function
	.section	.AMDGPU.csdata,"",@progbits
; Kernel info:
; codeLenInByte = 0
; NumSgprs: 4
; NumVgprs: 0
; NumAgprs: 0
; TotalNumVgprs: 0
; ScratchSize: 0
; MemoryBound: 0
; FloatMode: 240
; IeeeMode: 1
; LDSByteSize: 0 bytes/workgroup (compile time only)
; SGPRBlocks: 0
; VGPRBlocks: 0
; NumSGPRsForWavesPerEU: 4
; NumVGPRsForWavesPerEU: 1
; AccumOffset: 4
; Occupancy: 8
; WaveLimiterHint : 0
; COMPUTE_PGM_RSRC2:SCRATCH_EN: 0
; COMPUTE_PGM_RSRC2:USER_SGPR: 6
; COMPUTE_PGM_RSRC2:TRAP_HANDLER: 0
; COMPUTE_PGM_RSRC2:TGID_X_EN: 1
; COMPUTE_PGM_RSRC2:TGID_Y_EN: 0
; COMPUTE_PGM_RSRC2:TGID_Z_EN: 0
; COMPUTE_PGM_RSRC2:TIDIG_COMP_CNT: 0
; COMPUTE_PGM_RSRC3_GFX90A:ACCUM_OFFSET: 0
; COMPUTE_PGM_RSRC3_GFX90A:TG_SPLIT: 0
	.section	.text._ZN7rocprim17ROCPRIM_400000_NS6detail17trampoline_kernelINS0_14default_configENS1_25transform_config_selectorIlLb0EEEZNS1_14transform_implILb0ES3_S5_NS0_18transform_iteratorINS0_17counting_iteratorImlEEZNS1_24adjacent_difference_implIS3_Lb1ELb0EPlSB_ZN2at6native12_GLOBAL__N_124unique_dim_cuda_templateImEESt5tupleIJNSC_6TensorESH_SH_EERKSH_lbbbEUlllE1_EE10hipError_tPvRmT2_T3_mT4_P12ihipStream_tbEUlmE_lEESB_NS0_8identityIvEEEESM_SP_SQ_mSR_ST_bEUlT_E_NS1_11comp_targetILNS1_3genE0ELNS1_11target_archE4294967295ELNS1_3gpuE0ELNS1_3repE0EEENS1_30default_config_static_selectorELNS0_4arch9wavefront6targetE1EEEvT1_,"axG",@progbits,_ZN7rocprim17ROCPRIM_400000_NS6detail17trampoline_kernelINS0_14default_configENS1_25transform_config_selectorIlLb0EEEZNS1_14transform_implILb0ES3_S5_NS0_18transform_iteratorINS0_17counting_iteratorImlEEZNS1_24adjacent_difference_implIS3_Lb1ELb0EPlSB_ZN2at6native12_GLOBAL__N_124unique_dim_cuda_templateImEESt5tupleIJNSC_6TensorESH_SH_EERKSH_lbbbEUlllE1_EE10hipError_tPvRmT2_T3_mT4_P12ihipStream_tbEUlmE_lEESB_NS0_8identityIvEEEESM_SP_SQ_mSR_ST_bEUlT_E_NS1_11comp_targetILNS1_3genE0ELNS1_11target_archE4294967295ELNS1_3gpuE0ELNS1_3repE0EEENS1_30default_config_static_selectorELNS0_4arch9wavefront6targetE1EEEvT1_,comdat
	.globl	_ZN7rocprim17ROCPRIM_400000_NS6detail17trampoline_kernelINS0_14default_configENS1_25transform_config_selectorIlLb0EEEZNS1_14transform_implILb0ES3_S5_NS0_18transform_iteratorINS0_17counting_iteratorImlEEZNS1_24adjacent_difference_implIS3_Lb1ELb0EPlSB_ZN2at6native12_GLOBAL__N_124unique_dim_cuda_templateImEESt5tupleIJNSC_6TensorESH_SH_EERKSH_lbbbEUlllE1_EE10hipError_tPvRmT2_T3_mT4_P12ihipStream_tbEUlmE_lEESB_NS0_8identityIvEEEESM_SP_SQ_mSR_ST_bEUlT_E_NS1_11comp_targetILNS1_3genE0ELNS1_11target_archE4294967295ELNS1_3gpuE0ELNS1_3repE0EEENS1_30default_config_static_selectorELNS0_4arch9wavefront6targetE1EEEvT1_ ; -- Begin function _ZN7rocprim17ROCPRIM_400000_NS6detail17trampoline_kernelINS0_14default_configENS1_25transform_config_selectorIlLb0EEEZNS1_14transform_implILb0ES3_S5_NS0_18transform_iteratorINS0_17counting_iteratorImlEEZNS1_24adjacent_difference_implIS3_Lb1ELb0EPlSB_ZN2at6native12_GLOBAL__N_124unique_dim_cuda_templateImEESt5tupleIJNSC_6TensorESH_SH_EERKSH_lbbbEUlllE1_EE10hipError_tPvRmT2_T3_mT4_P12ihipStream_tbEUlmE_lEESB_NS0_8identityIvEEEESM_SP_SQ_mSR_ST_bEUlT_E_NS1_11comp_targetILNS1_3genE0ELNS1_11target_archE4294967295ELNS1_3gpuE0ELNS1_3repE0EEENS1_30default_config_static_selectorELNS0_4arch9wavefront6targetE1EEEvT1_
	.p2align	8
	.type	_ZN7rocprim17ROCPRIM_400000_NS6detail17trampoline_kernelINS0_14default_configENS1_25transform_config_selectorIlLb0EEEZNS1_14transform_implILb0ES3_S5_NS0_18transform_iteratorINS0_17counting_iteratorImlEEZNS1_24adjacent_difference_implIS3_Lb1ELb0EPlSB_ZN2at6native12_GLOBAL__N_124unique_dim_cuda_templateImEESt5tupleIJNSC_6TensorESH_SH_EERKSH_lbbbEUlllE1_EE10hipError_tPvRmT2_T3_mT4_P12ihipStream_tbEUlmE_lEESB_NS0_8identityIvEEEESM_SP_SQ_mSR_ST_bEUlT_E_NS1_11comp_targetILNS1_3genE0ELNS1_11target_archE4294967295ELNS1_3gpuE0ELNS1_3repE0EEENS1_30default_config_static_selectorELNS0_4arch9wavefront6targetE1EEEvT1_,@function
_ZN7rocprim17ROCPRIM_400000_NS6detail17trampoline_kernelINS0_14default_configENS1_25transform_config_selectorIlLb0EEEZNS1_14transform_implILb0ES3_S5_NS0_18transform_iteratorINS0_17counting_iteratorImlEEZNS1_24adjacent_difference_implIS3_Lb1ELb0EPlSB_ZN2at6native12_GLOBAL__N_124unique_dim_cuda_templateImEESt5tupleIJNSC_6TensorESH_SH_EERKSH_lbbbEUlllE1_EE10hipError_tPvRmT2_T3_mT4_P12ihipStream_tbEUlmE_lEESB_NS0_8identityIvEEEESM_SP_SQ_mSR_ST_bEUlT_E_NS1_11comp_targetILNS1_3genE0ELNS1_11target_archE4294967295ELNS1_3gpuE0ELNS1_3repE0EEENS1_30default_config_static_selectorELNS0_4arch9wavefront6targetE1EEEvT1_: ; @_ZN7rocprim17ROCPRIM_400000_NS6detail17trampoline_kernelINS0_14default_configENS1_25transform_config_selectorIlLb0EEEZNS1_14transform_implILb0ES3_S5_NS0_18transform_iteratorINS0_17counting_iteratorImlEEZNS1_24adjacent_difference_implIS3_Lb1ELb0EPlSB_ZN2at6native12_GLOBAL__N_124unique_dim_cuda_templateImEESt5tupleIJNSC_6TensorESH_SH_EERKSH_lbbbEUlllE1_EE10hipError_tPvRmT2_T3_mT4_P12ihipStream_tbEUlmE_lEESB_NS0_8identityIvEEEESM_SP_SQ_mSR_ST_bEUlT_E_NS1_11comp_targetILNS1_3genE0ELNS1_11target_archE4294967295ELNS1_3gpuE0ELNS1_3repE0EEENS1_30default_config_static_selectorELNS0_4arch9wavefront6targetE1EEEvT1_
; %bb.0:
	.section	.rodata,"a",@progbits
	.p2align	6, 0x0
	.amdhsa_kernel _ZN7rocprim17ROCPRIM_400000_NS6detail17trampoline_kernelINS0_14default_configENS1_25transform_config_selectorIlLb0EEEZNS1_14transform_implILb0ES3_S5_NS0_18transform_iteratorINS0_17counting_iteratorImlEEZNS1_24adjacent_difference_implIS3_Lb1ELb0EPlSB_ZN2at6native12_GLOBAL__N_124unique_dim_cuda_templateImEESt5tupleIJNSC_6TensorESH_SH_EERKSH_lbbbEUlllE1_EE10hipError_tPvRmT2_T3_mT4_P12ihipStream_tbEUlmE_lEESB_NS0_8identityIvEEEESM_SP_SQ_mSR_ST_bEUlT_E_NS1_11comp_targetILNS1_3genE0ELNS1_11target_archE4294967295ELNS1_3gpuE0ELNS1_3repE0EEENS1_30default_config_static_selectorELNS0_4arch9wavefront6targetE1EEEvT1_
		.amdhsa_group_segment_fixed_size 0
		.amdhsa_private_segment_fixed_size 0
		.amdhsa_kernarg_size 56
		.amdhsa_user_sgpr_count 6
		.amdhsa_user_sgpr_private_segment_buffer 1
		.amdhsa_user_sgpr_dispatch_ptr 0
		.amdhsa_user_sgpr_queue_ptr 0
		.amdhsa_user_sgpr_kernarg_segment_ptr 1
		.amdhsa_user_sgpr_dispatch_id 0
		.amdhsa_user_sgpr_flat_scratch_init 0
		.amdhsa_user_sgpr_kernarg_preload_length 0
		.amdhsa_user_sgpr_kernarg_preload_offset 0
		.amdhsa_user_sgpr_private_segment_size 0
		.amdhsa_uses_dynamic_stack 0
		.amdhsa_system_sgpr_private_segment_wavefront_offset 0
		.amdhsa_system_sgpr_workgroup_id_x 1
		.amdhsa_system_sgpr_workgroup_id_y 0
		.amdhsa_system_sgpr_workgroup_id_z 0
		.amdhsa_system_sgpr_workgroup_info 0
		.amdhsa_system_vgpr_workitem_id 0
		.amdhsa_next_free_vgpr 1
		.amdhsa_next_free_sgpr 0
		.amdhsa_accum_offset 4
		.amdhsa_reserve_vcc 0
		.amdhsa_reserve_flat_scratch 0
		.amdhsa_float_round_mode_32 0
		.amdhsa_float_round_mode_16_64 0
		.amdhsa_float_denorm_mode_32 3
		.amdhsa_float_denorm_mode_16_64 3
		.amdhsa_dx10_clamp 1
		.amdhsa_ieee_mode 1
		.amdhsa_fp16_overflow 0
		.amdhsa_tg_split 0
		.amdhsa_exception_fp_ieee_invalid_op 0
		.amdhsa_exception_fp_denorm_src 0
		.amdhsa_exception_fp_ieee_div_zero 0
		.amdhsa_exception_fp_ieee_overflow 0
		.amdhsa_exception_fp_ieee_underflow 0
		.amdhsa_exception_fp_ieee_inexact 0
		.amdhsa_exception_int_div_zero 0
	.end_amdhsa_kernel
	.section	.text._ZN7rocprim17ROCPRIM_400000_NS6detail17trampoline_kernelINS0_14default_configENS1_25transform_config_selectorIlLb0EEEZNS1_14transform_implILb0ES3_S5_NS0_18transform_iteratorINS0_17counting_iteratorImlEEZNS1_24adjacent_difference_implIS3_Lb1ELb0EPlSB_ZN2at6native12_GLOBAL__N_124unique_dim_cuda_templateImEESt5tupleIJNSC_6TensorESH_SH_EERKSH_lbbbEUlllE1_EE10hipError_tPvRmT2_T3_mT4_P12ihipStream_tbEUlmE_lEESB_NS0_8identityIvEEEESM_SP_SQ_mSR_ST_bEUlT_E_NS1_11comp_targetILNS1_3genE0ELNS1_11target_archE4294967295ELNS1_3gpuE0ELNS1_3repE0EEENS1_30default_config_static_selectorELNS0_4arch9wavefront6targetE1EEEvT1_,"axG",@progbits,_ZN7rocprim17ROCPRIM_400000_NS6detail17trampoline_kernelINS0_14default_configENS1_25transform_config_selectorIlLb0EEEZNS1_14transform_implILb0ES3_S5_NS0_18transform_iteratorINS0_17counting_iteratorImlEEZNS1_24adjacent_difference_implIS3_Lb1ELb0EPlSB_ZN2at6native12_GLOBAL__N_124unique_dim_cuda_templateImEESt5tupleIJNSC_6TensorESH_SH_EERKSH_lbbbEUlllE1_EE10hipError_tPvRmT2_T3_mT4_P12ihipStream_tbEUlmE_lEESB_NS0_8identityIvEEEESM_SP_SQ_mSR_ST_bEUlT_E_NS1_11comp_targetILNS1_3genE0ELNS1_11target_archE4294967295ELNS1_3gpuE0ELNS1_3repE0EEENS1_30default_config_static_selectorELNS0_4arch9wavefront6targetE1EEEvT1_,comdat
.Lfunc_end1644:
	.size	_ZN7rocprim17ROCPRIM_400000_NS6detail17trampoline_kernelINS0_14default_configENS1_25transform_config_selectorIlLb0EEEZNS1_14transform_implILb0ES3_S5_NS0_18transform_iteratorINS0_17counting_iteratorImlEEZNS1_24adjacent_difference_implIS3_Lb1ELb0EPlSB_ZN2at6native12_GLOBAL__N_124unique_dim_cuda_templateImEESt5tupleIJNSC_6TensorESH_SH_EERKSH_lbbbEUlllE1_EE10hipError_tPvRmT2_T3_mT4_P12ihipStream_tbEUlmE_lEESB_NS0_8identityIvEEEESM_SP_SQ_mSR_ST_bEUlT_E_NS1_11comp_targetILNS1_3genE0ELNS1_11target_archE4294967295ELNS1_3gpuE0ELNS1_3repE0EEENS1_30default_config_static_selectorELNS0_4arch9wavefront6targetE1EEEvT1_, .Lfunc_end1644-_ZN7rocprim17ROCPRIM_400000_NS6detail17trampoline_kernelINS0_14default_configENS1_25transform_config_selectorIlLb0EEEZNS1_14transform_implILb0ES3_S5_NS0_18transform_iteratorINS0_17counting_iteratorImlEEZNS1_24adjacent_difference_implIS3_Lb1ELb0EPlSB_ZN2at6native12_GLOBAL__N_124unique_dim_cuda_templateImEESt5tupleIJNSC_6TensorESH_SH_EERKSH_lbbbEUlllE1_EE10hipError_tPvRmT2_T3_mT4_P12ihipStream_tbEUlmE_lEESB_NS0_8identityIvEEEESM_SP_SQ_mSR_ST_bEUlT_E_NS1_11comp_targetILNS1_3genE0ELNS1_11target_archE4294967295ELNS1_3gpuE0ELNS1_3repE0EEENS1_30default_config_static_selectorELNS0_4arch9wavefront6targetE1EEEvT1_
                                        ; -- End function
	.section	.AMDGPU.csdata,"",@progbits
; Kernel info:
; codeLenInByte = 0
; NumSgprs: 4
; NumVgprs: 0
; NumAgprs: 0
; TotalNumVgprs: 0
; ScratchSize: 0
; MemoryBound: 0
; FloatMode: 240
; IeeeMode: 1
; LDSByteSize: 0 bytes/workgroup (compile time only)
; SGPRBlocks: 0
; VGPRBlocks: 0
; NumSGPRsForWavesPerEU: 4
; NumVGPRsForWavesPerEU: 1
; AccumOffset: 4
; Occupancy: 8
; WaveLimiterHint : 0
; COMPUTE_PGM_RSRC2:SCRATCH_EN: 0
; COMPUTE_PGM_RSRC2:USER_SGPR: 6
; COMPUTE_PGM_RSRC2:TRAP_HANDLER: 0
; COMPUTE_PGM_RSRC2:TGID_X_EN: 1
; COMPUTE_PGM_RSRC2:TGID_Y_EN: 0
; COMPUTE_PGM_RSRC2:TGID_Z_EN: 0
; COMPUTE_PGM_RSRC2:TIDIG_COMP_CNT: 0
; COMPUTE_PGM_RSRC3_GFX90A:ACCUM_OFFSET: 0
; COMPUTE_PGM_RSRC3_GFX90A:TG_SPLIT: 0
	.section	.text._ZN7rocprim17ROCPRIM_400000_NS6detail17trampoline_kernelINS0_14default_configENS1_25transform_config_selectorIlLb0EEEZNS1_14transform_implILb0ES3_S5_NS0_18transform_iteratorINS0_17counting_iteratorImlEEZNS1_24adjacent_difference_implIS3_Lb1ELb0EPlSB_ZN2at6native12_GLOBAL__N_124unique_dim_cuda_templateImEESt5tupleIJNSC_6TensorESH_SH_EERKSH_lbbbEUlllE1_EE10hipError_tPvRmT2_T3_mT4_P12ihipStream_tbEUlmE_lEESB_NS0_8identityIvEEEESM_SP_SQ_mSR_ST_bEUlT_E_NS1_11comp_targetILNS1_3genE5ELNS1_11target_archE942ELNS1_3gpuE9ELNS1_3repE0EEENS1_30default_config_static_selectorELNS0_4arch9wavefront6targetE1EEEvT1_,"axG",@progbits,_ZN7rocprim17ROCPRIM_400000_NS6detail17trampoline_kernelINS0_14default_configENS1_25transform_config_selectorIlLb0EEEZNS1_14transform_implILb0ES3_S5_NS0_18transform_iteratorINS0_17counting_iteratorImlEEZNS1_24adjacent_difference_implIS3_Lb1ELb0EPlSB_ZN2at6native12_GLOBAL__N_124unique_dim_cuda_templateImEESt5tupleIJNSC_6TensorESH_SH_EERKSH_lbbbEUlllE1_EE10hipError_tPvRmT2_T3_mT4_P12ihipStream_tbEUlmE_lEESB_NS0_8identityIvEEEESM_SP_SQ_mSR_ST_bEUlT_E_NS1_11comp_targetILNS1_3genE5ELNS1_11target_archE942ELNS1_3gpuE9ELNS1_3repE0EEENS1_30default_config_static_selectorELNS0_4arch9wavefront6targetE1EEEvT1_,comdat
	.globl	_ZN7rocprim17ROCPRIM_400000_NS6detail17trampoline_kernelINS0_14default_configENS1_25transform_config_selectorIlLb0EEEZNS1_14transform_implILb0ES3_S5_NS0_18transform_iteratorINS0_17counting_iteratorImlEEZNS1_24adjacent_difference_implIS3_Lb1ELb0EPlSB_ZN2at6native12_GLOBAL__N_124unique_dim_cuda_templateImEESt5tupleIJNSC_6TensorESH_SH_EERKSH_lbbbEUlllE1_EE10hipError_tPvRmT2_T3_mT4_P12ihipStream_tbEUlmE_lEESB_NS0_8identityIvEEEESM_SP_SQ_mSR_ST_bEUlT_E_NS1_11comp_targetILNS1_3genE5ELNS1_11target_archE942ELNS1_3gpuE9ELNS1_3repE0EEENS1_30default_config_static_selectorELNS0_4arch9wavefront6targetE1EEEvT1_ ; -- Begin function _ZN7rocprim17ROCPRIM_400000_NS6detail17trampoline_kernelINS0_14default_configENS1_25transform_config_selectorIlLb0EEEZNS1_14transform_implILb0ES3_S5_NS0_18transform_iteratorINS0_17counting_iteratorImlEEZNS1_24adjacent_difference_implIS3_Lb1ELb0EPlSB_ZN2at6native12_GLOBAL__N_124unique_dim_cuda_templateImEESt5tupleIJNSC_6TensorESH_SH_EERKSH_lbbbEUlllE1_EE10hipError_tPvRmT2_T3_mT4_P12ihipStream_tbEUlmE_lEESB_NS0_8identityIvEEEESM_SP_SQ_mSR_ST_bEUlT_E_NS1_11comp_targetILNS1_3genE5ELNS1_11target_archE942ELNS1_3gpuE9ELNS1_3repE0EEENS1_30default_config_static_selectorELNS0_4arch9wavefront6targetE1EEEvT1_
	.p2align	8
	.type	_ZN7rocprim17ROCPRIM_400000_NS6detail17trampoline_kernelINS0_14default_configENS1_25transform_config_selectorIlLb0EEEZNS1_14transform_implILb0ES3_S5_NS0_18transform_iteratorINS0_17counting_iteratorImlEEZNS1_24adjacent_difference_implIS3_Lb1ELb0EPlSB_ZN2at6native12_GLOBAL__N_124unique_dim_cuda_templateImEESt5tupleIJNSC_6TensorESH_SH_EERKSH_lbbbEUlllE1_EE10hipError_tPvRmT2_T3_mT4_P12ihipStream_tbEUlmE_lEESB_NS0_8identityIvEEEESM_SP_SQ_mSR_ST_bEUlT_E_NS1_11comp_targetILNS1_3genE5ELNS1_11target_archE942ELNS1_3gpuE9ELNS1_3repE0EEENS1_30default_config_static_selectorELNS0_4arch9wavefront6targetE1EEEvT1_,@function
_ZN7rocprim17ROCPRIM_400000_NS6detail17trampoline_kernelINS0_14default_configENS1_25transform_config_selectorIlLb0EEEZNS1_14transform_implILb0ES3_S5_NS0_18transform_iteratorINS0_17counting_iteratorImlEEZNS1_24adjacent_difference_implIS3_Lb1ELb0EPlSB_ZN2at6native12_GLOBAL__N_124unique_dim_cuda_templateImEESt5tupleIJNSC_6TensorESH_SH_EERKSH_lbbbEUlllE1_EE10hipError_tPvRmT2_T3_mT4_P12ihipStream_tbEUlmE_lEESB_NS0_8identityIvEEEESM_SP_SQ_mSR_ST_bEUlT_E_NS1_11comp_targetILNS1_3genE5ELNS1_11target_archE942ELNS1_3gpuE9ELNS1_3repE0EEENS1_30default_config_static_selectorELNS0_4arch9wavefront6targetE1EEEvT1_: ; @_ZN7rocprim17ROCPRIM_400000_NS6detail17trampoline_kernelINS0_14default_configENS1_25transform_config_selectorIlLb0EEEZNS1_14transform_implILb0ES3_S5_NS0_18transform_iteratorINS0_17counting_iteratorImlEEZNS1_24adjacent_difference_implIS3_Lb1ELb0EPlSB_ZN2at6native12_GLOBAL__N_124unique_dim_cuda_templateImEESt5tupleIJNSC_6TensorESH_SH_EERKSH_lbbbEUlllE1_EE10hipError_tPvRmT2_T3_mT4_P12ihipStream_tbEUlmE_lEESB_NS0_8identityIvEEEESM_SP_SQ_mSR_ST_bEUlT_E_NS1_11comp_targetILNS1_3genE5ELNS1_11target_archE942ELNS1_3gpuE9ELNS1_3repE0EEENS1_30default_config_static_selectorELNS0_4arch9wavefront6targetE1EEEvT1_
; %bb.0:
	.section	.rodata,"a",@progbits
	.p2align	6, 0x0
	.amdhsa_kernel _ZN7rocprim17ROCPRIM_400000_NS6detail17trampoline_kernelINS0_14default_configENS1_25transform_config_selectorIlLb0EEEZNS1_14transform_implILb0ES3_S5_NS0_18transform_iteratorINS0_17counting_iteratorImlEEZNS1_24adjacent_difference_implIS3_Lb1ELb0EPlSB_ZN2at6native12_GLOBAL__N_124unique_dim_cuda_templateImEESt5tupleIJNSC_6TensorESH_SH_EERKSH_lbbbEUlllE1_EE10hipError_tPvRmT2_T3_mT4_P12ihipStream_tbEUlmE_lEESB_NS0_8identityIvEEEESM_SP_SQ_mSR_ST_bEUlT_E_NS1_11comp_targetILNS1_3genE5ELNS1_11target_archE942ELNS1_3gpuE9ELNS1_3repE0EEENS1_30default_config_static_selectorELNS0_4arch9wavefront6targetE1EEEvT1_
		.amdhsa_group_segment_fixed_size 0
		.amdhsa_private_segment_fixed_size 0
		.amdhsa_kernarg_size 56
		.amdhsa_user_sgpr_count 6
		.amdhsa_user_sgpr_private_segment_buffer 1
		.amdhsa_user_sgpr_dispatch_ptr 0
		.amdhsa_user_sgpr_queue_ptr 0
		.amdhsa_user_sgpr_kernarg_segment_ptr 1
		.amdhsa_user_sgpr_dispatch_id 0
		.amdhsa_user_sgpr_flat_scratch_init 0
		.amdhsa_user_sgpr_kernarg_preload_length 0
		.amdhsa_user_sgpr_kernarg_preload_offset 0
		.amdhsa_user_sgpr_private_segment_size 0
		.amdhsa_uses_dynamic_stack 0
		.amdhsa_system_sgpr_private_segment_wavefront_offset 0
		.amdhsa_system_sgpr_workgroup_id_x 1
		.amdhsa_system_sgpr_workgroup_id_y 0
		.amdhsa_system_sgpr_workgroup_id_z 0
		.amdhsa_system_sgpr_workgroup_info 0
		.amdhsa_system_vgpr_workitem_id 0
		.amdhsa_next_free_vgpr 1
		.amdhsa_next_free_sgpr 0
		.amdhsa_accum_offset 4
		.amdhsa_reserve_vcc 0
		.amdhsa_reserve_flat_scratch 0
		.amdhsa_float_round_mode_32 0
		.amdhsa_float_round_mode_16_64 0
		.amdhsa_float_denorm_mode_32 3
		.amdhsa_float_denorm_mode_16_64 3
		.amdhsa_dx10_clamp 1
		.amdhsa_ieee_mode 1
		.amdhsa_fp16_overflow 0
		.amdhsa_tg_split 0
		.amdhsa_exception_fp_ieee_invalid_op 0
		.amdhsa_exception_fp_denorm_src 0
		.amdhsa_exception_fp_ieee_div_zero 0
		.amdhsa_exception_fp_ieee_overflow 0
		.amdhsa_exception_fp_ieee_underflow 0
		.amdhsa_exception_fp_ieee_inexact 0
		.amdhsa_exception_int_div_zero 0
	.end_amdhsa_kernel
	.section	.text._ZN7rocprim17ROCPRIM_400000_NS6detail17trampoline_kernelINS0_14default_configENS1_25transform_config_selectorIlLb0EEEZNS1_14transform_implILb0ES3_S5_NS0_18transform_iteratorINS0_17counting_iteratorImlEEZNS1_24adjacent_difference_implIS3_Lb1ELb0EPlSB_ZN2at6native12_GLOBAL__N_124unique_dim_cuda_templateImEESt5tupleIJNSC_6TensorESH_SH_EERKSH_lbbbEUlllE1_EE10hipError_tPvRmT2_T3_mT4_P12ihipStream_tbEUlmE_lEESB_NS0_8identityIvEEEESM_SP_SQ_mSR_ST_bEUlT_E_NS1_11comp_targetILNS1_3genE5ELNS1_11target_archE942ELNS1_3gpuE9ELNS1_3repE0EEENS1_30default_config_static_selectorELNS0_4arch9wavefront6targetE1EEEvT1_,"axG",@progbits,_ZN7rocprim17ROCPRIM_400000_NS6detail17trampoline_kernelINS0_14default_configENS1_25transform_config_selectorIlLb0EEEZNS1_14transform_implILb0ES3_S5_NS0_18transform_iteratorINS0_17counting_iteratorImlEEZNS1_24adjacent_difference_implIS3_Lb1ELb0EPlSB_ZN2at6native12_GLOBAL__N_124unique_dim_cuda_templateImEESt5tupleIJNSC_6TensorESH_SH_EERKSH_lbbbEUlllE1_EE10hipError_tPvRmT2_T3_mT4_P12ihipStream_tbEUlmE_lEESB_NS0_8identityIvEEEESM_SP_SQ_mSR_ST_bEUlT_E_NS1_11comp_targetILNS1_3genE5ELNS1_11target_archE942ELNS1_3gpuE9ELNS1_3repE0EEENS1_30default_config_static_selectorELNS0_4arch9wavefront6targetE1EEEvT1_,comdat
.Lfunc_end1645:
	.size	_ZN7rocprim17ROCPRIM_400000_NS6detail17trampoline_kernelINS0_14default_configENS1_25transform_config_selectorIlLb0EEEZNS1_14transform_implILb0ES3_S5_NS0_18transform_iteratorINS0_17counting_iteratorImlEEZNS1_24adjacent_difference_implIS3_Lb1ELb0EPlSB_ZN2at6native12_GLOBAL__N_124unique_dim_cuda_templateImEESt5tupleIJNSC_6TensorESH_SH_EERKSH_lbbbEUlllE1_EE10hipError_tPvRmT2_T3_mT4_P12ihipStream_tbEUlmE_lEESB_NS0_8identityIvEEEESM_SP_SQ_mSR_ST_bEUlT_E_NS1_11comp_targetILNS1_3genE5ELNS1_11target_archE942ELNS1_3gpuE9ELNS1_3repE0EEENS1_30default_config_static_selectorELNS0_4arch9wavefront6targetE1EEEvT1_, .Lfunc_end1645-_ZN7rocprim17ROCPRIM_400000_NS6detail17trampoline_kernelINS0_14default_configENS1_25transform_config_selectorIlLb0EEEZNS1_14transform_implILb0ES3_S5_NS0_18transform_iteratorINS0_17counting_iteratorImlEEZNS1_24adjacent_difference_implIS3_Lb1ELb0EPlSB_ZN2at6native12_GLOBAL__N_124unique_dim_cuda_templateImEESt5tupleIJNSC_6TensorESH_SH_EERKSH_lbbbEUlllE1_EE10hipError_tPvRmT2_T3_mT4_P12ihipStream_tbEUlmE_lEESB_NS0_8identityIvEEEESM_SP_SQ_mSR_ST_bEUlT_E_NS1_11comp_targetILNS1_3genE5ELNS1_11target_archE942ELNS1_3gpuE9ELNS1_3repE0EEENS1_30default_config_static_selectorELNS0_4arch9wavefront6targetE1EEEvT1_
                                        ; -- End function
	.section	.AMDGPU.csdata,"",@progbits
; Kernel info:
; codeLenInByte = 0
; NumSgprs: 4
; NumVgprs: 0
; NumAgprs: 0
; TotalNumVgprs: 0
; ScratchSize: 0
; MemoryBound: 0
; FloatMode: 240
; IeeeMode: 1
; LDSByteSize: 0 bytes/workgroup (compile time only)
; SGPRBlocks: 0
; VGPRBlocks: 0
; NumSGPRsForWavesPerEU: 4
; NumVGPRsForWavesPerEU: 1
; AccumOffset: 4
; Occupancy: 8
; WaveLimiterHint : 0
; COMPUTE_PGM_RSRC2:SCRATCH_EN: 0
; COMPUTE_PGM_RSRC2:USER_SGPR: 6
; COMPUTE_PGM_RSRC2:TRAP_HANDLER: 0
; COMPUTE_PGM_RSRC2:TGID_X_EN: 1
; COMPUTE_PGM_RSRC2:TGID_Y_EN: 0
; COMPUTE_PGM_RSRC2:TGID_Z_EN: 0
; COMPUTE_PGM_RSRC2:TIDIG_COMP_CNT: 0
; COMPUTE_PGM_RSRC3_GFX90A:ACCUM_OFFSET: 0
; COMPUTE_PGM_RSRC3_GFX90A:TG_SPLIT: 0
	.section	.text._ZN7rocprim17ROCPRIM_400000_NS6detail17trampoline_kernelINS0_14default_configENS1_25transform_config_selectorIlLb0EEEZNS1_14transform_implILb0ES3_S5_NS0_18transform_iteratorINS0_17counting_iteratorImlEEZNS1_24adjacent_difference_implIS3_Lb1ELb0EPlSB_ZN2at6native12_GLOBAL__N_124unique_dim_cuda_templateImEESt5tupleIJNSC_6TensorESH_SH_EERKSH_lbbbEUlllE1_EE10hipError_tPvRmT2_T3_mT4_P12ihipStream_tbEUlmE_lEESB_NS0_8identityIvEEEESM_SP_SQ_mSR_ST_bEUlT_E_NS1_11comp_targetILNS1_3genE4ELNS1_11target_archE910ELNS1_3gpuE8ELNS1_3repE0EEENS1_30default_config_static_selectorELNS0_4arch9wavefront6targetE1EEEvT1_,"axG",@progbits,_ZN7rocprim17ROCPRIM_400000_NS6detail17trampoline_kernelINS0_14default_configENS1_25transform_config_selectorIlLb0EEEZNS1_14transform_implILb0ES3_S5_NS0_18transform_iteratorINS0_17counting_iteratorImlEEZNS1_24adjacent_difference_implIS3_Lb1ELb0EPlSB_ZN2at6native12_GLOBAL__N_124unique_dim_cuda_templateImEESt5tupleIJNSC_6TensorESH_SH_EERKSH_lbbbEUlllE1_EE10hipError_tPvRmT2_T3_mT4_P12ihipStream_tbEUlmE_lEESB_NS0_8identityIvEEEESM_SP_SQ_mSR_ST_bEUlT_E_NS1_11comp_targetILNS1_3genE4ELNS1_11target_archE910ELNS1_3gpuE8ELNS1_3repE0EEENS1_30default_config_static_selectorELNS0_4arch9wavefront6targetE1EEEvT1_,comdat
	.globl	_ZN7rocprim17ROCPRIM_400000_NS6detail17trampoline_kernelINS0_14default_configENS1_25transform_config_selectorIlLb0EEEZNS1_14transform_implILb0ES3_S5_NS0_18transform_iteratorINS0_17counting_iteratorImlEEZNS1_24adjacent_difference_implIS3_Lb1ELb0EPlSB_ZN2at6native12_GLOBAL__N_124unique_dim_cuda_templateImEESt5tupleIJNSC_6TensorESH_SH_EERKSH_lbbbEUlllE1_EE10hipError_tPvRmT2_T3_mT4_P12ihipStream_tbEUlmE_lEESB_NS0_8identityIvEEEESM_SP_SQ_mSR_ST_bEUlT_E_NS1_11comp_targetILNS1_3genE4ELNS1_11target_archE910ELNS1_3gpuE8ELNS1_3repE0EEENS1_30default_config_static_selectorELNS0_4arch9wavefront6targetE1EEEvT1_ ; -- Begin function _ZN7rocprim17ROCPRIM_400000_NS6detail17trampoline_kernelINS0_14default_configENS1_25transform_config_selectorIlLb0EEEZNS1_14transform_implILb0ES3_S5_NS0_18transform_iteratorINS0_17counting_iteratorImlEEZNS1_24adjacent_difference_implIS3_Lb1ELb0EPlSB_ZN2at6native12_GLOBAL__N_124unique_dim_cuda_templateImEESt5tupleIJNSC_6TensorESH_SH_EERKSH_lbbbEUlllE1_EE10hipError_tPvRmT2_T3_mT4_P12ihipStream_tbEUlmE_lEESB_NS0_8identityIvEEEESM_SP_SQ_mSR_ST_bEUlT_E_NS1_11comp_targetILNS1_3genE4ELNS1_11target_archE910ELNS1_3gpuE8ELNS1_3repE0EEENS1_30default_config_static_selectorELNS0_4arch9wavefront6targetE1EEEvT1_
	.p2align	8
	.type	_ZN7rocprim17ROCPRIM_400000_NS6detail17trampoline_kernelINS0_14default_configENS1_25transform_config_selectorIlLb0EEEZNS1_14transform_implILb0ES3_S5_NS0_18transform_iteratorINS0_17counting_iteratorImlEEZNS1_24adjacent_difference_implIS3_Lb1ELb0EPlSB_ZN2at6native12_GLOBAL__N_124unique_dim_cuda_templateImEESt5tupleIJNSC_6TensorESH_SH_EERKSH_lbbbEUlllE1_EE10hipError_tPvRmT2_T3_mT4_P12ihipStream_tbEUlmE_lEESB_NS0_8identityIvEEEESM_SP_SQ_mSR_ST_bEUlT_E_NS1_11comp_targetILNS1_3genE4ELNS1_11target_archE910ELNS1_3gpuE8ELNS1_3repE0EEENS1_30default_config_static_selectorELNS0_4arch9wavefront6targetE1EEEvT1_,@function
_ZN7rocprim17ROCPRIM_400000_NS6detail17trampoline_kernelINS0_14default_configENS1_25transform_config_selectorIlLb0EEEZNS1_14transform_implILb0ES3_S5_NS0_18transform_iteratorINS0_17counting_iteratorImlEEZNS1_24adjacent_difference_implIS3_Lb1ELb0EPlSB_ZN2at6native12_GLOBAL__N_124unique_dim_cuda_templateImEESt5tupleIJNSC_6TensorESH_SH_EERKSH_lbbbEUlllE1_EE10hipError_tPvRmT2_T3_mT4_P12ihipStream_tbEUlmE_lEESB_NS0_8identityIvEEEESM_SP_SQ_mSR_ST_bEUlT_E_NS1_11comp_targetILNS1_3genE4ELNS1_11target_archE910ELNS1_3gpuE8ELNS1_3repE0EEENS1_30default_config_static_selectorELNS0_4arch9wavefront6targetE1EEEvT1_: ; @_ZN7rocprim17ROCPRIM_400000_NS6detail17trampoline_kernelINS0_14default_configENS1_25transform_config_selectorIlLb0EEEZNS1_14transform_implILb0ES3_S5_NS0_18transform_iteratorINS0_17counting_iteratorImlEEZNS1_24adjacent_difference_implIS3_Lb1ELb0EPlSB_ZN2at6native12_GLOBAL__N_124unique_dim_cuda_templateImEESt5tupleIJNSC_6TensorESH_SH_EERKSH_lbbbEUlllE1_EE10hipError_tPvRmT2_T3_mT4_P12ihipStream_tbEUlmE_lEESB_NS0_8identityIvEEEESM_SP_SQ_mSR_ST_bEUlT_E_NS1_11comp_targetILNS1_3genE4ELNS1_11target_archE910ELNS1_3gpuE8ELNS1_3repE0EEENS1_30default_config_static_selectorELNS0_4arch9wavefront6targetE1EEEvT1_
; %bb.0:
	s_load_dwordx4 s[0:3], s[4:5], 0x18
	s_load_dwordx2 s[14:15], s[4:5], 0x28
	s_load_dwordx4 s[8:11], s[4:5], 0x0
	s_load_dword s12, s[4:5], 0x10
	s_waitcnt lgkmcnt(0)
	s_load_dword s3, s[4:5], 0x38
                                        ; kill: killed $sgpr4_sgpr5
	s_lshl_b64 s[4:5], s[0:1], 3
	s_add_u32 s14, s14, s4
	s_addc_u32 s15, s15, s5
	s_lshl_b32 s4, s6, 9
	s_waitcnt lgkmcnt(0)
	s_add_i32 s3, s3, -1
	s_add_u32 s7, s8, s4
	s_addc_u32 s8, s9, 0
	s_add_u32 s16, s7, s0
	s_addc_u32 s17, s8, s1
	s_mov_b32 s5, 0
	s_cmp_lg_u32 s6, s3
	v_lshlrev_b32_e32 v1, 3, v0
	s_cbranch_scc0 .LBB1646_2
; %bb.1:
	v_mov_b32_e32 v2, s17
	v_add_co_u32_e32 v3, vcc, s16, v0
	v_addc_co_u32_e32 v5, vcc, 0, v2, vcc
	v_mad_u64_u32 v[2:3], s[0:1], v3, s12, 0
	v_mov_b32_e32 v4, v3
	v_mad_u64_u32 v[4:5], s[0:1], v5, s12, v[4:5]
	v_mov_b32_e32 v3, v4
	v_lshlrev_b64 v[2:3], 3, v[2:3]
	s_mov_b32 s13, s5
	v_mov_b32_e32 v4, s11
	v_add_co_u32_e32 v2, vcc, s10, v2
	v_addc_co_u32_e32 v3, vcc, v4, v3, vcc
	s_lshl_b64 s[0:1], s[12:13], 11
	global_load_dwordx2 v[8:9], v[2:3], off
	v_mov_b32_e32 v4, s1
	v_add_co_u32_e32 v2, vcc, s0, v2
	v_addc_co_u32_e32 v3, vcc, v3, v4, vcc
	global_load_dwordx2 v[4:5], v[2:3], off
	s_lshl_b64 s[6:7], s[4:5], 3
	s_add_u32 s6, s14, s6
	s_addc_u32 s7, s15, s7
	v_mov_b32_e32 v2, s7
	v_add_co_u32_e32 v6, vcc, s6, v1
	v_addc_co_u32_e32 v7, vcc, 0, v2, vcc
	s_waitcnt vmcnt(1)
	global_store_dwordx2 v1, v[8:9], s[6:7]
	s_mov_b64 s[6:7], -1
	s_cbranch_execz .LBB1646_3
	s_branch .LBB1646_12
.LBB1646_2:
	s_mov_b64 s[6:7], 0
                                        ; implicit-def: $vgpr4_vgpr5
                                        ; implicit-def: $vgpr6_vgpr7
.LBB1646_3:
	s_sub_i32 s8, s2, s4
	v_cmp_gt_u32_e32 vcc, s8, v0
                                        ; implicit-def: $vgpr2_vgpr3_vgpr4_vgpr5
	s_and_saveexec_b64 s[2:3], vcc
	s_cbranch_execz .LBB1646_5
; %bb.4:
	v_mov_b32_e32 v2, s17
	v_add_co_u32_e64 v3, s[0:1], s16, v0
	s_waitcnt vmcnt(1)
	v_addc_co_u32_e64 v5, s[0:1], 0, v2, s[0:1]
	v_mad_u64_u32 v[2:3], s[0:1], v3, s12, 0
	v_mov_b32_e32 v4, v3
	v_mad_u64_u32 v[4:5], s[0:1], v5, s12, v[4:5]
	v_mov_b32_e32 v3, v4
	v_lshlrev_b64 v[2:3], 3, v[2:3]
	v_mov_b32_e32 v4, s11
	v_add_co_u32_e64 v2, s[0:1], s10, v2
	v_addc_co_u32_e64 v3, s[0:1], v4, v3, s[0:1]
	global_load_dwordx2 v[2:3], v[2:3], off
.LBB1646_5:
	s_or_b64 exec, exec, s[2:3]
	v_or_b32_e32 v0, 0x100, v0
	v_cmp_gt_u32_e64 s[0:1], s8, v0
	s_and_saveexec_b64 s[8:9], s[0:1]
	s_cbranch_execz .LBB1646_7
; %bb.6:
	s_waitcnt vmcnt(1)
	v_mov_b32_e32 v4, s17
	v_add_co_u32_e64 v0, s[2:3], s16, v0
	v_addc_co_u32_e64 v6, s[2:3], 0, v4, s[2:3]
	v_mad_u64_u32 v[4:5], s[2:3], v0, s12, 0
	v_mov_b32_e32 v0, v5
	v_mad_u64_u32 v[6:7], s[2:3], v6, s12, v[0:1]
	v_mov_b32_e32 v5, v6
	v_lshlrev_b64 v[4:5], 3, v[4:5]
	v_mov_b32_e32 v0, s11
	v_add_co_u32_e64 v4, s[2:3], s10, v4
	v_addc_co_u32_e64 v5, s[2:3], v0, v5, s[2:3]
	global_load_dwordx2 v[4:5], v[4:5], off
.LBB1646_7:
	s_or_b64 exec, exec, s[8:9]
	s_lshl_b64 s[2:3], s[4:5], 3
	s_add_u32 s2, s14, s2
	s_addc_u32 s3, s15, s3
	v_mov_b32_e32 v0, s3
	v_add_co_u32_e64 v6, s[2:3], s2, v1
	v_addc_co_u32_e64 v7, s[2:3], 0, v0, s[2:3]
	s_and_saveexec_b64 s[2:3], vcc
	s_cbranch_execz .LBB1646_9
; %bb.8:
	s_waitcnt vmcnt(0)
	global_store_dwordx2 v[6:7], v[2:3], off
.LBB1646_9:
	s_or_b64 exec, exec, s[2:3]
	s_and_saveexec_b64 s[2:3], s[0:1]
; %bb.10:
	s_or_b64 s[6:7], s[6:7], exec
; %bb.11:
	s_or_b64 exec, exec, s[2:3]
.LBB1646_12:
	s_and_saveexec_b64 s[0:1], s[6:7]
	s_cbranch_execnz .LBB1646_14
; %bb.13:
	s_endpgm
.LBB1646_14:
	s_waitcnt vmcnt(0)
	global_store_dwordx2 v[6:7], v[4:5], off offset:2048
	s_endpgm
	.section	.rodata,"a",@progbits
	.p2align	6, 0x0
	.amdhsa_kernel _ZN7rocprim17ROCPRIM_400000_NS6detail17trampoline_kernelINS0_14default_configENS1_25transform_config_selectorIlLb0EEEZNS1_14transform_implILb0ES3_S5_NS0_18transform_iteratorINS0_17counting_iteratorImlEEZNS1_24adjacent_difference_implIS3_Lb1ELb0EPlSB_ZN2at6native12_GLOBAL__N_124unique_dim_cuda_templateImEESt5tupleIJNSC_6TensorESH_SH_EERKSH_lbbbEUlllE1_EE10hipError_tPvRmT2_T3_mT4_P12ihipStream_tbEUlmE_lEESB_NS0_8identityIvEEEESM_SP_SQ_mSR_ST_bEUlT_E_NS1_11comp_targetILNS1_3genE4ELNS1_11target_archE910ELNS1_3gpuE8ELNS1_3repE0EEENS1_30default_config_static_selectorELNS0_4arch9wavefront6targetE1EEEvT1_
		.amdhsa_group_segment_fixed_size 0
		.amdhsa_private_segment_fixed_size 0
		.amdhsa_kernarg_size 312
		.amdhsa_user_sgpr_count 6
		.amdhsa_user_sgpr_private_segment_buffer 1
		.amdhsa_user_sgpr_dispatch_ptr 0
		.amdhsa_user_sgpr_queue_ptr 0
		.amdhsa_user_sgpr_kernarg_segment_ptr 1
		.amdhsa_user_sgpr_dispatch_id 0
		.amdhsa_user_sgpr_flat_scratch_init 0
		.amdhsa_user_sgpr_kernarg_preload_length 0
		.amdhsa_user_sgpr_kernarg_preload_offset 0
		.amdhsa_user_sgpr_private_segment_size 0
		.amdhsa_uses_dynamic_stack 0
		.amdhsa_system_sgpr_private_segment_wavefront_offset 0
		.amdhsa_system_sgpr_workgroup_id_x 1
		.amdhsa_system_sgpr_workgroup_id_y 0
		.amdhsa_system_sgpr_workgroup_id_z 0
		.amdhsa_system_sgpr_workgroup_info 0
		.amdhsa_system_vgpr_workitem_id 0
		.amdhsa_next_free_vgpr 10
		.amdhsa_next_free_sgpr 18
		.amdhsa_accum_offset 12
		.amdhsa_reserve_vcc 1
		.amdhsa_reserve_flat_scratch 0
		.amdhsa_float_round_mode_32 0
		.amdhsa_float_round_mode_16_64 0
		.amdhsa_float_denorm_mode_32 3
		.amdhsa_float_denorm_mode_16_64 3
		.amdhsa_dx10_clamp 1
		.amdhsa_ieee_mode 1
		.amdhsa_fp16_overflow 0
		.amdhsa_tg_split 0
		.amdhsa_exception_fp_ieee_invalid_op 0
		.amdhsa_exception_fp_denorm_src 0
		.amdhsa_exception_fp_ieee_div_zero 0
		.amdhsa_exception_fp_ieee_overflow 0
		.amdhsa_exception_fp_ieee_underflow 0
		.amdhsa_exception_fp_ieee_inexact 0
		.amdhsa_exception_int_div_zero 0
	.end_amdhsa_kernel
	.section	.text._ZN7rocprim17ROCPRIM_400000_NS6detail17trampoline_kernelINS0_14default_configENS1_25transform_config_selectorIlLb0EEEZNS1_14transform_implILb0ES3_S5_NS0_18transform_iteratorINS0_17counting_iteratorImlEEZNS1_24adjacent_difference_implIS3_Lb1ELb0EPlSB_ZN2at6native12_GLOBAL__N_124unique_dim_cuda_templateImEESt5tupleIJNSC_6TensorESH_SH_EERKSH_lbbbEUlllE1_EE10hipError_tPvRmT2_T3_mT4_P12ihipStream_tbEUlmE_lEESB_NS0_8identityIvEEEESM_SP_SQ_mSR_ST_bEUlT_E_NS1_11comp_targetILNS1_3genE4ELNS1_11target_archE910ELNS1_3gpuE8ELNS1_3repE0EEENS1_30default_config_static_selectorELNS0_4arch9wavefront6targetE1EEEvT1_,"axG",@progbits,_ZN7rocprim17ROCPRIM_400000_NS6detail17trampoline_kernelINS0_14default_configENS1_25transform_config_selectorIlLb0EEEZNS1_14transform_implILb0ES3_S5_NS0_18transform_iteratorINS0_17counting_iteratorImlEEZNS1_24adjacent_difference_implIS3_Lb1ELb0EPlSB_ZN2at6native12_GLOBAL__N_124unique_dim_cuda_templateImEESt5tupleIJNSC_6TensorESH_SH_EERKSH_lbbbEUlllE1_EE10hipError_tPvRmT2_T3_mT4_P12ihipStream_tbEUlmE_lEESB_NS0_8identityIvEEEESM_SP_SQ_mSR_ST_bEUlT_E_NS1_11comp_targetILNS1_3genE4ELNS1_11target_archE910ELNS1_3gpuE8ELNS1_3repE0EEENS1_30default_config_static_selectorELNS0_4arch9wavefront6targetE1EEEvT1_,comdat
.Lfunc_end1646:
	.size	_ZN7rocprim17ROCPRIM_400000_NS6detail17trampoline_kernelINS0_14default_configENS1_25transform_config_selectorIlLb0EEEZNS1_14transform_implILb0ES3_S5_NS0_18transform_iteratorINS0_17counting_iteratorImlEEZNS1_24adjacent_difference_implIS3_Lb1ELb0EPlSB_ZN2at6native12_GLOBAL__N_124unique_dim_cuda_templateImEESt5tupleIJNSC_6TensorESH_SH_EERKSH_lbbbEUlllE1_EE10hipError_tPvRmT2_T3_mT4_P12ihipStream_tbEUlmE_lEESB_NS0_8identityIvEEEESM_SP_SQ_mSR_ST_bEUlT_E_NS1_11comp_targetILNS1_3genE4ELNS1_11target_archE910ELNS1_3gpuE8ELNS1_3repE0EEENS1_30default_config_static_selectorELNS0_4arch9wavefront6targetE1EEEvT1_, .Lfunc_end1646-_ZN7rocprim17ROCPRIM_400000_NS6detail17trampoline_kernelINS0_14default_configENS1_25transform_config_selectorIlLb0EEEZNS1_14transform_implILb0ES3_S5_NS0_18transform_iteratorINS0_17counting_iteratorImlEEZNS1_24adjacent_difference_implIS3_Lb1ELb0EPlSB_ZN2at6native12_GLOBAL__N_124unique_dim_cuda_templateImEESt5tupleIJNSC_6TensorESH_SH_EERKSH_lbbbEUlllE1_EE10hipError_tPvRmT2_T3_mT4_P12ihipStream_tbEUlmE_lEESB_NS0_8identityIvEEEESM_SP_SQ_mSR_ST_bEUlT_E_NS1_11comp_targetILNS1_3genE4ELNS1_11target_archE910ELNS1_3gpuE8ELNS1_3repE0EEENS1_30default_config_static_selectorELNS0_4arch9wavefront6targetE1EEEvT1_
                                        ; -- End function
	.section	.AMDGPU.csdata,"",@progbits
; Kernel info:
; codeLenInByte = 556
; NumSgprs: 22
; NumVgprs: 10
; NumAgprs: 0
; TotalNumVgprs: 10
; ScratchSize: 0
; MemoryBound: 0
; FloatMode: 240
; IeeeMode: 1
; LDSByteSize: 0 bytes/workgroup (compile time only)
; SGPRBlocks: 2
; VGPRBlocks: 1
; NumSGPRsForWavesPerEU: 22
; NumVGPRsForWavesPerEU: 10
; AccumOffset: 12
; Occupancy: 8
; WaveLimiterHint : 0
; COMPUTE_PGM_RSRC2:SCRATCH_EN: 0
; COMPUTE_PGM_RSRC2:USER_SGPR: 6
; COMPUTE_PGM_RSRC2:TRAP_HANDLER: 0
; COMPUTE_PGM_RSRC2:TGID_X_EN: 1
; COMPUTE_PGM_RSRC2:TGID_Y_EN: 0
; COMPUTE_PGM_RSRC2:TGID_Z_EN: 0
; COMPUTE_PGM_RSRC2:TIDIG_COMP_CNT: 0
; COMPUTE_PGM_RSRC3_GFX90A:ACCUM_OFFSET: 2
; COMPUTE_PGM_RSRC3_GFX90A:TG_SPLIT: 0
	.section	.text._ZN7rocprim17ROCPRIM_400000_NS6detail17trampoline_kernelINS0_14default_configENS1_25transform_config_selectorIlLb0EEEZNS1_14transform_implILb0ES3_S5_NS0_18transform_iteratorINS0_17counting_iteratorImlEEZNS1_24adjacent_difference_implIS3_Lb1ELb0EPlSB_ZN2at6native12_GLOBAL__N_124unique_dim_cuda_templateImEESt5tupleIJNSC_6TensorESH_SH_EERKSH_lbbbEUlllE1_EE10hipError_tPvRmT2_T3_mT4_P12ihipStream_tbEUlmE_lEESB_NS0_8identityIvEEEESM_SP_SQ_mSR_ST_bEUlT_E_NS1_11comp_targetILNS1_3genE3ELNS1_11target_archE908ELNS1_3gpuE7ELNS1_3repE0EEENS1_30default_config_static_selectorELNS0_4arch9wavefront6targetE1EEEvT1_,"axG",@progbits,_ZN7rocprim17ROCPRIM_400000_NS6detail17trampoline_kernelINS0_14default_configENS1_25transform_config_selectorIlLb0EEEZNS1_14transform_implILb0ES3_S5_NS0_18transform_iteratorINS0_17counting_iteratorImlEEZNS1_24adjacent_difference_implIS3_Lb1ELb0EPlSB_ZN2at6native12_GLOBAL__N_124unique_dim_cuda_templateImEESt5tupleIJNSC_6TensorESH_SH_EERKSH_lbbbEUlllE1_EE10hipError_tPvRmT2_T3_mT4_P12ihipStream_tbEUlmE_lEESB_NS0_8identityIvEEEESM_SP_SQ_mSR_ST_bEUlT_E_NS1_11comp_targetILNS1_3genE3ELNS1_11target_archE908ELNS1_3gpuE7ELNS1_3repE0EEENS1_30default_config_static_selectorELNS0_4arch9wavefront6targetE1EEEvT1_,comdat
	.globl	_ZN7rocprim17ROCPRIM_400000_NS6detail17trampoline_kernelINS0_14default_configENS1_25transform_config_selectorIlLb0EEEZNS1_14transform_implILb0ES3_S5_NS0_18transform_iteratorINS0_17counting_iteratorImlEEZNS1_24adjacent_difference_implIS3_Lb1ELb0EPlSB_ZN2at6native12_GLOBAL__N_124unique_dim_cuda_templateImEESt5tupleIJNSC_6TensorESH_SH_EERKSH_lbbbEUlllE1_EE10hipError_tPvRmT2_T3_mT4_P12ihipStream_tbEUlmE_lEESB_NS0_8identityIvEEEESM_SP_SQ_mSR_ST_bEUlT_E_NS1_11comp_targetILNS1_3genE3ELNS1_11target_archE908ELNS1_3gpuE7ELNS1_3repE0EEENS1_30default_config_static_selectorELNS0_4arch9wavefront6targetE1EEEvT1_ ; -- Begin function _ZN7rocprim17ROCPRIM_400000_NS6detail17trampoline_kernelINS0_14default_configENS1_25transform_config_selectorIlLb0EEEZNS1_14transform_implILb0ES3_S5_NS0_18transform_iteratorINS0_17counting_iteratorImlEEZNS1_24adjacent_difference_implIS3_Lb1ELb0EPlSB_ZN2at6native12_GLOBAL__N_124unique_dim_cuda_templateImEESt5tupleIJNSC_6TensorESH_SH_EERKSH_lbbbEUlllE1_EE10hipError_tPvRmT2_T3_mT4_P12ihipStream_tbEUlmE_lEESB_NS0_8identityIvEEEESM_SP_SQ_mSR_ST_bEUlT_E_NS1_11comp_targetILNS1_3genE3ELNS1_11target_archE908ELNS1_3gpuE7ELNS1_3repE0EEENS1_30default_config_static_selectorELNS0_4arch9wavefront6targetE1EEEvT1_
	.p2align	8
	.type	_ZN7rocprim17ROCPRIM_400000_NS6detail17trampoline_kernelINS0_14default_configENS1_25transform_config_selectorIlLb0EEEZNS1_14transform_implILb0ES3_S5_NS0_18transform_iteratorINS0_17counting_iteratorImlEEZNS1_24adjacent_difference_implIS3_Lb1ELb0EPlSB_ZN2at6native12_GLOBAL__N_124unique_dim_cuda_templateImEESt5tupleIJNSC_6TensorESH_SH_EERKSH_lbbbEUlllE1_EE10hipError_tPvRmT2_T3_mT4_P12ihipStream_tbEUlmE_lEESB_NS0_8identityIvEEEESM_SP_SQ_mSR_ST_bEUlT_E_NS1_11comp_targetILNS1_3genE3ELNS1_11target_archE908ELNS1_3gpuE7ELNS1_3repE0EEENS1_30default_config_static_selectorELNS0_4arch9wavefront6targetE1EEEvT1_,@function
_ZN7rocprim17ROCPRIM_400000_NS6detail17trampoline_kernelINS0_14default_configENS1_25transform_config_selectorIlLb0EEEZNS1_14transform_implILb0ES3_S5_NS0_18transform_iteratorINS0_17counting_iteratorImlEEZNS1_24adjacent_difference_implIS3_Lb1ELb0EPlSB_ZN2at6native12_GLOBAL__N_124unique_dim_cuda_templateImEESt5tupleIJNSC_6TensorESH_SH_EERKSH_lbbbEUlllE1_EE10hipError_tPvRmT2_T3_mT4_P12ihipStream_tbEUlmE_lEESB_NS0_8identityIvEEEESM_SP_SQ_mSR_ST_bEUlT_E_NS1_11comp_targetILNS1_3genE3ELNS1_11target_archE908ELNS1_3gpuE7ELNS1_3repE0EEENS1_30default_config_static_selectorELNS0_4arch9wavefront6targetE1EEEvT1_: ; @_ZN7rocprim17ROCPRIM_400000_NS6detail17trampoline_kernelINS0_14default_configENS1_25transform_config_selectorIlLb0EEEZNS1_14transform_implILb0ES3_S5_NS0_18transform_iteratorINS0_17counting_iteratorImlEEZNS1_24adjacent_difference_implIS3_Lb1ELb0EPlSB_ZN2at6native12_GLOBAL__N_124unique_dim_cuda_templateImEESt5tupleIJNSC_6TensorESH_SH_EERKSH_lbbbEUlllE1_EE10hipError_tPvRmT2_T3_mT4_P12ihipStream_tbEUlmE_lEESB_NS0_8identityIvEEEESM_SP_SQ_mSR_ST_bEUlT_E_NS1_11comp_targetILNS1_3genE3ELNS1_11target_archE908ELNS1_3gpuE7ELNS1_3repE0EEENS1_30default_config_static_selectorELNS0_4arch9wavefront6targetE1EEEvT1_
; %bb.0:
	.section	.rodata,"a",@progbits
	.p2align	6, 0x0
	.amdhsa_kernel _ZN7rocprim17ROCPRIM_400000_NS6detail17trampoline_kernelINS0_14default_configENS1_25transform_config_selectorIlLb0EEEZNS1_14transform_implILb0ES3_S5_NS0_18transform_iteratorINS0_17counting_iteratorImlEEZNS1_24adjacent_difference_implIS3_Lb1ELb0EPlSB_ZN2at6native12_GLOBAL__N_124unique_dim_cuda_templateImEESt5tupleIJNSC_6TensorESH_SH_EERKSH_lbbbEUlllE1_EE10hipError_tPvRmT2_T3_mT4_P12ihipStream_tbEUlmE_lEESB_NS0_8identityIvEEEESM_SP_SQ_mSR_ST_bEUlT_E_NS1_11comp_targetILNS1_3genE3ELNS1_11target_archE908ELNS1_3gpuE7ELNS1_3repE0EEENS1_30default_config_static_selectorELNS0_4arch9wavefront6targetE1EEEvT1_
		.amdhsa_group_segment_fixed_size 0
		.amdhsa_private_segment_fixed_size 0
		.amdhsa_kernarg_size 56
		.amdhsa_user_sgpr_count 6
		.amdhsa_user_sgpr_private_segment_buffer 1
		.amdhsa_user_sgpr_dispatch_ptr 0
		.amdhsa_user_sgpr_queue_ptr 0
		.amdhsa_user_sgpr_kernarg_segment_ptr 1
		.amdhsa_user_sgpr_dispatch_id 0
		.amdhsa_user_sgpr_flat_scratch_init 0
		.amdhsa_user_sgpr_kernarg_preload_length 0
		.amdhsa_user_sgpr_kernarg_preload_offset 0
		.amdhsa_user_sgpr_private_segment_size 0
		.amdhsa_uses_dynamic_stack 0
		.amdhsa_system_sgpr_private_segment_wavefront_offset 0
		.amdhsa_system_sgpr_workgroup_id_x 1
		.amdhsa_system_sgpr_workgroup_id_y 0
		.amdhsa_system_sgpr_workgroup_id_z 0
		.amdhsa_system_sgpr_workgroup_info 0
		.amdhsa_system_vgpr_workitem_id 0
		.amdhsa_next_free_vgpr 1
		.amdhsa_next_free_sgpr 0
		.amdhsa_accum_offset 4
		.amdhsa_reserve_vcc 0
		.amdhsa_reserve_flat_scratch 0
		.amdhsa_float_round_mode_32 0
		.amdhsa_float_round_mode_16_64 0
		.amdhsa_float_denorm_mode_32 3
		.amdhsa_float_denorm_mode_16_64 3
		.amdhsa_dx10_clamp 1
		.amdhsa_ieee_mode 1
		.amdhsa_fp16_overflow 0
		.amdhsa_tg_split 0
		.amdhsa_exception_fp_ieee_invalid_op 0
		.amdhsa_exception_fp_denorm_src 0
		.amdhsa_exception_fp_ieee_div_zero 0
		.amdhsa_exception_fp_ieee_overflow 0
		.amdhsa_exception_fp_ieee_underflow 0
		.amdhsa_exception_fp_ieee_inexact 0
		.amdhsa_exception_int_div_zero 0
	.end_amdhsa_kernel
	.section	.text._ZN7rocprim17ROCPRIM_400000_NS6detail17trampoline_kernelINS0_14default_configENS1_25transform_config_selectorIlLb0EEEZNS1_14transform_implILb0ES3_S5_NS0_18transform_iteratorINS0_17counting_iteratorImlEEZNS1_24adjacent_difference_implIS3_Lb1ELb0EPlSB_ZN2at6native12_GLOBAL__N_124unique_dim_cuda_templateImEESt5tupleIJNSC_6TensorESH_SH_EERKSH_lbbbEUlllE1_EE10hipError_tPvRmT2_T3_mT4_P12ihipStream_tbEUlmE_lEESB_NS0_8identityIvEEEESM_SP_SQ_mSR_ST_bEUlT_E_NS1_11comp_targetILNS1_3genE3ELNS1_11target_archE908ELNS1_3gpuE7ELNS1_3repE0EEENS1_30default_config_static_selectorELNS0_4arch9wavefront6targetE1EEEvT1_,"axG",@progbits,_ZN7rocprim17ROCPRIM_400000_NS6detail17trampoline_kernelINS0_14default_configENS1_25transform_config_selectorIlLb0EEEZNS1_14transform_implILb0ES3_S5_NS0_18transform_iteratorINS0_17counting_iteratorImlEEZNS1_24adjacent_difference_implIS3_Lb1ELb0EPlSB_ZN2at6native12_GLOBAL__N_124unique_dim_cuda_templateImEESt5tupleIJNSC_6TensorESH_SH_EERKSH_lbbbEUlllE1_EE10hipError_tPvRmT2_T3_mT4_P12ihipStream_tbEUlmE_lEESB_NS0_8identityIvEEEESM_SP_SQ_mSR_ST_bEUlT_E_NS1_11comp_targetILNS1_3genE3ELNS1_11target_archE908ELNS1_3gpuE7ELNS1_3repE0EEENS1_30default_config_static_selectorELNS0_4arch9wavefront6targetE1EEEvT1_,comdat
.Lfunc_end1647:
	.size	_ZN7rocprim17ROCPRIM_400000_NS6detail17trampoline_kernelINS0_14default_configENS1_25transform_config_selectorIlLb0EEEZNS1_14transform_implILb0ES3_S5_NS0_18transform_iteratorINS0_17counting_iteratorImlEEZNS1_24adjacent_difference_implIS3_Lb1ELb0EPlSB_ZN2at6native12_GLOBAL__N_124unique_dim_cuda_templateImEESt5tupleIJNSC_6TensorESH_SH_EERKSH_lbbbEUlllE1_EE10hipError_tPvRmT2_T3_mT4_P12ihipStream_tbEUlmE_lEESB_NS0_8identityIvEEEESM_SP_SQ_mSR_ST_bEUlT_E_NS1_11comp_targetILNS1_3genE3ELNS1_11target_archE908ELNS1_3gpuE7ELNS1_3repE0EEENS1_30default_config_static_selectorELNS0_4arch9wavefront6targetE1EEEvT1_, .Lfunc_end1647-_ZN7rocprim17ROCPRIM_400000_NS6detail17trampoline_kernelINS0_14default_configENS1_25transform_config_selectorIlLb0EEEZNS1_14transform_implILb0ES3_S5_NS0_18transform_iteratorINS0_17counting_iteratorImlEEZNS1_24adjacent_difference_implIS3_Lb1ELb0EPlSB_ZN2at6native12_GLOBAL__N_124unique_dim_cuda_templateImEESt5tupleIJNSC_6TensorESH_SH_EERKSH_lbbbEUlllE1_EE10hipError_tPvRmT2_T3_mT4_P12ihipStream_tbEUlmE_lEESB_NS0_8identityIvEEEESM_SP_SQ_mSR_ST_bEUlT_E_NS1_11comp_targetILNS1_3genE3ELNS1_11target_archE908ELNS1_3gpuE7ELNS1_3repE0EEENS1_30default_config_static_selectorELNS0_4arch9wavefront6targetE1EEEvT1_
                                        ; -- End function
	.section	.AMDGPU.csdata,"",@progbits
; Kernel info:
; codeLenInByte = 0
; NumSgprs: 4
; NumVgprs: 0
; NumAgprs: 0
; TotalNumVgprs: 0
; ScratchSize: 0
; MemoryBound: 0
; FloatMode: 240
; IeeeMode: 1
; LDSByteSize: 0 bytes/workgroup (compile time only)
; SGPRBlocks: 0
; VGPRBlocks: 0
; NumSGPRsForWavesPerEU: 4
; NumVGPRsForWavesPerEU: 1
; AccumOffset: 4
; Occupancy: 8
; WaveLimiterHint : 0
; COMPUTE_PGM_RSRC2:SCRATCH_EN: 0
; COMPUTE_PGM_RSRC2:USER_SGPR: 6
; COMPUTE_PGM_RSRC2:TRAP_HANDLER: 0
; COMPUTE_PGM_RSRC2:TGID_X_EN: 1
; COMPUTE_PGM_RSRC2:TGID_Y_EN: 0
; COMPUTE_PGM_RSRC2:TGID_Z_EN: 0
; COMPUTE_PGM_RSRC2:TIDIG_COMP_CNT: 0
; COMPUTE_PGM_RSRC3_GFX90A:ACCUM_OFFSET: 0
; COMPUTE_PGM_RSRC3_GFX90A:TG_SPLIT: 0
	.section	.text._ZN7rocprim17ROCPRIM_400000_NS6detail17trampoline_kernelINS0_14default_configENS1_25transform_config_selectorIlLb0EEEZNS1_14transform_implILb0ES3_S5_NS0_18transform_iteratorINS0_17counting_iteratorImlEEZNS1_24adjacent_difference_implIS3_Lb1ELb0EPlSB_ZN2at6native12_GLOBAL__N_124unique_dim_cuda_templateImEESt5tupleIJNSC_6TensorESH_SH_EERKSH_lbbbEUlllE1_EE10hipError_tPvRmT2_T3_mT4_P12ihipStream_tbEUlmE_lEESB_NS0_8identityIvEEEESM_SP_SQ_mSR_ST_bEUlT_E_NS1_11comp_targetILNS1_3genE2ELNS1_11target_archE906ELNS1_3gpuE6ELNS1_3repE0EEENS1_30default_config_static_selectorELNS0_4arch9wavefront6targetE1EEEvT1_,"axG",@progbits,_ZN7rocprim17ROCPRIM_400000_NS6detail17trampoline_kernelINS0_14default_configENS1_25transform_config_selectorIlLb0EEEZNS1_14transform_implILb0ES3_S5_NS0_18transform_iteratorINS0_17counting_iteratorImlEEZNS1_24adjacent_difference_implIS3_Lb1ELb0EPlSB_ZN2at6native12_GLOBAL__N_124unique_dim_cuda_templateImEESt5tupleIJNSC_6TensorESH_SH_EERKSH_lbbbEUlllE1_EE10hipError_tPvRmT2_T3_mT4_P12ihipStream_tbEUlmE_lEESB_NS0_8identityIvEEEESM_SP_SQ_mSR_ST_bEUlT_E_NS1_11comp_targetILNS1_3genE2ELNS1_11target_archE906ELNS1_3gpuE6ELNS1_3repE0EEENS1_30default_config_static_selectorELNS0_4arch9wavefront6targetE1EEEvT1_,comdat
	.globl	_ZN7rocprim17ROCPRIM_400000_NS6detail17trampoline_kernelINS0_14default_configENS1_25transform_config_selectorIlLb0EEEZNS1_14transform_implILb0ES3_S5_NS0_18transform_iteratorINS0_17counting_iteratorImlEEZNS1_24adjacent_difference_implIS3_Lb1ELb0EPlSB_ZN2at6native12_GLOBAL__N_124unique_dim_cuda_templateImEESt5tupleIJNSC_6TensorESH_SH_EERKSH_lbbbEUlllE1_EE10hipError_tPvRmT2_T3_mT4_P12ihipStream_tbEUlmE_lEESB_NS0_8identityIvEEEESM_SP_SQ_mSR_ST_bEUlT_E_NS1_11comp_targetILNS1_3genE2ELNS1_11target_archE906ELNS1_3gpuE6ELNS1_3repE0EEENS1_30default_config_static_selectorELNS0_4arch9wavefront6targetE1EEEvT1_ ; -- Begin function _ZN7rocprim17ROCPRIM_400000_NS6detail17trampoline_kernelINS0_14default_configENS1_25transform_config_selectorIlLb0EEEZNS1_14transform_implILb0ES3_S5_NS0_18transform_iteratorINS0_17counting_iteratorImlEEZNS1_24adjacent_difference_implIS3_Lb1ELb0EPlSB_ZN2at6native12_GLOBAL__N_124unique_dim_cuda_templateImEESt5tupleIJNSC_6TensorESH_SH_EERKSH_lbbbEUlllE1_EE10hipError_tPvRmT2_T3_mT4_P12ihipStream_tbEUlmE_lEESB_NS0_8identityIvEEEESM_SP_SQ_mSR_ST_bEUlT_E_NS1_11comp_targetILNS1_3genE2ELNS1_11target_archE906ELNS1_3gpuE6ELNS1_3repE0EEENS1_30default_config_static_selectorELNS0_4arch9wavefront6targetE1EEEvT1_
	.p2align	8
	.type	_ZN7rocprim17ROCPRIM_400000_NS6detail17trampoline_kernelINS0_14default_configENS1_25transform_config_selectorIlLb0EEEZNS1_14transform_implILb0ES3_S5_NS0_18transform_iteratorINS0_17counting_iteratorImlEEZNS1_24adjacent_difference_implIS3_Lb1ELb0EPlSB_ZN2at6native12_GLOBAL__N_124unique_dim_cuda_templateImEESt5tupleIJNSC_6TensorESH_SH_EERKSH_lbbbEUlllE1_EE10hipError_tPvRmT2_T3_mT4_P12ihipStream_tbEUlmE_lEESB_NS0_8identityIvEEEESM_SP_SQ_mSR_ST_bEUlT_E_NS1_11comp_targetILNS1_3genE2ELNS1_11target_archE906ELNS1_3gpuE6ELNS1_3repE0EEENS1_30default_config_static_selectorELNS0_4arch9wavefront6targetE1EEEvT1_,@function
_ZN7rocprim17ROCPRIM_400000_NS6detail17trampoline_kernelINS0_14default_configENS1_25transform_config_selectorIlLb0EEEZNS1_14transform_implILb0ES3_S5_NS0_18transform_iteratorINS0_17counting_iteratorImlEEZNS1_24adjacent_difference_implIS3_Lb1ELb0EPlSB_ZN2at6native12_GLOBAL__N_124unique_dim_cuda_templateImEESt5tupleIJNSC_6TensorESH_SH_EERKSH_lbbbEUlllE1_EE10hipError_tPvRmT2_T3_mT4_P12ihipStream_tbEUlmE_lEESB_NS0_8identityIvEEEESM_SP_SQ_mSR_ST_bEUlT_E_NS1_11comp_targetILNS1_3genE2ELNS1_11target_archE906ELNS1_3gpuE6ELNS1_3repE0EEENS1_30default_config_static_selectorELNS0_4arch9wavefront6targetE1EEEvT1_: ; @_ZN7rocprim17ROCPRIM_400000_NS6detail17trampoline_kernelINS0_14default_configENS1_25transform_config_selectorIlLb0EEEZNS1_14transform_implILb0ES3_S5_NS0_18transform_iteratorINS0_17counting_iteratorImlEEZNS1_24adjacent_difference_implIS3_Lb1ELb0EPlSB_ZN2at6native12_GLOBAL__N_124unique_dim_cuda_templateImEESt5tupleIJNSC_6TensorESH_SH_EERKSH_lbbbEUlllE1_EE10hipError_tPvRmT2_T3_mT4_P12ihipStream_tbEUlmE_lEESB_NS0_8identityIvEEEESM_SP_SQ_mSR_ST_bEUlT_E_NS1_11comp_targetILNS1_3genE2ELNS1_11target_archE906ELNS1_3gpuE6ELNS1_3repE0EEENS1_30default_config_static_selectorELNS0_4arch9wavefront6targetE1EEEvT1_
; %bb.0:
	.section	.rodata,"a",@progbits
	.p2align	6, 0x0
	.amdhsa_kernel _ZN7rocprim17ROCPRIM_400000_NS6detail17trampoline_kernelINS0_14default_configENS1_25transform_config_selectorIlLb0EEEZNS1_14transform_implILb0ES3_S5_NS0_18transform_iteratorINS0_17counting_iteratorImlEEZNS1_24adjacent_difference_implIS3_Lb1ELb0EPlSB_ZN2at6native12_GLOBAL__N_124unique_dim_cuda_templateImEESt5tupleIJNSC_6TensorESH_SH_EERKSH_lbbbEUlllE1_EE10hipError_tPvRmT2_T3_mT4_P12ihipStream_tbEUlmE_lEESB_NS0_8identityIvEEEESM_SP_SQ_mSR_ST_bEUlT_E_NS1_11comp_targetILNS1_3genE2ELNS1_11target_archE906ELNS1_3gpuE6ELNS1_3repE0EEENS1_30default_config_static_selectorELNS0_4arch9wavefront6targetE1EEEvT1_
		.amdhsa_group_segment_fixed_size 0
		.amdhsa_private_segment_fixed_size 0
		.amdhsa_kernarg_size 56
		.amdhsa_user_sgpr_count 6
		.amdhsa_user_sgpr_private_segment_buffer 1
		.amdhsa_user_sgpr_dispatch_ptr 0
		.amdhsa_user_sgpr_queue_ptr 0
		.amdhsa_user_sgpr_kernarg_segment_ptr 1
		.amdhsa_user_sgpr_dispatch_id 0
		.amdhsa_user_sgpr_flat_scratch_init 0
		.amdhsa_user_sgpr_kernarg_preload_length 0
		.amdhsa_user_sgpr_kernarg_preload_offset 0
		.amdhsa_user_sgpr_private_segment_size 0
		.amdhsa_uses_dynamic_stack 0
		.amdhsa_system_sgpr_private_segment_wavefront_offset 0
		.amdhsa_system_sgpr_workgroup_id_x 1
		.amdhsa_system_sgpr_workgroup_id_y 0
		.amdhsa_system_sgpr_workgroup_id_z 0
		.amdhsa_system_sgpr_workgroup_info 0
		.amdhsa_system_vgpr_workitem_id 0
		.amdhsa_next_free_vgpr 1
		.amdhsa_next_free_sgpr 0
		.amdhsa_accum_offset 4
		.amdhsa_reserve_vcc 0
		.amdhsa_reserve_flat_scratch 0
		.amdhsa_float_round_mode_32 0
		.amdhsa_float_round_mode_16_64 0
		.amdhsa_float_denorm_mode_32 3
		.amdhsa_float_denorm_mode_16_64 3
		.amdhsa_dx10_clamp 1
		.amdhsa_ieee_mode 1
		.amdhsa_fp16_overflow 0
		.amdhsa_tg_split 0
		.amdhsa_exception_fp_ieee_invalid_op 0
		.amdhsa_exception_fp_denorm_src 0
		.amdhsa_exception_fp_ieee_div_zero 0
		.amdhsa_exception_fp_ieee_overflow 0
		.amdhsa_exception_fp_ieee_underflow 0
		.amdhsa_exception_fp_ieee_inexact 0
		.amdhsa_exception_int_div_zero 0
	.end_amdhsa_kernel
	.section	.text._ZN7rocprim17ROCPRIM_400000_NS6detail17trampoline_kernelINS0_14default_configENS1_25transform_config_selectorIlLb0EEEZNS1_14transform_implILb0ES3_S5_NS0_18transform_iteratorINS0_17counting_iteratorImlEEZNS1_24adjacent_difference_implIS3_Lb1ELb0EPlSB_ZN2at6native12_GLOBAL__N_124unique_dim_cuda_templateImEESt5tupleIJNSC_6TensorESH_SH_EERKSH_lbbbEUlllE1_EE10hipError_tPvRmT2_T3_mT4_P12ihipStream_tbEUlmE_lEESB_NS0_8identityIvEEEESM_SP_SQ_mSR_ST_bEUlT_E_NS1_11comp_targetILNS1_3genE2ELNS1_11target_archE906ELNS1_3gpuE6ELNS1_3repE0EEENS1_30default_config_static_selectorELNS0_4arch9wavefront6targetE1EEEvT1_,"axG",@progbits,_ZN7rocprim17ROCPRIM_400000_NS6detail17trampoline_kernelINS0_14default_configENS1_25transform_config_selectorIlLb0EEEZNS1_14transform_implILb0ES3_S5_NS0_18transform_iteratorINS0_17counting_iteratorImlEEZNS1_24adjacent_difference_implIS3_Lb1ELb0EPlSB_ZN2at6native12_GLOBAL__N_124unique_dim_cuda_templateImEESt5tupleIJNSC_6TensorESH_SH_EERKSH_lbbbEUlllE1_EE10hipError_tPvRmT2_T3_mT4_P12ihipStream_tbEUlmE_lEESB_NS0_8identityIvEEEESM_SP_SQ_mSR_ST_bEUlT_E_NS1_11comp_targetILNS1_3genE2ELNS1_11target_archE906ELNS1_3gpuE6ELNS1_3repE0EEENS1_30default_config_static_selectorELNS0_4arch9wavefront6targetE1EEEvT1_,comdat
.Lfunc_end1648:
	.size	_ZN7rocprim17ROCPRIM_400000_NS6detail17trampoline_kernelINS0_14default_configENS1_25transform_config_selectorIlLb0EEEZNS1_14transform_implILb0ES3_S5_NS0_18transform_iteratorINS0_17counting_iteratorImlEEZNS1_24adjacent_difference_implIS3_Lb1ELb0EPlSB_ZN2at6native12_GLOBAL__N_124unique_dim_cuda_templateImEESt5tupleIJNSC_6TensorESH_SH_EERKSH_lbbbEUlllE1_EE10hipError_tPvRmT2_T3_mT4_P12ihipStream_tbEUlmE_lEESB_NS0_8identityIvEEEESM_SP_SQ_mSR_ST_bEUlT_E_NS1_11comp_targetILNS1_3genE2ELNS1_11target_archE906ELNS1_3gpuE6ELNS1_3repE0EEENS1_30default_config_static_selectorELNS0_4arch9wavefront6targetE1EEEvT1_, .Lfunc_end1648-_ZN7rocprim17ROCPRIM_400000_NS6detail17trampoline_kernelINS0_14default_configENS1_25transform_config_selectorIlLb0EEEZNS1_14transform_implILb0ES3_S5_NS0_18transform_iteratorINS0_17counting_iteratorImlEEZNS1_24adjacent_difference_implIS3_Lb1ELb0EPlSB_ZN2at6native12_GLOBAL__N_124unique_dim_cuda_templateImEESt5tupleIJNSC_6TensorESH_SH_EERKSH_lbbbEUlllE1_EE10hipError_tPvRmT2_T3_mT4_P12ihipStream_tbEUlmE_lEESB_NS0_8identityIvEEEESM_SP_SQ_mSR_ST_bEUlT_E_NS1_11comp_targetILNS1_3genE2ELNS1_11target_archE906ELNS1_3gpuE6ELNS1_3repE0EEENS1_30default_config_static_selectorELNS0_4arch9wavefront6targetE1EEEvT1_
                                        ; -- End function
	.section	.AMDGPU.csdata,"",@progbits
; Kernel info:
; codeLenInByte = 0
; NumSgprs: 4
; NumVgprs: 0
; NumAgprs: 0
; TotalNumVgprs: 0
; ScratchSize: 0
; MemoryBound: 0
; FloatMode: 240
; IeeeMode: 1
; LDSByteSize: 0 bytes/workgroup (compile time only)
; SGPRBlocks: 0
; VGPRBlocks: 0
; NumSGPRsForWavesPerEU: 4
; NumVGPRsForWavesPerEU: 1
; AccumOffset: 4
; Occupancy: 8
; WaveLimiterHint : 0
; COMPUTE_PGM_RSRC2:SCRATCH_EN: 0
; COMPUTE_PGM_RSRC2:USER_SGPR: 6
; COMPUTE_PGM_RSRC2:TRAP_HANDLER: 0
; COMPUTE_PGM_RSRC2:TGID_X_EN: 1
; COMPUTE_PGM_RSRC2:TGID_Y_EN: 0
; COMPUTE_PGM_RSRC2:TGID_Z_EN: 0
; COMPUTE_PGM_RSRC2:TIDIG_COMP_CNT: 0
; COMPUTE_PGM_RSRC3_GFX90A:ACCUM_OFFSET: 0
; COMPUTE_PGM_RSRC3_GFX90A:TG_SPLIT: 0
	.section	.text._ZN7rocprim17ROCPRIM_400000_NS6detail17trampoline_kernelINS0_14default_configENS1_25transform_config_selectorIlLb0EEEZNS1_14transform_implILb0ES3_S5_NS0_18transform_iteratorINS0_17counting_iteratorImlEEZNS1_24adjacent_difference_implIS3_Lb1ELb0EPlSB_ZN2at6native12_GLOBAL__N_124unique_dim_cuda_templateImEESt5tupleIJNSC_6TensorESH_SH_EERKSH_lbbbEUlllE1_EE10hipError_tPvRmT2_T3_mT4_P12ihipStream_tbEUlmE_lEESB_NS0_8identityIvEEEESM_SP_SQ_mSR_ST_bEUlT_E_NS1_11comp_targetILNS1_3genE10ELNS1_11target_archE1201ELNS1_3gpuE5ELNS1_3repE0EEENS1_30default_config_static_selectorELNS0_4arch9wavefront6targetE1EEEvT1_,"axG",@progbits,_ZN7rocprim17ROCPRIM_400000_NS6detail17trampoline_kernelINS0_14default_configENS1_25transform_config_selectorIlLb0EEEZNS1_14transform_implILb0ES3_S5_NS0_18transform_iteratorINS0_17counting_iteratorImlEEZNS1_24adjacent_difference_implIS3_Lb1ELb0EPlSB_ZN2at6native12_GLOBAL__N_124unique_dim_cuda_templateImEESt5tupleIJNSC_6TensorESH_SH_EERKSH_lbbbEUlllE1_EE10hipError_tPvRmT2_T3_mT4_P12ihipStream_tbEUlmE_lEESB_NS0_8identityIvEEEESM_SP_SQ_mSR_ST_bEUlT_E_NS1_11comp_targetILNS1_3genE10ELNS1_11target_archE1201ELNS1_3gpuE5ELNS1_3repE0EEENS1_30default_config_static_selectorELNS0_4arch9wavefront6targetE1EEEvT1_,comdat
	.globl	_ZN7rocprim17ROCPRIM_400000_NS6detail17trampoline_kernelINS0_14default_configENS1_25transform_config_selectorIlLb0EEEZNS1_14transform_implILb0ES3_S5_NS0_18transform_iteratorINS0_17counting_iteratorImlEEZNS1_24adjacent_difference_implIS3_Lb1ELb0EPlSB_ZN2at6native12_GLOBAL__N_124unique_dim_cuda_templateImEESt5tupleIJNSC_6TensorESH_SH_EERKSH_lbbbEUlllE1_EE10hipError_tPvRmT2_T3_mT4_P12ihipStream_tbEUlmE_lEESB_NS0_8identityIvEEEESM_SP_SQ_mSR_ST_bEUlT_E_NS1_11comp_targetILNS1_3genE10ELNS1_11target_archE1201ELNS1_3gpuE5ELNS1_3repE0EEENS1_30default_config_static_selectorELNS0_4arch9wavefront6targetE1EEEvT1_ ; -- Begin function _ZN7rocprim17ROCPRIM_400000_NS6detail17trampoline_kernelINS0_14default_configENS1_25transform_config_selectorIlLb0EEEZNS1_14transform_implILb0ES3_S5_NS0_18transform_iteratorINS0_17counting_iteratorImlEEZNS1_24adjacent_difference_implIS3_Lb1ELb0EPlSB_ZN2at6native12_GLOBAL__N_124unique_dim_cuda_templateImEESt5tupleIJNSC_6TensorESH_SH_EERKSH_lbbbEUlllE1_EE10hipError_tPvRmT2_T3_mT4_P12ihipStream_tbEUlmE_lEESB_NS0_8identityIvEEEESM_SP_SQ_mSR_ST_bEUlT_E_NS1_11comp_targetILNS1_3genE10ELNS1_11target_archE1201ELNS1_3gpuE5ELNS1_3repE0EEENS1_30default_config_static_selectorELNS0_4arch9wavefront6targetE1EEEvT1_
	.p2align	8
	.type	_ZN7rocprim17ROCPRIM_400000_NS6detail17trampoline_kernelINS0_14default_configENS1_25transform_config_selectorIlLb0EEEZNS1_14transform_implILb0ES3_S5_NS0_18transform_iteratorINS0_17counting_iteratorImlEEZNS1_24adjacent_difference_implIS3_Lb1ELb0EPlSB_ZN2at6native12_GLOBAL__N_124unique_dim_cuda_templateImEESt5tupleIJNSC_6TensorESH_SH_EERKSH_lbbbEUlllE1_EE10hipError_tPvRmT2_T3_mT4_P12ihipStream_tbEUlmE_lEESB_NS0_8identityIvEEEESM_SP_SQ_mSR_ST_bEUlT_E_NS1_11comp_targetILNS1_3genE10ELNS1_11target_archE1201ELNS1_3gpuE5ELNS1_3repE0EEENS1_30default_config_static_selectorELNS0_4arch9wavefront6targetE1EEEvT1_,@function
_ZN7rocprim17ROCPRIM_400000_NS6detail17trampoline_kernelINS0_14default_configENS1_25transform_config_selectorIlLb0EEEZNS1_14transform_implILb0ES3_S5_NS0_18transform_iteratorINS0_17counting_iteratorImlEEZNS1_24adjacent_difference_implIS3_Lb1ELb0EPlSB_ZN2at6native12_GLOBAL__N_124unique_dim_cuda_templateImEESt5tupleIJNSC_6TensorESH_SH_EERKSH_lbbbEUlllE1_EE10hipError_tPvRmT2_T3_mT4_P12ihipStream_tbEUlmE_lEESB_NS0_8identityIvEEEESM_SP_SQ_mSR_ST_bEUlT_E_NS1_11comp_targetILNS1_3genE10ELNS1_11target_archE1201ELNS1_3gpuE5ELNS1_3repE0EEENS1_30default_config_static_selectorELNS0_4arch9wavefront6targetE1EEEvT1_: ; @_ZN7rocprim17ROCPRIM_400000_NS6detail17trampoline_kernelINS0_14default_configENS1_25transform_config_selectorIlLb0EEEZNS1_14transform_implILb0ES3_S5_NS0_18transform_iteratorINS0_17counting_iteratorImlEEZNS1_24adjacent_difference_implIS3_Lb1ELb0EPlSB_ZN2at6native12_GLOBAL__N_124unique_dim_cuda_templateImEESt5tupleIJNSC_6TensorESH_SH_EERKSH_lbbbEUlllE1_EE10hipError_tPvRmT2_T3_mT4_P12ihipStream_tbEUlmE_lEESB_NS0_8identityIvEEEESM_SP_SQ_mSR_ST_bEUlT_E_NS1_11comp_targetILNS1_3genE10ELNS1_11target_archE1201ELNS1_3gpuE5ELNS1_3repE0EEENS1_30default_config_static_selectorELNS0_4arch9wavefront6targetE1EEEvT1_
; %bb.0:
	.section	.rodata,"a",@progbits
	.p2align	6, 0x0
	.amdhsa_kernel _ZN7rocprim17ROCPRIM_400000_NS6detail17trampoline_kernelINS0_14default_configENS1_25transform_config_selectorIlLb0EEEZNS1_14transform_implILb0ES3_S5_NS0_18transform_iteratorINS0_17counting_iteratorImlEEZNS1_24adjacent_difference_implIS3_Lb1ELb0EPlSB_ZN2at6native12_GLOBAL__N_124unique_dim_cuda_templateImEESt5tupleIJNSC_6TensorESH_SH_EERKSH_lbbbEUlllE1_EE10hipError_tPvRmT2_T3_mT4_P12ihipStream_tbEUlmE_lEESB_NS0_8identityIvEEEESM_SP_SQ_mSR_ST_bEUlT_E_NS1_11comp_targetILNS1_3genE10ELNS1_11target_archE1201ELNS1_3gpuE5ELNS1_3repE0EEENS1_30default_config_static_selectorELNS0_4arch9wavefront6targetE1EEEvT1_
		.amdhsa_group_segment_fixed_size 0
		.amdhsa_private_segment_fixed_size 0
		.amdhsa_kernarg_size 56
		.amdhsa_user_sgpr_count 6
		.amdhsa_user_sgpr_private_segment_buffer 1
		.amdhsa_user_sgpr_dispatch_ptr 0
		.amdhsa_user_sgpr_queue_ptr 0
		.amdhsa_user_sgpr_kernarg_segment_ptr 1
		.amdhsa_user_sgpr_dispatch_id 0
		.amdhsa_user_sgpr_flat_scratch_init 0
		.amdhsa_user_sgpr_kernarg_preload_length 0
		.amdhsa_user_sgpr_kernarg_preload_offset 0
		.amdhsa_user_sgpr_private_segment_size 0
		.amdhsa_uses_dynamic_stack 0
		.amdhsa_system_sgpr_private_segment_wavefront_offset 0
		.amdhsa_system_sgpr_workgroup_id_x 1
		.amdhsa_system_sgpr_workgroup_id_y 0
		.amdhsa_system_sgpr_workgroup_id_z 0
		.amdhsa_system_sgpr_workgroup_info 0
		.amdhsa_system_vgpr_workitem_id 0
		.amdhsa_next_free_vgpr 1
		.amdhsa_next_free_sgpr 0
		.amdhsa_accum_offset 4
		.amdhsa_reserve_vcc 0
		.amdhsa_reserve_flat_scratch 0
		.amdhsa_float_round_mode_32 0
		.amdhsa_float_round_mode_16_64 0
		.amdhsa_float_denorm_mode_32 3
		.amdhsa_float_denorm_mode_16_64 3
		.amdhsa_dx10_clamp 1
		.amdhsa_ieee_mode 1
		.amdhsa_fp16_overflow 0
		.amdhsa_tg_split 0
		.amdhsa_exception_fp_ieee_invalid_op 0
		.amdhsa_exception_fp_denorm_src 0
		.amdhsa_exception_fp_ieee_div_zero 0
		.amdhsa_exception_fp_ieee_overflow 0
		.amdhsa_exception_fp_ieee_underflow 0
		.amdhsa_exception_fp_ieee_inexact 0
		.amdhsa_exception_int_div_zero 0
	.end_amdhsa_kernel
	.section	.text._ZN7rocprim17ROCPRIM_400000_NS6detail17trampoline_kernelINS0_14default_configENS1_25transform_config_selectorIlLb0EEEZNS1_14transform_implILb0ES3_S5_NS0_18transform_iteratorINS0_17counting_iteratorImlEEZNS1_24adjacent_difference_implIS3_Lb1ELb0EPlSB_ZN2at6native12_GLOBAL__N_124unique_dim_cuda_templateImEESt5tupleIJNSC_6TensorESH_SH_EERKSH_lbbbEUlllE1_EE10hipError_tPvRmT2_T3_mT4_P12ihipStream_tbEUlmE_lEESB_NS0_8identityIvEEEESM_SP_SQ_mSR_ST_bEUlT_E_NS1_11comp_targetILNS1_3genE10ELNS1_11target_archE1201ELNS1_3gpuE5ELNS1_3repE0EEENS1_30default_config_static_selectorELNS0_4arch9wavefront6targetE1EEEvT1_,"axG",@progbits,_ZN7rocprim17ROCPRIM_400000_NS6detail17trampoline_kernelINS0_14default_configENS1_25transform_config_selectorIlLb0EEEZNS1_14transform_implILb0ES3_S5_NS0_18transform_iteratorINS0_17counting_iteratorImlEEZNS1_24adjacent_difference_implIS3_Lb1ELb0EPlSB_ZN2at6native12_GLOBAL__N_124unique_dim_cuda_templateImEESt5tupleIJNSC_6TensorESH_SH_EERKSH_lbbbEUlllE1_EE10hipError_tPvRmT2_T3_mT4_P12ihipStream_tbEUlmE_lEESB_NS0_8identityIvEEEESM_SP_SQ_mSR_ST_bEUlT_E_NS1_11comp_targetILNS1_3genE10ELNS1_11target_archE1201ELNS1_3gpuE5ELNS1_3repE0EEENS1_30default_config_static_selectorELNS0_4arch9wavefront6targetE1EEEvT1_,comdat
.Lfunc_end1649:
	.size	_ZN7rocprim17ROCPRIM_400000_NS6detail17trampoline_kernelINS0_14default_configENS1_25transform_config_selectorIlLb0EEEZNS1_14transform_implILb0ES3_S5_NS0_18transform_iteratorINS0_17counting_iteratorImlEEZNS1_24adjacent_difference_implIS3_Lb1ELb0EPlSB_ZN2at6native12_GLOBAL__N_124unique_dim_cuda_templateImEESt5tupleIJNSC_6TensorESH_SH_EERKSH_lbbbEUlllE1_EE10hipError_tPvRmT2_T3_mT4_P12ihipStream_tbEUlmE_lEESB_NS0_8identityIvEEEESM_SP_SQ_mSR_ST_bEUlT_E_NS1_11comp_targetILNS1_3genE10ELNS1_11target_archE1201ELNS1_3gpuE5ELNS1_3repE0EEENS1_30default_config_static_selectorELNS0_4arch9wavefront6targetE1EEEvT1_, .Lfunc_end1649-_ZN7rocprim17ROCPRIM_400000_NS6detail17trampoline_kernelINS0_14default_configENS1_25transform_config_selectorIlLb0EEEZNS1_14transform_implILb0ES3_S5_NS0_18transform_iteratorINS0_17counting_iteratorImlEEZNS1_24adjacent_difference_implIS3_Lb1ELb0EPlSB_ZN2at6native12_GLOBAL__N_124unique_dim_cuda_templateImEESt5tupleIJNSC_6TensorESH_SH_EERKSH_lbbbEUlllE1_EE10hipError_tPvRmT2_T3_mT4_P12ihipStream_tbEUlmE_lEESB_NS0_8identityIvEEEESM_SP_SQ_mSR_ST_bEUlT_E_NS1_11comp_targetILNS1_3genE10ELNS1_11target_archE1201ELNS1_3gpuE5ELNS1_3repE0EEENS1_30default_config_static_selectorELNS0_4arch9wavefront6targetE1EEEvT1_
                                        ; -- End function
	.section	.AMDGPU.csdata,"",@progbits
; Kernel info:
; codeLenInByte = 0
; NumSgprs: 4
; NumVgprs: 0
; NumAgprs: 0
; TotalNumVgprs: 0
; ScratchSize: 0
; MemoryBound: 0
; FloatMode: 240
; IeeeMode: 1
; LDSByteSize: 0 bytes/workgroup (compile time only)
; SGPRBlocks: 0
; VGPRBlocks: 0
; NumSGPRsForWavesPerEU: 4
; NumVGPRsForWavesPerEU: 1
; AccumOffset: 4
; Occupancy: 8
; WaveLimiterHint : 0
; COMPUTE_PGM_RSRC2:SCRATCH_EN: 0
; COMPUTE_PGM_RSRC2:USER_SGPR: 6
; COMPUTE_PGM_RSRC2:TRAP_HANDLER: 0
; COMPUTE_PGM_RSRC2:TGID_X_EN: 1
; COMPUTE_PGM_RSRC2:TGID_Y_EN: 0
; COMPUTE_PGM_RSRC2:TGID_Z_EN: 0
; COMPUTE_PGM_RSRC2:TIDIG_COMP_CNT: 0
; COMPUTE_PGM_RSRC3_GFX90A:ACCUM_OFFSET: 0
; COMPUTE_PGM_RSRC3_GFX90A:TG_SPLIT: 0
	.section	.text._ZN7rocprim17ROCPRIM_400000_NS6detail17trampoline_kernelINS0_14default_configENS1_25transform_config_selectorIlLb0EEEZNS1_14transform_implILb0ES3_S5_NS0_18transform_iteratorINS0_17counting_iteratorImlEEZNS1_24adjacent_difference_implIS3_Lb1ELb0EPlSB_ZN2at6native12_GLOBAL__N_124unique_dim_cuda_templateImEESt5tupleIJNSC_6TensorESH_SH_EERKSH_lbbbEUlllE1_EE10hipError_tPvRmT2_T3_mT4_P12ihipStream_tbEUlmE_lEESB_NS0_8identityIvEEEESM_SP_SQ_mSR_ST_bEUlT_E_NS1_11comp_targetILNS1_3genE10ELNS1_11target_archE1200ELNS1_3gpuE4ELNS1_3repE0EEENS1_30default_config_static_selectorELNS0_4arch9wavefront6targetE1EEEvT1_,"axG",@progbits,_ZN7rocprim17ROCPRIM_400000_NS6detail17trampoline_kernelINS0_14default_configENS1_25transform_config_selectorIlLb0EEEZNS1_14transform_implILb0ES3_S5_NS0_18transform_iteratorINS0_17counting_iteratorImlEEZNS1_24adjacent_difference_implIS3_Lb1ELb0EPlSB_ZN2at6native12_GLOBAL__N_124unique_dim_cuda_templateImEESt5tupleIJNSC_6TensorESH_SH_EERKSH_lbbbEUlllE1_EE10hipError_tPvRmT2_T3_mT4_P12ihipStream_tbEUlmE_lEESB_NS0_8identityIvEEEESM_SP_SQ_mSR_ST_bEUlT_E_NS1_11comp_targetILNS1_3genE10ELNS1_11target_archE1200ELNS1_3gpuE4ELNS1_3repE0EEENS1_30default_config_static_selectorELNS0_4arch9wavefront6targetE1EEEvT1_,comdat
	.globl	_ZN7rocprim17ROCPRIM_400000_NS6detail17trampoline_kernelINS0_14default_configENS1_25transform_config_selectorIlLb0EEEZNS1_14transform_implILb0ES3_S5_NS0_18transform_iteratorINS0_17counting_iteratorImlEEZNS1_24adjacent_difference_implIS3_Lb1ELb0EPlSB_ZN2at6native12_GLOBAL__N_124unique_dim_cuda_templateImEESt5tupleIJNSC_6TensorESH_SH_EERKSH_lbbbEUlllE1_EE10hipError_tPvRmT2_T3_mT4_P12ihipStream_tbEUlmE_lEESB_NS0_8identityIvEEEESM_SP_SQ_mSR_ST_bEUlT_E_NS1_11comp_targetILNS1_3genE10ELNS1_11target_archE1200ELNS1_3gpuE4ELNS1_3repE0EEENS1_30default_config_static_selectorELNS0_4arch9wavefront6targetE1EEEvT1_ ; -- Begin function _ZN7rocprim17ROCPRIM_400000_NS6detail17trampoline_kernelINS0_14default_configENS1_25transform_config_selectorIlLb0EEEZNS1_14transform_implILb0ES3_S5_NS0_18transform_iteratorINS0_17counting_iteratorImlEEZNS1_24adjacent_difference_implIS3_Lb1ELb0EPlSB_ZN2at6native12_GLOBAL__N_124unique_dim_cuda_templateImEESt5tupleIJNSC_6TensorESH_SH_EERKSH_lbbbEUlllE1_EE10hipError_tPvRmT2_T3_mT4_P12ihipStream_tbEUlmE_lEESB_NS0_8identityIvEEEESM_SP_SQ_mSR_ST_bEUlT_E_NS1_11comp_targetILNS1_3genE10ELNS1_11target_archE1200ELNS1_3gpuE4ELNS1_3repE0EEENS1_30default_config_static_selectorELNS0_4arch9wavefront6targetE1EEEvT1_
	.p2align	8
	.type	_ZN7rocprim17ROCPRIM_400000_NS6detail17trampoline_kernelINS0_14default_configENS1_25transform_config_selectorIlLb0EEEZNS1_14transform_implILb0ES3_S5_NS0_18transform_iteratorINS0_17counting_iteratorImlEEZNS1_24adjacent_difference_implIS3_Lb1ELb0EPlSB_ZN2at6native12_GLOBAL__N_124unique_dim_cuda_templateImEESt5tupleIJNSC_6TensorESH_SH_EERKSH_lbbbEUlllE1_EE10hipError_tPvRmT2_T3_mT4_P12ihipStream_tbEUlmE_lEESB_NS0_8identityIvEEEESM_SP_SQ_mSR_ST_bEUlT_E_NS1_11comp_targetILNS1_3genE10ELNS1_11target_archE1200ELNS1_3gpuE4ELNS1_3repE0EEENS1_30default_config_static_selectorELNS0_4arch9wavefront6targetE1EEEvT1_,@function
_ZN7rocprim17ROCPRIM_400000_NS6detail17trampoline_kernelINS0_14default_configENS1_25transform_config_selectorIlLb0EEEZNS1_14transform_implILb0ES3_S5_NS0_18transform_iteratorINS0_17counting_iteratorImlEEZNS1_24adjacent_difference_implIS3_Lb1ELb0EPlSB_ZN2at6native12_GLOBAL__N_124unique_dim_cuda_templateImEESt5tupleIJNSC_6TensorESH_SH_EERKSH_lbbbEUlllE1_EE10hipError_tPvRmT2_T3_mT4_P12ihipStream_tbEUlmE_lEESB_NS0_8identityIvEEEESM_SP_SQ_mSR_ST_bEUlT_E_NS1_11comp_targetILNS1_3genE10ELNS1_11target_archE1200ELNS1_3gpuE4ELNS1_3repE0EEENS1_30default_config_static_selectorELNS0_4arch9wavefront6targetE1EEEvT1_: ; @_ZN7rocprim17ROCPRIM_400000_NS6detail17trampoline_kernelINS0_14default_configENS1_25transform_config_selectorIlLb0EEEZNS1_14transform_implILb0ES3_S5_NS0_18transform_iteratorINS0_17counting_iteratorImlEEZNS1_24adjacent_difference_implIS3_Lb1ELb0EPlSB_ZN2at6native12_GLOBAL__N_124unique_dim_cuda_templateImEESt5tupleIJNSC_6TensorESH_SH_EERKSH_lbbbEUlllE1_EE10hipError_tPvRmT2_T3_mT4_P12ihipStream_tbEUlmE_lEESB_NS0_8identityIvEEEESM_SP_SQ_mSR_ST_bEUlT_E_NS1_11comp_targetILNS1_3genE10ELNS1_11target_archE1200ELNS1_3gpuE4ELNS1_3repE0EEENS1_30default_config_static_selectorELNS0_4arch9wavefront6targetE1EEEvT1_
; %bb.0:
	.section	.rodata,"a",@progbits
	.p2align	6, 0x0
	.amdhsa_kernel _ZN7rocprim17ROCPRIM_400000_NS6detail17trampoline_kernelINS0_14default_configENS1_25transform_config_selectorIlLb0EEEZNS1_14transform_implILb0ES3_S5_NS0_18transform_iteratorINS0_17counting_iteratorImlEEZNS1_24adjacent_difference_implIS3_Lb1ELb0EPlSB_ZN2at6native12_GLOBAL__N_124unique_dim_cuda_templateImEESt5tupleIJNSC_6TensorESH_SH_EERKSH_lbbbEUlllE1_EE10hipError_tPvRmT2_T3_mT4_P12ihipStream_tbEUlmE_lEESB_NS0_8identityIvEEEESM_SP_SQ_mSR_ST_bEUlT_E_NS1_11comp_targetILNS1_3genE10ELNS1_11target_archE1200ELNS1_3gpuE4ELNS1_3repE0EEENS1_30default_config_static_selectorELNS0_4arch9wavefront6targetE1EEEvT1_
		.amdhsa_group_segment_fixed_size 0
		.amdhsa_private_segment_fixed_size 0
		.amdhsa_kernarg_size 56
		.amdhsa_user_sgpr_count 6
		.amdhsa_user_sgpr_private_segment_buffer 1
		.amdhsa_user_sgpr_dispatch_ptr 0
		.amdhsa_user_sgpr_queue_ptr 0
		.amdhsa_user_sgpr_kernarg_segment_ptr 1
		.amdhsa_user_sgpr_dispatch_id 0
		.amdhsa_user_sgpr_flat_scratch_init 0
		.amdhsa_user_sgpr_kernarg_preload_length 0
		.amdhsa_user_sgpr_kernarg_preload_offset 0
		.amdhsa_user_sgpr_private_segment_size 0
		.amdhsa_uses_dynamic_stack 0
		.amdhsa_system_sgpr_private_segment_wavefront_offset 0
		.amdhsa_system_sgpr_workgroup_id_x 1
		.amdhsa_system_sgpr_workgroup_id_y 0
		.amdhsa_system_sgpr_workgroup_id_z 0
		.amdhsa_system_sgpr_workgroup_info 0
		.amdhsa_system_vgpr_workitem_id 0
		.amdhsa_next_free_vgpr 1
		.amdhsa_next_free_sgpr 0
		.amdhsa_accum_offset 4
		.amdhsa_reserve_vcc 0
		.amdhsa_reserve_flat_scratch 0
		.amdhsa_float_round_mode_32 0
		.amdhsa_float_round_mode_16_64 0
		.amdhsa_float_denorm_mode_32 3
		.amdhsa_float_denorm_mode_16_64 3
		.amdhsa_dx10_clamp 1
		.amdhsa_ieee_mode 1
		.amdhsa_fp16_overflow 0
		.amdhsa_tg_split 0
		.amdhsa_exception_fp_ieee_invalid_op 0
		.amdhsa_exception_fp_denorm_src 0
		.amdhsa_exception_fp_ieee_div_zero 0
		.amdhsa_exception_fp_ieee_overflow 0
		.amdhsa_exception_fp_ieee_underflow 0
		.amdhsa_exception_fp_ieee_inexact 0
		.amdhsa_exception_int_div_zero 0
	.end_amdhsa_kernel
	.section	.text._ZN7rocprim17ROCPRIM_400000_NS6detail17trampoline_kernelINS0_14default_configENS1_25transform_config_selectorIlLb0EEEZNS1_14transform_implILb0ES3_S5_NS0_18transform_iteratorINS0_17counting_iteratorImlEEZNS1_24adjacent_difference_implIS3_Lb1ELb0EPlSB_ZN2at6native12_GLOBAL__N_124unique_dim_cuda_templateImEESt5tupleIJNSC_6TensorESH_SH_EERKSH_lbbbEUlllE1_EE10hipError_tPvRmT2_T3_mT4_P12ihipStream_tbEUlmE_lEESB_NS0_8identityIvEEEESM_SP_SQ_mSR_ST_bEUlT_E_NS1_11comp_targetILNS1_3genE10ELNS1_11target_archE1200ELNS1_3gpuE4ELNS1_3repE0EEENS1_30default_config_static_selectorELNS0_4arch9wavefront6targetE1EEEvT1_,"axG",@progbits,_ZN7rocprim17ROCPRIM_400000_NS6detail17trampoline_kernelINS0_14default_configENS1_25transform_config_selectorIlLb0EEEZNS1_14transform_implILb0ES3_S5_NS0_18transform_iteratorINS0_17counting_iteratorImlEEZNS1_24adjacent_difference_implIS3_Lb1ELb0EPlSB_ZN2at6native12_GLOBAL__N_124unique_dim_cuda_templateImEESt5tupleIJNSC_6TensorESH_SH_EERKSH_lbbbEUlllE1_EE10hipError_tPvRmT2_T3_mT4_P12ihipStream_tbEUlmE_lEESB_NS0_8identityIvEEEESM_SP_SQ_mSR_ST_bEUlT_E_NS1_11comp_targetILNS1_3genE10ELNS1_11target_archE1200ELNS1_3gpuE4ELNS1_3repE0EEENS1_30default_config_static_selectorELNS0_4arch9wavefront6targetE1EEEvT1_,comdat
.Lfunc_end1650:
	.size	_ZN7rocprim17ROCPRIM_400000_NS6detail17trampoline_kernelINS0_14default_configENS1_25transform_config_selectorIlLb0EEEZNS1_14transform_implILb0ES3_S5_NS0_18transform_iteratorINS0_17counting_iteratorImlEEZNS1_24adjacent_difference_implIS3_Lb1ELb0EPlSB_ZN2at6native12_GLOBAL__N_124unique_dim_cuda_templateImEESt5tupleIJNSC_6TensorESH_SH_EERKSH_lbbbEUlllE1_EE10hipError_tPvRmT2_T3_mT4_P12ihipStream_tbEUlmE_lEESB_NS0_8identityIvEEEESM_SP_SQ_mSR_ST_bEUlT_E_NS1_11comp_targetILNS1_3genE10ELNS1_11target_archE1200ELNS1_3gpuE4ELNS1_3repE0EEENS1_30default_config_static_selectorELNS0_4arch9wavefront6targetE1EEEvT1_, .Lfunc_end1650-_ZN7rocprim17ROCPRIM_400000_NS6detail17trampoline_kernelINS0_14default_configENS1_25transform_config_selectorIlLb0EEEZNS1_14transform_implILb0ES3_S5_NS0_18transform_iteratorINS0_17counting_iteratorImlEEZNS1_24adjacent_difference_implIS3_Lb1ELb0EPlSB_ZN2at6native12_GLOBAL__N_124unique_dim_cuda_templateImEESt5tupleIJNSC_6TensorESH_SH_EERKSH_lbbbEUlllE1_EE10hipError_tPvRmT2_T3_mT4_P12ihipStream_tbEUlmE_lEESB_NS0_8identityIvEEEESM_SP_SQ_mSR_ST_bEUlT_E_NS1_11comp_targetILNS1_3genE10ELNS1_11target_archE1200ELNS1_3gpuE4ELNS1_3repE0EEENS1_30default_config_static_selectorELNS0_4arch9wavefront6targetE1EEEvT1_
                                        ; -- End function
	.section	.AMDGPU.csdata,"",@progbits
; Kernel info:
; codeLenInByte = 0
; NumSgprs: 4
; NumVgprs: 0
; NumAgprs: 0
; TotalNumVgprs: 0
; ScratchSize: 0
; MemoryBound: 0
; FloatMode: 240
; IeeeMode: 1
; LDSByteSize: 0 bytes/workgroup (compile time only)
; SGPRBlocks: 0
; VGPRBlocks: 0
; NumSGPRsForWavesPerEU: 4
; NumVGPRsForWavesPerEU: 1
; AccumOffset: 4
; Occupancy: 8
; WaveLimiterHint : 0
; COMPUTE_PGM_RSRC2:SCRATCH_EN: 0
; COMPUTE_PGM_RSRC2:USER_SGPR: 6
; COMPUTE_PGM_RSRC2:TRAP_HANDLER: 0
; COMPUTE_PGM_RSRC2:TGID_X_EN: 1
; COMPUTE_PGM_RSRC2:TGID_Y_EN: 0
; COMPUTE_PGM_RSRC2:TGID_Z_EN: 0
; COMPUTE_PGM_RSRC2:TIDIG_COMP_CNT: 0
; COMPUTE_PGM_RSRC3_GFX90A:ACCUM_OFFSET: 0
; COMPUTE_PGM_RSRC3_GFX90A:TG_SPLIT: 0
	.section	.text._ZN7rocprim17ROCPRIM_400000_NS6detail17trampoline_kernelINS0_14default_configENS1_25transform_config_selectorIlLb0EEEZNS1_14transform_implILb0ES3_S5_NS0_18transform_iteratorINS0_17counting_iteratorImlEEZNS1_24adjacent_difference_implIS3_Lb1ELb0EPlSB_ZN2at6native12_GLOBAL__N_124unique_dim_cuda_templateImEESt5tupleIJNSC_6TensorESH_SH_EERKSH_lbbbEUlllE1_EE10hipError_tPvRmT2_T3_mT4_P12ihipStream_tbEUlmE_lEESB_NS0_8identityIvEEEESM_SP_SQ_mSR_ST_bEUlT_E_NS1_11comp_targetILNS1_3genE9ELNS1_11target_archE1100ELNS1_3gpuE3ELNS1_3repE0EEENS1_30default_config_static_selectorELNS0_4arch9wavefront6targetE1EEEvT1_,"axG",@progbits,_ZN7rocprim17ROCPRIM_400000_NS6detail17trampoline_kernelINS0_14default_configENS1_25transform_config_selectorIlLb0EEEZNS1_14transform_implILb0ES3_S5_NS0_18transform_iteratorINS0_17counting_iteratorImlEEZNS1_24adjacent_difference_implIS3_Lb1ELb0EPlSB_ZN2at6native12_GLOBAL__N_124unique_dim_cuda_templateImEESt5tupleIJNSC_6TensorESH_SH_EERKSH_lbbbEUlllE1_EE10hipError_tPvRmT2_T3_mT4_P12ihipStream_tbEUlmE_lEESB_NS0_8identityIvEEEESM_SP_SQ_mSR_ST_bEUlT_E_NS1_11comp_targetILNS1_3genE9ELNS1_11target_archE1100ELNS1_3gpuE3ELNS1_3repE0EEENS1_30default_config_static_selectorELNS0_4arch9wavefront6targetE1EEEvT1_,comdat
	.globl	_ZN7rocprim17ROCPRIM_400000_NS6detail17trampoline_kernelINS0_14default_configENS1_25transform_config_selectorIlLb0EEEZNS1_14transform_implILb0ES3_S5_NS0_18transform_iteratorINS0_17counting_iteratorImlEEZNS1_24adjacent_difference_implIS3_Lb1ELb0EPlSB_ZN2at6native12_GLOBAL__N_124unique_dim_cuda_templateImEESt5tupleIJNSC_6TensorESH_SH_EERKSH_lbbbEUlllE1_EE10hipError_tPvRmT2_T3_mT4_P12ihipStream_tbEUlmE_lEESB_NS0_8identityIvEEEESM_SP_SQ_mSR_ST_bEUlT_E_NS1_11comp_targetILNS1_3genE9ELNS1_11target_archE1100ELNS1_3gpuE3ELNS1_3repE0EEENS1_30default_config_static_selectorELNS0_4arch9wavefront6targetE1EEEvT1_ ; -- Begin function _ZN7rocprim17ROCPRIM_400000_NS6detail17trampoline_kernelINS0_14default_configENS1_25transform_config_selectorIlLb0EEEZNS1_14transform_implILb0ES3_S5_NS0_18transform_iteratorINS0_17counting_iteratorImlEEZNS1_24adjacent_difference_implIS3_Lb1ELb0EPlSB_ZN2at6native12_GLOBAL__N_124unique_dim_cuda_templateImEESt5tupleIJNSC_6TensorESH_SH_EERKSH_lbbbEUlllE1_EE10hipError_tPvRmT2_T3_mT4_P12ihipStream_tbEUlmE_lEESB_NS0_8identityIvEEEESM_SP_SQ_mSR_ST_bEUlT_E_NS1_11comp_targetILNS1_3genE9ELNS1_11target_archE1100ELNS1_3gpuE3ELNS1_3repE0EEENS1_30default_config_static_selectorELNS0_4arch9wavefront6targetE1EEEvT1_
	.p2align	8
	.type	_ZN7rocprim17ROCPRIM_400000_NS6detail17trampoline_kernelINS0_14default_configENS1_25transform_config_selectorIlLb0EEEZNS1_14transform_implILb0ES3_S5_NS0_18transform_iteratorINS0_17counting_iteratorImlEEZNS1_24adjacent_difference_implIS3_Lb1ELb0EPlSB_ZN2at6native12_GLOBAL__N_124unique_dim_cuda_templateImEESt5tupleIJNSC_6TensorESH_SH_EERKSH_lbbbEUlllE1_EE10hipError_tPvRmT2_T3_mT4_P12ihipStream_tbEUlmE_lEESB_NS0_8identityIvEEEESM_SP_SQ_mSR_ST_bEUlT_E_NS1_11comp_targetILNS1_3genE9ELNS1_11target_archE1100ELNS1_3gpuE3ELNS1_3repE0EEENS1_30default_config_static_selectorELNS0_4arch9wavefront6targetE1EEEvT1_,@function
_ZN7rocprim17ROCPRIM_400000_NS6detail17trampoline_kernelINS0_14default_configENS1_25transform_config_selectorIlLb0EEEZNS1_14transform_implILb0ES3_S5_NS0_18transform_iteratorINS0_17counting_iteratorImlEEZNS1_24adjacent_difference_implIS3_Lb1ELb0EPlSB_ZN2at6native12_GLOBAL__N_124unique_dim_cuda_templateImEESt5tupleIJNSC_6TensorESH_SH_EERKSH_lbbbEUlllE1_EE10hipError_tPvRmT2_T3_mT4_P12ihipStream_tbEUlmE_lEESB_NS0_8identityIvEEEESM_SP_SQ_mSR_ST_bEUlT_E_NS1_11comp_targetILNS1_3genE9ELNS1_11target_archE1100ELNS1_3gpuE3ELNS1_3repE0EEENS1_30default_config_static_selectorELNS0_4arch9wavefront6targetE1EEEvT1_: ; @_ZN7rocprim17ROCPRIM_400000_NS6detail17trampoline_kernelINS0_14default_configENS1_25transform_config_selectorIlLb0EEEZNS1_14transform_implILb0ES3_S5_NS0_18transform_iteratorINS0_17counting_iteratorImlEEZNS1_24adjacent_difference_implIS3_Lb1ELb0EPlSB_ZN2at6native12_GLOBAL__N_124unique_dim_cuda_templateImEESt5tupleIJNSC_6TensorESH_SH_EERKSH_lbbbEUlllE1_EE10hipError_tPvRmT2_T3_mT4_P12ihipStream_tbEUlmE_lEESB_NS0_8identityIvEEEESM_SP_SQ_mSR_ST_bEUlT_E_NS1_11comp_targetILNS1_3genE9ELNS1_11target_archE1100ELNS1_3gpuE3ELNS1_3repE0EEENS1_30default_config_static_selectorELNS0_4arch9wavefront6targetE1EEEvT1_
; %bb.0:
	.section	.rodata,"a",@progbits
	.p2align	6, 0x0
	.amdhsa_kernel _ZN7rocprim17ROCPRIM_400000_NS6detail17trampoline_kernelINS0_14default_configENS1_25transform_config_selectorIlLb0EEEZNS1_14transform_implILb0ES3_S5_NS0_18transform_iteratorINS0_17counting_iteratorImlEEZNS1_24adjacent_difference_implIS3_Lb1ELb0EPlSB_ZN2at6native12_GLOBAL__N_124unique_dim_cuda_templateImEESt5tupleIJNSC_6TensorESH_SH_EERKSH_lbbbEUlllE1_EE10hipError_tPvRmT2_T3_mT4_P12ihipStream_tbEUlmE_lEESB_NS0_8identityIvEEEESM_SP_SQ_mSR_ST_bEUlT_E_NS1_11comp_targetILNS1_3genE9ELNS1_11target_archE1100ELNS1_3gpuE3ELNS1_3repE0EEENS1_30default_config_static_selectorELNS0_4arch9wavefront6targetE1EEEvT1_
		.amdhsa_group_segment_fixed_size 0
		.amdhsa_private_segment_fixed_size 0
		.amdhsa_kernarg_size 56
		.amdhsa_user_sgpr_count 6
		.amdhsa_user_sgpr_private_segment_buffer 1
		.amdhsa_user_sgpr_dispatch_ptr 0
		.amdhsa_user_sgpr_queue_ptr 0
		.amdhsa_user_sgpr_kernarg_segment_ptr 1
		.amdhsa_user_sgpr_dispatch_id 0
		.amdhsa_user_sgpr_flat_scratch_init 0
		.amdhsa_user_sgpr_kernarg_preload_length 0
		.amdhsa_user_sgpr_kernarg_preload_offset 0
		.amdhsa_user_sgpr_private_segment_size 0
		.amdhsa_uses_dynamic_stack 0
		.amdhsa_system_sgpr_private_segment_wavefront_offset 0
		.amdhsa_system_sgpr_workgroup_id_x 1
		.amdhsa_system_sgpr_workgroup_id_y 0
		.amdhsa_system_sgpr_workgroup_id_z 0
		.amdhsa_system_sgpr_workgroup_info 0
		.amdhsa_system_vgpr_workitem_id 0
		.amdhsa_next_free_vgpr 1
		.amdhsa_next_free_sgpr 0
		.amdhsa_accum_offset 4
		.amdhsa_reserve_vcc 0
		.amdhsa_reserve_flat_scratch 0
		.amdhsa_float_round_mode_32 0
		.amdhsa_float_round_mode_16_64 0
		.amdhsa_float_denorm_mode_32 3
		.amdhsa_float_denorm_mode_16_64 3
		.amdhsa_dx10_clamp 1
		.amdhsa_ieee_mode 1
		.amdhsa_fp16_overflow 0
		.amdhsa_tg_split 0
		.amdhsa_exception_fp_ieee_invalid_op 0
		.amdhsa_exception_fp_denorm_src 0
		.amdhsa_exception_fp_ieee_div_zero 0
		.amdhsa_exception_fp_ieee_overflow 0
		.amdhsa_exception_fp_ieee_underflow 0
		.amdhsa_exception_fp_ieee_inexact 0
		.amdhsa_exception_int_div_zero 0
	.end_amdhsa_kernel
	.section	.text._ZN7rocprim17ROCPRIM_400000_NS6detail17trampoline_kernelINS0_14default_configENS1_25transform_config_selectorIlLb0EEEZNS1_14transform_implILb0ES3_S5_NS0_18transform_iteratorINS0_17counting_iteratorImlEEZNS1_24adjacent_difference_implIS3_Lb1ELb0EPlSB_ZN2at6native12_GLOBAL__N_124unique_dim_cuda_templateImEESt5tupleIJNSC_6TensorESH_SH_EERKSH_lbbbEUlllE1_EE10hipError_tPvRmT2_T3_mT4_P12ihipStream_tbEUlmE_lEESB_NS0_8identityIvEEEESM_SP_SQ_mSR_ST_bEUlT_E_NS1_11comp_targetILNS1_3genE9ELNS1_11target_archE1100ELNS1_3gpuE3ELNS1_3repE0EEENS1_30default_config_static_selectorELNS0_4arch9wavefront6targetE1EEEvT1_,"axG",@progbits,_ZN7rocprim17ROCPRIM_400000_NS6detail17trampoline_kernelINS0_14default_configENS1_25transform_config_selectorIlLb0EEEZNS1_14transform_implILb0ES3_S5_NS0_18transform_iteratorINS0_17counting_iteratorImlEEZNS1_24adjacent_difference_implIS3_Lb1ELb0EPlSB_ZN2at6native12_GLOBAL__N_124unique_dim_cuda_templateImEESt5tupleIJNSC_6TensorESH_SH_EERKSH_lbbbEUlllE1_EE10hipError_tPvRmT2_T3_mT4_P12ihipStream_tbEUlmE_lEESB_NS0_8identityIvEEEESM_SP_SQ_mSR_ST_bEUlT_E_NS1_11comp_targetILNS1_3genE9ELNS1_11target_archE1100ELNS1_3gpuE3ELNS1_3repE0EEENS1_30default_config_static_selectorELNS0_4arch9wavefront6targetE1EEEvT1_,comdat
.Lfunc_end1651:
	.size	_ZN7rocprim17ROCPRIM_400000_NS6detail17trampoline_kernelINS0_14default_configENS1_25transform_config_selectorIlLb0EEEZNS1_14transform_implILb0ES3_S5_NS0_18transform_iteratorINS0_17counting_iteratorImlEEZNS1_24adjacent_difference_implIS3_Lb1ELb0EPlSB_ZN2at6native12_GLOBAL__N_124unique_dim_cuda_templateImEESt5tupleIJNSC_6TensorESH_SH_EERKSH_lbbbEUlllE1_EE10hipError_tPvRmT2_T3_mT4_P12ihipStream_tbEUlmE_lEESB_NS0_8identityIvEEEESM_SP_SQ_mSR_ST_bEUlT_E_NS1_11comp_targetILNS1_3genE9ELNS1_11target_archE1100ELNS1_3gpuE3ELNS1_3repE0EEENS1_30default_config_static_selectorELNS0_4arch9wavefront6targetE1EEEvT1_, .Lfunc_end1651-_ZN7rocprim17ROCPRIM_400000_NS6detail17trampoline_kernelINS0_14default_configENS1_25transform_config_selectorIlLb0EEEZNS1_14transform_implILb0ES3_S5_NS0_18transform_iteratorINS0_17counting_iteratorImlEEZNS1_24adjacent_difference_implIS3_Lb1ELb0EPlSB_ZN2at6native12_GLOBAL__N_124unique_dim_cuda_templateImEESt5tupleIJNSC_6TensorESH_SH_EERKSH_lbbbEUlllE1_EE10hipError_tPvRmT2_T3_mT4_P12ihipStream_tbEUlmE_lEESB_NS0_8identityIvEEEESM_SP_SQ_mSR_ST_bEUlT_E_NS1_11comp_targetILNS1_3genE9ELNS1_11target_archE1100ELNS1_3gpuE3ELNS1_3repE0EEENS1_30default_config_static_selectorELNS0_4arch9wavefront6targetE1EEEvT1_
                                        ; -- End function
	.section	.AMDGPU.csdata,"",@progbits
; Kernel info:
; codeLenInByte = 0
; NumSgprs: 4
; NumVgprs: 0
; NumAgprs: 0
; TotalNumVgprs: 0
; ScratchSize: 0
; MemoryBound: 0
; FloatMode: 240
; IeeeMode: 1
; LDSByteSize: 0 bytes/workgroup (compile time only)
; SGPRBlocks: 0
; VGPRBlocks: 0
; NumSGPRsForWavesPerEU: 4
; NumVGPRsForWavesPerEU: 1
; AccumOffset: 4
; Occupancy: 8
; WaveLimiterHint : 0
; COMPUTE_PGM_RSRC2:SCRATCH_EN: 0
; COMPUTE_PGM_RSRC2:USER_SGPR: 6
; COMPUTE_PGM_RSRC2:TRAP_HANDLER: 0
; COMPUTE_PGM_RSRC2:TGID_X_EN: 1
; COMPUTE_PGM_RSRC2:TGID_Y_EN: 0
; COMPUTE_PGM_RSRC2:TGID_Z_EN: 0
; COMPUTE_PGM_RSRC2:TIDIG_COMP_CNT: 0
; COMPUTE_PGM_RSRC3_GFX90A:ACCUM_OFFSET: 0
; COMPUTE_PGM_RSRC3_GFX90A:TG_SPLIT: 0
	.section	.text._ZN7rocprim17ROCPRIM_400000_NS6detail17trampoline_kernelINS0_14default_configENS1_25transform_config_selectorIlLb0EEEZNS1_14transform_implILb0ES3_S5_NS0_18transform_iteratorINS0_17counting_iteratorImlEEZNS1_24adjacent_difference_implIS3_Lb1ELb0EPlSB_ZN2at6native12_GLOBAL__N_124unique_dim_cuda_templateImEESt5tupleIJNSC_6TensorESH_SH_EERKSH_lbbbEUlllE1_EE10hipError_tPvRmT2_T3_mT4_P12ihipStream_tbEUlmE_lEESB_NS0_8identityIvEEEESM_SP_SQ_mSR_ST_bEUlT_E_NS1_11comp_targetILNS1_3genE8ELNS1_11target_archE1030ELNS1_3gpuE2ELNS1_3repE0EEENS1_30default_config_static_selectorELNS0_4arch9wavefront6targetE1EEEvT1_,"axG",@progbits,_ZN7rocprim17ROCPRIM_400000_NS6detail17trampoline_kernelINS0_14default_configENS1_25transform_config_selectorIlLb0EEEZNS1_14transform_implILb0ES3_S5_NS0_18transform_iteratorINS0_17counting_iteratorImlEEZNS1_24adjacent_difference_implIS3_Lb1ELb0EPlSB_ZN2at6native12_GLOBAL__N_124unique_dim_cuda_templateImEESt5tupleIJNSC_6TensorESH_SH_EERKSH_lbbbEUlllE1_EE10hipError_tPvRmT2_T3_mT4_P12ihipStream_tbEUlmE_lEESB_NS0_8identityIvEEEESM_SP_SQ_mSR_ST_bEUlT_E_NS1_11comp_targetILNS1_3genE8ELNS1_11target_archE1030ELNS1_3gpuE2ELNS1_3repE0EEENS1_30default_config_static_selectorELNS0_4arch9wavefront6targetE1EEEvT1_,comdat
	.globl	_ZN7rocprim17ROCPRIM_400000_NS6detail17trampoline_kernelINS0_14default_configENS1_25transform_config_selectorIlLb0EEEZNS1_14transform_implILb0ES3_S5_NS0_18transform_iteratorINS0_17counting_iteratorImlEEZNS1_24adjacent_difference_implIS3_Lb1ELb0EPlSB_ZN2at6native12_GLOBAL__N_124unique_dim_cuda_templateImEESt5tupleIJNSC_6TensorESH_SH_EERKSH_lbbbEUlllE1_EE10hipError_tPvRmT2_T3_mT4_P12ihipStream_tbEUlmE_lEESB_NS0_8identityIvEEEESM_SP_SQ_mSR_ST_bEUlT_E_NS1_11comp_targetILNS1_3genE8ELNS1_11target_archE1030ELNS1_3gpuE2ELNS1_3repE0EEENS1_30default_config_static_selectorELNS0_4arch9wavefront6targetE1EEEvT1_ ; -- Begin function _ZN7rocprim17ROCPRIM_400000_NS6detail17trampoline_kernelINS0_14default_configENS1_25transform_config_selectorIlLb0EEEZNS1_14transform_implILb0ES3_S5_NS0_18transform_iteratorINS0_17counting_iteratorImlEEZNS1_24adjacent_difference_implIS3_Lb1ELb0EPlSB_ZN2at6native12_GLOBAL__N_124unique_dim_cuda_templateImEESt5tupleIJNSC_6TensorESH_SH_EERKSH_lbbbEUlllE1_EE10hipError_tPvRmT2_T3_mT4_P12ihipStream_tbEUlmE_lEESB_NS0_8identityIvEEEESM_SP_SQ_mSR_ST_bEUlT_E_NS1_11comp_targetILNS1_3genE8ELNS1_11target_archE1030ELNS1_3gpuE2ELNS1_3repE0EEENS1_30default_config_static_selectorELNS0_4arch9wavefront6targetE1EEEvT1_
	.p2align	8
	.type	_ZN7rocprim17ROCPRIM_400000_NS6detail17trampoline_kernelINS0_14default_configENS1_25transform_config_selectorIlLb0EEEZNS1_14transform_implILb0ES3_S5_NS0_18transform_iteratorINS0_17counting_iteratorImlEEZNS1_24adjacent_difference_implIS3_Lb1ELb0EPlSB_ZN2at6native12_GLOBAL__N_124unique_dim_cuda_templateImEESt5tupleIJNSC_6TensorESH_SH_EERKSH_lbbbEUlllE1_EE10hipError_tPvRmT2_T3_mT4_P12ihipStream_tbEUlmE_lEESB_NS0_8identityIvEEEESM_SP_SQ_mSR_ST_bEUlT_E_NS1_11comp_targetILNS1_3genE8ELNS1_11target_archE1030ELNS1_3gpuE2ELNS1_3repE0EEENS1_30default_config_static_selectorELNS0_4arch9wavefront6targetE1EEEvT1_,@function
_ZN7rocprim17ROCPRIM_400000_NS6detail17trampoline_kernelINS0_14default_configENS1_25transform_config_selectorIlLb0EEEZNS1_14transform_implILb0ES3_S5_NS0_18transform_iteratorINS0_17counting_iteratorImlEEZNS1_24adjacent_difference_implIS3_Lb1ELb0EPlSB_ZN2at6native12_GLOBAL__N_124unique_dim_cuda_templateImEESt5tupleIJNSC_6TensorESH_SH_EERKSH_lbbbEUlllE1_EE10hipError_tPvRmT2_T3_mT4_P12ihipStream_tbEUlmE_lEESB_NS0_8identityIvEEEESM_SP_SQ_mSR_ST_bEUlT_E_NS1_11comp_targetILNS1_3genE8ELNS1_11target_archE1030ELNS1_3gpuE2ELNS1_3repE0EEENS1_30default_config_static_selectorELNS0_4arch9wavefront6targetE1EEEvT1_: ; @_ZN7rocprim17ROCPRIM_400000_NS6detail17trampoline_kernelINS0_14default_configENS1_25transform_config_selectorIlLb0EEEZNS1_14transform_implILb0ES3_S5_NS0_18transform_iteratorINS0_17counting_iteratorImlEEZNS1_24adjacent_difference_implIS3_Lb1ELb0EPlSB_ZN2at6native12_GLOBAL__N_124unique_dim_cuda_templateImEESt5tupleIJNSC_6TensorESH_SH_EERKSH_lbbbEUlllE1_EE10hipError_tPvRmT2_T3_mT4_P12ihipStream_tbEUlmE_lEESB_NS0_8identityIvEEEESM_SP_SQ_mSR_ST_bEUlT_E_NS1_11comp_targetILNS1_3genE8ELNS1_11target_archE1030ELNS1_3gpuE2ELNS1_3repE0EEENS1_30default_config_static_selectorELNS0_4arch9wavefront6targetE1EEEvT1_
; %bb.0:
	.section	.rodata,"a",@progbits
	.p2align	6, 0x0
	.amdhsa_kernel _ZN7rocprim17ROCPRIM_400000_NS6detail17trampoline_kernelINS0_14default_configENS1_25transform_config_selectorIlLb0EEEZNS1_14transform_implILb0ES3_S5_NS0_18transform_iteratorINS0_17counting_iteratorImlEEZNS1_24adjacent_difference_implIS3_Lb1ELb0EPlSB_ZN2at6native12_GLOBAL__N_124unique_dim_cuda_templateImEESt5tupleIJNSC_6TensorESH_SH_EERKSH_lbbbEUlllE1_EE10hipError_tPvRmT2_T3_mT4_P12ihipStream_tbEUlmE_lEESB_NS0_8identityIvEEEESM_SP_SQ_mSR_ST_bEUlT_E_NS1_11comp_targetILNS1_3genE8ELNS1_11target_archE1030ELNS1_3gpuE2ELNS1_3repE0EEENS1_30default_config_static_selectorELNS0_4arch9wavefront6targetE1EEEvT1_
		.amdhsa_group_segment_fixed_size 0
		.amdhsa_private_segment_fixed_size 0
		.amdhsa_kernarg_size 56
		.amdhsa_user_sgpr_count 6
		.amdhsa_user_sgpr_private_segment_buffer 1
		.amdhsa_user_sgpr_dispatch_ptr 0
		.amdhsa_user_sgpr_queue_ptr 0
		.amdhsa_user_sgpr_kernarg_segment_ptr 1
		.amdhsa_user_sgpr_dispatch_id 0
		.amdhsa_user_sgpr_flat_scratch_init 0
		.amdhsa_user_sgpr_kernarg_preload_length 0
		.amdhsa_user_sgpr_kernarg_preload_offset 0
		.amdhsa_user_sgpr_private_segment_size 0
		.amdhsa_uses_dynamic_stack 0
		.amdhsa_system_sgpr_private_segment_wavefront_offset 0
		.amdhsa_system_sgpr_workgroup_id_x 1
		.amdhsa_system_sgpr_workgroup_id_y 0
		.amdhsa_system_sgpr_workgroup_id_z 0
		.amdhsa_system_sgpr_workgroup_info 0
		.amdhsa_system_vgpr_workitem_id 0
		.amdhsa_next_free_vgpr 1
		.amdhsa_next_free_sgpr 0
		.amdhsa_accum_offset 4
		.amdhsa_reserve_vcc 0
		.amdhsa_reserve_flat_scratch 0
		.amdhsa_float_round_mode_32 0
		.amdhsa_float_round_mode_16_64 0
		.amdhsa_float_denorm_mode_32 3
		.amdhsa_float_denorm_mode_16_64 3
		.amdhsa_dx10_clamp 1
		.amdhsa_ieee_mode 1
		.amdhsa_fp16_overflow 0
		.amdhsa_tg_split 0
		.amdhsa_exception_fp_ieee_invalid_op 0
		.amdhsa_exception_fp_denorm_src 0
		.amdhsa_exception_fp_ieee_div_zero 0
		.amdhsa_exception_fp_ieee_overflow 0
		.amdhsa_exception_fp_ieee_underflow 0
		.amdhsa_exception_fp_ieee_inexact 0
		.amdhsa_exception_int_div_zero 0
	.end_amdhsa_kernel
	.section	.text._ZN7rocprim17ROCPRIM_400000_NS6detail17trampoline_kernelINS0_14default_configENS1_25transform_config_selectorIlLb0EEEZNS1_14transform_implILb0ES3_S5_NS0_18transform_iteratorINS0_17counting_iteratorImlEEZNS1_24adjacent_difference_implIS3_Lb1ELb0EPlSB_ZN2at6native12_GLOBAL__N_124unique_dim_cuda_templateImEESt5tupleIJNSC_6TensorESH_SH_EERKSH_lbbbEUlllE1_EE10hipError_tPvRmT2_T3_mT4_P12ihipStream_tbEUlmE_lEESB_NS0_8identityIvEEEESM_SP_SQ_mSR_ST_bEUlT_E_NS1_11comp_targetILNS1_3genE8ELNS1_11target_archE1030ELNS1_3gpuE2ELNS1_3repE0EEENS1_30default_config_static_selectorELNS0_4arch9wavefront6targetE1EEEvT1_,"axG",@progbits,_ZN7rocprim17ROCPRIM_400000_NS6detail17trampoline_kernelINS0_14default_configENS1_25transform_config_selectorIlLb0EEEZNS1_14transform_implILb0ES3_S5_NS0_18transform_iteratorINS0_17counting_iteratorImlEEZNS1_24adjacent_difference_implIS3_Lb1ELb0EPlSB_ZN2at6native12_GLOBAL__N_124unique_dim_cuda_templateImEESt5tupleIJNSC_6TensorESH_SH_EERKSH_lbbbEUlllE1_EE10hipError_tPvRmT2_T3_mT4_P12ihipStream_tbEUlmE_lEESB_NS0_8identityIvEEEESM_SP_SQ_mSR_ST_bEUlT_E_NS1_11comp_targetILNS1_3genE8ELNS1_11target_archE1030ELNS1_3gpuE2ELNS1_3repE0EEENS1_30default_config_static_selectorELNS0_4arch9wavefront6targetE1EEEvT1_,comdat
.Lfunc_end1652:
	.size	_ZN7rocprim17ROCPRIM_400000_NS6detail17trampoline_kernelINS0_14default_configENS1_25transform_config_selectorIlLb0EEEZNS1_14transform_implILb0ES3_S5_NS0_18transform_iteratorINS0_17counting_iteratorImlEEZNS1_24adjacent_difference_implIS3_Lb1ELb0EPlSB_ZN2at6native12_GLOBAL__N_124unique_dim_cuda_templateImEESt5tupleIJNSC_6TensorESH_SH_EERKSH_lbbbEUlllE1_EE10hipError_tPvRmT2_T3_mT4_P12ihipStream_tbEUlmE_lEESB_NS0_8identityIvEEEESM_SP_SQ_mSR_ST_bEUlT_E_NS1_11comp_targetILNS1_3genE8ELNS1_11target_archE1030ELNS1_3gpuE2ELNS1_3repE0EEENS1_30default_config_static_selectorELNS0_4arch9wavefront6targetE1EEEvT1_, .Lfunc_end1652-_ZN7rocprim17ROCPRIM_400000_NS6detail17trampoline_kernelINS0_14default_configENS1_25transform_config_selectorIlLb0EEEZNS1_14transform_implILb0ES3_S5_NS0_18transform_iteratorINS0_17counting_iteratorImlEEZNS1_24adjacent_difference_implIS3_Lb1ELb0EPlSB_ZN2at6native12_GLOBAL__N_124unique_dim_cuda_templateImEESt5tupleIJNSC_6TensorESH_SH_EERKSH_lbbbEUlllE1_EE10hipError_tPvRmT2_T3_mT4_P12ihipStream_tbEUlmE_lEESB_NS0_8identityIvEEEESM_SP_SQ_mSR_ST_bEUlT_E_NS1_11comp_targetILNS1_3genE8ELNS1_11target_archE1030ELNS1_3gpuE2ELNS1_3repE0EEENS1_30default_config_static_selectorELNS0_4arch9wavefront6targetE1EEEvT1_
                                        ; -- End function
	.section	.AMDGPU.csdata,"",@progbits
; Kernel info:
; codeLenInByte = 0
; NumSgprs: 4
; NumVgprs: 0
; NumAgprs: 0
; TotalNumVgprs: 0
; ScratchSize: 0
; MemoryBound: 0
; FloatMode: 240
; IeeeMode: 1
; LDSByteSize: 0 bytes/workgroup (compile time only)
; SGPRBlocks: 0
; VGPRBlocks: 0
; NumSGPRsForWavesPerEU: 4
; NumVGPRsForWavesPerEU: 1
; AccumOffset: 4
; Occupancy: 8
; WaveLimiterHint : 0
; COMPUTE_PGM_RSRC2:SCRATCH_EN: 0
; COMPUTE_PGM_RSRC2:USER_SGPR: 6
; COMPUTE_PGM_RSRC2:TRAP_HANDLER: 0
; COMPUTE_PGM_RSRC2:TGID_X_EN: 1
; COMPUTE_PGM_RSRC2:TGID_Y_EN: 0
; COMPUTE_PGM_RSRC2:TGID_Z_EN: 0
; COMPUTE_PGM_RSRC2:TIDIG_COMP_CNT: 0
; COMPUTE_PGM_RSRC3_GFX90A:ACCUM_OFFSET: 0
; COMPUTE_PGM_RSRC3_GFX90A:TG_SPLIT: 0
	.section	.text._ZN7rocprim17ROCPRIM_400000_NS6detail17trampoline_kernelINS0_14default_configENS1_35adjacent_difference_config_selectorILb1ElEEZNS1_24adjacent_difference_implIS3_Lb1ELb0EPlS7_ZN2at6native12_GLOBAL__N_124unique_dim_cuda_templateImEESt5tupleIJNS8_6TensorESD_SD_EERKSD_lbbbEUlllE1_EE10hipError_tPvRmT2_T3_mT4_P12ihipStream_tbEUlT_E_NS1_11comp_targetILNS1_3genE0ELNS1_11target_archE4294967295ELNS1_3gpuE0ELNS1_3repE0EEENS1_30default_config_static_selectorELNS0_4arch9wavefront6targetE1EEEvT1_,"axG",@progbits,_ZN7rocprim17ROCPRIM_400000_NS6detail17trampoline_kernelINS0_14default_configENS1_35adjacent_difference_config_selectorILb1ElEEZNS1_24adjacent_difference_implIS3_Lb1ELb0EPlS7_ZN2at6native12_GLOBAL__N_124unique_dim_cuda_templateImEESt5tupleIJNS8_6TensorESD_SD_EERKSD_lbbbEUlllE1_EE10hipError_tPvRmT2_T3_mT4_P12ihipStream_tbEUlT_E_NS1_11comp_targetILNS1_3genE0ELNS1_11target_archE4294967295ELNS1_3gpuE0ELNS1_3repE0EEENS1_30default_config_static_selectorELNS0_4arch9wavefront6targetE1EEEvT1_,comdat
	.globl	_ZN7rocprim17ROCPRIM_400000_NS6detail17trampoline_kernelINS0_14default_configENS1_35adjacent_difference_config_selectorILb1ElEEZNS1_24adjacent_difference_implIS3_Lb1ELb0EPlS7_ZN2at6native12_GLOBAL__N_124unique_dim_cuda_templateImEESt5tupleIJNS8_6TensorESD_SD_EERKSD_lbbbEUlllE1_EE10hipError_tPvRmT2_T3_mT4_P12ihipStream_tbEUlT_E_NS1_11comp_targetILNS1_3genE0ELNS1_11target_archE4294967295ELNS1_3gpuE0ELNS1_3repE0EEENS1_30default_config_static_selectorELNS0_4arch9wavefront6targetE1EEEvT1_ ; -- Begin function _ZN7rocprim17ROCPRIM_400000_NS6detail17trampoline_kernelINS0_14default_configENS1_35adjacent_difference_config_selectorILb1ElEEZNS1_24adjacent_difference_implIS3_Lb1ELb0EPlS7_ZN2at6native12_GLOBAL__N_124unique_dim_cuda_templateImEESt5tupleIJNS8_6TensorESD_SD_EERKSD_lbbbEUlllE1_EE10hipError_tPvRmT2_T3_mT4_P12ihipStream_tbEUlT_E_NS1_11comp_targetILNS1_3genE0ELNS1_11target_archE4294967295ELNS1_3gpuE0ELNS1_3repE0EEENS1_30default_config_static_selectorELNS0_4arch9wavefront6targetE1EEEvT1_
	.p2align	8
	.type	_ZN7rocprim17ROCPRIM_400000_NS6detail17trampoline_kernelINS0_14default_configENS1_35adjacent_difference_config_selectorILb1ElEEZNS1_24adjacent_difference_implIS3_Lb1ELb0EPlS7_ZN2at6native12_GLOBAL__N_124unique_dim_cuda_templateImEESt5tupleIJNS8_6TensorESD_SD_EERKSD_lbbbEUlllE1_EE10hipError_tPvRmT2_T3_mT4_P12ihipStream_tbEUlT_E_NS1_11comp_targetILNS1_3genE0ELNS1_11target_archE4294967295ELNS1_3gpuE0ELNS1_3repE0EEENS1_30default_config_static_selectorELNS0_4arch9wavefront6targetE1EEEvT1_,@function
_ZN7rocprim17ROCPRIM_400000_NS6detail17trampoline_kernelINS0_14default_configENS1_35adjacent_difference_config_selectorILb1ElEEZNS1_24adjacent_difference_implIS3_Lb1ELb0EPlS7_ZN2at6native12_GLOBAL__N_124unique_dim_cuda_templateImEESt5tupleIJNS8_6TensorESD_SD_EERKSD_lbbbEUlllE1_EE10hipError_tPvRmT2_T3_mT4_P12ihipStream_tbEUlT_E_NS1_11comp_targetILNS1_3genE0ELNS1_11target_archE4294967295ELNS1_3gpuE0ELNS1_3repE0EEENS1_30default_config_static_selectorELNS0_4arch9wavefront6targetE1EEEvT1_: ; @_ZN7rocprim17ROCPRIM_400000_NS6detail17trampoline_kernelINS0_14default_configENS1_35adjacent_difference_config_selectorILb1ElEEZNS1_24adjacent_difference_implIS3_Lb1ELb0EPlS7_ZN2at6native12_GLOBAL__N_124unique_dim_cuda_templateImEESt5tupleIJNS8_6TensorESD_SD_EERKSD_lbbbEUlllE1_EE10hipError_tPvRmT2_T3_mT4_P12ihipStream_tbEUlT_E_NS1_11comp_targetILNS1_3genE0ELNS1_11target_archE4294967295ELNS1_3gpuE0ELNS1_3repE0EEENS1_30default_config_static_selectorELNS0_4arch9wavefront6targetE1EEEvT1_
; %bb.0:
	.section	.rodata,"a",@progbits
	.p2align	6, 0x0
	.amdhsa_kernel _ZN7rocprim17ROCPRIM_400000_NS6detail17trampoline_kernelINS0_14default_configENS1_35adjacent_difference_config_selectorILb1ElEEZNS1_24adjacent_difference_implIS3_Lb1ELb0EPlS7_ZN2at6native12_GLOBAL__N_124unique_dim_cuda_templateImEESt5tupleIJNS8_6TensorESD_SD_EERKSD_lbbbEUlllE1_EE10hipError_tPvRmT2_T3_mT4_P12ihipStream_tbEUlT_E_NS1_11comp_targetILNS1_3genE0ELNS1_11target_archE4294967295ELNS1_3gpuE0ELNS1_3repE0EEENS1_30default_config_static_selectorELNS0_4arch9wavefront6targetE1EEEvT1_
		.amdhsa_group_segment_fixed_size 0
		.amdhsa_private_segment_fixed_size 0
		.amdhsa_kernarg_size 64
		.amdhsa_user_sgpr_count 6
		.amdhsa_user_sgpr_private_segment_buffer 1
		.amdhsa_user_sgpr_dispatch_ptr 0
		.amdhsa_user_sgpr_queue_ptr 0
		.amdhsa_user_sgpr_kernarg_segment_ptr 1
		.amdhsa_user_sgpr_dispatch_id 0
		.amdhsa_user_sgpr_flat_scratch_init 0
		.amdhsa_user_sgpr_kernarg_preload_length 0
		.amdhsa_user_sgpr_kernarg_preload_offset 0
		.amdhsa_user_sgpr_private_segment_size 0
		.amdhsa_uses_dynamic_stack 0
		.amdhsa_system_sgpr_private_segment_wavefront_offset 0
		.amdhsa_system_sgpr_workgroup_id_x 1
		.amdhsa_system_sgpr_workgroup_id_y 0
		.amdhsa_system_sgpr_workgroup_id_z 0
		.amdhsa_system_sgpr_workgroup_info 0
		.amdhsa_system_vgpr_workitem_id 0
		.amdhsa_next_free_vgpr 1
		.amdhsa_next_free_sgpr 0
		.amdhsa_accum_offset 4
		.amdhsa_reserve_vcc 0
		.amdhsa_reserve_flat_scratch 0
		.amdhsa_float_round_mode_32 0
		.amdhsa_float_round_mode_16_64 0
		.amdhsa_float_denorm_mode_32 3
		.amdhsa_float_denorm_mode_16_64 3
		.amdhsa_dx10_clamp 1
		.amdhsa_ieee_mode 1
		.amdhsa_fp16_overflow 0
		.amdhsa_tg_split 0
		.amdhsa_exception_fp_ieee_invalid_op 0
		.amdhsa_exception_fp_denorm_src 0
		.amdhsa_exception_fp_ieee_div_zero 0
		.amdhsa_exception_fp_ieee_overflow 0
		.amdhsa_exception_fp_ieee_underflow 0
		.amdhsa_exception_fp_ieee_inexact 0
		.amdhsa_exception_int_div_zero 0
	.end_amdhsa_kernel
	.section	.text._ZN7rocprim17ROCPRIM_400000_NS6detail17trampoline_kernelINS0_14default_configENS1_35adjacent_difference_config_selectorILb1ElEEZNS1_24adjacent_difference_implIS3_Lb1ELb0EPlS7_ZN2at6native12_GLOBAL__N_124unique_dim_cuda_templateImEESt5tupleIJNS8_6TensorESD_SD_EERKSD_lbbbEUlllE1_EE10hipError_tPvRmT2_T3_mT4_P12ihipStream_tbEUlT_E_NS1_11comp_targetILNS1_3genE0ELNS1_11target_archE4294967295ELNS1_3gpuE0ELNS1_3repE0EEENS1_30default_config_static_selectorELNS0_4arch9wavefront6targetE1EEEvT1_,"axG",@progbits,_ZN7rocprim17ROCPRIM_400000_NS6detail17trampoline_kernelINS0_14default_configENS1_35adjacent_difference_config_selectorILb1ElEEZNS1_24adjacent_difference_implIS3_Lb1ELb0EPlS7_ZN2at6native12_GLOBAL__N_124unique_dim_cuda_templateImEESt5tupleIJNS8_6TensorESD_SD_EERKSD_lbbbEUlllE1_EE10hipError_tPvRmT2_T3_mT4_P12ihipStream_tbEUlT_E_NS1_11comp_targetILNS1_3genE0ELNS1_11target_archE4294967295ELNS1_3gpuE0ELNS1_3repE0EEENS1_30default_config_static_selectorELNS0_4arch9wavefront6targetE1EEEvT1_,comdat
.Lfunc_end1653:
	.size	_ZN7rocprim17ROCPRIM_400000_NS6detail17trampoline_kernelINS0_14default_configENS1_35adjacent_difference_config_selectorILb1ElEEZNS1_24adjacent_difference_implIS3_Lb1ELb0EPlS7_ZN2at6native12_GLOBAL__N_124unique_dim_cuda_templateImEESt5tupleIJNS8_6TensorESD_SD_EERKSD_lbbbEUlllE1_EE10hipError_tPvRmT2_T3_mT4_P12ihipStream_tbEUlT_E_NS1_11comp_targetILNS1_3genE0ELNS1_11target_archE4294967295ELNS1_3gpuE0ELNS1_3repE0EEENS1_30default_config_static_selectorELNS0_4arch9wavefront6targetE1EEEvT1_, .Lfunc_end1653-_ZN7rocprim17ROCPRIM_400000_NS6detail17trampoline_kernelINS0_14default_configENS1_35adjacent_difference_config_selectorILb1ElEEZNS1_24adjacent_difference_implIS3_Lb1ELb0EPlS7_ZN2at6native12_GLOBAL__N_124unique_dim_cuda_templateImEESt5tupleIJNS8_6TensorESD_SD_EERKSD_lbbbEUlllE1_EE10hipError_tPvRmT2_T3_mT4_P12ihipStream_tbEUlT_E_NS1_11comp_targetILNS1_3genE0ELNS1_11target_archE4294967295ELNS1_3gpuE0ELNS1_3repE0EEENS1_30default_config_static_selectorELNS0_4arch9wavefront6targetE1EEEvT1_
                                        ; -- End function
	.section	.AMDGPU.csdata,"",@progbits
; Kernel info:
; codeLenInByte = 0
; NumSgprs: 4
; NumVgprs: 0
; NumAgprs: 0
; TotalNumVgprs: 0
; ScratchSize: 0
; MemoryBound: 0
; FloatMode: 240
; IeeeMode: 1
; LDSByteSize: 0 bytes/workgroup (compile time only)
; SGPRBlocks: 0
; VGPRBlocks: 0
; NumSGPRsForWavesPerEU: 4
; NumVGPRsForWavesPerEU: 1
; AccumOffset: 4
; Occupancy: 8
; WaveLimiterHint : 0
; COMPUTE_PGM_RSRC2:SCRATCH_EN: 0
; COMPUTE_PGM_RSRC2:USER_SGPR: 6
; COMPUTE_PGM_RSRC2:TRAP_HANDLER: 0
; COMPUTE_PGM_RSRC2:TGID_X_EN: 1
; COMPUTE_PGM_RSRC2:TGID_Y_EN: 0
; COMPUTE_PGM_RSRC2:TGID_Z_EN: 0
; COMPUTE_PGM_RSRC2:TIDIG_COMP_CNT: 0
; COMPUTE_PGM_RSRC3_GFX90A:ACCUM_OFFSET: 0
; COMPUTE_PGM_RSRC3_GFX90A:TG_SPLIT: 0
	.section	.text._ZN7rocprim17ROCPRIM_400000_NS6detail17trampoline_kernelINS0_14default_configENS1_35adjacent_difference_config_selectorILb1ElEEZNS1_24adjacent_difference_implIS3_Lb1ELb0EPlS7_ZN2at6native12_GLOBAL__N_124unique_dim_cuda_templateImEESt5tupleIJNS8_6TensorESD_SD_EERKSD_lbbbEUlllE1_EE10hipError_tPvRmT2_T3_mT4_P12ihipStream_tbEUlT_E_NS1_11comp_targetILNS1_3genE10ELNS1_11target_archE1201ELNS1_3gpuE5ELNS1_3repE0EEENS1_30default_config_static_selectorELNS0_4arch9wavefront6targetE1EEEvT1_,"axG",@progbits,_ZN7rocprim17ROCPRIM_400000_NS6detail17trampoline_kernelINS0_14default_configENS1_35adjacent_difference_config_selectorILb1ElEEZNS1_24adjacent_difference_implIS3_Lb1ELb0EPlS7_ZN2at6native12_GLOBAL__N_124unique_dim_cuda_templateImEESt5tupleIJNS8_6TensorESD_SD_EERKSD_lbbbEUlllE1_EE10hipError_tPvRmT2_T3_mT4_P12ihipStream_tbEUlT_E_NS1_11comp_targetILNS1_3genE10ELNS1_11target_archE1201ELNS1_3gpuE5ELNS1_3repE0EEENS1_30default_config_static_selectorELNS0_4arch9wavefront6targetE1EEEvT1_,comdat
	.globl	_ZN7rocprim17ROCPRIM_400000_NS6detail17trampoline_kernelINS0_14default_configENS1_35adjacent_difference_config_selectorILb1ElEEZNS1_24adjacent_difference_implIS3_Lb1ELb0EPlS7_ZN2at6native12_GLOBAL__N_124unique_dim_cuda_templateImEESt5tupleIJNS8_6TensorESD_SD_EERKSD_lbbbEUlllE1_EE10hipError_tPvRmT2_T3_mT4_P12ihipStream_tbEUlT_E_NS1_11comp_targetILNS1_3genE10ELNS1_11target_archE1201ELNS1_3gpuE5ELNS1_3repE0EEENS1_30default_config_static_selectorELNS0_4arch9wavefront6targetE1EEEvT1_ ; -- Begin function _ZN7rocprim17ROCPRIM_400000_NS6detail17trampoline_kernelINS0_14default_configENS1_35adjacent_difference_config_selectorILb1ElEEZNS1_24adjacent_difference_implIS3_Lb1ELb0EPlS7_ZN2at6native12_GLOBAL__N_124unique_dim_cuda_templateImEESt5tupleIJNS8_6TensorESD_SD_EERKSD_lbbbEUlllE1_EE10hipError_tPvRmT2_T3_mT4_P12ihipStream_tbEUlT_E_NS1_11comp_targetILNS1_3genE10ELNS1_11target_archE1201ELNS1_3gpuE5ELNS1_3repE0EEENS1_30default_config_static_selectorELNS0_4arch9wavefront6targetE1EEEvT1_
	.p2align	8
	.type	_ZN7rocprim17ROCPRIM_400000_NS6detail17trampoline_kernelINS0_14default_configENS1_35adjacent_difference_config_selectorILb1ElEEZNS1_24adjacent_difference_implIS3_Lb1ELb0EPlS7_ZN2at6native12_GLOBAL__N_124unique_dim_cuda_templateImEESt5tupleIJNS8_6TensorESD_SD_EERKSD_lbbbEUlllE1_EE10hipError_tPvRmT2_T3_mT4_P12ihipStream_tbEUlT_E_NS1_11comp_targetILNS1_3genE10ELNS1_11target_archE1201ELNS1_3gpuE5ELNS1_3repE0EEENS1_30default_config_static_selectorELNS0_4arch9wavefront6targetE1EEEvT1_,@function
_ZN7rocprim17ROCPRIM_400000_NS6detail17trampoline_kernelINS0_14default_configENS1_35adjacent_difference_config_selectorILb1ElEEZNS1_24adjacent_difference_implIS3_Lb1ELb0EPlS7_ZN2at6native12_GLOBAL__N_124unique_dim_cuda_templateImEESt5tupleIJNS8_6TensorESD_SD_EERKSD_lbbbEUlllE1_EE10hipError_tPvRmT2_T3_mT4_P12ihipStream_tbEUlT_E_NS1_11comp_targetILNS1_3genE10ELNS1_11target_archE1201ELNS1_3gpuE5ELNS1_3repE0EEENS1_30default_config_static_selectorELNS0_4arch9wavefront6targetE1EEEvT1_: ; @_ZN7rocprim17ROCPRIM_400000_NS6detail17trampoline_kernelINS0_14default_configENS1_35adjacent_difference_config_selectorILb1ElEEZNS1_24adjacent_difference_implIS3_Lb1ELb0EPlS7_ZN2at6native12_GLOBAL__N_124unique_dim_cuda_templateImEESt5tupleIJNS8_6TensorESD_SD_EERKSD_lbbbEUlllE1_EE10hipError_tPvRmT2_T3_mT4_P12ihipStream_tbEUlT_E_NS1_11comp_targetILNS1_3genE10ELNS1_11target_archE1201ELNS1_3gpuE5ELNS1_3repE0EEENS1_30default_config_static_selectorELNS0_4arch9wavefront6targetE1EEEvT1_
; %bb.0:
	.section	.rodata,"a",@progbits
	.p2align	6, 0x0
	.amdhsa_kernel _ZN7rocprim17ROCPRIM_400000_NS6detail17trampoline_kernelINS0_14default_configENS1_35adjacent_difference_config_selectorILb1ElEEZNS1_24adjacent_difference_implIS3_Lb1ELb0EPlS7_ZN2at6native12_GLOBAL__N_124unique_dim_cuda_templateImEESt5tupleIJNS8_6TensorESD_SD_EERKSD_lbbbEUlllE1_EE10hipError_tPvRmT2_T3_mT4_P12ihipStream_tbEUlT_E_NS1_11comp_targetILNS1_3genE10ELNS1_11target_archE1201ELNS1_3gpuE5ELNS1_3repE0EEENS1_30default_config_static_selectorELNS0_4arch9wavefront6targetE1EEEvT1_
		.amdhsa_group_segment_fixed_size 0
		.amdhsa_private_segment_fixed_size 0
		.amdhsa_kernarg_size 64
		.amdhsa_user_sgpr_count 6
		.amdhsa_user_sgpr_private_segment_buffer 1
		.amdhsa_user_sgpr_dispatch_ptr 0
		.amdhsa_user_sgpr_queue_ptr 0
		.amdhsa_user_sgpr_kernarg_segment_ptr 1
		.amdhsa_user_sgpr_dispatch_id 0
		.amdhsa_user_sgpr_flat_scratch_init 0
		.amdhsa_user_sgpr_kernarg_preload_length 0
		.amdhsa_user_sgpr_kernarg_preload_offset 0
		.amdhsa_user_sgpr_private_segment_size 0
		.amdhsa_uses_dynamic_stack 0
		.amdhsa_system_sgpr_private_segment_wavefront_offset 0
		.amdhsa_system_sgpr_workgroup_id_x 1
		.amdhsa_system_sgpr_workgroup_id_y 0
		.amdhsa_system_sgpr_workgroup_id_z 0
		.amdhsa_system_sgpr_workgroup_info 0
		.amdhsa_system_vgpr_workitem_id 0
		.amdhsa_next_free_vgpr 1
		.amdhsa_next_free_sgpr 0
		.amdhsa_accum_offset 4
		.amdhsa_reserve_vcc 0
		.amdhsa_reserve_flat_scratch 0
		.amdhsa_float_round_mode_32 0
		.amdhsa_float_round_mode_16_64 0
		.amdhsa_float_denorm_mode_32 3
		.amdhsa_float_denorm_mode_16_64 3
		.amdhsa_dx10_clamp 1
		.amdhsa_ieee_mode 1
		.amdhsa_fp16_overflow 0
		.amdhsa_tg_split 0
		.amdhsa_exception_fp_ieee_invalid_op 0
		.amdhsa_exception_fp_denorm_src 0
		.amdhsa_exception_fp_ieee_div_zero 0
		.amdhsa_exception_fp_ieee_overflow 0
		.amdhsa_exception_fp_ieee_underflow 0
		.amdhsa_exception_fp_ieee_inexact 0
		.amdhsa_exception_int_div_zero 0
	.end_amdhsa_kernel
	.section	.text._ZN7rocprim17ROCPRIM_400000_NS6detail17trampoline_kernelINS0_14default_configENS1_35adjacent_difference_config_selectorILb1ElEEZNS1_24adjacent_difference_implIS3_Lb1ELb0EPlS7_ZN2at6native12_GLOBAL__N_124unique_dim_cuda_templateImEESt5tupleIJNS8_6TensorESD_SD_EERKSD_lbbbEUlllE1_EE10hipError_tPvRmT2_T3_mT4_P12ihipStream_tbEUlT_E_NS1_11comp_targetILNS1_3genE10ELNS1_11target_archE1201ELNS1_3gpuE5ELNS1_3repE0EEENS1_30default_config_static_selectorELNS0_4arch9wavefront6targetE1EEEvT1_,"axG",@progbits,_ZN7rocprim17ROCPRIM_400000_NS6detail17trampoline_kernelINS0_14default_configENS1_35adjacent_difference_config_selectorILb1ElEEZNS1_24adjacent_difference_implIS3_Lb1ELb0EPlS7_ZN2at6native12_GLOBAL__N_124unique_dim_cuda_templateImEESt5tupleIJNS8_6TensorESD_SD_EERKSD_lbbbEUlllE1_EE10hipError_tPvRmT2_T3_mT4_P12ihipStream_tbEUlT_E_NS1_11comp_targetILNS1_3genE10ELNS1_11target_archE1201ELNS1_3gpuE5ELNS1_3repE0EEENS1_30default_config_static_selectorELNS0_4arch9wavefront6targetE1EEEvT1_,comdat
.Lfunc_end1654:
	.size	_ZN7rocprim17ROCPRIM_400000_NS6detail17trampoline_kernelINS0_14default_configENS1_35adjacent_difference_config_selectorILb1ElEEZNS1_24adjacent_difference_implIS3_Lb1ELb0EPlS7_ZN2at6native12_GLOBAL__N_124unique_dim_cuda_templateImEESt5tupleIJNS8_6TensorESD_SD_EERKSD_lbbbEUlllE1_EE10hipError_tPvRmT2_T3_mT4_P12ihipStream_tbEUlT_E_NS1_11comp_targetILNS1_3genE10ELNS1_11target_archE1201ELNS1_3gpuE5ELNS1_3repE0EEENS1_30default_config_static_selectorELNS0_4arch9wavefront6targetE1EEEvT1_, .Lfunc_end1654-_ZN7rocprim17ROCPRIM_400000_NS6detail17trampoline_kernelINS0_14default_configENS1_35adjacent_difference_config_selectorILb1ElEEZNS1_24adjacent_difference_implIS3_Lb1ELb0EPlS7_ZN2at6native12_GLOBAL__N_124unique_dim_cuda_templateImEESt5tupleIJNS8_6TensorESD_SD_EERKSD_lbbbEUlllE1_EE10hipError_tPvRmT2_T3_mT4_P12ihipStream_tbEUlT_E_NS1_11comp_targetILNS1_3genE10ELNS1_11target_archE1201ELNS1_3gpuE5ELNS1_3repE0EEENS1_30default_config_static_selectorELNS0_4arch9wavefront6targetE1EEEvT1_
                                        ; -- End function
	.section	.AMDGPU.csdata,"",@progbits
; Kernel info:
; codeLenInByte = 0
; NumSgprs: 4
; NumVgprs: 0
; NumAgprs: 0
; TotalNumVgprs: 0
; ScratchSize: 0
; MemoryBound: 0
; FloatMode: 240
; IeeeMode: 1
; LDSByteSize: 0 bytes/workgroup (compile time only)
; SGPRBlocks: 0
; VGPRBlocks: 0
; NumSGPRsForWavesPerEU: 4
; NumVGPRsForWavesPerEU: 1
; AccumOffset: 4
; Occupancy: 8
; WaveLimiterHint : 0
; COMPUTE_PGM_RSRC2:SCRATCH_EN: 0
; COMPUTE_PGM_RSRC2:USER_SGPR: 6
; COMPUTE_PGM_RSRC2:TRAP_HANDLER: 0
; COMPUTE_PGM_RSRC2:TGID_X_EN: 1
; COMPUTE_PGM_RSRC2:TGID_Y_EN: 0
; COMPUTE_PGM_RSRC2:TGID_Z_EN: 0
; COMPUTE_PGM_RSRC2:TIDIG_COMP_CNT: 0
; COMPUTE_PGM_RSRC3_GFX90A:ACCUM_OFFSET: 0
; COMPUTE_PGM_RSRC3_GFX90A:TG_SPLIT: 0
	.section	.text._ZN7rocprim17ROCPRIM_400000_NS6detail17trampoline_kernelINS0_14default_configENS1_35adjacent_difference_config_selectorILb1ElEEZNS1_24adjacent_difference_implIS3_Lb1ELb0EPlS7_ZN2at6native12_GLOBAL__N_124unique_dim_cuda_templateImEESt5tupleIJNS8_6TensorESD_SD_EERKSD_lbbbEUlllE1_EE10hipError_tPvRmT2_T3_mT4_P12ihipStream_tbEUlT_E_NS1_11comp_targetILNS1_3genE5ELNS1_11target_archE942ELNS1_3gpuE9ELNS1_3repE0EEENS1_30default_config_static_selectorELNS0_4arch9wavefront6targetE1EEEvT1_,"axG",@progbits,_ZN7rocprim17ROCPRIM_400000_NS6detail17trampoline_kernelINS0_14default_configENS1_35adjacent_difference_config_selectorILb1ElEEZNS1_24adjacent_difference_implIS3_Lb1ELb0EPlS7_ZN2at6native12_GLOBAL__N_124unique_dim_cuda_templateImEESt5tupleIJNS8_6TensorESD_SD_EERKSD_lbbbEUlllE1_EE10hipError_tPvRmT2_T3_mT4_P12ihipStream_tbEUlT_E_NS1_11comp_targetILNS1_3genE5ELNS1_11target_archE942ELNS1_3gpuE9ELNS1_3repE0EEENS1_30default_config_static_selectorELNS0_4arch9wavefront6targetE1EEEvT1_,comdat
	.globl	_ZN7rocprim17ROCPRIM_400000_NS6detail17trampoline_kernelINS0_14default_configENS1_35adjacent_difference_config_selectorILb1ElEEZNS1_24adjacent_difference_implIS3_Lb1ELb0EPlS7_ZN2at6native12_GLOBAL__N_124unique_dim_cuda_templateImEESt5tupleIJNS8_6TensorESD_SD_EERKSD_lbbbEUlllE1_EE10hipError_tPvRmT2_T3_mT4_P12ihipStream_tbEUlT_E_NS1_11comp_targetILNS1_3genE5ELNS1_11target_archE942ELNS1_3gpuE9ELNS1_3repE0EEENS1_30default_config_static_selectorELNS0_4arch9wavefront6targetE1EEEvT1_ ; -- Begin function _ZN7rocprim17ROCPRIM_400000_NS6detail17trampoline_kernelINS0_14default_configENS1_35adjacent_difference_config_selectorILb1ElEEZNS1_24adjacent_difference_implIS3_Lb1ELb0EPlS7_ZN2at6native12_GLOBAL__N_124unique_dim_cuda_templateImEESt5tupleIJNS8_6TensorESD_SD_EERKSD_lbbbEUlllE1_EE10hipError_tPvRmT2_T3_mT4_P12ihipStream_tbEUlT_E_NS1_11comp_targetILNS1_3genE5ELNS1_11target_archE942ELNS1_3gpuE9ELNS1_3repE0EEENS1_30default_config_static_selectorELNS0_4arch9wavefront6targetE1EEEvT1_
	.p2align	8
	.type	_ZN7rocprim17ROCPRIM_400000_NS6detail17trampoline_kernelINS0_14default_configENS1_35adjacent_difference_config_selectorILb1ElEEZNS1_24adjacent_difference_implIS3_Lb1ELb0EPlS7_ZN2at6native12_GLOBAL__N_124unique_dim_cuda_templateImEESt5tupleIJNS8_6TensorESD_SD_EERKSD_lbbbEUlllE1_EE10hipError_tPvRmT2_T3_mT4_P12ihipStream_tbEUlT_E_NS1_11comp_targetILNS1_3genE5ELNS1_11target_archE942ELNS1_3gpuE9ELNS1_3repE0EEENS1_30default_config_static_selectorELNS0_4arch9wavefront6targetE1EEEvT1_,@function
_ZN7rocprim17ROCPRIM_400000_NS6detail17trampoline_kernelINS0_14default_configENS1_35adjacent_difference_config_selectorILb1ElEEZNS1_24adjacent_difference_implIS3_Lb1ELb0EPlS7_ZN2at6native12_GLOBAL__N_124unique_dim_cuda_templateImEESt5tupleIJNS8_6TensorESD_SD_EERKSD_lbbbEUlllE1_EE10hipError_tPvRmT2_T3_mT4_P12ihipStream_tbEUlT_E_NS1_11comp_targetILNS1_3genE5ELNS1_11target_archE942ELNS1_3gpuE9ELNS1_3repE0EEENS1_30default_config_static_selectorELNS0_4arch9wavefront6targetE1EEEvT1_: ; @_ZN7rocprim17ROCPRIM_400000_NS6detail17trampoline_kernelINS0_14default_configENS1_35adjacent_difference_config_selectorILb1ElEEZNS1_24adjacent_difference_implIS3_Lb1ELb0EPlS7_ZN2at6native12_GLOBAL__N_124unique_dim_cuda_templateImEESt5tupleIJNS8_6TensorESD_SD_EERKSD_lbbbEUlllE1_EE10hipError_tPvRmT2_T3_mT4_P12ihipStream_tbEUlT_E_NS1_11comp_targetILNS1_3genE5ELNS1_11target_archE942ELNS1_3gpuE9ELNS1_3repE0EEENS1_30default_config_static_selectorELNS0_4arch9wavefront6targetE1EEEvT1_
; %bb.0:
	.section	.rodata,"a",@progbits
	.p2align	6, 0x0
	.amdhsa_kernel _ZN7rocprim17ROCPRIM_400000_NS6detail17trampoline_kernelINS0_14default_configENS1_35adjacent_difference_config_selectorILb1ElEEZNS1_24adjacent_difference_implIS3_Lb1ELb0EPlS7_ZN2at6native12_GLOBAL__N_124unique_dim_cuda_templateImEESt5tupleIJNS8_6TensorESD_SD_EERKSD_lbbbEUlllE1_EE10hipError_tPvRmT2_T3_mT4_P12ihipStream_tbEUlT_E_NS1_11comp_targetILNS1_3genE5ELNS1_11target_archE942ELNS1_3gpuE9ELNS1_3repE0EEENS1_30default_config_static_selectorELNS0_4arch9wavefront6targetE1EEEvT1_
		.amdhsa_group_segment_fixed_size 0
		.amdhsa_private_segment_fixed_size 0
		.amdhsa_kernarg_size 64
		.amdhsa_user_sgpr_count 6
		.amdhsa_user_sgpr_private_segment_buffer 1
		.amdhsa_user_sgpr_dispatch_ptr 0
		.amdhsa_user_sgpr_queue_ptr 0
		.amdhsa_user_sgpr_kernarg_segment_ptr 1
		.amdhsa_user_sgpr_dispatch_id 0
		.amdhsa_user_sgpr_flat_scratch_init 0
		.amdhsa_user_sgpr_kernarg_preload_length 0
		.amdhsa_user_sgpr_kernarg_preload_offset 0
		.amdhsa_user_sgpr_private_segment_size 0
		.amdhsa_uses_dynamic_stack 0
		.amdhsa_system_sgpr_private_segment_wavefront_offset 0
		.amdhsa_system_sgpr_workgroup_id_x 1
		.amdhsa_system_sgpr_workgroup_id_y 0
		.amdhsa_system_sgpr_workgroup_id_z 0
		.amdhsa_system_sgpr_workgroup_info 0
		.amdhsa_system_vgpr_workitem_id 0
		.amdhsa_next_free_vgpr 1
		.amdhsa_next_free_sgpr 0
		.amdhsa_accum_offset 4
		.amdhsa_reserve_vcc 0
		.amdhsa_reserve_flat_scratch 0
		.amdhsa_float_round_mode_32 0
		.amdhsa_float_round_mode_16_64 0
		.amdhsa_float_denorm_mode_32 3
		.amdhsa_float_denorm_mode_16_64 3
		.amdhsa_dx10_clamp 1
		.amdhsa_ieee_mode 1
		.amdhsa_fp16_overflow 0
		.amdhsa_tg_split 0
		.amdhsa_exception_fp_ieee_invalid_op 0
		.amdhsa_exception_fp_denorm_src 0
		.amdhsa_exception_fp_ieee_div_zero 0
		.amdhsa_exception_fp_ieee_overflow 0
		.amdhsa_exception_fp_ieee_underflow 0
		.amdhsa_exception_fp_ieee_inexact 0
		.amdhsa_exception_int_div_zero 0
	.end_amdhsa_kernel
	.section	.text._ZN7rocprim17ROCPRIM_400000_NS6detail17trampoline_kernelINS0_14default_configENS1_35adjacent_difference_config_selectorILb1ElEEZNS1_24adjacent_difference_implIS3_Lb1ELb0EPlS7_ZN2at6native12_GLOBAL__N_124unique_dim_cuda_templateImEESt5tupleIJNS8_6TensorESD_SD_EERKSD_lbbbEUlllE1_EE10hipError_tPvRmT2_T3_mT4_P12ihipStream_tbEUlT_E_NS1_11comp_targetILNS1_3genE5ELNS1_11target_archE942ELNS1_3gpuE9ELNS1_3repE0EEENS1_30default_config_static_selectorELNS0_4arch9wavefront6targetE1EEEvT1_,"axG",@progbits,_ZN7rocprim17ROCPRIM_400000_NS6detail17trampoline_kernelINS0_14default_configENS1_35adjacent_difference_config_selectorILb1ElEEZNS1_24adjacent_difference_implIS3_Lb1ELb0EPlS7_ZN2at6native12_GLOBAL__N_124unique_dim_cuda_templateImEESt5tupleIJNS8_6TensorESD_SD_EERKSD_lbbbEUlllE1_EE10hipError_tPvRmT2_T3_mT4_P12ihipStream_tbEUlT_E_NS1_11comp_targetILNS1_3genE5ELNS1_11target_archE942ELNS1_3gpuE9ELNS1_3repE0EEENS1_30default_config_static_selectorELNS0_4arch9wavefront6targetE1EEEvT1_,comdat
.Lfunc_end1655:
	.size	_ZN7rocprim17ROCPRIM_400000_NS6detail17trampoline_kernelINS0_14default_configENS1_35adjacent_difference_config_selectorILb1ElEEZNS1_24adjacent_difference_implIS3_Lb1ELb0EPlS7_ZN2at6native12_GLOBAL__N_124unique_dim_cuda_templateImEESt5tupleIJNS8_6TensorESD_SD_EERKSD_lbbbEUlllE1_EE10hipError_tPvRmT2_T3_mT4_P12ihipStream_tbEUlT_E_NS1_11comp_targetILNS1_3genE5ELNS1_11target_archE942ELNS1_3gpuE9ELNS1_3repE0EEENS1_30default_config_static_selectorELNS0_4arch9wavefront6targetE1EEEvT1_, .Lfunc_end1655-_ZN7rocprim17ROCPRIM_400000_NS6detail17trampoline_kernelINS0_14default_configENS1_35adjacent_difference_config_selectorILb1ElEEZNS1_24adjacent_difference_implIS3_Lb1ELb0EPlS7_ZN2at6native12_GLOBAL__N_124unique_dim_cuda_templateImEESt5tupleIJNS8_6TensorESD_SD_EERKSD_lbbbEUlllE1_EE10hipError_tPvRmT2_T3_mT4_P12ihipStream_tbEUlT_E_NS1_11comp_targetILNS1_3genE5ELNS1_11target_archE942ELNS1_3gpuE9ELNS1_3repE0EEENS1_30default_config_static_selectorELNS0_4arch9wavefront6targetE1EEEvT1_
                                        ; -- End function
	.section	.AMDGPU.csdata,"",@progbits
; Kernel info:
; codeLenInByte = 0
; NumSgprs: 4
; NumVgprs: 0
; NumAgprs: 0
; TotalNumVgprs: 0
; ScratchSize: 0
; MemoryBound: 0
; FloatMode: 240
; IeeeMode: 1
; LDSByteSize: 0 bytes/workgroup (compile time only)
; SGPRBlocks: 0
; VGPRBlocks: 0
; NumSGPRsForWavesPerEU: 4
; NumVGPRsForWavesPerEU: 1
; AccumOffset: 4
; Occupancy: 8
; WaveLimiterHint : 0
; COMPUTE_PGM_RSRC2:SCRATCH_EN: 0
; COMPUTE_PGM_RSRC2:USER_SGPR: 6
; COMPUTE_PGM_RSRC2:TRAP_HANDLER: 0
; COMPUTE_PGM_RSRC2:TGID_X_EN: 1
; COMPUTE_PGM_RSRC2:TGID_Y_EN: 0
; COMPUTE_PGM_RSRC2:TGID_Z_EN: 0
; COMPUTE_PGM_RSRC2:TIDIG_COMP_CNT: 0
; COMPUTE_PGM_RSRC3_GFX90A:ACCUM_OFFSET: 0
; COMPUTE_PGM_RSRC3_GFX90A:TG_SPLIT: 0
	.section	.text._ZN7rocprim17ROCPRIM_400000_NS6detail17trampoline_kernelINS0_14default_configENS1_35adjacent_difference_config_selectorILb1ElEEZNS1_24adjacent_difference_implIS3_Lb1ELb0EPlS7_ZN2at6native12_GLOBAL__N_124unique_dim_cuda_templateImEESt5tupleIJNS8_6TensorESD_SD_EERKSD_lbbbEUlllE1_EE10hipError_tPvRmT2_T3_mT4_P12ihipStream_tbEUlT_E_NS1_11comp_targetILNS1_3genE4ELNS1_11target_archE910ELNS1_3gpuE8ELNS1_3repE0EEENS1_30default_config_static_selectorELNS0_4arch9wavefront6targetE1EEEvT1_,"axG",@progbits,_ZN7rocprim17ROCPRIM_400000_NS6detail17trampoline_kernelINS0_14default_configENS1_35adjacent_difference_config_selectorILb1ElEEZNS1_24adjacent_difference_implIS3_Lb1ELb0EPlS7_ZN2at6native12_GLOBAL__N_124unique_dim_cuda_templateImEESt5tupleIJNS8_6TensorESD_SD_EERKSD_lbbbEUlllE1_EE10hipError_tPvRmT2_T3_mT4_P12ihipStream_tbEUlT_E_NS1_11comp_targetILNS1_3genE4ELNS1_11target_archE910ELNS1_3gpuE8ELNS1_3repE0EEENS1_30default_config_static_selectorELNS0_4arch9wavefront6targetE1EEEvT1_,comdat
	.globl	_ZN7rocprim17ROCPRIM_400000_NS6detail17trampoline_kernelINS0_14default_configENS1_35adjacent_difference_config_selectorILb1ElEEZNS1_24adjacent_difference_implIS3_Lb1ELb0EPlS7_ZN2at6native12_GLOBAL__N_124unique_dim_cuda_templateImEESt5tupleIJNS8_6TensorESD_SD_EERKSD_lbbbEUlllE1_EE10hipError_tPvRmT2_T3_mT4_P12ihipStream_tbEUlT_E_NS1_11comp_targetILNS1_3genE4ELNS1_11target_archE910ELNS1_3gpuE8ELNS1_3repE0EEENS1_30default_config_static_selectorELNS0_4arch9wavefront6targetE1EEEvT1_ ; -- Begin function _ZN7rocprim17ROCPRIM_400000_NS6detail17trampoline_kernelINS0_14default_configENS1_35adjacent_difference_config_selectorILb1ElEEZNS1_24adjacent_difference_implIS3_Lb1ELb0EPlS7_ZN2at6native12_GLOBAL__N_124unique_dim_cuda_templateImEESt5tupleIJNS8_6TensorESD_SD_EERKSD_lbbbEUlllE1_EE10hipError_tPvRmT2_T3_mT4_P12ihipStream_tbEUlT_E_NS1_11comp_targetILNS1_3genE4ELNS1_11target_archE910ELNS1_3gpuE8ELNS1_3repE0EEENS1_30default_config_static_selectorELNS0_4arch9wavefront6targetE1EEEvT1_
	.p2align	8
	.type	_ZN7rocprim17ROCPRIM_400000_NS6detail17trampoline_kernelINS0_14default_configENS1_35adjacent_difference_config_selectorILb1ElEEZNS1_24adjacent_difference_implIS3_Lb1ELb0EPlS7_ZN2at6native12_GLOBAL__N_124unique_dim_cuda_templateImEESt5tupleIJNS8_6TensorESD_SD_EERKSD_lbbbEUlllE1_EE10hipError_tPvRmT2_T3_mT4_P12ihipStream_tbEUlT_E_NS1_11comp_targetILNS1_3genE4ELNS1_11target_archE910ELNS1_3gpuE8ELNS1_3repE0EEENS1_30default_config_static_selectorELNS0_4arch9wavefront6targetE1EEEvT1_,@function
_ZN7rocprim17ROCPRIM_400000_NS6detail17trampoline_kernelINS0_14default_configENS1_35adjacent_difference_config_selectorILb1ElEEZNS1_24adjacent_difference_implIS3_Lb1ELb0EPlS7_ZN2at6native12_GLOBAL__N_124unique_dim_cuda_templateImEESt5tupleIJNS8_6TensorESD_SD_EERKSD_lbbbEUlllE1_EE10hipError_tPvRmT2_T3_mT4_P12ihipStream_tbEUlT_E_NS1_11comp_targetILNS1_3genE4ELNS1_11target_archE910ELNS1_3gpuE8ELNS1_3repE0EEENS1_30default_config_static_selectorELNS0_4arch9wavefront6targetE1EEEvT1_: ; @_ZN7rocprim17ROCPRIM_400000_NS6detail17trampoline_kernelINS0_14default_configENS1_35adjacent_difference_config_selectorILb1ElEEZNS1_24adjacent_difference_implIS3_Lb1ELb0EPlS7_ZN2at6native12_GLOBAL__N_124unique_dim_cuda_templateImEESt5tupleIJNS8_6TensorESD_SD_EERKSD_lbbbEUlllE1_EE10hipError_tPvRmT2_T3_mT4_P12ihipStream_tbEUlT_E_NS1_11comp_targetILNS1_3genE4ELNS1_11target_archE910ELNS1_3gpuE8ELNS1_3repE0EEENS1_30default_config_static_selectorELNS0_4arch9wavefront6targetE1EEEvT1_
; %bb.0:
	s_load_dwordx16 s[8:23], s[4:5], 0x0
	s_mov_b32 s3, 0
	s_waitcnt lgkmcnt(0)
	s_lshl_b64 s[10:11], s[10:11], 3
	s_add_u32 s30, s8, s10
	s_addc_u32 s31, s9, s11
	s_lshl_b32 s8, s6, 10
	s_lshr_b64 s[0:1], s[14:15], 10
	s_and_b32 s2, s14, 0x3ff
	s_cmp_lg_u64 s[2:3], 0
	s_cselect_b64 s[4:5], -1, 0
	v_cndmask_b32_e64 v1, 0, 1, s[4:5]
	v_readfirstlane_b32 s2, v1
	s_add_u32 s26, s0, s2
	s_addc_u32 s27, s1, 0
	s_add_u32 s28, s22, s6
	s_addc_u32 s29, s23, 0
	s_mov_b32 s2, s6
	s_add_u32 s6, s26, -1
	s_addc_u32 s7, s27, -1
	v_pk_mov_b32 v[2:3], s[6:7], s[6:7] op_sel:[0,1]
	v_cmp_ge_u64_e64 s[0:1], s[28:29], v[2:3]
	s_mov_b64 s[4:5], -1
	s_and_b64 vcc, exec, s[0:1]
	s_cbranch_vccz .LBB1656_6
; %bb.1:
	s_lshl_b32 s4, s6, 10
	s_mov_b32 s9, s3
	s_sub_i32 s15, s14, s4
	s_lshl_b64 s[4:5], s[8:9], 3
	s_add_u32 s4, s30, s4
	s_addc_u32 s5, s31, s5
	v_cmp_gt_u32_e32 vcc, s15, v0
                                        ; implicit-def: $vgpr2_vgpr3_vgpr4_vgpr5
	s_and_saveexec_b64 s[24:25], vcc
	s_cbranch_execz .LBB1656_3
; %bb.2:
	v_lshlrev_b32_e32 v1, 3, v0
	global_load_dwordx2 v[2:3], v1, s[4:5]
.LBB1656_3:
	s_or_b64 exec, exec, s[24:25]
	v_or_b32_e32 v1, 0x200, v0
	v_cmp_gt_u32_e32 vcc, s15, v1
	s_and_saveexec_b64 s[24:25], vcc
	s_cbranch_execz .LBB1656_5
; %bb.4:
	v_lshlrev_b32_e32 v4, 3, v1
	global_load_dwordx2 v[4:5], v4, s[4:5]
.LBB1656_5:
	s_or_b64 exec, exec, s[24:25]
	v_lshrrev_b32_e32 v6, 2, v0
	v_lshrrev_b32_e32 v1, 2, v1
	v_and_b32_e32 v6, 0x78, v6
	v_lshlrev_b32_e32 v7, 3, v0
	v_and_b32_e32 v1, 0xf8, v1
	v_add_u32_e32 v6, v6, v7
	v_add_u32_e32 v1, v1, v7
	s_mov_b64 s[4:5], 0
	s_waitcnt vmcnt(0)
	ds_write_b64 v6, v[2:3]
	ds_write_b64 v1, v[4:5] offset:4096
	s_waitcnt lgkmcnt(0)
	s_barrier
.LBB1656_6:
	s_and_b64 vcc, exec, s[4:5]
	v_lshlrev_b32_e32 v1, 3, v0
	s_cbranch_vccz .LBB1656_8
; %bb.7:
	s_mov_b32 s9, 0
	s_lshl_b64 s[4:5], s[8:9], 3
	s_add_u32 s4, s30, s4
	s_addc_u32 s5, s31, s5
	v_mov_b32_e32 v2, s5
	v_add_co_u32_e32 v3, vcc, s4, v1
	v_addc_co_u32_e32 v4, vcc, 0, v2, vcc
	v_add_co_u32_e32 v2, vcc, 0x1000, v3
	v_addc_co_u32_e32 v3, vcc, 0, v4, vcc
	global_load_dwordx2 v[4:5], v1, s[4:5]
	global_load_dwordx2 v[6:7], v[2:3], off
	v_lshrrev_b32_e32 v2, 2, v0
	v_or_b32_e32 v3, 0x200, v0
	v_and_b32_e32 v2, 0x78, v2
	v_lshrrev_b32_e32 v3, 2, v3
	v_add_u32_e32 v2, v2, v1
	v_and_b32_e32 v3, 0xf8, v3
	v_add_u32_e32 v3, v3, v1
	s_waitcnt vmcnt(1)
	ds_write_b64 v2, v[4:5]
	s_waitcnt vmcnt(0)
	ds_write_b64 v3, v[6:7] offset:4096
	s_waitcnt lgkmcnt(0)
	s_barrier
.LBB1656_8:
	v_lshlrev_b32_e32 v2, 1, v0
	v_lshrrev_b32_e32 v3, 4, v0
	v_add_lshl_u32 v2, v3, v2, 3
	ds_read2_b64 v[2:5], v2 offset1:1
	s_cmp_eq_u64 s[28:29], 0
	s_mov_b64 s[24:25], 0
	s_waitcnt lgkmcnt(0)
	s_barrier
	s_cbranch_scc1 .LBB1656_17
; %bb.9:
	s_lshl_b64 s[4:5], s[22:23], 3
	s_add_u32 s4, s20, s4
	s_addc_u32 s5, s21, s5
	s_lshl_b64 s[2:3], s[2:3], 3
	s_add_u32 s2, s4, s2
	s_addc_u32 s3, s5, s3
	s_add_u32 s2, s2, -8
	s_addc_u32 s3, s3, -1
	s_load_dwordx2 s[20:21], s[2:3], 0x0
	s_cmp_lg_u64 s[28:29], s[6:7]
	s_cbranch_scc0 .LBB1656_18
; %bb.10:
	v_cmp_lt_i64_e64 s[2:3], s[16:17], 1
	v_pk_mov_b32 v[8:9], 0, 0
	v_cmp_gt_i64_e64 s[22:23], s[16:17], 0
	s_and_b64 vcc, exec, s[2:3]
	ds_write_b64 v1, v[4:5]
	s_cbranch_vccnz .LBB1656_21
; %bb.11:
	v_mul_lo_u32 v8, v5, s16
	v_mul_lo_u32 v9, v4, s17
	v_mad_u64_u32 v[6:7], s[2:3], v4, s16, 0
	v_add3_u32 v7, v7, v9, v8
	v_mul_lo_u32 v10, v3, s16
	v_mul_lo_u32 v11, v2, s17
	v_mad_u64_u32 v[8:9], s[2:3], v2, s16, 0
	v_add3_u32 v9, v9, v11, v10
	v_lshlrev_b64 v[10:11], 3, v[6:7]
	v_mov_b32_e32 v6, s19
	v_add_co_u32_e32 v12, vcc, s18, v10
	v_addc_co_u32_e64 v13, s[2:3], v6, v11, vcc
	v_lshlrev_b64 v[6:7], 3, v[8:9]
	v_mov_b32_e32 v8, s19
	v_add_co_u32_e64 v14, s[2:3], s18, v6
	v_addc_co_u32_e64 v15, s[4:5], v8, v7, s[2:3]
	global_load_dwordx2 v[8:9], v[12:13], off
	global_load_dwordx2 v[16:17], v[14:15], off
	s_waitcnt vmcnt(0)
	v_cmp_eq_u64_e64 s[4:5], v[8:9], v[16:17]
	v_mov_b32_e32 v8, 1
	v_mov_b32_e32 v9, 0
	s_and_saveexec_b64 s[24:25], s[4:5]
	s_cbranch_execz .LBB1656_20
; %bb.12:
	v_mov_b32_e32 v6, s19
	v_addc_co_u32_e64 v7, s[2:3], v7, v6, s[2:3]
	v_add_co_u32_e64 v6, s[2:3], 8, v14
	v_mov_b32_e32 v8, s19
	v_addc_co_u32_e64 v7, s[2:3], 0, v7, s[2:3]
	v_addc_co_u32_e32 v9, vcc, v11, v8, vcc
	v_add_co_u32_e32 v8, vcc, 8, v12
	s_add_u32 s2, s16, -1
	v_addc_co_u32_e32 v9, vcc, 0, v9, vcc
	s_addc_u32 s3, s17, -1
	s_mov_b64 s[4:5], 0
	s_mov_b64 s[34:35], 0
                                        ; implicit-def: $sgpr30_sgpr31
	s_branch .LBB1656_15
.LBB1656_13:                            ;   in Loop: Header=BB1656_15 Depth=1
	global_load_dwordx2 v[10:11], v[8:9], off
	global_load_dwordx2 v[12:13], v[6:7], off
	v_add_co_u32_e32 v6, vcc, 8, v6
	v_addc_co_u32_e32 v7, vcc, 0, v7, vcc
	v_add_co_u32_e32 v8, vcc, 8, v8
	v_addc_co_u32_e32 v9, vcc, 0, v9, vcc
	s_add_u32 s34, s34, 1
	s_addc_u32 s35, s35, 0
	s_andn2_b64 s[30:31], s[30:31], exec
	s_waitcnt vmcnt(0)
	v_cmp_ne_u64_e32 vcc, v[10:11], v[12:13]
	s_and_b64 s[36:37], vcc, exec
	s_or_b64 s[30:31], s[30:31], s[36:37]
.LBB1656_14:                            ;   in Loop: Header=BB1656_15 Depth=1
	s_and_b64 s[36:37], exec, s[30:31]
	s_or_b64 s[4:5], s[36:37], s[4:5]
	v_pk_mov_b32 v[10:11], s[34:35], s[34:35] op_sel:[0,1]
	s_andn2_b64 exec, exec, s[4:5]
	s_cbranch_execz .LBB1656_19
.LBB1656_15:                            ; =>This Inner Loop Header: Depth=1
	s_or_b64 s[30:31], s[30:31], exec
	s_cmp_eq_u64 s[2:3], s[34:35]
	s_cbranch_scc0 .LBB1656_13
; %bb.16:                               ;   in Loop: Header=BB1656_15 Depth=1
                                        ; implicit-def: $vgpr6_vgpr7
                                        ; implicit-def: $vgpr8_vgpr9
	s_mov_b64 s[34:35], s[16:17]
	s_branch .LBB1656_14
.LBB1656_17:
                                        ; implicit-def: $sgpr22_sgpr23
                                        ; implicit-def: $vgpr8_vgpr9
	s_cbranch_execnz .LBB1656_60
	s_branch .LBB1656_108
.LBB1656_18:
                                        ; implicit-def: $sgpr22_sgpr23
                                        ; implicit-def: $vgpr8_vgpr9
	s_cbranch_execnz .LBB1656_33
	s_branch .LBB1656_59
.LBB1656_19:
	s_or_b64 exec, exec, s[4:5]
	v_cmp_gt_i64_e32 vcc, s[16:17], v[10:11]
	s_mov_b32 s2, 0
	v_cndmask_b32_e64 v8, 0, 1, vcc
	v_mov_b32_e32 v9, s2
.LBB1656_20:
	s_or_b64 exec, exec, s[24:25]
.LBB1656_21:
	v_cmp_ne_u32_e32 vcc, 0, v0
	s_waitcnt lgkmcnt(0)
	v_pk_mov_b32 v[6:7], s[20:21], s[20:21] op_sel:[0,1]
	s_barrier
	s_and_saveexec_b64 s[2:3], vcc
	s_cbranch_execz .LBB1656_23
; %bb.22:
	v_add_u32_e32 v6, -8, v1
	ds_read_b64 v[6:7], v6
.LBB1656_23:
	s_or_b64 exec, exec, s[2:3]
	s_mov_b64 s[30:31], 0
	s_andn2_b64 vcc, exec, s[22:23]
	s_mov_b64 s[22:23], 0
	s_cbranch_vccnz .LBB1656_32
; %bb.24:
	v_mul_lo_u32 v12, v3, s16
	v_mul_lo_u32 v13, v2, s17
	v_mad_u64_u32 v[10:11], s[2:3], v2, s16, 0
	v_add3_u32 v11, v11, v13, v12
	s_waitcnt lgkmcnt(0)
	v_mul_lo_u32 v12, v7, s16
	v_mul_lo_u32 v13, v6, s17
	v_mad_u64_u32 v[6:7], s[2:3], v6, s16, 0
	v_lshlrev_b64 v[10:11], 3, v[10:11]
	v_add3_u32 v7, v7, v13, v12
	v_mov_b32_e32 v13, s19
	v_add_co_u32_e32 v12, vcc, s18, v10
	v_addc_co_u32_e64 v13, s[2:3], v13, v11, vcc
	v_lshlrev_b64 v[6:7], 3, v[6:7]
	v_mov_b32_e32 v10, s19
	v_add_co_u32_e64 v14, s[2:3], s18, v6
	v_addc_co_u32_e64 v15, s[4:5], v10, v7, s[2:3]
	global_load_dwordx2 v[16:17], v[12:13], off
	global_load_dwordx2 v[18:19], v[14:15], off
	s_mov_b64 s[22:23], -1
	s_waitcnt vmcnt(0)
	v_cmp_eq_u64_e64 s[4:5], v[16:17], v[18:19]
	s_and_saveexec_b64 s[24:25], s[4:5]
	s_cbranch_execz .LBB1656_31
; %bb.25:
	v_mov_b32_e32 v6, s19
	v_addc_co_u32_e64 v7, s[2:3], v7, v6, s[2:3]
	v_add_co_u32_e64 v6, s[2:3], 8, v14
	v_mov_b32_e32 v10, s19
	v_addc_co_u32_e64 v7, s[2:3], 0, v7, s[2:3]
	v_addc_co_u32_e32 v11, vcc, v11, v10, vcc
	v_add_co_u32_e32 v10, vcc, 8, v12
	s_add_u32 s2, s16, -1
	v_addc_co_u32_e32 v11, vcc, 0, v11, vcc
	s_addc_u32 s3, s17, -1
	s_mov_b64 s[4:5], 0
	s_mov_b64 s[34:35], 0
                                        ; implicit-def: $sgpr22_sgpr23
	s_branch .LBB1656_28
.LBB1656_26:                            ;   in Loop: Header=BB1656_28 Depth=1
	global_load_dwordx2 v[12:13], v[10:11], off
	global_load_dwordx2 v[14:15], v[6:7], off
	v_add_co_u32_e32 v6, vcc, 8, v6
	v_addc_co_u32_e32 v7, vcc, 0, v7, vcc
	v_add_co_u32_e32 v10, vcc, 8, v10
	v_addc_co_u32_e32 v11, vcc, 0, v11, vcc
	s_add_u32 s34, s34, 1
	s_addc_u32 s35, s35, 0
	s_andn2_b64 s[22:23], s[22:23], exec
	s_waitcnt vmcnt(0)
	v_cmp_ne_u64_e32 vcc, v[12:13], v[14:15]
	s_and_b64 s[36:37], vcc, exec
	s_or_b64 s[22:23], s[22:23], s[36:37]
.LBB1656_27:                            ;   in Loop: Header=BB1656_28 Depth=1
	s_and_b64 s[36:37], exec, s[22:23]
	s_or_b64 s[4:5], s[36:37], s[4:5]
	v_pk_mov_b32 v[12:13], s[34:35], s[34:35] op_sel:[0,1]
	s_andn2_b64 exec, exec, s[4:5]
	s_cbranch_execz .LBB1656_30
.LBB1656_28:                            ; =>This Inner Loop Header: Depth=1
	s_or_b64 s[22:23], s[22:23], exec
	s_cmp_eq_u64 s[2:3], s[34:35]
	s_cbranch_scc0 .LBB1656_26
; %bb.29:                               ;   in Loop: Header=BB1656_28 Depth=1
                                        ; implicit-def: $vgpr6_vgpr7
                                        ; implicit-def: $vgpr10_vgpr11
	s_mov_b64 s[34:35], s[16:17]
	s_branch .LBB1656_27
.LBB1656_30:
	s_or_b64 exec, exec, s[4:5]
	v_cmp_gt_i64_e32 vcc, s[16:17], v[12:13]
	s_orn2_b64 s[22:23], vcc, exec
.LBB1656_31:
	s_or_b64 exec, exec, s[24:25]
.LBB1656_32:
	s_mov_b64 s[24:25], -1
	s_and_b64 vcc, exec, s[30:31]
	s_cbranch_vccz .LBB1656_59
.LBB1656_33:
	s_lshl_b32 s2, s28, 10
	v_lshlrev_b32_e32 v16, 1, v0
	s_sub_i32 s7, s14, s2
	s_waitcnt lgkmcnt(0)
	v_or_b32_e32 v6, 1, v16
	v_cmp_gt_u32_e32 vcc, s7, v6
	v_pk_mov_b32 v[8:9], v[4:5], v[4:5] op_sel:[0,1]
	ds_write_b64 v1, v[4:5]
	v_pk_mov_b32 v[6:7], v[2:3], v[2:3] op_sel:[0,1]
	s_and_saveexec_b64 s[22:23], vcc
	s_cbranch_execz .LBB1656_44
; %bb.34:
	v_cmp_lt_i64_e64 s[2:3], s[16:17], 1
	s_and_b64 vcc, exec, s[2:3]
	s_cbranch_vccnz .LBB1656_41
; %bb.35:
	v_mul_lo_u32 v8, v5, s16
	v_mul_lo_u32 v9, v4, s17
	v_mad_u64_u32 v[6:7], s[2:3], v4, s16, 0
	v_add3_u32 v7, v7, v9, v8
	v_mul_lo_u32 v10, v3, s16
	v_mul_lo_u32 v11, v2, s17
	v_mad_u64_u32 v[8:9], s[2:3], v2, s16, 0
	v_add3_u32 v9, v9, v11, v10
	v_lshlrev_b64 v[10:11], 3, v[6:7]
	v_mov_b32_e32 v6, s19
	v_add_co_u32_e32 v12, vcc, s18, v10
	v_addc_co_u32_e64 v13, s[2:3], v6, v11, vcc
	v_lshlrev_b64 v[6:7], 3, v[8:9]
	v_mov_b32_e32 v8, s19
	v_add_co_u32_e64 v14, s[2:3], s18, v6
	v_addc_co_u32_e64 v15, s[4:5], v8, v7, s[2:3]
	global_load_dwordx2 v[8:9], v[12:13], off
	global_load_dwordx2 v[18:19], v[14:15], off
	s_waitcnt vmcnt(0)
	v_cmp_eq_u64_e64 s[4:5], v[8:9], v[18:19]
	v_mov_b32_e32 v8, 1
	v_mov_b32_e32 v9, 0
	s_and_saveexec_b64 s[28:29], s[4:5]
	s_cbranch_execz .LBB1656_43
; %bb.36:
	v_mov_b32_e32 v6, s19
	v_addc_co_u32_e64 v7, s[2:3], v7, v6, s[2:3]
	v_add_co_u32_e64 v6, s[2:3], 8, v14
	v_mov_b32_e32 v8, s19
	v_addc_co_u32_e64 v7, s[2:3], 0, v7, s[2:3]
	v_addc_co_u32_e32 v9, vcc, v11, v8, vcc
	v_add_co_u32_e32 v8, vcc, 8, v12
	s_add_u32 s2, s16, -1
	v_addc_co_u32_e32 v9, vcc, 0, v9, vcc
	s_addc_u32 s3, s17, -1
	s_mov_b64 s[4:5], 0
	s_mov_b64 s[34:35], 0
                                        ; implicit-def: $sgpr30_sgpr31
	s_branch .LBB1656_39
.LBB1656_37:                            ;   in Loop: Header=BB1656_39 Depth=1
	global_load_dwordx2 v[10:11], v[8:9], off
	global_load_dwordx2 v[12:13], v[6:7], off
	v_add_co_u32_e32 v6, vcc, 8, v6
	v_addc_co_u32_e32 v7, vcc, 0, v7, vcc
	v_add_co_u32_e32 v8, vcc, 8, v8
	v_addc_co_u32_e32 v9, vcc, 0, v9, vcc
	s_add_u32 s34, s34, 1
	s_addc_u32 s35, s35, 0
	s_andn2_b64 s[30:31], s[30:31], exec
	s_waitcnt vmcnt(0)
	v_cmp_ne_u64_e32 vcc, v[10:11], v[12:13]
	s_and_b64 s[36:37], vcc, exec
	s_or_b64 s[30:31], s[30:31], s[36:37]
.LBB1656_38:                            ;   in Loop: Header=BB1656_39 Depth=1
	s_and_b64 s[36:37], exec, s[30:31]
	s_or_b64 s[4:5], s[36:37], s[4:5]
	v_pk_mov_b32 v[10:11], s[34:35], s[34:35] op_sel:[0,1]
	s_andn2_b64 exec, exec, s[4:5]
	s_cbranch_execz .LBB1656_42
.LBB1656_39:                            ; =>This Inner Loop Header: Depth=1
	s_or_b64 s[30:31], s[30:31], exec
	s_cmp_eq_u64 s[2:3], s[34:35]
	s_cbranch_scc0 .LBB1656_37
; %bb.40:                               ;   in Loop: Header=BB1656_39 Depth=1
                                        ; implicit-def: $vgpr6_vgpr7
                                        ; implicit-def: $vgpr8_vgpr9
	s_mov_b64 s[34:35], s[16:17]
	s_branch .LBB1656_38
.LBB1656_41:
	v_pk_mov_b32 v[8:9], 0, 0
	s_branch .LBB1656_44
.LBB1656_42:
	s_or_b64 exec, exec, s[4:5]
	v_cmp_gt_i64_e32 vcc, s[16:17], v[10:11]
	s_mov_b32 s2, 0
	v_cndmask_b32_e64 v8, 0, 1, vcc
	v_mov_b32_e32 v9, s2
.LBB1656_43:
	s_or_b64 exec, exec, s[28:29]
.LBB1656_44:
	s_or_b64 exec, exec, s[22:23]
	v_cmp_ne_u32_e32 vcc, 0, v0
	v_pk_mov_b32 v[6:7], s[20:21], s[20:21] op_sel:[0,1]
	s_waitcnt lgkmcnt(0)
	s_barrier
	s_and_saveexec_b64 s[2:3], vcc
	s_cbranch_execz .LBB1656_46
; %bb.45:
	v_add_u32_e32 v6, -8, v1
	ds_read_b64 v[6:7], v6
.LBB1656_46:
	s_or_b64 exec, exec, s[2:3]
	v_cmp_gt_u32_e32 vcc, s7, v16
                                        ; implicit-def: $sgpr22_sgpr23
	s_and_saveexec_b64 s[20:21], vcc
	s_cbranch_execz .LBB1656_58
; %bb.47:
	v_cmp_lt_i64_e64 s[2:3], s[16:17], 1
	s_and_b64 vcc, exec, s[2:3]
	s_cbranch_vccnz .LBB1656_54
; %bb.48:
	v_mul_lo_u32 v12, v3, s16
	v_mul_lo_u32 v13, v2, s17
	v_mad_u64_u32 v[10:11], s[2:3], v2, s16, 0
	v_add3_u32 v11, v11, v13, v12
	s_waitcnt lgkmcnt(0)
	v_mul_lo_u32 v12, v7, s16
	v_mul_lo_u32 v13, v6, s17
	v_mad_u64_u32 v[6:7], s[2:3], v6, s16, 0
	v_lshlrev_b64 v[10:11], 3, v[10:11]
	v_add3_u32 v7, v7, v13, v12
	v_mov_b32_e32 v13, s19
	v_add_co_u32_e32 v12, vcc, s18, v10
	v_addc_co_u32_e64 v13, s[2:3], v13, v11, vcc
	v_lshlrev_b64 v[6:7], 3, v[6:7]
	v_mov_b32_e32 v10, s19
	v_add_co_u32_e64 v14, s[2:3], s18, v6
	v_addc_co_u32_e64 v15, s[4:5], v10, v7, s[2:3]
	global_load_dwordx2 v[16:17], v[12:13], off
	global_load_dwordx2 v[18:19], v[14:15], off
	s_mov_b64 s[28:29], -1
	s_waitcnt vmcnt(0)
	v_cmp_eq_u64_e64 s[4:5], v[16:17], v[18:19]
	s_and_saveexec_b64 s[22:23], s[4:5]
	s_cbranch_execz .LBB1656_56
; %bb.49:
	v_mov_b32_e32 v6, s19
	v_addc_co_u32_e64 v7, s[2:3], v7, v6, s[2:3]
	v_add_co_u32_e64 v6, s[2:3], 8, v14
	v_mov_b32_e32 v10, s19
	v_addc_co_u32_e64 v7, s[2:3], 0, v7, s[2:3]
	v_addc_co_u32_e32 v11, vcc, v11, v10, vcc
	v_add_co_u32_e32 v10, vcc, 8, v12
	s_add_u32 s2, s16, -1
	v_addc_co_u32_e32 v11, vcc, 0, v11, vcc
	s_addc_u32 s3, s17, -1
	s_mov_b64 s[4:5], 0
	s_mov_b64 s[30:31], 0
                                        ; implicit-def: $sgpr28_sgpr29
	s_branch .LBB1656_52
.LBB1656_50:                            ;   in Loop: Header=BB1656_52 Depth=1
	global_load_dwordx2 v[12:13], v[10:11], off
	global_load_dwordx2 v[14:15], v[6:7], off
	v_add_co_u32_e32 v6, vcc, 8, v6
	v_addc_co_u32_e32 v7, vcc, 0, v7, vcc
	v_add_co_u32_e32 v10, vcc, 8, v10
	v_addc_co_u32_e32 v11, vcc, 0, v11, vcc
	s_add_u32 s30, s30, 1
	s_addc_u32 s31, s31, 0
	s_andn2_b64 s[28:29], s[28:29], exec
	s_waitcnt vmcnt(0)
	v_cmp_ne_u64_e32 vcc, v[12:13], v[14:15]
	s_and_b64 s[34:35], vcc, exec
	s_or_b64 s[28:29], s[28:29], s[34:35]
.LBB1656_51:                            ;   in Loop: Header=BB1656_52 Depth=1
	s_and_b64 s[34:35], exec, s[28:29]
	s_or_b64 s[4:5], s[34:35], s[4:5]
	v_pk_mov_b32 v[12:13], s[30:31], s[30:31] op_sel:[0,1]
	s_andn2_b64 exec, exec, s[4:5]
	s_cbranch_execz .LBB1656_55
.LBB1656_52:                            ; =>This Inner Loop Header: Depth=1
	s_or_b64 s[28:29], s[28:29], exec
	s_cmp_eq_u64 s[2:3], s[30:31]
	s_cbranch_scc0 .LBB1656_50
; %bb.53:                               ;   in Loop: Header=BB1656_52 Depth=1
                                        ; implicit-def: $vgpr6_vgpr7
                                        ; implicit-def: $vgpr10_vgpr11
	s_mov_b64 s[30:31], s[16:17]
	s_branch .LBB1656_51
.LBB1656_54:
	s_mov_b64 s[28:29], 0
	s_branch .LBB1656_57
.LBB1656_55:
	s_or_b64 exec, exec, s[4:5]
	v_cmp_gt_i64_e32 vcc, s[16:17], v[12:13]
	s_orn2_b64 s[28:29], vcc, exec
.LBB1656_56:
	s_or_b64 exec, exec, s[22:23]
.LBB1656_57:
	s_and_b64 s[22:23], s[28:29], exec
	s_or_b64 s[24:25], s[24:25], exec
.LBB1656_58:
	s_or_b64 exec, exec, s[20:21]
.LBB1656_59:
	s_branch .LBB1656_108
.LBB1656_60:
	s_cmp_lg_u64 s[26:27], 1
	s_cbranch_scc0 .LBB1656_68
; %bb.61:
	v_cmp_lt_i64_e64 s[2:3], s[16:17], 1
	v_pk_mov_b32 v[8:9], 0, 0
	v_cmp_gt_i64_e64 s[26:27], s[16:17], 0
	s_and_b64 vcc, exec, s[2:3]
	ds_write_b64 v1, v[4:5]
	s_cbranch_vccnz .LBB1656_71
; %bb.62:
	v_mul_lo_u32 v8, v5, s16
	v_mul_lo_u32 v9, v4, s17
	s_waitcnt lgkmcnt(0)
	v_mad_u64_u32 v[6:7], s[2:3], v4, s16, 0
	v_add3_u32 v7, v7, v9, v8
	v_mul_lo_u32 v10, v3, s16
	v_mul_lo_u32 v11, v2, s17
	v_mad_u64_u32 v[8:9], s[2:3], v2, s16, 0
	v_add3_u32 v9, v9, v11, v10
	v_lshlrev_b64 v[10:11], 3, v[6:7]
	v_mov_b32_e32 v6, s19
	v_add_co_u32_e32 v12, vcc, s18, v10
	v_addc_co_u32_e64 v13, s[2:3], v6, v11, vcc
	v_lshlrev_b64 v[6:7], 3, v[8:9]
	v_mov_b32_e32 v8, s19
	v_add_co_u32_e64 v14, s[2:3], s18, v6
	v_addc_co_u32_e64 v15, s[4:5], v8, v7, s[2:3]
	global_load_dwordx2 v[8:9], v[12:13], off
	global_load_dwordx2 v[16:17], v[14:15], off
	s_waitcnt vmcnt(0)
	v_cmp_eq_u64_e64 s[4:5], v[8:9], v[16:17]
	v_mov_b32_e32 v8, 1
	v_mov_b32_e32 v9, 0
	s_and_saveexec_b64 s[20:21], s[4:5]
	s_cbranch_execz .LBB1656_70
; %bb.63:
	v_mov_b32_e32 v6, s19
	v_addc_co_u32_e64 v7, s[2:3], v7, v6, s[2:3]
	v_add_co_u32_e64 v6, s[2:3], 8, v14
	v_mov_b32_e32 v8, s19
	v_addc_co_u32_e64 v7, s[2:3], 0, v7, s[2:3]
	v_addc_co_u32_e32 v9, vcc, v11, v8, vcc
	v_add_co_u32_e32 v8, vcc, 8, v12
	s_add_u32 s2, s16, -1
	v_addc_co_u32_e32 v9, vcc, 0, v9, vcc
	s_addc_u32 s3, s17, -1
	s_mov_b64 s[4:5], 0
	s_mov_b64 s[28:29], 0
                                        ; implicit-def: $sgpr22_sgpr23
	s_branch .LBB1656_66
.LBB1656_64:                            ;   in Loop: Header=BB1656_66 Depth=1
	global_load_dwordx2 v[10:11], v[8:9], off
	global_load_dwordx2 v[12:13], v[6:7], off
	v_add_co_u32_e32 v6, vcc, 8, v6
	v_addc_co_u32_e32 v7, vcc, 0, v7, vcc
	v_add_co_u32_e32 v8, vcc, 8, v8
	v_addc_co_u32_e32 v9, vcc, 0, v9, vcc
	s_add_u32 s28, s28, 1
	s_addc_u32 s29, s29, 0
	s_andn2_b64 s[22:23], s[22:23], exec
	s_waitcnt vmcnt(0)
	v_cmp_ne_u64_e32 vcc, v[10:11], v[12:13]
	s_and_b64 s[30:31], vcc, exec
	s_or_b64 s[22:23], s[22:23], s[30:31]
.LBB1656_65:                            ;   in Loop: Header=BB1656_66 Depth=1
	s_and_b64 s[30:31], exec, s[22:23]
	s_or_b64 s[4:5], s[30:31], s[4:5]
	v_pk_mov_b32 v[10:11], s[28:29], s[28:29] op_sel:[0,1]
	s_andn2_b64 exec, exec, s[4:5]
	s_cbranch_execz .LBB1656_69
.LBB1656_66:                            ; =>This Inner Loop Header: Depth=1
	s_or_b64 s[22:23], s[22:23], exec
	s_cmp_eq_u64 s[2:3], s[28:29]
	s_cbranch_scc0 .LBB1656_64
; %bb.67:                               ;   in Loop: Header=BB1656_66 Depth=1
                                        ; implicit-def: $vgpr6_vgpr7
                                        ; implicit-def: $vgpr8_vgpr9
	s_mov_b64 s[28:29], s[16:17]
	s_branch .LBB1656_65
.LBB1656_68:
                                        ; implicit-def: $sgpr22_sgpr23
                                        ; implicit-def: $vgpr8_vgpr9
	s_cbranch_execnz .LBB1656_84
	s_branch .LBB1656_108
.LBB1656_69:
	s_or_b64 exec, exec, s[4:5]
	v_cmp_gt_i64_e32 vcc, s[16:17], v[10:11]
	s_mov_b32 s2, 0
	v_cndmask_b32_e64 v8, 0, 1, vcc
	v_mov_b32_e32 v9, s2
.LBB1656_70:
	s_or_b64 exec, exec, s[20:21]
.LBB1656_71:
	v_cmp_ne_u32_e32 vcc, 0, v0
	s_waitcnt lgkmcnt(0)
	s_barrier
	s_waitcnt lgkmcnt(0)
                                        ; implicit-def: $sgpr22_sgpr23
	s_and_saveexec_b64 s[20:21], vcc
	s_cbranch_execz .LBB1656_83
; %bb.72:
	s_andn2_b64 vcc, exec, s[26:27]
	s_cbranch_vccnz .LBB1656_79
; %bb.73:
	v_add_u32_e32 v6, -8, v1
	ds_read_b64 v[6:7], v6
	v_mul_lo_u32 v12, v3, s16
	v_mul_lo_u32 v13, v2, s17
	v_mad_u64_u32 v[10:11], s[2:3], v2, s16, 0
	v_add3_u32 v11, v11, v13, v12
	s_waitcnt lgkmcnt(0)
	v_mul_lo_u32 v12, v7, s16
	v_mul_lo_u32 v13, v6, s17
	v_mad_u64_u32 v[6:7], s[2:3], v6, s16, 0
	v_lshlrev_b64 v[10:11], 3, v[10:11]
	v_add3_u32 v7, v7, v13, v12
	v_mov_b32_e32 v13, s19
	v_add_co_u32_e32 v12, vcc, s18, v10
	v_addc_co_u32_e64 v13, s[2:3], v13, v11, vcc
	v_lshlrev_b64 v[6:7], 3, v[6:7]
	v_mov_b32_e32 v10, s19
	v_add_co_u32_e64 v14, s[2:3], s18, v6
	v_addc_co_u32_e64 v15, s[4:5], v10, v7, s[2:3]
	global_load_dwordx2 v[16:17], v[12:13], off
	global_load_dwordx2 v[18:19], v[14:15], off
	s_mov_b64 s[26:27], -1
	s_waitcnt vmcnt(0)
	v_cmp_eq_u64_e64 s[4:5], v[16:17], v[18:19]
	s_and_saveexec_b64 s[22:23], s[4:5]
	s_cbranch_execz .LBB1656_81
; %bb.74:
	v_mov_b32_e32 v6, s19
	v_addc_co_u32_e64 v7, s[2:3], v7, v6, s[2:3]
	v_add_co_u32_e64 v6, s[2:3], 8, v14
	v_mov_b32_e32 v10, s19
	v_addc_co_u32_e64 v7, s[2:3], 0, v7, s[2:3]
	v_addc_co_u32_e32 v11, vcc, v11, v10, vcc
	v_add_co_u32_e32 v10, vcc, 8, v12
	s_add_u32 s2, s16, -1
	v_addc_co_u32_e32 v11, vcc, 0, v11, vcc
	s_addc_u32 s3, s17, -1
	s_mov_b64 s[4:5], 0
	s_mov_b64 s[28:29], 0
                                        ; implicit-def: $sgpr26_sgpr27
	s_branch .LBB1656_77
.LBB1656_75:                            ;   in Loop: Header=BB1656_77 Depth=1
	global_load_dwordx2 v[12:13], v[10:11], off
	global_load_dwordx2 v[14:15], v[6:7], off
	v_add_co_u32_e32 v6, vcc, 8, v6
	v_addc_co_u32_e32 v7, vcc, 0, v7, vcc
	v_add_co_u32_e32 v10, vcc, 8, v10
	v_addc_co_u32_e32 v11, vcc, 0, v11, vcc
	s_add_u32 s28, s28, 1
	s_addc_u32 s29, s29, 0
	s_andn2_b64 s[26:27], s[26:27], exec
	s_waitcnt vmcnt(0)
	v_cmp_ne_u64_e32 vcc, v[12:13], v[14:15]
	s_and_b64 s[30:31], vcc, exec
	s_or_b64 s[26:27], s[26:27], s[30:31]
.LBB1656_76:                            ;   in Loop: Header=BB1656_77 Depth=1
	s_and_b64 s[30:31], exec, s[26:27]
	s_or_b64 s[4:5], s[30:31], s[4:5]
	v_pk_mov_b32 v[12:13], s[28:29], s[28:29] op_sel:[0,1]
	s_andn2_b64 exec, exec, s[4:5]
	s_cbranch_execz .LBB1656_80
.LBB1656_77:                            ; =>This Inner Loop Header: Depth=1
	s_or_b64 s[26:27], s[26:27], exec
	s_cmp_eq_u64 s[2:3], s[28:29]
	s_cbranch_scc0 .LBB1656_75
; %bb.78:                               ;   in Loop: Header=BB1656_77 Depth=1
                                        ; implicit-def: $vgpr6_vgpr7
                                        ; implicit-def: $vgpr10_vgpr11
	s_mov_b64 s[28:29], s[16:17]
	s_branch .LBB1656_76
.LBB1656_79:
	s_mov_b64 s[26:27], 0
	s_branch .LBB1656_82
.LBB1656_80:
	s_or_b64 exec, exec, s[4:5]
	v_cmp_gt_i64_e32 vcc, s[16:17], v[12:13]
	s_orn2_b64 s[26:27], vcc, exec
.LBB1656_81:
	s_or_b64 exec, exec, s[22:23]
.LBB1656_82:
	s_and_b64 s[22:23], s[26:27], exec
	s_or_b64 s[24:25], s[24:25], exec
.LBB1656_83:
	s_or_b64 exec, exec, s[20:21]
	s_branch .LBB1656_108
.LBB1656_84:
	v_lshlrev_b32_e32 v14, 1, v0
	s_waitcnt lgkmcnt(0)
	v_or_b32_e32 v6, 1, v14
	v_cmp_gt_u32_e32 vcc, s14, v6
	v_cmp_lt_i64_e64 s[20:21], s[16:17], 1
	v_pk_mov_b32 v[8:9], v[4:5], v[4:5] op_sel:[0,1]
	ds_write_b64 v1, v[4:5]
	v_pk_mov_b32 v[6:7], v[2:3], v[2:3] op_sel:[0,1]
	s_and_saveexec_b64 s[22:23], vcc
	s_cbranch_execz .LBB1656_95
; %bb.85:
	s_and_b64 vcc, exec, s[20:21]
	s_cbranch_vccnz .LBB1656_92
; %bb.86:
	v_mul_lo_u32 v6, v5, s16
	v_mul_lo_u32 v7, v4, s17
	v_mad_u64_u32 v[4:5], s[2:3], v4, s16, 0
	v_add3_u32 v5, v5, v7, v6
	v_mul_lo_u32 v6, v3, s16
	v_mul_lo_u32 v7, v2, s17
	v_mad_u64_u32 v[8:9], s[2:3], v2, s16, 0
	v_add3_u32 v9, v9, v7, v6
	v_lshlrev_b64 v[6:7], 3, v[4:5]
	v_mov_b32_e32 v4, s19
	v_add_co_u32_e32 v10, vcc, s18, v6
	v_addc_co_u32_e64 v11, s[2:3], v4, v7, vcc
	v_lshlrev_b64 v[4:5], 3, v[8:9]
	v_mov_b32_e32 v6, s19
	v_add_co_u32_e64 v12, s[2:3], s18, v4
	v_addc_co_u32_e64 v13, s[4:5], v6, v5, s[2:3]
	global_load_dwordx2 v[8:9], v[10:11], off
	global_load_dwordx2 v[16:17], v[12:13], off
	s_waitcnt vmcnt(0)
	v_cmp_eq_u64_e64 s[4:5], v[8:9], v[16:17]
	v_mov_b32_e32 v8, 1
	v_mov_b32_e32 v9, 0
	s_and_saveexec_b64 s[26:27], s[4:5]
	s_cbranch_execz .LBB1656_94
; %bb.87:
	v_mov_b32_e32 v4, s19
	v_addc_co_u32_e64 v5, s[2:3], v5, v4, s[2:3]
	v_add_co_u32_e64 v4, s[2:3], 8, v12
	v_mov_b32_e32 v6, s19
	v_addc_co_u32_e64 v5, s[2:3], 0, v5, s[2:3]
	v_addc_co_u32_e32 v7, vcc, v7, v6, vcc
	v_add_co_u32_e32 v6, vcc, 8, v10
	s_add_u32 s2, s16, -1
	v_addc_co_u32_e32 v7, vcc, 0, v7, vcc
	s_addc_u32 s3, s17, -1
	s_mov_b64 s[4:5], 0
	s_mov_b64 s[30:31], 0
                                        ; implicit-def: $sgpr28_sgpr29
	s_branch .LBB1656_90
.LBB1656_88:                            ;   in Loop: Header=BB1656_90 Depth=1
	global_load_dwordx2 v[8:9], v[6:7], off
	global_load_dwordx2 v[10:11], v[4:5], off
	v_add_co_u32_e32 v4, vcc, 8, v4
	v_addc_co_u32_e32 v5, vcc, 0, v5, vcc
	v_add_co_u32_e32 v6, vcc, 8, v6
	v_addc_co_u32_e32 v7, vcc, 0, v7, vcc
	s_add_u32 s30, s30, 1
	s_addc_u32 s31, s31, 0
	s_andn2_b64 s[28:29], s[28:29], exec
	s_waitcnt vmcnt(0)
	v_cmp_ne_u64_e32 vcc, v[8:9], v[10:11]
	s_and_b64 s[34:35], vcc, exec
	s_or_b64 s[28:29], s[28:29], s[34:35]
.LBB1656_89:                            ;   in Loop: Header=BB1656_90 Depth=1
	s_and_b64 s[34:35], exec, s[28:29]
	s_or_b64 s[4:5], s[34:35], s[4:5]
	v_pk_mov_b32 v[8:9], s[30:31], s[30:31] op_sel:[0,1]
	s_andn2_b64 exec, exec, s[4:5]
	s_cbranch_execz .LBB1656_93
.LBB1656_90:                            ; =>This Inner Loop Header: Depth=1
	s_or_b64 s[28:29], s[28:29], exec
	s_cmp_eq_u64 s[2:3], s[30:31]
	s_cbranch_scc0 .LBB1656_88
; %bb.91:                               ;   in Loop: Header=BB1656_90 Depth=1
                                        ; implicit-def: $vgpr4_vgpr5
                                        ; implicit-def: $vgpr6_vgpr7
	s_mov_b64 s[30:31], s[16:17]
	s_branch .LBB1656_89
.LBB1656_92:
	v_pk_mov_b32 v[8:9], 0, 0
	s_branch .LBB1656_95
.LBB1656_93:
	s_or_b64 exec, exec, s[4:5]
	v_cmp_gt_i64_e32 vcc, s[16:17], v[8:9]
	s_mov_b32 s2, 0
	v_cndmask_b32_e64 v8, 0, 1, vcc
	v_mov_b32_e32 v9, s2
.LBB1656_94:
	s_or_b64 exec, exec, s[26:27]
.LBB1656_95:
	s_or_b64 exec, exec, s[22:23]
	v_cmp_ne_u32_e32 vcc, 0, v0
	v_cmp_gt_u32_e64 s[2:3], s14, v14
	s_and_b64 s[2:3], vcc, s[2:3]
	s_waitcnt lgkmcnt(0)
	s_barrier
	s_waitcnt lgkmcnt(0)
                                        ; implicit-def: $sgpr22_sgpr23
	s_and_saveexec_b64 s[26:27], s[2:3]
	s_cbranch_execz .LBB1656_107
; %bb.96:
	s_and_b64 vcc, exec, s[20:21]
	s_cbranch_vccnz .LBB1656_103
; %bb.97:
	v_mul_lo_u32 v6, v3, s16
	v_add_u32_e32 v3, -8, v1
	ds_read_b64 v[4:5], v3
	v_mul_lo_u32 v7, v2, s17
	v_mad_u64_u32 v[2:3], s[2:3], v2, s16, 0
	v_add3_u32 v3, v3, v7, v6
	s_waitcnt lgkmcnt(0)
	v_mul_lo_u32 v5, v5, s16
	v_mul_lo_u32 v6, v4, s17
	v_mad_u64_u32 v[10:11], s[2:3], v4, s16, 0
	v_add3_u32 v11, v11, v6, v5
	v_lshlrev_b64 v[4:5], 3, v[2:3]
	v_mov_b32_e32 v2, s19
	v_add_co_u32_e32 v6, vcc, s18, v4
	v_addc_co_u32_e64 v7, s[2:3], v2, v5, vcc
	v_lshlrev_b64 v[2:3], 3, v[10:11]
	v_mov_b32_e32 v4, s19
	v_add_co_u32_e64 v10, s[2:3], s18, v2
	v_addc_co_u32_e64 v11, s[4:5], v4, v3, s[2:3]
	global_load_dwordx2 v[12:13], v[6:7], off
	global_load_dwordx2 v[14:15], v[10:11], off
	s_mov_b64 s[22:23], -1
	s_waitcnt vmcnt(0)
	v_cmp_eq_u64_e64 s[4:5], v[12:13], v[14:15]
	s_and_saveexec_b64 s[20:21], s[4:5]
	s_cbranch_execz .LBB1656_105
; %bb.98:
	v_mov_b32_e32 v2, s19
	v_addc_co_u32_e64 v3, s[2:3], v3, v2, s[2:3]
	v_add_co_u32_e64 v2, s[2:3], 8, v10
	v_mov_b32_e32 v4, s19
	v_addc_co_u32_e64 v3, s[2:3], 0, v3, s[2:3]
	v_addc_co_u32_e32 v5, vcc, v5, v4, vcc
	v_add_co_u32_e32 v4, vcc, 8, v6
	s_add_u32 s2, s16, -1
	v_addc_co_u32_e32 v5, vcc, 0, v5, vcc
	s_addc_u32 s3, s17, -1
	s_mov_b64 s[4:5], 0
	s_mov_b64 s[22:23], 0
                                        ; implicit-def: $sgpr18_sgpr19
	s_branch .LBB1656_101
.LBB1656_99:                            ;   in Loop: Header=BB1656_101 Depth=1
	global_load_dwordx2 v[6:7], v[4:5], off
	global_load_dwordx2 v[10:11], v[2:3], off
	v_add_co_u32_e32 v2, vcc, 8, v2
	v_addc_co_u32_e32 v3, vcc, 0, v3, vcc
	v_add_co_u32_e32 v4, vcc, 8, v4
	v_addc_co_u32_e32 v5, vcc, 0, v5, vcc
	s_add_u32 s22, s22, 1
	s_addc_u32 s23, s23, 0
	s_andn2_b64 s[18:19], s[18:19], exec
	s_waitcnt vmcnt(0)
	v_cmp_ne_u64_e32 vcc, v[6:7], v[10:11]
	s_and_b64 s[28:29], vcc, exec
	s_or_b64 s[18:19], s[18:19], s[28:29]
.LBB1656_100:                           ;   in Loop: Header=BB1656_101 Depth=1
	s_and_b64 s[28:29], exec, s[18:19]
	s_or_b64 s[4:5], s[28:29], s[4:5]
	v_pk_mov_b32 v[6:7], s[22:23], s[22:23] op_sel:[0,1]
	s_andn2_b64 exec, exec, s[4:5]
	s_cbranch_execz .LBB1656_104
.LBB1656_101:                           ; =>This Inner Loop Header: Depth=1
	s_or_b64 s[18:19], s[18:19], exec
	s_cmp_eq_u64 s[2:3], s[22:23]
	s_cbranch_scc0 .LBB1656_99
; %bb.102:                              ;   in Loop: Header=BB1656_101 Depth=1
                                        ; implicit-def: $vgpr2_vgpr3
                                        ; implicit-def: $vgpr4_vgpr5
	s_mov_b64 s[22:23], s[16:17]
	s_branch .LBB1656_100
.LBB1656_103:
	s_mov_b64 s[22:23], 0
	s_branch .LBB1656_106
.LBB1656_104:
	s_or_b64 exec, exec, s[4:5]
	v_cmp_gt_i64_e32 vcc, s[16:17], v[6:7]
	s_orn2_b64 s[22:23], vcc, exec
.LBB1656_105:
	s_or_b64 exec, exec, s[20:21]
.LBB1656_106:
	s_and_b64 s[22:23], s[22:23], exec
	s_or_b64 s[24:25], s[24:25], exec
                                        ; implicit-def: $vgpr2_vgpr3
.LBB1656_107:
	s_or_b64 exec, exec, s[26:27]
.LBB1656_108:
	s_and_saveexec_b64 s[2:3], s[24:25]
; %bb.109:
	s_mov_b32 s4, 0
	v_cndmask_b32_e64 v2, 0, 1, s[22:23]
	v_mov_b32_e32 v3, s4
; %bb.110:
	s_or_b64 exec, exec, s[2:3]
	s_add_u32 s4, s12, s10
	s_addc_u32 s5, s13, s11
	s_and_b64 vcc, exec, s[0:1]
	v_lshrrev_b32_e32 v10, 1, v0
	s_waitcnt lgkmcnt(0)
	s_barrier
	s_cbranch_vccz .LBB1656_114
; %bb.111:
	v_and_b32_e32 v4, 0xf8, v10
	v_lshl_add_u32 v6, v0, 4, v4
	v_mov_b32_e32 v4, v8
	v_mov_b32_e32 v5, v9
	v_or_b32_e32 v11, 0x200, v0
	s_lshl_b32 s0, s6, 10
	s_mov_b32 s9, 0
	ds_write2_b64 v6, v[2:3], v[4:5] offset1:1
	v_lshrrev_b32_e32 v4, 5, v11
	s_sub_i32 s2, s14, s0
	s_lshl_b64 s[0:1], s[8:9], 3
	v_add_lshl_u32 v4, v4, v0, 3
	s_add_u32 s0, s4, s0
	s_waitcnt lgkmcnt(0)
	s_barrier
	ds_read_b64 v[4:5], v4 offset:4096
	s_addc_u32 s1, s5, s1
	v_mov_b32_e32 v7, s1
	v_add_co_u32_e32 v6, vcc, s0, v1
	v_addc_co_u32_e32 v7, vcc, 0, v7, vcc
	v_cmp_gt_u32_e32 vcc, s2, v0
	s_and_saveexec_b64 s[0:1], vcc
	s_cbranch_execz .LBB1656_113
; %bb.112:
	v_lshrrev_b32_e32 v12, 5, v0
	v_add_lshl_u32 v12, v12, v0, 3
	ds_read_b64 v[12:13], v12
	s_waitcnt lgkmcnt(0)
	global_store_dwordx2 v[6:7], v[12:13], off
.LBB1656_113:
	s_or_b64 exec, exec, s[0:1]
	v_cmp_gt_u32_e64 s[0:1], s2, v11
	s_branch .LBB1656_116
.LBB1656_114:
	s_mov_b64 s[0:1], 0
                                        ; implicit-def: $vgpr4_vgpr5
                                        ; implicit-def: $vgpr6_vgpr7
	s_cbranch_execz .LBB1656_116
; %bb.115:
	s_waitcnt lgkmcnt(0)
	v_and_b32_e32 v4, 0xf8, v10
	v_lshl_add_u32 v6, v0, 4, v4
	v_mov_b32_e32 v4, v8
	v_mov_b32_e32 v5, v9
	s_mov_b32 s9, 0
	ds_write2_b64 v6, v[2:3], v[4:5] offset1:1
	v_lshrrev_b32_e32 v2, 5, v0
	v_or_b32_e32 v3, 0x200, v0
	s_lshl_b64 s[2:3], s[8:9], 3
	v_add_lshl_u32 v2, v2, v0, 3
	v_lshrrev_b32_e32 v3, 5, v3
	s_add_u32 s2, s4, s2
	s_waitcnt lgkmcnt(0)
	s_barrier
	v_add_lshl_u32 v0, v3, v0, 3
	ds_read_b64 v[2:3], v2
	ds_read_b64 v[4:5], v0 offset:4096
	s_addc_u32 s3, s5, s3
	v_mov_b32_e32 v0, s3
	v_add_co_u32_e32 v6, vcc, s2, v1
	v_addc_co_u32_e32 v7, vcc, 0, v0, vcc
	s_or_b64 s[0:1], s[0:1], exec
	s_waitcnt lgkmcnt(1)
	global_store_dwordx2 v1, v[2:3], s[2:3]
.LBB1656_116:
	s_and_saveexec_b64 s[2:3], s[0:1]
	s_cbranch_execnz .LBB1656_118
; %bb.117:
	s_endpgm
.LBB1656_118:
	v_add_co_u32_e32 v0, vcc, 0x1000, v6
	v_addc_co_u32_e32 v1, vcc, 0, v7, vcc
	s_waitcnt lgkmcnt(0)
	global_store_dwordx2 v[0:1], v[4:5], off
	s_endpgm
	.section	.rodata,"a",@progbits
	.p2align	6, 0x0
	.amdhsa_kernel _ZN7rocprim17ROCPRIM_400000_NS6detail17trampoline_kernelINS0_14default_configENS1_35adjacent_difference_config_selectorILb1ElEEZNS1_24adjacent_difference_implIS3_Lb1ELb0EPlS7_ZN2at6native12_GLOBAL__N_124unique_dim_cuda_templateImEESt5tupleIJNS8_6TensorESD_SD_EERKSD_lbbbEUlllE1_EE10hipError_tPvRmT2_T3_mT4_P12ihipStream_tbEUlT_E_NS1_11comp_targetILNS1_3genE4ELNS1_11target_archE910ELNS1_3gpuE8ELNS1_3repE0EEENS1_30default_config_static_selectorELNS0_4arch9wavefront6targetE1EEEvT1_
		.amdhsa_group_segment_fixed_size 8448
		.amdhsa_private_segment_fixed_size 0
		.amdhsa_kernarg_size 64
		.amdhsa_user_sgpr_count 6
		.amdhsa_user_sgpr_private_segment_buffer 1
		.amdhsa_user_sgpr_dispatch_ptr 0
		.amdhsa_user_sgpr_queue_ptr 0
		.amdhsa_user_sgpr_kernarg_segment_ptr 1
		.amdhsa_user_sgpr_dispatch_id 0
		.amdhsa_user_sgpr_flat_scratch_init 0
		.amdhsa_user_sgpr_kernarg_preload_length 0
		.amdhsa_user_sgpr_kernarg_preload_offset 0
		.amdhsa_user_sgpr_private_segment_size 0
		.amdhsa_uses_dynamic_stack 0
		.amdhsa_system_sgpr_private_segment_wavefront_offset 0
		.amdhsa_system_sgpr_workgroup_id_x 1
		.amdhsa_system_sgpr_workgroup_id_y 0
		.amdhsa_system_sgpr_workgroup_id_z 0
		.amdhsa_system_sgpr_workgroup_info 0
		.amdhsa_system_vgpr_workitem_id 0
		.amdhsa_next_free_vgpr 20
		.amdhsa_next_free_sgpr 38
		.amdhsa_accum_offset 20
		.amdhsa_reserve_vcc 1
		.amdhsa_reserve_flat_scratch 0
		.amdhsa_float_round_mode_32 0
		.amdhsa_float_round_mode_16_64 0
		.amdhsa_float_denorm_mode_32 3
		.amdhsa_float_denorm_mode_16_64 3
		.amdhsa_dx10_clamp 1
		.amdhsa_ieee_mode 1
		.amdhsa_fp16_overflow 0
		.amdhsa_tg_split 0
		.amdhsa_exception_fp_ieee_invalid_op 0
		.amdhsa_exception_fp_denorm_src 0
		.amdhsa_exception_fp_ieee_div_zero 0
		.amdhsa_exception_fp_ieee_overflow 0
		.amdhsa_exception_fp_ieee_underflow 0
		.amdhsa_exception_fp_ieee_inexact 0
		.amdhsa_exception_int_div_zero 0
	.end_amdhsa_kernel
	.section	.text._ZN7rocprim17ROCPRIM_400000_NS6detail17trampoline_kernelINS0_14default_configENS1_35adjacent_difference_config_selectorILb1ElEEZNS1_24adjacent_difference_implIS3_Lb1ELb0EPlS7_ZN2at6native12_GLOBAL__N_124unique_dim_cuda_templateImEESt5tupleIJNS8_6TensorESD_SD_EERKSD_lbbbEUlllE1_EE10hipError_tPvRmT2_T3_mT4_P12ihipStream_tbEUlT_E_NS1_11comp_targetILNS1_3genE4ELNS1_11target_archE910ELNS1_3gpuE8ELNS1_3repE0EEENS1_30default_config_static_selectorELNS0_4arch9wavefront6targetE1EEEvT1_,"axG",@progbits,_ZN7rocprim17ROCPRIM_400000_NS6detail17trampoline_kernelINS0_14default_configENS1_35adjacent_difference_config_selectorILb1ElEEZNS1_24adjacent_difference_implIS3_Lb1ELb0EPlS7_ZN2at6native12_GLOBAL__N_124unique_dim_cuda_templateImEESt5tupleIJNS8_6TensorESD_SD_EERKSD_lbbbEUlllE1_EE10hipError_tPvRmT2_T3_mT4_P12ihipStream_tbEUlT_E_NS1_11comp_targetILNS1_3genE4ELNS1_11target_archE910ELNS1_3gpuE8ELNS1_3repE0EEENS1_30default_config_static_selectorELNS0_4arch9wavefront6targetE1EEEvT1_,comdat
.Lfunc_end1656:
	.size	_ZN7rocprim17ROCPRIM_400000_NS6detail17trampoline_kernelINS0_14default_configENS1_35adjacent_difference_config_selectorILb1ElEEZNS1_24adjacent_difference_implIS3_Lb1ELb0EPlS7_ZN2at6native12_GLOBAL__N_124unique_dim_cuda_templateImEESt5tupleIJNS8_6TensorESD_SD_EERKSD_lbbbEUlllE1_EE10hipError_tPvRmT2_T3_mT4_P12ihipStream_tbEUlT_E_NS1_11comp_targetILNS1_3genE4ELNS1_11target_archE910ELNS1_3gpuE8ELNS1_3repE0EEENS1_30default_config_static_selectorELNS0_4arch9wavefront6targetE1EEEvT1_, .Lfunc_end1656-_ZN7rocprim17ROCPRIM_400000_NS6detail17trampoline_kernelINS0_14default_configENS1_35adjacent_difference_config_selectorILb1ElEEZNS1_24adjacent_difference_implIS3_Lb1ELb0EPlS7_ZN2at6native12_GLOBAL__N_124unique_dim_cuda_templateImEESt5tupleIJNS8_6TensorESD_SD_EERKSD_lbbbEUlllE1_EE10hipError_tPvRmT2_T3_mT4_P12ihipStream_tbEUlT_E_NS1_11comp_targetILNS1_3genE4ELNS1_11target_archE910ELNS1_3gpuE8ELNS1_3repE0EEENS1_30default_config_static_selectorELNS0_4arch9wavefront6targetE1EEEvT1_
                                        ; -- End function
	.section	.AMDGPU.csdata,"",@progbits
; Kernel info:
; codeLenInByte = 4304
; NumSgprs: 42
; NumVgprs: 20
; NumAgprs: 0
; TotalNumVgprs: 20
; ScratchSize: 0
; MemoryBound: 1
; FloatMode: 240
; IeeeMode: 1
; LDSByteSize: 8448 bytes/workgroup (compile time only)
; SGPRBlocks: 5
; VGPRBlocks: 2
; NumSGPRsForWavesPerEU: 42
; NumVGPRsForWavesPerEU: 20
; AccumOffset: 20
; Occupancy: 8
; WaveLimiterHint : 1
; COMPUTE_PGM_RSRC2:SCRATCH_EN: 0
; COMPUTE_PGM_RSRC2:USER_SGPR: 6
; COMPUTE_PGM_RSRC2:TRAP_HANDLER: 0
; COMPUTE_PGM_RSRC2:TGID_X_EN: 1
; COMPUTE_PGM_RSRC2:TGID_Y_EN: 0
; COMPUTE_PGM_RSRC2:TGID_Z_EN: 0
; COMPUTE_PGM_RSRC2:TIDIG_COMP_CNT: 0
; COMPUTE_PGM_RSRC3_GFX90A:ACCUM_OFFSET: 4
; COMPUTE_PGM_RSRC3_GFX90A:TG_SPLIT: 0
	.section	.text._ZN7rocprim17ROCPRIM_400000_NS6detail17trampoline_kernelINS0_14default_configENS1_35adjacent_difference_config_selectorILb1ElEEZNS1_24adjacent_difference_implIS3_Lb1ELb0EPlS7_ZN2at6native12_GLOBAL__N_124unique_dim_cuda_templateImEESt5tupleIJNS8_6TensorESD_SD_EERKSD_lbbbEUlllE1_EE10hipError_tPvRmT2_T3_mT4_P12ihipStream_tbEUlT_E_NS1_11comp_targetILNS1_3genE3ELNS1_11target_archE908ELNS1_3gpuE7ELNS1_3repE0EEENS1_30default_config_static_selectorELNS0_4arch9wavefront6targetE1EEEvT1_,"axG",@progbits,_ZN7rocprim17ROCPRIM_400000_NS6detail17trampoline_kernelINS0_14default_configENS1_35adjacent_difference_config_selectorILb1ElEEZNS1_24adjacent_difference_implIS3_Lb1ELb0EPlS7_ZN2at6native12_GLOBAL__N_124unique_dim_cuda_templateImEESt5tupleIJNS8_6TensorESD_SD_EERKSD_lbbbEUlllE1_EE10hipError_tPvRmT2_T3_mT4_P12ihipStream_tbEUlT_E_NS1_11comp_targetILNS1_3genE3ELNS1_11target_archE908ELNS1_3gpuE7ELNS1_3repE0EEENS1_30default_config_static_selectorELNS0_4arch9wavefront6targetE1EEEvT1_,comdat
	.globl	_ZN7rocprim17ROCPRIM_400000_NS6detail17trampoline_kernelINS0_14default_configENS1_35adjacent_difference_config_selectorILb1ElEEZNS1_24adjacent_difference_implIS3_Lb1ELb0EPlS7_ZN2at6native12_GLOBAL__N_124unique_dim_cuda_templateImEESt5tupleIJNS8_6TensorESD_SD_EERKSD_lbbbEUlllE1_EE10hipError_tPvRmT2_T3_mT4_P12ihipStream_tbEUlT_E_NS1_11comp_targetILNS1_3genE3ELNS1_11target_archE908ELNS1_3gpuE7ELNS1_3repE0EEENS1_30default_config_static_selectorELNS0_4arch9wavefront6targetE1EEEvT1_ ; -- Begin function _ZN7rocprim17ROCPRIM_400000_NS6detail17trampoline_kernelINS0_14default_configENS1_35adjacent_difference_config_selectorILb1ElEEZNS1_24adjacent_difference_implIS3_Lb1ELb0EPlS7_ZN2at6native12_GLOBAL__N_124unique_dim_cuda_templateImEESt5tupleIJNS8_6TensorESD_SD_EERKSD_lbbbEUlllE1_EE10hipError_tPvRmT2_T3_mT4_P12ihipStream_tbEUlT_E_NS1_11comp_targetILNS1_3genE3ELNS1_11target_archE908ELNS1_3gpuE7ELNS1_3repE0EEENS1_30default_config_static_selectorELNS0_4arch9wavefront6targetE1EEEvT1_
	.p2align	8
	.type	_ZN7rocprim17ROCPRIM_400000_NS6detail17trampoline_kernelINS0_14default_configENS1_35adjacent_difference_config_selectorILb1ElEEZNS1_24adjacent_difference_implIS3_Lb1ELb0EPlS7_ZN2at6native12_GLOBAL__N_124unique_dim_cuda_templateImEESt5tupleIJNS8_6TensorESD_SD_EERKSD_lbbbEUlllE1_EE10hipError_tPvRmT2_T3_mT4_P12ihipStream_tbEUlT_E_NS1_11comp_targetILNS1_3genE3ELNS1_11target_archE908ELNS1_3gpuE7ELNS1_3repE0EEENS1_30default_config_static_selectorELNS0_4arch9wavefront6targetE1EEEvT1_,@function
_ZN7rocprim17ROCPRIM_400000_NS6detail17trampoline_kernelINS0_14default_configENS1_35adjacent_difference_config_selectorILb1ElEEZNS1_24adjacent_difference_implIS3_Lb1ELb0EPlS7_ZN2at6native12_GLOBAL__N_124unique_dim_cuda_templateImEESt5tupleIJNS8_6TensorESD_SD_EERKSD_lbbbEUlllE1_EE10hipError_tPvRmT2_T3_mT4_P12ihipStream_tbEUlT_E_NS1_11comp_targetILNS1_3genE3ELNS1_11target_archE908ELNS1_3gpuE7ELNS1_3repE0EEENS1_30default_config_static_selectorELNS0_4arch9wavefront6targetE1EEEvT1_: ; @_ZN7rocprim17ROCPRIM_400000_NS6detail17trampoline_kernelINS0_14default_configENS1_35adjacent_difference_config_selectorILb1ElEEZNS1_24adjacent_difference_implIS3_Lb1ELb0EPlS7_ZN2at6native12_GLOBAL__N_124unique_dim_cuda_templateImEESt5tupleIJNS8_6TensorESD_SD_EERKSD_lbbbEUlllE1_EE10hipError_tPvRmT2_T3_mT4_P12ihipStream_tbEUlT_E_NS1_11comp_targetILNS1_3genE3ELNS1_11target_archE908ELNS1_3gpuE7ELNS1_3repE0EEENS1_30default_config_static_selectorELNS0_4arch9wavefront6targetE1EEEvT1_
; %bb.0:
	.section	.rodata,"a",@progbits
	.p2align	6, 0x0
	.amdhsa_kernel _ZN7rocprim17ROCPRIM_400000_NS6detail17trampoline_kernelINS0_14default_configENS1_35adjacent_difference_config_selectorILb1ElEEZNS1_24adjacent_difference_implIS3_Lb1ELb0EPlS7_ZN2at6native12_GLOBAL__N_124unique_dim_cuda_templateImEESt5tupleIJNS8_6TensorESD_SD_EERKSD_lbbbEUlllE1_EE10hipError_tPvRmT2_T3_mT4_P12ihipStream_tbEUlT_E_NS1_11comp_targetILNS1_3genE3ELNS1_11target_archE908ELNS1_3gpuE7ELNS1_3repE0EEENS1_30default_config_static_selectorELNS0_4arch9wavefront6targetE1EEEvT1_
		.amdhsa_group_segment_fixed_size 0
		.amdhsa_private_segment_fixed_size 0
		.amdhsa_kernarg_size 64
		.amdhsa_user_sgpr_count 6
		.amdhsa_user_sgpr_private_segment_buffer 1
		.amdhsa_user_sgpr_dispatch_ptr 0
		.amdhsa_user_sgpr_queue_ptr 0
		.amdhsa_user_sgpr_kernarg_segment_ptr 1
		.amdhsa_user_sgpr_dispatch_id 0
		.amdhsa_user_sgpr_flat_scratch_init 0
		.amdhsa_user_sgpr_kernarg_preload_length 0
		.amdhsa_user_sgpr_kernarg_preload_offset 0
		.amdhsa_user_sgpr_private_segment_size 0
		.amdhsa_uses_dynamic_stack 0
		.amdhsa_system_sgpr_private_segment_wavefront_offset 0
		.amdhsa_system_sgpr_workgroup_id_x 1
		.amdhsa_system_sgpr_workgroup_id_y 0
		.amdhsa_system_sgpr_workgroup_id_z 0
		.amdhsa_system_sgpr_workgroup_info 0
		.amdhsa_system_vgpr_workitem_id 0
		.amdhsa_next_free_vgpr 1
		.amdhsa_next_free_sgpr 0
		.amdhsa_accum_offset 4
		.amdhsa_reserve_vcc 0
		.amdhsa_reserve_flat_scratch 0
		.amdhsa_float_round_mode_32 0
		.amdhsa_float_round_mode_16_64 0
		.amdhsa_float_denorm_mode_32 3
		.amdhsa_float_denorm_mode_16_64 3
		.amdhsa_dx10_clamp 1
		.amdhsa_ieee_mode 1
		.amdhsa_fp16_overflow 0
		.amdhsa_tg_split 0
		.amdhsa_exception_fp_ieee_invalid_op 0
		.amdhsa_exception_fp_denorm_src 0
		.amdhsa_exception_fp_ieee_div_zero 0
		.amdhsa_exception_fp_ieee_overflow 0
		.amdhsa_exception_fp_ieee_underflow 0
		.amdhsa_exception_fp_ieee_inexact 0
		.amdhsa_exception_int_div_zero 0
	.end_amdhsa_kernel
	.section	.text._ZN7rocprim17ROCPRIM_400000_NS6detail17trampoline_kernelINS0_14default_configENS1_35adjacent_difference_config_selectorILb1ElEEZNS1_24adjacent_difference_implIS3_Lb1ELb0EPlS7_ZN2at6native12_GLOBAL__N_124unique_dim_cuda_templateImEESt5tupleIJNS8_6TensorESD_SD_EERKSD_lbbbEUlllE1_EE10hipError_tPvRmT2_T3_mT4_P12ihipStream_tbEUlT_E_NS1_11comp_targetILNS1_3genE3ELNS1_11target_archE908ELNS1_3gpuE7ELNS1_3repE0EEENS1_30default_config_static_selectorELNS0_4arch9wavefront6targetE1EEEvT1_,"axG",@progbits,_ZN7rocprim17ROCPRIM_400000_NS6detail17trampoline_kernelINS0_14default_configENS1_35adjacent_difference_config_selectorILb1ElEEZNS1_24adjacent_difference_implIS3_Lb1ELb0EPlS7_ZN2at6native12_GLOBAL__N_124unique_dim_cuda_templateImEESt5tupleIJNS8_6TensorESD_SD_EERKSD_lbbbEUlllE1_EE10hipError_tPvRmT2_T3_mT4_P12ihipStream_tbEUlT_E_NS1_11comp_targetILNS1_3genE3ELNS1_11target_archE908ELNS1_3gpuE7ELNS1_3repE0EEENS1_30default_config_static_selectorELNS0_4arch9wavefront6targetE1EEEvT1_,comdat
.Lfunc_end1657:
	.size	_ZN7rocprim17ROCPRIM_400000_NS6detail17trampoline_kernelINS0_14default_configENS1_35adjacent_difference_config_selectorILb1ElEEZNS1_24adjacent_difference_implIS3_Lb1ELb0EPlS7_ZN2at6native12_GLOBAL__N_124unique_dim_cuda_templateImEESt5tupleIJNS8_6TensorESD_SD_EERKSD_lbbbEUlllE1_EE10hipError_tPvRmT2_T3_mT4_P12ihipStream_tbEUlT_E_NS1_11comp_targetILNS1_3genE3ELNS1_11target_archE908ELNS1_3gpuE7ELNS1_3repE0EEENS1_30default_config_static_selectorELNS0_4arch9wavefront6targetE1EEEvT1_, .Lfunc_end1657-_ZN7rocprim17ROCPRIM_400000_NS6detail17trampoline_kernelINS0_14default_configENS1_35adjacent_difference_config_selectorILb1ElEEZNS1_24adjacent_difference_implIS3_Lb1ELb0EPlS7_ZN2at6native12_GLOBAL__N_124unique_dim_cuda_templateImEESt5tupleIJNS8_6TensorESD_SD_EERKSD_lbbbEUlllE1_EE10hipError_tPvRmT2_T3_mT4_P12ihipStream_tbEUlT_E_NS1_11comp_targetILNS1_3genE3ELNS1_11target_archE908ELNS1_3gpuE7ELNS1_3repE0EEENS1_30default_config_static_selectorELNS0_4arch9wavefront6targetE1EEEvT1_
                                        ; -- End function
	.section	.AMDGPU.csdata,"",@progbits
; Kernel info:
; codeLenInByte = 0
; NumSgprs: 4
; NumVgprs: 0
; NumAgprs: 0
; TotalNumVgprs: 0
; ScratchSize: 0
; MemoryBound: 0
; FloatMode: 240
; IeeeMode: 1
; LDSByteSize: 0 bytes/workgroup (compile time only)
; SGPRBlocks: 0
; VGPRBlocks: 0
; NumSGPRsForWavesPerEU: 4
; NumVGPRsForWavesPerEU: 1
; AccumOffset: 4
; Occupancy: 8
; WaveLimiterHint : 0
; COMPUTE_PGM_RSRC2:SCRATCH_EN: 0
; COMPUTE_PGM_RSRC2:USER_SGPR: 6
; COMPUTE_PGM_RSRC2:TRAP_HANDLER: 0
; COMPUTE_PGM_RSRC2:TGID_X_EN: 1
; COMPUTE_PGM_RSRC2:TGID_Y_EN: 0
; COMPUTE_PGM_RSRC2:TGID_Z_EN: 0
; COMPUTE_PGM_RSRC2:TIDIG_COMP_CNT: 0
; COMPUTE_PGM_RSRC3_GFX90A:ACCUM_OFFSET: 0
; COMPUTE_PGM_RSRC3_GFX90A:TG_SPLIT: 0
	.section	.text._ZN7rocprim17ROCPRIM_400000_NS6detail17trampoline_kernelINS0_14default_configENS1_35adjacent_difference_config_selectorILb1ElEEZNS1_24adjacent_difference_implIS3_Lb1ELb0EPlS7_ZN2at6native12_GLOBAL__N_124unique_dim_cuda_templateImEESt5tupleIJNS8_6TensorESD_SD_EERKSD_lbbbEUlllE1_EE10hipError_tPvRmT2_T3_mT4_P12ihipStream_tbEUlT_E_NS1_11comp_targetILNS1_3genE2ELNS1_11target_archE906ELNS1_3gpuE6ELNS1_3repE0EEENS1_30default_config_static_selectorELNS0_4arch9wavefront6targetE1EEEvT1_,"axG",@progbits,_ZN7rocprim17ROCPRIM_400000_NS6detail17trampoline_kernelINS0_14default_configENS1_35adjacent_difference_config_selectorILb1ElEEZNS1_24adjacent_difference_implIS3_Lb1ELb0EPlS7_ZN2at6native12_GLOBAL__N_124unique_dim_cuda_templateImEESt5tupleIJNS8_6TensorESD_SD_EERKSD_lbbbEUlllE1_EE10hipError_tPvRmT2_T3_mT4_P12ihipStream_tbEUlT_E_NS1_11comp_targetILNS1_3genE2ELNS1_11target_archE906ELNS1_3gpuE6ELNS1_3repE0EEENS1_30default_config_static_selectorELNS0_4arch9wavefront6targetE1EEEvT1_,comdat
	.globl	_ZN7rocprim17ROCPRIM_400000_NS6detail17trampoline_kernelINS0_14default_configENS1_35adjacent_difference_config_selectorILb1ElEEZNS1_24adjacent_difference_implIS3_Lb1ELb0EPlS7_ZN2at6native12_GLOBAL__N_124unique_dim_cuda_templateImEESt5tupleIJNS8_6TensorESD_SD_EERKSD_lbbbEUlllE1_EE10hipError_tPvRmT2_T3_mT4_P12ihipStream_tbEUlT_E_NS1_11comp_targetILNS1_3genE2ELNS1_11target_archE906ELNS1_3gpuE6ELNS1_3repE0EEENS1_30default_config_static_selectorELNS0_4arch9wavefront6targetE1EEEvT1_ ; -- Begin function _ZN7rocprim17ROCPRIM_400000_NS6detail17trampoline_kernelINS0_14default_configENS1_35adjacent_difference_config_selectorILb1ElEEZNS1_24adjacent_difference_implIS3_Lb1ELb0EPlS7_ZN2at6native12_GLOBAL__N_124unique_dim_cuda_templateImEESt5tupleIJNS8_6TensorESD_SD_EERKSD_lbbbEUlllE1_EE10hipError_tPvRmT2_T3_mT4_P12ihipStream_tbEUlT_E_NS1_11comp_targetILNS1_3genE2ELNS1_11target_archE906ELNS1_3gpuE6ELNS1_3repE0EEENS1_30default_config_static_selectorELNS0_4arch9wavefront6targetE1EEEvT1_
	.p2align	8
	.type	_ZN7rocprim17ROCPRIM_400000_NS6detail17trampoline_kernelINS0_14default_configENS1_35adjacent_difference_config_selectorILb1ElEEZNS1_24adjacent_difference_implIS3_Lb1ELb0EPlS7_ZN2at6native12_GLOBAL__N_124unique_dim_cuda_templateImEESt5tupleIJNS8_6TensorESD_SD_EERKSD_lbbbEUlllE1_EE10hipError_tPvRmT2_T3_mT4_P12ihipStream_tbEUlT_E_NS1_11comp_targetILNS1_3genE2ELNS1_11target_archE906ELNS1_3gpuE6ELNS1_3repE0EEENS1_30default_config_static_selectorELNS0_4arch9wavefront6targetE1EEEvT1_,@function
_ZN7rocprim17ROCPRIM_400000_NS6detail17trampoline_kernelINS0_14default_configENS1_35adjacent_difference_config_selectorILb1ElEEZNS1_24adjacent_difference_implIS3_Lb1ELb0EPlS7_ZN2at6native12_GLOBAL__N_124unique_dim_cuda_templateImEESt5tupleIJNS8_6TensorESD_SD_EERKSD_lbbbEUlllE1_EE10hipError_tPvRmT2_T3_mT4_P12ihipStream_tbEUlT_E_NS1_11comp_targetILNS1_3genE2ELNS1_11target_archE906ELNS1_3gpuE6ELNS1_3repE0EEENS1_30default_config_static_selectorELNS0_4arch9wavefront6targetE1EEEvT1_: ; @_ZN7rocprim17ROCPRIM_400000_NS6detail17trampoline_kernelINS0_14default_configENS1_35adjacent_difference_config_selectorILb1ElEEZNS1_24adjacent_difference_implIS3_Lb1ELb0EPlS7_ZN2at6native12_GLOBAL__N_124unique_dim_cuda_templateImEESt5tupleIJNS8_6TensorESD_SD_EERKSD_lbbbEUlllE1_EE10hipError_tPvRmT2_T3_mT4_P12ihipStream_tbEUlT_E_NS1_11comp_targetILNS1_3genE2ELNS1_11target_archE906ELNS1_3gpuE6ELNS1_3repE0EEENS1_30default_config_static_selectorELNS0_4arch9wavefront6targetE1EEEvT1_
; %bb.0:
	.section	.rodata,"a",@progbits
	.p2align	6, 0x0
	.amdhsa_kernel _ZN7rocprim17ROCPRIM_400000_NS6detail17trampoline_kernelINS0_14default_configENS1_35adjacent_difference_config_selectorILb1ElEEZNS1_24adjacent_difference_implIS3_Lb1ELb0EPlS7_ZN2at6native12_GLOBAL__N_124unique_dim_cuda_templateImEESt5tupleIJNS8_6TensorESD_SD_EERKSD_lbbbEUlllE1_EE10hipError_tPvRmT2_T3_mT4_P12ihipStream_tbEUlT_E_NS1_11comp_targetILNS1_3genE2ELNS1_11target_archE906ELNS1_3gpuE6ELNS1_3repE0EEENS1_30default_config_static_selectorELNS0_4arch9wavefront6targetE1EEEvT1_
		.amdhsa_group_segment_fixed_size 0
		.amdhsa_private_segment_fixed_size 0
		.amdhsa_kernarg_size 64
		.amdhsa_user_sgpr_count 6
		.amdhsa_user_sgpr_private_segment_buffer 1
		.amdhsa_user_sgpr_dispatch_ptr 0
		.amdhsa_user_sgpr_queue_ptr 0
		.amdhsa_user_sgpr_kernarg_segment_ptr 1
		.amdhsa_user_sgpr_dispatch_id 0
		.amdhsa_user_sgpr_flat_scratch_init 0
		.amdhsa_user_sgpr_kernarg_preload_length 0
		.amdhsa_user_sgpr_kernarg_preload_offset 0
		.amdhsa_user_sgpr_private_segment_size 0
		.amdhsa_uses_dynamic_stack 0
		.amdhsa_system_sgpr_private_segment_wavefront_offset 0
		.amdhsa_system_sgpr_workgroup_id_x 1
		.amdhsa_system_sgpr_workgroup_id_y 0
		.amdhsa_system_sgpr_workgroup_id_z 0
		.amdhsa_system_sgpr_workgroup_info 0
		.amdhsa_system_vgpr_workitem_id 0
		.amdhsa_next_free_vgpr 1
		.amdhsa_next_free_sgpr 0
		.amdhsa_accum_offset 4
		.amdhsa_reserve_vcc 0
		.amdhsa_reserve_flat_scratch 0
		.amdhsa_float_round_mode_32 0
		.amdhsa_float_round_mode_16_64 0
		.amdhsa_float_denorm_mode_32 3
		.amdhsa_float_denorm_mode_16_64 3
		.amdhsa_dx10_clamp 1
		.amdhsa_ieee_mode 1
		.amdhsa_fp16_overflow 0
		.amdhsa_tg_split 0
		.amdhsa_exception_fp_ieee_invalid_op 0
		.amdhsa_exception_fp_denorm_src 0
		.amdhsa_exception_fp_ieee_div_zero 0
		.amdhsa_exception_fp_ieee_overflow 0
		.amdhsa_exception_fp_ieee_underflow 0
		.amdhsa_exception_fp_ieee_inexact 0
		.amdhsa_exception_int_div_zero 0
	.end_amdhsa_kernel
	.section	.text._ZN7rocprim17ROCPRIM_400000_NS6detail17trampoline_kernelINS0_14default_configENS1_35adjacent_difference_config_selectorILb1ElEEZNS1_24adjacent_difference_implIS3_Lb1ELb0EPlS7_ZN2at6native12_GLOBAL__N_124unique_dim_cuda_templateImEESt5tupleIJNS8_6TensorESD_SD_EERKSD_lbbbEUlllE1_EE10hipError_tPvRmT2_T3_mT4_P12ihipStream_tbEUlT_E_NS1_11comp_targetILNS1_3genE2ELNS1_11target_archE906ELNS1_3gpuE6ELNS1_3repE0EEENS1_30default_config_static_selectorELNS0_4arch9wavefront6targetE1EEEvT1_,"axG",@progbits,_ZN7rocprim17ROCPRIM_400000_NS6detail17trampoline_kernelINS0_14default_configENS1_35adjacent_difference_config_selectorILb1ElEEZNS1_24adjacent_difference_implIS3_Lb1ELb0EPlS7_ZN2at6native12_GLOBAL__N_124unique_dim_cuda_templateImEESt5tupleIJNS8_6TensorESD_SD_EERKSD_lbbbEUlllE1_EE10hipError_tPvRmT2_T3_mT4_P12ihipStream_tbEUlT_E_NS1_11comp_targetILNS1_3genE2ELNS1_11target_archE906ELNS1_3gpuE6ELNS1_3repE0EEENS1_30default_config_static_selectorELNS0_4arch9wavefront6targetE1EEEvT1_,comdat
.Lfunc_end1658:
	.size	_ZN7rocprim17ROCPRIM_400000_NS6detail17trampoline_kernelINS0_14default_configENS1_35adjacent_difference_config_selectorILb1ElEEZNS1_24adjacent_difference_implIS3_Lb1ELb0EPlS7_ZN2at6native12_GLOBAL__N_124unique_dim_cuda_templateImEESt5tupleIJNS8_6TensorESD_SD_EERKSD_lbbbEUlllE1_EE10hipError_tPvRmT2_T3_mT4_P12ihipStream_tbEUlT_E_NS1_11comp_targetILNS1_3genE2ELNS1_11target_archE906ELNS1_3gpuE6ELNS1_3repE0EEENS1_30default_config_static_selectorELNS0_4arch9wavefront6targetE1EEEvT1_, .Lfunc_end1658-_ZN7rocprim17ROCPRIM_400000_NS6detail17trampoline_kernelINS0_14default_configENS1_35adjacent_difference_config_selectorILb1ElEEZNS1_24adjacent_difference_implIS3_Lb1ELb0EPlS7_ZN2at6native12_GLOBAL__N_124unique_dim_cuda_templateImEESt5tupleIJNS8_6TensorESD_SD_EERKSD_lbbbEUlllE1_EE10hipError_tPvRmT2_T3_mT4_P12ihipStream_tbEUlT_E_NS1_11comp_targetILNS1_3genE2ELNS1_11target_archE906ELNS1_3gpuE6ELNS1_3repE0EEENS1_30default_config_static_selectorELNS0_4arch9wavefront6targetE1EEEvT1_
                                        ; -- End function
	.section	.AMDGPU.csdata,"",@progbits
; Kernel info:
; codeLenInByte = 0
; NumSgprs: 4
; NumVgprs: 0
; NumAgprs: 0
; TotalNumVgprs: 0
; ScratchSize: 0
; MemoryBound: 0
; FloatMode: 240
; IeeeMode: 1
; LDSByteSize: 0 bytes/workgroup (compile time only)
; SGPRBlocks: 0
; VGPRBlocks: 0
; NumSGPRsForWavesPerEU: 4
; NumVGPRsForWavesPerEU: 1
; AccumOffset: 4
; Occupancy: 8
; WaveLimiterHint : 0
; COMPUTE_PGM_RSRC2:SCRATCH_EN: 0
; COMPUTE_PGM_RSRC2:USER_SGPR: 6
; COMPUTE_PGM_RSRC2:TRAP_HANDLER: 0
; COMPUTE_PGM_RSRC2:TGID_X_EN: 1
; COMPUTE_PGM_RSRC2:TGID_Y_EN: 0
; COMPUTE_PGM_RSRC2:TGID_Z_EN: 0
; COMPUTE_PGM_RSRC2:TIDIG_COMP_CNT: 0
; COMPUTE_PGM_RSRC3_GFX90A:ACCUM_OFFSET: 0
; COMPUTE_PGM_RSRC3_GFX90A:TG_SPLIT: 0
	.section	.text._ZN7rocprim17ROCPRIM_400000_NS6detail17trampoline_kernelINS0_14default_configENS1_35adjacent_difference_config_selectorILb1ElEEZNS1_24adjacent_difference_implIS3_Lb1ELb0EPlS7_ZN2at6native12_GLOBAL__N_124unique_dim_cuda_templateImEESt5tupleIJNS8_6TensorESD_SD_EERKSD_lbbbEUlllE1_EE10hipError_tPvRmT2_T3_mT4_P12ihipStream_tbEUlT_E_NS1_11comp_targetILNS1_3genE9ELNS1_11target_archE1100ELNS1_3gpuE3ELNS1_3repE0EEENS1_30default_config_static_selectorELNS0_4arch9wavefront6targetE1EEEvT1_,"axG",@progbits,_ZN7rocprim17ROCPRIM_400000_NS6detail17trampoline_kernelINS0_14default_configENS1_35adjacent_difference_config_selectorILb1ElEEZNS1_24adjacent_difference_implIS3_Lb1ELb0EPlS7_ZN2at6native12_GLOBAL__N_124unique_dim_cuda_templateImEESt5tupleIJNS8_6TensorESD_SD_EERKSD_lbbbEUlllE1_EE10hipError_tPvRmT2_T3_mT4_P12ihipStream_tbEUlT_E_NS1_11comp_targetILNS1_3genE9ELNS1_11target_archE1100ELNS1_3gpuE3ELNS1_3repE0EEENS1_30default_config_static_selectorELNS0_4arch9wavefront6targetE1EEEvT1_,comdat
	.globl	_ZN7rocprim17ROCPRIM_400000_NS6detail17trampoline_kernelINS0_14default_configENS1_35adjacent_difference_config_selectorILb1ElEEZNS1_24adjacent_difference_implIS3_Lb1ELb0EPlS7_ZN2at6native12_GLOBAL__N_124unique_dim_cuda_templateImEESt5tupleIJNS8_6TensorESD_SD_EERKSD_lbbbEUlllE1_EE10hipError_tPvRmT2_T3_mT4_P12ihipStream_tbEUlT_E_NS1_11comp_targetILNS1_3genE9ELNS1_11target_archE1100ELNS1_3gpuE3ELNS1_3repE0EEENS1_30default_config_static_selectorELNS0_4arch9wavefront6targetE1EEEvT1_ ; -- Begin function _ZN7rocprim17ROCPRIM_400000_NS6detail17trampoline_kernelINS0_14default_configENS1_35adjacent_difference_config_selectorILb1ElEEZNS1_24adjacent_difference_implIS3_Lb1ELb0EPlS7_ZN2at6native12_GLOBAL__N_124unique_dim_cuda_templateImEESt5tupleIJNS8_6TensorESD_SD_EERKSD_lbbbEUlllE1_EE10hipError_tPvRmT2_T3_mT4_P12ihipStream_tbEUlT_E_NS1_11comp_targetILNS1_3genE9ELNS1_11target_archE1100ELNS1_3gpuE3ELNS1_3repE0EEENS1_30default_config_static_selectorELNS0_4arch9wavefront6targetE1EEEvT1_
	.p2align	8
	.type	_ZN7rocprim17ROCPRIM_400000_NS6detail17trampoline_kernelINS0_14default_configENS1_35adjacent_difference_config_selectorILb1ElEEZNS1_24adjacent_difference_implIS3_Lb1ELb0EPlS7_ZN2at6native12_GLOBAL__N_124unique_dim_cuda_templateImEESt5tupleIJNS8_6TensorESD_SD_EERKSD_lbbbEUlllE1_EE10hipError_tPvRmT2_T3_mT4_P12ihipStream_tbEUlT_E_NS1_11comp_targetILNS1_3genE9ELNS1_11target_archE1100ELNS1_3gpuE3ELNS1_3repE0EEENS1_30default_config_static_selectorELNS0_4arch9wavefront6targetE1EEEvT1_,@function
_ZN7rocprim17ROCPRIM_400000_NS6detail17trampoline_kernelINS0_14default_configENS1_35adjacent_difference_config_selectorILb1ElEEZNS1_24adjacent_difference_implIS3_Lb1ELb0EPlS7_ZN2at6native12_GLOBAL__N_124unique_dim_cuda_templateImEESt5tupleIJNS8_6TensorESD_SD_EERKSD_lbbbEUlllE1_EE10hipError_tPvRmT2_T3_mT4_P12ihipStream_tbEUlT_E_NS1_11comp_targetILNS1_3genE9ELNS1_11target_archE1100ELNS1_3gpuE3ELNS1_3repE0EEENS1_30default_config_static_selectorELNS0_4arch9wavefront6targetE1EEEvT1_: ; @_ZN7rocprim17ROCPRIM_400000_NS6detail17trampoline_kernelINS0_14default_configENS1_35adjacent_difference_config_selectorILb1ElEEZNS1_24adjacent_difference_implIS3_Lb1ELb0EPlS7_ZN2at6native12_GLOBAL__N_124unique_dim_cuda_templateImEESt5tupleIJNS8_6TensorESD_SD_EERKSD_lbbbEUlllE1_EE10hipError_tPvRmT2_T3_mT4_P12ihipStream_tbEUlT_E_NS1_11comp_targetILNS1_3genE9ELNS1_11target_archE1100ELNS1_3gpuE3ELNS1_3repE0EEENS1_30default_config_static_selectorELNS0_4arch9wavefront6targetE1EEEvT1_
; %bb.0:
	.section	.rodata,"a",@progbits
	.p2align	6, 0x0
	.amdhsa_kernel _ZN7rocprim17ROCPRIM_400000_NS6detail17trampoline_kernelINS0_14default_configENS1_35adjacent_difference_config_selectorILb1ElEEZNS1_24adjacent_difference_implIS3_Lb1ELb0EPlS7_ZN2at6native12_GLOBAL__N_124unique_dim_cuda_templateImEESt5tupleIJNS8_6TensorESD_SD_EERKSD_lbbbEUlllE1_EE10hipError_tPvRmT2_T3_mT4_P12ihipStream_tbEUlT_E_NS1_11comp_targetILNS1_3genE9ELNS1_11target_archE1100ELNS1_3gpuE3ELNS1_3repE0EEENS1_30default_config_static_selectorELNS0_4arch9wavefront6targetE1EEEvT1_
		.amdhsa_group_segment_fixed_size 0
		.amdhsa_private_segment_fixed_size 0
		.amdhsa_kernarg_size 64
		.amdhsa_user_sgpr_count 6
		.amdhsa_user_sgpr_private_segment_buffer 1
		.amdhsa_user_sgpr_dispatch_ptr 0
		.amdhsa_user_sgpr_queue_ptr 0
		.amdhsa_user_sgpr_kernarg_segment_ptr 1
		.amdhsa_user_sgpr_dispatch_id 0
		.amdhsa_user_sgpr_flat_scratch_init 0
		.amdhsa_user_sgpr_kernarg_preload_length 0
		.amdhsa_user_sgpr_kernarg_preload_offset 0
		.amdhsa_user_sgpr_private_segment_size 0
		.amdhsa_uses_dynamic_stack 0
		.amdhsa_system_sgpr_private_segment_wavefront_offset 0
		.amdhsa_system_sgpr_workgroup_id_x 1
		.amdhsa_system_sgpr_workgroup_id_y 0
		.amdhsa_system_sgpr_workgroup_id_z 0
		.amdhsa_system_sgpr_workgroup_info 0
		.amdhsa_system_vgpr_workitem_id 0
		.amdhsa_next_free_vgpr 1
		.amdhsa_next_free_sgpr 0
		.amdhsa_accum_offset 4
		.amdhsa_reserve_vcc 0
		.amdhsa_reserve_flat_scratch 0
		.amdhsa_float_round_mode_32 0
		.amdhsa_float_round_mode_16_64 0
		.amdhsa_float_denorm_mode_32 3
		.amdhsa_float_denorm_mode_16_64 3
		.amdhsa_dx10_clamp 1
		.amdhsa_ieee_mode 1
		.amdhsa_fp16_overflow 0
		.amdhsa_tg_split 0
		.amdhsa_exception_fp_ieee_invalid_op 0
		.amdhsa_exception_fp_denorm_src 0
		.amdhsa_exception_fp_ieee_div_zero 0
		.amdhsa_exception_fp_ieee_overflow 0
		.amdhsa_exception_fp_ieee_underflow 0
		.amdhsa_exception_fp_ieee_inexact 0
		.amdhsa_exception_int_div_zero 0
	.end_amdhsa_kernel
	.section	.text._ZN7rocprim17ROCPRIM_400000_NS6detail17trampoline_kernelINS0_14default_configENS1_35adjacent_difference_config_selectorILb1ElEEZNS1_24adjacent_difference_implIS3_Lb1ELb0EPlS7_ZN2at6native12_GLOBAL__N_124unique_dim_cuda_templateImEESt5tupleIJNS8_6TensorESD_SD_EERKSD_lbbbEUlllE1_EE10hipError_tPvRmT2_T3_mT4_P12ihipStream_tbEUlT_E_NS1_11comp_targetILNS1_3genE9ELNS1_11target_archE1100ELNS1_3gpuE3ELNS1_3repE0EEENS1_30default_config_static_selectorELNS0_4arch9wavefront6targetE1EEEvT1_,"axG",@progbits,_ZN7rocprim17ROCPRIM_400000_NS6detail17trampoline_kernelINS0_14default_configENS1_35adjacent_difference_config_selectorILb1ElEEZNS1_24adjacent_difference_implIS3_Lb1ELb0EPlS7_ZN2at6native12_GLOBAL__N_124unique_dim_cuda_templateImEESt5tupleIJNS8_6TensorESD_SD_EERKSD_lbbbEUlllE1_EE10hipError_tPvRmT2_T3_mT4_P12ihipStream_tbEUlT_E_NS1_11comp_targetILNS1_3genE9ELNS1_11target_archE1100ELNS1_3gpuE3ELNS1_3repE0EEENS1_30default_config_static_selectorELNS0_4arch9wavefront6targetE1EEEvT1_,comdat
.Lfunc_end1659:
	.size	_ZN7rocprim17ROCPRIM_400000_NS6detail17trampoline_kernelINS0_14default_configENS1_35adjacent_difference_config_selectorILb1ElEEZNS1_24adjacent_difference_implIS3_Lb1ELb0EPlS7_ZN2at6native12_GLOBAL__N_124unique_dim_cuda_templateImEESt5tupleIJNS8_6TensorESD_SD_EERKSD_lbbbEUlllE1_EE10hipError_tPvRmT2_T3_mT4_P12ihipStream_tbEUlT_E_NS1_11comp_targetILNS1_3genE9ELNS1_11target_archE1100ELNS1_3gpuE3ELNS1_3repE0EEENS1_30default_config_static_selectorELNS0_4arch9wavefront6targetE1EEEvT1_, .Lfunc_end1659-_ZN7rocprim17ROCPRIM_400000_NS6detail17trampoline_kernelINS0_14default_configENS1_35adjacent_difference_config_selectorILb1ElEEZNS1_24adjacent_difference_implIS3_Lb1ELb0EPlS7_ZN2at6native12_GLOBAL__N_124unique_dim_cuda_templateImEESt5tupleIJNS8_6TensorESD_SD_EERKSD_lbbbEUlllE1_EE10hipError_tPvRmT2_T3_mT4_P12ihipStream_tbEUlT_E_NS1_11comp_targetILNS1_3genE9ELNS1_11target_archE1100ELNS1_3gpuE3ELNS1_3repE0EEENS1_30default_config_static_selectorELNS0_4arch9wavefront6targetE1EEEvT1_
                                        ; -- End function
	.section	.AMDGPU.csdata,"",@progbits
; Kernel info:
; codeLenInByte = 0
; NumSgprs: 4
; NumVgprs: 0
; NumAgprs: 0
; TotalNumVgprs: 0
; ScratchSize: 0
; MemoryBound: 0
; FloatMode: 240
; IeeeMode: 1
; LDSByteSize: 0 bytes/workgroup (compile time only)
; SGPRBlocks: 0
; VGPRBlocks: 0
; NumSGPRsForWavesPerEU: 4
; NumVGPRsForWavesPerEU: 1
; AccumOffset: 4
; Occupancy: 8
; WaveLimiterHint : 0
; COMPUTE_PGM_RSRC2:SCRATCH_EN: 0
; COMPUTE_PGM_RSRC2:USER_SGPR: 6
; COMPUTE_PGM_RSRC2:TRAP_HANDLER: 0
; COMPUTE_PGM_RSRC2:TGID_X_EN: 1
; COMPUTE_PGM_RSRC2:TGID_Y_EN: 0
; COMPUTE_PGM_RSRC2:TGID_Z_EN: 0
; COMPUTE_PGM_RSRC2:TIDIG_COMP_CNT: 0
; COMPUTE_PGM_RSRC3_GFX90A:ACCUM_OFFSET: 0
; COMPUTE_PGM_RSRC3_GFX90A:TG_SPLIT: 0
	.section	.text._ZN7rocprim17ROCPRIM_400000_NS6detail17trampoline_kernelINS0_14default_configENS1_35adjacent_difference_config_selectorILb1ElEEZNS1_24adjacent_difference_implIS3_Lb1ELb0EPlS7_ZN2at6native12_GLOBAL__N_124unique_dim_cuda_templateImEESt5tupleIJNS8_6TensorESD_SD_EERKSD_lbbbEUlllE1_EE10hipError_tPvRmT2_T3_mT4_P12ihipStream_tbEUlT_E_NS1_11comp_targetILNS1_3genE8ELNS1_11target_archE1030ELNS1_3gpuE2ELNS1_3repE0EEENS1_30default_config_static_selectorELNS0_4arch9wavefront6targetE1EEEvT1_,"axG",@progbits,_ZN7rocprim17ROCPRIM_400000_NS6detail17trampoline_kernelINS0_14default_configENS1_35adjacent_difference_config_selectorILb1ElEEZNS1_24adjacent_difference_implIS3_Lb1ELb0EPlS7_ZN2at6native12_GLOBAL__N_124unique_dim_cuda_templateImEESt5tupleIJNS8_6TensorESD_SD_EERKSD_lbbbEUlllE1_EE10hipError_tPvRmT2_T3_mT4_P12ihipStream_tbEUlT_E_NS1_11comp_targetILNS1_3genE8ELNS1_11target_archE1030ELNS1_3gpuE2ELNS1_3repE0EEENS1_30default_config_static_selectorELNS0_4arch9wavefront6targetE1EEEvT1_,comdat
	.globl	_ZN7rocprim17ROCPRIM_400000_NS6detail17trampoline_kernelINS0_14default_configENS1_35adjacent_difference_config_selectorILb1ElEEZNS1_24adjacent_difference_implIS3_Lb1ELb0EPlS7_ZN2at6native12_GLOBAL__N_124unique_dim_cuda_templateImEESt5tupleIJNS8_6TensorESD_SD_EERKSD_lbbbEUlllE1_EE10hipError_tPvRmT2_T3_mT4_P12ihipStream_tbEUlT_E_NS1_11comp_targetILNS1_3genE8ELNS1_11target_archE1030ELNS1_3gpuE2ELNS1_3repE0EEENS1_30default_config_static_selectorELNS0_4arch9wavefront6targetE1EEEvT1_ ; -- Begin function _ZN7rocprim17ROCPRIM_400000_NS6detail17trampoline_kernelINS0_14default_configENS1_35adjacent_difference_config_selectorILb1ElEEZNS1_24adjacent_difference_implIS3_Lb1ELb0EPlS7_ZN2at6native12_GLOBAL__N_124unique_dim_cuda_templateImEESt5tupleIJNS8_6TensorESD_SD_EERKSD_lbbbEUlllE1_EE10hipError_tPvRmT2_T3_mT4_P12ihipStream_tbEUlT_E_NS1_11comp_targetILNS1_3genE8ELNS1_11target_archE1030ELNS1_3gpuE2ELNS1_3repE0EEENS1_30default_config_static_selectorELNS0_4arch9wavefront6targetE1EEEvT1_
	.p2align	8
	.type	_ZN7rocprim17ROCPRIM_400000_NS6detail17trampoline_kernelINS0_14default_configENS1_35adjacent_difference_config_selectorILb1ElEEZNS1_24adjacent_difference_implIS3_Lb1ELb0EPlS7_ZN2at6native12_GLOBAL__N_124unique_dim_cuda_templateImEESt5tupleIJNS8_6TensorESD_SD_EERKSD_lbbbEUlllE1_EE10hipError_tPvRmT2_T3_mT4_P12ihipStream_tbEUlT_E_NS1_11comp_targetILNS1_3genE8ELNS1_11target_archE1030ELNS1_3gpuE2ELNS1_3repE0EEENS1_30default_config_static_selectorELNS0_4arch9wavefront6targetE1EEEvT1_,@function
_ZN7rocprim17ROCPRIM_400000_NS6detail17trampoline_kernelINS0_14default_configENS1_35adjacent_difference_config_selectorILb1ElEEZNS1_24adjacent_difference_implIS3_Lb1ELb0EPlS7_ZN2at6native12_GLOBAL__N_124unique_dim_cuda_templateImEESt5tupleIJNS8_6TensorESD_SD_EERKSD_lbbbEUlllE1_EE10hipError_tPvRmT2_T3_mT4_P12ihipStream_tbEUlT_E_NS1_11comp_targetILNS1_3genE8ELNS1_11target_archE1030ELNS1_3gpuE2ELNS1_3repE0EEENS1_30default_config_static_selectorELNS0_4arch9wavefront6targetE1EEEvT1_: ; @_ZN7rocprim17ROCPRIM_400000_NS6detail17trampoline_kernelINS0_14default_configENS1_35adjacent_difference_config_selectorILb1ElEEZNS1_24adjacent_difference_implIS3_Lb1ELb0EPlS7_ZN2at6native12_GLOBAL__N_124unique_dim_cuda_templateImEESt5tupleIJNS8_6TensorESD_SD_EERKSD_lbbbEUlllE1_EE10hipError_tPvRmT2_T3_mT4_P12ihipStream_tbEUlT_E_NS1_11comp_targetILNS1_3genE8ELNS1_11target_archE1030ELNS1_3gpuE2ELNS1_3repE0EEENS1_30default_config_static_selectorELNS0_4arch9wavefront6targetE1EEEvT1_
; %bb.0:
	.section	.rodata,"a",@progbits
	.p2align	6, 0x0
	.amdhsa_kernel _ZN7rocprim17ROCPRIM_400000_NS6detail17trampoline_kernelINS0_14default_configENS1_35adjacent_difference_config_selectorILb1ElEEZNS1_24adjacent_difference_implIS3_Lb1ELb0EPlS7_ZN2at6native12_GLOBAL__N_124unique_dim_cuda_templateImEESt5tupleIJNS8_6TensorESD_SD_EERKSD_lbbbEUlllE1_EE10hipError_tPvRmT2_T3_mT4_P12ihipStream_tbEUlT_E_NS1_11comp_targetILNS1_3genE8ELNS1_11target_archE1030ELNS1_3gpuE2ELNS1_3repE0EEENS1_30default_config_static_selectorELNS0_4arch9wavefront6targetE1EEEvT1_
		.amdhsa_group_segment_fixed_size 0
		.amdhsa_private_segment_fixed_size 0
		.amdhsa_kernarg_size 64
		.amdhsa_user_sgpr_count 6
		.amdhsa_user_sgpr_private_segment_buffer 1
		.amdhsa_user_sgpr_dispatch_ptr 0
		.amdhsa_user_sgpr_queue_ptr 0
		.amdhsa_user_sgpr_kernarg_segment_ptr 1
		.amdhsa_user_sgpr_dispatch_id 0
		.amdhsa_user_sgpr_flat_scratch_init 0
		.amdhsa_user_sgpr_kernarg_preload_length 0
		.amdhsa_user_sgpr_kernarg_preload_offset 0
		.amdhsa_user_sgpr_private_segment_size 0
		.amdhsa_uses_dynamic_stack 0
		.amdhsa_system_sgpr_private_segment_wavefront_offset 0
		.amdhsa_system_sgpr_workgroup_id_x 1
		.amdhsa_system_sgpr_workgroup_id_y 0
		.amdhsa_system_sgpr_workgroup_id_z 0
		.amdhsa_system_sgpr_workgroup_info 0
		.amdhsa_system_vgpr_workitem_id 0
		.amdhsa_next_free_vgpr 1
		.amdhsa_next_free_sgpr 0
		.amdhsa_accum_offset 4
		.amdhsa_reserve_vcc 0
		.amdhsa_reserve_flat_scratch 0
		.amdhsa_float_round_mode_32 0
		.amdhsa_float_round_mode_16_64 0
		.amdhsa_float_denorm_mode_32 3
		.amdhsa_float_denorm_mode_16_64 3
		.amdhsa_dx10_clamp 1
		.amdhsa_ieee_mode 1
		.amdhsa_fp16_overflow 0
		.amdhsa_tg_split 0
		.amdhsa_exception_fp_ieee_invalid_op 0
		.amdhsa_exception_fp_denorm_src 0
		.amdhsa_exception_fp_ieee_div_zero 0
		.amdhsa_exception_fp_ieee_overflow 0
		.amdhsa_exception_fp_ieee_underflow 0
		.amdhsa_exception_fp_ieee_inexact 0
		.amdhsa_exception_int_div_zero 0
	.end_amdhsa_kernel
	.section	.text._ZN7rocprim17ROCPRIM_400000_NS6detail17trampoline_kernelINS0_14default_configENS1_35adjacent_difference_config_selectorILb1ElEEZNS1_24adjacent_difference_implIS3_Lb1ELb0EPlS7_ZN2at6native12_GLOBAL__N_124unique_dim_cuda_templateImEESt5tupleIJNS8_6TensorESD_SD_EERKSD_lbbbEUlllE1_EE10hipError_tPvRmT2_T3_mT4_P12ihipStream_tbEUlT_E_NS1_11comp_targetILNS1_3genE8ELNS1_11target_archE1030ELNS1_3gpuE2ELNS1_3repE0EEENS1_30default_config_static_selectorELNS0_4arch9wavefront6targetE1EEEvT1_,"axG",@progbits,_ZN7rocprim17ROCPRIM_400000_NS6detail17trampoline_kernelINS0_14default_configENS1_35adjacent_difference_config_selectorILb1ElEEZNS1_24adjacent_difference_implIS3_Lb1ELb0EPlS7_ZN2at6native12_GLOBAL__N_124unique_dim_cuda_templateImEESt5tupleIJNS8_6TensorESD_SD_EERKSD_lbbbEUlllE1_EE10hipError_tPvRmT2_T3_mT4_P12ihipStream_tbEUlT_E_NS1_11comp_targetILNS1_3genE8ELNS1_11target_archE1030ELNS1_3gpuE2ELNS1_3repE0EEENS1_30default_config_static_selectorELNS0_4arch9wavefront6targetE1EEEvT1_,comdat
.Lfunc_end1660:
	.size	_ZN7rocprim17ROCPRIM_400000_NS6detail17trampoline_kernelINS0_14default_configENS1_35adjacent_difference_config_selectorILb1ElEEZNS1_24adjacent_difference_implIS3_Lb1ELb0EPlS7_ZN2at6native12_GLOBAL__N_124unique_dim_cuda_templateImEESt5tupleIJNS8_6TensorESD_SD_EERKSD_lbbbEUlllE1_EE10hipError_tPvRmT2_T3_mT4_P12ihipStream_tbEUlT_E_NS1_11comp_targetILNS1_3genE8ELNS1_11target_archE1030ELNS1_3gpuE2ELNS1_3repE0EEENS1_30default_config_static_selectorELNS0_4arch9wavefront6targetE1EEEvT1_, .Lfunc_end1660-_ZN7rocprim17ROCPRIM_400000_NS6detail17trampoline_kernelINS0_14default_configENS1_35adjacent_difference_config_selectorILb1ElEEZNS1_24adjacent_difference_implIS3_Lb1ELb0EPlS7_ZN2at6native12_GLOBAL__N_124unique_dim_cuda_templateImEESt5tupleIJNS8_6TensorESD_SD_EERKSD_lbbbEUlllE1_EE10hipError_tPvRmT2_T3_mT4_P12ihipStream_tbEUlT_E_NS1_11comp_targetILNS1_3genE8ELNS1_11target_archE1030ELNS1_3gpuE2ELNS1_3repE0EEENS1_30default_config_static_selectorELNS0_4arch9wavefront6targetE1EEEvT1_
                                        ; -- End function
	.section	.AMDGPU.csdata,"",@progbits
; Kernel info:
; codeLenInByte = 0
; NumSgprs: 4
; NumVgprs: 0
; NumAgprs: 0
; TotalNumVgprs: 0
; ScratchSize: 0
; MemoryBound: 0
; FloatMode: 240
; IeeeMode: 1
; LDSByteSize: 0 bytes/workgroup (compile time only)
; SGPRBlocks: 0
; VGPRBlocks: 0
; NumSGPRsForWavesPerEU: 4
; NumVGPRsForWavesPerEU: 1
; AccumOffset: 4
; Occupancy: 8
; WaveLimiterHint : 0
; COMPUTE_PGM_RSRC2:SCRATCH_EN: 0
; COMPUTE_PGM_RSRC2:USER_SGPR: 6
; COMPUTE_PGM_RSRC2:TRAP_HANDLER: 0
; COMPUTE_PGM_RSRC2:TGID_X_EN: 1
; COMPUTE_PGM_RSRC2:TGID_Y_EN: 0
; COMPUTE_PGM_RSRC2:TGID_Z_EN: 0
; COMPUTE_PGM_RSRC2:TIDIG_COMP_CNT: 0
; COMPUTE_PGM_RSRC3_GFX90A:ACCUM_OFFSET: 0
; COMPUTE_PGM_RSRC3_GFX90A:TG_SPLIT: 0
	.section	.text._ZN7rocprim17ROCPRIM_400000_NS6detail17trampoline_kernelINS0_14default_configENS1_25partition_config_selectorILNS1_17partition_subalgoE8ElNS0_10empty_typeEbEEZZNS1_14partition_implILS5_8ELb0ES3_jPlPS6_PKS6_NS0_5tupleIJS9_S6_EEENSD_IJSA_SA_EEENS0_18inequality_wrapperIZN2at6native12_GLOBAL__N_124unique_dim_cuda_templateImEESt5tupleIJNSH_6TensorESM_SM_EERKSM_lbbbEUlllE0_EEPmJS6_EEE10hipError_tPvRmT3_T4_T5_T6_T7_T9_mT8_P12ihipStream_tbDpT10_ENKUlT_T0_E_clISt17integral_constantIbLb0EES1C_EEDaS17_S18_EUlS17_E_NS1_11comp_targetILNS1_3genE0ELNS1_11target_archE4294967295ELNS1_3gpuE0ELNS1_3repE0EEENS1_30default_config_static_selectorELNS0_4arch9wavefront6targetE1EEEvT1_,"axG",@progbits,_ZN7rocprim17ROCPRIM_400000_NS6detail17trampoline_kernelINS0_14default_configENS1_25partition_config_selectorILNS1_17partition_subalgoE8ElNS0_10empty_typeEbEEZZNS1_14partition_implILS5_8ELb0ES3_jPlPS6_PKS6_NS0_5tupleIJS9_S6_EEENSD_IJSA_SA_EEENS0_18inequality_wrapperIZN2at6native12_GLOBAL__N_124unique_dim_cuda_templateImEESt5tupleIJNSH_6TensorESM_SM_EERKSM_lbbbEUlllE0_EEPmJS6_EEE10hipError_tPvRmT3_T4_T5_T6_T7_T9_mT8_P12ihipStream_tbDpT10_ENKUlT_T0_E_clISt17integral_constantIbLb0EES1C_EEDaS17_S18_EUlS17_E_NS1_11comp_targetILNS1_3genE0ELNS1_11target_archE4294967295ELNS1_3gpuE0ELNS1_3repE0EEENS1_30default_config_static_selectorELNS0_4arch9wavefront6targetE1EEEvT1_,comdat
	.globl	_ZN7rocprim17ROCPRIM_400000_NS6detail17trampoline_kernelINS0_14default_configENS1_25partition_config_selectorILNS1_17partition_subalgoE8ElNS0_10empty_typeEbEEZZNS1_14partition_implILS5_8ELb0ES3_jPlPS6_PKS6_NS0_5tupleIJS9_S6_EEENSD_IJSA_SA_EEENS0_18inequality_wrapperIZN2at6native12_GLOBAL__N_124unique_dim_cuda_templateImEESt5tupleIJNSH_6TensorESM_SM_EERKSM_lbbbEUlllE0_EEPmJS6_EEE10hipError_tPvRmT3_T4_T5_T6_T7_T9_mT8_P12ihipStream_tbDpT10_ENKUlT_T0_E_clISt17integral_constantIbLb0EES1C_EEDaS17_S18_EUlS17_E_NS1_11comp_targetILNS1_3genE0ELNS1_11target_archE4294967295ELNS1_3gpuE0ELNS1_3repE0EEENS1_30default_config_static_selectorELNS0_4arch9wavefront6targetE1EEEvT1_ ; -- Begin function _ZN7rocprim17ROCPRIM_400000_NS6detail17trampoline_kernelINS0_14default_configENS1_25partition_config_selectorILNS1_17partition_subalgoE8ElNS0_10empty_typeEbEEZZNS1_14partition_implILS5_8ELb0ES3_jPlPS6_PKS6_NS0_5tupleIJS9_S6_EEENSD_IJSA_SA_EEENS0_18inequality_wrapperIZN2at6native12_GLOBAL__N_124unique_dim_cuda_templateImEESt5tupleIJNSH_6TensorESM_SM_EERKSM_lbbbEUlllE0_EEPmJS6_EEE10hipError_tPvRmT3_T4_T5_T6_T7_T9_mT8_P12ihipStream_tbDpT10_ENKUlT_T0_E_clISt17integral_constantIbLb0EES1C_EEDaS17_S18_EUlS17_E_NS1_11comp_targetILNS1_3genE0ELNS1_11target_archE4294967295ELNS1_3gpuE0ELNS1_3repE0EEENS1_30default_config_static_selectorELNS0_4arch9wavefront6targetE1EEEvT1_
	.p2align	8
	.type	_ZN7rocprim17ROCPRIM_400000_NS6detail17trampoline_kernelINS0_14default_configENS1_25partition_config_selectorILNS1_17partition_subalgoE8ElNS0_10empty_typeEbEEZZNS1_14partition_implILS5_8ELb0ES3_jPlPS6_PKS6_NS0_5tupleIJS9_S6_EEENSD_IJSA_SA_EEENS0_18inequality_wrapperIZN2at6native12_GLOBAL__N_124unique_dim_cuda_templateImEESt5tupleIJNSH_6TensorESM_SM_EERKSM_lbbbEUlllE0_EEPmJS6_EEE10hipError_tPvRmT3_T4_T5_T6_T7_T9_mT8_P12ihipStream_tbDpT10_ENKUlT_T0_E_clISt17integral_constantIbLb0EES1C_EEDaS17_S18_EUlS17_E_NS1_11comp_targetILNS1_3genE0ELNS1_11target_archE4294967295ELNS1_3gpuE0ELNS1_3repE0EEENS1_30default_config_static_selectorELNS0_4arch9wavefront6targetE1EEEvT1_,@function
_ZN7rocprim17ROCPRIM_400000_NS6detail17trampoline_kernelINS0_14default_configENS1_25partition_config_selectorILNS1_17partition_subalgoE8ElNS0_10empty_typeEbEEZZNS1_14partition_implILS5_8ELb0ES3_jPlPS6_PKS6_NS0_5tupleIJS9_S6_EEENSD_IJSA_SA_EEENS0_18inequality_wrapperIZN2at6native12_GLOBAL__N_124unique_dim_cuda_templateImEESt5tupleIJNSH_6TensorESM_SM_EERKSM_lbbbEUlllE0_EEPmJS6_EEE10hipError_tPvRmT3_T4_T5_T6_T7_T9_mT8_P12ihipStream_tbDpT10_ENKUlT_T0_E_clISt17integral_constantIbLb0EES1C_EEDaS17_S18_EUlS17_E_NS1_11comp_targetILNS1_3genE0ELNS1_11target_archE4294967295ELNS1_3gpuE0ELNS1_3repE0EEENS1_30default_config_static_selectorELNS0_4arch9wavefront6targetE1EEEvT1_: ; @_ZN7rocprim17ROCPRIM_400000_NS6detail17trampoline_kernelINS0_14default_configENS1_25partition_config_selectorILNS1_17partition_subalgoE8ElNS0_10empty_typeEbEEZZNS1_14partition_implILS5_8ELb0ES3_jPlPS6_PKS6_NS0_5tupleIJS9_S6_EEENSD_IJSA_SA_EEENS0_18inequality_wrapperIZN2at6native12_GLOBAL__N_124unique_dim_cuda_templateImEESt5tupleIJNSH_6TensorESM_SM_EERKSM_lbbbEUlllE0_EEPmJS6_EEE10hipError_tPvRmT3_T4_T5_T6_T7_T9_mT8_P12ihipStream_tbDpT10_ENKUlT_T0_E_clISt17integral_constantIbLb0EES1C_EEDaS17_S18_EUlS17_E_NS1_11comp_targetILNS1_3genE0ELNS1_11target_archE4294967295ELNS1_3gpuE0ELNS1_3repE0EEENS1_30default_config_static_selectorELNS0_4arch9wavefront6targetE1EEEvT1_
; %bb.0:
	.section	.rodata,"a",@progbits
	.p2align	6, 0x0
	.amdhsa_kernel _ZN7rocprim17ROCPRIM_400000_NS6detail17trampoline_kernelINS0_14default_configENS1_25partition_config_selectorILNS1_17partition_subalgoE8ElNS0_10empty_typeEbEEZZNS1_14partition_implILS5_8ELb0ES3_jPlPS6_PKS6_NS0_5tupleIJS9_S6_EEENSD_IJSA_SA_EEENS0_18inequality_wrapperIZN2at6native12_GLOBAL__N_124unique_dim_cuda_templateImEESt5tupleIJNSH_6TensorESM_SM_EERKSM_lbbbEUlllE0_EEPmJS6_EEE10hipError_tPvRmT3_T4_T5_T6_T7_T9_mT8_P12ihipStream_tbDpT10_ENKUlT_T0_E_clISt17integral_constantIbLb0EES1C_EEDaS17_S18_EUlS17_E_NS1_11comp_targetILNS1_3genE0ELNS1_11target_archE4294967295ELNS1_3gpuE0ELNS1_3repE0EEENS1_30default_config_static_selectorELNS0_4arch9wavefront6targetE1EEEvT1_
		.amdhsa_group_segment_fixed_size 0
		.amdhsa_private_segment_fixed_size 0
		.amdhsa_kernarg_size 120
		.amdhsa_user_sgpr_count 6
		.amdhsa_user_sgpr_private_segment_buffer 1
		.amdhsa_user_sgpr_dispatch_ptr 0
		.amdhsa_user_sgpr_queue_ptr 0
		.amdhsa_user_sgpr_kernarg_segment_ptr 1
		.amdhsa_user_sgpr_dispatch_id 0
		.amdhsa_user_sgpr_flat_scratch_init 0
		.amdhsa_user_sgpr_kernarg_preload_length 0
		.amdhsa_user_sgpr_kernarg_preload_offset 0
		.amdhsa_user_sgpr_private_segment_size 0
		.amdhsa_uses_dynamic_stack 0
		.amdhsa_system_sgpr_private_segment_wavefront_offset 0
		.amdhsa_system_sgpr_workgroup_id_x 1
		.amdhsa_system_sgpr_workgroup_id_y 0
		.amdhsa_system_sgpr_workgroup_id_z 0
		.amdhsa_system_sgpr_workgroup_info 0
		.amdhsa_system_vgpr_workitem_id 0
		.amdhsa_next_free_vgpr 1
		.amdhsa_next_free_sgpr 0
		.amdhsa_accum_offset 4
		.amdhsa_reserve_vcc 0
		.amdhsa_reserve_flat_scratch 0
		.amdhsa_float_round_mode_32 0
		.amdhsa_float_round_mode_16_64 0
		.amdhsa_float_denorm_mode_32 3
		.amdhsa_float_denorm_mode_16_64 3
		.amdhsa_dx10_clamp 1
		.amdhsa_ieee_mode 1
		.amdhsa_fp16_overflow 0
		.amdhsa_tg_split 0
		.amdhsa_exception_fp_ieee_invalid_op 0
		.amdhsa_exception_fp_denorm_src 0
		.amdhsa_exception_fp_ieee_div_zero 0
		.amdhsa_exception_fp_ieee_overflow 0
		.amdhsa_exception_fp_ieee_underflow 0
		.amdhsa_exception_fp_ieee_inexact 0
		.amdhsa_exception_int_div_zero 0
	.end_amdhsa_kernel
	.section	.text._ZN7rocprim17ROCPRIM_400000_NS6detail17trampoline_kernelINS0_14default_configENS1_25partition_config_selectorILNS1_17partition_subalgoE8ElNS0_10empty_typeEbEEZZNS1_14partition_implILS5_8ELb0ES3_jPlPS6_PKS6_NS0_5tupleIJS9_S6_EEENSD_IJSA_SA_EEENS0_18inequality_wrapperIZN2at6native12_GLOBAL__N_124unique_dim_cuda_templateImEESt5tupleIJNSH_6TensorESM_SM_EERKSM_lbbbEUlllE0_EEPmJS6_EEE10hipError_tPvRmT3_T4_T5_T6_T7_T9_mT8_P12ihipStream_tbDpT10_ENKUlT_T0_E_clISt17integral_constantIbLb0EES1C_EEDaS17_S18_EUlS17_E_NS1_11comp_targetILNS1_3genE0ELNS1_11target_archE4294967295ELNS1_3gpuE0ELNS1_3repE0EEENS1_30default_config_static_selectorELNS0_4arch9wavefront6targetE1EEEvT1_,"axG",@progbits,_ZN7rocprim17ROCPRIM_400000_NS6detail17trampoline_kernelINS0_14default_configENS1_25partition_config_selectorILNS1_17partition_subalgoE8ElNS0_10empty_typeEbEEZZNS1_14partition_implILS5_8ELb0ES3_jPlPS6_PKS6_NS0_5tupleIJS9_S6_EEENSD_IJSA_SA_EEENS0_18inequality_wrapperIZN2at6native12_GLOBAL__N_124unique_dim_cuda_templateImEESt5tupleIJNSH_6TensorESM_SM_EERKSM_lbbbEUlllE0_EEPmJS6_EEE10hipError_tPvRmT3_T4_T5_T6_T7_T9_mT8_P12ihipStream_tbDpT10_ENKUlT_T0_E_clISt17integral_constantIbLb0EES1C_EEDaS17_S18_EUlS17_E_NS1_11comp_targetILNS1_3genE0ELNS1_11target_archE4294967295ELNS1_3gpuE0ELNS1_3repE0EEENS1_30default_config_static_selectorELNS0_4arch9wavefront6targetE1EEEvT1_,comdat
.Lfunc_end1661:
	.size	_ZN7rocprim17ROCPRIM_400000_NS6detail17trampoline_kernelINS0_14default_configENS1_25partition_config_selectorILNS1_17partition_subalgoE8ElNS0_10empty_typeEbEEZZNS1_14partition_implILS5_8ELb0ES3_jPlPS6_PKS6_NS0_5tupleIJS9_S6_EEENSD_IJSA_SA_EEENS0_18inequality_wrapperIZN2at6native12_GLOBAL__N_124unique_dim_cuda_templateImEESt5tupleIJNSH_6TensorESM_SM_EERKSM_lbbbEUlllE0_EEPmJS6_EEE10hipError_tPvRmT3_T4_T5_T6_T7_T9_mT8_P12ihipStream_tbDpT10_ENKUlT_T0_E_clISt17integral_constantIbLb0EES1C_EEDaS17_S18_EUlS17_E_NS1_11comp_targetILNS1_3genE0ELNS1_11target_archE4294967295ELNS1_3gpuE0ELNS1_3repE0EEENS1_30default_config_static_selectorELNS0_4arch9wavefront6targetE1EEEvT1_, .Lfunc_end1661-_ZN7rocprim17ROCPRIM_400000_NS6detail17trampoline_kernelINS0_14default_configENS1_25partition_config_selectorILNS1_17partition_subalgoE8ElNS0_10empty_typeEbEEZZNS1_14partition_implILS5_8ELb0ES3_jPlPS6_PKS6_NS0_5tupleIJS9_S6_EEENSD_IJSA_SA_EEENS0_18inequality_wrapperIZN2at6native12_GLOBAL__N_124unique_dim_cuda_templateImEESt5tupleIJNSH_6TensorESM_SM_EERKSM_lbbbEUlllE0_EEPmJS6_EEE10hipError_tPvRmT3_T4_T5_T6_T7_T9_mT8_P12ihipStream_tbDpT10_ENKUlT_T0_E_clISt17integral_constantIbLb0EES1C_EEDaS17_S18_EUlS17_E_NS1_11comp_targetILNS1_3genE0ELNS1_11target_archE4294967295ELNS1_3gpuE0ELNS1_3repE0EEENS1_30default_config_static_selectorELNS0_4arch9wavefront6targetE1EEEvT1_
                                        ; -- End function
	.section	.AMDGPU.csdata,"",@progbits
; Kernel info:
; codeLenInByte = 0
; NumSgprs: 4
; NumVgprs: 0
; NumAgprs: 0
; TotalNumVgprs: 0
; ScratchSize: 0
; MemoryBound: 0
; FloatMode: 240
; IeeeMode: 1
; LDSByteSize: 0 bytes/workgroup (compile time only)
; SGPRBlocks: 0
; VGPRBlocks: 0
; NumSGPRsForWavesPerEU: 4
; NumVGPRsForWavesPerEU: 1
; AccumOffset: 4
; Occupancy: 8
; WaveLimiterHint : 0
; COMPUTE_PGM_RSRC2:SCRATCH_EN: 0
; COMPUTE_PGM_RSRC2:USER_SGPR: 6
; COMPUTE_PGM_RSRC2:TRAP_HANDLER: 0
; COMPUTE_PGM_RSRC2:TGID_X_EN: 1
; COMPUTE_PGM_RSRC2:TGID_Y_EN: 0
; COMPUTE_PGM_RSRC2:TGID_Z_EN: 0
; COMPUTE_PGM_RSRC2:TIDIG_COMP_CNT: 0
; COMPUTE_PGM_RSRC3_GFX90A:ACCUM_OFFSET: 0
; COMPUTE_PGM_RSRC3_GFX90A:TG_SPLIT: 0
	.section	.text._ZN7rocprim17ROCPRIM_400000_NS6detail17trampoline_kernelINS0_14default_configENS1_25partition_config_selectorILNS1_17partition_subalgoE8ElNS0_10empty_typeEbEEZZNS1_14partition_implILS5_8ELb0ES3_jPlPS6_PKS6_NS0_5tupleIJS9_S6_EEENSD_IJSA_SA_EEENS0_18inequality_wrapperIZN2at6native12_GLOBAL__N_124unique_dim_cuda_templateImEESt5tupleIJNSH_6TensorESM_SM_EERKSM_lbbbEUlllE0_EEPmJS6_EEE10hipError_tPvRmT3_T4_T5_T6_T7_T9_mT8_P12ihipStream_tbDpT10_ENKUlT_T0_E_clISt17integral_constantIbLb0EES1C_EEDaS17_S18_EUlS17_E_NS1_11comp_targetILNS1_3genE5ELNS1_11target_archE942ELNS1_3gpuE9ELNS1_3repE0EEENS1_30default_config_static_selectorELNS0_4arch9wavefront6targetE1EEEvT1_,"axG",@progbits,_ZN7rocprim17ROCPRIM_400000_NS6detail17trampoline_kernelINS0_14default_configENS1_25partition_config_selectorILNS1_17partition_subalgoE8ElNS0_10empty_typeEbEEZZNS1_14partition_implILS5_8ELb0ES3_jPlPS6_PKS6_NS0_5tupleIJS9_S6_EEENSD_IJSA_SA_EEENS0_18inequality_wrapperIZN2at6native12_GLOBAL__N_124unique_dim_cuda_templateImEESt5tupleIJNSH_6TensorESM_SM_EERKSM_lbbbEUlllE0_EEPmJS6_EEE10hipError_tPvRmT3_T4_T5_T6_T7_T9_mT8_P12ihipStream_tbDpT10_ENKUlT_T0_E_clISt17integral_constantIbLb0EES1C_EEDaS17_S18_EUlS17_E_NS1_11comp_targetILNS1_3genE5ELNS1_11target_archE942ELNS1_3gpuE9ELNS1_3repE0EEENS1_30default_config_static_selectorELNS0_4arch9wavefront6targetE1EEEvT1_,comdat
	.globl	_ZN7rocprim17ROCPRIM_400000_NS6detail17trampoline_kernelINS0_14default_configENS1_25partition_config_selectorILNS1_17partition_subalgoE8ElNS0_10empty_typeEbEEZZNS1_14partition_implILS5_8ELb0ES3_jPlPS6_PKS6_NS0_5tupleIJS9_S6_EEENSD_IJSA_SA_EEENS0_18inequality_wrapperIZN2at6native12_GLOBAL__N_124unique_dim_cuda_templateImEESt5tupleIJNSH_6TensorESM_SM_EERKSM_lbbbEUlllE0_EEPmJS6_EEE10hipError_tPvRmT3_T4_T5_T6_T7_T9_mT8_P12ihipStream_tbDpT10_ENKUlT_T0_E_clISt17integral_constantIbLb0EES1C_EEDaS17_S18_EUlS17_E_NS1_11comp_targetILNS1_3genE5ELNS1_11target_archE942ELNS1_3gpuE9ELNS1_3repE0EEENS1_30default_config_static_selectorELNS0_4arch9wavefront6targetE1EEEvT1_ ; -- Begin function _ZN7rocprim17ROCPRIM_400000_NS6detail17trampoline_kernelINS0_14default_configENS1_25partition_config_selectorILNS1_17partition_subalgoE8ElNS0_10empty_typeEbEEZZNS1_14partition_implILS5_8ELb0ES3_jPlPS6_PKS6_NS0_5tupleIJS9_S6_EEENSD_IJSA_SA_EEENS0_18inequality_wrapperIZN2at6native12_GLOBAL__N_124unique_dim_cuda_templateImEESt5tupleIJNSH_6TensorESM_SM_EERKSM_lbbbEUlllE0_EEPmJS6_EEE10hipError_tPvRmT3_T4_T5_T6_T7_T9_mT8_P12ihipStream_tbDpT10_ENKUlT_T0_E_clISt17integral_constantIbLb0EES1C_EEDaS17_S18_EUlS17_E_NS1_11comp_targetILNS1_3genE5ELNS1_11target_archE942ELNS1_3gpuE9ELNS1_3repE0EEENS1_30default_config_static_selectorELNS0_4arch9wavefront6targetE1EEEvT1_
	.p2align	8
	.type	_ZN7rocprim17ROCPRIM_400000_NS6detail17trampoline_kernelINS0_14default_configENS1_25partition_config_selectorILNS1_17partition_subalgoE8ElNS0_10empty_typeEbEEZZNS1_14partition_implILS5_8ELb0ES3_jPlPS6_PKS6_NS0_5tupleIJS9_S6_EEENSD_IJSA_SA_EEENS0_18inequality_wrapperIZN2at6native12_GLOBAL__N_124unique_dim_cuda_templateImEESt5tupleIJNSH_6TensorESM_SM_EERKSM_lbbbEUlllE0_EEPmJS6_EEE10hipError_tPvRmT3_T4_T5_T6_T7_T9_mT8_P12ihipStream_tbDpT10_ENKUlT_T0_E_clISt17integral_constantIbLb0EES1C_EEDaS17_S18_EUlS17_E_NS1_11comp_targetILNS1_3genE5ELNS1_11target_archE942ELNS1_3gpuE9ELNS1_3repE0EEENS1_30default_config_static_selectorELNS0_4arch9wavefront6targetE1EEEvT1_,@function
_ZN7rocprim17ROCPRIM_400000_NS6detail17trampoline_kernelINS0_14default_configENS1_25partition_config_selectorILNS1_17partition_subalgoE8ElNS0_10empty_typeEbEEZZNS1_14partition_implILS5_8ELb0ES3_jPlPS6_PKS6_NS0_5tupleIJS9_S6_EEENSD_IJSA_SA_EEENS0_18inequality_wrapperIZN2at6native12_GLOBAL__N_124unique_dim_cuda_templateImEESt5tupleIJNSH_6TensorESM_SM_EERKSM_lbbbEUlllE0_EEPmJS6_EEE10hipError_tPvRmT3_T4_T5_T6_T7_T9_mT8_P12ihipStream_tbDpT10_ENKUlT_T0_E_clISt17integral_constantIbLb0EES1C_EEDaS17_S18_EUlS17_E_NS1_11comp_targetILNS1_3genE5ELNS1_11target_archE942ELNS1_3gpuE9ELNS1_3repE0EEENS1_30default_config_static_selectorELNS0_4arch9wavefront6targetE1EEEvT1_: ; @_ZN7rocprim17ROCPRIM_400000_NS6detail17trampoline_kernelINS0_14default_configENS1_25partition_config_selectorILNS1_17partition_subalgoE8ElNS0_10empty_typeEbEEZZNS1_14partition_implILS5_8ELb0ES3_jPlPS6_PKS6_NS0_5tupleIJS9_S6_EEENSD_IJSA_SA_EEENS0_18inequality_wrapperIZN2at6native12_GLOBAL__N_124unique_dim_cuda_templateImEESt5tupleIJNSH_6TensorESM_SM_EERKSM_lbbbEUlllE0_EEPmJS6_EEE10hipError_tPvRmT3_T4_T5_T6_T7_T9_mT8_P12ihipStream_tbDpT10_ENKUlT_T0_E_clISt17integral_constantIbLb0EES1C_EEDaS17_S18_EUlS17_E_NS1_11comp_targetILNS1_3genE5ELNS1_11target_archE942ELNS1_3gpuE9ELNS1_3repE0EEENS1_30default_config_static_selectorELNS0_4arch9wavefront6targetE1EEEvT1_
; %bb.0:
	.section	.rodata,"a",@progbits
	.p2align	6, 0x0
	.amdhsa_kernel _ZN7rocprim17ROCPRIM_400000_NS6detail17trampoline_kernelINS0_14default_configENS1_25partition_config_selectorILNS1_17partition_subalgoE8ElNS0_10empty_typeEbEEZZNS1_14partition_implILS5_8ELb0ES3_jPlPS6_PKS6_NS0_5tupleIJS9_S6_EEENSD_IJSA_SA_EEENS0_18inequality_wrapperIZN2at6native12_GLOBAL__N_124unique_dim_cuda_templateImEESt5tupleIJNSH_6TensorESM_SM_EERKSM_lbbbEUlllE0_EEPmJS6_EEE10hipError_tPvRmT3_T4_T5_T6_T7_T9_mT8_P12ihipStream_tbDpT10_ENKUlT_T0_E_clISt17integral_constantIbLb0EES1C_EEDaS17_S18_EUlS17_E_NS1_11comp_targetILNS1_3genE5ELNS1_11target_archE942ELNS1_3gpuE9ELNS1_3repE0EEENS1_30default_config_static_selectorELNS0_4arch9wavefront6targetE1EEEvT1_
		.amdhsa_group_segment_fixed_size 0
		.amdhsa_private_segment_fixed_size 0
		.amdhsa_kernarg_size 120
		.amdhsa_user_sgpr_count 6
		.amdhsa_user_sgpr_private_segment_buffer 1
		.amdhsa_user_sgpr_dispatch_ptr 0
		.amdhsa_user_sgpr_queue_ptr 0
		.amdhsa_user_sgpr_kernarg_segment_ptr 1
		.amdhsa_user_sgpr_dispatch_id 0
		.amdhsa_user_sgpr_flat_scratch_init 0
		.amdhsa_user_sgpr_kernarg_preload_length 0
		.amdhsa_user_sgpr_kernarg_preload_offset 0
		.amdhsa_user_sgpr_private_segment_size 0
		.amdhsa_uses_dynamic_stack 0
		.amdhsa_system_sgpr_private_segment_wavefront_offset 0
		.amdhsa_system_sgpr_workgroup_id_x 1
		.amdhsa_system_sgpr_workgroup_id_y 0
		.amdhsa_system_sgpr_workgroup_id_z 0
		.amdhsa_system_sgpr_workgroup_info 0
		.amdhsa_system_vgpr_workitem_id 0
		.amdhsa_next_free_vgpr 1
		.amdhsa_next_free_sgpr 0
		.amdhsa_accum_offset 4
		.amdhsa_reserve_vcc 0
		.amdhsa_reserve_flat_scratch 0
		.amdhsa_float_round_mode_32 0
		.amdhsa_float_round_mode_16_64 0
		.amdhsa_float_denorm_mode_32 3
		.amdhsa_float_denorm_mode_16_64 3
		.amdhsa_dx10_clamp 1
		.amdhsa_ieee_mode 1
		.amdhsa_fp16_overflow 0
		.amdhsa_tg_split 0
		.amdhsa_exception_fp_ieee_invalid_op 0
		.amdhsa_exception_fp_denorm_src 0
		.amdhsa_exception_fp_ieee_div_zero 0
		.amdhsa_exception_fp_ieee_overflow 0
		.amdhsa_exception_fp_ieee_underflow 0
		.amdhsa_exception_fp_ieee_inexact 0
		.amdhsa_exception_int_div_zero 0
	.end_amdhsa_kernel
	.section	.text._ZN7rocprim17ROCPRIM_400000_NS6detail17trampoline_kernelINS0_14default_configENS1_25partition_config_selectorILNS1_17partition_subalgoE8ElNS0_10empty_typeEbEEZZNS1_14partition_implILS5_8ELb0ES3_jPlPS6_PKS6_NS0_5tupleIJS9_S6_EEENSD_IJSA_SA_EEENS0_18inequality_wrapperIZN2at6native12_GLOBAL__N_124unique_dim_cuda_templateImEESt5tupleIJNSH_6TensorESM_SM_EERKSM_lbbbEUlllE0_EEPmJS6_EEE10hipError_tPvRmT3_T4_T5_T6_T7_T9_mT8_P12ihipStream_tbDpT10_ENKUlT_T0_E_clISt17integral_constantIbLb0EES1C_EEDaS17_S18_EUlS17_E_NS1_11comp_targetILNS1_3genE5ELNS1_11target_archE942ELNS1_3gpuE9ELNS1_3repE0EEENS1_30default_config_static_selectorELNS0_4arch9wavefront6targetE1EEEvT1_,"axG",@progbits,_ZN7rocprim17ROCPRIM_400000_NS6detail17trampoline_kernelINS0_14default_configENS1_25partition_config_selectorILNS1_17partition_subalgoE8ElNS0_10empty_typeEbEEZZNS1_14partition_implILS5_8ELb0ES3_jPlPS6_PKS6_NS0_5tupleIJS9_S6_EEENSD_IJSA_SA_EEENS0_18inequality_wrapperIZN2at6native12_GLOBAL__N_124unique_dim_cuda_templateImEESt5tupleIJNSH_6TensorESM_SM_EERKSM_lbbbEUlllE0_EEPmJS6_EEE10hipError_tPvRmT3_T4_T5_T6_T7_T9_mT8_P12ihipStream_tbDpT10_ENKUlT_T0_E_clISt17integral_constantIbLb0EES1C_EEDaS17_S18_EUlS17_E_NS1_11comp_targetILNS1_3genE5ELNS1_11target_archE942ELNS1_3gpuE9ELNS1_3repE0EEENS1_30default_config_static_selectorELNS0_4arch9wavefront6targetE1EEEvT1_,comdat
.Lfunc_end1662:
	.size	_ZN7rocprim17ROCPRIM_400000_NS6detail17trampoline_kernelINS0_14default_configENS1_25partition_config_selectorILNS1_17partition_subalgoE8ElNS0_10empty_typeEbEEZZNS1_14partition_implILS5_8ELb0ES3_jPlPS6_PKS6_NS0_5tupleIJS9_S6_EEENSD_IJSA_SA_EEENS0_18inequality_wrapperIZN2at6native12_GLOBAL__N_124unique_dim_cuda_templateImEESt5tupleIJNSH_6TensorESM_SM_EERKSM_lbbbEUlllE0_EEPmJS6_EEE10hipError_tPvRmT3_T4_T5_T6_T7_T9_mT8_P12ihipStream_tbDpT10_ENKUlT_T0_E_clISt17integral_constantIbLb0EES1C_EEDaS17_S18_EUlS17_E_NS1_11comp_targetILNS1_3genE5ELNS1_11target_archE942ELNS1_3gpuE9ELNS1_3repE0EEENS1_30default_config_static_selectorELNS0_4arch9wavefront6targetE1EEEvT1_, .Lfunc_end1662-_ZN7rocprim17ROCPRIM_400000_NS6detail17trampoline_kernelINS0_14default_configENS1_25partition_config_selectorILNS1_17partition_subalgoE8ElNS0_10empty_typeEbEEZZNS1_14partition_implILS5_8ELb0ES3_jPlPS6_PKS6_NS0_5tupleIJS9_S6_EEENSD_IJSA_SA_EEENS0_18inequality_wrapperIZN2at6native12_GLOBAL__N_124unique_dim_cuda_templateImEESt5tupleIJNSH_6TensorESM_SM_EERKSM_lbbbEUlllE0_EEPmJS6_EEE10hipError_tPvRmT3_T4_T5_T6_T7_T9_mT8_P12ihipStream_tbDpT10_ENKUlT_T0_E_clISt17integral_constantIbLb0EES1C_EEDaS17_S18_EUlS17_E_NS1_11comp_targetILNS1_3genE5ELNS1_11target_archE942ELNS1_3gpuE9ELNS1_3repE0EEENS1_30default_config_static_selectorELNS0_4arch9wavefront6targetE1EEEvT1_
                                        ; -- End function
	.section	.AMDGPU.csdata,"",@progbits
; Kernel info:
; codeLenInByte = 0
; NumSgprs: 4
; NumVgprs: 0
; NumAgprs: 0
; TotalNumVgprs: 0
; ScratchSize: 0
; MemoryBound: 0
; FloatMode: 240
; IeeeMode: 1
; LDSByteSize: 0 bytes/workgroup (compile time only)
; SGPRBlocks: 0
; VGPRBlocks: 0
; NumSGPRsForWavesPerEU: 4
; NumVGPRsForWavesPerEU: 1
; AccumOffset: 4
; Occupancy: 8
; WaveLimiterHint : 0
; COMPUTE_PGM_RSRC2:SCRATCH_EN: 0
; COMPUTE_PGM_RSRC2:USER_SGPR: 6
; COMPUTE_PGM_RSRC2:TRAP_HANDLER: 0
; COMPUTE_PGM_RSRC2:TGID_X_EN: 1
; COMPUTE_PGM_RSRC2:TGID_Y_EN: 0
; COMPUTE_PGM_RSRC2:TGID_Z_EN: 0
; COMPUTE_PGM_RSRC2:TIDIG_COMP_CNT: 0
; COMPUTE_PGM_RSRC3_GFX90A:ACCUM_OFFSET: 0
; COMPUTE_PGM_RSRC3_GFX90A:TG_SPLIT: 0
	.section	.text._ZN7rocprim17ROCPRIM_400000_NS6detail17trampoline_kernelINS0_14default_configENS1_25partition_config_selectorILNS1_17partition_subalgoE8ElNS0_10empty_typeEbEEZZNS1_14partition_implILS5_8ELb0ES3_jPlPS6_PKS6_NS0_5tupleIJS9_S6_EEENSD_IJSA_SA_EEENS0_18inequality_wrapperIZN2at6native12_GLOBAL__N_124unique_dim_cuda_templateImEESt5tupleIJNSH_6TensorESM_SM_EERKSM_lbbbEUlllE0_EEPmJS6_EEE10hipError_tPvRmT3_T4_T5_T6_T7_T9_mT8_P12ihipStream_tbDpT10_ENKUlT_T0_E_clISt17integral_constantIbLb0EES1C_EEDaS17_S18_EUlS17_E_NS1_11comp_targetILNS1_3genE4ELNS1_11target_archE910ELNS1_3gpuE8ELNS1_3repE0EEENS1_30default_config_static_selectorELNS0_4arch9wavefront6targetE1EEEvT1_,"axG",@progbits,_ZN7rocprim17ROCPRIM_400000_NS6detail17trampoline_kernelINS0_14default_configENS1_25partition_config_selectorILNS1_17partition_subalgoE8ElNS0_10empty_typeEbEEZZNS1_14partition_implILS5_8ELb0ES3_jPlPS6_PKS6_NS0_5tupleIJS9_S6_EEENSD_IJSA_SA_EEENS0_18inequality_wrapperIZN2at6native12_GLOBAL__N_124unique_dim_cuda_templateImEESt5tupleIJNSH_6TensorESM_SM_EERKSM_lbbbEUlllE0_EEPmJS6_EEE10hipError_tPvRmT3_T4_T5_T6_T7_T9_mT8_P12ihipStream_tbDpT10_ENKUlT_T0_E_clISt17integral_constantIbLb0EES1C_EEDaS17_S18_EUlS17_E_NS1_11comp_targetILNS1_3genE4ELNS1_11target_archE910ELNS1_3gpuE8ELNS1_3repE0EEENS1_30default_config_static_selectorELNS0_4arch9wavefront6targetE1EEEvT1_,comdat
	.globl	_ZN7rocprim17ROCPRIM_400000_NS6detail17trampoline_kernelINS0_14default_configENS1_25partition_config_selectorILNS1_17partition_subalgoE8ElNS0_10empty_typeEbEEZZNS1_14partition_implILS5_8ELb0ES3_jPlPS6_PKS6_NS0_5tupleIJS9_S6_EEENSD_IJSA_SA_EEENS0_18inequality_wrapperIZN2at6native12_GLOBAL__N_124unique_dim_cuda_templateImEESt5tupleIJNSH_6TensorESM_SM_EERKSM_lbbbEUlllE0_EEPmJS6_EEE10hipError_tPvRmT3_T4_T5_T6_T7_T9_mT8_P12ihipStream_tbDpT10_ENKUlT_T0_E_clISt17integral_constantIbLb0EES1C_EEDaS17_S18_EUlS17_E_NS1_11comp_targetILNS1_3genE4ELNS1_11target_archE910ELNS1_3gpuE8ELNS1_3repE0EEENS1_30default_config_static_selectorELNS0_4arch9wavefront6targetE1EEEvT1_ ; -- Begin function _ZN7rocprim17ROCPRIM_400000_NS6detail17trampoline_kernelINS0_14default_configENS1_25partition_config_selectorILNS1_17partition_subalgoE8ElNS0_10empty_typeEbEEZZNS1_14partition_implILS5_8ELb0ES3_jPlPS6_PKS6_NS0_5tupleIJS9_S6_EEENSD_IJSA_SA_EEENS0_18inequality_wrapperIZN2at6native12_GLOBAL__N_124unique_dim_cuda_templateImEESt5tupleIJNSH_6TensorESM_SM_EERKSM_lbbbEUlllE0_EEPmJS6_EEE10hipError_tPvRmT3_T4_T5_T6_T7_T9_mT8_P12ihipStream_tbDpT10_ENKUlT_T0_E_clISt17integral_constantIbLb0EES1C_EEDaS17_S18_EUlS17_E_NS1_11comp_targetILNS1_3genE4ELNS1_11target_archE910ELNS1_3gpuE8ELNS1_3repE0EEENS1_30default_config_static_selectorELNS0_4arch9wavefront6targetE1EEEvT1_
	.p2align	8
	.type	_ZN7rocprim17ROCPRIM_400000_NS6detail17trampoline_kernelINS0_14default_configENS1_25partition_config_selectorILNS1_17partition_subalgoE8ElNS0_10empty_typeEbEEZZNS1_14partition_implILS5_8ELb0ES3_jPlPS6_PKS6_NS0_5tupleIJS9_S6_EEENSD_IJSA_SA_EEENS0_18inequality_wrapperIZN2at6native12_GLOBAL__N_124unique_dim_cuda_templateImEESt5tupleIJNSH_6TensorESM_SM_EERKSM_lbbbEUlllE0_EEPmJS6_EEE10hipError_tPvRmT3_T4_T5_T6_T7_T9_mT8_P12ihipStream_tbDpT10_ENKUlT_T0_E_clISt17integral_constantIbLb0EES1C_EEDaS17_S18_EUlS17_E_NS1_11comp_targetILNS1_3genE4ELNS1_11target_archE910ELNS1_3gpuE8ELNS1_3repE0EEENS1_30default_config_static_selectorELNS0_4arch9wavefront6targetE1EEEvT1_,@function
_ZN7rocprim17ROCPRIM_400000_NS6detail17trampoline_kernelINS0_14default_configENS1_25partition_config_selectorILNS1_17partition_subalgoE8ElNS0_10empty_typeEbEEZZNS1_14partition_implILS5_8ELb0ES3_jPlPS6_PKS6_NS0_5tupleIJS9_S6_EEENSD_IJSA_SA_EEENS0_18inequality_wrapperIZN2at6native12_GLOBAL__N_124unique_dim_cuda_templateImEESt5tupleIJNSH_6TensorESM_SM_EERKSM_lbbbEUlllE0_EEPmJS6_EEE10hipError_tPvRmT3_T4_T5_T6_T7_T9_mT8_P12ihipStream_tbDpT10_ENKUlT_T0_E_clISt17integral_constantIbLb0EES1C_EEDaS17_S18_EUlS17_E_NS1_11comp_targetILNS1_3genE4ELNS1_11target_archE910ELNS1_3gpuE8ELNS1_3repE0EEENS1_30default_config_static_selectorELNS0_4arch9wavefront6targetE1EEEvT1_: ; @_ZN7rocprim17ROCPRIM_400000_NS6detail17trampoline_kernelINS0_14default_configENS1_25partition_config_selectorILNS1_17partition_subalgoE8ElNS0_10empty_typeEbEEZZNS1_14partition_implILS5_8ELb0ES3_jPlPS6_PKS6_NS0_5tupleIJS9_S6_EEENSD_IJSA_SA_EEENS0_18inequality_wrapperIZN2at6native12_GLOBAL__N_124unique_dim_cuda_templateImEESt5tupleIJNSH_6TensorESM_SM_EERKSM_lbbbEUlllE0_EEPmJS6_EEE10hipError_tPvRmT3_T4_T5_T6_T7_T9_mT8_P12ihipStream_tbDpT10_ENKUlT_T0_E_clISt17integral_constantIbLb0EES1C_EEDaS17_S18_EUlS17_E_NS1_11comp_targetILNS1_3genE4ELNS1_11target_archE910ELNS1_3gpuE8ELNS1_3repE0EEENS1_30default_config_static_selectorELNS0_4arch9wavefront6targetE1EEEvT1_
; %bb.0:
	s_load_dwordx8 s[20:27], s[4:5], 0x40
	s_load_dwordx4 s[0:3], s[4:5], 0x8
	s_load_dwordx4 s[28:31], s[4:5], 0x60
	s_load_dword s7, s[4:5], 0x70
	s_waitcnt lgkmcnt(0)
	v_mov_b32_e32 v2, s24
	s_lshl_b64 s[8:9], s[2:3], 3
	s_add_u32 s12, s0, s8
	s_mul_i32 s8, s7, 0x500
	s_addc_u32 s13, s1, s9
	s_add_i32 s1, s8, s2
	s_add_i32 s10, s7, -1
	s_sub_i32 s7, s24, s1
	s_add_u32 s8, s2, s8
	s_addc_u32 s9, s3, 0
	v_mov_b32_e32 v3, s25
	s_cmp_eq_u32 s6, s10
	s_load_dwordx2 s[22:23], s[22:23], 0x0
	v_cmp_ge_u64_e32 vcc, s[8:9], v[2:3]
	s_cselect_b64 s[24:25], -1, 0
	s_mul_i32 s0, s6, 0x500
	s_mov_b32 s1, 0
	s_and_b64 s[10:11], s[24:25], vcc
	s_xor_b64 s[34:35], s[10:11], -1
	s_lshl_b64 s[0:1], s[0:1], 3
	s_add_u32 s0, s12, s0
	s_mov_b64 s[8:9], -1
	s_addc_u32 s1, s13, s1
	s_and_b64 vcc, exec, s[34:35]
	s_cbranch_vccz .LBB1663_2
; %bb.1:
	v_lshlrev_b32_e32 v1, 3, v0
	v_mov_b32_e32 v2, s1
	v_add_co_u32_e32 v12, vcc, s0, v1
	v_addc_co_u32_e32 v13, vcc, 0, v2, vcc
	v_add_co_u32_e32 v2, vcc, 0x1000, v12
	v_addc_co_u32_e32 v3, vcc, 0, v13, vcc
	global_load_dwordx2 v[4:5], v1, s[0:1]
	global_load_dwordx2 v[6:7], v1, s[0:1] offset:2048
	global_load_dwordx2 v[8:9], v[2:3], off
	global_load_dwordx2 v[10:11], v[2:3], off offset:2048
	v_add_co_u32_e32 v2, vcc, 0x2000, v12
	v_addc_co_u32_e32 v3, vcc, 0, v13, vcc
	global_load_dwordx2 v[2:3], v[2:3], off
	s_mov_b64 s[8:9], 0
	s_waitcnt vmcnt(3)
	ds_write2st64_b64 v1, v[4:5], v[6:7] offset1:4
	s_waitcnt vmcnt(1)
	ds_write2st64_b64 v1, v[8:9], v[10:11] offset0:8 offset1:12
	s_waitcnt vmcnt(0)
	ds_write_b64 v1, v[2:3] offset:8192
	s_waitcnt lgkmcnt(0)
	s_barrier
.LBB1663_2:
	s_andn2_b64 vcc, exec, s[8:9]
	s_addk_i32 s7, 0x500
	s_cbranch_vccnz .LBB1663_14
; %bb.3:
	v_cmp_gt_u32_e32 vcc, s7, v0
                                        ; implicit-def: $vgpr2_vgpr3_vgpr4_vgpr5_vgpr6_vgpr7_vgpr8_vgpr9_vgpr10_vgpr11_vgpr12_vgpr13_vgpr14_vgpr15_vgpr16_vgpr17
	s_and_saveexec_b64 s[8:9], vcc
	s_cbranch_execz .LBB1663_5
; %bb.4:
	v_lshlrev_b32_e32 v1, 3, v0
	global_load_dwordx2 v[2:3], v1, s[0:1]
.LBB1663_5:
	s_or_b64 exec, exec, s[8:9]
	v_or_b32_e32 v1, 0x100, v0
	v_cmp_gt_u32_e32 vcc, s7, v1
	s_and_saveexec_b64 s[8:9], vcc
	s_cbranch_execz .LBB1663_7
; %bb.6:
	v_lshlrev_b32_e32 v1, 3, v0
	global_load_dwordx2 v[4:5], v1, s[0:1] offset:2048
.LBB1663_7:
	s_or_b64 exec, exec, s[8:9]
	v_or_b32_e32 v1, 0x200, v0
	v_cmp_gt_u32_e32 vcc, s7, v1
	s_and_saveexec_b64 s[8:9], vcc
	s_cbranch_execz .LBB1663_9
; %bb.8:
	v_lshlrev_b32_e32 v1, 3, v1
	global_load_dwordx2 v[6:7], v1, s[0:1]
.LBB1663_9:
	s_or_b64 exec, exec, s[8:9]
	v_or_b32_e32 v1, 0x300, v0
	v_cmp_gt_u32_e32 vcc, s7, v1
	s_and_saveexec_b64 s[8:9], vcc
	s_cbranch_execz .LBB1663_11
; %bb.10:
	v_lshlrev_b32_e32 v1, 3, v1
	global_load_dwordx2 v[8:9], v1, s[0:1]
.LBB1663_11:
	;; [unrolled: 9-line block ×3, first 2 shown]
	s_or_b64 exec, exec, s[8:9]
	v_lshlrev_b32_e32 v1, 3, v0
	s_waitcnt vmcnt(0)
	ds_write2st64_b64 v1, v[2:3], v[4:5] offset1:4
	ds_write2st64_b64 v1, v[6:7], v[8:9] offset0:8 offset1:12
	ds_write_b64 v1, v[10:11] offset:8192
	s_waitcnt lgkmcnt(0)
	s_barrier
.LBB1663_14:
	v_mul_u32_u24_e32 v1, 5, v0
	v_lshlrev_b32_e32 v20, 3, v1
	s_waitcnt lgkmcnt(0)
	ds_read2_b64 v[6:9], v20 offset1:1
	ds_read2_b64 v[2:5], v20 offset0:2 offset1:3
	ds_read_b64 v[10:11], v20 offset:32
	s_cmp_lg_u32 s6, 0
	s_cselect_b64 s[16:17], -1, 0
	s_cmp_lg_u64 s[2:3], 0
	s_cselect_b64 s[2:3], -1, 0
	s_or_b64 s[2:3], s[16:17], s[2:3]
	v_mad_u32_u24 v24, v0, 5, 1
	v_mad_u32_u24 v22, v0, 5, 2
	;; [unrolled: 1-line block ×4, first 2 shown]
	s_mov_b64 s[12:13], 0
	s_and_b64 vcc, exec, s[2:3]
	v_cmp_gt_i64_e64 s[2:3], s[26:27], 0
	s_waitcnt lgkmcnt(0)
	s_barrier
	s_cbranch_vccz .LBB1663_23
; %bb.15:
	s_add_u32 s0, s0, -8
	s_addc_u32 s1, s1, -1
	s_load_dwordx2 s[12:13], s[0:1], 0x0
	v_cndmask_b32_e64 v12, 0, 1, s[2:3]
	v_lshlrev_b32_e32 v21, 3, v0
	s_mov_b64 s[14:15], 0
	s_and_b64 vcc, exec, s[34:35]
	v_cmp_ne_u32_e64 s[0:1], 1, v12
	ds_write_b64 v21, v[10:11]
	s_cbranch_vccz .LBB1663_24
; %bb.16:
	v_mul_lo_u32 v14, v5, s26
	v_mul_lo_u32 v15, v4, s27
	v_mad_u64_u32 v[12:13], s[2:3], v4, s26, 0
	v_add3_u32 v13, v13, v15, v14
	s_and_b64 vcc, exec, s[0:1]
	v_lshlrev_b64 v[12:13], 3, v[12:13]
	s_cbranch_vccnz .LBB1663_27
; %bb.17:
	v_mul_lo_u32 v16, v11, s26
	v_mul_lo_u32 v17, v10, s27
	v_mad_u64_u32 v[14:15], s[2:3], v10, s26, 0
	v_add3_u32 v15, v15, v17, v16
	v_mov_b32_e32 v17, s29
	v_add_co_u32_e32 v16, vcc, s28, v12
	v_addc_co_u32_e64 v17, s[2:3], v17, v13, vcc
	v_lshlrev_b64 v[14:15], 3, v[14:15]
	v_mov_b32_e32 v19, s29
	v_add_co_u32_e64 v18, s[2:3], s28, v14
	v_addc_co_u32_e64 v19, s[8:9], v19, v15, s[2:3]
	global_load_dwordx2 v[26:27], v[16:17], off
	global_load_dwordx2 v[28:29], v[18:19], off
	s_mov_b64 s[14:15], -1
	s_waitcnt vmcnt(0)
	v_cmp_eq_u64_e64 s[8:9], v[26:27], v[28:29]
	s_and_saveexec_b64 s[18:19], s[8:9]
	s_cbranch_execz .LBB1663_26
; %bb.18:
	v_mov_b32_e32 v14, s29
	v_addc_co_u32_e64 v15, s[2:3], v15, v14, s[2:3]
	v_add_co_u32_e64 v14, s[2:3], 8, v18
	v_mov_b32_e32 v17, s29
	v_addc_co_u32_e64 v15, s[2:3], 0, v15, s[2:3]
	v_addc_co_u32_e32 v17, vcc, v13, v17, vcc
	v_add_co_u32_e32 v16, vcc, 8, v16
	s_add_u32 s2, s26, -1
	v_addc_co_u32_e32 v17, vcc, 0, v17, vcc
	s_addc_u32 s3, s27, -1
	s_mov_b64 s[8:9], 0
	s_mov_b64 s[36:37], 0
                                        ; implicit-def: $sgpr14_sgpr15
	s_branch .LBB1663_21
.LBB1663_19:                            ;   in Loop: Header=BB1663_21 Depth=1
	global_load_dwordx2 v[18:19], v[16:17], off
	global_load_dwordx2 v[26:27], v[14:15], off
	v_add_co_u32_e32 v14, vcc, 8, v14
	v_addc_co_u32_e32 v15, vcc, 0, v15, vcc
	v_add_co_u32_e32 v16, vcc, 8, v16
	v_addc_co_u32_e32 v17, vcc, 0, v17, vcc
	s_add_u32 s36, s36, 1
	s_addc_u32 s37, s37, 0
	s_andn2_b64 s[14:15], s[14:15], exec
	s_waitcnt vmcnt(0)
	v_cmp_ne_u64_e32 vcc, v[18:19], v[26:27]
	s_and_b64 s[38:39], vcc, exec
	s_or_b64 s[14:15], s[14:15], s[38:39]
.LBB1663_20:                            ;   in Loop: Header=BB1663_21 Depth=1
	s_and_b64 s[38:39], exec, s[14:15]
	s_or_b64 s[8:9], s[38:39], s[8:9]
	v_pk_mov_b32 v[18:19], s[36:37], s[36:37] op_sel:[0,1]
	s_andn2_b64 exec, exec, s[8:9]
	s_cbranch_execz .LBB1663_25
.LBB1663_21:                            ; =>This Inner Loop Header: Depth=1
	s_or_b64 s[14:15], s[14:15], exec
	s_cmp_eq_u64 s[2:3], s[36:37]
	s_cbranch_scc0 .LBB1663_19
; %bb.22:                               ;   in Loop: Header=BB1663_21 Depth=1
                                        ; implicit-def: $vgpr14_vgpr15
                                        ; implicit-def: $vgpr16_vgpr17
	s_mov_b64 s[36:37], s[26:27]
	s_branch .LBB1663_20
.LBB1663_23:
                                        ; implicit-def: $sgpr18_sgpr19
                                        ; implicit-def: $vgpr13
                                        ; implicit-def: $vgpr16
	s_branch .LBB1663_125
.LBB1663_24:
                                        ; implicit-def: $sgpr18_sgpr19
                                        ; implicit-def: $vgpr13
                                        ; implicit-def: $vgpr16
	s_cbranch_execnz .LBB1663_66
	s_branch .LBB1663_124
.LBB1663_25:
	s_or_b64 exec, exec, s[8:9]
	v_cmp_gt_i64_e32 vcc, s[26:27], v[18:19]
	s_orn2_b64 s[14:15], vcc, exec
.LBB1663_26:
	s_or_b64 exec, exec, s[18:19]
.LBB1663_27:
	v_mul_lo_u32 v16, v3, s26
	v_mul_lo_u32 v17, v2, s27
	v_mad_u64_u32 v[14:15], s[2:3], v2, s26, 0
	v_add3_u32 v15, v15, v17, v16
	s_mov_b64 s[18:19], 0
	s_and_b64 vcc, exec, s[0:1]
	v_lshlrev_b64 v[16:17], 3, v[14:15]
	s_mov_b64 s[36:37], 0
	s_cbranch_vccnz .LBB1663_36
; %bb.28:
	v_mov_b32_e32 v15, s29
	v_add_co_u32_e32 v14, vcc, s28, v16
	v_addc_co_u32_e64 v15, s[2:3], v15, v17, vcc
	v_mov_b32_e32 v19, s29
	v_add_co_u32_e64 v18, s[2:3], s28, v12
	v_addc_co_u32_e64 v19, s[8:9], v19, v13, s[2:3]
	global_load_dwordx2 v[26:27], v[14:15], off
	global_load_dwordx2 v[28:29], v[18:19], off
	s_mov_b64 s[36:37], -1
	s_waitcnt vmcnt(0)
	v_cmp_eq_u64_e64 s[8:9], v[26:27], v[28:29]
	s_and_saveexec_b64 s[38:39], s[8:9]
	s_cbranch_execz .LBB1663_35
; %bb.29:
	v_mov_b32_e32 v12, s29
	v_addc_co_u32_e64 v13, s[2:3], v13, v12, s[2:3]
	v_add_co_u32_e64 v12, s[2:3], 8, v18
	v_mov_b32_e32 v15, s29
	v_addc_co_u32_e64 v13, s[2:3], 0, v13, s[2:3]
	v_addc_co_u32_e32 v15, vcc, v17, v15, vcc
	v_add_co_u32_e32 v14, vcc, 8, v14
	s_add_u32 s2, s26, -1
	v_addc_co_u32_e32 v15, vcc, 0, v15, vcc
	s_addc_u32 s3, s27, -1
	s_mov_b64 s[8:9], 0
	s_mov_b64 s[40:41], 0
                                        ; implicit-def: $sgpr36_sgpr37
	s_branch .LBB1663_32
.LBB1663_30:                            ;   in Loop: Header=BB1663_32 Depth=1
	global_load_dwordx2 v[18:19], v[14:15], off
	global_load_dwordx2 v[26:27], v[12:13], off
	v_add_co_u32_e32 v12, vcc, 8, v12
	v_addc_co_u32_e32 v13, vcc, 0, v13, vcc
	v_add_co_u32_e32 v14, vcc, 8, v14
	v_addc_co_u32_e32 v15, vcc, 0, v15, vcc
	s_add_u32 s40, s40, 1
	s_addc_u32 s41, s41, 0
	s_andn2_b64 s[36:37], s[36:37], exec
	s_waitcnt vmcnt(0)
	v_cmp_ne_u64_e32 vcc, v[18:19], v[26:27]
	s_and_b64 s[42:43], vcc, exec
	s_or_b64 s[36:37], s[36:37], s[42:43]
.LBB1663_31:                            ;   in Loop: Header=BB1663_32 Depth=1
	s_and_b64 s[42:43], exec, s[36:37]
	s_or_b64 s[8:9], s[42:43], s[8:9]
	v_pk_mov_b32 v[18:19], s[40:41], s[40:41] op_sel:[0,1]
	s_andn2_b64 exec, exec, s[8:9]
	s_cbranch_execz .LBB1663_34
.LBB1663_32:                            ; =>This Inner Loop Header: Depth=1
	s_or_b64 s[36:37], s[36:37], exec
	s_cmp_eq_u64 s[2:3], s[40:41]
	s_cbranch_scc0 .LBB1663_30
; %bb.33:                               ;   in Loop: Header=BB1663_32 Depth=1
                                        ; implicit-def: $vgpr12_vgpr13
                                        ; implicit-def: $vgpr14_vgpr15
	s_mov_b64 s[40:41], s[26:27]
	s_branch .LBB1663_31
.LBB1663_34:
	s_or_b64 exec, exec, s[8:9]
	v_cmp_gt_i64_e32 vcc, s[26:27], v[18:19]
	s_orn2_b64 s[36:37], vcc, exec
.LBB1663_35:
	s_or_b64 exec, exec, s[38:39]
.LBB1663_36:
	v_mul_lo_u32 v14, v9, s26
	v_mul_lo_u32 v15, v8, s27
	v_mad_u64_u32 v[12:13], s[2:3], v8, s26, 0
	v_add3_u32 v13, v13, v15, v14
	s_and_b64 vcc, exec, s[0:1]
	v_lshlrev_b64 v[14:15], 3, v[12:13]
	s_cbranch_vccnz .LBB1663_45
; %bb.37:
	v_mov_b32_e32 v12, s29
	v_add_co_u32_e32 v18, vcc, s28, v14
	v_addc_co_u32_e64 v19, s[2:3], v12, v15, vcc
	v_mov_b32_e32 v13, s29
	v_add_co_u32_e64 v12, s[2:3], s28, v16
	v_addc_co_u32_e64 v13, s[8:9], v13, v17, s[2:3]
	global_load_dwordx2 v[26:27], v[18:19], off
	global_load_dwordx2 v[28:29], v[12:13], off
	s_mov_b64 s[18:19], -1
	s_waitcnt vmcnt(0)
	v_cmp_eq_u64_e64 s[8:9], v[26:27], v[28:29]
	s_and_saveexec_b64 s[38:39], s[8:9]
	s_cbranch_execz .LBB1663_44
; %bb.38:
	v_mov_b32_e32 v13, s29
	v_addc_co_u32_e64 v13, s[2:3], v17, v13, s[2:3]
	v_add_co_u32_e64 v12, s[2:3], 8, v12
	v_mov_b32_e32 v16, s29
	v_addc_co_u32_e64 v13, s[2:3], 0, v13, s[2:3]
	v_addc_co_u32_e32 v17, vcc, v15, v16, vcc
	v_add_co_u32_e32 v16, vcc, 8, v18
	s_add_u32 s2, s26, -1
	v_addc_co_u32_e32 v17, vcc, 0, v17, vcc
	s_addc_u32 s3, s27, -1
	s_mov_b64 s[8:9], 0
	s_mov_b64 s[40:41], 0
                                        ; implicit-def: $sgpr18_sgpr19
	s_branch .LBB1663_41
.LBB1663_39:                            ;   in Loop: Header=BB1663_41 Depth=1
	global_load_dwordx2 v[18:19], v[16:17], off
	global_load_dwordx2 v[26:27], v[12:13], off
	v_add_co_u32_e32 v12, vcc, 8, v12
	v_addc_co_u32_e32 v13, vcc, 0, v13, vcc
	v_add_co_u32_e32 v16, vcc, 8, v16
	v_addc_co_u32_e32 v17, vcc, 0, v17, vcc
	s_add_u32 s40, s40, 1
	s_addc_u32 s41, s41, 0
	s_andn2_b64 s[18:19], s[18:19], exec
	s_waitcnt vmcnt(0)
	v_cmp_ne_u64_e32 vcc, v[18:19], v[26:27]
	s_and_b64 s[42:43], vcc, exec
	s_or_b64 s[18:19], s[18:19], s[42:43]
.LBB1663_40:                            ;   in Loop: Header=BB1663_41 Depth=1
	s_and_b64 s[42:43], exec, s[18:19]
	s_or_b64 s[8:9], s[42:43], s[8:9]
	v_pk_mov_b32 v[18:19], s[40:41], s[40:41] op_sel:[0,1]
	s_andn2_b64 exec, exec, s[8:9]
	s_cbranch_execz .LBB1663_43
.LBB1663_41:                            ; =>This Inner Loop Header: Depth=1
	s_or_b64 s[18:19], s[18:19], exec
	s_cmp_eq_u64 s[2:3], s[40:41]
	s_cbranch_scc0 .LBB1663_39
; %bb.42:                               ;   in Loop: Header=BB1663_41 Depth=1
                                        ; implicit-def: $vgpr12_vgpr13
                                        ; implicit-def: $vgpr16_vgpr17
	s_mov_b64 s[40:41], s[26:27]
	s_branch .LBB1663_40
.LBB1663_43:
	s_or_b64 exec, exec, s[8:9]
	v_cmp_gt_i64_e32 vcc, s[26:27], v[18:19]
	s_orn2_b64 s[18:19], vcc, exec
.LBB1663_44:
	s_or_b64 exec, exec, s[38:39]
.LBB1663_45:
	v_mul_lo_u32 v16, v7, s26
	v_mul_lo_u32 v17, v6, s27
	v_mad_u64_u32 v[12:13], s[2:3], v6, s26, 0
	v_add3_u32 v13, v13, v17, v16
	s_mov_b64 s[40:41], 0
	s_and_b64 vcc, exec, s[0:1]
	v_lshlrev_b64 v[12:13], 3, v[12:13]
	s_cbranch_vccnz .LBB1663_54
; %bb.46:
	v_mov_b32_e32 v17, s29
	v_add_co_u32_e32 v16, vcc, s28, v12
	v_addc_co_u32_e64 v17, s[2:3], v17, v13, vcc
	v_mov_b32_e32 v19, s29
	v_add_co_u32_e64 v18, s[2:3], s28, v14
	v_addc_co_u32_e64 v19, s[8:9], v19, v15, s[2:3]
	global_load_dwordx2 v[26:27], v[16:17], off
	global_load_dwordx2 v[28:29], v[18:19], off
	s_mov_b64 s[40:41], -1
	s_waitcnt vmcnt(0)
	v_cmp_eq_u64_e64 s[8:9], v[26:27], v[28:29]
	s_and_saveexec_b64 s[38:39], s[8:9]
	s_cbranch_execz .LBB1663_53
; %bb.47:
	v_mov_b32_e32 v14, s29
	v_addc_co_u32_e64 v15, s[2:3], v15, v14, s[2:3]
	v_add_co_u32_e64 v14, s[2:3], 8, v18
	v_mov_b32_e32 v17, s29
	v_addc_co_u32_e64 v15, s[2:3], 0, v15, s[2:3]
	v_addc_co_u32_e32 v17, vcc, v13, v17, vcc
	v_add_co_u32_e32 v16, vcc, 8, v16
	s_add_u32 s2, s26, -1
	v_addc_co_u32_e32 v17, vcc, 0, v17, vcc
	s_addc_u32 s3, s27, -1
	s_mov_b64 s[8:9], 0
	s_mov_b64 s[42:43], 0
                                        ; implicit-def: $sgpr40_sgpr41
	s_branch .LBB1663_50
.LBB1663_48:                            ;   in Loop: Header=BB1663_50 Depth=1
	global_load_dwordx2 v[18:19], v[16:17], off
	global_load_dwordx2 v[26:27], v[14:15], off
	v_add_co_u32_e32 v14, vcc, 8, v14
	v_addc_co_u32_e32 v15, vcc, 0, v15, vcc
	v_add_co_u32_e32 v16, vcc, 8, v16
	v_addc_co_u32_e32 v17, vcc, 0, v17, vcc
	s_add_u32 s42, s42, 1
	s_addc_u32 s43, s43, 0
	s_andn2_b64 s[40:41], s[40:41], exec
	s_waitcnt vmcnt(0)
	v_cmp_ne_u64_e32 vcc, v[18:19], v[26:27]
	s_and_b64 s[44:45], vcc, exec
	s_or_b64 s[40:41], s[40:41], s[44:45]
.LBB1663_49:                            ;   in Loop: Header=BB1663_50 Depth=1
	s_and_b64 s[44:45], exec, s[40:41]
	s_or_b64 s[8:9], s[44:45], s[8:9]
	v_pk_mov_b32 v[18:19], s[42:43], s[42:43] op_sel:[0,1]
	s_andn2_b64 exec, exec, s[8:9]
	s_cbranch_execz .LBB1663_52
.LBB1663_50:                            ; =>This Inner Loop Header: Depth=1
	s_or_b64 s[40:41], s[40:41], exec
	s_cmp_eq_u64 s[2:3], s[42:43]
	s_cbranch_scc0 .LBB1663_48
; %bb.51:                               ;   in Loop: Header=BB1663_50 Depth=1
                                        ; implicit-def: $vgpr14_vgpr15
                                        ; implicit-def: $vgpr16_vgpr17
	s_mov_b64 s[42:43], s[26:27]
	s_branch .LBB1663_49
.LBB1663_52:
	s_or_b64 exec, exec, s[8:9]
	v_cmp_gt_i64_e32 vcc, s[26:27], v[18:19]
	s_orn2_b64 s[40:41], vcc, exec
.LBB1663_53:
	s_or_b64 exec, exec, s[38:39]
.LBB1663_54:
	v_cmp_ne_u32_e32 vcc, 0, v0
	s_waitcnt lgkmcnt(0)
	v_pk_mov_b32 v[14:15], s[12:13], s[12:13] op_sel:[0,1]
	s_barrier
	s_and_saveexec_b64 s[2:3], vcc
	s_cbranch_execz .LBB1663_56
; %bb.55:
	v_add_u32_e32 v14, -8, v21
	ds_read_b64 v[14:15], v14
.LBB1663_56:
	s_or_b64 exec, exec, s[2:3]
	v_cndmask_b32_e64 v17, 0, 1, s[36:37]
	v_cndmask_b32_e64 v16, 0, 1, s[18:19]
	;; [unrolled: 1-line block ×3, first 2 shown]
	v_lshlrev_b16_e32 v17, 8, v17
	v_lshlrev_b16_e32 v26, 8, v18
	v_or_b32_sdwa v27, v16, v17 dst_sel:WORD_1 dst_unused:UNUSED_PAD src0_sel:DWORD src1_sel:DWORD
	s_mov_b64 s[36:37], 0
	s_and_b64 vcc, exec, s[0:1]
	s_mov_b64 s[18:19], 0
	s_cbranch_vccnz .LBB1663_65
; %bb.57:
	s_waitcnt lgkmcnt(0)
	v_mul_lo_u32 v16, v15, s26
	v_mul_lo_u32 v17, v14, s27
	v_mad_u64_u32 v[14:15], s[2:3], v14, s26, 0
	v_add3_u32 v15, v15, v17, v16
	v_lshlrev_b64 v[14:15], 3, v[14:15]
	v_mov_b32_e32 v17, s29
	v_add_co_u32_e32 v16, vcc, s28, v14
	v_addc_co_u32_e64 v17, s[2:3], v17, v15, vcc
	v_mov_b32_e32 v14, s29
	v_add_co_u32_e64 v18, s[2:3], s28, v12
	v_addc_co_u32_e64 v19, s[8:9], v14, v13, s[2:3]
	global_load_dwordx2 v[28:29], v[16:17], off
	global_load_dwordx2 v[30:31], v[18:19], off
	s_mov_b64 s[18:19], -1
	s_waitcnt vmcnt(0)
	v_cmp_eq_u64_e64 s[8:9], v[28:29], v[30:31]
	s_and_saveexec_b64 s[38:39], s[8:9]
	s_cbranch_execz .LBB1663_64
; %bb.58:
	v_mov_b32_e32 v12, s29
	v_addc_co_u32_e64 v13, s[2:3], v13, v12, s[2:3]
	v_add_co_u32_e64 v12, s[2:3], 8, v18
	v_mov_b32_e32 v14, s29
	v_addc_co_u32_e64 v13, s[2:3], 0, v13, s[2:3]
	v_addc_co_u32_e32 v15, vcc, v15, v14, vcc
	v_add_co_u32_e32 v14, vcc, 8, v16
	s_add_u32 s2, s26, -1
	v_addc_co_u32_e32 v15, vcc, 0, v15, vcc
	s_addc_u32 s3, s27, -1
	s_mov_b64 s[8:9], 0
	s_mov_b64 s[40:41], 0
                                        ; implicit-def: $sgpr18_sgpr19
	s_branch .LBB1663_61
.LBB1663_59:                            ;   in Loop: Header=BB1663_61 Depth=1
	global_load_dwordx2 v[16:17], v[14:15], off
	global_load_dwordx2 v[18:19], v[12:13], off
	v_add_co_u32_e32 v12, vcc, 8, v12
	v_addc_co_u32_e32 v13, vcc, 0, v13, vcc
	v_add_co_u32_e32 v14, vcc, 8, v14
	v_addc_co_u32_e32 v15, vcc, 0, v15, vcc
	s_add_u32 s40, s40, 1
	s_addc_u32 s41, s41, 0
	s_andn2_b64 s[18:19], s[18:19], exec
	s_waitcnt vmcnt(0)
	v_cmp_ne_u64_e32 vcc, v[16:17], v[18:19]
	s_and_b64 s[42:43], vcc, exec
	s_or_b64 s[18:19], s[18:19], s[42:43]
.LBB1663_60:                            ;   in Loop: Header=BB1663_61 Depth=1
	s_and_b64 s[42:43], exec, s[18:19]
	s_or_b64 s[8:9], s[42:43], s[8:9]
	v_pk_mov_b32 v[16:17], s[40:41], s[40:41] op_sel:[0,1]
	s_andn2_b64 exec, exec, s[8:9]
	s_cbranch_execz .LBB1663_63
.LBB1663_61:                            ; =>This Inner Loop Header: Depth=1
	s_or_b64 s[18:19], s[18:19], exec
	s_cmp_eq_u64 s[2:3], s[40:41]
	s_cbranch_scc0 .LBB1663_59
; %bb.62:                               ;   in Loop: Header=BB1663_61 Depth=1
                                        ; implicit-def: $vgpr12_vgpr13
                                        ; implicit-def: $vgpr14_vgpr15
	s_mov_b64 s[40:41], s[26:27]
	s_branch .LBB1663_60
.LBB1663_63:
	s_or_b64 exec, exec, s[8:9]
	v_cmp_gt_i64_e32 vcc, s[26:27], v[16:17]
	s_orn2_b64 s[18:19], vcc, exec
.LBB1663_64:
	s_or_b64 exec, exec, s[38:39]
.LBB1663_65:
	v_cndmask_b32_e64 v13, 0, 1, s[14:15]
	v_or_b32_e32 v16, v26, v27
	s_and_b64 vcc, exec, s[36:37]
	s_cbranch_vccz .LBB1663_124
.LBB1663_66:
	v_cmp_gt_u32_e32 vcc, s7, v23
	s_mov_b64 s[18:19], 0
	s_mov_b64 s[14:15], 0
	s_and_saveexec_b64 s[36:37], vcc
	s_cbranch_execz .LBB1663_77
; %bb.67:
	s_and_b64 vcc, exec, s[0:1]
	s_mov_b64 s[38:39], 0
	s_cbranch_vccnz .LBB1663_76
; %bb.68:
	s_waitcnt lgkmcnt(0)
	v_mul_lo_u32 v14, v5, s26
	v_mul_lo_u32 v15, v4, s27
	v_mad_u64_u32 v[12:13], s[2:3], v4, s26, 0
	v_add3_u32 v13, v13, v15, v14
	v_mul_lo_u32 v14, v11, s26
	v_mul_lo_u32 v15, v10, s27
	v_mad_u64_u32 v[18:19], s[2:3], v10, s26, 0
	v_add3_u32 v19, v19, v15, v14
	v_lshlrev_b64 v[14:15], 3, v[12:13]
	v_mov_b32_e32 v12, s29
	v_add_co_u32_e32 v16, vcc, s28, v14
	v_addc_co_u32_e64 v17, s[2:3], v12, v15, vcc
	v_lshlrev_b64 v[12:13], 3, v[18:19]
	v_mov_b32_e32 v14, s29
	v_add_co_u32_e64 v18, s[2:3], s28, v12
	v_addc_co_u32_e64 v19, s[8:9], v14, v13, s[2:3]
	global_load_dwordx2 v[26:27], v[16:17], off
	global_load_dwordx2 v[28:29], v[18:19], off
	s_mov_b64 s[38:39], -1
	s_waitcnt vmcnt(0)
	v_cmp_eq_u64_e64 s[8:9], v[26:27], v[28:29]
	s_and_saveexec_b64 s[14:15], s[8:9]
	s_cbranch_execz .LBB1663_75
; %bb.69:
	v_mov_b32_e32 v12, s29
	v_addc_co_u32_e64 v13, s[2:3], v13, v12, s[2:3]
	v_add_co_u32_e64 v12, s[2:3], 8, v18
	v_mov_b32_e32 v14, s29
	v_addc_co_u32_e64 v13, s[2:3], 0, v13, s[2:3]
	v_addc_co_u32_e32 v15, vcc, v15, v14, vcc
	v_add_co_u32_e32 v14, vcc, 8, v16
	s_add_u32 s2, s26, -1
	v_addc_co_u32_e32 v15, vcc, 0, v15, vcc
	s_addc_u32 s3, s27, -1
	s_mov_b64 s[8:9], 0
	s_mov_b64 s[40:41], 0
                                        ; implicit-def: $sgpr38_sgpr39
	s_branch .LBB1663_72
.LBB1663_70:                            ;   in Loop: Header=BB1663_72 Depth=1
	global_load_dwordx2 v[16:17], v[14:15], off
	global_load_dwordx2 v[18:19], v[12:13], off
	v_add_co_u32_e32 v12, vcc, 8, v12
	v_addc_co_u32_e32 v13, vcc, 0, v13, vcc
	v_add_co_u32_e32 v14, vcc, 8, v14
	v_addc_co_u32_e32 v15, vcc, 0, v15, vcc
	s_add_u32 s40, s40, 1
	s_addc_u32 s41, s41, 0
	s_andn2_b64 s[38:39], s[38:39], exec
	s_waitcnt vmcnt(0)
	v_cmp_ne_u64_e32 vcc, v[16:17], v[18:19]
	s_and_b64 s[42:43], vcc, exec
	s_or_b64 s[38:39], s[38:39], s[42:43]
.LBB1663_71:                            ;   in Loop: Header=BB1663_72 Depth=1
	s_and_b64 s[42:43], exec, s[38:39]
	s_or_b64 s[8:9], s[42:43], s[8:9]
	v_pk_mov_b32 v[16:17], s[40:41], s[40:41] op_sel:[0,1]
	s_andn2_b64 exec, exec, s[8:9]
	s_cbranch_execz .LBB1663_74
.LBB1663_72:                            ; =>This Inner Loop Header: Depth=1
	s_or_b64 s[38:39], s[38:39], exec
	s_cmp_eq_u64 s[2:3], s[40:41]
	s_cbranch_scc0 .LBB1663_70
; %bb.73:                               ;   in Loop: Header=BB1663_72 Depth=1
                                        ; implicit-def: $vgpr12_vgpr13
                                        ; implicit-def: $vgpr14_vgpr15
	s_mov_b64 s[40:41], s[26:27]
	s_branch .LBB1663_71
.LBB1663_74:
	s_or_b64 exec, exec, s[8:9]
	v_cmp_gt_i64_e32 vcc, s[26:27], v[16:17]
	s_orn2_b64 s[38:39], vcc, exec
.LBB1663_75:
	s_or_b64 exec, exec, s[14:15]
.LBB1663_76:
	s_and_b64 s[14:15], s[38:39], exec
.LBB1663_77:
	s_or_b64 exec, exec, s[36:37]
	v_cmp_gt_u32_e32 vcc, s7, v25
	s_and_saveexec_b64 s[36:37], vcc
	s_cbranch_execz .LBB1663_88
; %bb.78:
	s_and_b64 vcc, exec, s[0:1]
	s_mov_b64 s[38:39], 0
	s_cbranch_vccnz .LBB1663_87
; %bb.79:
	s_waitcnt lgkmcnt(0)
	v_mul_lo_u32 v14, v3, s26
	v_mul_lo_u32 v15, v2, s27
	v_mad_u64_u32 v[12:13], s[2:3], v2, s26, 0
	v_add3_u32 v13, v13, v15, v14
	v_mul_lo_u32 v14, v5, s26
	v_mul_lo_u32 v15, v4, s27
	v_mad_u64_u32 v[18:19], s[2:3], v4, s26, 0
	v_add3_u32 v19, v19, v15, v14
	v_lshlrev_b64 v[14:15], 3, v[12:13]
	v_mov_b32_e32 v12, s29
	v_add_co_u32_e32 v16, vcc, s28, v14
	v_addc_co_u32_e64 v17, s[2:3], v12, v15, vcc
	v_lshlrev_b64 v[12:13], 3, v[18:19]
	v_mov_b32_e32 v14, s29
	v_add_co_u32_e64 v18, s[2:3], s28, v12
	v_addc_co_u32_e64 v19, s[8:9], v14, v13, s[2:3]
	global_load_dwordx2 v[26:27], v[16:17], off
	global_load_dwordx2 v[28:29], v[18:19], off
	s_mov_b64 s[38:39], -1
	s_waitcnt vmcnt(0)
	v_cmp_eq_u64_e64 s[8:9], v[26:27], v[28:29]
	s_and_saveexec_b64 s[18:19], s[8:9]
	s_cbranch_execz .LBB1663_86
; %bb.80:
	v_mov_b32_e32 v12, s29
	v_addc_co_u32_e64 v13, s[2:3], v13, v12, s[2:3]
	v_add_co_u32_e64 v12, s[2:3], 8, v18
	v_mov_b32_e32 v14, s29
	v_addc_co_u32_e64 v13, s[2:3], 0, v13, s[2:3]
	v_addc_co_u32_e32 v15, vcc, v15, v14, vcc
	v_add_co_u32_e32 v14, vcc, 8, v16
	s_add_u32 s2, s26, -1
	v_addc_co_u32_e32 v15, vcc, 0, v15, vcc
	s_addc_u32 s3, s27, -1
	s_mov_b64 s[8:9], 0
	s_mov_b64 s[40:41], 0
                                        ; implicit-def: $sgpr38_sgpr39
	s_branch .LBB1663_83
.LBB1663_81:                            ;   in Loop: Header=BB1663_83 Depth=1
	global_load_dwordx2 v[16:17], v[14:15], off
	global_load_dwordx2 v[18:19], v[12:13], off
	v_add_co_u32_e32 v12, vcc, 8, v12
	v_addc_co_u32_e32 v13, vcc, 0, v13, vcc
	v_add_co_u32_e32 v14, vcc, 8, v14
	v_addc_co_u32_e32 v15, vcc, 0, v15, vcc
	s_add_u32 s40, s40, 1
	s_addc_u32 s41, s41, 0
	s_andn2_b64 s[38:39], s[38:39], exec
	s_waitcnt vmcnt(0)
	v_cmp_ne_u64_e32 vcc, v[16:17], v[18:19]
	s_and_b64 s[42:43], vcc, exec
	s_or_b64 s[38:39], s[38:39], s[42:43]
.LBB1663_82:                            ;   in Loop: Header=BB1663_83 Depth=1
	s_and_b64 s[42:43], exec, s[38:39]
	s_or_b64 s[8:9], s[42:43], s[8:9]
	v_pk_mov_b32 v[16:17], s[40:41], s[40:41] op_sel:[0,1]
	s_andn2_b64 exec, exec, s[8:9]
	s_cbranch_execz .LBB1663_85
.LBB1663_83:                            ; =>This Inner Loop Header: Depth=1
	s_or_b64 s[38:39], s[38:39], exec
	s_cmp_eq_u64 s[2:3], s[40:41]
	s_cbranch_scc0 .LBB1663_81
; %bb.84:                               ;   in Loop: Header=BB1663_83 Depth=1
                                        ; implicit-def: $vgpr12_vgpr13
                                        ; implicit-def: $vgpr14_vgpr15
	s_mov_b64 s[40:41], s[26:27]
	s_branch .LBB1663_82
.LBB1663_85:
	s_or_b64 exec, exec, s[8:9]
	v_cmp_gt_i64_e32 vcc, s[26:27], v[16:17]
	s_orn2_b64 s[38:39], vcc, exec
.LBB1663_86:
	s_or_b64 exec, exec, s[18:19]
.LBB1663_87:
	s_and_b64 s[18:19], s[38:39], exec
.LBB1663_88:
	s_or_b64 exec, exec, s[36:37]
	v_cmp_gt_u32_e32 vcc, s7, v22
	s_mov_b64 s[36:37], 0
	s_mov_b64 s[38:39], 0
	s_and_saveexec_b64 s[40:41], vcc
	s_cbranch_execz .LBB1663_99
; %bb.89:
	s_and_b64 vcc, exec, s[0:1]
	s_mov_b64 s[42:43], 0
	s_cbranch_vccnz .LBB1663_98
; %bb.90:
	s_waitcnt lgkmcnt(0)
	v_mul_lo_u32 v14, v9, s26
	v_mul_lo_u32 v15, v8, s27
	v_mad_u64_u32 v[12:13], s[2:3], v8, s26, 0
	v_add3_u32 v13, v13, v15, v14
	v_mul_lo_u32 v14, v3, s26
	v_mul_lo_u32 v15, v2, s27
	v_mad_u64_u32 v[18:19], s[2:3], v2, s26, 0
	v_add3_u32 v19, v19, v15, v14
	v_lshlrev_b64 v[14:15], 3, v[12:13]
	v_mov_b32_e32 v12, s29
	v_add_co_u32_e32 v16, vcc, s28, v14
	v_addc_co_u32_e64 v17, s[2:3], v12, v15, vcc
	v_lshlrev_b64 v[12:13], 3, v[18:19]
	v_mov_b32_e32 v14, s29
	v_add_co_u32_e64 v18, s[2:3], s28, v12
	v_addc_co_u32_e64 v19, s[8:9], v14, v13, s[2:3]
	global_load_dwordx2 v[26:27], v[16:17], off
	global_load_dwordx2 v[28:29], v[18:19], off
	s_mov_b64 s[42:43], -1
	s_waitcnt vmcnt(0)
	v_cmp_eq_u64_e64 s[8:9], v[26:27], v[28:29]
	s_and_saveexec_b64 s[38:39], s[8:9]
	s_cbranch_execz .LBB1663_97
; %bb.91:
	v_mov_b32_e32 v12, s29
	v_addc_co_u32_e64 v13, s[2:3], v13, v12, s[2:3]
	v_add_co_u32_e64 v12, s[2:3], 8, v18
	v_mov_b32_e32 v14, s29
	v_addc_co_u32_e64 v13, s[2:3], 0, v13, s[2:3]
	v_addc_co_u32_e32 v15, vcc, v15, v14, vcc
	v_add_co_u32_e32 v14, vcc, 8, v16
	s_add_u32 s2, s26, -1
	v_addc_co_u32_e32 v15, vcc, 0, v15, vcc
	s_addc_u32 s3, s27, -1
	s_mov_b64 s[8:9], 0
	s_mov_b64 s[44:45], 0
                                        ; implicit-def: $sgpr42_sgpr43
	s_branch .LBB1663_94
.LBB1663_92:                            ;   in Loop: Header=BB1663_94 Depth=1
	global_load_dwordx2 v[16:17], v[14:15], off
	global_load_dwordx2 v[18:19], v[12:13], off
	v_add_co_u32_e32 v12, vcc, 8, v12
	v_addc_co_u32_e32 v13, vcc, 0, v13, vcc
	v_add_co_u32_e32 v14, vcc, 8, v14
	v_addc_co_u32_e32 v15, vcc, 0, v15, vcc
	s_add_u32 s44, s44, 1
	s_addc_u32 s45, s45, 0
	s_andn2_b64 s[42:43], s[42:43], exec
	s_waitcnt vmcnt(0)
	v_cmp_ne_u64_e32 vcc, v[16:17], v[18:19]
	s_and_b64 s[46:47], vcc, exec
	s_or_b64 s[42:43], s[42:43], s[46:47]
.LBB1663_93:                            ;   in Loop: Header=BB1663_94 Depth=1
	s_and_b64 s[46:47], exec, s[42:43]
	s_or_b64 s[8:9], s[46:47], s[8:9]
	v_pk_mov_b32 v[16:17], s[44:45], s[44:45] op_sel:[0,1]
	s_andn2_b64 exec, exec, s[8:9]
	s_cbranch_execz .LBB1663_96
.LBB1663_94:                            ; =>This Inner Loop Header: Depth=1
	s_or_b64 s[42:43], s[42:43], exec
	s_cmp_eq_u64 s[2:3], s[44:45]
	s_cbranch_scc0 .LBB1663_92
; %bb.95:                               ;   in Loop: Header=BB1663_94 Depth=1
                                        ; implicit-def: $vgpr12_vgpr13
                                        ; implicit-def: $vgpr14_vgpr15
	s_mov_b64 s[44:45], s[26:27]
	s_branch .LBB1663_93
.LBB1663_96:
	s_or_b64 exec, exec, s[8:9]
	v_cmp_gt_i64_e32 vcc, s[26:27], v[16:17]
	s_orn2_b64 s[42:43], vcc, exec
.LBB1663_97:
	s_or_b64 exec, exec, s[38:39]
.LBB1663_98:
	s_and_b64 s[38:39], s[42:43], exec
.LBB1663_99:
	s_or_b64 exec, exec, s[40:41]
	v_cmp_gt_u32_e32 vcc, s7, v24
	s_and_saveexec_b64 s[40:41], vcc
	s_cbranch_execz .LBB1663_110
; %bb.100:
	s_and_b64 vcc, exec, s[0:1]
	s_mov_b64 s[42:43], 0
	s_cbranch_vccnz .LBB1663_109
; %bb.101:
	s_waitcnt lgkmcnt(0)
	v_mul_lo_u32 v14, v7, s26
	v_mul_lo_u32 v15, v6, s27
	v_mad_u64_u32 v[12:13], s[2:3], v6, s26, 0
	v_add3_u32 v13, v13, v15, v14
	v_mul_lo_u32 v14, v9, s26
	v_mul_lo_u32 v15, v8, s27
	v_mad_u64_u32 v[18:19], s[2:3], v8, s26, 0
	v_add3_u32 v19, v19, v15, v14
	v_lshlrev_b64 v[14:15], 3, v[12:13]
	v_mov_b32_e32 v12, s29
	v_add_co_u32_e32 v16, vcc, s28, v14
	v_addc_co_u32_e64 v17, s[2:3], v12, v15, vcc
	v_lshlrev_b64 v[12:13], 3, v[18:19]
	v_mov_b32_e32 v14, s29
	v_add_co_u32_e64 v18, s[2:3], s28, v12
	v_addc_co_u32_e64 v19, s[8:9], v14, v13, s[2:3]
	global_load_dwordx2 v[26:27], v[16:17], off
	global_load_dwordx2 v[28:29], v[18:19], off
	s_mov_b64 s[42:43], -1
	s_waitcnt vmcnt(0)
	v_cmp_eq_u64_e64 s[8:9], v[26:27], v[28:29]
	s_and_saveexec_b64 s[36:37], s[8:9]
	s_cbranch_execz .LBB1663_108
; %bb.102:
	v_mov_b32_e32 v12, s29
	v_addc_co_u32_e64 v13, s[2:3], v13, v12, s[2:3]
	v_add_co_u32_e64 v12, s[2:3], 8, v18
	v_mov_b32_e32 v14, s29
	v_addc_co_u32_e64 v13, s[2:3], 0, v13, s[2:3]
	v_addc_co_u32_e32 v15, vcc, v15, v14, vcc
	v_add_co_u32_e32 v14, vcc, 8, v16
	s_add_u32 s2, s26, -1
	v_addc_co_u32_e32 v15, vcc, 0, v15, vcc
	s_addc_u32 s3, s27, -1
	s_mov_b64 s[8:9], 0
	s_mov_b64 s[44:45], 0
                                        ; implicit-def: $sgpr42_sgpr43
	s_branch .LBB1663_105
.LBB1663_103:                           ;   in Loop: Header=BB1663_105 Depth=1
	global_load_dwordx2 v[16:17], v[14:15], off
	global_load_dwordx2 v[18:19], v[12:13], off
	v_add_co_u32_e32 v12, vcc, 8, v12
	v_addc_co_u32_e32 v13, vcc, 0, v13, vcc
	v_add_co_u32_e32 v14, vcc, 8, v14
	v_addc_co_u32_e32 v15, vcc, 0, v15, vcc
	s_add_u32 s44, s44, 1
	s_addc_u32 s45, s45, 0
	s_andn2_b64 s[42:43], s[42:43], exec
	s_waitcnt vmcnt(0)
	v_cmp_ne_u64_e32 vcc, v[16:17], v[18:19]
	s_and_b64 s[46:47], vcc, exec
	s_or_b64 s[42:43], s[42:43], s[46:47]
.LBB1663_104:                           ;   in Loop: Header=BB1663_105 Depth=1
	s_and_b64 s[46:47], exec, s[42:43]
	s_or_b64 s[8:9], s[46:47], s[8:9]
	v_pk_mov_b32 v[16:17], s[44:45], s[44:45] op_sel:[0,1]
	s_andn2_b64 exec, exec, s[8:9]
	s_cbranch_execz .LBB1663_107
.LBB1663_105:                           ; =>This Inner Loop Header: Depth=1
	s_or_b64 s[42:43], s[42:43], exec
	s_cmp_eq_u64 s[2:3], s[44:45]
	s_cbranch_scc0 .LBB1663_103
; %bb.106:                              ;   in Loop: Header=BB1663_105 Depth=1
                                        ; implicit-def: $vgpr12_vgpr13
                                        ; implicit-def: $vgpr14_vgpr15
	s_mov_b64 s[44:45], s[26:27]
	s_branch .LBB1663_104
.LBB1663_107:
	s_or_b64 exec, exec, s[8:9]
	v_cmp_gt_i64_e32 vcc, s[26:27], v[16:17]
	s_orn2_b64 s[42:43], vcc, exec
.LBB1663_108:
	s_or_b64 exec, exec, s[36:37]
.LBB1663_109:
	s_and_b64 s[36:37], s[42:43], exec
.LBB1663_110:
	s_or_b64 exec, exec, s[40:41]
	v_cmp_ne_u32_e32 vcc, 0, v0
	s_waitcnt lgkmcnt(0)
	v_pk_mov_b32 v[12:13], s[12:13], s[12:13] op_sel:[0,1]
	s_barrier
	s_and_saveexec_b64 s[2:3], vcc
	s_cbranch_execz .LBB1663_112
; %bb.111:
	v_add_u32_e32 v12, -8, v21
	ds_read_b64 v[12:13], v12
.LBB1663_112:
	s_or_b64 exec, exec, s[2:3]
	v_cndmask_b32_e64 v15, 0, 1, s[18:19]
	v_cndmask_b32_e64 v14, 0, 1, s[38:39]
	;; [unrolled: 1-line block ×3, first 2 shown]
	v_lshlrev_b16_e32 v15, 8, v15
	v_cmp_gt_u32_e32 vcc, s7, v1
	v_lshlrev_b16_e32 v21, 8, v16
	v_or_b32_sdwa v26, v14, v15 dst_sel:WORD_1 dst_unused:UNUSED_PAD src0_sel:DWORD src1_sel:DWORD
	s_mov_b64 s[18:19], 0
	s_and_saveexec_b64 s[8:9], vcc
	s_cbranch_execz .LBB1663_123
; %bb.113:
	s_and_b64 vcc, exec, s[0:1]
	s_cbranch_vccnz .LBB1663_122
; %bb.114:
	s_waitcnt lgkmcnt(0)
	v_mul_lo_u32 v14, v13, s26
	v_mul_lo_u32 v15, v12, s27
	v_mad_u64_u32 v[12:13], s[0:1], v12, s26, 0
	v_add3_u32 v13, v13, v15, v14
	v_mul_lo_u32 v14, v7, s26
	v_mul_lo_u32 v15, v6, s27
	v_mad_u64_u32 v[18:19], s[0:1], v6, s26, 0
	v_add3_u32 v19, v19, v15, v14
	v_lshlrev_b64 v[14:15], 3, v[12:13]
	v_mov_b32_e32 v12, s29
	v_add_co_u32_e32 v16, vcc, s28, v14
	v_addc_co_u32_e64 v17, s[0:1], v12, v15, vcc
	v_lshlrev_b64 v[12:13], 3, v[18:19]
	v_mov_b32_e32 v14, s29
	v_add_co_u32_e64 v18, s[0:1], s28, v12
	v_addc_co_u32_e64 v19, s[2:3], v14, v13, s[0:1]
	global_load_dwordx2 v[28:29], v[16:17], off
	global_load_dwordx2 v[30:31], v[18:19], off
	s_mov_b64 s[18:19], -1
	s_waitcnt vmcnt(0)
	v_cmp_eq_u64_e64 s[2:3], v[28:29], v[30:31]
	s_and_saveexec_b64 s[12:13], s[2:3]
	s_cbranch_execz .LBB1663_121
; %bb.115:
	v_mov_b32_e32 v12, s29
	v_addc_co_u32_e64 v13, s[0:1], v13, v12, s[0:1]
	v_add_co_u32_e64 v12, s[0:1], 8, v18
	v_mov_b32_e32 v14, s29
	v_addc_co_u32_e64 v13, s[0:1], 0, v13, s[0:1]
	v_addc_co_u32_e32 v15, vcc, v15, v14, vcc
	v_add_co_u32_e32 v14, vcc, 8, v16
	s_add_u32 s0, s26, -1
	v_addc_co_u32_e32 v15, vcc, 0, v15, vcc
	s_addc_u32 s1, s27, -1
	s_mov_b64 s[2:3], 0
	s_mov_b64 s[36:37], 0
                                        ; implicit-def: $sgpr18_sgpr19
	s_branch .LBB1663_118
.LBB1663_116:                           ;   in Loop: Header=BB1663_118 Depth=1
	global_load_dwordx2 v[16:17], v[14:15], off
	global_load_dwordx2 v[18:19], v[12:13], off
	v_add_co_u32_e32 v12, vcc, 8, v12
	v_addc_co_u32_e32 v13, vcc, 0, v13, vcc
	v_add_co_u32_e32 v14, vcc, 8, v14
	v_addc_co_u32_e32 v15, vcc, 0, v15, vcc
	s_add_u32 s36, s36, 1
	s_addc_u32 s37, s37, 0
	s_andn2_b64 s[18:19], s[18:19], exec
	s_waitcnt vmcnt(0)
	v_cmp_ne_u64_e32 vcc, v[16:17], v[18:19]
	s_and_b64 s[38:39], vcc, exec
	s_or_b64 s[18:19], s[18:19], s[38:39]
.LBB1663_117:                           ;   in Loop: Header=BB1663_118 Depth=1
	s_and_b64 s[38:39], exec, s[18:19]
	s_or_b64 s[2:3], s[38:39], s[2:3]
	v_pk_mov_b32 v[16:17], s[36:37], s[36:37] op_sel:[0,1]
	s_andn2_b64 exec, exec, s[2:3]
	s_cbranch_execz .LBB1663_120
.LBB1663_118:                           ; =>This Inner Loop Header: Depth=1
	s_or_b64 s[18:19], s[18:19], exec
	s_cmp_eq_u64 s[0:1], s[36:37]
	s_cbranch_scc0 .LBB1663_116
; %bb.119:                              ;   in Loop: Header=BB1663_118 Depth=1
                                        ; implicit-def: $vgpr12_vgpr13
                                        ; implicit-def: $vgpr14_vgpr15
	s_mov_b64 s[36:37], s[26:27]
	s_branch .LBB1663_117
.LBB1663_120:
	s_or_b64 exec, exec, s[2:3]
	v_cmp_gt_i64_e32 vcc, s[26:27], v[16:17]
	s_orn2_b64 s[18:19], vcc, exec
.LBB1663_121:
	s_or_b64 exec, exec, s[12:13]
.LBB1663_122:
	s_and_b64 s[18:19], s[18:19], exec
.LBB1663_123:
	s_or_b64 exec, exec, s[8:9]
	s_waitcnt lgkmcnt(0)
	v_cndmask_b32_e64 v13, 0, 1, s[14:15]
	v_or_b32_e32 v16, v21, v26
.LBB1663_124:
	s_waitcnt lgkmcnt(0)
	s_mov_b64 s[12:13], -1
	s_cbranch_execnz .LBB1663_233
.LBB1663_125:
	v_lshlrev_b32_e32 v12, 5, v0
	v_sub_u32_e32 v26, v20, v12
	s_mov_b64 s[18:19], 0
	v_cmp_gt_i64_e64 s[14:15], s[26:27], 0
	s_and_b64 vcc, exec, s[34:35]
	ds_write_b64 v26, v[10:11]
	s_cbranch_vccz .LBB1663_133
; %bb.126:
	v_mul_lo_u32 v14, v5, s26
	v_mul_lo_u32 v15, v4, s27
	v_mad_u64_u32 v[12:13], s[0:1], v4, s26, 0
	v_add3_u32 v13, v13, v15, v14
	v_cndmask_b32_e64 v14, 0, 1, s[14:15]
	v_cmp_ne_u32_e64 s[0:1], 1, v14
	s_andn2_b64 vcc, exec, s[14:15]
	v_lshlrev_b64 v[12:13], 3, v[12:13]
	s_cbranch_vccnz .LBB1663_136
; %bb.127:
	v_mul_lo_u32 v16, v11, s26
	v_mul_lo_u32 v17, v10, s27
	v_mad_u64_u32 v[14:15], s[2:3], v10, s26, 0
	v_add3_u32 v15, v15, v17, v16
	v_mov_b32_e32 v17, s29
	v_add_co_u32_e32 v16, vcc, s28, v12
	v_addc_co_u32_e64 v17, s[2:3], v17, v13, vcc
	v_lshlrev_b64 v[14:15], 3, v[14:15]
	v_mov_b32_e32 v19, s29
	v_add_co_u32_e64 v18, s[2:3], s28, v14
	v_addc_co_u32_e64 v19, s[8:9], v19, v15, s[2:3]
	global_load_dwordx2 v[20:21], v[16:17], off
	global_load_dwordx2 v[28:29], v[18:19], off
	s_mov_b64 s[18:19], -1
	s_waitcnt vmcnt(0)
	v_cmp_eq_u64_e64 s[8:9], v[20:21], v[28:29]
	s_and_saveexec_b64 s[36:37], s[8:9]
	s_cbranch_execz .LBB1663_135
; %bb.128:
	v_mov_b32_e32 v14, s29
	v_addc_co_u32_e64 v15, s[2:3], v15, v14, s[2:3]
	v_add_co_u32_e64 v14, s[2:3], 8, v18
	v_mov_b32_e32 v17, s29
	v_addc_co_u32_e64 v15, s[2:3], 0, v15, s[2:3]
	v_addc_co_u32_e32 v17, vcc, v13, v17, vcc
	v_add_co_u32_e32 v16, vcc, 8, v16
	s_add_u32 s2, s26, -1
	v_addc_co_u32_e32 v17, vcc, 0, v17, vcc
	s_addc_u32 s3, s27, -1
	s_mov_b64 s[8:9], 0
	s_mov_b64 s[38:39], 0
                                        ; implicit-def: $sgpr18_sgpr19
	s_branch .LBB1663_131
.LBB1663_129:                           ;   in Loop: Header=BB1663_131 Depth=1
	global_load_dwordx2 v[18:19], v[16:17], off
	global_load_dwordx2 v[20:21], v[14:15], off
	v_add_co_u32_e32 v14, vcc, 8, v14
	v_addc_co_u32_e32 v15, vcc, 0, v15, vcc
	v_add_co_u32_e32 v16, vcc, 8, v16
	v_addc_co_u32_e32 v17, vcc, 0, v17, vcc
	s_add_u32 s38, s38, 1
	s_addc_u32 s39, s39, 0
	s_andn2_b64 s[18:19], s[18:19], exec
	s_waitcnt vmcnt(0)
	v_cmp_ne_u64_e32 vcc, v[18:19], v[20:21]
	s_and_b64 s[40:41], vcc, exec
	s_or_b64 s[18:19], s[18:19], s[40:41]
.LBB1663_130:                           ;   in Loop: Header=BB1663_131 Depth=1
	s_and_b64 s[40:41], exec, s[18:19]
	s_or_b64 s[8:9], s[40:41], s[8:9]
	v_pk_mov_b32 v[18:19], s[38:39], s[38:39] op_sel:[0,1]
	s_andn2_b64 exec, exec, s[8:9]
	s_cbranch_execz .LBB1663_134
.LBB1663_131:                           ; =>This Inner Loop Header: Depth=1
	s_or_b64 s[18:19], s[18:19], exec
	s_cmp_eq_u64 s[2:3], s[38:39]
	s_cbranch_scc0 .LBB1663_129
; %bb.132:                              ;   in Loop: Header=BB1663_131 Depth=1
                                        ; implicit-def: $vgpr14_vgpr15
                                        ; implicit-def: $vgpr16_vgpr17
	s_mov_b64 s[38:39], s[26:27]
	s_branch .LBB1663_130
.LBB1663_133:
                                        ; implicit-def: $sgpr18_sgpr19
                                        ; implicit-def: $vgpr13
                                        ; implicit-def: $vgpr16
	s_cbranch_execnz .LBB1663_175
	s_branch .LBB1663_233
.LBB1663_134:
	s_or_b64 exec, exec, s[8:9]
	v_cmp_gt_i64_e32 vcc, s[26:27], v[18:19]
	s_orn2_b64 s[18:19], vcc, exec
.LBB1663_135:
	s_or_b64 exec, exec, s[36:37]
.LBB1663_136:
	v_mul_lo_u32 v16, v3, s26
	v_mul_lo_u32 v17, v2, s27
	v_mad_u64_u32 v[14:15], s[2:3], v2, s26, 0
	v_add3_u32 v15, v15, v17, v16
	s_mov_b64 s[36:37], 0
	s_and_b64 vcc, exec, s[0:1]
	v_lshlrev_b64 v[14:15], 3, v[14:15]
	s_mov_b64 s[38:39], 0
	s_cbranch_vccnz .LBB1663_145
; %bb.137:
	v_mov_b32_e32 v17, s29
	v_add_co_u32_e32 v16, vcc, s28, v14
	v_addc_co_u32_e64 v17, s[2:3], v17, v15, vcc
	v_mov_b32_e32 v19, s29
	v_add_co_u32_e64 v18, s[2:3], s28, v12
	v_addc_co_u32_e64 v19, s[8:9], v19, v13, s[2:3]
	global_load_dwordx2 v[20:21], v[16:17], off
	global_load_dwordx2 v[28:29], v[18:19], off
	s_mov_b64 s[38:39], -1
	s_waitcnt vmcnt(0)
	v_cmp_eq_u64_e64 s[8:9], v[20:21], v[28:29]
	s_and_saveexec_b64 s[40:41], s[8:9]
	s_cbranch_execz .LBB1663_144
; %bb.138:
	v_mov_b32_e32 v12, s29
	v_addc_co_u32_e64 v13, s[2:3], v13, v12, s[2:3]
	v_add_co_u32_e64 v12, s[2:3], 8, v18
	v_mov_b32_e32 v17, s29
	v_addc_co_u32_e64 v13, s[2:3], 0, v13, s[2:3]
	v_addc_co_u32_e32 v17, vcc, v15, v17, vcc
	v_add_co_u32_e32 v16, vcc, 8, v16
	s_add_u32 s2, s26, -1
	v_addc_co_u32_e32 v17, vcc, 0, v17, vcc
	s_addc_u32 s3, s27, -1
	s_mov_b64 s[8:9], 0
	s_mov_b64 s[42:43], 0
                                        ; implicit-def: $sgpr38_sgpr39
	s_branch .LBB1663_141
.LBB1663_139:                           ;   in Loop: Header=BB1663_141 Depth=1
	global_load_dwordx2 v[18:19], v[16:17], off
	global_load_dwordx2 v[20:21], v[12:13], off
	v_add_co_u32_e32 v12, vcc, 8, v12
	v_addc_co_u32_e32 v13, vcc, 0, v13, vcc
	v_add_co_u32_e32 v16, vcc, 8, v16
	v_addc_co_u32_e32 v17, vcc, 0, v17, vcc
	s_add_u32 s42, s42, 1
	s_addc_u32 s43, s43, 0
	s_andn2_b64 s[38:39], s[38:39], exec
	s_waitcnt vmcnt(0)
	v_cmp_ne_u64_e32 vcc, v[18:19], v[20:21]
	s_and_b64 s[44:45], vcc, exec
	s_or_b64 s[38:39], s[38:39], s[44:45]
.LBB1663_140:                           ;   in Loop: Header=BB1663_141 Depth=1
	s_and_b64 s[44:45], exec, s[38:39]
	s_or_b64 s[8:9], s[44:45], s[8:9]
	v_pk_mov_b32 v[18:19], s[42:43], s[42:43] op_sel:[0,1]
	s_andn2_b64 exec, exec, s[8:9]
	s_cbranch_execz .LBB1663_143
.LBB1663_141:                           ; =>This Inner Loop Header: Depth=1
	s_or_b64 s[38:39], s[38:39], exec
	s_cmp_eq_u64 s[2:3], s[42:43]
	s_cbranch_scc0 .LBB1663_139
; %bb.142:                              ;   in Loop: Header=BB1663_141 Depth=1
                                        ; implicit-def: $vgpr12_vgpr13
                                        ; implicit-def: $vgpr16_vgpr17
	s_mov_b64 s[42:43], s[26:27]
	s_branch .LBB1663_140
.LBB1663_143:
	s_or_b64 exec, exec, s[8:9]
	v_cmp_gt_i64_e32 vcc, s[26:27], v[18:19]
	s_orn2_b64 s[38:39], vcc, exec
.LBB1663_144:
	s_or_b64 exec, exec, s[40:41]
.LBB1663_145:
	v_mul_lo_u32 v16, v9, s26
	v_mul_lo_u32 v17, v8, s27
	v_mad_u64_u32 v[12:13], s[2:3], v8, s26, 0
	v_add3_u32 v13, v13, v17, v16
	s_and_b64 vcc, exec, s[0:1]
	v_lshlrev_b64 v[12:13], 3, v[12:13]
	s_cbranch_vccnz .LBB1663_154
; %bb.146:
	v_mov_b32_e32 v17, s29
	v_add_co_u32_e32 v16, vcc, s28, v12
	v_addc_co_u32_e64 v17, s[2:3], v17, v13, vcc
	v_mov_b32_e32 v19, s29
	v_add_co_u32_e64 v18, s[2:3], s28, v14
	v_addc_co_u32_e64 v19, s[8:9], v19, v15, s[2:3]
	global_load_dwordx2 v[20:21], v[16:17], off
	global_load_dwordx2 v[28:29], v[18:19], off
	s_mov_b64 s[36:37], -1
	s_waitcnt vmcnt(0)
	v_cmp_eq_u64_e64 s[8:9], v[20:21], v[28:29]
	s_and_saveexec_b64 s[40:41], s[8:9]
	s_cbranch_execz .LBB1663_153
; %bb.147:
	v_mov_b32_e32 v14, s29
	v_addc_co_u32_e64 v15, s[2:3], v15, v14, s[2:3]
	v_add_co_u32_e64 v14, s[2:3], 8, v18
	v_mov_b32_e32 v17, s29
	v_addc_co_u32_e64 v15, s[2:3], 0, v15, s[2:3]
	v_addc_co_u32_e32 v17, vcc, v13, v17, vcc
	v_add_co_u32_e32 v16, vcc, 8, v16
	s_add_u32 s2, s26, -1
	v_addc_co_u32_e32 v17, vcc, 0, v17, vcc
	s_addc_u32 s3, s27, -1
	s_mov_b64 s[8:9], 0
	s_mov_b64 s[42:43], 0
                                        ; implicit-def: $sgpr36_sgpr37
	s_branch .LBB1663_150
.LBB1663_148:                           ;   in Loop: Header=BB1663_150 Depth=1
	global_load_dwordx2 v[18:19], v[16:17], off
	global_load_dwordx2 v[20:21], v[14:15], off
	v_add_co_u32_e32 v14, vcc, 8, v14
	v_addc_co_u32_e32 v15, vcc, 0, v15, vcc
	v_add_co_u32_e32 v16, vcc, 8, v16
	v_addc_co_u32_e32 v17, vcc, 0, v17, vcc
	s_add_u32 s42, s42, 1
	s_addc_u32 s43, s43, 0
	s_andn2_b64 s[36:37], s[36:37], exec
	s_waitcnt vmcnt(0)
	v_cmp_ne_u64_e32 vcc, v[18:19], v[20:21]
	s_and_b64 s[44:45], vcc, exec
	s_or_b64 s[36:37], s[36:37], s[44:45]
.LBB1663_149:                           ;   in Loop: Header=BB1663_150 Depth=1
	s_and_b64 s[44:45], exec, s[36:37]
	s_or_b64 s[8:9], s[44:45], s[8:9]
	v_pk_mov_b32 v[18:19], s[42:43], s[42:43] op_sel:[0,1]
	s_andn2_b64 exec, exec, s[8:9]
	s_cbranch_execz .LBB1663_152
.LBB1663_150:                           ; =>This Inner Loop Header: Depth=1
	s_or_b64 s[36:37], s[36:37], exec
	s_cmp_eq_u64 s[2:3], s[42:43]
	s_cbranch_scc0 .LBB1663_148
; %bb.151:                              ;   in Loop: Header=BB1663_150 Depth=1
                                        ; implicit-def: $vgpr14_vgpr15
                                        ; implicit-def: $vgpr16_vgpr17
	s_mov_b64 s[42:43], s[26:27]
	s_branch .LBB1663_149
.LBB1663_152:
	s_or_b64 exec, exec, s[8:9]
	v_cmp_gt_i64_e32 vcc, s[26:27], v[18:19]
	s_orn2_b64 s[36:37], vcc, exec
.LBB1663_153:
	s_or_b64 exec, exec, s[40:41]
.LBB1663_154:
	v_mul_lo_u32 v16, v7, s26
	v_mul_lo_u32 v17, v6, s27
	v_mad_u64_u32 v[14:15], s[2:3], v6, s26, 0
	v_add3_u32 v15, v15, v17, v16
	s_and_b64 vcc, exec, s[0:1]
	s_mov_b64 s[42:43], 0
	s_cbranch_vccnz .LBB1663_163
; %bb.155:
	v_lshlrev_b64 v[16:17], 3, v[14:15]
	v_mov_b32_e32 v19, s29
	v_add_co_u32_e32 v18, vcc, s28, v16
	v_addc_co_u32_e64 v19, s[2:3], v19, v17, vcc
	v_mov_b32_e32 v16, s29
	v_add_co_u32_e64 v20, s[2:3], s28, v12
	v_addc_co_u32_e64 v21, s[8:9], v16, v13, s[2:3]
	global_load_dwordx2 v[28:29], v[18:19], off
	global_load_dwordx2 v[30:31], v[20:21], off
	s_mov_b64 s[42:43], -1
	s_waitcnt vmcnt(0)
	v_cmp_eq_u64_e64 s[8:9], v[28:29], v[30:31]
	s_and_saveexec_b64 s[40:41], s[8:9]
	s_cbranch_execz .LBB1663_162
; %bb.156:
	v_mov_b32_e32 v12, s29
	v_addc_co_u32_e64 v13, s[2:3], v13, v12, s[2:3]
	v_add_co_u32_e64 v12, s[2:3], 8, v20
	v_mov_b32_e32 v16, s29
	v_addc_co_u32_e64 v13, s[2:3], 0, v13, s[2:3]
	v_addc_co_u32_e32 v17, vcc, v17, v16, vcc
	v_add_co_u32_e32 v16, vcc, 8, v18
	s_add_u32 s2, s26, -1
	v_addc_co_u32_e32 v17, vcc, 0, v17, vcc
	s_addc_u32 s3, s27, -1
	s_mov_b64 s[8:9], 0
	s_mov_b64 s[44:45], 0
                                        ; implicit-def: $sgpr42_sgpr43
	s_branch .LBB1663_159
.LBB1663_157:                           ;   in Loop: Header=BB1663_159 Depth=1
	global_load_dwordx2 v[18:19], v[16:17], off
	global_load_dwordx2 v[20:21], v[12:13], off
	v_add_co_u32_e32 v12, vcc, 8, v12
	v_addc_co_u32_e32 v13, vcc, 0, v13, vcc
	v_add_co_u32_e32 v16, vcc, 8, v16
	v_addc_co_u32_e32 v17, vcc, 0, v17, vcc
	s_add_u32 s44, s44, 1
	s_addc_u32 s45, s45, 0
	s_andn2_b64 s[42:43], s[42:43], exec
	s_waitcnt vmcnt(0)
	v_cmp_ne_u64_e32 vcc, v[18:19], v[20:21]
	s_and_b64 s[46:47], vcc, exec
	s_or_b64 s[42:43], s[42:43], s[46:47]
.LBB1663_158:                           ;   in Loop: Header=BB1663_159 Depth=1
	s_and_b64 s[46:47], exec, s[42:43]
	s_or_b64 s[8:9], s[46:47], s[8:9]
	v_pk_mov_b32 v[18:19], s[44:45], s[44:45] op_sel:[0,1]
	s_andn2_b64 exec, exec, s[8:9]
	s_cbranch_execz .LBB1663_161
.LBB1663_159:                           ; =>This Inner Loop Header: Depth=1
	s_or_b64 s[42:43], s[42:43], exec
	s_cmp_eq_u64 s[2:3], s[44:45]
	s_cbranch_scc0 .LBB1663_157
; %bb.160:                              ;   in Loop: Header=BB1663_159 Depth=1
                                        ; implicit-def: $vgpr12_vgpr13
                                        ; implicit-def: $vgpr16_vgpr17
	s_mov_b64 s[44:45], s[26:27]
	s_branch .LBB1663_158
.LBB1663_161:
	s_or_b64 exec, exec, s[8:9]
	v_cmp_gt_i64_e32 vcc, s[26:27], v[18:19]
	s_orn2_b64 s[42:43], vcc, exec
.LBB1663_162:
	s_or_b64 exec, exec, s[40:41]
.LBB1663_163:
	v_cndmask_b32_e64 v13, 0, 1, s[38:39]
	v_cndmask_b32_e64 v16, 0, 1, s[42:43]
	;; [unrolled: 1-line block ×3, first 2 shown]
	v_lshlrev_b16_e32 v16, 8, v16
	v_lshlrev_b16_e32 v13, 8, v13
	v_or_b32_e32 v16, 1, v16
	v_or_b32_sdwa v12, v12, v13 dst_sel:WORD_1 dst_unused:UNUSED_PAD src0_sel:DWORD src1_sel:DWORD
	v_or_b32_sdwa v12, v16, v12 dst_sel:DWORD dst_unused:UNUSED_PAD src0_sel:WORD_0 src1_sel:DWORD
	v_cndmask_b32_e64 v13, 0, 1, s[18:19]
	v_cmp_ne_u32_e32 vcc, 0, v0
	s_waitcnt lgkmcnt(0)
	s_barrier
	s_waitcnt lgkmcnt(0)
                                        ; implicit-def: $sgpr18_sgpr19
                                        ; implicit-def: $vgpr16
	s_and_saveexec_b64 s[2:3], vcc
	s_xor_b64 s[8:9], exec, s[2:3]
	s_cbranch_execz .LBB1663_174
; %bb.164:
	s_mov_b32 s33, 0x3020104
	s_and_b64 vcc, exec, s[0:1]
	s_mov_b64 s[36:37], 0
	s_cbranch_vccnz .LBB1663_173
; %bb.165:
	v_add_u32_e32 v16, -8, v26
	ds_read_b64 v[16:17], v16
	v_mov_b32_e32 v19, s29
	v_lshlrev_b64 v[14:15], 3, v[14:15]
	s_mov_b64 s[36:37], -1
	s_waitcnt lgkmcnt(0)
	v_mul_lo_u32 v18, v17, s26
	v_mul_lo_u32 v20, v16, s27
	v_mad_u64_u32 v[16:17], s[0:1], v16, s26, 0
	v_add3_u32 v17, v17, v20, v18
	v_lshlrev_b64 v[16:17], 3, v[16:17]
	v_add_co_u32_e32 v18, vcc, s28, v16
	v_addc_co_u32_e64 v19, s[0:1], v19, v17, vcc
	v_mov_b32_e32 v16, s29
	v_add_co_u32_e64 v20, s[0:1], s28, v14
	v_addc_co_u32_e64 v21, s[2:3], v16, v15, s[0:1]
	global_load_dwordx2 v[28:29], v[18:19], off
	global_load_dwordx2 v[30:31], v[20:21], off
	s_waitcnt vmcnt(0)
	v_cmp_eq_u64_e64 s[2:3], v[28:29], v[30:31]
	s_and_saveexec_b64 s[18:19], s[2:3]
	s_cbranch_execz .LBB1663_172
; %bb.166:
	v_mov_b32_e32 v14, s29
	v_addc_co_u32_e64 v15, s[0:1], v15, v14, s[0:1]
	v_add_co_u32_e64 v14, s[0:1], 8, v20
	v_mov_b32_e32 v16, s29
	v_addc_co_u32_e64 v15, s[0:1], 0, v15, s[0:1]
	v_addc_co_u32_e32 v17, vcc, v17, v16, vcc
	v_add_co_u32_e32 v16, vcc, 8, v18
	s_add_u32 s0, s26, -1
	v_addc_co_u32_e32 v17, vcc, 0, v17, vcc
	s_addc_u32 s1, s27, -1
	s_mov_b64 s[2:3], 0
	s_mov_b64 s[38:39], 0
                                        ; implicit-def: $sgpr36_sgpr37
	s_branch .LBB1663_169
.LBB1663_167:                           ;   in Loop: Header=BB1663_169 Depth=1
	global_load_dwordx2 v[18:19], v[16:17], off
	global_load_dwordx2 v[20:21], v[14:15], off
	v_add_co_u32_e32 v14, vcc, 8, v14
	v_addc_co_u32_e32 v15, vcc, 0, v15, vcc
	v_add_co_u32_e32 v16, vcc, 8, v16
	v_addc_co_u32_e32 v17, vcc, 0, v17, vcc
	s_add_u32 s38, s38, 1
	s_addc_u32 s39, s39, 0
	s_andn2_b64 s[36:37], s[36:37], exec
	s_waitcnt vmcnt(0)
	v_cmp_ne_u64_e32 vcc, v[18:19], v[20:21]
	s_and_b64 s[40:41], vcc, exec
	s_or_b64 s[36:37], s[36:37], s[40:41]
.LBB1663_168:                           ;   in Loop: Header=BB1663_169 Depth=1
	s_and_b64 s[40:41], exec, s[36:37]
	s_or_b64 s[2:3], s[40:41], s[2:3]
	v_pk_mov_b32 v[18:19], s[38:39], s[38:39] op_sel:[0,1]
	s_andn2_b64 exec, exec, s[2:3]
	s_cbranch_execz .LBB1663_171
.LBB1663_169:                           ; =>This Inner Loop Header: Depth=1
	s_or_b64 s[36:37], s[36:37], exec
	s_cmp_eq_u64 s[0:1], s[38:39]
	s_cbranch_scc0 .LBB1663_167
; %bb.170:                              ;   in Loop: Header=BB1663_169 Depth=1
                                        ; implicit-def: $vgpr14_vgpr15
                                        ; implicit-def: $vgpr16_vgpr17
	s_mov_b64 s[38:39], s[26:27]
	s_branch .LBB1663_168
.LBB1663_171:
	s_or_b64 exec, exec, s[2:3]
	v_cmp_gt_i64_e32 vcc, s[26:27], v[18:19]
	s_orn2_b64 s[36:37], vcc, exec
.LBB1663_172:
	s_or_b64 exec, exec, s[18:19]
.LBB1663_173:
	v_perm_b32 v16, v12, v12, s33
	s_and_b64 s[18:19], s[36:37], exec
	s_or_b64 s[12:13], s[12:13], exec
.LBB1663_174:
	s_or_b64 exec, exec, s[8:9]
	s_branch .LBB1663_233
.LBB1663_175:
	v_cmp_gt_u32_e32 vcc, s7, v23
	s_mov_b64 s[18:19], 0
	s_mov_b64 s[8:9], 0
	s_and_saveexec_b64 s[36:37], vcc
	s_cbranch_execz .LBB1663_186
; %bb.176:
	s_andn2_b64 vcc, exec, s[14:15]
	s_mov_b64 s[38:39], 0
	s_cbranch_vccnz .LBB1663_185
; %bb.177:
	v_mul_lo_u32 v14, v5, s26
	v_mul_lo_u32 v15, v4, s27
	v_mad_u64_u32 v[12:13], s[0:1], v4, s26, 0
	v_add3_u32 v13, v13, v15, v14
	v_mul_lo_u32 v14, v11, s26
	v_mul_lo_u32 v15, v10, s27
	v_mad_u64_u32 v[18:19], s[0:1], v10, s26, 0
	v_add3_u32 v19, v19, v15, v14
	v_lshlrev_b64 v[14:15], 3, v[12:13]
	v_mov_b32_e32 v12, s29
	v_add_co_u32_e32 v16, vcc, s28, v14
	v_addc_co_u32_e64 v17, s[0:1], v12, v15, vcc
	v_lshlrev_b64 v[12:13], 3, v[18:19]
	v_mov_b32_e32 v14, s29
	v_add_co_u32_e64 v18, s[0:1], s28, v12
	v_addc_co_u32_e64 v19, s[2:3], v14, v13, s[0:1]
	global_load_dwordx2 v[20:21], v[16:17], off
	global_load_dwordx2 v[28:29], v[18:19], off
	s_mov_b64 s[38:39], -1
	s_waitcnt vmcnt(0)
	v_cmp_eq_u64_e64 s[2:3], v[20:21], v[28:29]
	s_and_saveexec_b64 s[8:9], s[2:3]
	s_cbranch_execz .LBB1663_184
; %bb.178:
	v_mov_b32_e32 v12, s29
	v_addc_co_u32_e64 v13, s[0:1], v13, v12, s[0:1]
	v_add_co_u32_e64 v12, s[0:1], 8, v18
	v_mov_b32_e32 v14, s29
	v_addc_co_u32_e64 v13, s[0:1], 0, v13, s[0:1]
	v_addc_co_u32_e32 v15, vcc, v15, v14, vcc
	v_add_co_u32_e32 v14, vcc, 8, v16
	s_add_u32 s0, s26, -1
	v_addc_co_u32_e32 v15, vcc, 0, v15, vcc
	s_addc_u32 s1, s27, -1
	s_mov_b64 s[2:3], 0
	s_mov_b64 s[40:41], 0
                                        ; implicit-def: $sgpr38_sgpr39
	s_branch .LBB1663_181
.LBB1663_179:                           ;   in Loop: Header=BB1663_181 Depth=1
	global_load_dwordx2 v[16:17], v[14:15], off
	global_load_dwordx2 v[18:19], v[12:13], off
	v_add_co_u32_e32 v12, vcc, 8, v12
	v_addc_co_u32_e32 v13, vcc, 0, v13, vcc
	v_add_co_u32_e32 v14, vcc, 8, v14
	v_addc_co_u32_e32 v15, vcc, 0, v15, vcc
	s_add_u32 s40, s40, 1
	s_addc_u32 s41, s41, 0
	s_andn2_b64 s[38:39], s[38:39], exec
	s_waitcnt vmcnt(0)
	v_cmp_ne_u64_e32 vcc, v[16:17], v[18:19]
	s_and_b64 s[42:43], vcc, exec
	s_or_b64 s[38:39], s[38:39], s[42:43]
.LBB1663_180:                           ;   in Loop: Header=BB1663_181 Depth=1
	s_and_b64 s[42:43], exec, s[38:39]
	s_or_b64 s[2:3], s[42:43], s[2:3]
	v_pk_mov_b32 v[16:17], s[40:41], s[40:41] op_sel:[0,1]
	s_andn2_b64 exec, exec, s[2:3]
	s_cbranch_execz .LBB1663_183
.LBB1663_181:                           ; =>This Inner Loop Header: Depth=1
	s_or_b64 s[38:39], s[38:39], exec
	s_cmp_eq_u64 s[0:1], s[40:41]
	s_cbranch_scc0 .LBB1663_179
; %bb.182:                              ;   in Loop: Header=BB1663_181 Depth=1
                                        ; implicit-def: $vgpr12_vgpr13
                                        ; implicit-def: $vgpr14_vgpr15
	s_mov_b64 s[40:41], s[26:27]
	s_branch .LBB1663_180
.LBB1663_183:
	s_or_b64 exec, exec, s[2:3]
	v_cmp_gt_i64_e32 vcc, s[26:27], v[16:17]
	s_orn2_b64 s[38:39], vcc, exec
.LBB1663_184:
	s_or_b64 exec, exec, s[8:9]
.LBB1663_185:
	s_and_b64 s[8:9], s[38:39], exec
.LBB1663_186:
	s_or_b64 exec, exec, s[36:37]
	v_cmp_gt_u32_e32 vcc, s7, v25
	s_and_saveexec_b64 s[36:37], vcc
	s_cbranch_execz .LBB1663_197
; %bb.187:
	s_andn2_b64 vcc, exec, s[14:15]
	s_mov_b64 s[38:39], 0
	s_cbranch_vccnz .LBB1663_196
; %bb.188:
	v_mul_lo_u32 v14, v3, s26
	v_mul_lo_u32 v15, v2, s27
	v_mad_u64_u32 v[12:13], s[0:1], v2, s26, 0
	v_add3_u32 v13, v13, v15, v14
	v_mul_lo_u32 v14, v5, s26
	v_mul_lo_u32 v15, v4, s27
	v_mad_u64_u32 v[18:19], s[0:1], v4, s26, 0
	v_add3_u32 v19, v19, v15, v14
	v_lshlrev_b64 v[14:15], 3, v[12:13]
	v_mov_b32_e32 v12, s29
	v_add_co_u32_e32 v16, vcc, s28, v14
	v_addc_co_u32_e64 v17, s[0:1], v12, v15, vcc
	v_lshlrev_b64 v[12:13], 3, v[18:19]
	v_mov_b32_e32 v14, s29
	v_add_co_u32_e64 v18, s[0:1], s28, v12
	v_addc_co_u32_e64 v19, s[2:3], v14, v13, s[0:1]
	global_load_dwordx2 v[20:21], v[16:17], off
	global_load_dwordx2 v[28:29], v[18:19], off
	s_mov_b64 s[38:39], -1
	s_waitcnt vmcnt(0)
	v_cmp_eq_u64_e64 s[2:3], v[20:21], v[28:29]
	s_and_saveexec_b64 s[18:19], s[2:3]
	s_cbranch_execz .LBB1663_195
; %bb.189:
	v_mov_b32_e32 v12, s29
	v_addc_co_u32_e64 v13, s[0:1], v13, v12, s[0:1]
	v_add_co_u32_e64 v12, s[0:1], 8, v18
	v_mov_b32_e32 v14, s29
	v_addc_co_u32_e64 v13, s[0:1], 0, v13, s[0:1]
	v_addc_co_u32_e32 v15, vcc, v15, v14, vcc
	v_add_co_u32_e32 v14, vcc, 8, v16
	s_add_u32 s0, s26, -1
	v_addc_co_u32_e32 v15, vcc, 0, v15, vcc
	s_addc_u32 s1, s27, -1
	s_mov_b64 s[2:3], 0
	s_mov_b64 s[40:41], 0
                                        ; implicit-def: $sgpr38_sgpr39
	s_branch .LBB1663_192
.LBB1663_190:                           ;   in Loop: Header=BB1663_192 Depth=1
	global_load_dwordx2 v[16:17], v[14:15], off
	global_load_dwordx2 v[18:19], v[12:13], off
	v_add_co_u32_e32 v12, vcc, 8, v12
	v_addc_co_u32_e32 v13, vcc, 0, v13, vcc
	v_add_co_u32_e32 v14, vcc, 8, v14
	v_addc_co_u32_e32 v15, vcc, 0, v15, vcc
	s_add_u32 s40, s40, 1
	s_addc_u32 s41, s41, 0
	s_andn2_b64 s[38:39], s[38:39], exec
	s_waitcnt vmcnt(0)
	v_cmp_ne_u64_e32 vcc, v[16:17], v[18:19]
	s_and_b64 s[42:43], vcc, exec
	s_or_b64 s[38:39], s[38:39], s[42:43]
.LBB1663_191:                           ;   in Loop: Header=BB1663_192 Depth=1
	s_and_b64 s[42:43], exec, s[38:39]
	s_or_b64 s[2:3], s[42:43], s[2:3]
	v_pk_mov_b32 v[16:17], s[40:41], s[40:41] op_sel:[0,1]
	s_andn2_b64 exec, exec, s[2:3]
	s_cbranch_execz .LBB1663_194
.LBB1663_192:                           ; =>This Inner Loop Header: Depth=1
	s_or_b64 s[38:39], s[38:39], exec
	s_cmp_eq_u64 s[0:1], s[40:41]
	s_cbranch_scc0 .LBB1663_190
; %bb.193:                              ;   in Loop: Header=BB1663_192 Depth=1
                                        ; implicit-def: $vgpr12_vgpr13
                                        ; implicit-def: $vgpr14_vgpr15
	s_mov_b64 s[40:41], s[26:27]
	s_branch .LBB1663_191
.LBB1663_194:
	s_or_b64 exec, exec, s[2:3]
	v_cmp_gt_i64_e32 vcc, s[26:27], v[16:17]
	s_orn2_b64 s[38:39], vcc, exec
.LBB1663_195:
	s_or_b64 exec, exec, s[18:19]
.LBB1663_196:
	s_and_b64 s[18:19], s[38:39], exec
.LBB1663_197:
	s_or_b64 exec, exec, s[36:37]
	v_cmp_gt_u32_e32 vcc, s7, v22
	s_mov_b64 s[36:37], 0
	s_mov_b64 s[38:39], 0
	s_and_saveexec_b64 s[40:41], vcc
	s_cbranch_execz .LBB1663_208
; %bb.198:
	s_andn2_b64 vcc, exec, s[14:15]
	s_mov_b64 s[42:43], 0
	s_cbranch_vccnz .LBB1663_207
; %bb.199:
	v_mul_lo_u32 v14, v9, s26
	v_mul_lo_u32 v15, v8, s27
	v_mad_u64_u32 v[12:13], s[0:1], v8, s26, 0
	v_add3_u32 v13, v13, v15, v14
	v_mul_lo_u32 v14, v3, s26
	v_mul_lo_u32 v15, v2, s27
	v_mad_u64_u32 v[18:19], s[0:1], v2, s26, 0
	v_add3_u32 v19, v19, v15, v14
	v_lshlrev_b64 v[14:15], 3, v[12:13]
	v_mov_b32_e32 v12, s29
	v_add_co_u32_e32 v16, vcc, s28, v14
	v_addc_co_u32_e64 v17, s[0:1], v12, v15, vcc
	v_lshlrev_b64 v[12:13], 3, v[18:19]
	v_mov_b32_e32 v14, s29
	v_add_co_u32_e64 v18, s[0:1], s28, v12
	v_addc_co_u32_e64 v19, s[2:3], v14, v13, s[0:1]
	global_load_dwordx2 v[20:21], v[16:17], off
	global_load_dwordx2 v[28:29], v[18:19], off
	s_mov_b64 s[42:43], -1
	s_waitcnt vmcnt(0)
	v_cmp_eq_u64_e64 s[2:3], v[20:21], v[28:29]
	s_and_saveexec_b64 s[38:39], s[2:3]
	s_cbranch_execz .LBB1663_206
; %bb.200:
	v_mov_b32_e32 v12, s29
	v_addc_co_u32_e64 v13, s[0:1], v13, v12, s[0:1]
	v_add_co_u32_e64 v12, s[0:1], 8, v18
	v_mov_b32_e32 v14, s29
	v_addc_co_u32_e64 v13, s[0:1], 0, v13, s[0:1]
	v_addc_co_u32_e32 v15, vcc, v15, v14, vcc
	v_add_co_u32_e32 v14, vcc, 8, v16
	s_add_u32 s0, s26, -1
	v_addc_co_u32_e32 v15, vcc, 0, v15, vcc
	s_addc_u32 s1, s27, -1
	s_mov_b64 s[2:3], 0
	s_mov_b64 s[44:45], 0
                                        ; implicit-def: $sgpr42_sgpr43
	s_branch .LBB1663_203
.LBB1663_201:                           ;   in Loop: Header=BB1663_203 Depth=1
	global_load_dwordx2 v[16:17], v[14:15], off
	global_load_dwordx2 v[18:19], v[12:13], off
	v_add_co_u32_e32 v12, vcc, 8, v12
	v_addc_co_u32_e32 v13, vcc, 0, v13, vcc
	v_add_co_u32_e32 v14, vcc, 8, v14
	v_addc_co_u32_e32 v15, vcc, 0, v15, vcc
	s_add_u32 s44, s44, 1
	s_addc_u32 s45, s45, 0
	s_andn2_b64 s[42:43], s[42:43], exec
	s_waitcnt vmcnt(0)
	v_cmp_ne_u64_e32 vcc, v[16:17], v[18:19]
	s_and_b64 s[46:47], vcc, exec
	s_or_b64 s[42:43], s[42:43], s[46:47]
.LBB1663_202:                           ;   in Loop: Header=BB1663_203 Depth=1
	s_and_b64 s[46:47], exec, s[42:43]
	s_or_b64 s[2:3], s[46:47], s[2:3]
	v_pk_mov_b32 v[16:17], s[44:45], s[44:45] op_sel:[0,1]
	s_andn2_b64 exec, exec, s[2:3]
	s_cbranch_execz .LBB1663_205
.LBB1663_203:                           ; =>This Inner Loop Header: Depth=1
	s_or_b64 s[42:43], s[42:43], exec
	s_cmp_eq_u64 s[0:1], s[44:45]
	s_cbranch_scc0 .LBB1663_201
; %bb.204:                              ;   in Loop: Header=BB1663_203 Depth=1
                                        ; implicit-def: $vgpr12_vgpr13
                                        ; implicit-def: $vgpr14_vgpr15
	s_mov_b64 s[44:45], s[26:27]
	s_branch .LBB1663_202
.LBB1663_205:
	s_or_b64 exec, exec, s[2:3]
	v_cmp_gt_i64_e32 vcc, s[26:27], v[16:17]
	s_orn2_b64 s[42:43], vcc, exec
.LBB1663_206:
	s_or_b64 exec, exec, s[38:39]
.LBB1663_207:
	s_and_b64 s[38:39], s[42:43], exec
.LBB1663_208:
	s_or_b64 exec, exec, s[40:41]
	v_cmp_gt_u32_e32 vcc, s7, v24
	s_and_saveexec_b64 s[40:41], vcc
	s_cbranch_execz .LBB1663_219
; %bb.209:
	s_andn2_b64 vcc, exec, s[14:15]
	s_mov_b64 s[42:43], 0
	s_cbranch_vccnz .LBB1663_218
; %bb.210:
	v_mul_lo_u32 v14, v7, s26
	v_mul_lo_u32 v15, v6, s27
	v_mad_u64_u32 v[12:13], s[0:1], v6, s26, 0
	v_add3_u32 v13, v13, v15, v14
	v_mul_lo_u32 v14, v9, s26
	v_mul_lo_u32 v15, v8, s27
	v_mad_u64_u32 v[18:19], s[0:1], v8, s26, 0
	v_add3_u32 v19, v19, v15, v14
	v_lshlrev_b64 v[14:15], 3, v[12:13]
	v_mov_b32_e32 v12, s29
	v_add_co_u32_e32 v16, vcc, s28, v14
	v_addc_co_u32_e64 v17, s[0:1], v12, v15, vcc
	v_lshlrev_b64 v[12:13], 3, v[18:19]
	v_mov_b32_e32 v14, s29
	v_add_co_u32_e64 v18, s[0:1], s28, v12
	v_addc_co_u32_e64 v19, s[2:3], v14, v13, s[0:1]
	global_load_dwordx2 v[20:21], v[16:17], off
	global_load_dwordx2 v[28:29], v[18:19], off
	s_mov_b64 s[42:43], -1
	s_waitcnt vmcnt(0)
	v_cmp_eq_u64_e64 s[2:3], v[20:21], v[28:29]
	s_and_saveexec_b64 s[36:37], s[2:3]
	s_cbranch_execz .LBB1663_217
; %bb.211:
	v_mov_b32_e32 v12, s29
	v_addc_co_u32_e64 v13, s[0:1], v13, v12, s[0:1]
	v_add_co_u32_e64 v12, s[0:1], 8, v18
	v_mov_b32_e32 v14, s29
	v_addc_co_u32_e64 v13, s[0:1], 0, v13, s[0:1]
	v_addc_co_u32_e32 v15, vcc, v15, v14, vcc
	v_add_co_u32_e32 v14, vcc, 8, v16
	s_add_u32 s0, s26, -1
	v_addc_co_u32_e32 v15, vcc, 0, v15, vcc
	s_addc_u32 s1, s27, -1
	s_mov_b64 s[2:3], 0
	s_mov_b64 s[44:45], 0
                                        ; implicit-def: $sgpr42_sgpr43
	s_branch .LBB1663_214
.LBB1663_212:                           ;   in Loop: Header=BB1663_214 Depth=1
	global_load_dwordx2 v[16:17], v[14:15], off
	global_load_dwordx2 v[18:19], v[12:13], off
	v_add_co_u32_e32 v12, vcc, 8, v12
	v_addc_co_u32_e32 v13, vcc, 0, v13, vcc
	v_add_co_u32_e32 v14, vcc, 8, v14
	v_addc_co_u32_e32 v15, vcc, 0, v15, vcc
	s_add_u32 s44, s44, 1
	s_addc_u32 s45, s45, 0
	s_andn2_b64 s[42:43], s[42:43], exec
	s_waitcnt vmcnt(0)
	v_cmp_ne_u64_e32 vcc, v[16:17], v[18:19]
	s_and_b64 s[46:47], vcc, exec
	s_or_b64 s[42:43], s[42:43], s[46:47]
.LBB1663_213:                           ;   in Loop: Header=BB1663_214 Depth=1
	s_and_b64 s[46:47], exec, s[42:43]
	s_or_b64 s[2:3], s[46:47], s[2:3]
	v_pk_mov_b32 v[16:17], s[44:45], s[44:45] op_sel:[0,1]
	s_andn2_b64 exec, exec, s[2:3]
	s_cbranch_execz .LBB1663_216
.LBB1663_214:                           ; =>This Inner Loop Header: Depth=1
	s_or_b64 s[42:43], s[42:43], exec
	s_cmp_eq_u64 s[0:1], s[44:45]
	s_cbranch_scc0 .LBB1663_212
; %bb.215:                              ;   in Loop: Header=BB1663_214 Depth=1
                                        ; implicit-def: $vgpr12_vgpr13
                                        ; implicit-def: $vgpr14_vgpr15
	s_mov_b64 s[44:45], s[26:27]
	s_branch .LBB1663_213
.LBB1663_216:
	s_or_b64 exec, exec, s[2:3]
	v_cmp_gt_i64_e32 vcc, s[26:27], v[16:17]
	s_orn2_b64 s[42:43], vcc, exec
.LBB1663_217:
	s_or_b64 exec, exec, s[36:37]
.LBB1663_218:
	s_and_b64 s[36:37], s[42:43], exec
.LBB1663_219:
	s_or_b64 exec, exec, s[40:41]
	v_cndmask_b32_e64 v13, 0, 1, s[18:19]
	v_cndmask_b32_e64 v14, 0, 1, s[36:37]
	;; [unrolled: 1-line block ×3, first 2 shown]
	v_lshlrev_b16_e32 v14, 8, v14
	v_lshlrev_b16_e32 v13, 8, v13
	v_or_b32_e32 v14, 1, v14
	v_or_b32_sdwa v12, v12, v13 dst_sel:WORD_1 dst_unused:UNUSED_PAD src0_sel:DWORD src1_sel:DWORD
	v_or_b32_sdwa v12, v14, v12 dst_sel:DWORD dst_unused:UNUSED_PAD src0_sel:WORD_0 src1_sel:DWORD
	v_cndmask_b32_e64 v13, 0, 1, s[8:9]
	v_cmp_ne_u32_e32 vcc, 0, v0
	s_waitcnt lgkmcnt(0)
	s_barrier
	s_waitcnt lgkmcnt(0)
                                        ; implicit-def: $sgpr18_sgpr19
                                        ; implicit-def: $vgpr16
	s_and_saveexec_b64 s[8:9], vcc
	s_cbranch_execz .LBB1663_232
; %bb.220:
	v_cmp_gt_u32_e32 vcc, s7, v1
	s_mov_b32 s33, 0x3020104
	s_mov_b64 s[0:1], 0
	s_and_saveexec_b64 s[18:19], vcc
	s_cbranch_execz .LBB1663_231
; %bb.221:
	s_andn2_b64 vcc, exec, s[14:15]
	s_mov_b64 s[36:37], 0
	s_cbranch_vccnz .LBB1663_230
; %bb.222:
	v_add_u32_e32 v14, -8, v26
	ds_read_b64 v[14:15], v14
	v_mul_lo_u32 v16, v7, s26
	v_mad_u64_u32 v[20:21], s[0:1], v6, s26, 0
	s_mov_b64 s[36:37], -1
	s_waitcnt lgkmcnt(0)
	v_mul_lo_u32 v17, v15, s26
	v_mul_lo_u32 v18, v14, s27
	v_mad_u64_u32 v[14:15], s[0:1], v14, s26, 0
	v_add3_u32 v15, v15, v18, v17
	v_mul_lo_u32 v17, v6, s27
	v_add3_u32 v21, v21, v17, v16
	v_lshlrev_b64 v[16:17], 3, v[14:15]
	v_mov_b32_e32 v14, s29
	v_add_co_u32_e32 v18, vcc, s28, v16
	v_addc_co_u32_e64 v19, s[0:1], v14, v17, vcc
	v_lshlrev_b64 v[14:15], 3, v[20:21]
	v_mov_b32_e32 v16, s29
	v_add_co_u32_e64 v20, s[0:1], s28, v14
	v_addc_co_u32_e64 v21, s[2:3], v16, v15, s[0:1]
	global_load_dwordx2 v[26:27], v[18:19], off
	global_load_dwordx2 v[28:29], v[20:21], off
	s_waitcnt vmcnt(0)
	v_cmp_eq_u64_e64 s[2:3], v[26:27], v[28:29]
	s_and_saveexec_b64 s[14:15], s[2:3]
	s_cbranch_execz .LBB1663_229
; %bb.223:
	v_mov_b32_e32 v14, s29
	v_addc_co_u32_e64 v15, s[0:1], v15, v14, s[0:1]
	v_add_co_u32_e64 v14, s[0:1], 8, v20
	v_mov_b32_e32 v16, s29
	v_addc_co_u32_e64 v15, s[0:1], 0, v15, s[0:1]
	v_addc_co_u32_e32 v17, vcc, v17, v16, vcc
	v_add_co_u32_e32 v16, vcc, 8, v18
	s_add_u32 s0, s26, -1
	v_addc_co_u32_e32 v17, vcc, 0, v17, vcc
	s_addc_u32 s1, s27, -1
	s_mov_b64 s[2:3], 0
	s_mov_b64 s[36:37], 0
                                        ; implicit-def: $sgpr28_sgpr29
	s_branch .LBB1663_226
.LBB1663_224:                           ;   in Loop: Header=BB1663_226 Depth=1
	global_load_dwordx2 v[18:19], v[16:17], off
	global_load_dwordx2 v[20:21], v[14:15], off
	v_add_co_u32_e32 v14, vcc, 8, v14
	v_addc_co_u32_e32 v15, vcc, 0, v15, vcc
	v_add_co_u32_e32 v16, vcc, 8, v16
	v_addc_co_u32_e32 v17, vcc, 0, v17, vcc
	s_add_u32 s36, s36, 1
	s_addc_u32 s37, s37, 0
	s_andn2_b64 s[28:29], s[28:29], exec
	s_waitcnt vmcnt(0)
	v_cmp_ne_u64_e32 vcc, v[18:19], v[20:21]
	s_and_b64 s[38:39], vcc, exec
	s_or_b64 s[28:29], s[28:29], s[38:39]
.LBB1663_225:                           ;   in Loop: Header=BB1663_226 Depth=1
	s_and_b64 s[38:39], exec, s[28:29]
	s_or_b64 s[2:3], s[38:39], s[2:3]
	v_pk_mov_b32 v[18:19], s[36:37], s[36:37] op_sel:[0,1]
	s_andn2_b64 exec, exec, s[2:3]
	s_cbranch_execz .LBB1663_228
.LBB1663_226:                           ; =>This Inner Loop Header: Depth=1
	s_or_b64 s[28:29], s[28:29], exec
	s_cmp_eq_u64 s[0:1], s[36:37]
	s_cbranch_scc0 .LBB1663_224
; %bb.227:                              ;   in Loop: Header=BB1663_226 Depth=1
                                        ; implicit-def: $vgpr14_vgpr15
                                        ; implicit-def: $vgpr16_vgpr17
	s_mov_b64 s[36:37], s[26:27]
	s_branch .LBB1663_225
.LBB1663_228:
	s_or_b64 exec, exec, s[2:3]
	v_cmp_gt_i64_e32 vcc, s[26:27], v[18:19]
	s_orn2_b64 s[36:37], vcc, exec
.LBB1663_229:
	s_or_b64 exec, exec, s[14:15]
.LBB1663_230:
	s_and_b64 s[0:1], s[36:37], exec
.LBB1663_231:
	s_or_b64 exec, exec, s[18:19]
	v_perm_b32 v16, v12, v12, s33
	s_and_b64 s[18:19], s[0:1], exec
	s_or_b64 s[12:13], s[12:13], exec
.LBB1663_232:
	s_or_b64 exec, exec, s[8:9]
.LBB1663_233:
	s_and_saveexec_b64 s[0:1], s[12:13]
	s_cbranch_execz .LBB1663_235
; %bb.234:
	v_lshrrev_b32_e32 v14, 24, v16
	s_movk_i32 s2, 0xff
	v_lshlrev_b16_e32 v14, 8, v14
	v_and_b32_sdwa v15, v16, s2 dst_sel:DWORD dst_unused:UNUSED_PAD src0_sel:WORD_1 src1_sel:DWORD
	v_or_b32_sdwa v14, v15, v14 dst_sel:WORD_1 dst_unused:UNUSED_PAD src0_sel:DWORD src1_sel:DWORD
	v_mov_b32_e32 v15, 8
	v_cndmask_b32_e64 v12, 0, 1, s[18:19]
	v_lshrrev_b32_sdwa v15, v15, v16 dst_sel:BYTE_1 dst_unused:UNUSED_PAD src0_sel:DWORD src1_sel:DWORD
	v_or_b32_e32 v12, v12, v15
	s_mov_b32 s2, 0xffff
	v_or_b32_sdwa v12, v12, v14 dst_sel:DWORD dst_unused:UNUSED_PAD src0_sel:WORD_0 src1_sel:DWORD
	v_and_b32_sdwa v13, s2, v13 dst_sel:DWORD dst_unused:UNUSED_PAD src0_sel:DWORD src1_sel:BYTE_0
.LBB1663_235:
	s_or_b64 exec, exec, s[0:1]
	s_andn2_b64 vcc, exec, s[10:11]
	s_cbranch_vccnz .LBB1663_237
; %bb.236:
	v_cmp_gt_u32_e32 vcc, s7, v1
	v_cndmask_b32_e32 v1, 0, v12, vcc
	v_and_b32_e32 v1, 0xffff00ff, v1
	v_cmp_gt_u32_e64 s[0:1], s7, v24
	v_cndmask_b32_e64 v1, v1, v12, s[0:1]
	v_lshrrev_b32_e32 v14, 24, v1
	s_mov_b32 s2, 0x40c0100
	v_perm_b32 v1, v14, v1, s2
	v_cmp_gt_u32_e64 s[2:3], s7, v22
	v_cmp_gt_u32_e64 s[8:9], s7, v25
	v_cndmask_b32_e64 v1, v1, v12, s[2:3]
	s_or_b64 s[2:3], s[8:9], s[2:3]
	s_or_b64 s[0:1], s[2:3], s[0:1]
	s_or_b64 vcc, s[0:1], vcc
	v_and_b32_e32 v1, 0xffffff, v1
	v_cndmask_b32_e32 v14, 0, v13, vcc
	v_cndmask_b32_e64 v1, v1, v12, s[8:9]
	v_and_b32_e32 v14, 0xffffff00, v14
	v_cmp_gt_u32_e32 vcc, s7, v23
	v_cndmask_b32_e32 v1, v1, v12, vcc
	v_cndmask_b32_e32 v12, v14, v13, vcc
	s_mov_b32 s0, 0x3020104
	v_and_b32_e32 v13, 0xff, v12
	v_perm_b32 v12, v1, v1, s0
.LBB1663_237:
	v_and_b32_e32 v1, 0xff, v12
	v_bfe_u32 v25, v12, 8, 8
	v_bfe_u32 v27, v12, 16, 8
	v_alignbit_b32 v14, v13, v12, 24
	v_and_b32_e32 v28, 0xff, v14
	v_and_b32_e32 v14, 0xff, v13
	v_add3_u32 v15, v25, v1, v27
	v_add3_u32 v31, v15, v28, v14
	v_mbcnt_lo_u32_b32 v14, -1, 0
	v_mbcnt_hi_u32_b32 v29, -1, v14
	v_and_b32_e32 v14, 15, v29
	v_cmp_eq_u32_e64 s[14:15], 0, v14
	v_cmp_lt_u32_e64 s[12:13], 1, v14
	v_cmp_lt_u32_e64 s[10:11], 3, v14
	;; [unrolled: 1-line block ×3, first 2 shown]
	v_and_b32_e32 v14, 16, v29
	v_cmp_eq_u32_e64 s[18:19], 0, v14
	v_or_b32_e32 v14, 63, v0
	v_cmp_lt_u32_e64 s[0:1], 31, v29
	v_lshrrev_b32_e32 v30, 6, v0
	v_cmp_eq_u32_e64 s[2:3], v14, v0
	s_and_b64 vcc, exec, s[16:17]
	s_waitcnt lgkmcnt(0)
	s_barrier
	s_cbranch_vccz .LBB1663_264
; %bb.238:
	v_mov_b32_dpp v14, v31 row_shr:1 row_mask:0xf bank_mask:0xf
	v_cndmask_b32_e64 v14, v14, 0, s[14:15]
	v_add_u32_e32 v14, v14, v31
	s_nop 1
	v_mov_b32_dpp v15, v14 row_shr:2 row_mask:0xf bank_mask:0xf
	v_cndmask_b32_e64 v15, 0, v15, s[12:13]
	v_add_u32_e32 v14, v14, v15
	s_nop 1
	;; [unrolled: 4-line block ×4, first 2 shown]
	v_mov_b32_dpp v15, v14 row_bcast:15 row_mask:0xf bank_mask:0xf
	v_cndmask_b32_e64 v15, v15, 0, s[18:19]
	v_add_u32_e32 v14, v14, v15
	s_nop 1
	v_mov_b32_dpp v15, v14 row_bcast:31 row_mask:0xf bank_mask:0xf
	v_cndmask_b32_e64 v15, 0, v15, s[0:1]
	v_add_u32_e32 v14, v14, v15
	s_and_saveexec_b64 s[16:17], s[2:3]
	s_cbranch_execz .LBB1663_240
; %bb.239:
	v_lshlrev_b32_e32 v15, 2, v30
	ds_write_b32 v15, v14
.LBB1663_240:
	s_or_b64 exec, exec, s[16:17]
	v_cmp_gt_u32_e32 vcc, 4, v0
	s_waitcnt lgkmcnt(0)
	s_barrier
	s_and_saveexec_b64 s[16:17], vcc
	s_cbranch_execz .LBB1663_242
; %bb.241:
	v_lshlrev_b32_e32 v15, 2, v0
	ds_read_b32 v16, v15
	v_and_b32_e32 v17, 3, v29
	v_cmp_ne_u32_e32 vcc, 0, v17
	s_waitcnt lgkmcnt(0)
	v_mov_b32_dpp v18, v16 row_shr:1 row_mask:0xf bank_mask:0xf
	v_cndmask_b32_e32 v18, 0, v18, vcc
	v_add_u32_e32 v16, v18, v16
	v_cmp_lt_u32_e32 vcc, 1, v17
	s_nop 0
	v_mov_b32_dpp v18, v16 row_shr:2 row_mask:0xf bank_mask:0xf
	v_cndmask_b32_e32 v17, 0, v18, vcc
	v_add_u32_e32 v16, v16, v17
	ds_write_b32 v15, v16
.LBB1663_242:
	s_or_b64 exec, exec, s[16:17]
	v_cmp_gt_u32_e32 vcc, 64, v0
	v_cmp_lt_u32_e64 s[16:17], 63, v0
	s_waitcnt lgkmcnt(0)
	s_barrier
	s_waitcnt lgkmcnt(0)
                                        ; implicit-def: $vgpr24
	s_and_saveexec_b64 s[26:27], s[16:17]
	s_cbranch_execz .LBB1663_244
; %bb.243:
	v_lshl_add_u32 v15, v30, 2, -4
	ds_read_b32 v24, v15
	s_waitcnt lgkmcnt(0)
	v_add_u32_e32 v14, v24, v14
.LBB1663_244:
	s_or_b64 exec, exec, s[26:27]
	v_add_u32_e32 v15, -1, v29
	v_and_b32_e32 v16, 64, v29
	v_cmp_lt_i32_e64 s[16:17], v15, v16
	v_cndmask_b32_e64 v15, v15, v29, s[16:17]
	v_lshlrev_b32_e32 v15, 2, v15
	ds_bpermute_b32 v26, v15, v14
	v_cmp_eq_u32_e64 s[16:17], 0, v29
	s_and_saveexec_b64 s[26:27], vcc
	s_cbranch_execz .LBB1663_263
; %bb.245:
	v_mov_b32_e32 v21, 0
	ds_read_b32 v14, v21 offset:12
	s_and_saveexec_b64 s[28:29], s[16:17]
	s_cbranch_execz .LBB1663_247
; %bb.246:
	s_add_i32 s36, s6, 64
	s_mov_b32 s37, 0
	s_lshl_b64 s[36:37], s[36:37], 3
	s_add_u32 s36, s30, s36
	v_mov_b32_e32 v15, 1
	s_addc_u32 s37, s31, s37
	s_waitcnt lgkmcnt(0)
	global_store_dwordx2 v21, v[14:15], s[36:37]
.LBB1663_247:
	s_or_b64 exec, exec, s[28:29]
	v_xad_u32 v16, v29, -1, s6
	v_add_u32_e32 v20, 64, v16
	v_lshlrev_b64 v[18:19], 3, v[20:21]
	v_mov_b32_e32 v15, s31
	v_add_co_u32_e32 v22, vcc, s30, v18
	v_addc_co_u32_e32 v23, vcc, v15, v19, vcc
	global_load_dwordx2 v[18:19], v[22:23], off glc
	s_waitcnt vmcnt(0)
	v_cmp_eq_u16_sdwa s[36:37], v19, v21 src0_sel:BYTE_0 src1_sel:DWORD
	s_and_saveexec_b64 s[28:29], s[36:37]
	s_cbranch_execz .LBB1663_251
; %bb.248:
	s_mov_b64 s[36:37], 0
	v_mov_b32_e32 v15, 0
.LBB1663_249:                           ; =>This Inner Loop Header: Depth=1
	global_load_dwordx2 v[18:19], v[22:23], off glc
	s_waitcnt vmcnt(0)
	v_cmp_ne_u16_sdwa s[38:39], v19, v15 src0_sel:BYTE_0 src1_sel:DWORD
	s_or_b64 s[36:37], s[38:39], s[36:37]
	s_andn2_b64 exec, exec, s[36:37]
	s_cbranch_execnz .LBB1663_249
; %bb.250:
	s_or_b64 exec, exec, s[36:37]
.LBB1663_251:
	s_or_b64 exec, exec, s[28:29]
	v_and_b32_e32 v32, 63, v29
	v_mov_b32_e32 v15, 2
	v_cmp_ne_u32_e32 vcc, 63, v32
	v_cmp_eq_u16_sdwa s[28:29], v19, v15 src0_sel:BYTE_0 src1_sel:DWORD
	v_lshlrev_b64 v[20:21], v29, -1
	v_addc_co_u32_e32 v23, vcc, 0, v29, vcc
	v_and_b32_e32 v17, s29, v21
	v_lshlrev_b32_e32 v33, 2, v23
	v_or_b32_e32 v17, 0x80000000, v17
	ds_bpermute_b32 v23, v33, v18
	v_and_b32_e32 v22, s28, v20
	v_ffbl_b32_e32 v17, v17
	v_add_u32_e32 v17, 32, v17
	v_ffbl_b32_e32 v22, v22
	v_min_u32_e32 v17, v22, v17
	v_cmp_lt_u32_e32 vcc, v32, v17
	s_waitcnt lgkmcnt(0)
	v_cndmask_b32_e32 v22, 0, v23, vcc
	v_cmp_gt_u32_e32 vcc, 62, v32
	v_add_u32_e32 v18, v22, v18
	v_cndmask_b32_e64 v22, 0, 1, vcc
	v_lshlrev_b32_e32 v22, 1, v22
	v_add_lshl_u32 v34, v22, v29, 2
	ds_bpermute_b32 v22, v34, v18
	v_add_u32_e32 v35, 2, v32
	v_cmp_le_u32_e32 vcc, v35, v17
	v_add_u32_e32 v37, 4, v32
	v_add_u32_e32 v39, 8, v32
	s_waitcnt lgkmcnt(0)
	v_cndmask_b32_e32 v22, 0, v22, vcc
	v_cmp_gt_u32_e32 vcc, 60, v32
	v_add_u32_e32 v18, v18, v22
	v_cndmask_b32_e64 v22, 0, 1, vcc
	v_lshlrev_b32_e32 v22, 2, v22
	v_add_lshl_u32 v36, v22, v29, 2
	ds_bpermute_b32 v22, v36, v18
	v_cmp_le_u32_e32 vcc, v37, v17
	v_add_u32_e32 v42, 16, v32
	v_add_u32_e32 v44, 32, v32
	s_waitcnt lgkmcnt(0)
	v_cndmask_b32_e32 v22, 0, v22, vcc
	v_cmp_gt_u32_e32 vcc, 56, v32
	v_add_u32_e32 v18, v18, v22
	v_cndmask_b32_e64 v22, 0, 1, vcc
	v_lshlrev_b32_e32 v22, 3, v22
	v_add_lshl_u32 v38, v22, v29, 2
	ds_bpermute_b32 v22, v38, v18
	v_cmp_le_u32_e32 vcc, v39, v17
	s_waitcnt lgkmcnt(0)
	v_cndmask_b32_e32 v22, 0, v22, vcc
	v_cmp_gt_u32_e32 vcc, 48, v32
	v_add_u32_e32 v18, v18, v22
	v_cndmask_b32_e64 v22, 0, 1, vcc
	v_lshlrev_b32_e32 v22, 4, v22
	v_add_lshl_u32 v41, v22, v29, 2
	ds_bpermute_b32 v22, v41, v18
	v_cmp_le_u32_e32 vcc, v42, v17
	;; [unrolled: 9-line block ×3, first 2 shown]
	s_waitcnt lgkmcnt(0)
	v_cndmask_b32_e32 v17, 0, v22, vcc
	v_add_u32_e32 v18, v18, v17
	v_mov_b32_e32 v17, 0
	s_branch .LBB1663_253
.LBB1663_252:                           ;   in Loop: Header=BB1663_253 Depth=1
	s_or_b64 exec, exec, s[28:29]
	v_cmp_eq_u16_sdwa s[28:29], v19, v15 src0_sel:BYTE_0 src1_sel:DWORD
	v_and_b32_e32 v22, s29, v21
	v_or_b32_e32 v22, 0x80000000, v22
	ds_bpermute_b32 v45, v33, v18
	v_and_b32_e32 v23, s28, v20
	v_ffbl_b32_e32 v22, v22
	v_add_u32_e32 v22, 32, v22
	v_ffbl_b32_e32 v23, v23
	v_min_u32_e32 v22, v23, v22
	v_cmp_lt_u32_e32 vcc, v32, v22
	s_waitcnt lgkmcnt(0)
	v_cndmask_b32_e32 v23, 0, v45, vcc
	v_add_u32_e32 v18, v23, v18
	ds_bpermute_b32 v23, v34, v18
	v_cmp_le_u32_e32 vcc, v35, v22
	v_subrev_u32_e32 v16, 64, v16
	s_waitcnt lgkmcnt(0)
	v_cndmask_b32_e32 v23, 0, v23, vcc
	v_add_u32_e32 v18, v18, v23
	ds_bpermute_b32 v23, v36, v18
	v_cmp_le_u32_e32 vcc, v37, v22
	s_waitcnt lgkmcnt(0)
	v_cndmask_b32_e32 v23, 0, v23, vcc
	v_add_u32_e32 v18, v18, v23
	ds_bpermute_b32 v23, v38, v18
	v_cmp_le_u32_e32 vcc, v39, v22
	;; [unrolled: 5-line block ×4, first 2 shown]
	s_waitcnt lgkmcnt(0)
	v_cndmask_b32_e32 v22, 0, v23, vcc
	v_add3_u32 v18, v22, v40, v18
.LBB1663_253:                           ; =>This Loop Header: Depth=1
                                        ;     Child Loop BB1663_256 Depth 2
	v_cmp_ne_u16_sdwa s[28:29], v19, v15 src0_sel:BYTE_0 src1_sel:DWORD
	v_cndmask_b32_e64 v19, 0, 1, s[28:29]
	;;#ASMSTART
	;;#ASMEND
	v_cmp_ne_u32_e32 vcc, 0, v19
	s_cmp_lg_u64 vcc, exec
	v_mov_b32_e32 v40, v18
	s_cbranch_scc1 .LBB1663_258
; %bb.254:                              ;   in Loop: Header=BB1663_253 Depth=1
	v_lshlrev_b64 v[18:19], 3, v[16:17]
	v_mov_b32_e32 v23, s31
	v_add_co_u32_e32 v22, vcc, s30, v18
	v_addc_co_u32_e32 v23, vcc, v23, v19, vcc
	global_load_dwordx2 v[18:19], v[22:23], off glc
	s_waitcnt vmcnt(0)
	v_cmp_eq_u16_sdwa s[36:37], v19, v17 src0_sel:BYTE_0 src1_sel:DWORD
	s_and_saveexec_b64 s[28:29], s[36:37]
	s_cbranch_execz .LBB1663_252
; %bb.255:                              ;   in Loop: Header=BB1663_253 Depth=1
	s_mov_b64 s[36:37], 0
.LBB1663_256:                           ;   Parent Loop BB1663_253 Depth=1
                                        ; =>  This Inner Loop Header: Depth=2
	global_load_dwordx2 v[18:19], v[22:23], off glc
	s_waitcnt vmcnt(0)
	v_cmp_ne_u16_sdwa s[38:39], v19, v17 src0_sel:BYTE_0 src1_sel:DWORD
	s_or_b64 s[36:37], s[38:39], s[36:37]
	s_andn2_b64 exec, exec, s[36:37]
	s_cbranch_execnz .LBB1663_256
; %bb.257:                              ;   in Loop: Header=BB1663_253 Depth=1
	s_or_b64 exec, exec, s[36:37]
	s_branch .LBB1663_252
.LBB1663_258:                           ;   in Loop: Header=BB1663_253 Depth=1
                                        ; implicit-def: $vgpr18
                                        ; implicit-def: $vgpr19
	s_cbranch_execz .LBB1663_253
; %bb.259:
	s_and_saveexec_b64 s[28:29], s[16:17]
	s_cbranch_execz .LBB1663_261
; %bb.260:
	s_add_i32 s6, s6, 64
	s_mov_b32 s7, 0
	s_lshl_b64 s[6:7], s[6:7], 3
	s_add_u32 s6, s30, s6
	v_add_u32_e32 v16, v40, v14
	v_mov_b32_e32 v17, 2
	s_addc_u32 s7, s31, s7
	v_mov_b32_e32 v15, 0
	global_store_dwordx2 v15, v[16:17], s[6:7]
	s_movk_i32 s6, 0x2800
	v_add_u32_e64 v15, s6, 0
	ds_write2_b32 v15, v14, v40 offset1:2
.LBB1663_261:
	s_or_b64 exec, exec, s[28:29]
	v_cmp_eq_u32_e32 vcc, 0, v0
	s_and_b64 exec, exec, vcc
	s_cbranch_execz .LBB1663_263
; %bb.262:
	v_mov_b32_e32 v14, 0
	ds_write_b32 v14, v40 offset:12
.LBB1663_263:
	s_or_b64 exec, exec, s[26:27]
	v_mov_b32_e32 v14, 0
	s_waitcnt lgkmcnt(0)
	s_barrier
	ds_read_b32 v14, v14 offset:12
	v_cndmask_b32_e64 v15, v26, v24, s[16:17]
	v_cmp_ne_u32_e32 vcc, 0, v0
	v_cndmask_b32_e32 v15, 0, v15, vcc
	s_movk_i32 s6, 0x2800
	s_waitcnt lgkmcnt(0)
	v_add_u32_e32 v26, v14, v15
	v_add_u32_e64 v14, s6, 0
	s_barrier
	ds_read2_b32 v[14:15], v14 offset1:2
	v_add_u32_e32 v24, v26, v1
	v_add_u32_e32 v22, v24, v25
	;; [unrolled: 1-line block ×4, first 2 shown]
	s_load_dwordx2 s[4:5], s[4:5], 0x28
	v_lshrrev_b64 v[16:17], 24, v[12:13]
	s_branch .LBB1663_274
.LBB1663_264:
                                        ; implicit-def: $vgpr18
                                        ; implicit-def: $vgpr20
                                        ; implicit-def: $vgpr22
                                        ; implicit-def: $vgpr24
                                        ; implicit-def: $vgpr26
                                        ; implicit-def: $vgpr15
	s_load_dwordx2 s[4:5], s[4:5], 0x28
	v_lshrrev_b64 v[16:17], 24, v[12:13]
	s_cbranch_execz .LBB1663_274
; %bb.265:
	s_waitcnt lgkmcnt(0)
	v_mov_b32_dpp v14, v31 row_shr:1 row_mask:0xf bank_mask:0xf
	v_cndmask_b32_e64 v14, v14, 0, s[14:15]
	v_add_u32_e32 v14, v14, v31
	s_nop 1
	v_mov_b32_dpp v15, v14 row_shr:2 row_mask:0xf bank_mask:0xf
	v_cndmask_b32_e64 v15, 0, v15, s[12:13]
	v_add_u32_e32 v14, v14, v15
	s_nop 1
	;; [unrolled: 4-line block ×4, first 2 shown]
	v_mov_b32_dpp v15, v14 row_bcast:15 row_mask:0xf bank_mask:0xf
	v_cndmask_b32_e64 v15, v15, 0, s[18:19]
	v_add_u32_e32 v14, v14, v15
	s_nop 1
	v_mov_b32_dpp v15, v14 row_bcast:31 row_mask:0xf bank_mask:0xf
	v_cndmask_b32_e64 v15, 0, v15, s[0:1]
	v_add_u32_e32 v14, v14, v15
	s_and_saveexec_b64 s[0:1], s[2:3]
	s_cbranch_execz .LBB1663_267
; %bb.266:
	v_lshlrev_b32_e32 v15, 2, v30
	ds_write_b32 v15, v14
.LBB1663_267:
	s_or_b64 exec, exec, s[0:1]
	v_cmp_gt_u32_e32 vcc, 4, v0
	s_waitcnt lgkmcnt(0)
	s_barrier
	s_and_saveexec_b64 s[0:1], vcc
	s_cbranch_execz .LBB1663_269
; %bb.268:
	v_lshlrev_b32_e32 v15, 2, v0
	ds_read_b32 v17, v15
	v_and_b32_e32 v18, 3, v29
	v_cmp_ne_u32_e32 vcc, 0, v18
	s_waitcnt lgkmcnt(0)
	v_mov_b32_dpp v19, v17 row_shr:1 row_mask:0xf bank_mask:0xf
	v_cndmask_b32_e32 v19, 0, v19, vcc
	v_add_u32_e32 v17, v19, v17
	v_cmp_lt_u32_e32 vcc, 1, v18
	s_nop 0
	v_mov_b32_dpp v19, v17 row_shr:2 row_mask:0xf bank_mask:0xf
	v_cndmask_b32_e32 v18, 0, v19, vcc
	v_add_u32_e32 v17, v17, v18
	ds_write_b32 v15, v17
.LBB1663_269:
	s_or_b64 exec, exec, s[0:1]
	v_cmp_lt_u32_e32 vcc, 63, v0
	v_mov_b32_e32 v15, 0
	v_mov_b32_e32 v17, 0
	s_waitcnt lgkmcnt(0)
	s_barrier
	s_and_saveexec_b64 s[0:1], vcc
	s_cbranch_execz .LBB1663_271
; %bb.270:
	v_lshl_add_u32 v17, v30, 2, -4
	ds_read_b32 v17, v17
.LBB1663_271:
	s_or_b64 exec, exec, s[0:1]
	v_add_u32_e32 v18, -1, v29
	v_and_b32_e32 v19, 64, v29
	v_cmp_lt_i32_e32 vcc, v18, v19
	v_cndmask_b32_e32 v18, v18, v29, vcc
	s_waitcnt lgkmcnt(0)
	v_add_u32_e32 v14, v17, v14
	v_lshlrev_b32_e32 v18, 2, v18
	ds_bpermute_b32 v18, v18, v14
	ds_read_b32 v14, v15 offset:12
	v_cmp_eq_u32_e32 vcc, 0, v0
	s_and_saveexec_b64 s[0:1], vcc
	s_cbranch_execz .LBB1663_273
; %bb.272:
	v_mov_b32_e32 v19, 0
	v_mov_b32_e32 v15, 2
	s_waitcnt lgkmcnt(0)
	global_store_dwordx2 v19, v[14:15], s[30:31] offset:512
.LBB1663_273:
	s_or_b64 exec, exec, s[0:1]
	v_cmp_eq_u32_e64 s[0:1], 0, v29
	s_waitcnt lgkmcnt(1)
	v_cndmask_b32_e64 v17, v18, v17, s[0:1]
	v_cndmask_b32_e64 v26, v17, 0, vcc
	v_add_u32_e32 v24, v26, v1
	v_add_u32_e32 v22, v24, v25
	v_add_u32_e32 v20, v22, v27
	v_mov_b32_e32 v15, 0
	v_add_u32_e32 v18, v20, v28
	s_waitcnt lgkmcnt(0)
	s_barrier
.LBB1663_274:
	s_movk_i32 s0, 0x101
	s_waitcnt lgkmcnt(0)
	v_cmp_gt_u32_e32 vcc, s0, v14
	v_lshrrev_b32_e32 v1, 8, v12
	s_mov_b64 s[0:1], -1
	s_cbranch_vccnz .LBB1663_278
; %bb.275:
	s_and_b64 vcc, exec, s[0:1]
	s_cbranch_vccnz .LBB1663_294
.LBB1663_276:
	v_cmp_eq_u32_e32 vcc, 0, v0
	s_and_b64 s[0:1], vcc, s[24:25]
	s_and_saveexec_b64 s[2:3], s[0:1]
	s_cbranch_execnz .LBB1663_308
.LBB1663_277:
	s_endpgm
.LBB1663_278:
	v_add_u32_e32 v17, v15, v14
	v_cmp_lt_u32_e32 vcc, v26, v17
	s_or_b64 s[2:3], s[34:35], vcc
	s_and_saveexec_b64 s[0:1], s[2:3]
	s_cbranch_execz .LBB1663_281
; %bb.279:
	v_and_b32_e32 v19, 1, v12
	v_cmp_eq_u32_e32 vcc, 1, v19
	s_and_b64 exec, exec, vcc
	s_cbranch_execz .LBB1663_281
; %bb.280:
	s_lshl_b64 s[2:3], s[22:23], 3
	s_add_u32 s2, s4, s2
	v_mov_b32_e32 v27, 0
	s_addc_u32 s3, s5, s3
	v_lshlrev_b64 v[28:29], 3, v[26:27]
	v_mov_b32_e32 v19, s3
	v_add_co_u32_e32 v28, vcc, s2, v28
	v_addc_co_u32_e32 v29, vcc, v19, v29, vcc
	global_store_dwordx2 v[28:29], v[6:7], off
.LBB1663_281:
	s_or_b64 exec, exec, s[0:1]
	v_cmp_lt_u32_e32 vcc, v24, v17
	s_or_b64 s[2:3], s[34:35], vcc
	s_and_saveexec_b64 s[0:1], s[2:3]
	s_cbranch_execz .LBB1663_284
; %bb.282:
	v_and_b32_e32 v19, 1, v1
	v_cmp_eq_u32_e32 vcc, 1, v19
	s_and_b64 exec, exec, vcc
	s_cbranch_execz .LBB1663_284
; %bb.283:
	s_lshl_b64 s[2:3], s[22:23], 3
	s_add_u32 s2, s4, s2
	v_mov_b32_e32 v25, 0
	s_addc_u32 s3, s5, s3
	v_lshlrev_b64 v[28:29], 3, v[24:25]
	v_mov_b32_e32 v19, s3
	v_add_co_u32_e32 v28, vcc, s2, v28
	v_addc_co_u32_e32 v29, vcc, v19, v29, vcc
	global_store_dwordx2 v[28:29], v[8:9], off
.LBB1663_284:
	s_or_b64 exec, exec, s[0:1]
	v_cmp_lt_u32_e32 vcc, v22, v17
	s_or_b64 s[2:3], s[34:35], vcc
	s_and_saveexec_b64 s[0:1], s[2:3]
	s_cbranch_execz .LBB1663_287
; %bb.285:
	v_mov_b32_e32 v19, 1
	v_and_b32_sdwa v19, v19, v12 dst_sel:DWORD dst_unused:UNUSED_PAD src0_sel:DWORD src1_sel:WORD_1
	v_cmp_eq_u32_e32 vcc, 1, v19
	s_and_b64 exec, exec, vcc
	s_cbranch_execz .LBB1663_287
; %bb.286:
	s_lshl_b64 s[2:3], s[22:23], 3
	s_add_u32 s2, s4, s2
	v_mov_b32_e32 v23, 0
	s_addc_u32 s3, s5, s3
	v_lshlrev_b64 v[28:29], 3, v[22:23]
	v_mov_b32_e32 v19, s3
	v_add_co_u32_e32 v28, vcc, s2, v28
	v_addc_co_u32_e32 v29, vcc, v19, v29, vcc
	global_store_dwordx2 v[28:29], v[2:3], off
.LBB1663_287:
	s_or_b64 exec, exec, s[0:1]
	v_cmp_lt_u32_e32 vcc, v20, v17
	s_or_b64 s[2:3], s[34:35], vcc
	s_and_saveexec_b64 s[0:1], s[2:3]
	s_cbranch_execz .LBB1663_290
; %bb.288:
	v_and_b32_e32 v19, 1, v16
	v_cmp_eq_u32_e32 vcc, 1, v19
	s_and_b64 exec, exec, vcc
	s_cbranch_execz .LBB1663_290
; %bb.289:
	s_lshl_b64 s[2:3], s[22:23], 3
	s_add_u32 s2, s4, s2
	v_mov_b32_e32 v21, 0
	s_addc_u32 s3, s5, s3
	v_lshlrev_b64 v[28:29], 3, v[20:21]
	v_mov_b32_e32 v19, s3
	v_add_co_u32_e32 v28, vcc, s2, v28
	v_addc_co_u32_e32 v29, vcc, v19, v29, vcc
	global_store_dwordx2 v[28:29], v[4:5], off
.LBB1663_290:
	s_or_b64 exec, exec, s[0:1]
	v_cmp_lt_u32_e32 vcc, v18, v17
	s_or_b64 s[2:3], s[34:35], vcc
	s_and_saveexec_b64 s[0:1], s[2:3]
	s_cbranch_execz .LBB1663_293
; %bb.291:
	v_and_b32_e32 v17, 1, v13
	v_cmp_eq_u32_e32 vcc, 1, v17
	s_and_b64 exec, exec, vcc
	s_cbranch_execz .LBB1663_293
; %bb.292:
	s_lshl_b64 s[2:3], s[22:23], 3
	s_add_u32 s2, s4, s2
	v_mov_b32_e32 v19, 0
	s_addc_u32 s3, s5, s3
	v_lshlrev_b64 v[28:29], 3, v[18:19]
	v_mov_b32_e32 v17, s3
	v_add_co_u32_e32 v28, vcc, s2, v28
	v_addc_co_u32_e32 v29, vcc, v17, v29, vcc
	global_store_dwordx2 v[28:29], v[10:11], off
.LBB1663_293:
	s_or_b64 exec, exec, s[0:1]
	s_branch .LBB1663_276
.LBB1663_294:
	v_and_b32_e32 v17, 1, v12
	v_cmp_eq_u32_e32 vcc, 1, v17
	s_and_saveexec_b64 s[0:1], vcc
	s_cbranch_execz .LBB1663_296
; %bb.295:
	v_sub_u32_e32 v17, v26, v15
	v_lshlrev_b32_e32 v17, 3, v17
	ds_write_b64 v17, v[6:7]
.LBB1663_296:
	s_or_b64 exec, exec, s[0:1]
	v_and_b32_e32 v1, 1, v1
	v_cmp_eq_u32_e32 vcc, 1, v1
	s_and_saveexec_b64 s[0:1], vcc
	s_cbranch_execz .LBB1663_298
; %bb.297:
	v_sub_u32_e32 v1, v24, v15
	v_lshlrev_b32_e32 v1, 3, v1
	ds_write_b64 v1, v[8:9]
.LBB1663_298:
	s_or_b64 exec, exec, s[0:1]
	v_mov_b32_e32 v1, 1
	v_and_b32_sdwa v1, v1, v12 dst_sel:DWORD dst_unused:UNUSED_PAD src0_sel:DWORD src1_sel:WORD_1
	v_cmp_eq_u32_e32 vcc, 1, v1
	s_and_saveexec_b64 s[0:1], vcc
	s_cbranch_execz .LBB1663_300
; %bb.299:
	v_sub_u32_e32 v1, v22, v15
	v_lshlrev_b32_e32 v1, 3, v1
	ds_write_b64 v1, v[2:3]
.LBB1663_300:
	s_or_b64 exec, exec, s[0:1]
	v_and_b32_e32 v1, 1, v16
	v_cmp_eq_u32_e32 vcc, 1, v1
	s_and_saveexec_b64 s[0:1], vcc
	s_cbranch_execz .LBB1663_302
; %bb.301:
	v_sub_u32_e32 v1, v20, v15
	v_lshlrev_b32_e32 v1, 3, v1
	ds_write_b64 v1, v[4:5]
.LBB1663_302:
	s_or_b64 exec, exec, s[0:1]
	v_and_b32_e32 v1, 1, v13
	v_cmp_eq_u32_e32 vcc, 1, v1
	s_and_saveexec_b64 s[0:1], vcc
	s_cbranch_execz .LBB1663_304
; %bb.303:
	v_sub_u32_e32 v1, v18, v15
	v_lshlrev_b32_e32 v1, 3, v1
	ds_write_b64 v1, v[10:11]
.LBB1663_304:
	s_or_b64 exec, exec, s[0:1]
	v_cmp_lt_u32_e32 vcc, v0, v14
	s_waitcnt lgkmcnt(0)
	s_barrier
	s_and_saveexec_b64 s[0:1], vcc
	s_cbranch_execz .LBB1663_307
; %bb.305:
	v_mov_b32_e32 v3, 0
	v_mov_b32_e32 v2, v15
	v_lshlrev_b64 v[4:5], 3, v[2:3]
	v_mov_b32_e32 v1, s5
	v_add_co_u32_e32 v2, vcc, s4, v4
	v_addc_co_u32_e32 v4, vcc, v1, v5, vcc
	s_lshl_b64 s[2:3], s[22:23], 3
	v_mov_b32_e32 v5, s3
	v_add_co_u32_e32 v1, vcc, s2, v2
	v_addc_co_u32_e32 v4, vcc, v4, v5, vcc
	v_lshlrev_b32_e32 v5, 3, v0
	s_mov_b64 s[2:3], 0
	v_mov_b32_e32 v2, v0
.LBB1663_306:                           ; =>This Inner Loop Header: Depth=1
	ds_read_b64 v[6:7], v5
	v_lshlrev_b64 v[8:9], 3, v[2:3]
	v_add_co_u32_e32 v8, vcc, v1, v8
	v_add_u32_e32 v2, 0x100, v2
	v_addc_co_u32_e32 v9, vcc, v4, v9, vcc
	v_cmp_ge_u32_e32 vcc, v2, v14
	v_add_u32_e32 v5, 0x800, v5
	s_or_b64 s[2:3], vcc, s[2:3]
	s_waitcnt lgkmcnt(0)
	global_store_dwordx2 v[8:9], v[6:7], off
	s_andn2_b64 exec, exec, s[2:3]
	s_cbranch_execnz .LBB1663_306
.LBB1663_307:
	s_or_b64 exec, exec, s[0:1]
	v_cmp_eq_u32_e32 vcc, 0, v0
	s_and_b64 s[0:1], vcc, s[24:25]
	s_and_saveexec_b64 s[2:3], s[0:1]
	s_cbranch_execz .LBB1663_277
.LBB1663_308:
	v_mov_b32_e32 v0, s23
	v_add_co_u32_e32 v1, vcc, s22, v14
	v_addc_co_u32_e32 v3, vcc, 0, v0, vcc
	v_add_co_u32_e32 v0, vcc, v1, v15
	v_mov_b32_e32 v2, 0
	v_addc_co_u32_e32 v1, vcc, 0, v3, vcc
	global_store_dwordx2 v2, v[0:1], s[20:21]
	s_endpgm
	.section	.rodata,"a",@progbits
	.p2align	6, 0x0
	.amdhsa_kernel _ZN7rocprim17ROCPRIM_400000_NS6detail17trampoline_kernelINS0_14default_configENS1_25partition_config_selectorILNS1_17partition_subalgoE8ElNS0_10empty_typeEbEEZZNS1_14partition_implILS5_8ELb0ES3_jPlPS6_PKS6_NS0_5tupleIJS9_S6_EEENSD_IJSA_SA_EEENS0_18inequality_wrapperIZN2at6native12_GLOBAL__N_124unique_dim_cuda_templateImEESt5tupleIJNSH_6TensorESM_SM_EERKSM_lbbbEUlllE0_EEPmJS6_EEE10hipError_tPvRmT3_T4_T5_T6_T7_T9_mT8_P12ihipStream_tbDpT10_ENKUlT_T0_E_clISt17integral_constantIbLb0EES1C_EEDaS17_S18_EUlS17_E_NS1_11comp_targetILNS1_3genE4ELNS1_11target_archE910ELNS1_3gpuE8ELNS1_3repE0EEENS1_30default_config_static_selectorELNS0_4arch9wavefront6targetE1EEEvT1_
		.amdhsa_group_segment_fixed_size 10252
		.amdhsa_private_segment_fixed_size 0
		.amdhsa_kernarg_size 120
		.amdhsa_user_sgpr_count 6
		.amdhsa_user_sgpr_private_segment_buffer 1
		.amdhsa_user_sgpr_dispatch_ptr 0
		.amdhsa_user_sgpr_queue_ptr 0
		.amdhsa_user_sgpr_kernarg_segment_ptr 1
		.amdhsa_user_sgpr_dispatch_id 0
		.amdhsa_user_sgpr_flat_scratch_init 0
		.amdhsa_user_sgpr_kernarg_preload_length 0
		.amdhsa_user_sgpr_kernarg_preload_offset 0
		.amdhsa_user_sgpr_private_segment_size 0
		.amdhsa_uses_dynamic_stack 0
		.amdhsa_system_sgpr_private_segment_wavefront_offset 0
		.amdhsa_system_sgpr_workgroup_id_x 1
		.amdhsa_system_sgpr_workgroup_id_y 0
		.amdhsa_system_sgpr_workgroup_id_z 0
		.amdhsa_system_sgpr_workgroup_info 0
		.amdhsa_system_vgpr_workitem_id 0
		.amdhsa_next_free_vgpr 46
		.amdhsa_next_free_sgpr 48
		.amdhsa_accum_offset 48
		.amdhsa_reserve_vcc 1
		.amdhsa_reserve_flat_scratch 0
		.amdhsa_float_round_mode_32 0
		.amdhsa_float_round_mode_16_64 0
		.amdhsa_float_denorm_mode_32 3
		.amdhsa_float_denorm_mode_16_64 3
		.amdhsa_dx10_clamp 1
		.amdhsa_ieee_mode 1
		.amdhsa_fp16_overflow 0
		.amdhsa_tg_split 0
		.amdhsa_exception_fp_ieee_invalid_op 0
		.amdhsa_exception_fp_denorm_src 0
		.amdhsa_exception_fp_ieee_div_zero 0
		.amdhsa_exception_fp_ieee_overflow 0
		.amdhsa_exception_fp_ieee_underflow 0
		.amdhsa_exception_fp_ieee_inexact 0
		.amdhsa_exception_int_div_zero 0
	.end_amdhsa_kernel
	.section	.text._ZN7rocprim17ROCPRIM_400000_NS6detail17trampoline_kernelINS0_14default_configENS1_25partition_config_selectorILNS1_17partition_subalgoE8ElNS0_10empty_typeEbEEZZNS1_14partition_implILS5_8ELb0ES3_jPlPS6_PKS6_NS0_5tupleIJS9_S6_EEENSD_IJSA_SA_EEENS0_18inequality_wrapperIZN2at6native12_GLOBAL__N_124unique_dim_cuda_templateImEESt5tupleIJNSH_6TensorESM_SM_EERKSM_lbbbEUlllE0_EEPmJS6_EEE10hipError_tPvRmT3_T4_T5_T6_T7_T9_mT8_P12ihipStream_tbDpT10_ENKUlT_T0_E_clISt17integral_constantIbLb0EES1C_EEDaS17_S18_EUlS17_E_NS1_11comp_targetILNS1_3genE4ELNS1_11target_archE910ELNS1_3gpuE8ELNS1_3repE0EEENS1_30default_config_static_selectorELNS0_4arch9wavefront6targetE1EEEvT1_,"axG",@progbits,_ZN7rocprim17ROCPRIM_400000_NS6detail17trampoline_kernelINS0_14default_configENS1_25partition_config_selectorILNS1_17partition_subalgoE8ElNS0_10empty_typeEbEEZZNS1_14partition_implILS5_8ELb0ES3_jPlPS6_PKS6_NS0_5tupleIJS9_S6_EEENSD_IJSA_SA_EEENS0_18inequality_wrapperIZN2at6native12_GLOBAL__N_124unique_dim_cuda_templateImEESt5tupleIJNSH_6TensorESM_SM_EERKSM_lbbbEUlllE0_EEPmJS6_EEE10hipError_tPvRmT3_T4_T5_T6_T7_T9_mT8_P12ihipStream_tbDpT10_ENKUlT_T0_E_clISt17integral_constantIbLb0EES1C_EEDaS17_S18_EUlS17_E_NS1_11comp_targetILNS1_3genE4ELNS1_11target_archE910ELNS1_3gpuE8ELNS1_3repE0EEENS1_30default_config_static_selectorELNS0_4arch9wavefront6targetE1EEEvT1_,comdat
.Lfunc_end1663:
	.size	_ZN7rocprim17ROCPRIM_400000_NS6detail17trampoline_kernelINS0_14default_configENS1_25partition_config_selectorILNS1_17partition_subalgoE8ElNS0_10empty_typeEbEEZZNS1_14partition_implILS5_8ELb0ES3_jPlPS6_PKS6_NS0_5tupleIJS9_S6_EEENSD_IJSA_SA_EEENS0_18inequality_wrapperIZN2at6native12_GLOBAL__N_124unique_dim_cuda_templateImEESt5tupleIJNSH_6TensorESM_SM_EERKSM_lbbbEUlllE0_EEPmJS6_EEE10hipError_tPvRmT3_T4_T5_T6_T7_T9_mT8_P12ihipStream_tbDpT10_ENKUlT_T0_E_clISt17integral_constantIbLb0EES1C_EEDaS17_S18_EUlS17_E_NS1_11comp_targetILNS1_3genE4ELNS1_11target_archE910ELNS1_3gpuE8ELNS1_3repE0EEENS1_30default_config_static_selectorELNS0_4arch9wavefront6targetE1EEEvT1_, .Lfunc_end1663-_ZN7rocprim17ROCPRIM_400000_NS6detail17trampoline_kernelINS0_14default_configENS1_25partition_config_selectorILNS1_17partition_subalgoE8ElNS0_10empty_typeEbEEZZNS1_14partition_implILS5_8ELb0ES3_jPlPS6_PKS6_NS0_5tupleIJS9_S6_EEENSD_IJSA_SA_EEENS0_18inequality_wrapperIZN2at6native12_GLOBAL__N_124unique_dim_cuda_templateImEESt5tupleIJNSH_6TensorESM_SM_EERKSM_lbbbEUlllE0_EEPmJS6_EEE10hipError_tPvRmT3_T4_T5_T6_T7_T9_mT8_P12ihipStream_tbDpT10_ENKUlT_T0_E_clISt17integral_constantIbLb0EES1C_EEDaS17_S18_EUlS17_E_NS1_11comp_targetILNS1_3genE4ELNS1_11target_archE910ELNS1_3gpuE8ELNS1_3repE0EEENS1_30default_config_static_selectorELNS0_4arch9wavefront6targetE1EEEvT1_
                                        ; -- End function
	.section	.AMDGPU.csdata,"",@progbits
; Kernel info:
; codeLenInByte = 11376
; NumSgprs: 52
; NumVgprs: 46
; NumAgprs: 0
; TotalNumVgprs: 46
; ScratchSize: 0
; MemoryBound: 1
; FloatMode: 240
; IeeeMode: 1
; LDSByteSize: 10252 bytes/workgroup (compile time only)
; SGPRBlocks: 6
; VGPRBlocks: 5
; NumSGPRsForWavesPerEU: 52
; NumVGPRsForWavesPerEU: 46
; AccumOffset: 48
; Occupancy: 6
; WaveLimiterHint : 1
; COMPUTE_PGM_RSRC2:SCRATCH_EN: 0
; COMPUTE_PGM_RSRC2:USER_SGPR: 6
; COMPUTE_PGM_RSRC2:TRAP_HANDLER: 0
; COMPUTE_PGM_RSRC2:TGID_X_EN: 1
; COMPUTE_PGM_RSRC2:TGID_Y_EN: 0
; COMPUTE_PGM_RSRC2:TGID_Z_EN: 0
; COMPUTE_PGM_RSRC2:TIDIG_COMP_CNT: 0
; COMPUTE_PGM_RSRC3_GFX90A:ACCUM_OFFSET: 11
; COMPUTE_PGM_RSRC3_GFX90A:TG_SPLIT: 0
	.section	.text._ZN7rocprim17ROCPRIM_400000_NS6detail17trampoline_kernelINS0_14default_configENS1_25partition_config_selectorILNS1_17partition_subalgoE8ElNS0_10empty_typeEbEEZZNS1_14partition_implILS5_8ELb0ES3_jPlPS6_PKS6_NS0_5tupleIJS9_S6_EEENSD_IJSA_SA_EEENS0_18inequality_wrapperIZN2at6native12_GLOBAL__N_124unique_dim_cuda_templateImEESt5tupleIJNSH_6TensorESM_SM_EERKSM_lbbbEUlllE0_EEPmJS6_EEE10hipError_tPvRmT3_T4_T5_T6_T7_T9_mT8_P12ihipStream_tbDpT10_ENKUlT_T0_E_clISt17integral_constantIbLb0EES1C_EEDaS17_S18_EUlS17_E_NS1_11comp_targetILNS1_3genE3ELNS1_11target_archE908ELNS1_3gpuE7ELNS1_3repE0EEENS1_30default_config_static_selectorELNS0_4arch9wavefront6targetE1EEEvT1_,"axG",@progbits,_ZN7rocprim17ROCPRIM_400000_NS6detail17trampoline_kernelINS0_14default_configENS1_25partition_config_selectorILNS1_17partition_subalgoE8ElNS0_10empty_typeEbEEZZNS1_14partition_implILS5_8ELb0ES3_jPlPS6_PKS6_NS0_5tupleIJS9_S6_EEENSD_IJSA_SA_EEENS0_18inequality_wrapperIZN2at6native12_GLOBAL__N_124unique_dim_cuda_templateImEESt5tupleIJNSH_6TensorESM_SM_EERKSM_lbbbEUlllE0_EEPmJS6_EEE10hipError_tPvRmT3_T4_T5_T6_T7_T9_mT8_P12ihipStream_tbDpT10_ENKUlT_T0_E_clISt17integral_constantIbLb0EES1C_EEDaS17_S18_EUlS17_E_NS1_11comp_targetILNS1_3genE3ELNS1_11target_archE908ELNS1_3gpuE7ELNS1_3repE0EEENS1_30default_config_static_selectorELNS0_4arch9wavefront6targetE1EEEvT1_,comdat
	.globl	_ZN7rocprim17ROCPRIM_400000_NS6detail17trampoline_kernelINS0_14default_configENS1_25partition_config_selectorILNS1_17partition_subalgoE8ElNS0_10empty_typeEbEEZZNS1_14partition_implILS5_8ELb0ES3_jPlPS6_PKS6_NS0_5tupleIJS9_S6_EEENSD_IJSA_SA_EEENS0_18inequality_wrapperIZN2at6native12_GLOBAL__N_124unique_dim_cuda_templateImEESt5tupleIJNSH_6TensorESM_SM_EERKSM_lbbbEUlllE0_EEPmJS6_EEE10hipError_tPvRmT3_T4_T5_T6_T7_T9_mT8_P12ihipStream_tbDpT10_ENKUlT_T0_E_clISt17integral_constantIbLb0EES1C_EEDaS17_S18_EUlS17_E_NS1_11comp_targetILNS1_3genE3ELNS1_11target_archE908ELNS1_3gpuE7ELNS1_3repE0EEENS1_30default_config_static_selectorELNS0_4arch9wavefront6targetE1EEEvT1_ ; -- Begin function _ZN7rocprim17ROCPRIM_400000_NS6detail17trampoline_kernelINS0_14default_configENS1_25partition_config_selectorILNS1_17partition_subalgoE8ElNS0_10empty_typeEbEEZZNS1_14partition_implILS5_8ELb0ES3_jPlPS6_PKS6_NS0_5tupleIJS9_S6_EEENSD_IJSA_SA_EEENS0_18inequality_wrapperIZN2at6native12_GLOBAL__N_124unique_dim_cuda_templateImEESt5tupleIJNSH_6TensorESM_SM_EERKSM_lbbbEUlllE0_EEPmJS6_EEE10hipError_tPvRmT3_T4_T5_T6_T7_T9_mT8_P12ihipStream_tbDpT10_ENKUlT_T0_E_clISt17integral_constantIbLb0EES1C_EEDaS17_S18_EUlS17_E_NS1_11comp_targetILNS1_3genE3ELNS1_11target_archE908ELNS1_3gpuE7ELNS1_3repE0EEENS1_30default_config_static_selectorELNS0_4arch9wavefront6targetE1EEEvT1_
	.p2align	8
	.type	_ZN7rocprim17ROCPRIM_400000_NS6detail17trampoline_kernelINS0_14default_configENS1_25partition_config_selectorILNS1_17partition_subalgoE8ElNS0_10empty_typeEbEEZZNS1_14partition_implILS5_8ELb0ES3_jPlPS6_PKS6_NS0_5tupleIJS9_S6_EEENSD_IJSA_SA_EEENS0_18inequality_wrapperIZN2at6native12_GLOBAL__N_124unique_dim_cuda_templateImEESt5tupleIJNSH_6TensorESM_SM_EERKSM_lbbbEUlllE0_EEPmJS6_EEE10hipError_tPvRmT3_T4_T5_T6_T7_T9_mT8_P12ihipStream_tbDpT10_ENKUlT_T0_E_clISt17integral_constantIbLb0EES1C_EEDaS17_S18_EUlS17_E_NS1_11comp_targetILNS1_3genE3ELNS1_11target_archE908ELNS1_3gpuE7ELNS1_3repE0EEENS1_30default_config_static_selectorELNS0_4arch9wavefront6targetE1EEEvT1_,@function
_ZN7rocprim17ROCPRIM_400000_NS6detail17trampoline_kernelINS0_14default_configENS1_25partition_config_selectorILNS1_17partition_subalgoE8ElNS0_10empty_typeEbEEZZNS1_14partition_implILS5_8ELb0ES3_jPlPS6_PKS6_NS0_5tupleIJS9_S6_EEENSD_IJSA_SA_EEENS0_18inequality_wrapperIZN2at6native12_GLOBAL__N_124unique_dim_cuda_templateImEESt5tupleIJNSH_6TensorESM_SM_EERKSM_lbbbEUlllE0_EEPmJS6_EEE10hipError_tPvRmT3_T4_T5_T6_T7_T9_mT8_P12ihipStream_tbDpT10_ENKUlT_T0_E_clISt17integral_constantIbLb0EES1C_EEDaS17_S18_EUlS17_E_NS1_11comp_targetILNS1_3genE3ELNS1_11target_archE908ELNS1_3gpuE7ELNS1_3repE0EEENS1_30default_config_static_selectorELNS0_4arch9wavefront6targetE1EEEvT1_: ; @_ZN7rocprim17ROCPRIM_400000_NS6detail17trampoline_kernelINS0_14default_configENS1_25partition_config_selectorILNS1_17partition_subalgoE8ElNS0_10empty_typeEbEEZZNS1_14partition_implILS5_8ELb0ES3_jPlPS6_PKS6_NS0_5tupleIJS9_S6_EEENSD_IJSA_SA_EEENS0_18inequality_wrapperIZN2at6native12_GLOBAL__N_124unique_dim_cuda_templateImEESt5tupleIJNSH_6TensorESM_SM_EERKSM_lbbbEUlllE0_EEPmJS6_EEE10hipError_tPvRmT3_T4_T5_T6_T7_T9_mT8_P12ihipStream_tbDpT10_ENKUlT_T0_E_clISt17integral_constantIbLb0EES1C_EEDaS17_S18_EUlS17_E_NS1_11comp_targetILNS1_3genE3ELNS1_11target_archE908ELNS1_3gpuE7ELNS1_3repE0EEENS1_30default_config_static_selectorELNS0_4arch9wavefront6targetE1EEEvT1_
; %bb.0:
	.section	.rodata,"a",@progbits
	.p2align	6, 0x0
	.amdhsa_kernel _ZN7rocprim17ROCPRIM_400000_NS6detail17trampoline_kernelINS0_14default_configENS1_25partition_config_selectorILNS1_17partition_subalgoE8ElNS0_10empty_typeEbEEZZNS1_14partition_implILS5_8ELb0ES3_jPlPS6_PKS6_NS0_5tupleIJS9_S6_EEENSD_IJSA_SA_EEENS0_18inequality_wrapperIZN2at6native12_GLOBAL__N_124unique_dim_cuda_templateImEESt5tupleIJNSH_6TensorESM_SM_EERKSM_lbbbEUlllE0_EEPmJS6_EEE10hipError_tPvRmT3_T4_T5_T6_T7_T9_mT8_P12ihipStream_tbDpT10_ENKUlT_T0_E_clISt17integral_constantIbLb0EES1C_EEDaS17_S18_EUlS17_E_NS1_11comp_targetILNS1_3genE3ELNS1_11target_archE908ELNS1_3gpuE7ELNS1_3repE0EEENS1_30default_config_static_selectorELNS0_4arch9wavefront6targetE1EEEvT1_
		.amdhsa_group_segment_fixed_size 0
		.amdhsa_private_segment_fixed_size 0
		.amdhsa_kernarg_size 120
		.amdhsa_user_sgpr_count 6
		.amdhsa_user_sgpr_private_segment_buffer 1
		.amdhsa_user_sgpr_dispatch_ptr 0
		.amdhsa_user_sgpr_queue_ptr 0
		.amdhsa_user_sgpr_kernarg_segment_ptr 1
		.amdhsa_user_sgpr_dispatch_id 0
		.amdhsa_user_sgpr_flat_scratch_init 0
		.amdhsa_user_sgpr_kernarg_preload_length 0
		.amdhsa_user_sgpr_kernarg_preload_offset 0
		.amdhsa_user_sgpr_private_segment_size 0
		.amdhsa_uses_dynamic_stack 0
		.amdhsa_system_sgpr_private_segment_wavefront_offset 0
		.amdhsa_system_sgpr_workgroup_id_x 1
		.amdhsa_system_sgpr_workgroup_id_y 0
		.amdhsa_system_sgpr_workgroup_id_z 0
		.amdhsa_system_sgpr_workgroup_info 0
		.amdhsa_system_vgpr_workitem_id 0
		.amdhsa_next_free_vgpr 1
		.amdhsa_next_free_sgpr 0
		.amdhsa_accum_offset 4
		.amdhsa_reserve_vcc 0
		.amdhsa_reserve_flat_scratch 0
		.amdhsa_float_round_mode_32 0
		.amdhsa_float_round_mode_16_64 0
		.amdhsa_float_denorm_mode_32 3
		.amdhsa_float_denorm_mode_16_64 3
		.amdhsa_dx10_clamp 1
		.amdhsa_ieee_mode 1
		.amdhsa_fp16_overflow 0
		.amdhsa_tg_split 0
		.amdhsa_exception_fp_ieee_invalid_op 0
		.amdhsa_exception_fp_denorm_src 0
		.amdhsa_exception_fp_ieee_div_zero 0
		.amdhsa_exception_fp_ieee_overflow 0
		.amdhsa_exception_fp_ieee_underflow 0
		.amdhsa_exception_fp_ieee_inexact 0
		.amdhsa_exception_int_div_zero 0
	.end_amdhsa_kernel
	.section	.text._ZN7rocprim17ROCPRIM_400000_NS6detail17trampoline_kernelINS0_14default_configENS1_25partition_config_selectorILNS1_17partition_subalgoE8ElNS0_10empty_typeEbEEZZNS1_14partition_implILS5_8ELb0ES3_jPlPS6_PKS6_NS0_5tupleIJS9_S6_EEENSD_IJSA_SA_EEENS0_18inequality_wrapperIZN2at6native12_GLOBAL__N_124unique_dim_cuda_templateImEESt5tupleIJNSH_6TensorESM_SM_EERKSM_lbbbEUlllE0_EEPmJS6_EEE10hipError_tPvRmT3_T4_T5_T6_T7_T9_mT8_P12ihipStream_tbDpT10_ENKUlT_T0_E_clISt17integral_constantIbLb0EES1C_EEDaS17_S18_EUlS17_E_NS1_11comp_targetILNS1_3genE3ELNS1_11target_archE908ELNS1_3gpuE7ELNS1_3repE0EEENS1_30default_config_static_selectorELNS0_4arch9wavefront6targetE1EEEvT1_,"axG",@progbits,_ZN7rocprim17ROCPRIM_400000_NS6detail17trampoline_kernelINS0_14default_configENS1_25partition_config_selectorILNS1_17partition_subalgoE8ElNS0_10empty_typeEbEEZZNS1_14partition_implILS5_8ELb0ES3_jPlPS6_PKS6_NS0_5tupleIJS9_S6_EEENSD_IJSA_SA_EEENS0_18inequality_wrapperIZN2at6native12_GLOBAL__N_124unique_dim_cuda_templateImEESt5tupleIJNSH_6TensorESM_SM_EERKSM_lbbbEUlllE0_EEPmJS6_EEE10hipError_tPvRmT3_T4_T5_T6_T7_T9_mT8_P12ihipStream_tbDpT10_ENKUlT_T0_E_clISt17integral_constantIbLb0EES1C_EEDaS17_S18_EUlS17_E_NS1_11comp_targetILNS1_3genE3ELNS1_11target_archE908ELNS1_3gpuE7ELNS1_3repE0EEENS1_30default_config_static_selectorELNS0_4arch9wavefront6targetE1EEEvT1_,comdat
.Lfunc_end1664:
	.size	_ZN7rocprim17ROCPRIM_400000_NS6detail17trampoline_kernelINS0_14default_configENS1_25partition_config_selectorILNS1_17partition_subalgoE8ElNS0_10empty_typeEbEEZZNS1_14partition_implILS5_8ELb0ES3_jPlPS6_PKS6_NS0_5tupleIJS9_S6_EEENSD_IJSA_SA_EEENS0_18inequality_wrapperIZN2at6native12_GLOBAL__N_124unique_dim_cuda_templateImEESt5tupleIJNSH_6TensorESM_SM_EERKSM_lbbbEUlllE0_EEPmJS6_EEE10hipError_tPvRmT3_T4_T5_T6_T7_T9_mT8_P12ihipStream_tbDpT10_ENKUlT_T0_E_clISt17integral_constantIbLb0EES1C_EEDaS17_S18_EUlS17_E_NS1_11comp_targetILNS1_3genE3ELNS1_11target_archE908ELNS1_3gpuE7ELNS1_3repE0EEENS1_30default_config_static_selectorELNS0_4arch9wavefront6targetE1EEEvT1_, .Lfunc_end1664-_ZN7rocprim17ROCPRIM_400000_NS6detail17trampoline_kernelINS0_14default_configENS1_25partition_config_selectorILNS1_17partition_subalgoE8ElNS0_10empty_typeEbEEZZNS1_14partition_implILS5_8ELb0ES3_jPlPS6_PKS6_NS0_5tupleIJS9_S6_EEENSD_IJSA_SA_EEENS0_18inequality_wrapperIZN2at6native12_GLOBAL__N_124unique_dim_cuda_templateImEESt5tupleIJNSH_6TensorESM_SM_EERKSM_lbbbEUlllE0_EEPmJS6_EEE10hipError_tPvRmT3_T4_T5_T6_T7_T9_mT8_P12ihipStream_tbDpT10_ENKUlT_T0_E_clISt17integral_constantIbLb0EES1C_EEDaS17_S18_EUlS17_E_NS1_11comp_targetILNS1_3genE3ELNS1_11target_archE908ELNS1_3gpuE7ELNS1_3repE0EEENS1_30default_config_static_selectorELNS0_4arch9wavefront6targetE1EEEvT1_
                                        ; -- End function
	.section	.AMDGPU.csdata,"",@progbits
; Kernel info:
; codeLenInByte = 0
; NumSgprs: 4
; NumVgprs: 0
; NumAgprs: 0
; TotalNumVgprs: 0
; ScratchSize: 0
; MemoryBound: 0
; FloatMode: 240
; IeeeMode: 1
; LDSByteSize: 0 bytes/workgroup (compile time only)
; SGPRBlocks: 0
; VGPRBlocks: 0
; NumSGPRsForWavesPerEU: 4
; NumVGPRsForWavesPerEU: 1
; AccumOffset: 4
; Occupancy: 8
; WaveLimiterHint : 0
; COMPUTE_PGM_RSRC2:SCRATCH_EN: 0
; COMPUTE_PGM_RSRC2:USER_SGPR: 6
; COMPUTE_PGM_RSRC2:TRAP_HANDLER: 0
; COMPUTE_PGM_RSRC2:TGID_X_EN: 1
; COMPUTE_PGM_RSRC2:TGID_Y_EN: 0
; COMPUTE_PGM_RSRC2:TGID_Z_EN: 0
; COMPUTE_PGM_RSRC2:TIDIG_COMP_CNT: 0
; COMPUTE_PGM_RSRC3_GFX90A:ACCUM_OFFSET: 0
; COMPUTE_PGM_RSRC3_GFX90A:TG_SPLIT: 0
	.section	.text._ZN7rocprim17ROCPRIM_400000_NS6detail17trampoline_kernelINS0_14default_configENS1_25partition_config_selectorILNS1_17partition_subalgoE8ElNS0_10empty_typeEbEEZZNS1_14partition_implILS5_8ELb0ES3_jPlPS6_PKS6_NS0_5tupleIJS9_S6_EEENSD_IJSA_SA_EEENS0_18inequality_wrapperIZN2at6native12_GLOBAL__N_124unique_dim_cuda_templateImEESt5tupleIJNSH_6TensorESM_SM_EERKSM_lbbbEUlllE0_EEPmJS6_EEE10hipError_tPvRmT3_T4_T5_T6_T7_T9_mT8_P12ihipStream_tbDpT10_ENKUlT_T0_E_clISt17integral_constantIbLb0EES1C_EEDaS17_S18_EUlS17_E_NS1_11comp_targetILNS1_3genE2ELNS1_11target_archE906ELNS1_3gpuE6ELNS1_3repE0EEENS1_30default_config_static_selectorELNS0_4arch9wavefront6targetE1EEEvT1_,"axG",@progbits,_ZN7rocprim17ROCPRIM_400000_NS6detail17trampoline_kernelINS0_14default_configENS1_25partition_config_selectorILNS1_17partition_subalgoE8ElNS0_10empty_typeEbEEZZNS1_14partition_implILS5_8ELb0ES3_jPlPS6_PKS6_NS0_5tupleIJS9_S6_EEENSD_IJSA_SA_EEENS0_18inequality_wrapperIZN2at6native12_GLOBAL__N_124unique_dim_cuda_templateImEESt5tupleIJNSH_6TensorESM_SM_EERKSM_lbbbEUlllE0_EEPmJS6_EEE10hipError_tPvRmT3_T4_T5_T6_T7_T9_mT8_P12ihipStream_tbDpT10_ENKUlT_T0_E_clISt17integral_constantIbLb0EES1C_EEDaS17_S18_EUlS17_E_NS1_11comp_targetILNS1_3genE2ELNS1_11target_archE906ELNS1_3gpuE6ELNS1_3repE0EEENS1_30default_config_static_selectorELNS0_4arch9wavefront6targetE1EEEvT1_,comdat
	.globl	_ZN7rocprim17ROCPRIM_400000_NS6detail17trampoline_kernelINS0_14default_configENS1_25partition_config_selectorILNS1_17partition_subalgoE8ElNS0_10empty_typeEbEEZZNS1_14partition_implILS5_8ELb0ES3_jPlPS6_PKS6_NS0_5tupleIJS9_S6_EEENSD_IJSA_SA_EEENS0_18inequality_wrapperIZN2at6native12_GLOBAL__N_124unique_dim_cuda_templateImEESt5tupleIJNSH_6TensorESM_SM_EERKSM_lbbbEUlllE0_EEPmJS6_EEE10hipError_tPvRmT3_T4_T5_T6_T7_T9_mT8_P12ihipStream_tbDpT10_ENKUlT_T0_E_clISt17integral_constantIbLb0EES1C_EEDaS17_S18_EUlS17_E_NS1_11comp_targetILNS1_3genE2ELNS1_11target_archE906ELNS1_3gpuE6ELNS1_3repE0EEENS1_30default_config_static_selectorELNS0_4arch9wavefront6targetE1EEEvT1_ ; -- Begin function _ZN7rocprim17ROCPRIM_400000_NS6detail17trampoline_kernelINS0_14default_configENS1_25partition_config_selectorILNS1_17partition_subalgoE8ElNS0_10empty_typeEbEEZZNS1_14partition_implILS5_8ELb0ES3_jPlPS6_PKS6_NS0_5tupleIJS9_S6_EEENSD_IJSA_SA_EEENS0_18inequality_wrapperIZN2at6native12_GLOBAL__N_124unique_dim_cuda_templateImEESt5tupleIJNSH_6TensorESM_SM_EERKSM_lbbbEUlllE0_EEPmJS6_EEE10hipError_tPvRmT3_T4_T5_T6_T7_T9_mT8_P12ihipStream_tbDpT10_ENKUlT_T0_E_clISt17integral_constantIbLb0EES1C_EEDaS17_S18_EUlS17_E_NS1_11comp_targetILNS1_3genE2ELNS1_11target_archE906ELNS1_3gpuE6ELNS1_3repE0EEENS1_30default_config_static_selectorELNS0_4arch9wavefront6targetE1EEEvT1_
	.p2align	8
	.type	_ZN7rocprim17ROCPRIM_400000_NS6detail17trampoline_kernelINS0_14default_configENS1_25partition_config_selectorILNS1_17partition_subalgoE8ElNS0_10empty_typeEbEEZZNS1_14partition_implILS5_8ELb0ES3_jPlPS6_PKS6_NS0_5tupleIJS9_S6_EEENSD_IJSA_SA_EEENS0_18inequality_wrapperIZN2at6native12_GLOBAL__N_124unique_dim_cuda_templateImEESt5tupleIJNSH_6TensorESM_SM_EERKSM_lbbbEUlllE0_EEPmJS6_EEE10hipError_tPvRmT3_T4_T5_T6_T7_T9_mT8_P12ihipStream_tbDpT10_ENKUlT_T0_E_clISt17integral_constantIbLb0EES1C_EEDaS17_S18_EUlS17_E_NS1_11comp_targetILNS1_3genE2ELNS1_11target_archE906ELNS1_3gpuE6ELNS1_3repE0EEENS1_30default_config_static_selectorELNS0_4arch9wavefront6targetE1EEEvT1_,@function
_ZN7rocprim17ROCPRIM_400000_NS6detail17trampoline_kernelINS0_14default_configENS1_25partition_config_selectorILNS1_17partition_subalgoE8ElNS0_10empty_typeEbEEZZNS1_14partition_implILS5_8ELb0ES3_jPlPS6_PKS6_NS0_5tupleIJS9_S6_EEENSD_IJSA_SA_EEENS0_18inequality_wrapperIZN2at6native12_GLOBAL__N_124unique_dim_cuda_templateImEESt5tupleIJNSH_6TensorESM_SM_EERKSM_lbbbEUlllE0_EEPmJS6_EEE10hipError_tPvRmT3_T4_T5_T6_T7_T9_mT8_P12ihipStream_tbDpT10_ENKUlT_T0_E_clISt17integral_constantIbLb0EES1C_EEDaS17_S18_EUlS17_E_NS1_11comp_targetILNS1_3genE2ELNS1_11target_archE906ELNS1_3gpuE6ELNS1_3repE0EEENS1_30default_config_static_selectorELNS0_4arch9wavefront6targetE1EEEvT1_: ; @_ZN7rocprim17ROCPRIM_400000_NS6detail17trampoline_kernelINS0_14default_configENS1_25partition_config_selectorILNS1_17partition_subalgoE8ElNS0_10empty_typeEbEEZZNS1_14partition_implILS5_8ELb0ES3_jPlPS6_PKS6_NS0_5tupleIJS9_S6_EEENSD_IJSA_SA_EEENS0_18inequality_wrapperIZN2at6native12_GLOBAL__N_124unique_dim_cuda_templateImEESt5tupleIJNSH_6TensorESM_SM_EERKSM_lbbbEUlllE0_EEPmJS6_EEE10hipError_tPvRmT3_T4_T5_T6_T7_T9_mT8_P12ihipStream_tbDpT10_ENKUlT_T0_E_clISt17integral_constantIbLb0EES1C_EEDaS17_S18_EUlS17_E_NS1_11comp_targetILNS1_3genE2ELNS1_11target_archE906ELNS1_3gpuE6ELNS1_3repE0EEENS1_30default_config_static_selectorELNS0_4arch9wavefront6targetE1EEEvT1_
; %bb.0:
	.section	.rodata,"a",@progbits
	.p2align	6, 0x0
	.amdhsa_kernel _ZN7rocprim17ROCPRIM_400000_NS6detail17trampoline_kernelINS0_14default_configENS1_25partition_config_selectorILNS1_17partition_subalgoE8ElNS0_10empty_typeEbEEZZNS1_14partition_implILS5_8ELb0ES3_jPlPS6_PKS6_NS0_5tupleIJS9_S6_EEENSD_IJSA_SA_EEENS0_18inequality_wrapperIZN2at6native12_GLOBAL__N_124unique_dim_cuda_templateImEESt5tupleIJNSH_6TensorESM_SM_EERKSM_lbbbEUlllE0_EEPmJS6_EEE10hipError_tPvRmT3_T4_T5_T6_T7_T9_mT8_P12ihipStream_tbDpT10_ENKUlT_T0_E_clISt17integral_constantIbLb0EES1C_EEDaS17_S18_EUlS17_E_NS1_11comp_targetILNS1_3genE2ELNS1_11target_archE906ELNS1_3gpuE6ELNS1_3repE0EEENS1_30default_config_static_selectorELNS0_4arch9wavefront6targetE1EEEvT1_
		.amdhsa_group_segment_fixed_size 0
		.amdhsa_private_segment_fixed_size 0
		.amdhsa_kernarg_size 120
		.amdhsa_user_sgpr_count 6
		.amdhsa_user_sgpr_private_segment_buffer 1
		.amdhsa_user_sgpr_dispatch_ptr 0
		.amdhsa_user_sgpr_queue_ptr 0
		.amdhsa_user_sgpr_kernarg_segment_ptr 1
		.amdhsa_user_sgpr_dispatch_id 0
		.amdhsa_user_sgpr_flat_scratch_init 0
		.amdhsa_user_sgpr_kernarg_preload_length 0
		.amdhsa_user_sgpr_kernarg_preload_offset 0
		.amdhsa_user_sgpr_private_segment_size 0
		.amdhsa_uses_dynamic_stack 0
		.amdhsa_system_sgpr_private_segment_wavefront_offset 0
		.amdhsa_system_sgpr_workgroup_id_x 1
		.amdhsa_system_sgpr_workgroup_id_y 0
		.amdhsa_system_sgpr_workgroup_id_z 0
		.amdhsa_system_sgpr_workgroup_info 0
		.amdhsa_system_vgpr_workitem_id 0
		.amdhsa_next_free_vgpr 1
		.amdhsa_next_free_sgpr 0
		.amdhsa_accum_offset 4
		.amdhsa_reserve_vcc 0
		.amdhsa_reserve_flat_scratch 0
		.amdhsa_float_round_mode_32 0
		.amdhsa_float_round_mode_16_64 0
		.amdhsa_float_denorm_mode_32 3
		.amdhsa_float_denorm_mode_16_64 3
		.amdhsa_dx10_clamp 1
		.amdhsa_ieee_mode 1
		.amdhsa_fp16_overflow 0
		.amdhsa_tg_split 0
		.amdhsa_exception_fp_ieee_invalid_op 0
		.amdhsa_exception_fp_denorm_src 0
		.amdhsa_exception_fp_ieee_div_zero 0
		.amdhsa_exception_fp_ieee_overflow 0
		.amdhsa_exception_fp_ieee_underflow 0
		.amdhsa_exception_fp_ieee_inexact 0
		.amdhsa_exception_int_div_zero 0
	.end_amdhsa_kernel
	.section	.text._ZN7rocprim17ROCPRIM_400000_NS6detail17trampoline_kernelINS0_14default_configENS1_25partition_config_selectorILNS1_17partition_subalgoE8ElNS0_10empty_typeEbEEZZNS1_14partition_implILS5_8ELb0ES3_jPlPS6_PKS6_NS0_5tupleIJS9_S6_EEENSD_IJSA_SA_EEENS0_18inequality_wrapperIZN2at6native12_GLOBAL__N_124unique_dim_cuda_templateImEESt5tupleIJNSH_6TensorESM_SM_EERKSM_lbbbEUlllE0_EEPmJS6_EEE10hipError_tPvRmT3_T4_T5_T6_T7_T9_mT8_P12ihipStream_tbDpT10_ENKUlT_T0_E_clISt17integral_constantIbLb0EES1C_EEDaS17_S18_EUlS17_E_NS1_11comp_targetILNS1_3genE2ELNS1_11target_archE906ELNS1_3gpuE6ELNS1_3repE0EEENS1_30default_config_static_selectorELNS0_4arch9wavefront6targetE1EEEvT1_,"axG",@progbits,_ZN7rocprim17ROCPRIM_400000_NS6detail17trampoline_kernelINS0_14default_configENS1_25partition_config_selectorILNS1_17partition_subalgoE8ElNS0_10empty_typeEbEEZZNS1_14partition_implILS5_8ELb0ES3_jPlPS6_PKS6_NS0_5tupleIJS9_S6_EEENSD_IJSA_SA_EEENS0_18inequality_wrapperIZN2at6native12_GLOBAL__N_124unique_dim_cuda_templateImEESt5tupleIJNSH_6TensorESM_SM_EERKSM_lbbbEUlllE0_EEPmJS6_EEE10hipError_tPvRmT3_T4_T5_T6_T7_T9_mT8_P12ihipStream_tbDpT10_ENKUlT_T0_E_clISt17integral_constantIbLb0EES1C_EEDaS17_S18_EUlS17_E_NS1_11comp_targetILNS1_3genE2ELNS1_11target_archE906ELNS1_3gpuE6ELNS1_3repE0EEENS1_30default_config_static_selectorELNS0_4arch9wavefront6targetE1EEEvT1_,comdat
.Lfunc_end1665:
	.size	_ZN7rocprim17ROCPRIM_400000_NS6detail17trampoline_kernelINS0_14default_configENS1_25partition_config_selectorILNS1_17partition_subalgoE8ElNS0_10empty_typeEbEEZZNS1_14partition_implILS5_8ELb0ES3_jPlPS6_PKS6_NS0_5tupleIJS9_S6_EEENSD_IJSA_SA_EEENS0_18inequality_wrapperIZN2at6native12_GLOBAL__N_124unique_dim_cuda_templateImEESt5tupleIJNSH_6TensorESM_SM_EERKSM_lbbbEUlllE0_EEPmJS6_EEE10hipError_tPvRmT3_T4_T5_T6_T7_T9_mT8_P12ihipStream_tbDpT10_ENKUlT_T0_E_clISt17integral_constantIbLb0EES1C_EEDaS17_S18_EUlS17_E_NS1_11comp_targetILNS1_3genE2ELNS1_11target_archE906ELNS1_3gpuE6ELNS1_3repE0EEENS1_30default_config_static_selectorELNS0_4arch9wavefront6targetE1EEEvT1_, .Lfunc_end1665-_ZN7rocprim17ROCPRIM_400000_NS6detail17trampoline_kernelINS0_14default_configENS1_25partition_config_selectorILNS1_17partition_subalgoE8ElNS0_10empty_typeEbEEZZNS1_14partition_implILS5_8ELb0ES3_jPlPS6_PKS6_NS0_5tupleIJS9_S6_EEENSD_IJSA_SA_EEENS0_18inequality_wrapperIZN2at6native12_GLOBAL__N_124unique_dim_cuda_templateImEESt5tupleIJNSH_6TensorESM_SM_EERKSM_lbbbEUlllE0_EEPmJS6_EEE10hipError_tPvRmT3_T4_T5_T6_T7_T9_mT8_P12ihipStream_tbDpT10_ENKUlT_T0_E_clISt17integral_constantIbLb0EES1C_EEDaS17_S18_EUlS17_E_NS1_11comp_targetILNS1_3genE2ELNS1_11target_archE906ELNS1_3gpuE6ELNS1_3repE0EEENS1_30default_config_static_selectorELNS0_4arch9wavefront6targetE1EEEvT1_
                                        ; -- End function
	.section	.AMDGPU.csdata,"",@progbits
; Kernel info:
; codeLenInByte = 0
; NumSgprs: 4
; NumVgprs: 0
; NumAgprs: 0
; TotalNumVgprs: 0
; ScratchSize: 0
; MemoryBound: 0
; FloatMode: 240
; IeeeMode: 1
; LDSByteSize: 0 bytes/workgroup (compile time only)
; SGPRBlocks: 0
; VGPRBlocks: 0
; NumSGPRsForWavesPerEU: 4
; NumVGPRsForWavesPerEU: 1
; AccumOffset: 4
; Occupancy: 8
; WaveLimiterHint : 0
; COMPUTE_PGM_RSRC2:SCRATCH_EN: 0
; COMPUTE_PGM_RSRC2:USER_SGPR: 6
; COMPUTE_PGM_RSRC2:TRAP_HANDLER: 0
; COMPUTE_PGM_RSRC2:TGID_X_EN: 1
; COMPUTE_PGM_RSRC2:TGID_Y_EN: 0
; COMPUTE_PGM_RSRC2:TGID_Z_EN: 0
; COMPUTE_PGM_RSRC2:TIDIG_COMP_CNT: 0
; COMPUTE_PGM_RSRC3_GFX90A:ACCUM_OFFSET: 0
; COMPUTE_PGM_RSRC3_GFX90A:TG_SPLIT: 0
	.section	.text._ZN7rocprim17ROCPRIM_400000_NS6detail17trampoline_kernelINS0_14default_configENS1_25partition_config_selectorILNS1_17partition_subalgoE8ElNS0_10empty_typeEbEEZZNS1_14partition_implILS5_8ELb0ES3_jPlPS6_PKS6_NS0_5tupleIJS9_S6_EEENSD_IJSA_SA_EEENS0_18inequality_wrapperIZN2at6native12_GLOBAL__N_124unique_dim_cuda_templateImEESt5tupleIJNSH_6TensorESM_SM_EERKSM_lbbbEUlllE0_EEPmJS6_EEE10hipError_tPvRmT3_T4_T5_T6_T7_T9_mT8_P12ihipStream_tbDpT10_ENKUlT_T0_E_clISt17integral_constantIbLb0EES1C_EEDaS17_S18_EUlS17_E_NS1_11comp_targetILNS1_3genE10ELNS1_11target_archE1200ELNS1_3gpuE4ELNS1_3repE0EEENS1_30default_config_static_selectorELNS0_4arch9wavefront6targetE1EEEvT1_,"axG",@progbits,_ZN7rocprim17ROCPRIM_400000_NS6detail17trampoline_kernelINS0_14default_configENS1_25partition_config_selectorILNS1_17partition_subalgoE8ElNS0_10empty_typeEbEEZZNS1_14partition_implILS5_8ELb0ES3_jPlPS6_PKS6_NS0_5tupleIJS9_S6_EEENSD_IJSA_SA_EEENS0_18inequality_wrapperIZN2at6native12_GLOBAL__N_124unique_dim_cuda_templateImEESt5tupleIJNSH_6TensorESM_SM_EERKSM_lbbbEUlllE0_EEPmJS6_EEE10hipError_tPvRmT3_T4_T5_T6_T7_T9_mT8_P12ihipStream_tbDpT10_ENKUlT_T0_E_clISt17integral_constantIbLb0EES1C_EEDaS17_S18_EUlS17_E_NS1_11comp_targetILNS1_3genE10ELNS1_11target_archE1200ELNS1_3gpuE4ELNS1_3repE0EEENS1_30default_config_static_selectorELNS0_4arch9wavefront6targetE1EEEvT1_,comdat
	.globl	_ZN7rocprim17ROCPRIM_400000_NS6detail17trampoline_kernelINS0_14default_configENS1_25partition_config_selectorILNS1_17partition_subalgoE8ElNS0_10empty_typeEbEEZZNS1_14partition_implILS5_8ELb0ES3_jPlPS6_PKS6_NS0_5tupleIJS9_S6_EEENSD_IJSA_SA_EEENS0_18inequality_wrapperIZN2at6native12_GLOBAL__N_124unique_dim_cuda_templateImEESt5tupleIJNSH_6TensorESM_SM_EERKSM_lbbbEUlllE0_EEPmJS6_EEE10hipError_tPvRmT3_T4_T5_T6_T7_T9_mT8_P12ihipStream_tbDpT10_ENKUlT_T0_E_clISt17integral_constantIbLb0EES1C_EEDaS17_S18_EUlS17_E_NS1_11comp_targetILNS1_3genE10ELNS1_11target_archE1200ELNS1_3gpuE4ELNS1_3repE0EEENS1_30default_config_static_selectorELNS0_4arch9wavefront6targetE1EEEvT1_ ; -- Begin function _ZN7rocprim17ROCPRIM_400000_NS6detail17trampoline_kernelINS0_14default_configENS1_25partition_config_selectorILNS1_17partition_subalgoE8ElNS0_10empty_typeEbEEZZNS1_14partition_implILS5_8ELb0ES3_jPlPS6_PKS6_NS0_5tupleIJS9_S6_EEENSD_IJSA_SA_EEENS0_18inequality_wrapperIZN2at6native12_GLOBAL__N_124unique_dim_cuda_templateImEESt5tupleIJNSH_6TensorESM_SM_EERKSM_lbbbEUlllE0_EEPmJS6_EEE10hipError_tPvRmT3_T4_T5_T6_T7_T9_mT8_P12ihipStream_tbDpT10_ENKUlT_T0_E_clISt17integral_constantIbLb0EES1C_EEDaS17_S18_EUlS17_E_NS1_11comp_targetILNS1_3genE10ELNS1_11target_archE1200ELNS1_3gpuE4ELNS1_3repE0EEENS1_30default_config_static_selectorELNS0_4arch9wavefront6targetE1EEEvT1_
	.p2align	8
	.type	_ZN7rocprim17ROCPRIM_400000_NS6detail17trampoline_kernelINS0_14default_configENS1_25partition_config_selectorILNS1_17partition_subalgoE8ElNS0_10empty_typeEbEEZZNS1_14partition_implILS5_8ELb0ES3_jPlPS6_PKS6_NS0_5tupleIJS9_S6_EEENSD_IJSA_SA_EEENS0_18inequality_wrapperIZN2at6native12_GLOBAL__N_124unique_dim_cuda_templateImEESt5tupleIJNSH_6TensorESM_SM_EERKSM_lbbbEUlllE0_EEPmJS6_EEE10hipError_tPvRmT3_T4_T5_T6_T7_T9_mT8_P12ihipStream_tbDpT10_ENKUlT_T0_E_clISt17integral_constantIbLb0EES1C_EEDaS17_S18_EUlS17_E_NS1_11comp_targetILNS1_3genE10ELNS1_11target_archE1200ELNS1_3gpuE4ELNS1_3repE0EEENS1_30default_config_static_selectorELNS0_4arch9wavefront6targetE1EEEvT1_,@function
_ZN7rocprim17ROCPRIM_400000_NS6detail17trampoline_kernelINS0_14default_configENS1_25partition_config_selectorILNS1_17partition_subalgoE8ElNS0_10empty_typeEbEEZZNS1_14partition_implILS5_8ELb0ES3_jPlPS6_PKS6_NS0_5tupleIJS9_S6_EEENSD_IJSA_SA_EEENS0_18inequality_wrapperIZN2at6native12_GLOBAL__N_124unique_dim_cuda_templateImEESt5tupleIJNSH_6TensorESM_SM_EERKSM_lbbbEUlllE0_EEPmJS6_EEE10hipError_tPvRmT3_T4_T5_T6_T7_T9_mT8_P12ihipStream_tbDpT10_ENKUlT_T0_E_clISt17integral_constantIbLb0EES1C_EEDaS17_S18_EUlS17_E_NS1_11comp_targetILNS1_3genE10ELNS1_11target_archE1200ELNS1_3gpuE4ELNS1_3repE0EEENS1_30default_config_static_selectorELNS0_4arch9wavefront6targetE1EEEvT1_: ; @_ZN7rocprim17ROCPRIM_400000_NS6detail17trampoline_kernelINS0_14default_configENS1_25partition_config_selectorILNS1_17partition_subalgoE8ElNS0_10empty_typeEbEEZZNS1_14partition_implILS5_8ELb0ES3_jPlPS6_PKS6_NS0_5tupleIJS9_S6_EEENSD_IJSA_SA_EEENS0_18inequality_wrapperIZN2at6native12_GLOBAL__N_124unique_dim_cuda_templateImEESt5tupleIJNSH_6TensorESM_SM_EERKSM_lbbbEUlllE0_EEPmJS6_EEE10hipError_tPvRmT3_T4_T5_T6_T7_T9_mT8_P12ihipStream_tbDpT10_ENKUlT_T0_E_clISt17integral_constantIbLb0EES1C_EEDaS17_S18_EUlS17_E_NS1_11comp_targetILNS1_3genE10ELNS1_11target_archE1200ELNS1_3gpuE4ELNS1_3repE0EEENS1_30default_config_static_selectorELNS0_4arch9wavefront6targetE1EEEvT1_
; %bb.0:
	.section	.rodata,"a",@progbits
	.p2align	6, 0x0
	.amdhsa_kernel _ZN7rocprim17ROCPRIM_400000_NS6detail17trampoline_kernelINS0_14default_configENS1_25partition_config_selectorILNS1_17partition_subalgoE8ElNS0_10empty_typeEbEEZZNS1_14partition_implILS5_8ELb0ES3_jPlPS6_PKS6_NS0_5tupleIJS9_S6_EEENSD_IJSA_SA_EEENS0_18inequality_wrapperIZN2at6native12_GLOBAL__N_124unique_dim_cuda_templateImEESt5tupleIJNSH_6TensorESM_SM_EERKSM_lbbbEUlllE0_EEPmJS6_EEE10hipError_tPvRmT3_T4_T5_T6_T7_T9_mT8_P12ihipStream_tbDpT10_ENKUlT_T0_E_clISt17integral_constantIbLb0EES1C_EEDaS17_S18_EUlS17_E_NS1_11comp_targetILNS1_3genE10ELNS1_11target_archE1200ELNS1_3gpuE4ELNS1_3repE0EEENS1_30default_config_static_selectorELNS0_4arch9wavefront6targetE1EEEvT1_
		.amdhsa_group_segment_fixed_size 0
		.amdhsa_private_segment_fixed_size 0
		.amdhsa_kernarg_size 120
		.amdhsa_user_sgpr_count 6
		.amdhsa_user_sgpr_private_segment_buffer 1
		.amdhsa_user_sgpr_dispatch_ptr 0
		.amdhsa_user_sgpr_queue_ptr 0
		.amdhsa_user_sgpr_kernarg_segment_ptr 1
		.amdhsa_user_sgpr_dispatch_id 0
		.amdhsa_user_sgpr_flat_scratch_init 0
		.amdhsa_user_sgpr_kernarg_preload_length 0
		.amdhsa_user_sgpr_kernarg_preload_offset 0
		.amdhsa_user_sgpr_private_segment_size 0
		.amdhsa_uses_dynamic_stack 0
		.amdhsa_system_sgpr_private_segment_wavefront_offset 0
		.amdhsa_system_sgpr_workgroup_id_x 1
		.amdhsa_system_sgpr_workgroup_id_y 0
		.amdhsa_system_sgpr_workgroup_id_z 0
		.amdhsa_system_sgpr_workgroup_info 0
		.amdhsa_system_vgpr_workitem_id 0
		.amdhsa_next_free_vgpr 1
		.amdhsa_next_free_sgpr 0
		.amdhsa_accum_offset 4
		.amdhsa_reserve_vcc 0
		.amdhsa_reserve_flat_scratch 0
		.amdhsa_float_round_mode_32 0
		.amdhsa_float_round_mode_16_64 0
		.amdhsa_float_denorm_mode_32 3
		.amdhsa_float_denorm_mode_16_64 3
		.amdhsa_dx10_clamp 1
		.amdhsa_ieee_mode 1
		.amdhsa_fp16_overflow 0
		.amdhsa_tg_split 0
		.amdhsa_exception_fp_ieee_invalid_op 0
		.amdhsa_exception_fp_denorm_src 0
		.amdhsa_exception_fp_ieee_div_zero 0
		.amdhsa_exception_fp_ieee_overflow 0
		.amdhsa_exception_fp_ieee_underflow 0
		.amdhsa_exception_fp_ieee_inexact 0
		.amdhsa_exception_int_div_zero 0
	.end_amdhsa_kernel
	.section	.text._ZN7rocprim17ROCPRIM_400000_NS6detail17trampoline_kernelINS0_14default_configENS1_25partition_config_selectorILNS1_17partition_subalgoE8ElNS0_10empty_typeEbEEZZNS1_14partition_implILS5_8ELb0ES3_jPlPS6_PKS6_NS0_5tupleIJS9_S6_EEENSD_IJSA_SA_EEENS0_18inequality_wrapperIZN2at6native12_GLOBAL__N_124unique_dim_cuda_templateImEESt5tupleIJNSH_6TensorESM_SM_EERKSM_lbbbEUlllE0_EEPmJS6_EEE10hipError_tPvRmT3_T4_T5_T6_T7_T9_mT8_P12ihipStream_tbDpT10_ENKUlT_T0_E_clISt17integral_constantIbLb0EES1C_EEDaS17_S18_EUlS17_E_NS1_11comp_targetILNS1_3genE10ELNS1_11target_archE1200ELNS1_3gpuE4ELNS1_3repE0EEENS1_30default_config_static_selectorELNS0_4arch9wavefront6targetE1EEEvT1_,"axG",@progbits,_ZN7rocprim17ROCPRIM_400000_NS6detail17trampoline_kernelINS0_14default_configENS1_25partition_config_selectorILNS1_17partition_subalgoE8ElNS0_10empty_typeEbEEZZNS1_14partition_implILS5_8ELb0ES3_jPlPS6_PKS6_NS0_5tupleIJS9_S6_EEENSD_IJSA_SA_EEENS0_18inequality_wrapperIZN2at6native12_GLOBAL__N_124unique_dim_cuda_templateImEESt5tupleIJNSH_6TensorESM_SM_EERKSM_lbbbEUlllE0_EEPmJS6_EEE10hipError_tPvRmT3_T4_T5_T6_T7_T9_mT8_P12ihipStream_tbDpT10_ENKUlT_T0_E_clISt17integral_constantIbLb0EES1C_EEDaS17_S18_EUlS17_E_NS1_11comp_targetILNS1_3genE10ELNS1_11target_archE1200ELNS1_3gpuE4ELNS1_3repE0EEENS1_30default_config_static_selectorELNS0_4arch9wavefront6targetE1EEEvT1_,comdat
.Lfunc_end1666:
	.size	_ZN7rocprim17ROCPRIM_400000_NS6detail17trampoline_kernelINS0_14default_configENS1_25partition_config_selectorILNS1_17partition_subalgoE8ElNS0_10empty_typeEbEEZZNS1_14partition_implILS5_8ELb0ES3_jPlPS6_PKS6_NS0_5tupleIJS9_S6_EEENSD_IJSA_SA_EEENS0_18inequality_wrapperIZN2at6native12_GLOBAL__N_124unique_dim_cuda_templateImEESt5tupleIJNSH_6TensorESM_SM_EERKSM_lbbbEUlllE0_EEPmJS6_EEE10hipError_tPvRmT3_T4_T5_T6_T7_T9_mT8_P12ihipStream_tbDpT10_ENKUlT_T0_E_clISt17integral_constantIbLb0EES1C_EEDaS17_S18_EUlS17_E_NS1_11comp_targetILNS1_3genE10ELNS1_11target_archE1200ELNS1_3gpuE4ELNS1_3repE0EEENS1_30default_config_static_selectorELNS0_4arch9wavefront6targetE1EEEvT1_, .Lfunc_end1666-_ZN7rocprim17ROCPRIM_400000_NS6detail17trampoline_kernelINS0_14default_configENS1_25partition_config_selectorILNS1_17partition_subalgoE8ElNS0_10empty_typeEbEEZZNS1_14partition_implILS5_8ELb0ES3_jPlPS6_PKS6_NS0_5tupleIJS9_S6_EEENSD_IJSA_SA_EEENS0_18inequality_wrapperIZN2at6native12_GLOBAL__N_124unique_dim_cuda_templateImEESt5tupleIJNSH_6TensorESM_SM_EERKSM_lbbbEUlllE0_EEPmJS6_EEE10hipError_tPvRmT3_T4_T5_T6_T7_T9_mT8_P12ihipStream_tbDpT10_ENKUlT_T0_E_clISt17integral_constantIbLb0EES1C_EEDaS17_S18_EUlS17_E_NS1_11comp_targetILNS1_3genE10ELNS1_11target_archE1200ELNS1_3gpuE4ELNS1_3repE0EEENS1_30default_config_static_selectorELNS0_4arch9wavefront6targetE1EEEvT1_
                                        ; -- End function
	.section	.AMDGPU.csdata,"",@progbits
; Kernel info:
; codeLenInByte = 0
; NumSgprs: 4
; NumVgprs: 0
; NumAgprs: 0
; TotalNumVgprs: 0
; ScratchSize: 0
; MemoryBound: 0
; FloatMode: 240
; IeeeMode: 1
; LDSByteSize: 0 bytes/workgroup (compile time only)
; SGPRBlocks: 0
; VGPRBlocks: 0
; NumSGPRsForWavesPerEU: 4
; NumVGPRsForWavesPerEU: 1
; AccumOffset: 4
; Occupancy: 8
; WaveLimiterHint : 0
; COMPUTE_PGM_RSRC2:SCRATCH_EN: 0
; COMPUTE_PGM_RSRC2:USER_SGPR: 6
; COMPUTE_PGM_RSRC2:TRAP_HANDLER: 0
; COMPUTE_PGM_RSRC2:TGID_X_EN: 1
; COMPUTE_PGM_RSRC2:TGID_Y_EN: 0
; COMPUTE_PGM_RSRC2:TGID_Z_EN: 0
; COMPUTE_PGM_RSRC2:TIDIG_COMP_CNT: 0
; COMPUTE_PGM_RSRC3_GFX90A:ACCUM_OFFSET: 0
; COMPUTE_PGM_RSRC3_GFX90A:TG_SPLIT: 0
	.section	.text._ZN7rocprim17ROCPRIM_400000_NS6detail17trampoline_kernelINS0_14default_configENS1_25partition_config_selectorILNS1_17partition_subalgoE8ElNS0_10empty_typeEbEEZZNS1_14partition_implILS5_8ELb0ES3_jPlPS6_PKS6_NS0_5tupleIJS9_S6_EEENSD_IJSA_SA_EEENS0_18inequality_wrapperIZN2at6native12_GLOBAL__N_124unique_dim_cuda_templateImEESt5tupleIJNSH_6TensorESM_SM_EERKSM_lbbbEUlllE0_EEPmJS6_EEE10hipError_tPvRmT3_T4_T5_T6_T7_T9_mT8_P12ihipStream_tbDpT10_ENKUlT_T0_E_clISt17integral_constantIbLb0EES1C_EEDaS17_S18_EUlS17_E_NS1_11comp_targetILNS1_3genE9ELNS1_11target_archE1100ELNS1_3gpuE3ELNS1_3repE0EEENS1_30default_config_static_selectorELNS0_4arch9wavefront6targetE1EEEvT1_,"axG",@progbits,_ZN7rocprim17ROCPRIM_400000_NS6detail17trampoline_kernelINS0_14default_configENS1_25partition_config_selectorILNS1_17partition_subalgoE8ElNS0_10empty_typeEbEEZZNS1_14partition_implILS5_8ELb0ES3_jPlPS6_PKS6_NS0_5tupleIJS9_S6_EEENSD_IJSA_SA_EEENS0_18inequality_wrapperIZN2at6native12_GLOBAL__N_124unique_dim_cuda_templateImEESt5tupleIJNSH_6TensorESM_SM_EERKSM_lbbbEUlllE0_EEPmJS6_EEE10hipError_tPvRmT3_T4_T5_T6_T7_T9_mT8_P12ihipStream_tbDpT10_ENKUlT_T0_E_clISt17integral_constantIbLb0EES1C_EEDaS17_S18_EUlS17_E_NS1_11comp_targetILNS1_3genE9ELNS1_11target_archE1100ELNS1_3gpuE3ELNS1_3repE0EEENS1_30default_config_static_selectorELNS0_4arch9wavefront6targetE1EEEvT1_,comdat
	.globl	_ZN7rocprim17ROCPRIM_400000_NS6detail17trampoline_kernelINS0_14default_configENS1_25partition_config_selectorILNS1_17partition_subalgoE8ElNS0_10empty_typeEbEEZZNS1_14partition_implILS5_8ELb0ES3_jPlPS6_PKS6_NS0_5tupleIJS9_S6_EEENSD_IJSA_SA_EEENS0_18inequality_wrapperIZN2at6native12_GLOBAL__N_124unique_dim_cuda_templateImEESt5tupleIJNSH_6TensorESM_SM_EERKSM_lbbbEUlllE0_EEPmJS6_EEE10hipError_tPvRmT3_T4_T5_T6_T7_T9_mT8_P12ihipStream_tbDpT10_ENKUlT_T0_E_clISt17integral_constantIbLb0EES1C_EEDaS17_S18_EUlS17_E_NS1_11comp_targetILNS1_3genE9ELNS1_11target_archE1100ELNS1_3gpuE3ELNS1_3repE0EEENS1_30default_config_static_selectorELNS0_4arch9wavefront6targetE1EEEvT1_ ; -- Begin function _ZN7rocprim17ROCPRIM_400000_NS6detail17trampoline_kernelINS0_14default_configENS1_25partition_config_selectorILNS1_17partition_subalgoE8ElNS0_10empty_typeEbEEZZNS1_14partition_implILS5_8ELb0ES3_jPlPS6_PKS6_NS0_5tupleIJS9_S6_EEENSD_IJSA_SA_EEENS0_18inequality_wrapperIZN2at6native12_GLOBAL__N_124unique_dim_cuda_templateImEESt5tupleIJNSH_6TensorESM_SM_EERKSM_lbbbEUlllE0_EEPmJS6_EEE10hipError_tPvRmT3_T4_T5_T6_T7_T9_mT8_P12ihipStream_tbDpT10_ENKUlT_T0_E_clISt17integral_constantIbLb0EES1C_EEDaS17_S18_EUlS17_E_NS1_11comp_targetILNS1_3genE9ELNS1_11target_archE1100ELNS1_3gpuE3ELNS1_3repE0EEENS1_30default_config_static_selectorELNS0_4arch9wavefront6targetE1EEEvT1_
	.p2align	8
	.type	_ZN7rocprim17ROCPRIM_400000_NS6detail17trampoline_kernelINS0_14default_configENS1_25partition_config_selectorILNS1_17partition_subalgoE8ElNS0_10empty_typeEbEEZZNS1_14partition_implILS5_8ELb0ES3_jPlPS6_PKS6_NS0_5tupleIJS9_S6_EEENSD_IJSA_SA_EEENS0_18inequality_wrapperIZN2at6native12_GLOBAL__N_124unique_dim_cuda_templateImEESt5tupleIJNSH_6TensorESM_SM_EERKSM_lbbbEUlllE0_EEPmJS6_EEE10hipError_tPvRmT3_T4_T5_T6_T7_T9_mT8_P12ihipStream_tbDpT10_ENKUlT_T0_E_clISt17integral_constantIbLb0EES1C_EEDaS17_S18_EUlS17_E_NS1_11comp_targetILNS1_3genE9ELNS1_11target_archE1100ELNS1_3gpuE3ELNS1_3repE0EEENS1_30default_config_static_selectorELNS0_4arch9wavefront6targetE1EEEvT1_,@function
_ZN7rocprim17ROCPRIM_400000_NS6detail17trampoline_kernelINS0_14default_configENS1_25partition_config_selectorILNS1_17partition_subalgoE8ElNS0_10empty_typeEbEEZZNS1_14partition_implILS5_8ELb0ES3_jPlPS6_PKS6_NS0_5tupleIJS9_S6_EEENSD_IJSA_SA_EEENS0_18inequality_wrapperIZN2at6native12_GLOBAL__N_124unique_dim_cuda_templateImEESt5tupleIJNSH_6TensorESM_SM_EERKSM_lbbbEUlllE0_EEPmJS6_EEE10hipError_tPvRmT3_T4_T5_T6_T7_T9_mT8_P12ihipStream_tbDpT10_ENKUlT_T0_E_clISt17integral_constantIbLb0EES1C_EEDaS17_S18_EUlS17_E_NS1_11comp_targetILNS1_3genE9ELNS1_11target_archE1100ELNS1_3gpuE3ELNS1_3repE0EEENS1_30default_config_static_selectorELNS0_4arch9wavefront6targetE1EEEvT1_: ; @_ZN7rocprim17ROCPRIM_400000_NS6detail17trampoline_kernelINS0_14default_configENS1_25partition_config_selectorILNS1_17partition_subalgoE8ElNS0_10empty_typeEbEEZZNS1_14partition_implILS5_8ELb0ES3_jPlPS6_PKS6_NS0_5tupleIJS9_S6_EEENSD_IJSA_SA_EEENS0_18inequality_wrapperIZN2at6native12_GLOBAL__N_124unique_dim_cuda_templateImEESt5tupleIJNSH_6TensorESM_SM_EERKSM_lbbbEUlllE0_EEPmJS6_EEE10hipError_tPvRmT3_T4_T5_T6_T7_T9_mT8_P12ihipStream_tbDpT10_ENKUlT_T0_E_clISt17integral_constantIbLb0EES1C_EEDaS17_S18_EUlS17_E_NS1_11comp_targetILNS1_3genE9ELNS1_11target_archE1100ELNS1_3gpuE3ELNS1_3repE0EEENS1_30default_config_static_selectorELNS0_4arch9wavefront6targetE1EEEvT1_
; %bb.0:
	.section	.rodata,"a",@progbits
	.p2align	6, 0x0
	.amdhsa_kernel _ZN7rocprim17ROCPRIM_400000_NS6detail17trampoline_kernelINS0_14default_configENS1_25partition_config_selectorILNS1_17partition_subalgoE8ElNS0_10empty_typeEbEEZZNS1_14partition_implILS5_8ELb0ES3_jPlPS6_PKS6_NS0_5tupleIJS9_S6_EEENSD_IJSA_SA_EEENS0_18inequality_wrapperIZN2at6native12_GLOBAL__N_124unique_dim_cuda_templateImEESt5tupleIJNSH_6TensorESM_SM_EERKSM_lbbbEUlllE0_EEPmJS6_EEE10hipError_tPvRmT3_T4_T5_T6_T7_T9_mT8_P12ihipStream_tbDpT10_ENKUlT_T0_E_clISt17integral_constantIbLb0EES1C_EEDaS17_S18_EUlS17_E_NS1_11comp_targetILNS1_3genE9ELNS1_11target_archE1100ELNS1_3gpuE3ELNS1_3repE0EEENS1_30default_config_static_selectorELNS0_4arch9wavefront6targetE1EEEvT1_
		.amdhsa_group_segment_fixed_size 0
		.amdhsa_private_segment_fixed_size 0
		.amdhsa_kernarg_size 120
		.amdhsa_user_sgpr_count 6
		.amdhsa_user_sgpr_private_segment_buffer 1
		.amdhsa_user_sgpr_dispatch_ptr 0
		.amdhsa_user_sgpr_queue_ptr 0
		.amdhsa_user_sgpr_kernarg_segment_ptr 1
		.amdhsa_user_sgpr_dispatch_id 0
		.amdhsa_user_sgpr_flat_scratch_init 0
		.amdhsa_user_sgpr_kernarg_preload_length 0
		.amdhsa_user_sgpr_kernarg_preload_offset 0
		.amdhsa_user_sgpr_private_segment_size 0
		.amdhsa_uses_dynamic_stack 0
		.amdhsa_system_sgpr_private_segment_wavefront_offset 0
		.amdhsa_system_sgpr_workgroup_id_x 1
		.amdhsa_system_sgpr_workgroup_id_y 0
		.amdhsa_system_sgpr_workgroup_id_z 0
		.amdhsa_system_sgpr_workgroup_info 0
		.amdhsa_system_vgpr_workitem_id 0
		.amdhsa_next_free_vgpr 1
		.amdhsa_next_free_sgpr 0
		.amdhsa_accum_offset 4
		.amdhsa_reserve_vcc 0
		.amdhsa_reserve_flat_scratch 0
		.amdhsa_float_round_mode_32 0
		.amdhsa_float_round_mode_16_64 0
		.amdhsa_float_denorm_mode_32 3
		.amdhsa_float_denorm_mode_16_64 3
		.amdhsa_dx10_clamp 1
		.amdhsa_ieee_mode 1
		.amdhsa_fp16_overflow 0
		.amdhsa_tg_split 0
		.amdhsa_exception_fp_ieee_invalid_op 0
		.amdhsa_exception_fp_denorm_src 0
		.amdhsa_exception_fp_ieee_div_zero 0
		.amdhsa_exception_fp_ieee_overflow 0
		.amdhsa_exception_fp_ieee_underflow 0
		.amdhsa_exception_fp_ieee_inexact 0
		.amdhsa_exception_int_div_zero 0
	.end_amdhsa_kernel
	.section	.text._ZN7rocprim17ROCPRIM_400000_NS6detail17trampoline_kernelINS0_14default_configENS1_25partition_config_selectorILNS1_17partition_subalgoE8ElNS0_10empty_typeEbEEZZNS1_14partition_implILS5_8ELb0ES3_jPlPS6_PKS6_NS0_5tupleIJS9_S6_EEENSD_IJSA_SA_EEENS0_18inequality_wrapperIZN2at6native12_GLOBAL__N_124unique_dim_cuda_templateImEESt5tupleIJNSH_6TensorESM_SM_EERKSM_lbbbEUlllE0_EEPmJS6_EEE10hipError_tPvRmT3_T4_T5_T6_T7_T9_mT8_P12ihipStream_tbDpT10_ENKUlT_T0_E_clISt17integral_constantIbLb0EES1C_EEDaS17_S18_EUlS17_E_NS1_11comp_targetILNS1_3genE9ELNS1_11target_archE1100ELNS1_3gpuE3ELNS1_3repE0EEENS1_30default_config_static_selectorELNS0_4arch9wavefront6targetE1EEEvT1_,"axG",@progbits,_ZN7rocprim17ROCPRIM_400000_NS6detail17trampoline_kernelINS0_14default_configENS1_25partition_config_selectorILNS1_17partition_subalgoE8ElNS0_10empty_typeEbEEZZNS1_14partition_implILS5_8ELb0ES3_jPlPS6_PKS6_NS0_5tupleIJS9_S6_EEENSD_IJSA_SA_EEENS0_18inequality_wrapperIZN2at6native12_GLOBAL__N_124unique_dim_cuda_templateImEESt5tupleIJNSH_6TensorESM_SM_EERKSM_lbbbEUlllE0_EEPmJS6_EEE10hipError_tPvRmT3_T4_T5_T6_T7_T9_mT8_P12ihipStream_tbDpT10_ENKUlT_T0_E_clISt17integral_constantIbLb0EES1C_EEDaS17_S18_EUlS17_E_NS1_11comp_targetILNS1_3genE9ELNS1_11target_archE1100ELNS1_3gpuE3ELNS1_3repE0EEENS1_30default_config_static_selectorELNS0_4arch9wavefront6targetE1EEEvT1_,comdat
.Lfunc_end1667:
	.size	_ZN7rocprim17ROCPRIM_400000_NS6detail17trampoline_kernelINS0_14default_configENS1_25partition_config_selectorILNS1_17partition_subalgoE8ElNS0_10empty_typeEbEEZZNS1_14partition_implILS5_8ELb0ES3_jPlPS6_PKS6_NS0_5tupleIJS9_S6_EEENSD_IJSA_SA_EEENS0_18inequality_wrapperIZN2at6native12_GLOBAL__N_124unique_dim_cuda_templateImEESt5tupleIJNSH_6TensorESM_SM_EERKSM_lbbbEUlllE0_EEPmJS6_EEE10hipError_tPvRmT3_T4_T5_T6_T7_T9_mT8_P12ihipStream_tbDpT10_ENKUlT_T0_E_clISt17integral_constantIbLb0EES1C_EEDaS17_S18_EUlS17_E_NS1_11comp_targetILNS1_3genE9ELNS1_11target_archE1100ELNS1_3gpuE3ELNS1_3repE0EEENS1_30default_config_static_selectorELNS0_4arch9wavefront6targetE1EEEvT1_, .Lfunc_end1667-_ZN7rocprim17ROCPRIM_400000_NS6detail17trampoline_kernelINS0_14default_configENS1_25partition_config_selectorILNS1_17partition_subalgoE8ElNS0_10empty_typeEbEEZZNS1_14partition_implILS5_8ELb0ES3_jPlPS6_PKS6_NS0_5tupleIJS9_S6_EEENSD_IJSA_SA_EEENS0_18inequality_wrapperIZN2at6native12_GLOBAL__N_124unique_dim_cuda_templateImEESt5tupleIJNSH_6TensorESM_SM_EERKSM_lbbbEUlllE0_EEPmJS6_EEE10hipError_tPvRmT3_T4_T5_T6_T7_T9_mT8_P12ihipStream_tbDpT10_ENKUlT_T0_E_clISt17integral_constantIbLb0EES1C_EEDaS17_S18_EUlS17_E_NS1_11comp_targetILNS1_3genE9ELNS1_11target_archE1100ELNS1_3gpuE3ELNS1_3repE0EEENS1_30default_config_static_selectorELNS0_4arch9wavefront6targetE1EEEvT1_
                                        ; -- End function
	.section	.AMDGPU.csdata,"",@progbits
; Kernel info:
; codeLenInByte = 0
; NumSgprs: 4
; NumVgprs: 0
; NumAgprs: 0
; TotalNumVgprs: 0
; ScratchSize: 0
; MemoryBound: 0
; FloatMode: 240
; IeeeMode: 1
; LDSByteSize: 0 bytes/workgroup (compile time only)
; SGPRBlocks: 0
; VGPRBlocks: 0
; NumSGPRsForWavesPerEU: 4
; NumVGPRsForWavesPerEU: 1
; AccumOffset: 4
; Occupancy: 8
; WaveLimiterHint : 0
; COMPUTE_PGM_RSRC2:SCRATCH_EN: 0
; COMPUTE_PGM_RSRC2:USER_SGPR: 6
; COMPUTE_PGM_RSRC2:TRAP_HANDLER: 0
; COMPUTE_PGM_RSRC2:TGID_X_EN: 1
; COMPUTE_PGM_RSRC2:TGID_Y_EN: 0
; COMPUTE_PGM_RSRC2:TGID_Z_EN: 0
; COMPUTE_PGM_RSRC2:TIDIG_COMP_CNT: 0
; COMPUTE_PGM_RSRC3_GFX90A:ACCUM_OFFSET: 0
; COMPUTE_PGM_RSRC3_GFX90A:TG_SPLIT: 0
	.section	.text._ZN7rocprim17ROCPRIM_400000_NS6detail17trampoline_kernelINS0_14default_configENS1_25partition_config_selectorILNS1_17partition_subalgoE8ElNS0_10empty_typeEbEEZZNS1_14partition_implILS5_8ELb0ES3_jPlPS6_PKS6_NS0_5tupleIJS9_S6_EEENSD_IJSA_SA_EEENS0_18inequality_wrapperIZN2at6native12_GLOBAL__N_124unique_dim_cuda_templateImEESt5tupleIJNSH_6TensorESM_SM_EERKSM_lbbbEUlllE0_EEPmJS6_EEE10hipError_tPvRmT3_T4_T5_T6_T7_T9_mT8_P12ihipStream_tbDpT10_ENKUlT_T0_E_clISt17integral_constantIbLb0EES1C_EEDaS17_S18_EUlS17_E_NS1_11comp_targetILNS1_3genE8ELNS1_11target_archE1030ELNS1_3gpuE2ELNS1_3repE0EEENS1_30default_config_static_selectorELNS0_4arch9wavefront6targetE1EEEvT1_,"axG",@progbits,_ZN7rocprim17ROCPRIM_400000_NS6detail17trampoline_kernelINS0_14default_configENS1_25partition_config_selectorILNS1_17partition_subalgoE8ElNS0_10empty_typeEbEEZZNS1_14partition_implILS5_8ELb0ES3_jPlPS6_PKS6_NS0_5tupleIJS9_S6_EEENSD_IJSA_SA_EEENS0_18inequality_wrapperIZN2at6native12_GLOBAL__N_124unique_dim_cuda_templateImEESt5tupleIJNSH_6TensorESM_SM_EERKSM_lbbbEUlllE0_EEPmJS6_EEE10hipError_tPvRmT3_T4_T5_T6_T7_T9_mT8_P12ihipStream_tbDpT10_ENKUlT_T0_E_clISt17integral_constantIbLb0EES1C_EEDaS17_S18_EUlS17_E_NS1_11comp_targetILNS1_3genE8ELNS1_11target_archE1030ELNS1_3gpuE2ELNS1_3repE0EEENS1_30default_config_static_selectorELNS0_4arch9wavefront6targetE1EEEvT1_,comdat
	.globl	_ZN7rocprim17ROCPRIM_400000_NS6detail17trampoline_kernelINS0_14default_configENS1_25partition_config_selectorILNS1_17partition_subalgoE8ElNS0_10empty_typeEbEEZZNS1_14partition_implILS5_8ELb0ES3_jPlPS6_PKS6_NS0_5tupleIJS9_S6_EEENSD_IJSA_SA_EEENS0_18inequality_wrapperIZN2at6native12_GLOBAL__N_124unique_dim_cuda_templateImEESt5tupleIJNSH_6TensorESM_SM_EERKSM_lbbbEUlllE0_EEPmJS6_EEE10hipError_tPvRmT3_T4_T5_T6_T7_T9_mT8_P12ihipStream_tbDpT10_ENKUlT_T0_E_clISt17integral_constantIbLb0EES1C_EEDaS17_S18_EUlS17_E_NS1_11comp_targetILNS1_3genE8ELNS1_11target_archE1030ELNS1_3gpuE2ELNS1_3repE0EEENS1_30default_config_static_selectorELNS0_4arch9wavefront6targetE1EEEvT1_ ; -- Begin function _ZN7rocprim17ROCPRIM_400000_NS6detail17trampoline_kernelINS0_14default_configENS1_25partition_config_selectorILNS1_17partition_subalgoE8ElNS0_10empty_typeEbEEZZNS1_14partition_implILS5_8ELb0ES3_jPlPS6_PKS6_NS0_5tupleIJS9_S6_EEENSD_IJSA_SA_EEENS0_18inequality_wrapperIZN2at6native12_GLOBAL__N_124unique_dim_cuda_templateImEESt5tupleIJNSH_6TensorESM_SM_EERKSM_lbbbEUlllE0_EEPmJS6_EEE10hipError_tPvRmT3_T4_T5_T6_T7_T9_mT8_P12ihipStream_tbDpT10_ENKUlT_T0_E_clISt17integral_constantIbLb0EES1C_EEDaS17_S18_EUlS17_E_NS1_11comp_targetILNS1_3genE8ELNS1_11target_archE1030ELNS1_3gpuE2ELNS1_3repE0EEENS1_30default_config_static_selectorELNS0_4arch9wavefront6targetE1EEEvT1_
	.p2align	8
	.type	_ZN7rocprim17ROCPRIM_400000_NS6detail17trampoline_kernelINS0_14default_configENS1_25partition_config_selectorILNS1_17partition_subalgoE8ElNS0_10empty_typeEbEEZZNS1_14partition_implILS5_8ELb0ES3_jPlPS6_PKS6_NS0_5tupleIJS9_S6_EEENSD_IJSA_SA_EEENS0_18inequality_wrapperIZN2at6native12_GLOBAL__N_124unique_dim_cuda_templateImEESt5tupleIJNSH_6TensorESM_SM_EERKSM_lbbbEUlllE0_EEPmJS6_EEE10hipError_tPvRmT3_T4_T5_T6_T7_T9_mT8_P12ihipStream_tbDpT10_ENKUlT_T0_E_clISt17integral_constantIbLb0EES1C_EEDaS17_S18_EUlS17_E_NS1_11comp_targetILNS1_3genE8ELNS1_11target_archE1030ELNS1_3gpuE2ELNS1_3repE0EEENS1_30default_config_static_selectorELNS0_4arch9wavefront6targetE1EEEvT1_,@function
_ZN7rocprim17ROCPRIM_400000_NS6detail17trampoline_kernelINS0_14default_configENS1_25partition_config_selectorILNS1_17partition_subalgoE8ElNS0_10empty_typeEbEEZZNS1_14partition_implILS5_8ELb0ES3_jPlPS6_PKS6_NS0_5tupleIJS9_S6_EEENSD_IJSA_SA_EEENS0_18inequality_wrapperIZN2at6native12_GLOBAL__N_124unique_dim_cuda_templateImEESt5tupleIJNSH_6TensorESM_SM_EERKSM_lbbbEUlllE0_EEPmJS6_EEE10hipError_tPvRmT3_T4_T5_T6_T7_T9_mT8_P12ihipStream_tbDpT10_ENKUlT_T0_E_clISt17integral_constantIbLb0EES1C_EEDaS17_S18_EUlS17_E_NS1_11comp_targetILNS1_3genE8ELNS1_11target_archE1030ELNS1_3gpuE2ELNS1_3repE0EEENS1_30default_config_static_selectorELNS0_4arch9wavefront6targetE1EEEvT1_: ; @_ZN7rocprim17ROCPRIM_400000_NS6detail17trampoline_kernelINS0_14default_configENS1_25partition_config_selectorILNS1_17partition_subalgoE8ElNS0_10empty_typeEbEEZZNS1_14partition_implILS5_8ELb0ES3_jPlPS6_PKS6_NS0_5tupleIJS9_S6_EEENSD_IJSA_SA_EEENS0_18inequality_wrapperIZN2at6native12_GLOBAL__N_124unique_dim_cuda_templateImEESt5tupleIJNSH_6TensorESM_SM_EERKSM_lbbbEUlllE0_EEPmJS6_EEE10hipError_tPvRmT3_T4_T5_T6_T7_T9_mT8_P12ihipStream_tbDpT10_ENKUlT_T0_E_clISt17integral_constantIbLb0EES1C_EEDaS17_S18_EUlS17_E_NS1_11comp_targetILNS1_3genE8ELNS1_11target_archE1030ELNS1_3gpuE2ELNS1_3repE0EEENS1_30default_config_static_selectorELNS0_4arch9wavefront6targetE1EEEvT1_
; %bb.0:
	.section	.rodata,"a",@progbits
	.p2align	6, 0x0
	.amdhsa_kernel _ZN7rocprim17ROCPRIM_400000_NS6detail17trampoline_kernelINS0_14default_configENS1_25partition_config_selectorILNS1_17partition_subalgoE8ElNS0_10empty_typeEbEEZZNS1_14partition_implILS5_8ELb0ES3_jPlPS6_PKS6_NS0_5tupleIJS9_S6_EEENSD_IJSA_SA_EEENS0_18inequality_wrapperIZN2at6native12_GLOBAL__N_124unique_dim_cuda_templateImEESt5tupleIJNSH_6TensorESM_SM_EERKSM_lbbbEUlllE0_EEPmJS6_EEE10hipError_tPvRmT3_T4_T5_T6_T7_T9_mT8_P12ihipStream_tbDpT10_ENKUlT_T0_E_clISt17integral_constantIbLb0EES1C_EEDaS17_S18_EUlS17_E_NS1_11comp_targetILNS1_3genE8ELNS1_11target_archE1030ELNS1_3gpuE2ELNS1_3repE0EEENS1_30default_config_static_selectorELNS0_4arch9wavefront6targetE1EEEvT1_
		.amdhsa_group_segment_fixed_size 0
		.amdhsa_private_segment_fixed_size 0
		.amdhsa_kernarg_size 120
		.amdhsa_user_sgpr_count 6
		.amdhsa_user_sgpr_private_segment_buffer 1
		.amdhsa_user_sgpr_dispatch_ptr 0
		.amdhsa_user_sgpr_queue_ptr 0
		.amdhsa_user_sgpr_kernarg_segment_ptr 1
		.amdhsa_user_sgpr_dispatch_id 0
		.amdhsa_user_sgpr_flat_scratch_init 0
		.amdhsa_user_sgpr_kernarg_preload_length 0
		.amdhsa_user_sgpr_kernarg_preload_offset 0
		.amdhsa_user_sgpr_private_segment_size 0
		.amdhsa_uses_dynamic_stack 0
		.amdhsa_system_sgpr_private_segment_wavefront_offset 0
		.amdhsa_system_sgpr_workgroup_id_x 1
		.amdhsa_system_sgpr_workgroup_id_y 0
		.amdhsa_system_sgpr_workgroup_id_z 0
		.amdhsa_system_sgpr_workgroup_info 0
		.amdhsa_system_vgpr_workitem_id 0
		.amdhsa_next_free_vgpr 1
		.amdhsa_next_free_sgpr 0
		.amdhsa_accum_offset 4
		.amdhsa_reserve_vcc 0
		.amdhsa_reserve_flat_scratch 0
		.amdhsa_float_round_mode_32 0
		.amdhsa_float_round_mode_16_64 0
		.amdhsa_float_denorm_mode_32 3
		.amdhsa_float_denorm_mode_16_64 3
		.amdhsa_dx10_clamp 1
		.amdhsa_ieee_mode 1
		.amdhsa_fp16_overflow 0
		.amdhsa_tg_split 0
		.amdhsa_exception_fp_ieee_invalid_op 0
		.amdhsa_exception_fp_denorm_src 0
		.amdhsa_exception_fp_ieee_div_zero 0
		.amdhsa_exception_fp_ieee_overflow 0
		.amdhsa_exception_fp_ieee_underflow 0
		.amdhsa_exception_fp_ieee_inexact 0
		.amdhsa_exception_int_div_zero 0
	.end_amdhsa_kernel
	.section	.text._ZN7rocprim17ROCPRIM_400000_NS6detail17trampoline_kernelINS0_14default_configENS1_25partition_config_selectorILNS1_17partition_subalgoE8ElNS0_10empty_typeEbEEZZNS1_14partition_implILS5_8ELb0ES3_jPlPS6_PKS6_NS0_5tupleIJS9_S6_EEENSD_IJSA_SA_EEENS0_18inequality_wrapperIZN2at6native12_GLOBAL__N_124unique_dim_cuda_templateImEESt5tupleIJNSH_6TensorESM_SM_EERKSM_lbbbEUlllE0_EEPmJS6_EEE10hipError_tPvRmT3_T4_T5_T6_T7_T9_mT8_P12ihipStream_tbDpT10_ENKUlT_T0_E_clISt17integral_constantIbLb0EES1C_EEDaS17_S18_EUlS17_E_NS1_11comp_targetILNS1_3genE8ELNS1_11target_archE1030ELNS1_3gpuE2ELNS1_3repE0EEENS1_30default_config_static_selectorELNS0_4arch9wavefront6targetE1EEEvT1_,"axG",@progbits,_ZN7rocprim17ROCPRIM_400000_NS6detail17trampoline_kernelINS0_14default_configENS1_25partition_config_selectorILNS1_17partition_subalgoE8ElNS0_10empty_typeEbEEZZNS1_14partition_implILS5_8ELb0ES3_jPlPS6_PKS6_NS0_5tupleIJS9_S6_EEENSD_IJSA_SA_EEENS0_18inequality_wrapperIZN2at6native12_GLOBAL__N_124unique_dim_cuda_templateImEESt5tupleIJNSH_6TensorESM_SM_EERKSM_lbbbEUlllE0_EEPmJS6_EEE10hipError_tPvRmT3_T4_T5_T6_T7_T9_mT8_P12ihipStream_tbDpT10_ENKUlT_T0_E_clISt17integral_constantIbLb0EES1C_EEDaS17_S18_EUlS17_E_NS1_11comp_targetILNS1_3genE8ELNS1_11target_archE1030ELNS1_3gpuE2ELNS1_3repE0EEENS1_30default_config_static_selectorELNS0_4arch9wavefront6targetE1EEEvT1_,comdat
.Lfunc_end1668:
	.size	_ZN7rocprim17ROCPRIM_400000_NS6detail17trampoline_kernelINS0_14default_configENS1_25partition_config_selectorILNS1_17partition_subalgoE8ElNS0_10empty_typeEbEEZZNS1_14partition_implILS5_8ELb0ES3_jPlPS6_PKS6_NS0_5tupleIJS9_S6_EEENSD_IJSA_SA_EEENS0_18inequality_wrapperIZN2at6native12_GLOBAL__N_124unique_dim_cuda_templateImEESt5tupleIJNSH_6TensorESM_SM_EERKSM_lbbbEUlllE0_EEPmJS6_EEE10hipError_tPvRmT3_T4_T5_T6_T7_T9_mT8_P12ihipStream_tbDpT10_ENKUlT_T0_E_clISt17integral_constantIbLb0EES1C_EEDaS17_S18_EUlS17_E_NS1_11comp_targetILNS1_3genE8ELNS1_11target_archE1030ELNS1_3gpuE2ELNS1_3repE0EEENS1_30default_config_static_selectorELNS0_4arch9wavefront6targetE1EEEvT1_, .Lfunc_end1668-_ZN7rocprim17ROCPRIM_400000_NS6detail17trampoline_kernelINS0_14default_configENS1_25partition_config_selectorILNS1_17partition_subalgoE8ElNS0_10empty_typeEbEEZZNS1_14partition_implILS5_8ELb0ES3_jPlPS6_PKS6_NS0_5tupleIJS9_S6_EEENSD_IJSA_SA_EEENS0_18inequality_wrapperIZN2at6native12_GLOBAL__N_124unique_dim_cuda_templateImEESt5tupleIJNSH_6TensorESM_SM_EERKSM_lbbbEUlllE0_EEPmJS6_EEE10hipError_tPvRmT3_T4_T5_T6_T7_T9_mT8_P12ihipStream_tbDpT10_ENKUlT_T0_E_clISt17integral_constantIbLb0EES1C_EEDaS17_S18_EUlS17_E_NS1_11comp_targetILNS1_3genE8ELNS1_11target_archE1030ELNS1_3gpuE2ELNS1_3repE0EEENS1_30default_config_static_selectorELNS0_4arch9wavefront6targetE1EEEvT1_
                                        ; -- End function
	.section	.AMDGPU.csdata,"",@progbits
; Kernel info:
; codeLenInByte = 0
; NumSgprs: 4
; NumVgprs: 0
; NumAgprs: 0
; TotalNumVgprs: 0
; ScratchSize: 0
; MemoryBound: 0
; FloatMode: 240
; IeeeMode: 1
; LDSByteSize: 0 bytes/workgroup (compile time only)
; SGPRBlocks: 0
; VGPRBlocks: 0
; NumSGPRsForWavesPerEU: 4
; NumVGPRsForWavesPerEU: 1
; AccumOffset: 4
; Occupancy: 8
; WaveLimiterHint : 0
; COMPUTE_PGM_RSRC2:SCRATCH_EN: 0
; COMPUTE_PGM_RSRC2:USER_SGPR: 6
; COMPUTE_PGM_RSRC2:TRAP_HANDLER: 0
; COMPUTE_PGM_RSRC2:TGID_X_EN: 1
; COMPUTE_PGM_RSRC2:TGID_Y_EN: 0
; COMPUTE_PGM_RSRC2:TGID_Z_EN: 0
; COMPUTE_PGM_RSRC2:TIDIG_COMP_CNT: 0
; COMPUTE_PGM_RSRC3_GFX90A:ACCUM_OFFSET: 0
; COMPUTE_PGM_RSRC3_GFX90A:TG_SPLIT: 0
	.section	.text._ZN7rocprim17ROCPRIM_400000_NS6detail17trampoline_kernelINS0_14default_configENS1_25partition_config_selectorILNS1_17partition_subalgoE8ElNS0_10empty_typeEbEEZZNS1_14partition_implILS5_8ELb0ES3_jPlPS6_PKS6_NS0_5tupleIJS9_S6_EEENSD_IJSA_SA_EEENS0_18inequality_wrapperIZN2at6native12_GLOBAL__N_124unique_dim_cuda_templateImEESt5tupleIJNSH_6TensorESM_SM_EERKSM_lbbbEUlllE0_EEPmJS6_EEE10hipError_tPvRmT3_T4_T5_T6_T7_T9_mT8_P12ihipStream_tbDpT10_ENKUlT_T0_E_clISt17integral_constantIbLb1EES1C_EEDaS17_S18_EUlS17_E_NS1_11comp_targetILNS1_3genE0ELNS1_11target_archE4294967295ELNS1_3gpuE0ELNS1_3repE0EEENS1_30default_config_static_selectorELNS0_4arch9wavefront6targetE1EEEvT1_,"axG",@progbits,_ZN7rocprim17ROCPRIM_400000_NS6detail17trampoline_kernelINS0_14default_configENS1_25partition_config_selectorILNS1_17partition_subalgoE8ElNS0_10empty_typeEbEEZZNS1_14partition_implILS5_8ELb0ES3_jPlPS6_PKS6_NS0_5tupleIJS9_S6_EEENSD_IJSA_SA_EEENS0_18inequality_wrapperIZN2at6native12_GLOBAL__N_124unique_dim_cuda_templateImEESt5tupleIJNSH_6TensorESM_SM_EERKSM_lbbbEUlllE0_EEPmJS6_EEE10hipError_tPvRmT3_T4_T5_T6_T7_T9_mT8_P12ihipStream_tbDpT10_ENKUlT_T0_E_clISt17integral_constantIbLb1EES1C_EEDaS17_S18_EUlS17_E_NS1_11comp_targetILNS1_3genE0ELNS1_11target_archE4294967295ELNS1_3gpuE0ELNS1_3repE0EEENS1_30default_config_static_selectorELNS0_4arch9wavefront6targetE1EEEvT1_,comdat
	.globl	_ZN7rocprim17ROCPRIM_400000_NS6detail17trampoline_kernelINS0_14default_configENS1_25partition_config_selectorILNS1_17partition_subalgoE8ElNS0_10empty_typeEbEEZZNS1_14partition_implILS5_8ELb0ES3_jPlPS6_PKS6_NS0_5tupleIJS9_S6_EEENSD_IJSA_SA_EEENS0_18inequality_wrapperIZN2at6native12_GLOBAL__N_124unique_dim_cuda_templateImEESt5tupleIJNSH_6TensorESM_SM_EERKSM_lbbbEUlllE0_EEPmJS6_EEE10hipError_tPvRmT3_T4_T5_T6_T7_T9_mT8_P12ihipStream_tbDpT10_ENKUlT_T0_E_clISt17integral_constantIbLb1EES1C_EEDaS17_S18_EUlS17_E_NS1_11comp_targetILNS1_3genE0ELNS1_11target_archE4294967295ELNS1_3gpuE0ELNS1_3repE0EEENS1_30default_config_static_selectorELNS0_4arch9wavefront6targetE1EEEvT1_ ; -- Begin function _ZN7rocprim17ROCPRIM_400000_NS6detail17trampoline_kernelINS0_14default_configENS1_25partition_config_selectorILNS1_17partition_subalgoE8ElNS0_10empty_typeEbEEZZNS1_14partition_implILS5_8ELb0ES3_jPlPS6_PKS6_NS0_5tupleIJS9_S6_EEENSD_IJSA_SA_EEENS0_18inequality_wrapperIZN2at6native12_GLOBAL__N_124unique_dim_cuda_templateImEESt5tupleIJNSH_6TensorESM_SM_EERKSM_lbbbEUlllE0_EEPmJS6_EEE10hipError_tPvRmT3_T4_T5_T6_T7_T9_mT8_P12ihipStream_tbDpT10_ENKUlT_T0_E_clISt17integral_constantIbLb1EES1C_EEDaS17_S18_EUlS17_E_NS1_11comp_targetILNS1_3genE0ELNS1_11target_archE4294967295ELNS1_3gpuE0ELNS1_3repE0EEENS1_30default_config_static_selectorELNS0_4arch9wavefront6targetE1EEEvT1_
	.p2align	8
	.type	_ZN7rocprim17ROCPRIM_400000_NS6detail17trampoline_kernelINS0_14default_configENS1_25partition_config_selectorILNS1_17partition_subalgoE8ElNS0_10empty_typeEbEEZZNS1_14partition_implILS5_8ELb0ES3_jPlPS6_PKS6_NS0_5tupleIJS9_S6_EEENSD_IJSA_SA_EEENS0_18inequality_wrapperIZN2at6native12_GLOBAL__N_124unique_dim_cuda_templateImEESt5tupleIJNSH_6TensorESM_SM_EERKSM_lbbbEUlllE0_EEPmJS6_EEE10hipError_tPvRmT3_T4_T5_T6_T7_T9_mT8_P12ihipStream_tbDpT10_ENKUlT_T0_E_clISt17integral_constantIbLb1EES1C_EEDaS17_S18_EUlS17_E_NS1_11comp_targetILNS1_3genE0ELNS1_11target_archE4294967295ELNS1_3gpuE0ELNS1_3repE0EEENS1_30default_config_static_selectorELNS0_4arch9wavefront6targetE1EEEvT1_,@function
_ZN7rocprim17ROCPRIM_400000_NS6detail17trampoline_kernelINS0_14default_configENS1_25partition_config_selectorILNS1_17partition_subalgoE8ElNS0_10empty_typeEbEEZZNS1_14partition_implILS5_8ELb0ES3_jPlPS6_PKS6_NS0_5tupleIJS9_S6_EEENSD_IJSA_SA_EEENS0_18inequality_wrapperIZN2at6native12_GLOBAL__N_124unique_dim_cuda_templateImEESt5tupleIJNSH_6TensorESM_SM_EERKSM_lbbbEUlllE0_EEPmJS6_EEE10hipError_tPvRmT3_T4_T5_T6_T7_T9_mT8_P12ihipStream_tbDpT10_ENKUlT_T0_E_clISt17integral_constantIbLb1EES1C_EEDaS17_S18_EUlS17_E_NS1_11comp_targetILNS1_3genE0ELNS1_11target_archE4294967295ELNS1_3gpuE0ELNS1_3repE0EEENS1_30default_config_static_selectorELNS0_4arch9wavefront6targetE1EEEvT1_: ; @_ZN7rocprim17ROCPRIM_400000_NS6detail17trampoline_kernelINS0_14default_configENS1_25partition_config_selectorILNS1_17partition_subalgoE8ElNS0_10empty_typeEbEEZZNS1_14partition_implILS5_8ELb0ES3_jPlPS6_PKS6_NS0_5tupleIJS9_S6_EEENSD_IJSA_SA_EEENS0_18inequality_wrapperIZN2at6native12_GLOBAL__N_124unique_dim_cuda_templateImEESt5tupleIJNSH_6TensorESM_SM_EERKSM_lbbbEUlllE0_EEPmJS6_EEE10hipError_tPvRmT3_T4_T5_T6_T7_T9_mT8_P12ihipStream_tbDpT10_ENKUlT_T0_E_clISt17integral_constantIbLb1EES1C_EEDaS17_S18_EUlS17_E_NS1_11comp_targetILNS1_3genE0ELNS1_11target_archE4294967295ELNS1_3gpuE0ELNS1_3repE0EEENS1_30default_config_static_selectorELNS0_4arch9wavefront6targetE1EEEvT1_
; %bb.0:
	.section	.rodata,"a",@progbits
	.p2align	6, 0x0
	.amdhsa_kernel _ZN7rocprim17ROCPRIM_400000_NS6detail17trampoline_kernelINS0_14default_configENS1_25partition_config_selectorILNS1_17partition_subalgoE8ElNS0_10empty_typeEbEEZZNS1_14partition_implILS5_8ELb0ES3_jPlPS6_PKS6_NS0_5tupleIJS9_S6_EEENSD_IJSA_SA_EEENS0_18inequality_wrapperIZN2at6native12_GLOBAL__N_124unique_dim_cuda_templateImEESt5tupleIJNSH_6TensorESM_SM_EERKSM_lbbbEUlllE0_EEPmJS6_EEE10hipError_tPvRmT3_T4_T5_T6_T7_T9_mT8_P12ihipStream_tbDpT10_ENKUlT_T0_E_clISt17integral_constantIbLb1EES1C_EEDaS17_S18_EUlS17_E_NS1_11comp_targetILNS1_3genE0ELNS1_11target_archE4294967295ELNS1_3gpuE0ELNS1_3repE0EEENS1_30default_config_static_selectorELNS0_4arch9wavefront6targetE1EEEvT1_
		.amdhsa_group_segment_fixed_size 0
		.amdhsa_private_segment_fixed_size 0
		.amdhsa_kernarg_size 136
		.amdhsa_user_sgpr_count 6
		.amdhsa_user_sgpr_private_segment_buffer 1
		.amdhsa_user_sgpr_dispatch_ptr 0
		.amdhsa_user_sgpr_queue_ptr 0
		.amdhsa_user_sgpr_kernarg_segment_ptr 1
		.amdhsa_user_sgpr_dispatch_id 0
		.amdhsa_user_sgpr_flat_scratch_init 0
		.amdhsa_user_sgpr_kernarg_preload_length 0
		.amdhsa_user_sgpr_kernarg_preload_offset 0
		.amdhsa_user_sgpr_private_segment_size 0
		.amdhsa_uses_dynamic_stack 0
		.amdhsa_system_sgpr_private_segment_wavefront_offset 0
		.amdhsa_system_sgpr_workgroup_id_x 1
		.amdhsa_system_sgpr_workgroup_id_y 0
		.amdhsa_system_sgpr_workgroup_id_z 0
		.amdhsa_system_sgpr_workgroup_info 0
		.amdhsa_system_vgpr_workitem_id 0
		.amdhsa_next_free_vgpr 1
		.amdhsa_next_free_sgpr 0
		.amdhsa_accum_offset 4
		.amdhsa_reserve_vcc 0
		.amdhsa_reserve_flat_scratch 0
		.amdhsa_float_round_mode_32 0
		.amdhsa_float_round_mode_16_64 0
		.amdhsa_float_denorm_mode_32 3
		.amdhsa_float_denorm_mode_16_64 3
		.amdhsa_dx10_clamp 1
		.amdhsa_ieee_mode 1
		.amdhsa_fp16_overflow 0
		.amdhsa_tg_split 0
		.amdhsa_exception_fp_ieee_invalid_op 0
		.amdhsa_exception_fp_denorm_src 0
		.amdhsa_exception_fp_ieee_div_zero 0
		.amdhsa_exception_fp_ieee_overflow 0
		.amdhsa_exception_fp_ieee_underflow 0
		.amdhsa_exception_fp_ieee_inexact 0
		.amdhsa_exception_int_div_zero 0
	.end_amdhsa_kernel
	.section	.text._ZN7rocprim17ROCPRIM_400000_NS6detail17trampoline_kernelINS0_14default_configENS1_25partition_config_selectorILNS1_17partition_subalgoE8ElNS0_10empty_typeEbEEZZNS1_14partition_implILS5_8ELb0ES3_jPlPS6_PKS6_NS0_5tupleIJS9_S6_EEENSD_IJSA_SA_EEENS0_18inequality_wrapperIZN2at6native12_GLOBAL__N_124unique_dim_cuda_templateImEESt5tupleIJNSH_6TensorESM_SM_EERKSM_lbbbEUlllE0_EEPmJS6_EEE10hipError_tPvRmT3_T4_T5_T6_T7_T9_mT8_P12ihipStream_tbDpT10_ENKUlT_T0_E_clISt17integral_constantIbLb1EES1C_EEDaS17_S18_EUlS17_E_NS1_11comp_targetILNS1_3genE0ELNS1_11target_archE4294967295ELNS1_3gpuE0ELNS1_3repE0EEENS1_30default_config_static_selectorELNS0_4arch9wavefront6targetE1EEEvT1_,"axG",@progbits,_ZN7rocprim17ROCPRIM_400000_NS6detail17trampoline_kernelINS0_14default_configENS1_25partition_config_selectorILNS1_17partition_subalgoE8ElNS0_10empty_typeEbEEZZNS1_14partition_implILS5_8ELb0ES3_jPlPS6_PKS6_NS0_5tupleIJS9_S6_EEENSD_IJSA_SA_EEENS0_18inequality_wrapperIZN2at6native12_GLOBAL__N_124unique_dim_cuda_templateImEESt5tupleIJNSH_6TensorESM_SM_EERKSM_lbbbEUlllE0_EEPmJS6_EEE10hipError_tPvRmT3_T4_T5_T6_T7_T9_mT8_P12ihipStream_tbDpT10_ENKUlT_T0_E_clISt17integral_constantIbLb1EES1C_EEDaS17_S18_EUlS17_E_NS1_11comp_targetILNS1_3genE0ELNS1_11target_archE4294967295ELNS1_3gpuE0ELNS1_3repE0EEENS1_30default_config_static_selectorELNS0_4arch9wavefront6targetE1EEEvT1_,comdat
.Lfunc_end1669:
	.size	_ZN7rocprim17ROCPRIM_400000_NS6detail17trampoline_kernelINS0_14default_configENS1_25partition_config_selectorILNS1_17partition_subalgoE8ElNS0_10empty_typeEbEEZZNS1_14partition_implILS5_8ELb0ES3_jPlPS6_PKS6_NS0_5tupleIJS9_S6_EEENSD_IJSA_SA_EEENS0_18inequality_wrapperIZN2at6native12_GLOBAL__N_124unique_dim_cuda_templateImEESt5tupleIJNSH_6TensorESM_SM_EERKSM_lbbbEUlllE0_EEPmJS6_EEE10hipError_tPvRmT3_T4_T5_T6_T7_T9_mT8_P12ihipStream_tbDpT10_ENKUlT_T0_E_clISt17integral_constantIbLb1EES1C_EEDaS17_S18_EUlS17_E_NS1_11comp_targetILNS1_3genE0ELNS1_11target_archE4294967295ELNS1_3gpuE0ELNS1_3repE0EEENS1_30default_config_static_selectorELNS0_4arch9wavefront6targetE1EEEvT1_, .Lfunc_end1669-_ZN7rocprim17ROCPRIM_400000_NS6detail17trampoline_kernelINS0_14default_configENS1_25partition_config_selectorILNS1_17partition_subalgoE8ElNS0_10empty_typeEbEEZZNS1_14partition_implILS5_8ELb0ES3_jPlPS6_PKS6_NS0_5tupleIJS9_S6_EEENSD_IJSA_SA_EEENS0_18inequality_wrapperIZN2at6native12_GLOBAL__N_124unique_dim_cuda_templateImEESt5tupleIJNSH_6TensorESM_SM_EERKSM_lbbbEUlllE0_EEPmJS6_EEE10hipError_tPvRmT3_T4_T5_T6_T7_T9_mT8_P12ihipStream_tbDpT10_ENKUlT_T0_E_clISt17integral_constantIbLb1EES1C_EEDaS17_S18_EUlS17_E_NS1_11comp_targetILNS1_3genE0ELNS1_11target_archE4294967295ELNS1_3gpuE0ELNS1_3repE0EEENS1_30default_config_static_selectorELNS0_4arch9wavefront6targetE1EEEvT1_
                                        ; -- End function
	.section	.AMDGPU.csdata,"",@progbits
; Kernel info:
; codeLenInByte = 0
; NumSgprs: 4
; NumVgprs: 0
; NumAgprs: 0
; TotalNumVgprs: 0
; ScratchSize: 0
; MemoryBound: 0
; FloatMode: 240
; IeeeMode: 1
; LDSByteSize: 0 bytes/workgroup (compile time only)
; SGPRBlocks: 0
; VGPRBlocks: 0
; NumSGPRsForWavesPerEU: 4
; NumVGPRsForWavesPerEU: 1
; AccumOffset: 4
; Occupancy: 8
; WaveLimiterHint : 0
; COMPUTE_PGM_RSRC2:SCRATCH_EN: 0
; COMPUTE_PGM_RSRC2:USER_SGPR: 6
; COMPUTE_PGM_RSRC2:TRAP_HANDLER: 0
; COMPUTE_PGM_RSRC2:TGID_X_EN: 1
; COMPUTE_PGM_RSRC2:TGID_Y_EN: 0
; COMPUTE_PGM_RSRC2:TGID_Z_EN: 0
; COMPUTE_PGM_RSRC2:TIDIG_COMP_CNT: 0
; COMPUTE_PGM_RSRC3_GFX90A:ACCUM_OFFSET: 0
; COMPUTE_PGM_RSRC3_GFX90A:TG_SPLIT: 0
	.section	.text._ZN7rocprim17ROCPRIM_400000_NS6detail17trampoline_kernelINS0_14default_configENS1_25partition_config_selectorILNS1_17partition_subalgoE8ElNS0_10empty_typeEbEEZZNS1_14partition_implILS5_8ELb0ES3_jPlPS6_PKS6_NS0_5tupleIJS9_S6_EEENSD_IJSA_SA_EEENS0_18inequality_wrapperIZN2at6native12_GLOBAL__N_124unique_dim_cuda_templateImEESt5tupleIJNSH_6TensorESM_SM_EERKSM_lbbbEUlllE0_EEPmJS6_EEE10hipError_tPvRmT3_T4_T5_T6_T7_T9_mT8_P12ihipStream_tbDpT10_ENKUlT_T0_E_clISt17integral_constantIbLb1EES1C_EEDaS17_S18_EUlS17_E_NS1_11comp_targetILNS1_3genE5ELNS1_11target_archE942ELNS1_3gpuE9ELNS1_3repE0EEENS1_30default_config_static_selectorELNS0_4arch9wavefront6targetE1EEEvT1_,"axG",@progbits,_ZN7rocprim17ROCPRIM_400000_NS6detail17trampoline_kernelINS0_14default_configENS1_25partition_config_selectorILNS1_17partition_subalgoE8ElNS0_10empty_typeEbEEZZNS1_14partition_implILS5_8ELb0ES3_jPlPS6_PKS6_NS0_5tupleIJS9_S6_EEENSD_IJSA_SA_EEENS0_18inequality_wrapperIZN2at6native12_GLOBAL__N_124unique_dim_cuda_templateImEESt5tupleIJNSH_6TensorESM_SM_EERKSM_lbbbEUlllE0_EEPmJS6_EEE10hipError_tPvRmT3_T4_T5_T6_T7_T9_mT8_P12ihipStream_tbDpT10_ENKUlT_T0_E_clISt17integral_constantIbLb1EES1C_EEDaS17_S18_EUlS17_E_NS1_11comp_targetILNS1_3genE5ELNS1_11target_archE942ELNS1_3gpuE9ELNS1_3repE0EEENS1_30default_config_static_selectorELNS0_4arch9wavefront6targetE1EEEvT1_,comdat
	.globl	_ZN7rocprim17ROCPRIM_400000_NS6detail17trampoline_kernelINS0_14default_configENS1_25partition_config_selectorILNS1_17partition_subalgoE8ElNS0_10empty_typeEbEEZZNS1_14partition_implILS5_8ELb0ES3_jPlPS6_PKS6_NS0_5tupleIJS9_S6_EEENSD_IJSA_SA_EEENS0_18inequality_wrapperIZN2at6native12_GLOBAL__N_124unique_dim_cuda_templateImEESt5tupleIJNSH_6TensorESM_SM_EERKSM_lbbbEUlllE0_EEPmJS6_EEE10hipError_tPvRmT3_T4_T5_T6_T7_T9_mT8_P12ihipStream_tbDpT10_ENKUlT_T0_E_clISt17integral_constantIbLb1EES1C_EEDaS17_S18_EUlS17_E_NS1_11comp_targetILNS1_3genE5ELNS1_11target_archE942ELNS1_3gpuE9ELNS1_3repE0EEENS1_30default_config_static_selectorELNS0_4arch9wavefront6targetE1EEEvT1_ ; -- Begin function _ZN7rocprim17ROCPRIM_400000_NS6detail17trampoline_kernelINS0_14default_configENS1_25partition_config_selectorILNS1_17partition_subalgoE8ElNS0_10empty_typeEbEEZZNS1_14partition_implILS5_8ELb0ES3_jPlPS6_PKS6_NS0_5tupleIJS9_S6_EEENSD_IJSA_SA_EEENS0_18inequality_wrapperIZN2at6native12_GLOBAL__N_124unique_dim_cuda_templateImEESt5tupleIJNSH_6TensorESM_SM_EERKSM_lbbbEUlllE0_EEPmJS6_EEE10hipError_tPvRmT3_T4_T5_T6_T7_T9_mT8_P12ihipStream_tbDpT10_ENKUlT_T0_E_clISt17integral_constantIbLb1EES1C_EEDaS17_S18_EUlS17_E_NS1_11comp_targetILNS1_3genE5ELNS1_11target_archE942ELNS1_3gpuE9ELNS1_3repE0EEENS1_30default_config_static_selectorELNS0_4arch9wavefront6targetE1EEEvT1_
	.p2align	8
	.type	_ZN7rocprim17ROCPRIM_400000_NS6detail17trampoline_kernelINS0_14default_configENS1_25partition_config_selectorILNS1_17partition_subalgoE8ElNS0_10empty_typeEbEEZZNS1_14partition_implILS5_8ELb0ES3_jPlPS6_PKS6_NS0_5tupleIJS9_S6_EEENSD_IJSA_SA_EEENS0_18inequality_wrapperIZN2at6native12_GLOBAL__N_124unique_dim_cuda_templateImEESt5tupleIJNSH_6TensorESM_SM_EERKSM_lbbbEUlllE0_EEPmJS6_EEE10hipError_tPvRmT3_T4_T5_T6_T7_T9_mT8_P12ihipStream_tbDpT10_ENKUlT_T0_E_clISt17integral_constantIbLb1EES1C_EEDaS17_S18_EUlS17_E_NS1_11comp_targetILNS1_3genE5ELNS1_11target_archE942ELNS1_3gpuE9ELNS1_3repE0EEENS1_30default_config_static_selectorELNS0_4arch9wavefront6targetE1EEEvT1_,@function
_ZN7rocprim17ROCPRIM_400000_NS6detail17trampoline_kernelINS0_14default_configENS1_25partition_config_selectorILNS1_17partition_subalgoE8ElNS0_10empty_typeEbEEZZNS1_14partition_implILS5_8ELb0ES3_jPlPS6_PKS6_NS0_5tupleIJS9_S6_EEENSD_IJSA_SA_EEENS0_18inequality_wrapperIZN2at6native12_GLOBAL__N_124unique_dim_cuda_templateImEESt5tupleIJNSH_6TensorESM_SM_EERKSM_lbbbEUlllE0_EEPmJS6_EEE10hipError_tPvRmT3_T4_T5_T6_T7_T9_mT8_P12ihipStream_tbDpT10_ENKUlT_T0_E_clISt17integral_constantIbLb1EES1C_EEDaS17_S18_EUlS17_E_NS1_11comp_targetILNS1_3genE5ELNS1_11target_archE942ELNS1_3gpuE9ELNS1_3repE0EEENS1_30default_config_static_selectorELNS0_4arch9wavefront6targetE1EEEvT1_: ; @_ZN7rocprim17ROCPRIM_400000_NS6detail17trampoline_kernelINS0_14default_configENS1_25partition_config_selectorILNS1_17partition_subalgoE8ElNS0_10empty_typeEbEEZZNS1_14partition_implILS5_8ELb0ES3_jPlPS6_PKS6_NS0_5tupleIJS9_S6_EEENSD_IJSA_SA_EEENS0_18inequality_wrapperIZN2at6native12_GLOBAL__N_124unique_dim_cuda_templateImEESt5tupleIJNSH_6TensorESM_SM_EERKSM_lbbbEUlllE0_EEPmJS6_EEE10hipError_tPvRmT3_T4_T5_T6_T7_T9_mT8_P12ihipStream_tbDpT10_ENKUlT_T0_E_clISt17integral_constantIbLb1EES1C_EEDaS17_S18_EUlS17_E_NS1_11comp_targetILNS1_3genE5ELNS1_11target_archE942ELNS1_3gpuE9ELNS1_3repE0EEENS1_30default_config_static_selectorELNS0_4arch9wavefront6targetE1EEEvT1_
; %bb.0:
	.section	.rodata,"a",@progbits
	.p2align	6, 0x0
	.amdhsa_kernel _ZN7rocprim17ROCPRIM_400000_NS6detail17trampoline_kernelINS0_14default_configENS1_25partition_config_selectorILNS1_17partition_subalgoE8ElNS0_10empty_typeEbEEZZNS1_14partition_implILS5_8ELb0ES3_jPlPS6_PKS6_NS0_5tupleIJS9_S6_EEENSD_IJSA_SA_EEENS0_18inequality_wrapperIZN2at6native12_GLOBAL__N_124unique_dim_cuda_templateImEESt5tupleIJNSH_6TensorESM_SM_EERKSM_lbbbEUlllE0_EEPmJS6_EEE10hipError_tPvRmT3_T4_T5_T6_T7_T9_mT8_P12ihipStream_tbDpT10_ENKUlT_T0_E_clISt17integral_constantIbLb1EES1C_EEDaS17_S18_EUlS17_E_NS1_11comp_targetILNS1_3genE5ELNS1_11target_archE942ELNS1_3gpuE9ELNS1_3repE0EEENS1_30default_config_static_selectorELNS0_4arch9wavefront6targetE1EEEvT1_
		.amdhsa_group_segment_fixed_size 0
		.amdhsa_private_segment_fixed_size 0
		.amdhsa_kernarg_size 136
		.amdhsa_user_sgpr_count 6
		.amdhsa_user_sgpr_private_segment_buffer 1
		.amdhsa_user_sgpr_dispatch_ptr 0
		.amdhsa_user_sgpr_queue_ptr 0
		.amdhsa_user_sgpr_kernarg_segment_ptr 1
		.amdhsa_user_sgpr_dispatch_id 0
		.amdhsa_user_sgpr_flat_scratch_init 0
		.amdhsa_user_sgpr_kernarg_preload_length 0
		.amdhsa_user_sgpr_kernarg_preload_offset 0
		.amdhsa_user_sgpr_private_segment_size 0
		.amdhsa_uses_dynamic_stack 0
		.amdhsa_system_sgpr_private_segment_wavefront_offset 0
		.amdhsa_system_sgpr_workgroup_id_x 1
		.amdhsa_system_sgpr_workgroup_id_y 0
		.amdhsa_system_sgpr_workgroup_id_z 0
		.amdhsa_system_sgpr_workgroup_info 0
		.amdhsa_system_vgpr_workitem_id 0
		.amdhsa_next_free_vgpr 1
		.amdhsa_next_free_sgpr 0
		.amdhsa_accum_offset 4
		.amdhsa_reserve_vcc 0
		.amdhsa_reserve_flat_scratch 0
		.amdhsa_float_round_mode_32 0
		.amdhsa_float_round_mode_16_64 0
		.amdhsa_float_denorm_mode_32 3
		.amdhsa_float_denorm_mode_16_64 3
		.amdhsa_dx10_clamp 1
		.amdhsa_ieee_mode 1
		.amdhsa_fp16_overflow 0
		.amdhsa_tg_split 0
		.amdhsa_exception_fp_ieee_invalid_op 0
		.amdhsa_exception_fp_denorm_src 0
		.amdhsa_exception_fp_ieee_div_zero 0
		.amdhsa_exception_fp_ieee_overflow 0
		.amdhsa_exception_fp_ieee_underflow 0
		.amdhsa_exception_fp_ieee_inexact 0
		.amdhsa_exception_int_div_zero 0
	.end_amdhsa_kernel
	.section	.text._ZN7rocprim17ROCPRIM_400000_NS6detail17trampoline_kernelINS0_14default_configENS1_25partition_config_selectorILNS1_17partition_subalgoE8ElNS0_10empty_typeEbEEZZNS1_14partition_implILS5_8ELb0ES3_jPlPS6_PKS6_NS0_5tupleIJS9_S6_EEENSD_IJSA_SA_EEENS0_18inequality_wrapperIZN2at6native12_GLOBAL__N_124unique_dim_cuda_templateImEESt5tupleIJNSH_6TensorESM_SM_EERKSM_lbbbEUlllE0_EEPmJS6_EEE10hipError_tPvRmT3_T4_T5_T6_T7_T9_mT8_P12ihipStream_tbDpT10_ENKUlT_T0_E_clISt17integral_constantIbLb1EES1C_EEDaS17_S18_EUlS17_E_NS1_11comp_targetILNS1_3genE5ELNS1_11target_archE942ELNS1_3gpuE9ELNS1_3repE0EEENS1_30default_config_static_selectorELNS0_4arch9wavefront6targetE1EEEvT1_,"axG",@progbits,_ZN7rocprim17ROCPRIM_400000_NS6detail17trampoline_kernelINS0_14default_configENS1_25partition_config_selectorILNS1_17partition_subalgoE8ElNS0_10empty_typeEbEEZZNS1_14partition_implILS5_8ELb0ES3_jPlPS6_PKS6_NS0_5tupleIJS9_S6_EEENSD_IJSA_SA_EEENS0_18inequality_wrapperIZN2at6native12_GLOBAL__N_124unique_dim_cuda_templateImEESt5tupleIJNSH_6TensorESM_SM_EERKSM_lbbbEUlllE0_EEPmJS6_EEE10hipError_tPvRmT3_T4_T5_T6_T7_T9_mT8_P12ihipStream_tbDpT10_ENKUlT_T0_E_clISt17integral_constantIbLb1EES1C_EEDaS17_S18_EUlS17_E_NS1_11comp_targetILNS1_3genE5ELNS1_11target_archE942ELNS1_3gpuE9ELNS1_3repE0EEENS1_30default_config_static_selectorELNS0_4arch9wavefront6targetE1EEEvT1_,comdat
.Lfunc_end1670:
	.size	_ZN7rocprim17ROCPRIM_400000_NS6detail17trampoline_kernelINS0_14default_configENS1_25partition_config_selectorILNS1_17partition_subalgoE8ElNS0_10empty_typeEbEEZZNS1_14partition_implILS5_8ELb0ES3_jPlPS6_PKS6_NS0_5tupleIJS9_S6_EEENSD_IJSA_SA_EEENS0_18inequality_wrapperIZN2at6native12_GLOBAL__N_124unique_dim_cuda_templateImEESt5tupleIJNSH_6TensorESM_SM_EERKSM_lbbbEUlllE0_EEPmJS6_EEE10hipError_tPvRmT3_T4_T5_T6_T7_T9_mT8_P12ihipStream_tbDpT10_ENKUlT_T0_E_clISt17integral_constantIbLb1EES1C_EEDaS17_S18_EUlS17_E_NS1_11comp_targetILNS1_3genE5ELNS1_11target_archE942ELNS1_3gpuE9ELNS1_3repE0EEENS1_30default_config_static_selectorELNS0_4arch9wavefront6targetE1EEEvT1_, .Lfunc_end1670-_ZN7rocprim17ROCPRIM_400000_NS6detail17trampoline_kernelINS0_14default_configENS1_25partition_config_selectorILNS1_17partition_subalgoE8ElNS0_10empty_typeEbEEZZNS1_14partition_implILS5_8ELb0ES3_jPlPS6_PKS6_NS0_5tupleIJS9_S6_EEENSD_IJSA_SA_EEENS0_18inequality_wrapperIZN2at6native12_GLOBAL__N_124unique_dim_cuda_templateImEESt5tupleIJNSH_6TensorESM_SM_EERKSM_lbbbEUlllE0_EEPmJS6_EEE10hipError_tPvRmT3_T4_T5_T6_T7_T9_mT8_P12ihipStream_tbDpT10_ENKUlT_T0_E_clISt17integral_constantIbLb1EES1C_EEDaS17_S18_EUlS17_E_NS1_11comp_targetILNS1_3genE5ELNS1_11target_archE942ELNS1_3gpuE9ELNS1_3repE0EEENS1_30default_config_static_selectorELNS0_4arch9wavefront6targetE1EEEvT1_
                                        ; -- End function
	.section	.AMDGPU.csdata,"",@progbits
; Kernel info:
; codeLenInByte = 0
; NumSgprs: 4
; NumVgprs: 0
; NumAgprs: 0
; TotalNumVgprs: 0
; ScratchSize: 0
; MemoryBound: 0
; FloatMode: 240
; IeeeMode: 1
; LDSByteSize: 0 bytes/workgroup (compile time only)
; SGPRBlocks: 0
; VGPRBlocks: 0
; NumSGPRsForWavesPerEU: 4
; NumVGPRsForWavesPerEU: 1
; AccumOffset: 4
; Occupancy: 8
; WaveLimiterHint : 0
; COMPUTE_PGM_RSRC2:SCRATCH_EN: 0
; COMPUTE_PGM_RSRC2:USER_SGPR: 6
; COMPUTE_PGM_RSRC2:TRAP_HANDLER: 0
; COMPUTE_PGM_RSRC2:TGID_X_EN: 1
; COMPUTE_PGM_RSRC2:TGID_Y_EN: 0
; COMPUTE_PGM_RSRC2:TGID_Z_EN: 0
; COMPUTE_PGM_RSRC2:TIDIG_COMP_CNT: 0
; COMPUTE_PGM_RSRC3_GFX90A:ACCUM_OFFSET: 0
; COMPUTE_PGM_RSRC3_GFX90A:TG_SPLIT: 0
	.section	.text._ZN7rocprim17ROCPRIM_400000_NS6detail17trampoline_kernelINS0_14default_configENS1_25partition_config_selectorILNS1_17partition_subalgoE8ElNS0_10empty_typeEbEEZZNS1_14partition_implILS5_8ELb0ES3_jPlPS6_PKS6_NS0_5tupleIJS9_S6_EEENSD_IJSA_SA_EEENS0_18inequality_wrapperIZN2at6native12_GLOBAL__N_124unique_dim_cuda_templateImEESt5tupleIJNSH_6TensorESM_SM_EERKSM_lbbbEUlllE0_EEPmJS6_EEE10hipError_tPvRmT3_T4_T5_T6_T7_T9_mT8_P12ihipStream_tbDpT10_ENKUlT_T0_E_clISt17integral_constantIbLb1EES1C_EEDaS17_S18_EUlS17_E_NS1_11comp_targetILNS1_3genE4ELNS1_11target_archE910ELNS1_3gpuE8ELNS1_3repE0EEENS1_30default_config_static_selectorELNS0_4arch9wavefront6targetE1EEEvT1_,"axG",@progbits,_ZN7rocprim17ROCPRIM_400000_NS6detail17trampoline_kernelINS0_14default_configENS1_25partition_config_selectorILNS1_17partition_subalgoE8ElNS0_10empty_typeEbEEZZNS1_14partition_implILS5_8ELb0ES3_jPlPS6_PKS6_NS0_5tupleIJS9_S6_EEENSD_IJSA_SA_EEENS0_18inequality_wrapperIZN2at6native12_GLOBAL__N_124unique_dim_cuda_templateImEESt5tupleIJNSH_6TensorESM_SM_EERKSM_lbbbEUlllE0_EEPmJS6_EEE10hipError_tPvRmT3_T4_T5_T6_T7_T9_mT8_P12ihipStream_tbDpT10_ENKUlT_T0_E_clISt17integral_constantIbLb1EES1C_EEDaS17_S18_EUlS17_E_NS1_11comp_targetILNS1_3genE4ELNS1_11target_archE910ELNS1_3gpuE8ELNS1_3repE0EEENS1_30default_config_static_selectorELNS0_4arch9wavefront6targetE1EEEvT1_,comdat
	.globl	_ZN7rocprim17ROCPRIM_400000_NS6detail17trampoline_kernelINS0_14default_configENS1_25partition_config_selectorILNS1_17partition_subalgoE8ElNS0_10empty_typeEbEEZZNS1_14partition_implILS5_8ELb0ES3_jPlPS6_PKS6_NS0_5tupleIJS9_S6_EEENSD_IJSA_SA_EEENS0_18inequality_wrapperIZN2at6native12_GLOBAL__N_124unique_dim_cuda_templateImEESt5tupleIJNSH_6TensorESM_SM_EERKSM_lbbbEUlllE0_EEPmJS6_EEE10hipError_tPvRmT3_T4_T5_T6_T7_T9_mT8_P12ihipStream_tbDpT10_ENKUlT_T0_E_clISt17integral_constantIbLb1EES1C_EEDaS17_S18_EUlS17_E_NS1_11comp_targetILNS1_3genE4ELNS1_11target_archE910ELNS1_3gpuE8ELNS1_3repE0EEENS1_30default_config_static_selectorELNS0_4arch9wavefront6targetE1EEEvT1_ ; -- Begin function _ZN7rocprim17ROCPRIM_400000_NS6detail17trampoline_kernelINS0_14default_configENS1_25partition_config_selectorILNS1_17partition_subalgoE8ElNS0_10empty_typeEbEEZZNS1_14partition_implILS5_8ELb0ES3_jPlPS6_PKS6_NS0_5tupleIJS9_S6_EEENSD_IJSA_SA_EEENS0_18inequality_wrapperIZN2at6native12_GLOBAL__N_124unique_dim_cuda_templateImEESt5tupleIJNSH_6TensorESM_SM_EERKSM_lbbbEUlllE0_EEPmJS6_EEE10hipError_tPvRmT3_T4_T5_T6_T7_T9_mT8_P12ihipStream_tbDpT10_ENKUlT_T0_E_clISt17integral_constantIbLb1EES1C_EEDaS17_S18_EUlS17_E_NS1_11comp_targetILNS1_3genE4ELNS1_11target_archE910ELNS1_3gpuE8ELNS1_3repE0EEENS1_30default_config_static_selectorELNS0_4arch9wavefront6targetE1EEEvT1_
	.p2align	8
	.type	_ZN7rocprim17ROCPRIM_400000_NS6detail17trampoline_kernelINS0_14default_configENS1_25partition_config_selectorILNS1_17partition_subalgoE8ElNS0_10empty_typeEbEEZZNS1_14partition_implILS5_8ELb0ES3_jPlPS6_PKS6_NS0_5tupleIJS9_S6_EEENSD_IJSA_SA_EEENS0_18inequality_wrapperIZN2at6native12_GLOBAL__N_124unique_dim_cuda_templateImEESt5tupleIJNSH_6TensorESM_SM_EERKSM_lbbbEUlllE0_EEPmJS6_EEE10hipError_tPvRmT3_T4_T5_T6_T7_T9_mT8_P12ihipStream_tbDpT10_ENKUlT_T0_E_clISt17integral_constantIbLb1EES1C_EEDaS17_S18_EUlS17_E_NS1_11comp_targetILNS1_3genE4ELNS1_11target_archE910ELNS1_3gpuE8ELNS1_3repE0EEENS1_30default_config_static_selectorELNS0_4arch9wavefront6targetE1EEEvT1_,@function
_ZN7rocprim17ROCPRIM_400000_NS6detail17trampoline_kernelINS0_14default_configENS1_25partition_config_selectorILNS1_17partition_subalgoE8ElNS0_10empty_typeEbEEZZNS1_14partition_implILS5_8ELb0ES3_jPlPS6_PKS6_NS0_5tupleIJS9_S6_EEENSD_IJSA_SA_EEENS0_18inequality_wrapperIZN2at6native12_GLOBAL__N_124unique_dim_cuda_templateImEESt5tupleIJNSH_6TensorESM_SM_EERKSM_lbbbEUlllE0_EEPmJS6_EEE10hipError_tPvRmT3_T4_T5_T6_T7_T9_mT8_P12ihipStream_tbDpT10_ENKUlT_T0_E_clISt17integral_constantIbLb1EES1C_EEDaS17_S18_EUlS17_E_NS1_11comp_targetILNS1_3genE4ELNS1_11target_archE910ELNS1_3gpuE8ELNS1_3repE0EEENS1_30default_config_static_selectorELNS0_4arch9wavefront6targetE1EEEvT1_: ; @_ZN7rocprim17ROCPRIM_400000_NS6detail17trampoline_kernelINS0_14default_configENS1_25partition_config_selectorILNS1_17partition_subalgoE8ElNS0_10empty_typeEbEEZZNS1_14partition_implILS5_8ELb0ES3_jPlPS6_PKS6_NS0_5tupleIJS9_S6_EEENSD_IJSA_SA_EEENS0_18inequality_wrapperIZN2at6native12_GLOBAL__N_124unique_dim_cuda_templateImEESt5tupleIJNSH_6TensorESM_SM_EERKSM_lbbbEUlllE0_EEPmJS6_EEE10hipError_tPvRmT3_T4_T5_T6_T7_T9_mT8_P12ihipStream_tbDpT10_ENKUlT_T0_E_clISt17integral_constantIbLb1EES1C_EEDaS17_S18_EUlS17_E_NS1_11comp_targetILNS1_3genE4ELNS1_11target_archE910ELNS1_3gpuE8ELNS1_3repE0EEENS1_30default_config_static_selectorELNS0_4arch9wavefront6targetE1EEEvT1_
; %bb.0:
	s_load_dwordx2 s[28:29], s[4:5], 0x28
	s_load_dwordx8 s[20:27], s[4:5], 0x40
	s_load_dwordx4 s[16:19], s[4:5], 0x60
	v_cmp_ne_u32_e64 s[2:3], 0, v0
	v_cmp_eq_u32_e64 s[0:1], 0, v0
	s_and_saveexec_b64 s[6:7], s[0:1]
	s_cbranch_execz .LBB1671_4
; %bb.1:
	s_mov_b64 s[10:11], exec
	v_mbcnt_lo_u32_b32 v1, s10, 0
	v_mbcnt_hi_u32_b32 v1, s11, v1
	v_cmp_eq_u32_e32 vcc, 0, v1
                                        ; implicit-def: $vgpr2
	s_and_saveexec_b64 s[8:9], vcc
	s_cbranch_execz .LBB1671_3
; %bb.2:
	s_load_dwordx2 s[12:13], s[4:5], 0x78
	s_bcnt1_i32_b64 s10, s[10:11]
	v_mov_b32_e32 v2, 0
	v_mov_b32_e32 v3, s10
	s_waitcnt lgkmcnt(0)
	global_atomic_add v2, v2, v3, s[12:13] glc
.LBB1671_3:
	s_or_b64 exec, exec, s[8:9]
	s_waitcnt vmcnt(0)
	v_readfirstlane_b32 s8, v2
	v_add_u32_e32 v1, s8, v1
	v_mov_b32_e32 v2, 0
	ds_write_b32 v2, v1
.LBB1671_4:
	s_or_b64 exec, exec, s[6:7]
	v_mov_b32_e32 v3, 0
	s_load_dwordx4 s[8:11], s[4:5], 0x8
	s_load_dword s12, s[4:5], 0x70
	s_waitcnt lgkmcnt(0)
	s_barrier
	ds_read_b32 v1, v3
	s_waitcnt lgkmcnt(0)
	s_barrier
	global_load_dwordx2 v[4:5], v3, s[22:23]
	s_lshl_b64 s[4:5], s[10:11], 3
	s_mul_i32 s14, s12, 0x500
	s_add_u32 s8, s8, s4
	s_addc_u32 s4, s9, s5
	s_add_i32 s5, s14, s10
	s_add_i32 s12, s12, -1
	s_sub_i32 s48, s24, s5
	v_mov_b32_e32 v8, s4
	s_add_u32 s4, s10, s14
	s_addc_u32 s5, s11, 0
	v_readfirstlane_b32 s33, v1
	v_mov_b32_e32 v6, s24
	v_mov_b32_e32 v7, s25
	s_movk_i32 s13, 0x500
	s_cmp_eq_u32 s33, s12
	v_mul_lo_u32 v2, v1, s13
	v_cmp_ge_u64_e32 vcc, s[4:5], v[6:7]
	s_cselect_b64 s[24:25], -1, 0
	v_lshlrev_b64 v[2:3], 3, v[2:3]
	s_and_b64 s[12:13], vcc, s[24:25]
	v_add_co_u32_e64 v18, s[4:5], s8, v2
	s_xor_b64 s[30:31], s[12:13], -1
	s_mov_b64 s[6:7], -1
	v_addc_co_u32_e64 v19, s[4:5], v8, v3, s[4:5]
	s_and_b64 vcc, exec, s[30:31]
	s_waitcnt vmcnt(0)
	v_readfirstlane_b32 s22, v4
	v_readfirstlane_b32 s23, v5
	s_cbranch_vccz .LBB1671_6
; %bb.5:
	v_lshlrev_b32_e32 v1, 3, v0
	v_add_co_u32_e32 v12, vcc, v18, v1
	v_addc_co_u32_e32 v13, vcc, 0, v19, vcc
	v_add_co_u32_e32 v2, vcc, 0x1000, v12
	v_readfirstlane_b32 s4, v18
	v_readfirstlane_b32 s5, v19
	v_addc_co_u32_e32 v3, vcc, 0, v13, vcc
	s_nop 3
	global_load_dwordx2 v[4:5], v1, s[4:5]
	global_load_dwordx2 v[6:7], v1, s[4:5] offset:2048
	global_load_dwordx2 v[8:9], v[2:3], off
	global_load_dwordx2 v[10:11], v[2:3], off offset:2048
	v_add_co_u32_e32 v2, vcc, 0x2000, v12
	v_addc_co_u32_e32 v3, vcc, 0, v13, vcc
	global_load_dwordx2 v[2:3], v[2:3], off
	s_mov_b64 s[6:7], 0
	s_waitcnt vmcnt(3)
	ds_write2st64_b64 v1, v[4:5], v[6:7] offset1:4
	s_waitcnt vmcnt(1)
	ds_write2st64_b64 v1, v[8:9], v[10:11] offset0:8 offset1:12
	s_waitcnt vmcnt(0)
	ds_write_b64 v1, v[2:3] offset:8192
	s_waitcnt lgkmcnt(0)
	s_barrier
.LBB1671_6:
	s_andn2_b64 vcc, exec, s[6:7]
	s_addk_i32 s48, 0x500
	s_cbranch_vccnz .LBB1671_18
; %bb.7:
	v_cmp_gt_u32_e32 vcc, s48, v0
                                        ; implicit-def: $vgpr2_vgpr3_vgpr4_vgpr5_vgpr6_vgpr7_vgpr8_vgpr9_vgpr10_vgpr11_vgpr12_vgpr13_vgpr14_vgpr15_vgpr16_vgpr17
	s_and_saveexec_b64 s[4:5], vcc
	s_cbranch_execz .LBB1671_9
; %bb.8:
	v_lshlrev_b32_e32 v1, 3, v0
	v_readfirstlane_b32 s6, v18
	v_readfirstlane_b32 s7, v19
	s_nop 4
	global_load_dwordx2 v[2:3], v1, s[6:7]
.LBB1671_9:
	s_or_b64 exec, exec, s[4:5]
	v_or_b32_e32 v1, 0x100, v0
	v_cmp_gt_u32_e32 vcc, s48, v1
	s_and_saveexec_b64 s[4:5], vcc
	s_cbranch_execz .LBB1671_11
; %bb.10:
	v_lshlrev_b32_e32 v1, 3, v0
	v_readfirstlane_b32 s6, v18
	v_readfirstlane_b32 s7, v19
	s_nop 4
	global_load_dwordx2 v[4:5], v1, s[6:7] offset:2048
.LBB1671_11:
	s_or_b64 exec, exec, s[4:5]
	v_or_b32_e32 v1, 0x200, v0
	v_cmp_gt_u32_e32 vcc, s48, v1
	s_and_saveexec_b64 s[4:5], vcc
	s_cbranch_execz .LBB1671_13
; %bb.12:
	v_lshlrev_b32_e32 v1, 3, v1
	v_readfirstlane_b32 s6, v18
	v_readfirstlane_b32 s7, v19
	s_nop 4
	global_load_dwordx2 v[6:7], v1, s[6:7]
.LBB1671_13:
	s_or_b64 exec, exec, s[4:5]
	v_or_b32_e32 v1, 0x300, v0
	v_cmp_gt_u32_e32 vcc, s48, v1
	s_and_saveexec_b64 s[4:5], vcc
	s_cbranch_execz .LBB1671_15
; %bb.14:
	v_lshlrev_b32_e32 v1, 3, v1
	v_readfirstlane_b32 s6, v18
	v_readfirstlane_b32 s7, v19
	s_nop 4
	global_load_dwordx2 v[8:9], v1, s[6:7]
.LBB1671_15:
	;; [unrolled: 12-line block ×3, first 2 shown]
	s_or_b64 exec, exec, s[4:5]
	v_lshlrev_b32_e32 v1, 3, v0
	s_waitcnt vmcnt(0)
	ds_write2st64_b64 v1, v[2:3], v[4:5] offset1:4
	ds_write2st64_b64 v1, v[6:7], v[8:9] offset0:8 offset1:12
	ds_write_b64 v1, v[10:11] offset:8192
	s_waitcnt lgkmcnt(0)
	s_barrier
.LBB1671_18:
	v_mul_u32_u24_e32 v1, 5, v0
	v_lshlrev_b32_e32 v26, 3, v1
	ds_read2_b64 v[6:9], v26 offset1:1
	ds_read2_b64 v[2:5], v26 offset0:2 offset1:3
	ds_read_b64 v[10:11], v26 offset:32
	s_cmp_lg_u32 s33, 0
	s_cselect_b64 s[34:35], -1, 0
	s_cmp_lg_u64 s[10:11], 0
	s_cselect_b64 s[4:5], -1, 0
	s_or_b64 s[4:5], s[4:5], s[34:35]
	v_mad_u32_u24 v24, v0, 5, 1
	v_mad_u32_u24 v22, v0, 5, 2
	;; [unrolled: 1-line block ×4, first 2 shown]
	s_mov_b64 s[14:15], 0
	s_and_b64 vcc, exec, s[4:5]
	v_cmp_gt_i64_e64 s[4:5], s[26:27], 0
	s_waitcnt lgkmcnt(0)
	s_barrier
	s_cbranch_vccz .LBB1671_27
; %bb.19:
	global_load_dwordx2 v[14:15], v[18:19], off offset:-8
	v_cndmask_b32_e64 v12, 0, 1, s[4:5]
	v_lshlrev_b32_e32 v27, 3, v0
	s_mov_b64 s[10:11], 0
	s_and_b64 vcc, exec, s[30:31]
	v_cmp_ne_u32_e64 s[4:5], 1, v12
	ds_write_b64 v27, v[10:11]
	s_cbranch_vccz .LBB1671_28
; %bb.20:
	v_mul_lo_u32 v16, v5, s26
	v_mul_lo_u32 v17, v4, s27
	v_mad_u64_u32 v[12:13], s[6:7], v4, s26, 0
	v_add3_u32 v13, v13, v17, v16
	s_and_b64 vcc, exec, s[4:5]
	v_lshlrev_b64 v[12:13], 3, v[12:13]
	s_cbranch_vccnz .LBB1671_31
; %bb.21:
	v_mul_lo_u32 v18, v11, s26
	v_mul_lo_u32 v19, v10, s27
	v_mad_u64_u32 v[16:17], s[6:7], v10, s26, 0
	v_add3_u32 v17, v17, v19, v18
	v_mov_b32_e32 v19, s17
	v_add_co_u32_e32 v18, vcc, s16, v12
	v_addc_co_u32_e64 v19, s[6:7], v19, v13, vcc
	v_lshlrev_b64 v[16:17], 3, v[16:17]
	v_mov_b32_e32 v21, s17
	v_add_co_u32_e64 v20, s[6:7], s16, v16
	v_addc_co_u32_e64 v21, s[8:9], v21, v17, s[6:7]
	global_load_dwordx2 v[28:29], v[18:19], off
	global_load_dwordx2 v[30:31], v[20:21], off
	s_mov_b64 s[10:11], -1
	s_waitcnt vmcnt(0)
	v_cmp_eq_u64_e64 s[8:9], v[28:29], v[30:31]
	s_and_saveexec_b64 s[14:15], s[8:9]
	s_cbranch_execz .LBB1671_30
; %bb.22:
	v_mov_b32_e32 v16, s17
	v_addc_co_u32_e64 v17, s[6:7], v17, v16, s[6:7]
	v_add_co_u32_e64 v16, s[6:7], 8, v20
	v_mov_b32_e32 v19, s17
	v_addc_co_u32_e64 v17, s[6:7], 0, v17, s[6:7]
	v_addc_co_u32_e32 v19, vcc, v13, v19, vcc
	v_add_co_u32_e32 v18, vcc, 8, v18
	s_add_u32 s6, s26, -1
	v_addc_co_u32_e32 v19, vcc, 0, v19, vcc
	s_addc_u32 s7, s27, -1
	s_mov_b64 s[8:9], 0
	s_mov_b64 s[36:37], 0
                                        ; implicit-def: $sgpr10_sgpr11
	s_branch .LBB1671_25
.LBB1671_23:                            ;   in Loop: Header=BB1671_25 Depth=1
	global_load_dwordx2 v[20:21], v[18:19], off
	global_load_dwordx2 v[28:29], v[16:17], off
	v_add_co_u32_e32 v16, vcc, 8, v16
	v_addc_co_u32_e32 v17, vcc, 0, v17, vcc
	v_add_co_u32_e32 v18, vcc, 8, v18
	v_addc_co_u32_e32 v19, vcc, 0, v19, vcc
	s_add_u32 s36, s36, 1
	s_addc_u32 s37, s37, 0
	s_andn2_b64 s[10:11], s[10:11], exec
	s_waitcnt vmcnt(0)
	v_cmp_ne_u64_e32 vcc, v[20:21], v[28:29]
	s_and_b64 s[38:39], vcc, exec
	s_or_b64 s[10:11], s[10:11], s[38:39]
.LBB1671_24:                            ;   in Loop: Header=BB1671_25 Depth=1
	s_and_b64 s[38:39], exec, s[10:11]
	s_or_b64 s[8:9], s[38:39], s[8:9]
	v_pk_mov_b32 v[20:21], s[36:37], s[36:37] op_sel:[0,1]
	s_andn2_b64 exec, exec, s[8:9]
	s_cbranch_execz .LBB1671_29
.LBB1671_25:                            ; =>This Inner Loop Header: Depth=1
	s_or_b64 s[10:11], s[10:11], exec
	s_cmp_eq_u64 s[6:7], s[36:37]
	s_cbranch_scc0 .LBB1671_23
; %bb.26:                               ;   in Loop: Header=BB1671_25 Depth=1
                                        ; implicit-def: $vgpr16_vgpr17
                                        ; implicit-def: $vgpr18_vgpr19
	s_mov_b64 s[36:37], s[26:27]
	s_branch .LBB1671_24
.LBB1671_27:
                                        ; implicit-def: $sgpr36_sgpr37
                                        ; implicit-def: $vgpr13
                                        ; implicit-def: $vgpr16
	s_branch .LBB1671_129
.LBB1671_28:
                                        ; implicit-def: $sgpr36_sgpr37
                                        ; implicit-def: $vgpr13
                                        ; implicit-def: $vgpr16
	s_cbranch_execnz .LBB1671_70
	s_branch .LBB1671_128
.LBB1671_29:
	s_or_b64 exec, exec, s[8:9]
	v_cmp_gt_i64_e32 vcc, s[26:27], v[20:21]
	s_orn2_b64 s[10:11], vcc, exec
.LBB1671_30:
	s_or_b64 exec, exec, s[14:15]
.LBB1671_31:
	v_mul_lo_u32 v18, v3, s26
	v_mul_lo_u32 v19, v2, s27
	v_mad_u64_u32 v[16:17], s[6:7], v2, s26, 0
	v_add3_u32 v17, v17, v19, v18
	s_mov_b64 s[14:15], 0
	s_and_b64 vcc, exec, s[4:5]
	v_lshlrev_b64 v[18:19], 3, v[16:17]
	s_mov_b64 s[36:37], 0
	s_cbranch_vccnz .LBB1671_40
; %bb.32:
	v_mov_b32_e32 v17, s17
	v_add_co_u32_e32 v16, vcc, s16, v18
	v_addc_co_u32_e64 v17, s[6:7], v17, v19, vcc
	v_mov_b32_e32 v21, s17
	v_add_co_u32_e64 v20, s[6:7], s16, v12
	v_addc_co_u32_e64 v21, s[8:9], v21, v13, s[6:7]
	global_load_dwordx2 v[28:29], v[16:17], off
	global_load_dwordx2 v[30:31], v[20:21], off
	s_mov_b64 s[36:37], -1
	s_waitcnt vmcnt(0)
	v_cmp_eq_u64_e64 s[8:9], v[28:29], v[30:31]
	s_and_saveexec_b64 s[38:39], s[8:9]
	s_cbranch_execz .LBB1671_39
; %bb.33:
	v_mov_b32_e32 v12, s17
	v_addc_co_u32_e64 v13, s[6:7], v13, v12, s[6:7]
	v_add_co_u32_e64 v12, s[6:7], 8, v20
	v_mov_b32_e32 v17, s17
	v_addc_co_u32_e64 v13, s[6:7], 0, v13, s[6:7]
	v_addc_co_u32_e32 v17, vcc, v19, v17, vcc
	v_add_co_u32_e32 v16, vcc, 8, v16
	s_add_u32 s6, s26, -1
	v_addc_co_u32_e32 v17, vcc, 0, v17, vcc
	s_addc_u32 s7, s27, -1
	s_mov_b64 s[8:9], 0
	s_mov_b64 s[40:41], 0
                                        ; implicit-def: $sgpr36_sgpr37
	s_branch .LBB1671_36
.LBB1671_34:                            ;   in Loop: Header=BB1671_36 Depth=1
	global_load_dwordx2 v[20:21], v[16:17], off
	global_load_dwordx2 v[28:29], v[12:13], off
	v_add_co_u32_e32 v12, vcc, 8, v12
	v_addc_co_u32_e32 v13, vcc, 0, v13, vcc
	v_add_co_u32_e32 v16, vcc, 8, v16
	v_addc_co_u32_e32 v17, vcc, 0, v17, vcc
	s_add_u32 s40, s40, 1
	s_addc_u32 s41, s41, 0
	s_andn2_b64 s[36:37], s[36:37], exec
	s_waitcnt vmcnt(0)
	v_cmp_ne_u64_e32 vcc, v[20:21], v[28:29]
	s_and_b64 s[42:43], vcc, exec
	s_or_b64 s[36:37], s[36:37], s[42:43]
.LBB1671_35:                            ;   in Loop: Header=BB1671_36 Depth=1
	s_and_b64 s[42:43], exec, s[36:37]
	s_or_b64 s[8:9], s[42:43], s[8:9]
	v_pk_mov_b32 v[20:21], s[40:41], s[40:41] op_sel:[0,1]
	s_andn2_b64 exec, exec, s[8:9]
	s_cbranch_execz .LBB1671_38
.LBB1671_36:                            ; =>This Inner Loop Header: Depth=1
	s_or_b64 s[36:37], s[36:37], exec
	s_cmp_eq_u64 s[6:7], s[40:41]
	s_cbranch_scc0 .LBB1671_34
; %bb.37:                               ;   in Loop: Header=BB1671_36 Depth=1
                                        ; implicit-def: $vgpr12_vgpr13
                                        ; implicit-def: $vgpr16_vgpr17
	s_mov_b64 s[40:41], s[26:27]
	s_branch .LBB1671_35
.LBB1671_38:
	s_or_b64 exec, exec, s[8:9]
	v_cmp_gt_i64_e32 vcc, s[26:27], v[20:21]
	s_orn2_b64 s[36:37], vcc, exec
.LBB1671_39:
	s_or_b64 exec, exec, s[38:39]
.LBB1671_40:
	v_mul_lo_u32 v16, v9, s26
	v_mul_lo_u32 v17, v8, s27
	v_mad_u64_u32 v[12:13], s[6:7], v8, s26, 0
	v_add3_u32 v13, v13, v17, v16
	s_and_b64 vcc, exec, s[4:5]
	v_lshlrev_b64 v[16:17], 3, v[12:13]
	s_cbranch_vccnz .LBB1671_49
; %bb.41:
	v_mov_b32_e32 v12, s17
	v_add_co_u32_e32 v20, vcc, s16, v16
	v_addc_co_u32_e64 v21, s[6:7], v12, v17, vcc
	v_mov_b32_e32 v13, s17
	v_add_co_u32_e64 v12, s[6:7], s16, v18
	v_addc_co_u32_e64 v13, s[8:9], v13, v19, s[6:7]
	global_load_dwordx2 v[28:29], v[20:21], off
	global_load_dwordx2 v[30:31], v[12:13], off
	s_mov_b64 s[14:15], -1
	s_waitcnt vmcnt(0)
	v_cmp_eq_u64_e64 s[8:9], v[28:29], v[30:31]
	s_and_saveexec_b64 s[38:39], s[8:9]
	s_cbranch_execz .LBB1671_48
; %bb.42:
	v_mov_b32_e32 v13, s17
	v_addc_co_u32_e64 v13, s[6:7], v19, v13, s[6:7]
	v_add_co_u32_e64 v12, s[6:7], 8, v12
	v_mov_b32_e32 v18, s17
	v_addc_co_u32_e64 v13, s[6:7], 0, v13, s[6:7]
	v_addc_co_u32_e32 v19, vcc, v17, v18, vcc
	v_add_co_u32_e32 v18, vcc, 8, v20
	s_add_u32 s6, s26, -1
	v_addc_co_u32_e32 v19, vcc, 0, v19, vcc
	s_addc_u32 s7, s27, -1
	s_mov_b64 s[8:9], 0
	s_mov_b64 s[40:41], 0
                                        ; implicit-def: $sgpr14_sgpr15
	s_branch .LBB1671_45
.LBB1671_43:                            ;   in Loop: Header=BB1671_45 Depth=1
	global_load_dwordx2 v[20:21], v[18:19], off
	global_load_dwordx2 v[28:29], v[12:13], off
	v_add_co_u32_e32 v12, vcc, 8, v12
	v_addc_co_u32_e32 v13, vcc, 0, v13, vcc
	v_add_co_u32_e32 v18, vcc, 8, v18
	v_addc_co_u32_e32 v19, vcc, 0, v19, vcc
	s_add_u32 s40, s40, 1
	s_addc_u32 s41, s41, 0
	s_andn2_b64 s[14:15], s[14:15], exec
	s_waitcnt vmcnt(0)
	v_cmp_ne_u64_e32 vcc, v[20:21], v[28:29]
	s_and_b64 s[42:43], vcc, exec
	s_or_b64 s[14:15], s[14:15], s[42:43]
.LBB1671_44:                            ;   in Loop: Header=BB1671_45 Depth=1
	s_and_b64 s[42:43], exec, s[14:15]
	s_or_b64 s[8:9], s[42:43], s[8:9]
	v_pk_mov_b32 v[20:21], s[40:41], s[40:41] op_sel:[0,1]
	s_andn2_b64 exec, exec, s[8:9]
	s_cbranch_execz .LBB1671_47
.LBB1671_45:                            ; =>This Inner Loop Header: Depth=1
	s_or_b64 s[14:15], s[14:15], exec
	s_cmp_eq_u64 s[6:7], s[40:41]
	s_cbranch_scc0 .LBB1671_43
; %bb.46:                               ;   in Loop: Header=BB1671_45 Depth=1
                                        ; implicit-def: $vgpr12_vgpr13
                                        ; implicit-def: $vgpr18_vgpr19
	s_mov_b64 s[40:41], s[26:27]
	s_branch .LBB1671_44
.LBB1671_47:
	s_or_b64 exec, exec, s[8:9]
	v_cmp_gt_i64_e32 vcc, s[26:27], v[20:21]
	s_orn2_b64 s[14:15], vcc, exec
.LBB1671_48:
	s_or_b64 exec, exec, s[38:39]
.LBB1671_49:
	v_mul_lo_u32 v18, v7, s26
	v_mul_lo_u32 v19, v6, s27
	v_mad_u64_u32 v[12:13], s[6:7], v6, s26, 0
	v_add3_u32 v13, v13, v19, v18
	s_mov_b64 s[40:41], 0
	s_and_b64 vcc, exec, s[4:5]
	v_lshlrev_b64 v[12:13], 3, v[12:13]
	s_cbranch_vccnz .LBB1671_58
; %bb.50:
	v_mov_b32_e32 v19, s17
	v_add_co_u32_e32 v18, vcc, s16, v12
	v_addc_co_u32_e64 v19, s[6:7], v19, v13, vcc
	v_mov_b32_e32 v21, s17
	v_add_co_u32_e64 v20, s[6:7], s16, v16
	v_addc_co_u32_e64 v21, s[8:9], v21, v17, s[6:7]
	global_load_dwordx2 v[28:29], v[18:19], off
	global_load_dwordx2 v[30:31], v[20:21], off
	s_mov_b64 s[40:41], -1
	s_waitcnt vmcnt(0)
	v_cmp_eq_u64_e64 s[8:9], v[28:29], v[30:31]
	s_and_saveexec_b64 s[38:39], s[8:9]
	s_cbranch_execz .LBB1671_57
; %bb.51:
	v_mov_b32_e32 v16, s17
	v_addc_co_u32_e64 v17, s[6:7], v17, v16, s[6:7]
	v_add_co_u32_e64 v16, s[6:7], 8, v20
	v_mov_b32_e32 v19, s17
	v_addc_co_u32_e64 v17, s[6:7], 0, v17, s[6:7]
	v_addc_co_u32_e32 v19, vcc, v13, v19, vcc
	v_add_co_u32_e32 v18, vcc, 8, v18
	s_add_u32 s6, s26, -1
	v_addc_co_u32_e32 v19, vcc, 0, v19, vcc
	s_addc_u32 s7, s27, -1
	s_mov_b64 s[8:9], 0
	s_mov_b64 s[42:43], 0
                                        ; implicit-def: $sgpr40_sgpr41
	s_branch .LBB1671_54
.LBB1671_52:                            ;   in Loop: Header=BB1671_54 Depth=1
	global_load_dwordx2 v[20:21], v[18:19], off
	global_load_dwordx2 v[28:29], v[16:17], off
	v_add_co_u32_e32 v16, vcc, 8, v16
	v_addc_co_u32_e32 v17, vcc, 0, v17, vcc
	v_add_co_u32_e32 v18, vcc, 8, v18
	v_addc_co_u32_e32 v19, vcc, 0, v19, vcc
	s_add_u32 s42, s42, 1
	s_addc_u32 s43, s43, 0
	s_andn2_b64 s[40:41], s[40:41], exec
	s_waitcnt vmcnt(0)
	v_cmp_ne_u64_e32 vcc, v[20:21], v[28:29]
	s_and_b64 s[44:45], vcc, exec
	s_or_b64 s[40:41], s[40:41], s[44:45]
.LBB1671_53:                            ;   in Loop: Header=BB1671_54 Depth=1
	s_and_b64 s[44:45], exec, s[40:41]
	s_or_b64 s[8:9], s[44:45], s[8:9]
	v_pk_mov_b32 v[20:21], s[42:43], s[42:43] op_sel:[0,1]
	s_andn2_b64 exec, exec, s[8:9]
	s_cbranch_execz .LBB1671_56
.LBB1671_54:                            ; =>This Inner Loop Header: Depth=1
	s_or_b64 s[40:41], s[40:41], exec
	s_cmp_eq_u64 s[6:7], s[42:43]
	s_cbranch_scc0 .LBB1671_52
; %bb.55:                               ;   in Loop: Header=BB1671_54 Depth=1
                                        ; implicit-def: $vgpr16_vgpr17
                                        ; implicit-def: $vgpr18_vgpr19
	s_mov_b64 s[42:43], s[26:27]
	s_branch .LBB1671_53
.LBB1671_56:
	s_or_b64 exec, exec, s[8:9]
	v_cmp_gt_i64_e32 vcc, s[26:27], v[20:21]
	s_orn2_b64 s[40:41], vcc, exec
.LBB1671_57:
	s_or_b64 exec, exec, s[38:39]
.LBB1671_58:
	s_waitcnt vmcnt(0)
	v_pk_mov_b32 v[16:17], v[14:15], v[14:15] op_sel:[0,1]
	s_waitcnt lgkmcnt(0)
	s_barrier
	s_and_saveexec_b64 s[6:7], s[2:3]
	s_cbranch_execz .LBB1671_60
; %bb.59:
	v_add_u32_e32 v16, -8, v27
	ds_read_b64 v[16:17], v16
.LBB1671_60:
	s_or_b64 exec, exec, s[6:7]
	v_cndmask_b32_e64 v19, 0, 1, s[36:37]
	v_cndmask_b32_e64 v18, 0, 1, s[14:15]
	;; [unrolled: 1-line block ×3, first 2 shown]
	v_lshlrev_b16_e32 v19, 8, v19
	v_lshlrev_b16_e32 v28, 8, v20
	v_or_b32_sdwa v29, v18, v19 dst_sel:WORD_1 dst_unused:UNUSED_PAD src0_sel:DWORD src1_sel:DWORD
	s_mov_b64 s[14:15], 0
	s_and_b64 vcc, exec, s[4:5]
	s_mov_b64 s[36:37], 0
	s_cbranch_vccnz .LBB1671_69
; %bb.61:
	s_waitcnt lgkmcnt(0)
	v_mul_lo_u32 v18, v17, s26
	v_mul_lo_u32 v19, v16, s27
	v_mad_u64_u32 v[16:17], s[6:7], v16, s26, 0
	v_add3_u32 v17, v17, v19, v18
	v_lshlrev_b64 v[16:17], 3, v[16:17]
	v_mov_b32_e32 v19, s17
	v_add_co_u32_e32 v18, vcc, s16, v16
	v_addc_co_u32_e64 v19, s[6:7], v19, v17, vcc
	v_mov_b32_e32 v16, s17
	v_add_co_u32_e64 v20, s[6:7], s16, v12
	v_addc_co_u32_e64 v21, s[8:9], v16, v13, s[6:7]
	global_load_dwordx2 v[30:31], v[18:19], off
	global_load_dwordx2 v[32:33], v[20:21], off
	s_mov_b64 s[36:37], -1
	s_waitcnt vmcnt(0)
	v_cmp_eq_u64_e64 s[8:9], v[30:31], v[32:33]
	s_and_saveexec_b64 s[38:39], s[8:9]
	s_cbranch_execz .LBB1671_68
; %bb.62:
	v_mov_b32_e32 v12, s17
	v_addc_co_u32_e64 v13, s[6:7], v13, v12, s[6:7]
	v_add_co_u32_e64 v12, s[6:7], 8, v20
	v_mov_b32_e32 v16, s17
	v_addc_co_u32_e64 v13, s[6:7], 0, v13, s[6:7]
	v_addc_co_u32_e32 v17, vcc, v17, v16, vcc
	v_add_co_u32_e32 v16, vcc, 8, v18
	s_add_u32 s6, s26, -1
	v_addc_co_u32_e32 v17, vcc, 0, v17, vcc
	s_addc_u32 s7, s27, -1
	s_mov_b64 s[8:9], 0
	s_mov_b64 s[40:41], 0
                                        ; implicit-def: $sgpr36_sgpr37
	s_branch .LBB1671_65
.LBB1671_63:                            ;   in Loop: Header=BB1671_65 Depth=1
	global_load_dwordx2 v[18:19], v[16:17], off
	global_load_dwordx2 v[20:21], v[12:13], off
	v_add_co_u32_e32 v12, vcc, 8, v12
	v_addc_co_u32_e32 v13, vcc, 0, v13, vcc
	v_add_co_u32_e32 v16, vcc, 8, v16
	v_addc_co_u32_e32 v17, vcc, 0, v17, vcc
	s_add_u32 s40, s40, 1
	s_addc_u32 s41, s41, 0
	s_andn2_b64 s[36:37], s[36:37], exec
	s_waitcnt vmcnt(0)
	v_cmp_ne_u64_e32 vcc, v[18:19], v[20:21]
	s_and_b64 s[42:43], vcc, exec
	s_or_b64 s[36:37], s[36:37], s[42:43]
.LBB1671_64:                            ;   in Loop: Header=BB1671_65 Depth=1
	s_and_b64 s[42:43], exec, s[36:37]
	s_or_b64 s[8:9], s[42:43], s[8:9]
	v_pk_mov_b32 v[18:19], s[40:41], s[40:41] op_sel:[0,1]
	s_andn2_b64 exec, exec, s[8:9]
	s_cbranch_execz .LBB1671_67
.LBB1671_65:                            ; =>This Inner Loop Header: Depth=1
	s_or_b64 s[36:37], s[36:37], exec
	s_cmp_eq_u64 s[6:7], s[40:41]
	s_cbranch_scc0 .LBB1671_63
; %bb.66:                               ;   in Loop: Header=BB1671_65 Depth=1
                                        ; implicit-def: $vgpr12_vgpr13
                                        ; implicit-def: $vgpr16_vgpr17
	s_mov_b64 s[40:41], s[26:27]
	s_branch .LBB1671_64
.LBB1671_67:
	s_or_b64 exec, exec, s[8:9]
	v_cmp_gt_i64_e32 vcc, s[26:27], v[18:19]
	s_orn2_b64 s[36:37], vcc, exec
.LBB1671_68:
	s_or_b64 exec, exec, s[38:39]
.LBB1671_69:
	v_cndmask_b32_e64 v13, 0, 1, s[10:11]
	s_waitcnt lgkmcnt(0)
	v_or_b32_e32 v16, v28, v29
	s_and_b64 vcc, exec, s[14:15]
	s_cbranch_vccz .LBB1671_128
.LBB1671_70:
	v_cmp_gt_u32_e32 vcc, s48, v23
	s_mov_b64 s[14:15], 0
	s_mov_b64 s[10:11], 0
	s_and_saveexec_b64 s[36:37], vcc
	s_cbranch_execz .LBB1671_81
; %bb.71:
	s_and_b64 vcc, exec, s[4:5]
	s_mov_b64 s[38:39], 0
	s_cbranch_vccnz .LBB1671_80
; %bb.72:
	v_mul_lo_u32 v16, v5, s26
	v_mul_lo_u32 v17, v4, s27
	v_mad_u64_u32 v[12:13], s[6:7], v4, s26, 0
	v_add3_u32 v13, v13, v17, v16
	v_mul_lo_u32 v16, v11, s26
	v_mul_lo_u32 v17, v10, s27
	v_mad_u64_u32 v[20:21], s[6:7], v10, s26, 0
	v_add3_u32 v21, v21, v17, v16
	v_lshlrev_b64 v[16:17], 3, v[12:13]
	v_mov_b32_e32 v12, s17
	v_add_co_u32_e32 v18, vcc, s16, v16
	v_addc_co_u32_e64 v19, s[6:7], v12, v17, vcc
	v_lshlrev_b64 v[12:13], 3, v[20:21]
	v_mov_b32_e32 v16, s17
	v_add_co_u32_e64 v20, s[6:7], s16, v12
	v_addc_co_u32_e64 v21, s[8:9], v16, v13, s[6:7]
	global_load_dwordx2 v[28:29], v[18:19], off
	global_load_dwordx2 v[30:31], v[20:21], off
	s_mov_b64 s[38:39], -1
	s_waitcnt vmcnt(0)
	v_cmp_eq_u64_e64 s[8:9], v[28:29], v[30:31]
	s_and_saveexec_b64 s[10:11], s[8:9]
	s_cbranch_execz .LBB1671_79
; %bb.73:
	v_mov_b32_e32 v12, s17
	v_addc_co_u32_e64 v13, s[6:7], v13, v12, s[6:7]
	v_add_co_u32_e64 v12, s[6:7], 8, v20
	v_mov_b32_e32 v16, s17
	v_addc_co_u32_e64 v13, s[6:7], 0, v13, s[6:7]
	v_addc_co_u32_e32 v17, vcc, v17, v16, vcc
	v_add_co_u32_e32 v16, vcc, 8, v18
	s_add_u32 s6, s26, -1
	v_addc_co_u32_e32 v17, vcc, 0, v17, vcc
	s_addc_u32 s7, s27, -1
	s_mov_b64 s[8:9], 0
	s_mov_b64 s[40:41], 0
                                        ; implicit-def: $sgpr38_sgpr39
	s_branch .LBB1671_76
.LBB1671_74:                            ;   in Loop: Header=BB1671_76 Depth=1
	global_load_dwordx2 v[18:19], v[16:17], off
	global_load_dwordx2 v[20:21], v[12:13], off
	v_add_co_u32_e32 v12, vcc, 8, v12
	v_addc_co_u32_e32 v13, vcc, 0, v13, vcc
	v_add_co_u32_e32 v16, vcc, 8, v16
	v_addc_co_u32_e32 v17, vcc, 0, v17, vcc
	s_add_u32 s40, s40, 1
	s_addc_u32 s41, s41, 0
	s_andn2_b64 s[38:39], s[38:39], exec
	s_waitcnt vmcnt(0)
	v_cmp_ne_u64_e32 vcc, v[18:19], v[20:21]
	s_and_b64 s[42:43], vcc, exec
	s_or_b64 s[38:39], s[38:39], s[42:43]
.LBB1671_75:                            ;   in Loop: Header=BB1671_76 Depth=1
	s_and_b64 s[42:43], exec, s[38:39]
	s_or_b64 s[8:9], s[42:43], s[8:9]
	v_pk_mov_b32 v[18:19], s[40:41], s[40:41] op_sel:[0,1]
	s_andn2_b64 exec, exec, s[8:9]
	s_cbranch_execz .LBB1671_78
.LBB1671_76:                            ; =>This Inner Loop Header: Depth=1
	s_or_b64 s[38:39], s[38:39], exec
	s_cmp_eq_u64 s[6:7], s[40:41]
	s_cbranch_scc0 .LBB1671_74
; %bb.77:                               ;   in Loop: Header=BB1671_76 Depth=1
                                        ; implicit-def: $vgpr12_vgpr13
                                        ; implicit-def: $vgpr16_vgpr17
	s_mov_b64 s[40:41], s[26:27]
	s_branch .LBB1671_75
.LBB1671_78:
	s_or_b64 exec, exec, s[8:9]
	v_cmp_gt_i64_e32 vcc, s[26:27], v[18:19]
	s_orn2_b64 s[38:39], vcc, exec
.LBB1671_79:
	s_or_b64 exec, exec, s[10:11]
.LBB1671_80:
	s_and_b64 s[10:11], s[38:39], exec
.LBB1671_81:
	s_or_b64 exec, exec, s[36:37]
	v_cmp_gt_u32_e32 vcc, s48, v25
	s_and_saveexec_b64 s[36:37], vcc
	s_cbranch_execz .LBB1671_92
; %bb.82:
	s_and_b64 vcc, exec, s[4:5]
	s_mov_b64 s[38:39], 0
	s_cbranch_vccnz .LBB1671_91
; %bb.83:
	v_mul_lo_u32 v16, v3, s26
	v_mul_lo_u32 v17, v2, s27
	v_mad_u64_u32 v[12:13], s[6:7], v2, s26, 0
	v_add3_u32 v13, v13, v17, v16
	v_mul_lo_u32 v16, v5, s26
	v_mul_lo_u32 v17, v4, s27
	v_mad_u64_u32 v[20:21], s[6:7], v4, s26, 0
	v_add3_u32 v21, v21, v17, v16
	v_lshlrev_b64 v[16:17], 3, v[12:13]
	v_mov_b32_e32 v12, s17
	v_add_co_u32_e32 v18, vcc, s16, v16
	v_addc_co_u32_e64 v19, s[6:7], v12, v17, vcc
	v_lshlrev_b64 v[12:13], 3, v[20:21]
	v_mov_b32_e32 v16, s17
	v_add_co_u32_e64 v20, s[6:7], s16, v12
	v_addc_co_u32_e64 v21, s[8:9], v16, v13, s[6:7]
	global_load_dwordx2 v[28:29], v[18:19], off
	global_load_dwordx2 v[30:31], v[20:21], off
	s_mov_b64 s[38:39], -1
	s_waitcnt vmcnt(0)
	v_cmp_eq_u64_e64 s[8:9], v[28:29], v[30:31]
	s_and_saveexec_b64 s[14:15], s[8:9]
	s_cbranch_execz .LBB1671_90
; %bb.84:
	v_mov_b32_e32 v12, s17
	v_addc_co_u32_e64 v13, s[6:7], v13, v12, s[6:7]
	v_add_co_u32_e64 v12, s[6:7], 8, v20
	v_mov_b32_e32 v16, s17
	v_addc_co_u32_e64 v13, s[6:7], 0, v13, s[6:7]
	v_addc_co_u32_e32 v17, vcc, v17, v16, vcc
	v_add_co_u32_e32 v16, vcc, 8, v18
	s_add_u32 s6, s26, -1
	v_addc_co_u32_e32 v17, vcc, 0, v17, vcc
	s_addc_u32 s7, s27, -1
	s_mov_b64 s[8:9], 0
	s_mov_b64 s[40:41], 0
                                        ; implicit-def: $sgpr38_sgpr39
	s_branch .LBB1671_87
.LBB1671_85:                            ;   in Loop: Header=BB1671_87 Depth=1
	global_load_dwordx2 v[18:19], v[16:17], off
	global_load_dwordx2 v[20:21], v[12:13], off
	v_add_co_u32_e32 v12, vcc, 8, v12
	v_addc_co_u32_e32 v13, vcc, 0, v13, vcc
	v_add_co_u32_e32 v16, vcc, 8, v16
	v_addc_co_u32_e32 v17, vcc, 0, v17, vcc
	s_add_u32 s40, s40, 1
	s_addc_u32 s41, s41, 0
	s_andn2_b64 s[38:39], s[38:39], exec
	s_waitcnt vmcnt(0)
	v_cmp_ne_u64_e32 vcc, v[18:19], v[20:21]
	s_and_b64 s[42:43], vcc, exec
	s_or_b64 s[38:39], s[38:39], s[42:43]
.LBB1671_86:                            ;   in Loop: Header=BB1671_87 Depth=1
	s_and_b64 s[42:43], exec, s[38:39]
	s_or_b64 s[8:9], s[42:43], s[8:9]
	v_pk_mov_b32 v[18:19], s[40:41], s[40:41] op_sel:[0,1]
	s_andn2_b64 exec, exec, s[8:9]
	s_cbranch_execz .LBB1671_89
.LBB1671_87:                            ; =>This Inner Loop Header: Depth=1
	s_or_b64 s[38:39], s[38:39], exec
	s_cmp_eq_u64 s[6:7], s[40:41]
	s_cbranch_scc0 .LBB1671_85
; %bb.88:                               ;   in Loop: Header=BB1671_87 Depth=1
                                        ; implicit-def: $vgpr12_vgpr13
                                        ; implicit-def: $vgpr16_vgpr17
	s_mov_b64 s[40:41], s[26:27]
	s_branch .LBB1671_86
.LBB1671_89:
	s_or_b64 exec, exec, s[8:9]
	v_cmp_gt_i64_e32 vcc, s[26:27], v[18:19]
	s_orn2_b64 s[38:39], vcc, exec
.LBB1671_90:
	s_or_b64 exec, exec, s[14:15]
.LBB1671_91:
	s_and_b64 s[14:15], s[38:39], exec
.LBB1671_92:
	s_or_b64 exec, exec, s[36:37]
	v_cmp_gt_u32_e32 vcc, s48, v22
	s_mov_b64 s[36:37], 0
	s_mov_b64 s[38:39], 0
	s_and_saveexec_b64 s[40:41], vcc
	s_cbranch_execz .LBB1671_103
; %bb.93:
	s_and_b64 vcc, exec, s[4:5]
	s_mov_b64 s[42:43], 0
	s_cbranch_vccnz .LBB1671_102
; %bb.94:
	v_mul_lo_u32 v16, v9, s26
	v_mul_lo_u32 v17, v8, s27
	v_mad_u64_u32 v[12:13], s[6:7], v8, s26, 0
	v_add3_u32 v13, v13, v17, v16
	v_mul_lo_u32 v16, v3, s26
	v_mul_lo_u32 v17, v2, s27
	v_mad_u64_u32 v[20:21], s[6:7], v2, s26, 0
	v_add3_u32 v21, v21, v17, v16
	v_lshlrev_b64 v[16:17], 3, v[12:13]
	v_mov_b32_e32 v12, s17
	v_add_co_u32_e32 v18, vcc, s16, v16
	v_addc_co_u32_e64 v19, s[6:7], v12, v17, vcc
	v_lshlrev_b64 v[12:13], 3, v[20:21]
	v_mov_b32_e32 v16, s17
	v_add_co_u32_e64 v20, s[6:7], s16, v12
	v_addc_co_u32_e64 v21, s[8:9], v16, v13, s[6:7]
	global_load_dwordx2 v[28:29], v[18:19], off
	global_load_dwordx2 v[30:31], v[20:21], off
	s_mov_b64 s[42:43], -1
	s_waitcnt vmcnt(0)
	v_cmp_eq_u64_e64 s[8:9], v[28:29], v[30:31]
	s_and_saveexec_b64 s[38:39], s[8:9]
	s_cbranch_execz .LBB1671_101
; %bb.95:
	v_mov_b32_e32 v12, s17
	v_addc_co_u32_e64 v13, s[6:7], v13, v12, s[6:7]
	v_add_co_u32_e64 v12, s[6:7], 8, v20
	v_mov_b32_e32 v16, s17
	v_addc_co_u32_e64 v13, s[6:7], 0, v13, s[6:7]
	v_addc_co_u32_e32 v17, vcc, v17, v16, vcc
	v_add_co_u32_e32 v16, vcc, 8, v18
	s_add_u32 s6, s26, -1
	v_addc_co_u32_e32 v17, vcc, 0, v17, vcc
	s_addc_u32 s7, s27, -1
	s_mov_b64 s[8:9], 0
	s_mov_b64 s[44:45], 0
                                        ; implicit-def: $sgpr42_sgpr43
	s_branch .LBB1671_98
.LBB1671_96:                            ;   in Loop: Header=BB1671_98 Depth=1
	global_load_dwordx2 v[18:19], v[16:17], off
	global_load_dwordx2 v[20:21], v[12:13], off
	v_add_co_u32_e32 v12, vcc, 8, v12
	v_addc_co_u32_e32 v13, vcc, 0, v13, vcc
	v_add_co_u32_e32 v16, vcc, 8, v16
	v_addc_co_u32_e32 v17, vcc, 0, v17, vcc
	s_add_u32 s44, s44, 1
	s_addc_u32 s45, s45, 0
	s_andn2_b64 s[42:43], s[42:43], exec
	s_waitcnt vmcnt(0)
	v_cmp_ne_u64_e32 vcc, v[18:19], v[20:21]
	s_and_b64 s[46:47], vcc, exec
	s_or_b64 s[42:43], s[42:43], s[46:47]
.LBB1671_97:                            ;   in Loop: Header=BB1671_98 Depth=1
	s_and_b64 s[46:47], exec, s[42:43]
	s_or_b64 s[8:9], s[46:47], s[8:9]
	v_pk_mov_b32 v[18:19], s[44:45], s[44:45] op_sel:[0,1]
	s_andn2_b64 exec, exec, s[8:9]
	s_cbranch_execz .LBB1671_100
.LBB1671_98:                            ; =>This Inner Loop Header: Depth=1
	s_or_b64 s[42:43], s[42:43], exec
	s_cmp_eq_u64 s[6:7], s[44:45]
	s_cbranch_scc0 .LBB1671_96
; %bb.99:                               ;   in Loop: Header=BB1671_98 Depth=1
                                        ; implicit-def: $vgpr12_vgpr13
                                        ; implicit-def: $vgpr16_vgpr17
	s_mov_b64 s[44:45], s[26:27]
	s_branch .LBB1671_97
.LBB1671_100:
	s_or_b64 exec, exec, s[8:9]
	v_cmp_gt_i64_e32 vcc, s[26:27], v[18:19]
	s_orn2_b64 s[42:43], vcc, exec
.LBB1671_101:
	s_or_b64 exec, exec, s[38:39]
.LBB1671_102:
	s_and_b64 s[38:39], s[42:43], exec
.LBB1671_103:
	s_or_b64 exec, exec, s[40:41]
	v_cmp_gt_u32_e32 vcc, s48, v24
	s_and_saveexec_b64 s[40:41], vcc
	s_cbranch_execz .LBB1671_114
; %bb.104:
	s_and_b64 vcc, exec, s[4:5]
	s_mov_b64 s[42:43], 0
	s_cbranch_vccnz .LBB1671_113
; %bb.105:
	v_mul_lo_u32 v16, v7, s26
	v_mul_lo_u32 v17, v6, s27
	v_mad_u64_u32 v[12:13], s[6:7], v6, s26, 0
	v_add3_u32 v13, v13, v17, v16
	v_mul_lo_u32 v16, v9, s26
	v_mul_lo_u32 v17, v8, s27
	v_mad_u64_u32 v[20:21], s[6:7], v8, s26, 0
	v_add3_u32 v21, v21, v17, v16
	v_lshlrev_b64 v[16:17], 3, v[12:13]
	v_mov_b32_e32 v12, s17
	v_add_co_u32_e32 v18, vcc, s16, v16
	v_addc_co_u32_e64 v19, s[6:7], v12, v17, vcc
	v_lshlrev_b64 v[12:13], 3, v[20:21]
	v_mov_b32_e32 v16, s17
	v_add_co_u32_e64 v20, s[6:7], s16, v12
	v_addc_co_u32_e64 v21, s[8:9], v16, v13, s[6:7]
	global_load_dwordx2 v[28:29], v[18:19], off
	global_load_dwordx2 v[30:31], v[20:21], off
	s_mov_b64 s[42:43], -1
	s_waitcnt vmcnt(0)
	v_cmp_eq_u64_e64 s[8:9], v[28:29], v[30:31]
	s_and_saveexec_b64 s[36:37], s[8:9]
	s_cbranch_execz .LBB1671_112
; %bb.106:
	v_mov_b32_e32 v12, s17
	v_addc_co_u32_e64 v13, s[6:7], v13, v12, s[6:7]
	v_add_co_u32_e64 v12, s[6:7], 8, v20
	v_mov_b32_e32 v16, s17
	v_addc_co_u32_e64 v13, s[6:7], 0, v13, s[6:7]
	v_addc_co_u32_e32 v17, vcc, v17, v16, vcc
	v_add_co_u32_e32 v16, vcc, 8, v18
	s_add_u32 s6, s26, -1
	v_addc_co_u32_e32 v17, vcc, 0, v17, vcc
	s_addc_u32 s7, s27, -1
	s_mov_b64 s[8:9], 0
	s_mov_b64 s[44:45], 0
                                        ; implicit-def: $sgpr42_sgpr43
	s_branch .LBB1671_109
.LBB1671_107:                           ;   in Loop: Header=BB1671_109 Depth=1
	global_load_dwordx2 v[18:19], v[16:17], off
	global_load_dwordx2 v[20:21], v[12:13], off
	v_add_co_u32_e32 v12, vcc, 8, v12
	v_addc_co_u32_e32 v13, vcc, 0, v13, vcc
	v_add_co_u32_e32 v16, vcc, 8, v16
	v_addc_co_u32_e32 v17, vcc, 0, v17, vcc
	s_add_u32 s44, s44, 1
	s_addc_u32 s45, s45, 0
	s_andn2_b64 s[42:43], s[42:43], exec
	s_waitcnt vmcnt(0)
	v_cmp_ne_u64_e32 vcc, v[18:19], v[20:21]
	s_and_b64 s[46:47], vcc, exec
	s_or_b64 s[42:43], s[42:43], s[46:47]
.LBB1671_108:                           ;   in Loop: Header=BB1671_109 Depth=1
	s_and_b64 s[46:47], exec, s[42:43]
	s_or_b64 s[8:9], s[46:47], s[8:9]
	v_pk_mov_b32 v[18:19], s[44:45], s[44:45] op_sel:[0,1]
	s_andn2_b64 exec, exec, s[8:9]
	s_cbranch_execz .LBB1671_111
.LBB1671_109:                           ; =>This Inner Loop Header: Depth=1
	s_or_b64 s[42:43], s[42:43], exec
	s_cmp_eq_u64 s[6:7], s[44:45]
	s_cbranch_scc0 .LBB1671_107
; %bb.110:                              ;   in Loop: Header=BB1671_109 Depth=1
                                        ; implicit-def: $vgpr12_vgpr13
                                        ; implicit-def: $vgpr16_vgpr17
	s_mov_b64 s[44:45], s[26:27]
	s_branch .LBB1671_108
.LBB1671_111:
	s_or_b64 exec, exec, s[8:9]
	v_cmp_gt_i64_e32 vcc, s[26:27], v[18:19]
	s_orn2_b64 s[42:43], vcc, exec
.LBB1671_112:
	s_or_b64 exec, exec, s[36:37]
.LBB1671_113:
	s_and_b64 s[36:37], s[42:43], exec
.LBB1671_114:
	s_or_b64 exec, exec, s[40:41]
	s_waitcnt lgkmcnt(0)
	s_barrier
	s_and_saveexec_b64 s[6:7], s[2:3]
	s_cbranch_execz .LBB1671_116
; %bb.115:
	v_add_u32_e32 v12, -8, v27
	s_waitcnt vmcnt(0)
	ds_read_b64 v[14:15], v12
.LBB1671_116:
	s_or_b64 exec, exec, s[6:7]
	v_cndmask_b32_e64 v13, 0, 1, s[14:15]
	v_cndmask_b32_e64 v12, 0, 1, s[38:39]
	;; [unrolled: 1-line block ×3, first 2 shown]
	v_lshlrev_b16_e32 v13, 8, v13
	v_cmp_gt_u32_e32 vcc, s48, v1
	v_lshlrev_b16_e32 v20, 8, v16
	v_or_b32_sdwa v21, v12, v13 dst_sel:WORD_1 dst_unused:UNUSED_PAD src0_sel:DWORD src1_sel:DWORD
	s_mov_b64 s[36:37], 0
	s_and_saveexec_b64 s[8:9], vcc
	s_cbranch_execz .LBB1671_127
; %bb.117:
	s_and_b64 vcc, exec, s[4:5]
	s_cbranch_vccnz .LBB1671_126
; %bb.118:
	s_waitcnt vmcnt(0) lgkmcnt(0)
	v_mul_lo_u32 v15, v15, s26
	v_mul_lo_u32 v16, v14, s27
	v_mad_u64_u32 v[12:13], s[4:5], v14, s26, 0
	v_add3_u32 v13, v13, v16, v15
	v_mul_lo_u32 v14, v7, s26
	v_mul_lo_u32 v15, v6, s27
	v_mad_u64_u32 v[18:19], s[4:5], v6, s26, 0
	v_add3_u32 v19, v19, v15, v14
	v_lshlrev_b64 v[14:15], 3, v[12:13]
	v_mov_b32_e32 v12, s17
	v_add_co_u32_e32 v16, vcc, s16, v14
	v_addc_co_u32_e64 v17, s[4:5], v12, v15, vcc
	v_lshlrev_b64 v[12:13], 3, v[18:19]
	v_mov_b32_e32 v14, s17
	v_add_co_u32_e64 v18, s[4:5], s16, v12
	v_addc_co_u32_e64 v19, s[6:7], v14, v13, s[4:5]
	global_load_dwordx2 v[28:29], v[16:17], off
	global_load_dwordx2 v[30:31], v[18:19], off
	s_mov_b64 s[36:37], -1
	s_waitcnt vmcnt(0)
	v_cmp_eq_u64_e64 s[6:7], v[28:29], v[30:31]
	s_and_saveexec_b64 s[14:15], s[6:7]
	s_cbranch_execz .LBB1671_125
; %bb.119:
	v_mov_b32_e32 v12, s17
	v_addc_co_u32_e64 v13, s[4:5], v13, v12, s[4:5]
	v_add_co_u32_e64 v12, s[4:5], 8, v18
	v_mov_b32_e32 v14, s17
	v_addc_co_u32_e64 v13, s[4:5], 0, v13, s[4:5]
	v_addc_co_u32_e32 v15, vcc, v15, v14, vcc
	v_add_co_u32_e32 v14, vcc, 8, v16
	s_add_u32 s4, s26, -1
	v_addc_co_u32_e32 v15, vcc, 0, v15, vcc
	s_addc_u32 s5, s27, -1
	s_mov_b64 s[6:7], 0
	s_mov_b64 s[38:39], 0
                                        ; implicit-def: $sgpr36_sgpr37
	s_branch .LBB1671_122
.LBB1671_120:                           ;   in Loop: Header=BB1671_122 Depth=1
	global_load_dwordx2 v[16:17], v[14:15], off
	global_load_dwordx2 v[18:19], v[12:13], off
	v_add_co_u32_e32 v12, vcc, 8, v12
	v_addc_co_u32_e32 v13, vcc, 0, v13, vcc
	v_add_co_u32_e32 v14, vcc, 8, v14
	v_addc_co_u32_e32 v15, vcc, 0, v15, vcc
	s_add_u32 s38, s38, 1
	s_addc_u32 s39, s39, 0
	s_andn2_b64 s[36:37], s[36:37], exec
	s_waitcnt vmcnt(0)
	v_cmp_ne_u64_e32 vcc, v[16:17], v[18:19]
	s_and_b64 s[40:41], vcc, exec
	s_or_b64 s[36:37], s[36:37], s[40:41]
.LBB1671_121:                           ;   in Loop: Header=BB1671_122 Depth=1
	s_and_b64 s[40:41], exec, s[36:37]
	s_or_b64 s[6:7], s[40:41], s[6:7]
	v_pk_mov_b32 v[16:17], s[38:39], s[38:39] op_sel:[0,1]
	s_andn2_b64 exec, exec, s[6:7]
	s_cbranch_execz .LBB1671_124
.LBB1671_122:                           ; =>This Inner Loop Header: Depth=1
	s_or_b64 s[36:37], s[36:37], exec
	s_cmp_eq_u64 s[4:5], s[38:39]
	s_cbranch_scc0 .LBB1671_120
; %bb.123:                              ;   in Loop: Header=BB1671_122 Depth=1
                                        ; implicit-def: $vgpr12_vgpr13
                                        ; implicit-def: $vgpr14_vgpr15
	s_mov_b64 s[38:39], s[26:27]
	s_branch .LBB1671_121
.LBB1671_124:
	s_or_b64 exec, exec, s[6:7]
	v_cmp_gt_i64_e32 vcc, s[26:27], v[16:17]
	s_orn2_b64 s[36:37], vcc, exec
.LBB1671_125:
	s_or_b64 exec, exec, s[14:15]
.LBB1671_126:
	s_and_b64 s[36:37], s[36:37], exec
.LBB1671_127:
	s_or_b64 exec, exec, s[8:9]
	v_cndmask_b32_e64 v13, 0, 1, s[10:11]
	v_or_b32_e32 v16, v20, v21
.LBB1671_128:
	s_mov_b64 s[14:15], -1
	s_cbranch_execnz .LBB1671_237
.LBB1671_129:
	v_lshlrev_b32_e32 v12, 5, v0
	v_sub_u32_e32 v26, v26, v12
	s_mov_b64 s[36:37], 0
	v_cmp_gt_i64_e64 s[10:11], s[26:27], 0
	s_and_b64 vcc, exec, s[30:31]
	ds_write_b64 v26, v[10:11]
	s_cbranch_vccz .LBB1671_137
; %bb.130:
	s_waitcnt vmcnt(0) lgkmcnt(1)
	v_mul_lo_u32 v14, v5, s26
	v_mul_lo_u32 v15, v4, s27
	v_mad_u64_u32 v[12:13], s[4:5], v4, s26, 0
	v_add3_u32 v13, v13, v15, v14
	v_cndmask_b32_e64 v14, 0, 1, s[10:11]
	v_cmp_ne_u32_e64 s[4:5], 1, v14
	s_andn2_b64 vcc, exec, s[10:11]
	v_lshlrev_b64 v[12:13], 3, v[12:13]
	s_cbranch_vccnz .LBB1671_140
; %bb.131:
	v_mul_lo_u32 v16, v11, s26
	v_mul_lo_u32 v17, v10, s27
	v_mad_u64_u32 v[14:15], s[6:7], v10, s26, 0
	v_add3_u32 v15, v15, v17, v16
	v_mov_b32_e32 v17, s17
	v_add_co_u32_e32 v16, vcc, s16, v12
	v_addc_co_u32_e64 v17, s[6:7], v17, v13, vcc
	v_lshlrev_b64 v[14:15], 3, v[14:15]
	v_mov_b32_e32 v19, s17
	v_add_co_u32_e64 v18, s[6:7], s16, v14
	v_addc_co_u32_e64 v19, s[8:9], v19, v15, s[6:7]
	global_load_dwordx2 v[20:21], v[16:17], off
	global_load_dwordx2 v[28:29], v[18:19], off
	s_mov_b64 s[36:37], -1
	s_waitcnt vmcnt(0)
	v_cmp_eq_u64_e64 s[8:9], v[20:21], v[28:29]
	s_and_saveexec_b64 s[38:39], s[8:9]
	s_cbranch_execz .LBB1671_139
; %bb.132:
	v_mov_b32_e32 v14, s17
	v_addc_co_u32_e64 v15, s[6:7], v15, v14, s[6:7]
	v_add_co_u32_e64 v14, s[6:7], 8, v18
	v_mov_b32_e32 v17, s17
	v_addc_co_u32_e64 v15, s[6:7], 0, v15, s[6:7]
	v_addc_co_u32_e32 v17, vcc, v13, v17, vcc
	v_add_co_u32_e32 v16, vcc, 8, v16
	s_add_u32 s6, s26, -1
	v_addc_co_u32_e32 v17, vcc, 0, v17, vcc
	s_addc_u32 s7, s27, -1
	s_mov_b64 s[8:9], 0
	s_mov_b64 s[40:41], 0
                                        ; implicit-def: $sgpr36_sgpr37
	s_branch .LBB1671_135
.LBB1671_133:                           ;   in Loop: Header=BB1671_135 Depth=1
	global_load_dwordx2 v[18:19], v[16:17], off
	global_load_dwordx2 v[20:21], v[14:15], off
	v_add_co_u32_e32 v14, vcc, 8, v14
	v_addc_co_u32_e32 v15, vcc, 0, v15, vcc
	v_add_co_u32_e32 v16, vcc, 8, v16
	v_addc_co_u32_e32 v17, vcc, 0, v17, vcc
	s_add_u32 s40, s40, 1
	s_addc_u32 s41, s41, 0
	s_andn2_b64 s[36:37], s[36:37], exec
	s_waitcnt vmcnt(0)
	v_cmp_ne_u64_e32 vcc, v[18:19], v[20:21]
	s_and_b64 s[42:43], vcc, exec
	s_or_b64 s[36:37], s[36:37], s[42:43]
.LBB1671_134:                           ;   in Loop: Header=BB1671_135 Depth=1
	s_and_b64 s[42:43], exec, s[36:37]
	s_or_b64 s[8:9], s[42:43], s[8:9]
	v_pk_mov_b32 v[18:19], s[40:41], s[40:41] op_sel:[0,1]
	s_andn2_b64 exec, exec, s[8:9]
	s_cbranch_execz .LBB1671_138
.LBB1671_135:                           ; =>This Inner Loop Header: Depth=1
	s_or_b64 s[36:37], s[36:37], exec
	s_cmp_eq_u64 s[6:7], s[40:41]
	s_cbranch_scc0 .LBB1671_133
; %bb.136:                              ;   in Loop: Header=BB1671_135 Depth=1
                                        ; implicit-def: $vgpr14_vgpr15
                                        ; implicit-def: $vgpr16_vgpr17
	s_mov_b64 s[40:41], s[26:27]
	s_branch .LBB1671_134
.LBB1671_137:
                                        ; implicit-def: $sgpr36_sgpr37
                                        ; implicit-def: $vgpr13
                                        ; implicit-def: $vgpr16
	s_cbranch_execnz .LBB1671_179
	s_branch .LBB1671_237
.LBB1671_138:
	s_or_b64 exec, exec, s[8:9]
	v_cmp_gt_i64_e32 vcc, s[26:27], v[18:19]
	s_orn2_b64 s[36:37], vcc, exec
.LBB1671_139:
	s_or_b64 exec, exec, s[38:39]
.LBB1671_140:
	v_mul_lo_u32 v16, v3, s26
	v_mul_lo_u32 v17, v2, s27
	v_mad_u64_u32 v[14:15], s[6:7], v2, s26, 0
	v_add3_u32 v15, v15, v17, v16
	s_mov_b64 s[38:39], 0
	s_and_b64 vcc, exec, s[4:5]
	v_lshlrev_b64 v[14:15], 3, v[14:15]
	s_mov_b64 s[40:41], 0
	s_cbranch_vccnz .LBB1671_149
; %bb.141:
	v_mov_b32_e32 v17, s17
	v_add_co_u32_e32 v16, vcc, s16, v14
	v_addc_co_u32_e64 v17, s[6:7], v17, v15, vcc
	v_mov_b32_e32 v19, s17
	v_add_co_u32_e64 v18, s[6:7], s16, v12
	v_addc_co_u32_e64 v19, s[8:9], v19, v13, s[6:7]
	global_load_dwordx2 v[20:21], v[16:17], off
	global_load_dwordx2 v[28:29], v[18:19], off
	s_mov_b64 s[40:41], -1
	s_waitcnt vmcnt(0)
	v_cmp_eq_u64_e64 s[8:9], v[20:21], v[28:29]
	s_and_saveexec_b64 s[42:43], s[8:9]
	s_cbranch_execz .LBB1671_148
; %bb.142:
	v_mov_b32_e32 v12, s17
	v_addc_co_u32_e64 v13, s[6:7], v13, v12, s[6:7]
	v_add_co_u32_e64 v12, s[6:7], 8, v18
	v_mov_b32_e32 v17, s17
	v_addc_co_u32_e64 v13, s[6:7], 0, v13, s[6:7]
	v_addc_co_u32_e32 v17, vcc, v15, v17, vcc
	v_add_co_u32_e32 v16, vcc, 8, v16
	s_add_u32 s6, s26, -1
	v_addc_co_u32_e32 v17, vcc, 0, v17, vcc
	s_addc_u32 s7, s27, -1
	s_mov_b64 s[8:9], 0
	s_mov_b64 s[44:45], 0
                                        ; implicit-def: $sgpr40_sgpr41
	s_branch .LBB1671_145
.LBB1671_143:                           ;   in Loop: Header=BB1671_145 Depth=1
	global_load_dwordx2 v[18:19], v[16:17], off
	global_load_dwordx2 v[20:21], v[12:13], off
	v_add_co_u32_e32 v12, vcc, 8, v12
	v_addc_co_u32_e32 v13, vcc, 0, v13, vcc
	v_add_co_u32_e32 v16, vcc, 8, v16
	v_addc_co_u32_e32 v17, vcc, 0, v17, vcc
	s_add_u32 s44, s44, 1
	s_addc_u32 s45, s45, 0
	s_andn2_b64 s[40:41], s[40:41], exec
	s_waitcnt vmcnt(0)
	v_cmp_ne_u64_e32 vcc, v[18:19], v[20:21]
	s_and_b64 s[46:47], vcc, exec
	s_or_b64 s[40:41], s[40:41], s[46:47]
.LBB1671_144:                           ;   in Loop: Header=BB1671_145 Depth=1
	s_and_b64 s[46:47], exec, s[40:41]
	s_or_b64 s[8:9], s[46:47], s[8:9]
	v_pk_mov_b32 v[18:19], s[44:45], s[44:45] op_sel:[0,1]
	s_andn2_b64 exec, exec, s[8:9]
	s_cbranch_execz .LBB1671_147
.LBB1671_145:                           ; =>This Inner Loop Header: Depth=1
	s_or_b64 s[40:41], s[40:41], exec
	s_cmp_eq_u64 s[6:7], s[44:45]
	s_cbranch_scc0 .LBB1671_143
; %bb.146:                              ;   in Loop: Header=BB1671_145 Depth=1
                                        ; implicit-def: $vgpr12_vgpr13
                                        ; implicit-def: $vgpr16_vgpr17
	s_mov_b64 s[44:45], s[26:27]
	s_branch .LBB1671_144
.LBB1671_147:
	s_or_b64 exec, exec, s[8:9]
	v_cmp_gt_i64_e32 vcc, s[26:27], v[18:19]
	s_orn2_b64 s[40:41], vcc, exec
.LBB1671_148:
	s_or_b64 exec, exec, s[42:43]
.LBB1671_149:
	v_mul_lo_u32 v16, v9, s26
	v_mul_lo_u32 v17, v8, s27
	v_mad_u64_u32 v[12:13], s[6:7], v8, s26, 0
	v_add3_u32 v13, v13, v17, v16
	s_and_b64 vcc, exec, s[4:5]
	v_lshlrev_b64 v[12:13], 3, v[12:13]
	s_cbranch_vccnz .LBB1671_158
; %bb.150:
	v_mov_b32_e32 v17, s17
	v_add_co_u32_e32 v16, vcc, s16, v12
	v_addc_co_u32_e64 v17, s[6:7], v17, v13, vcc
	v_mov_b32_e32 v19, s17
	v_add_co_u32_e64 v18, s[6:7], s16, v14
	v_addc_co_u32_e64 v19, s[8:9], v19, v15, s[6:7]
	global_load_dwordx2 v[20:21], v[16:17], off
	global_load_dwordx2 v[28:29], v[18:19], off
	s_mov_b64 s[38:39], -1
	s_waitcnt vmcnt(0)
	v_cmp_eq_u64_e64 s[8:9], v[20:21], v[28:29]
	s_and_saveexec_b64 s[42:43], s[8:9]
	s_cbranch_execz .LBB1671_157
; %bb.151:
	v_mov_b32_e32 v14, s17
	v_addc_co_u32_e64 v15, s[6:7], v15, v14, s[6:7]
	v_add_co_u32_e64 v14, s[6:7], 8, v18
	v_mov_b32_e32 v17, s17
	v_addc_co_u32_e64 v15, s[6:7], 0, v15, s[6:7]
	v_addc_co_u32_e32 v17, vcc, v13, v17, vcc
	v_add_co_u32_e32 v16, vcc, 8, v16
	s_add_u32 s6, s26, -1
	v_addc_co_u32_e32 v17, vcc, 0, v17, vcc
	s_addc_u32 s7, s27, -1
	s_mov_b64 s[8:9], 0
	s_mov_b64 s[44:45], 0
                                        ; implicit-def: $sgpr38_sgpr39
	s_branch .LBB1671_154
.LBB1671_152:                           ;   in Loop: Header=BB1671_154 Depth=1
	global_load_dwordx2 v[18:19], v[16:17], off
	global_load_dwordx2 v[20:21], v[14:15], off
	v_add_co_u32_e32 v14, vcc, 8, v14
	v_addc_co_u32_e32 v15, vcc, 0, v15, vcc
	v_add_co_u32_e32 v16, vcc, 8, v16
	v_addc_co_u32_e32 v17, vcc, 0, v17, vcc
	s_add_u32 s44, s44, 1
	s_addc_u32 s45, s45, 0
	s_andn2_b64 s[38:39], s[38:39], exec
	s_waitcnt vmcnt(0)
	v_cmp_ne_u64_e32 vcc, v[18:19], v[20:21]
	s_and_b64 s[46:47], vcc, exec
	s_or_b64 s[38:39], s[38:39], s[46:47]
.LBB1671_153:                           ;   in Loop: Header=BB1671_154 Depth=1
	s_and_b64 s[46:47], exec, s[38:39]
	s_or_b64 s[8:9], s[46:47], s[8:9]
	v_pk_mov_b32 v[18:19], s[44:45], s[44:45] op_sel:[0,1]
	s_andn2_b64 exec, exec, s[8:9]
	s_cbranch_execz .LBB1671_156
.LBB1671_154:                           ; =>This Inner Loop Header: Depth=1
	s_or_b64 s[38:39], s[38:39], exec
	s_cmp_eq_u64 s[6:7], s[44:45]
	s_cbranch_scc0 .LBB1671_152
; %bb.155:                              ;   in Loop: Header=BB1671_154 Depth=1
                                        ; implicit-def: $vgpr14_vgpr15
                                        ; implicit-def: $vgpr16_vgpr17
	s_mov_b64 s[44:45], s[26:27]
	s_branch .LBB1671_153
.LBB1671_156:
	s_or_b64 exec, exec, s[8:9]
	v_cmp_gt_i64_e32 vcc, s[26:27], v[18:19]
	s_orn2_b64 s[38:39], vcc, exec
.LBB1671_157:
	s_or_b64 exec, exec, s[42:43]
.LBB1671_158:
	v_mul_lo_u32 v16, v7, s26
	v_mul_lo_u32 v17, v6, s27
	v_mad_u64_u32 v[14:15], s[6:7], v6, s26, 0
	v_add3_u32 v15, v15, v17, v16
	s_and_b64 vcc, exec, s[4:5]
	s_mov_b64 s[44:45], 0
	s_cbranch_vccnz .LBB1671_167
; %bb.159:
	v_lshlrev_b64 v[16:17], 3, v[14:15]
	v_mov_b32_e32 v19, s17
	v_add_co_u32_e32 v18, vcc, s16, v16
	v_addc_co_u32_e64 v19, s[6:7], v19, v17, vcc
	v_mov_b32_e32 v16, s17
	v_add_co_u32_e64 v20, s[6:7], s16, v12
	v_addc_co_u32_e64 v21, s[8:9], v16, v13, s[6:7]
	global_load_dwordx2 v[28:29], v[18:19], off
	global_load_dwordx2 v[30:31], v[20:21], off
	s_mov_b64 s[44:45], -1
	s_waitcnt vmcnt(0)
	v_cmp_eq_u64_e64 s[8:9], v[28:29], v[30:31]
	s_and_saveexec_b64 s[42:43], s[8:9]
	s_cbranch_execz .LBB1671_166
; %bb.160:
	v_mov_b32_e32 v12, s17
	v_addc_co_u32_e64 v13, s[6:7], v13, v12, s[6:7]
	v_add_co_u32_e64 v12, s[6:7], 8, v20
	v_mov_b32_e32 v16, s17
	v_addc_co_u32_e64 v13, s[6:7], 0, v13, s[6:7]
	v_addc_co_u32_e32 v17, vcc, v17, v16, vcc
	v_add_co_u32_e32 v16, vcc, 8, v18
	s_add_u32 s6, s26, -1
	v_addc_co_u32_e32 v17, vcc, 0, v17, vcc
	s_addc_u32 s7, s27, -1
	s_mov_b64 s[8:9], 0
	s_mov_b64 s[46:47], 0
                                        ; implicit-def: $sgpr44_sgpr45
	s_branch .LBB1671_163
.LBB1671_161:                           ;   in Loop: Header=BB1671_163 Depth=1
	global_load_dwordx2 v[18:19], v[16:17], off
	global_load_dwordx2 v[20:21], v[12:13], off
	v_add_co_u32_e32 v12, vcc, 8, v12
	v_addc_co_u32_e32 v13, vcc, 0, v13, vcc
	v_add_co_u32_e32 v16, vcc, 8, v16
	v_addc_co_u32_e32 v17, vcc, 0, v17, vcc
	s_add_u32 s46, s46, 1
	s_addc_u32 s47, s47, 0
	s_andn2_b64 s[44:45], s[44:45], exec
	s_waitcnt vmcnt(0)
	v_cmp_ne_u64_e32 vcc, v[18:19], v[20:21]
	s_and_b64 s[50:51], vcc, exec
	s_or_b64 s[44:45], s[44:45], s[50:51]
.LBB1671_162:                           ;   in Loop: Header=BB1671_163 Depth=1
	s_and_b64 s[50:51], exec, s[44:45]
	s_or_b64 s[8:9], s[50:51], s[8:9]
	v_pk_mov_b32 v[18:19], s[46:47], s[46:47] op_sel:[0,1]
	s_andn2_b64 exec, exec, s[8:9]
	s_cbranch_execz .LBB1671_165
.LBB1671_163:                           ; =>This Inner Loop Header: Depth=1
	s_or_b64 s[44:45], s[44:45], exec
	s_cmp_eq_u64 s[6:7], s[46:47]
	s_cbranch_scc0 .LBB1671_161
; %bb.164:                              ;   in Loop: Header=BB1671_163 Depth=1
                                        ; implicit-def: $vgpr12_vgpr13
                                        ; implicit-def: $vgpr16_vgpr17
	s_mov_b64 s[46:47], s[26:27]
	s_branch .LBB1671_162
.LBB1671_165:
	s_or_b64 exec, exec, s[8:9]
	v_cmp_gt_i64_e32 vcc, s[26:27], v[18:19]
	s_orn2_b64 s[44:45], vcc, exec
.LBB1671_166:
	s_or_b64 exec, exec, s[42:43]
.LBB1671_167:
	v_cndmask_b32_e64 v13, 0, 1, s[40:41]
	v_cndmask_b32_e64 v16, 0, 1, s[44:45]
	;; [unrolled: 1-line block ×3, first 2 shown]
	v_lshlrev_b16_e32 v16, 8, v16
	v_lshlrev_b16_e32 v13, 8, v13
	v_or_b32_e32 v16, 1, v16
	v_or_b32_sdwa v12, v12, v13 dst_sel:WORD_1 dst_unused:UNUSED_PAD src0_sel:DWORD src1_sel:DWORD
	v_or_b32_sdwa v12, v16, v12 dst_sel:DWORD dst_unused:UNUSED_PAD src0_sel:WORD_0 src1_sel:DWORD
	v_cndmask_b32_e64 v13, 0, 1, s[36:37]
	s_waitcnt lgkmcnt(0)
	s_barrier
	s_waitcnt lgkmcnt(0)
                                        ; implicit-def: $sgpr36_sgpr37
                                        ; implicit-def: $vgpr16
	s_and_saveexec_b64 s[6:7], s[2:3]
	s_xor_b64 s[8:9], exec, s[6:7]
	s_cbranch_execz .LBB1671_178
; %bb.168:
	s_mov_b32 s42, 0x3020104
	s_and_b64 vcc, exec, s[4:5]
	s_mov_b64 s[38:39], 0
	s_cbranch_vccnz .LBB1671_177
; %bb.169:
	v_add_u32_e32 v16, -8, v26
	ds_read_b64 v[16:17], v16
	v_mov_b32_e32 v19, s17
	v_lshlrev_b64 v[14:15], 3, v[14:15]
	s_mov_b64 s[38:39], -1
	s_waitcnt lgkmcnt(0)
	v_mul_lo_u32 v18, v17, s26
	v_mul_lo_u32 v20, v16, s27
	v_mad_u64_u32 v[16:17], s[4:5], v16, s26, 0
	v_add3_u32 v17, v17, v20, v18
	v_lshlrev_b64 v[16:17], 3, v[16:17]
	v_add_co_u32_e32 v18, vcc, s16, v16
	v_addc_co_u32_e64 v19, s[4:5], v19, v17, vcc
	v_mov_b32_e32 v16, s17
	v_add_co_u32_e64 v20, s[4:5], s16, v14
	v_addc_co_u32_e64 v21, s[6:7], v16, v15, s[4:5]
	global_load_dwordx2 v[28:29], v[18:19], off
	global_load_dwordx2 v[30:31], v[20:21], off
	s_waitcnt vmcnt(0)
	v_cmp_eq_u64_e64 s[6:7], v[28:29], v[30:31]
	s_and_saveexec_b64 s[36:37], s[6:7]
	s_cbranch_execz .LBB1671_176
; %bb.170:
	v_mov_b32_e32 v14, s17
	v_addc_co_u32_e64 v15, s[4:5], v15, v14, s[4:5]
	v_add_co_u32_e64 v14, s[4:5], 8, v20
	v_mov_b32_e32 v16, s17
	v_addc_co_u32_e64 v15, s[4:5], 0, v15, s[4:5]
	v_addc_co_u32_e32 v17, vcc, v17, v16, vcc
	v_add_co_u32_e32 v16, vcc, 8, v18
	s_add_u32 s4, s26, -1
	v_addc_co_u32_e32 v17, vcc, 0, v17, vcc
	s_addc_u32 s5, s27, -1
	s_mov_b64 s[6:7], 0
	s_mov_b64 s[40:41], 0
                                        ; implicit-def: $sgpr38_sgpr39
	s_branch .LBB1671_173
.LBB1671_171:                           ;   in Loop: Header=BB1671_173 Depth=1
	global_load_dwordx2 v[18:19], v[16:17], off
	global_load_dwordx2 v[20:21], v[14:15], off
	v_add_co_u32_e32 v14, vcc, 8, v14
	v_addc_co_u32_e32 v15, vcc, 0, v15, vcc
	v_add_co_u32_e32 v16, vcc, 8, v16
	v_addc_co_u32_e32 v17, vcc, 0, v17, vcc
	s_add_u32 s40, s40, 1
	s_addc_u32 s41, s41, 0
	s_andn2_b64 s[38:39], s[38:39], exec
	s_waitcnt vmcnt(0)
	v_cmp_ne_u64_e32 vcc, v[18:19], v[20:21]
	s_and_b64 s[44:45], vcc, exec
	s_or_b64 s[38:39], s[38:39], s[44:45]
.LBB1671_172:                           ;   in Loop: Header=BB1671_173 Depth=1
	s_and_b64 s[44:45], exec, s[38:39]
	s_or_b64 s[6:7], s[44:45], s[6:7]
	v_pk_mov_b32 v[18:19], s[40:41], s[40:41] op_sel:[0,1]
	s_andn2_b64 exec, exec, s[6:7]
	s_cbranch_execz .LBB1671_175
.LBB1671_173:                           ; =>This Inner Loop Header: Depth=1
	s_or_b64 s[38:39], s[38:39], exec
	s_cmp_eq_u64 s[4:5], s[40:41]
	s_cbranch_scc0 .LBB1671_171
; %bb.174:                              ;   in Loop: Header=BB1671_173 Depth=1
                                        ; implicit-def: $vgpr14_vgpr15
                                        ; implicit-def: $vgpr16_vgpr17
	s_mov_b64 s[40:41], s[26:27]
	s_branch .LBB1671_172
.LBB1671_175:
	s_or_b64 exec, exec, s[6:7]
	v_cmp_gt_i64_e32 vcc, s[26:27], v[18:19]
	s_orn2_b64 s[38:39], vcc, exec
.LBB1671_176:
	s_or_b64 exec, exec, s[36:37]
.LBB1671_177:
	v_perm_b32 v16, v12, v12, s42
	s_and_b64 s[36:37], s[38:39], exec
	s_or_b64 s[14:15], s[14:15], exec
.LBB1671_178:
	s_or_b64 exec, exec, s[8:9]
	s_branch .LBB1671_237
.LBB1671_179:
	v_cmp_gt_u32_e32 vcc, s48, v23
	s_mov_b64 s[36:37], 0
	s_mov_b64 s[8:9], 0
	s_and_saveexec_b64 s[38:39], vcc
	s_cbranch_execz .LBB1671_190
; %bb.180:
	s_andn2_b64 vcc, exec, s[10:11]
	s_mov_b64 s[40:41], 0
	s_cbranch_vccnz .LBB1671_189
; %bb.181:
	s_waitcnt vmcnt(0) lgkmcnt(1)
	v_mul_lo_u32 v14, v5, s26
	v_mul_lo_u32 v15, v4, s27
	v_mad_u64_u32 v[12:13], s[4:5], v4, s26, 0
	v_add3_u32 v13, v13, v15, v14
	v_mul_lo_u32 v14, v11, s26
	v_mul_lo_u32 v15, v10, s27
	v_mad_u64_u32 v[18:19], s[4:5], v10, s26, 0
	v_add3_u32 v19, v19, v15, v14
	v_lshlrev_b64 v[14:15], 3, v[12:13]
	v_mov_b32_e32 v12, s17
	v_add_co_u32_e32 v16, vcc, s16, v14
	v_addc_co_u32_e64 v17, s[4:5], v12, v15, vcc
	v_lshlrev_b64 v[12:13], 3, v[18:19]
	v_mov_b32_e32 v14, s17
	v_add_co_u32_e64 v18, s[4:5], s16, v12
	v_addc_co_u32_e64 v19, s[6:7], v14, v13, s[4:5]
	global_load_dwordx2 v[20:21], v[16:17], off
	global_load_dwordx2 v[28:29], v[18:19], off
	s_mov_b64 s[40:41], -1
	s_waitcnt vmcnt(0)
	v_cmp_eq_u64_e64 s[6:7], v[20:21], v[28:29]
	s_and_saveexec_b64 s[8:9], s[6:7]
	s_cbranch_execz .LBB1671_188
; %bb.182:
	v_mov_b32_e32 v12, s17
	v_addc_co_u32_e64 v13, s[4:5], v13, v12, s[4:5]
	v_add_co_u32_e64 v12, s[4:5], 8, v18
	v_mov_b32_e32 v14, s17
	v_addc_co_u32_e64 v13, s[4:5], 0, v13, s[4:5]
	v_addc_co_u32_e32 v15, vcc, v15, v14, vcc
	v_add_co_u32_e32 v14, vcc, 8, v16
	s_add_u32 s4, s26, -1
	v_addc_co_u32_e32 v15, vcc, 0, v15, vcc
	s_addc_u32 s5, s27, -1
	s_mov_b64 s[6:7], 0
	s_mov_b64 s[42:43], 0
                                        ; implicit-def: $sgpr40_sgpr41
	s_branch .LBB1671_185
.LBB1671_183:                           ;   in Loop: Header=BB1671_185 Depth=1
	global_load_dwordx2 v[16:17], v[14:15], off
	global_load_dwordx2 v[18:19], v[12:13], off
	v_add_co_u32_e32 v12, vcc, 8, v12
	v_addc_co_u32_e32 v13, vcc, 0, v13, vcc
	v_add_co_u32_e32 v14, vcc, 8, v14
	v_addc_co_u32_e32 v15, vcc, 0, v15, vcc
	s_add_u32 s42, s42, 1
	s_addc_u32 s43, s43, 0
	s_andn2_b64 s[40:41], s[40:41], exec
	s_waitcnt vmcnt(0)
	v_cmp_ne_u64_e32 vcc, v[16:17], v[18:19]
	s_and_b64 s[44:45], vcc, exec
	s_or_b64 s[40:41], s[40:41], s[44:45]
.LBB1671_184:                           ;   in Loop: Header=BB1671_185 Depth=1
	s_and_b64 s[44:45], exec, s[40:41]
	s_or_b64 s[6:7], s[44:45], s[6:7]
	v_pk_mov_b32 v[16:17], s[42:43], s[42:43] op_sel:[0,1]
	s_andn2_b64 exec, exec, s[6:7]
	s_cbranch_execz .LBB1671_187
.LBB1671_185:                           ; =>This Inner Loop Header: Depth=1
	s_or_b64 s[40:41], s[40:41], exec
	s_cmp_eq_u64 s[4:5], s[42:43]
	s_cbranch_scc0 .LBB1671_183
; %bb.186:                              ;   in Loop: Header=BB1671_185 Depth=1
                                        ; implicit-def: $vgpr12_vgpr13
                                        ; implicit-def: $vgpr14_vgpr15
	s_mov_b64 s[42:43], s[26:27]
	s_branch .LBB1671_184
.LBB1671_187:
	s_or_b64 exec, exec, s[6:7]
	v_cmp_gt_i64_e32 vcc, s[26:27], v[16:17]
	s_orn2_b64 s[40:41], vcc, exec
.LBB1671_188:
	s_or_b64 exec, exec, s[8:9]
.LBB1671_189:
	s_and_b64 s[8:9], s[40:41], exec
.LBB1671_190:
	s_or_b64 exec, exec, s[38:39]
	v_cmp_gt_u32_e32 vcc, s48, v25
	s_and_saveexec_b64 s[38:39], vcc
	s_cbranch_execz .LBB1671_201
; %bb.191:
	s_andn2_b64 vcc, exec, s[10:11]
	s_mov_b64 s[40:41], 0
	s_cbranch_vccnz .LBB1671_200
; %bb.192:
	s_waitcnt vmcnt(0) lgkmcnt(1)
	v_mul_lo_u32 v14, v3, s26
	v_mul_lo_u32 v15, v2, s27
	v_mad_u64_u32 v[12:13], s[4:5], v2, s26, 0
	v_add3_u32 v13, v13, v15, v14
	v_mul_lo_u32 v14, v5, s26
	v_mul_lo_u32 v15, v4, s27
	v_mad_u64_u32 v[18:19], s[4:5], v4, s26, 0
	v_add3_u32 v19, v19, v15, v14
	v_lshlrev_b64 v[14:15], 3, v[12:13]
	v_mov_b32_e32 v12, s17
	v_add_co_u32_e32 v16, vcc, s16, v14
	v_addc_co_u32_e64 v17, s[4:5], v12, v15, vcc
	v_lshlrev_b64 v[12:13], 3, v[18:19]
	v_mov_b32_e32 v14, s17
	v_add_co_u32_e64 v18, s[4:5], s16, v12
	v_addc_co_u32_e64 v19, s[6:7], v14, v13, s[4:5]
	global_load_dwordx2 v[20:21], v[16:17], off
	global_load_dwordx2 v[28:29], v[18:19], off
	s_mov_b64 s[40:41], -1
	s_waitcnt vmcnt(0)
	v_cmp_eq_u64_e64 s[6:7], v[20:21], v[28:29]
	s_and_saveexec_b64 s[36:37], s[6:7]
	s_cbranch_execz .LBB1671_199
; %bb.193:
	v_mov_b32_e32 v12, s17
	v_addc_co_u32_e64 v13, s[4:5], v13, v12, s[4:5]
	v_add_co_u32_e64 v12, s[4:5], 8, v18
	v_mov_b32_e32 v14, s17
	v_addc_co_u32_e64 v13, s[4:5], 0, v13, s[4:5]
	v_addc_co_u32_e32 v15, vcc, v15, v14, vcc
	v_add_co_u32_e32 v14, vcc, 8, v16
	s_add_u32 s4, s26, -1
	v_addc_co_u32_e32 v15, vcc, 0, v15, vcc
	s_addc_u32 s5, s27, -1
	s_mov_b64 s[6:7], 0
	s_mov_b64 s[42:43], 0
                                        ; implicit-def: $sgpr40_sgpr41
	s_branch .LBB1671_196
.LBB1671_194:                           ;   in Loop: Header=BB1671_196 Depth=1
	global_load_dwordx2 v[16:17], v[14:15], off
	global_load_dwordx2 v[18:19], v[12:13], off
	v_add_co_u32_e32 v12, vcc, 8, v12
	v_addc_co_u32_e32 v13, vcc, 0, v13, vcc
	v_add_co_u32_e32 v14, vcc, 8, v14
	v_addc_co_u32_e32 v15, vcc, 0, v15, vcc
	s_add_u32 s42, s42, 1
	s_addc_u32 s43, s43, 0
	s_andn2_b64 s[40:41], s[40:41], exec
	s_waitcnt vmcnt(0)
	v_cmp_ne_u64_e32 vcc, v[16:17], v[18:19]
	s_and_b64 s[44:45], vcc, exec
	s_or_b64 s[40:41], s[40:41], s[44:45]
.LBB1671_195:                           ;   in Loop: Header=BB1671_196 Depth=1
	s_and_b64 s[44:45], exec, s[40:41]
	s_or_b64 s[6:7], s[44:45], s[6:7]
	v_pk_mov_b32 v[16:17], s[42:43], s[42:43] op_sel:[0,1]
	s_andn2_b64 exec, exec, s[6:7]
	s_cbranch_execz .LBB1671_198
.LBB1671_196:                           ; =>This Inner Loop Header: Depth=1
	s_or_b64 s[40:41], s[40:41], exec
	s_cmp_eq_u64 s[4:5], s[42:43]
	s_cbranch_scc0 .LBB1671_194
; %bb.197:                              ;   in Loop: Header=BB1671_196 Depth=1
                                        ; implicit-def: $vgpr12_vgpr13
                                        ; implicit-def: $vgpr14_vgpr15
	s_mov_b64 s[42:43], s[26:27]
	s_branch .LBB1671_195
.LBB1671_198:
	s_or_b64 exec, exec, s[6:7]
	v_cmp_gt_i64_e32 vcc, s[26:27], v[16:17]
	s_orn2_b64 s[40:41], vcc, exec
.LBB1671_199:
	s_or_b64 exec, exec, s[36:37]
.LBB1671_200:
	s_and_b64 s[36:37], s[40:41], exec
.LBB1671_201:
	s_or_b64 exec, exec, s[38:39]
	v_cmp_gt_u32_e32 vcc, s48, v22
	s_mov_b64 s[38:39], 0
	s_mov_b64 s[40:41], 0
	s_and_saveexec_b64 s[42:43], vcc
	s_cbranch_execz .LBB1671_212
; %bb.202:
	s_andn2_b64 vcc, exec, s[10:11]
	s_mov_b64 s[44:45], 0
	s_cbranch_vccnz .LBB1671_211
; %bb.203:
	s_waitcnt vmcnt(0) lgkmcnt(1)
	v_mul_lo_u32 v14, v9, s26
	v_mul_lo_u32 v15, v8, s27
	v_mad_u64_u32 v[12:13], s[4:5], v8, s26, 0
	v_add3_u32 v13, v13, v15, v14
	v_mul_lo_u32 v14, v3, s26
	v_mul_lo_u32 v15, v2, s27
	v_mad_u64_u32 v[18:19], s[4:5], v2, s26, 0
	v_add3_u32 v19, v19, v15, v14
	v_lshlrev_b64 v[14:15], 3, v[12:13]
	v_mov_b32_e32 v12, s17
	v_add_co_u32_e32 v16, vcc, s16, v14
	v_addc_co_u32_e64 v17, s[4:5], v12, v15, vcc
	v_lshlrev_b64 v[12:13], 3, v[18:19]
	v_mov_b32_e32 v14, s17
	v_add_co_u32_e64 v18, s[4:5], s16, v12
	v_addc_co_u32_e64 v19, s[6:7], v14, v13, s[4:5]
	global_load_dwordx2 v[20:21], v[16:17], off
	global_load_dwordx2 v[28:29], v[18:19], off
	s_mov_b64 s[44:45], -1
	s_waitcnt vmcnt(0)
	v_cmp_eq_u64_e64 s[6:7], v[20:21], v[28:29]
	s_and_saveexec_b64 s[40:41], s[6:7]
	s_cbranch_execz .LBB1671_210
; %bb.204:
	v_mov_b32_e32 v12, s17
	v_addc_co_u32_e64 v13, s[4:5], v13, v12, s[4:5]
	v_add_co_u32_e64 v12, s[4:5], 8, v18
	v_mov_b32_e32 v14, s17
	v_addc_co_u32_e64 v13, s[4:5], 0, v13, s[4:5]
	v_addc_co_u32_e32 v15, vcc, v15, v14, vcc
	v_add_co_u32_e32 v14, vcc, 8, v16
	s_add_u32 s4, s26, -1
	v_addc_co_u32_e32 v15, vcc, 0, v15, vcc
	s_addc_u32 s5, s27, -1
	s_mov_b64 s[6:7], 0
	s_mov_b64 s[46:47], 0
                                        ; implicit-def: $sgpr44_sgpr45
	s_branch .LBB1671_207
.LBB1671_205:                           ;   in Loop: Header=BB1671_207 Depth=1
	global_load_dwordx2 v[16:17], v[14:15], off
	global_load_dwordx2 v[18:19], v[12:13], off
	v_add_co_u32_e32 v12, vcc, 8, v12
	v_addc_co_u32_e32 v13, vcc, 0, v13, vcc
	v_add_co_u32_e32 v14, vcc, 8, v14
	v_addc_co_u32_e32 v15, vcc, 0, v15, vcc
	s_add_u32 s46, s46, 1
	s_addc_u32 s47, s47, 0
	s_andn2_b64 s[44:45], s[44:45], exec
	s_waitcnt vmcnt(0)
	v_cmp_ne_u64_e32 vcc, v[16:17], v[18:19]
	s_and_b64 s[50:51], vcc, exec
	s_or_b64 s[44:45], s[44:45], s[50:51]
.LBB1671_206:                           ;   in Loop: Header=BB1671_207 Depth=1
	s_and_b64 s[50:51], exec, s[44:45]
	s_or_b64 s[6:7], s[50:51], s[6:7]
	v_pk_mov_b32 v[16:17], s[46:47], s[46:47] op_sel:[0,1]
	s_andn2_b64 exec, exec, s[6:7]
	s_cbranch_execz .LBB1671_209
.LBB1671_207:                           ; =>This Inner Loop Header: Depth=1
	s_or_b64 s[44:45], s[44:45], exec
	s_cmp_eq_u64 s[4:5], s[46:47]
	s_cbranch_scc0 .LBB1671_205
; %bb.208:                              ;   in Loop: Header=BB1671_207 Depth=1
                                        ; implicit-def: $vgpr12_vgpr13
                                        ; implicit-def: $vgpr14_vgpr15
	s_mov_b64 s[46:47], s[26:27]
	s_branch .LBB1671_206
.LBB1671_209:
	s_or_b64 exec, exec, s[6:7]
	v_cmp_gt_i64_e32 vcc, s[26:27], v[16:17]
	s_orn2_b64 s[44:45], vcc, exec
.LBB1671_210:
	s_or_b64 exec, exec, s[40:41]
.LBB1671_211:
	s_and_b64 s[40:41], s[44:45], exec
.LBB1671_212:
	s_or_b64 exec, exec, s[42:43]
	v_cmp_gt_u32_e32 vcc, s48, v24
	s_and_saveexec_b64 s[42:43], vcc
	s_cbranch_execz .LBB1671_223
; %bb.213:
	s_andn2_b64 vcc, exec, s[10:11]
	s_mov_b64 s[44:45], 0
	s_cbranch_vccnz .LBB1671_222
; %bb.214:
	s_waitcnt vmcnt(0) lgkmcnt(1)
	v_mul_lo_u32 v14, v7, s26
	v_mul_lo_u32 v15, v6, s27
	v_mad_u64_u32 v[12:13], s[4:5], v6, s26, 0
	v_add3_u32 v13, v13, v15, v14
	v_mul_lo_u32 v14, v9, s26
	v_mul_lo_u32 v15, v8, s27
	v_mad_u64_u32 v[18:19], s[4:5], v8, s26, 0
	v_add3_u32 v19, v19, v15, v14
	v_lshlrev_b64 v[14:15], 3, v[12:13]
	v_mov_b32_e32 v12, s17
	v_add_co_u32_e32 v16, vcc, s16, v14
	v_addc_co_u32_e64 v17, s[4:5], v12, v15, vcc
	v_lshlrev_b64 v[12:13], 3, v[18:19]
	v_mov_b32_e32 v14, s17
	v_add_co_u32_e64 v18, s[4:5], s16, v12
	v_addc_co_u32_e64 v19, s[6:7], v14, v13, s[4:5]
	global_load_dwordx2 v[20:21], v[16:17], off
	global_load_dwordx2 v[28:29], v[18:19], off
	s_mov_b64 s[44:45], -1
	s_waitcnt vmcnt(0)
	v_cmp_eq_u64_e64 s[6:7], v[20:21], v[28:29]
	s_and_saveexec_b64 s[38:39], s[6:7]
	s_cbranch_execz .LBB1671_221
; %bb.215:
	v_mov_b32_e32 v12, s17
	v_addc_co_u32_e64 v13, s[4:5], v13, v12, s[4:5]
	v_add_co_u32_e64 v12, s[4:5], 8, v18
	v_mov_b32_e32 v14, s17
	v_addc_co_u32_e64 v13, s[4:5], 0, v13, s[4:5]
	v_addc_co_u32_e32 v15, vcc, v15, v14, vcc
	v_add_co_u32_e32 v14, vcc, 8, v16
	s_add_u32 s4, s26, -1
	v_addc_co_u32_e32 v15, vcc, 0, v15, vcc
	s_addc_u32 s5, s27, -1
	s_mov_b64 s[6:7], 0
	s_mov_b64 s[46:47], 0
                                        ; implicit-def: $sgpr44_sgpr45
	s_branch .LBB1671_218
.LBB1671_216:                           ;   in Loop: Header=BB1671_218 Depth=1
	global_load_dwordx2 v[16:17], v[14:15], off
	global_load_dwordx2 v[18:19], v[12:13], off
	v_add_co_u32_e32 v12, vcc, 8, v12
	v_addc_co_u32_e32 v13, vcc, 0, v13, vcc
	v_add_co_u32_e32 v14, vcc, 8, v14
	v_addc_co_u32_e32 v15, vcc, 0, v15, vcc
	s_add_u32 s46, s46, 1
	s_addc_u32 s47, s47, 0
	s_andn2_b64 s[44:45], s[44:45], exec
	s_waitcnt vmcnt(0)
	v_cmp_ne_u64_e32 vcc, v[16:17], v[18:19]
	s_and_b64 s[50:51], vcc, exec
	s_or_b64 s[44:45], s[44:45], s[50:51]
.LBB1671_217:                           ;   in Loop: Header=BB1671_218 Depth=1
	s_and_b64 s[50:51], exec, s[44:45]
	s_or_b64 s[6:7], s[50:51], s[6:7]
	v_pk_mov_b32 v[16:17], s[46:47], s[46:47] op_sel:[0,1]
	s_andn2_b64 exec, exec, s[6:7]
	s_cbranch_execz .LBB1671_220
.LBB1671_218:                           ; =>This Inner Loop Header: Depth=1
	s_or_b64 s[44:45], s[44:45], exec
	s_cmp_eq_u64 s[4:5], s[46:47]
	s_cbranch_scc0 .LBB1671_216
; %bb.219:                              ;   in Loop: Header=BB1671_218 Depth=1
                                        ; implicit-def: $vgpr12_vgpr13
                                        ; implicit-def: $vgpr14_vgpr15
	s_mov_b64 s[46:47], s[26:27]
	s_branch .LBB1671_217
.LBB1671_220:
	s_or_b64 exec, exec, s[6:7]
	v_cmp_gt_i64_e32 vcc, s[26:27], v[16:17]
	s_orn2_b64 s[44:45], vcc, exec
.LBB1671_221:
	s_or_b64 exec, exec, s[38:39]
.LBB1671_222:
	s_and_b64 s[38:39], s[44:45], exec
.LBB1671_223:
	s_or_b64 exec, exec, s[42:43]
	v_cndmask_b32_e64 v13, 0, 1, s[36:37]
	s_waitcnt vmcnt(0) lgkmcnt(1)
	v_cndmask_b32_e64 v14, 0, 1, s[38:39]
	v_cndmask_b32_e64 v12, 0, 1, s[40:41]
	v_lshlrev_b16_e32 v14, 8, v14
	v_lshlrev_b16_e32 v13, 8, v13
	v_or_b32_e32 v14, 1, v14
	v_or_b32_sdwa v12, v12, v13 dst_sel:WORD_1 dst_unused:UNUSED_PAD src0_sel:DWORD src1_sel:DWORD
	v_or_b32_sdwa v12, v14, v12 dst_sel:DWORD dst_unused:UNUSED_PAD src0_sel:WORD_0 src1_sel:DWORD
	v_cndmask_b32_e64 v13, 0, 1, s[8:9]
	s_waitcnt lgkmcnt(0)
	s_barrier
	s_waitcnt lgkmcnt(0)
                                        ; implicit-def: $sgpr36_sgpr37
                                        ; implicit-def: $vgpr16
	s_and_saveexec_b64 s[6:7], s[2:3]
	s_cbranch_execz .LBB1671_236
; %bb.224:
	v_cmp_gt_u32_e32 vcc, s48, v1
	s_mov_b32 s38, 0x3020104
	s_mov_b64 s[2:3], 0
	s_and_saveexec_b64 s[8:9], vcc
	s_cbranch_execz .LBB1671_235
; %bb.225:
	s_andn2_b64 vcc, exec, s[10:11]
	s_mov_b64 s[36:37], 0
	s_cbranch_vccnz .LBB1671_234
; %bb.226:
	v_add_u32_e32 v14, -8, v26
	ds_read_b64 v[14:15], v14
	v_mul_lo_u32 v16, v7, s26
	v_mad_u64_u32 v[20:21], s[2:3], v6, s26, 0
	s_mov_b64 s[36:37], -1
	s_waitcnt lgkmcnt(0)
	v_mul_lo_u32 v17, v15, s26
	v_mul_lo_u32 v18, v14, s27
	v_mad_u64_u32 v[14:15], s[2:3], v14, s26, 0
	v_add3_u32 v15, v15, v18, v17
	v_mul_lo_u32 v17, v6, s27
	v_add3_u32 v21, v21, v17, v16
	v_lshlrev_b64 v[16:17], 3, v[14:15]
	v_mov_b32_e32 v14, s17
	v_add_co_u32_e32 v18, vcc, s16, v16
	v_addc_co_u32_e64 v19, s[2:3], v14, v17, vcc
	v_lshlrev_b64 v[14:15], 3, v[20:21]
	v_mov_b32_e32 v16, s17
	v_add_co_u32_e64 v20, s[2:3], s16, v14
	v_addc_co_u32_e64 v21, s[4:5], v16, v15, s[2:3]
	global_load_dwordx2 v[26:27], v[18:19], off
	global_load_dwordx2 v[28:29], v[20:21], off
	s_waitcnt vmcnt(0)
	v_cmp_eq_u64_e64 s[4:5], v[26:27], v[28:29]
	s_and_saveexec_b64 s[10:11], s[4:5]
	s_cbranch_execz .LBB1671_233
; %bb.227:
	v_mov_b32_e32 v14, s17
	v_addc_co_u32_e64 v15, s[2:3], v15, v14, s[2:3]
	v_add_co_u32_e64 v14, s[2:3], 8, v20
	v_mov_b32_e32 v16, s17
	v_addc_co_u32_e64 v15, s[2:3], 0, v15, s[2:3]
	v_addc_co_u32_e32 v17, vcc, v17, v16, vcc
	v_add_co_u32_e32 v16, vcc, 8, v18
	s_add_u32 s2, s26, -1
	v_addc_co_u32_e32 v17, vcc, 0, v17, vcc
	s_addc_u32 s3, s27, -1
	s_mov_b64 s[4:5], 0
	s_mov_b64 s[36:37], 0
                                        ; implicit-def: $sgpr16_sgpr17
	s_branch .LBB1671_230
.LBB1671_228:                           ;   in Loop: Header=BB1671_230 Depth=1
	global_load_dwordx2 v[18:19], v[16:17], off
	global_load_dwordx2 v[20:21], v[14:15], off
	v_add_co_u32_e32 v14, vcc, 8, v14
	v_addc_co_u32_e32 v15, vcc, 0, v15, vcc
	v_add_co_u32_e32 v16, vcc, 8, v16
	v_addc_co_u32_e32 v17, vcc, 0, v17, vcc
	s_add_u32 s36, s36, 1
	s_addc_u32 s37, s37, 0
	s_andn2_b64 s[16:17], s[16:17], exec
	s_waitcnt vmcnt(0)
	v_cmp_ne_u64_e32 vcc, v[18:19], v[20:21]
	s_and_b64 s[40:41], vcc, exec
	s_or_b64 s[16:17], s[16:17], s[40:41]
.LBB1671_229:                           ;   in Loop: Header=BB1671_230 Depth=1
	s_and_b64 s[40:41], exec, s[16:17]
	s_or_b64 s[4:5], s[40:41], s[4:5]
	v_pk_mov_b32 v[18:19], s[36:37], s[36:37] op_sel:[0,1]
	s_andn2_b64 exec, exec, s[4:5]
	s_cbranch_execz .LBB1671_232
.LBB1671_230:                           ; =>This Inner Loop Header: Depth=1
	s_or_b64 s[16:17], s[16:17], exec
	s_cmp_eq_u64 s[2:3], s[36:37]
	s_cbranch_scc0 .LBB1671_228
; %bb.231:                              ;   in Loop: Header=BB1671_230 Depth=1
                                        ; implicit-def: $vgpr14_vgpr15
                                        ; implicit-def: $vgpr16_vgpr17
	s_mov_b64 s[36:37], s[26:27]
	s_branch .LBB1671_229
.LBB1671_232:
	s_or_b64 exec, exec, s[4:5]
	v_cmp_gt_i64_e32 vcc, s[26:27], v[18:19]
	s_orn2_b64 s[36:37], vcc, exec
.LBB1671_233:
	s_or_b64 exec, exec, s[10:11]
.LBB1671_234:
	s_and_b64 s[2:3], s[36:37], exec
.LBB1671_235:
	s_or_b64 exec, exec, s[8:9]
	v_perm_b32 v16, v12, v12, s38
	s_and_b64 s[36:37], s[2:3], exec
	s_or_b64 s[14:15], s[14:15], exec
.LBB1671_236:
	s_or_b64 exec, exec, s[6:7]
.LBB1671_237:
	s_and_saveexec_b64 s[2:3], s[14:15]
	s_cbranch_execz .LBB1671_239
; %bb.238:
	s_waitcnt vmcnt(0) lgkmcnt(0)
	v_lshrrev_b32_e32 v14, 24, v16
	s_movk_i32 s4, 0xff
	v_lshlrev_b16_e32 v14, 8, v14
	v_and_b32_sdwa v15, v16, s4 dst_sel:DWORD dst_unused:UNUSED_PAD src0_sel:WORD_1 src1_sel:DWORD
	v_or_b32_sdwa v14, v15, v14 dst_sel:WORD_1 dst_unused:UNUSED_PAD src0_sel:DWORD src1_sel:DWORD
	v_mov_b32_e32 v15, 8
	v_cndmask_b32_e64 v12, 0, 1, s[36:37]
	v_lshrrev_b32_sdwa v15, v15, v16 dst_sel:BYTE_1 dst_unused:UNUSED_PAD src0_sel:DWORD src1_sel:DWORD
	v_or_b32_e32 v12, v12, v15
	s_mov_b32 s4, 0xffff
	v_or_b32_sdwa v12, v12, v14 dst_sel:DWORD dst_unused:UNUSED_PAD src0_sel:WORD_0 src1_sel:DWORD
	v_and_b32_sdwa v13, s4, v13 dst_sel:DWORD dst_unused:UNUSED_PAD src0_sel:DWORD src1_sel:BYTE_0
.LBB1671_239:
	s_or_b64 exec, exec, s[2:3]
	s_andn2_b64 vcc, exec, s[12:13]
	s_cbranch_vccnz .LBB1671_241
; %bb.240:
	v_cmp_gt_u32_e32 vcc, s48, v1
	v_cndmask_b32_e32 v1, 0, v12, vcc
	v_and_b32_e32 v1, 0xffff00ff, v1
	v_cmp_gt_u32_e64 s[2:3], s48, v24
	v_cndmask_b32_e64 v1, v1, v12, s[2:3]
	s_waitcnt vmcnt(0) lgkmcnt(0)
	v_lshrrev_b32_e32 v14, 24, v1
	s_mov_b32 s4, 0x40c0100
	v_perm_b32 v1, v14, v1, s4
	v_cmp_gt_u32_e64 s[4:5], s48, v22
	v_cmp_gt_u32_e64 s[6:7], s48, v25
	v_cndmask_b32_e64 v1, v1, v12, s[4:5]
	s_or_b64 s[4:5], s[6:7], s[4:5]
	s_or_b64 s[2:3], s[4:5], s[2:3]
	s_or_b64 vcc, s[2:3], vcc
	v_and_b32_e32 v1, 0xffffff, v1
	v_cndmask_b32_e32 v14, 0, v13, vcc
	v_cndmask_b32_e64 v1, v1, v12, s[6:7]
	v_and_b32_e32 v14, 0xffffff00, v14
	v_cmp_gt_u32_e32 vcc, s48, v23
	v_cndmask_b32_e32 v1, v1, v12, vcc
	v_cndmask_b32_e32 v12, v14, v13, vcc
	s_mov_b32 s2, 0x3020104
	v_and_b32_e32 v13, 0xff, v12
	v_perm_b32 v12, v1, v1, s2
.LBB1671_241:
	v_and_b32_e32 v1, 0xff, v12
	v_bfe_u32 v25, v12, 8, 8
	v_bfe_u32 v27, v12, 16, 8
	s_waitcnt vmcnt(0) lgkmcnt(0)
	v_alignbit_b32 v14, v13, v12, 24
	v_and_b32_e32 v28, 0xff, v14
	v_and_b32_e32 v14, 0xff, v13
	v_add3_u32 v15, v25, v1, v27
	v_add3_u32 v31, v15, v28, v14
	v_mbcnt_lo_u32_b32 v14, -1, 0
	v_mbcnt_hi_u32_b32 v29, -1, v14
	v_and_b32_e32 v14, 15, v29
	v_cmp_eq_u32_e64 s[14:15], 0, v14
	v_cmp_lt_u32_e64 s[12:13], 1, v14
	v_cmp_lt_u32_e64 s[10:11], 3, v14
	v_cmp_lt_u32_e64 s[8:9], 7, v14
	v_and_b32_e32 v14, 16, v29
	v_cmp_eq_u32_e64 s[6:7], 0, v14
	v_or_b32_e32 v14, 63, v0
	v_cmp_lt_u32_e64 s[2:3], 31, v29
	v_lshrrev_b32_e32 v30, 6, v0
	v_cmp_eq_u32_e64 s[4:5], v14, v0
	s_and_b64 vcc, exec, s[34:35]
	s_barrier
	s_cbranch_vccz .LBB1671_272
; %bb.242:
	v_mov_b32_dpp v14, v31 row_shr:1 row_mask:0xf bank_mask:0xf
	v_cndmask_b32_e64 v14, v14, 0, s[14:15]
	v_add_u32_e32 v14, v14, v31
	s_nop 1
	v_mov_b32_dpp v15, v14 row_shr:2 row_mask:0xf bank_mask:0xf
	v_cndmask_b32_e64 v15, 0, v15, s[12:13]
	v_add_u32_e32 v14, v14, v15
	s_nop 1
	;; [unrolled: 4-line block ×4, first 2 shown]
	v_mov_b32_dpp v15, v14 row_bcast:15 row_mask:0xf bank_mask:0xf
	v_cndmask_b32_e64 v15, v15, 0, s[6:7]
	v_add_u32_e32 v14, v14, v15
	s_nop 1
	v_mov_b32_dpp v15, v14 row_bcast:31 row_mask:0xf bank_mask:0xf
	v_cndmask_b32_e64 v15, 0, v15, s[2:3]
	v_add_u32_e32 v14, v14, v15
	s_and_saveexec_b64 s[16:17], s[4:5]
	s_cbranch_execz .LBB1671_244
; %bb.243:
	v_lshlrev_b32_e32 v15, 2, v30
	ds_write_b32 v15, v14
.LBB1671_244:
	s_or_b64 exec, exec, s[16:17]
	v_cmp_gt_u32_e32 vcc, 4, v0
	s_waitcnt lgkmcnt(0)
	s_barrier
	s_and_saveexec_b64 s[16:17], vcc
	s_cbranch_execz .LBB1671_246
; %bb.245:
	v_lshlrev_b32_e32 v15, 2, v0
	ds_read_b32 v16, v15
	v_and_b32_e32 v17, 3, v29
	v_cmp_ne_u32_e32 vcc, 0, v17
	s_waitcnt lgkmcnt(0)
	v_mov_b32_dpp v18, v16 row_shr:1 row_mask:0xf bank_mask:0xf
	v_cndmask_b32_e32 v18, 0, v18, vcc
	v_add_u32_e32 v16, v18, v16
	v_cmp_lt_u32_e32 vcc, 1, v17
	s_nop 0
	v_mov_b32_dpp v18, v16 row_shr:2 row_mask:0xf bank_mask:0xf
	v_cndmask_b32_e32 v17, 0, v18, vcc
	v_add_u32_e32 v16, v16, v17
	ds_write_b32 v15, v16
.LBB1671_246:
	s_or_b64 exec, exec, s[16:17]
	v_cmp_gt_u32_e32 vcc, 64, v0
	v_cmp_lt_u32_e64 s[16:17], 63, v0
	s_waitcnt lgkmcnt(0)
	s_barrier
	s_waitcnt lgkmcnt(0)
                                        ; implicit-def: $vgpr24
	s_and_saveexec_b64 s[26:27], s[16:17]
	s_cbranch_execz .LBB1671_248
; %bb.247:
	v_lshl_add_u32 v15, v30, 2, -4
	ds_read_b32 v24, v15
	s_waitcnt lgkmcnt(0)
	v_add_u32_e32 v14, v24, v14
.LBB1671_248:
	s_or_b64 exec, exec, s[26:27]
	v_add_u32_e32 v15, -1, v29
	v_and_b32_e32 v16, 64, v29
	v_cmp_lt_i32_e64 s[16:17], v15, v16
	v_cndmask_b32_e64 v15, v15, v29, s[16:17]
	v_lshlrev_b32_e32 v15, 2, v15
	ds_bpermute_b32 v26, v15, v14
	v_cmp_eq_u32_e64 s[16:17], 0, v29
	s_and_saveexec_b64 s[26:27], vcc
	s_cbranch_execz .LBB1671_271
; %bb.249:
	v_mov_b32_e32 v23, 0
	ds_read_b32 v14, v23 offset:12
	s_and_saveexec_b64 s[34:35], s[16:17]
	s_cbranch_execz .LBB1671_251
; %bb.250:
	s_add_i32 s36, s33, 64
	s_mov_b32 s37, 0
	s_lshl_b64 s[36:37], s[36:37], 3
	s_add_u32 s36, s18, s36
	v_mov_b32_e32 v15, 1
	s_addc_u32 s37, s19, s37
	s_waitcnt lgkmcnt(0)
	global_store_dwordx2 v23, v[14:15], s[36:37]
.LBB1671_251:
	s_or_b64 exec, exec, s[34:35]
	v_xad_u32 v16, v29, -1, s33
	v_add_u32_e32 v22, 64, v16
	v_lshlrev_b64 v[18:19], 3, v[22:23]
	v_mov_b32_e32 v15, s19
	v_add_co_u32_e32 v18, vcc, s18, v18
	v_addc_co_u32_e32 v19, vcc, v15, v19, vcc
	global_load_dwordx2 v[20:21], v[18:19], off glc
	s_waitcnt vmcnt(0)
	v_cmp_eq_u16_sdwa s[36:37], v21, v23 src0_sel:BYTE_0 src1_sel:DWORD
	s_and_saveexec_b64 s[34:35], s[36:37]
	s_cbranch_execz .LBB1671_257
; %bb.252:
	s_mov_b32 s38, 1
	s_mov_b64 s[36:37], 0
	v_mov_b32_e32 v15, 0
.LBB1671_253:                           ; =>This Loop Header: Depth=1
                                        ;     Child Loop BB1671_254 Depth 2
	s_max_u32 s39, s38, 1
.LBB1671_254:                           ;   Parent Loop BB1671_253 Depth=1
                                        ; =>  This Inner Loop Header: Depth=2
	s_add_i32 s39, s39, -1
	s_cmp_eq_u32 s39, 0
	s_sleep 1
	s_cbranch_scc0 .LBB1671_254
; %bb.255:                              ;   in Loop: Header=BB1671_253 Depth=1
	global_load_dwordx2 v[20:21], v[18:19], off glc
	s_cmp_lt_u32 s38, 32
	s_cselect_b64 s[40:41], -1, 0
	s_cmp_lg_u64 s[40:41], 0
	s_addc_u32 s38, s38, 0
	s_waitcnt vmcnt(0)
	v_cmp_ne_u16_sdwa s[40:41], v21, v15 src0_sel:BYTE_0 src1_sel:DWORD
	s_or_b64 s[36:37], s[40:41], s[36:37]
	s_andn2_b64 exec, exec, s[36:37]
	s_cbranch_execnz .LBB1671_253
; %bb.256:
	s_or_b64 exec, exec, s[36:37]
.LBB1671_257:
	s_or_b64 exec, exec, s[34:35]
	v_and_b32_e32 v32, 63, v29
	v_mov_b32_e32 v15, 2
	v_cmp_ne_u32_e32 vcc, 63, v32
	v_cmp_eq_u16_sdwa s[34:35], v21, v15 src0_sel:BYTE_0 src1_sel:DWORD
	v_lshlrev_b64 v[18:19], v29, -1
	v_addc_co_u32_e32 v23, vcc, 0, v29, vcc
	v_and_b32_e32 v17, s35, v19
	v_lshlrev_b32_e32 v33, 2, v23
	v_or_b32_e32 v17, 0x80000000, v17
	ds_bpermute_b32 v23, v33, v20
	v_and_b32_e32 v22, s34, v18
	v_ffbl_b32_e32 v17, v17
	v_add_u32_e32 v17, 32, v17
	v_ffbl_b32_e32 v22, v22
	v_min_u32_e32 v17, v22, v17
	v_cmp_lt_u32_e32 vcc, v32, v17
	s_waitcnt lgkmcnt(0)
	v_cndmask_b32_e32 v22, 0, v23, vcc
	v_cmp_gt_u32_e32 vcc, 62, v32
	v_add_u32_e32 v20, v22, v20
	v_cndmask_b32_e64 v22, 0, 1, vcc
	v_lshlrev_b32_e32 v22, 1, v22
	v_add_lshl_u32 v34, v22, v29, 2
	ds_bpermute_b32 v22, v34, v20
	v_add_u32_e32 v35, 2, v32
	v_cmp_le_u32_e32 vcc, v35, v17
	v_add_u32_e32 v37, 4, v32
	v_add_u32_e32 v39, 8, v32
	s_waitcnt lgkmcnt(0)
	v_cndmask_b32_e32 v22, 0, v22, vcc
	v_cmp_gt_u32_e32 vcc, 60, v32
	v_add_u32_e32 v20, v20, v22
	v_cndmask_b32_e64 v22, 0, 1, vcc
	v_lshlrev_b32_e32 v22, 2, v22
	v_add_lshl_u32 v36, v22, v29, 2
	ds_bpermute_b32 v22, v36, v20
	v_cmp_le_u32_e32 vcc, v37, v17
	v_add_u32_e32 v42, 16, v32
	v_add_u32_e32 v44, 32, v32
	s_waitcnt lgkmcnt(0)
	v_cndmask_b32_e32 v22, 0, v22, vcc
	v_cmp_gt_u32_e32 vcc, 56, v32
	v_add_u32_e32 v20, v20, v22
	v_cndmask_b32_e64 v22, 0, 1, vcc
	v_lshlrev_b32_e32 v22, 3, v22
	v_add_lshl_u32 v38, v22, v29, 2
	ds_bpermute_b32 v22, v38, v20
	v_cmp_le_u32_e32 vcc, v39, v17
	s_waitcnt lgkmcnt(0)
	v_cndmask_b32_e32 v22, 0, v22, vcc
	v_cmp_gt_u32_e32 vcc, 48, v32
	v_add_u32_e32 v20, v20, v22
	v_cndmask_b32_e64 v22, 0, 1, vcc
	v_lshlrev_b32_e32 v22, 4, v22
	v_add_lshl_u32 v41, v22, v29, 2
	ds_bpermute_b32 v22, v41, v20
	v_cmp_le_u32_e32 vcc, v42, v17
	;; [unrolled: 9-line block ×3, first 2 shown]
	s_waitcnt lgkmcnt(0)
	v_cndmask_b32_e32 v17, 0, v22, vcc
	v_add_u32_e32 v20, v20, v17
	v_mov_b32_e32 v17, 0
	s_branch .LBB1671_259
.LBB1671_258:                           ;   in Loop: Header=BB1671_259 Depth=1
	s_or_b64 exec, exec, s[34:35]
	v_cmp_eq_u16_sdwa s[34:35], v21, v15 src0_sel:BYTE_0 src1_sel:DWORD
	v_and_b32_e32 v22, s35, v19
	v_or_b32_e32 v22, 0x80000000, v22
	ds_bpermute_b32 v45, v33, v20
	v_and_b32_e32 v23, s34, v18
	v_ffbl_b32_e32 v22, v22
	v_add_u32_e32 v22, 32, v22
	v_ffbl_b32_e32 v23, v23
	v_min_u32_e32 v22, v23, v22
	v_cmp_lt_u32_e32 vcc, v32, v22
	s_waitcnt lgkmcnt(0)
	v_cndmask_b32_e32 v23, 0, v45, vcc
	v_add_u32_e32 v20, v23, v20
	ds_bpermute_b32 v23, v34, v20
	v_cmp_le_u32_e32 vcc, v35, v22
	v_subrev_u32_e32 v16, 64, v16
	s_waitcnt lgkmcnt(0)
	v_cndmask_b32_e32 v23, 0, v23, vcc
	v_add_u32_e32 v20, v20, v23
	ds_bpermute_b32 v23, v36, v20
	v_cmp_le_u32_e32 vcc, v37, v22
	s_waitcnt lgkmcnt(0)
	v_cndmask_b32_e32 v23, 0, v23, vcc
	v_add_u32_e32 v20, v20, v23
	ds_bpermute_b32 v23, v38, v20
	v_cmp_le_u32_e32 vcc, v39, v22
	;; [unrolled: 5-line block ×4, first 2 shown]
	s_waitcnt lgkmcnt(0)
	v_cndmask_b32_e32 v22, 0, v23, vcc
	v_add3_u32 v20, v22, v40, v20
.LBB1671_259:                           ; =>This Loop Header: Depth=1
                                        ;     Child Loop BB1671_262 Depth 2
                                        ;       Child Loop BB1671_263 Depth 3
	v_cmp_ne_u16_sdwa s[34:35], v21, v15 src0_sel:BYTE_0 src1_sel:DWORD
	v_cndmask_b32_e64 v21, 0, 1, s[34:35]
	;;#ASMSTART
	;;#ASMEND
	v_cmp_ne_u32_e32 vcc, 0, v21
	s_cmp_lg_u64 vcc, exec
	v_mov_b32_e32 v40, v20
	s_cbranch_scc1 .LBB1671_266
; %bb.260:                              ;   in Loop: Header=BB1671_259 Depth=1
	v_lshlrev_b64 v[20:21], 3, v[16:17]
	v_mov_b32_e32 v23, s19
	v_add_co_u32_e32 v22, vcc, s18, v20
	v_addc_co_u32_e32 v23, vcc, v23, v21, vcc
	global_load_dwordx2 v[20:21], v[22:23], off glc
	s_waitcnt vmcnt(0)
	v_cmp_eq_u16_sdwa s[36:37], v21, v17 src0_sel:BYTE_0 src1_sel:DWORD
	s_and_saveexec_b64 s[34:35], s[36:37]
	s_cbranch_execz .LBB1671_258
; %bb.261:                              ;   in Loop: Header=BB1671_259 Depth=1
	s_mov_b32 s38, 1
	s_mov_b64 s[36:37], 0
.LBB1671_262:                           ;   Parent Loop BB1671_259 Depth=1
                                        ; =>  This Loop Header: Depth=2
                                        ;       Child Loop BB1671_263 Depth 3
	s_max_u32 s39, s38, 1
.LBB1671_263:                           ;   Parent Loop BB1671_259 Depth=1
                                        ;     Parent Loop BB1671_262 Depth=2
                                        ; =>    This Inner Loop Header: Depth=3
	s_add_i32 s39, s39, -1
	s_cmp_eq_u32 s39, 0
	s_sleep 1
	s_cbranch_scc0 .LBB1671_263
; %bb.264:                              ;   in Loop: Header=BB1671_262 Depth=2
	global_load_dwordx2 v[20:21], v[22:23], off glc
	s_cmp_lt_u32 s38, 32
	s_cselect_b64 s[40:41], -1, 0
	s_cmp_lg_u64 s[40:41], 0
	s_addc_u32 s38, s38, 0
	s_waitcnt vmcnt(0)
	v_cmp_ne_u16_sdwa s[40:41], v21, v17 src0_sel:BYTE_0 src1_sel:DWORD
	s_or_b64 s[36:37], s[40:41], s[36:37]
	s_andn2_b64 exec, exec, s[36:37]
	s_cbranch_execnz .LBB1671_262
; %bb.265:                              ;   in Loop: Header=BB1671_259 Depth=1
	s_or_b64 exec, exec, s[36:37]
	s_branch .LBB1671_258
.LBB1671_266:                           ;   in Loop: Header=BB1671_259 Depth=1
                                        ; implicit-def: $vgpr20
                                        ; implicit-def: $vgpr21
	s_cbranch_execz .LBB1671_259
; %bb.267:
	s_and_saveexec_b64 s[34:35], s[16:17]
	s_cbranch_execz .LBB1671_269
; %bb.268:
	s_add_i32 s36, s33, 64
	s_mov_b32 s37, 0
	s_lshl_b64 s[36:37], s[36:37], 3
	s_add_u32 s36, s18, s36
	v_add_u32_e32 v16, v40, v14
	v_mov_b32_e32 v17, 2
	s_addc_u32 s37, s19, s37
	v_mov_b32_e32 v15, 0
	s_movk_i32 s33, 0x2800
	global_store_dwordx2 v15, v[16:17], s[36:37]
	v_add_u32_e64 v15, s33, 0
	ds_write2_b32 v15, v14, v40 offset1:2
.LBB1671_269:
	s_or_b64 exec, exec, s[34:35]
	s_and_b64 exec, exec, s[0:1]
	s_cbranch_execz .LBB1671_271
; %bb.270:
	v_mov_b32_e32 v14, 0
	ds_write_b32 v14, v40 offset:12
.LBB1671_271:
	s_or_b64 exec, exec, s[26:27]
	v_mov_b32_e32 v14, 0
	s_waitcnt lgkmcnt(0)
	s_barrier
	ds_read_b32 v14, v14 offset:12
	v_cndmask_b32_e64 v15, v26, v24, s[16:17]
	v_cndmask_b32_e64 v15, v15, 0, s[0:1]
	s_movk_i32 s16, 0x2800
	s_waitcnt lgkmcnt(0)
	v_add_u32_e32 v26, v14, v15
	v_add_u32_e64 v14, s16, 0
	s_barrier
	ds_read2_b32 v[14:15], v14 offset1:2
	v_add_u32_e32 v24, v26, v1
	v_add_u32_e32 v22, v24, v25
	;; [unrolled: 1-line block ×4, first 2 shown]
	v_lshrrev_b64 v[16:17], 24, v[12:13]
	s_branch .LBB1671_282
.LBB1671_272:
                                        ; implicit-def: $vgpr18
                                        ; implicit-def: $vgpr20
                                        ; implicit-def: $vgpr22
                                        ; implicit-def: $vgpr24
                                        ; implicit-def: $vgpr26
                                        ; implicit-def: $vgpr15
	v_lshrrev_b64 v[16:17], 24, v[12:13]
	s_cbranch_execz .LBB1671_282
; %bb.273:
	s_waitcnt lgkmcnt(0)
	v_mov_b32_dpp v14, v31 row_shr:1 row_mask:0xf bank_mask:0xf
	v_cndmask_b32_e64 v14, v14, 0, s[14:15]
	v_add_u32_e32 v14, v14, v31
	s_nop 1
	v_mov_b32_dpp v15, v14 row_shr:2 row_mask:0xf bank_mask:0xf
	v_cndmask_b32_e64 v15, 0, v15, s[12:13]
	v_add_u32_e32 v14, v14, v15
	s_nop 1
	;; [unrolled: 4-line block ×4, first 2 shown]
	v_mov_b32_dpp v15, v14 row_bcast:15 row_mask:0xf bank_mask:0xf
	v_cndmask_b32_e64 v15, v15, 0, s[6:7]
	v_add_u32_e32 v14, v14, v15
	s_nop 1
	v_mov_b32_dpp v15, v14 row_bcast:31 row_mask:0xf bank_mask:0xf
	v_cndmask_b32_e64 v15, 0, v15, s[2:3]
	v_add_u32_e32 v14, v14, v15
	s_and_saveexec_b64 s[2:3], s[4:5]
	s_cbranch_execz .LBB1671_275
; %bb.274:
	v_lshlrev_b32_e32 v15, 2, v30
	ds_write_b32 v15, v14
.LBB1671_275:
	s_or_b64 exec, exec, s[2:3]
	v_cmp_gt_u32_e32 vcc, 4, v0
	s_waitcnt lgkmcnt(0)
	s_barrier
	s_and_saveexec_b64 s[2:3], vcc
	s_cbranch_execz .LBB1671_277
; %bb.276:
	v_lshlrev_b32_e32 v15, 2, v0
	ds_read_b32 v17, v15
	v_and_b32_e32 v18, 3, v29
	v_cmp_ne_u32_e32 vcc, 0, v18
	s_waitcnt lgkmcnt(0)
	v_mov_b32_dpp v19, v17 row_shr:1 row_mask:0xf bank_mask:0xf
	v_cndmask_b32_e32 v19, 0, v19, vcc
	v_add_u32_e32 v17, v19, v17
	v_cmp_lt_u32_e32 vcc, 1, v18
	s_nop 0
	v_mov_b32_dpp v19, v17 row_shr:2 row_mask:0xf bank_mask:0xf
	v_cndmask_b32_e32 v18, 0, v19, vcc
	v_add_u32_e32 v17, v17, v18
	ds_write_b32 v15, v17
.LBB1671_277:
	s_or_b64 exec, exec, s[2:3]
	v_cmp_lt_u32_e32 vcc, 63, v0
	v_mov_b32_e32 v15, 0
	v_mov_b32_e32 v17, 0
	s_waitcnt lgkmcnt(0)
	s_barrier
	s_and_saveexec_b64 s[2:3], vcc
	s_cbranch_execz .LBB1671_279
; %bb.278:
	v_lshl_add_u32 v17, v30, 2, -4
	ds_read_b32 v17, v17
.LBB1671_279:
	s_or_b64 exec, exec, s[2:3]
	v_add_u32_e32 v18, -1, v29
	v_and_b32_e32 v19, 64, v29
	v_cmp_lt_i32_e32 vcc, v18, v19
	v_cndmask_b32_e32 v18, v18, v29, vcc
	s_waitcnt lgkmcnt(0)
	v_add_u32_e32 v14, v17, v14
	v_lshlrev_b32_e32 v18, 2, v18
	ds_bpermute_b32 v18, v18, v14
	ds_read_b32 v14, v15 offset:12
	s_and_saveexec_b64 s[2:3], s[0:1]
	s_cbranch_execz .LBB1671_281
; %bb.280:
	v_mov_b32_e32 v19, 0
	v_mov_b32_e32 v15, 2
	s_waitcnt lgkmcnt(0)
	global_store_dwordx2 v19, v[14:15], s[18:19] offset:512
.LBB1671_281:
	s_or_b64 exec, exec, s[2:3]
	v_cmp_eq_u32_e32 vcc, 0, v29
	s_waitcnt lgkmcnt(1)
	v_cndmask_b32_e32 v17, v18, v17, vcc
	v_cndmask_b32_e64 v26, v17, 0, s[0:1]
	v_add_u32_e32 v24, v26, v1
	v_add_u32_e32 v22, v24, v25
	;; [unrolled: 1-line block ×3, first 2 shown]
	v_mov_b32_e32 v15, 0
	v_add_u32_e32 v18, v20, v28
	s_waitcnt lgkmcnt(0)
	s_barrier
.LBB1671_282:
	s_movk_i32 s2, 0x101
	s_waitcnt lgkmcnt(0)
	v_cmp_gt_u32_e32 vcc, s2, v14
	v_lshrrev_b32_e32 v1, 8, v12
	s_mov_b64 s[2:3], -1
	s_cbranch_vccnz .LBB1671_286
; %bb.283:
	s_and_b64 vcc, exec, s[2:3]
	s_cbranch_vccnz .LBB1671_302
.LBB1671_284:
	s_and_b64 s[0:1], s[0:1], s[24:25]
	s_and_saveexec_b64 s[2:3], s[0:1]
	s_cbranch_execnz .LBB1671_316
.LBB1671_285:
	s_endpgm
.LBB1671_286:
	v_add_u32_e32 v17, v15, v14
	v_cmp_lt_u32_e32 vcc, v26, v17
	s_or_b64 s[4:5], s[30:31], vcc
	s_and_saveexec_b64 s[2:3], s[4:5]
	s_cbranch_execz .LBB1671_289
; %bb.287:
	v_and_b32_e32 v19, 1, v12
	v_cmp_eq_u32_e32 vcc, 1, v19
	s_and_b64 exec, exec, vcc
	s_cbranch_execz .LBB1671_289
; %bb.288:
	s_lshl_b64 s[4:5], s[22:23], 3
	s_add_u32 s4, s28, s4
	v_mov_b32_e32 v27, 0
	s_addc_u32 s5, s29, s5
	v_lshlrev_b64 v[28:29], 3, v[26:27]
	v_mov_b32_e32 v19, s5
	v_add_co_u32_e32 v28, vcc, s4, v28
	v_addc_co_u32_e32 v29, vcc, v19, v29, vcc
	global_store_dwordx2 v[28:29], v[6:7], off
.LBB1671_289:
	s_or_b64 exec, exec, s[2:3]
	v_cmp_lt_u32_e32 vcc, v24, v17
	s_or_b64 s[4:5], s[30:31], vcc
	s_and_saveexec_b64 s[2:3], s[4:5]
	s_cbranch_execz .LBB1671_292
; %bb.290:
	v_and_b32_e32 v19, 1, v1
	v_cmp_eq_u32_e32 vcc, 1, v19
	s_and_b64 exec, exec, vcc
	s_cbranch_execz .LBB1671_292
; %bb.291:
	s_lshl_b64 s[4:5], s[22:23], 3
	s_add_u32 s4, s28, s4
	v_mov_b32_e32 v25, 0
	s_addc_u32 s5, s29, s5
	v_lshlrev_b64 v[28:29], 3, v[24:25]
	v_mov_b32_e32 v19, s5
	v_add_co_u32_e32 v28, vcc, s4, v28
	v_addc_co_u32_e32 v29, vcc, v19, v29, vcc
	global_store_dwordx2 v[28:29], v[8:9], off
.LBB1671_292:
	s_or_b64 exec, exec, s[2:3]
	v_cmp_lt_u32_e32 vcc, v22, v17
	s_or_b64 s[4:5], s[30:31], vcc
	s_and_saveexec_b64 s[2:3], s[4:5]
	s_cbranch_execz .LBB1671_295
; %bb.293:
	v_mov_b32_e32 v19, 1
	v_and_b32_sdwa v19, v19, v12 dst_sel:DWORD dst_unused:UNUSED_PAD src0_sel:DWORD src1_sel:WORD_1
	v_cmp_eq_u32_e32 vcc, 1, v19
	s_and_b64 exec, exec, vcc
	s_cbranch_execz .LBB1671_295
; %bb.294:
	s_lshl_b64 s[4:5], s[22:23], 3
	s_add_u32 s4, s28, s4
	v_mov_b32_e32 v23, 0
	s_addc_u32 s5, s29, s5
	v_lshlrev_b64 v[28:29], 3, v[22:23]
	v_mov_b32_e32 v19, s5
	v_add_co_u32_e32 v28, vcc, s4, v28
	v_addc_co_u32_e32 v29, vcc, v19, v29, vcc
	global_store_dwordx2 v[28:29], v[2:3], off
.LBB1671_295:
	s_or_b64 exec, exec, s[2:3]
	v_cmp_lt_u32_e32 vcc, v20, v17
	s_or_b64 s[4:5], s[30:31], vcc
	s_and_saveexec_b64 s[2:3], s[4:5]
	s_cbranch_execz .LBB1671_298
; %bb.296:
	v_and_b32_e32 v19, 1, v16
	v_cmp_eq_u32_e32 vcc, 1, v19
	s_and_b64 exec, exec, vcc
	s_cbranch_execz .LBB1671_298
; %bb.297:
	s_lshl_b64 s[4:5], s[22:23], 3
	s_add_u32 s4, s28, s4
	v_mov_b32_e32 v21, 0
	s_addc_u32 s5, s29, s5
	v_lshlrev_b64 v[28:29], 3, v[20:21]
	v_mov_b32_e32 v19, s5
	v_add_co_u32_e32 v28, vcc, s4, v28
	v_addc_co_u32_e32 v29, vcc, v19, v29, vcc
	global_store_dwordx2 v[28:29], v[4:5], off
.LBB1671_298:
	s_or_b64 exec, exec, s[2:3]
	v_cmp_lt_u32_e32 vcc, v18, v17
	s_or_b64 s[4:5], s[30:31], vcc
	s_and_saveexec_b64 s[2:3], s[4:5]
	s_cbranch_execz .LBB1671_301
; %bb.299:
	v_and_b32_e32 v17, 1, v13
	v_cmp_eq_u32_e32 vcc, 1, v17
	s_and_b64 exec, exec, vcc
	s_cbranch_execz .LBB1671_301
; %bb.300:
	s_lshl_b64 s[4:5], s[22:23], 3
	s_add_u32 s4, s28, s4
	v_mov_b32_e32 v19, 0
	s_addc_u32 s5, s29, s5
	v_lshlrev_b64 v[28:29], 3, v[18:19]
	v_mov_b32_e32 v17, s5
	v_add_co_u32_e32 v28, vcc, s4, v28
	v_addc_co_u32_e32 v29, vcc, v17, v29, vcc
	global_store_dwordx2 v[28:29], v[10:11], off
.LBB1671_301:
	s_or_b64 exec, exec, s[2:3]
	s_branch .LBB1671_284
.LBB1671_302:
	v_and_b32_e32 v17, 1, v12
	v_cmp_eq_u32_e32 vcc, 1, v17
	s_and_saveexec_b64 s[2:3], vcc
	s_cbranch_execz .LBB1671_304
; %bb.303:
	v_sub_u32_e32 v17, v26, v15
	v_lshlrev_b32_e32 v17, 3, v17
	ds_write_b64 v17, v[6:7]
.LBB1671_304:
	s_or_b64 exec, exec, s[2:3]
	v_and_b32_e32 v1, 1, v1
	v_cmp_eq_u32_e32 vcc, 1, v1
	s_and_saveexec_b64 s[2:3], vcc
	s_cbranch_execz .LBB1671_306
; %bb.305:
	v_sub_u32_e32 v1, v24, v15
	v_lshlrev_b32_e32 v1, 3, v1
	ds_write_b64 v1, v[8:9]
.LBB1671_306:
	s_or_b64 exec, exec, s[2:3]
	v_mov_b32_e32 v1, 1
	v_and_b32_sdwa v1, v1, v12 dst_sel:DWORD dst_unused:UNUSED_PAD src0_sel:DWORD src1_sel:WORD_1
	v_cmp_eq_u32_e32 vcc, 1, v1
	s_and_saveexec_b64 s[2:3], vcc
	s_cbranch_execz .LBB1671_308
; %bb.307:
	v_sub_u32_e32 v1, v22, v15
	v_lshlrev_b32_e32 v1, 3, v1
	ds_write_b64 v1, v[2:3]
.LBB1671_308:
	s_or_b64 exec, exec, s[2:3]
	v_and_b32_e32 v1, 1, v16
	v_cmp_eq_u32_e32 vcc, 1, v1
	s_and_saveexec_b64 s[2:3], vcc
	s_cbranch_execz .LBB1671_310
; %bb.309:
	v_sub_u32_e32 v1, v20, v15
	v_lshlrev_b32_e32 v1, 3, v1
	ds_write_b64 v1, v[4:5]
.LBB1671_310:
	s_or_b64 exec, exec, s[2:3]
	v_and_b32_e32 v1, 1, v13
	v_cmp_eq_u32_e32 vcc, 1, v1
	s_and_saveexec_b64 s[2:3], vcc
	s_cbranch_execz .LBB1671_312
; %bb.311:
	v_sub_u32_e32 v1, v18, v15
	v_lshlrev_b32_e32 v1, 3, v1
	ds_write_b64 v1, v[10:11]
.LBB1671_312:
	s_or_b64 exec, exec, s[2:3]
	v_cmp_lt_u32_e32 vcc, v0, v14
	s_waitcnt lgkmcnt(0)
	s_barrier
	s_and_saveexec_b64 s[2:3], vcc
	s_cbranch_execz .LBB1671_315
; %bb.313:
	v_mov_b32_e32 v1, 0
	v_mov_b32_e32 v2, v15
	v_mov_b32_e32 v3, v1
	v_lshlrev_b64 v[2:3], 3, v[2:3]
	v_mov_b32_e32 v4, s29
	v_add_co_u32_e32 v2, vcc, s28, v2
	v_addc_co_u32_e32 v3, vcc, v4, v3, vcc
	s_lshl_b64 s[4:5], s[22:23], 3
	v_mov_b32_e32 v4, s5
	v_add_co_u32_e32 v2, vcc, s4, v2
	v_addc_co_u32_e32 v3, vcc, v3, v4, vcc
	v_lshlrev_b32_e32 v4, 3, v0
	s_mov_b64 s[4:5], 0
.LBB1671_314:                           ; =>This Inner Loop Header: Depth=1
	ds_read_b64 v[6:7], v4
	v_lshlrev_b64 v[8:9], 3, v[0:1]
	v_add_co_u32_e32 v8, vcc, v2, v8
	v_add_u32_e32 v0, 0x100, v0
	v_addc_co_u32_e32 v9, vcc, v3, v9, vcc
	v_cmp_ge_u32_e32 vcc, v0, v14
	v_add_u32_e32 v4, 0x800, v4
	s_or_b64 s[4:5], vcc, s[4:5]
	s_waitcnt lgkmcnt(0)
	global_store_dwordx2 v[8:9], v[6:7], off
	s_andn2_b64 exec, exec, s[4:5]
	s_cbranch_execnz .LBB1671_314
.LBB1671_315:
	s_or_b64 exec, exec, s[2:3]
	s_and_b64 s[0:1], s[0:1], s[24:25]
	s_and_saveexec_b64 s[2:3], s[0:1]
	s_cbranch_execz .LBB1671_285
.LBB1671_316:
	v_mov_b32_e32 v0, s23
	v_add_co_u32_e32 v1, vcc, s22, v14
	v_addc_co_u32_e32 v3, vcc, 0, v0, vcc
	v_add_co_u32_e32 v0, vcc, v1, v15
	v_mov_b32_e32 v2, 0
	v_addc_co_u32_e32 v1, vcc, 0, v3, vcc
	global_store_dwordx2 v2, v[0:1], s[20:21]
	s_endpgm
	.section	.rodata,"a",@progbits
	.p2align	6, 0x0
	.amdhsa_kernel _ZN7rocprim17ROCPRIM_400000_NS6detail17trampoline_kernelINS0_14default_configENS1_25partition_config_selectorILNS1_17partition_subalgoE8ElNS0_10empty_typeEbEEZZNS1_14partition_implILS5_8ELb0ES3_jPlPS6_PKS6_NS0_5tupleIJS9_S6_EEENSD_IJSA_SA_EEENS0_18inequality_wrapperIZN2at6native12_GLOBAL__N_124unique_dim_cuda_templateImEESt5tupleIJNSH_6TensorESM_SM_EERKSM_lbbbEUlllE0_EEPmJS6_EEE10hipError_tPvRmT3_T4_T5_T6_T7_T9_mT8_P12ihipStream_tbDpT10_ENKUlT_T0_E_clISt17integral_constantIbLb1EES1C_EEDaS17_S18_EUlS17_E_NS1_11comp_targetILNS1_3genE4ELNS1_11target_archE910ELNS1_3gpuE8ELNS1_3repE0EEENS1_30default_config_static_selectorELNS0_4arch9wavefront6targetE1EEEvT1_
		.amdhsa_group_segment_fixed_size 10252
		.amdhsa_private_segment_fixed_size 0
		.amdhsa_kernarg_size 136
		.amdhsa_user_sgpr_count 6
		.amdhsa_user_sgpr_private_segment_buffer 1
		.amdhsa_user_sgpr_dispatch_ptr 0
		.amdhsa_user_sgpr_queue_ptr 0
		.amdhsa_user_sgpr_kernarg_segment_ptr 1
		.amdhsa_user_sgpr_dispatch_id 0
		.amdhsa_user_sgpr_flat_scratch_init 0
		.amdhsa_user_sgpr_kernarg_preload_length 0
		.amdhsa_user_sgpr_kernarg_preload_offset 0
		.amdhsa_user_sgpr_private_segment_size 0
		.amdhsa_uses_dynamic_stack 0
		.amdhsa_system_sgpr_private_segment_wavefront_offset 0
		.amdhsa_system_sgpr_workgroup_id_x 1
		.amdhsa_system_sgpr_workgroup_id_y 0
		.amdhsa_system_sgpr_workgroup_id_z 0
		.amdhsa_system_sgpr_workgroup_info 0
		.amdhsa_system_vgpr_workitem_id 0
		.amdhsa_next_free_vgpr 46
		.amdhsa_next_free_sgpr 52
		.amdhsa_accum_offset 48
		.amdhsa_reserve_vcc 1
		.amdhsa_reserve_flat_scratch 0
		.amdhsa_float_round_mode_32 0
		.amdhsa_float_round_mode_16_64 0
		.amdhsa_float_denorm_mode_32 3
		.amdhsa_float_denorm_mode_16_64 3
		.amdhsa_dx10_clamp 1
		.amdhsa_ieee_mode 1
		.amdhsa_fp16_overflow 0
		.amdhsa_tg_split 0
		.amdhsa_exception_fp_ieee_invalid_op 0
		.amdhsa_exception_fp_denorm_src 0
		.amdhsa_exception_fp_ieee_div_zero 0
		.amdhsa_exception_fp_ieee_overflow 0
		.amdhsa_exception_fp_ieee_underflow 0
		.amdhsa_exception_fp_ieee_inexact 0
		.amdhsa_exception_int_div_zero 0
	.end_amdhsa_kernel
	.section	.text._ZN7rocprim17ROCPRIM_400000_NS6detail17trampoline_kernelINS0_14default_configENS1_25partition_config_selectorILNS1_17partition_subalgoE8ElNS0_10empty_typeEbEEZZNS1_14partition_implILS5_8ELb0ES3_jPlPS6_PKS6_NS0_5tupleIJS9_S6_EEENSD_IJSA_SA_EEENS0_18inequality_wrapperIZN2at6native12_GLOBAL__N_124unique_dim_cuda_templateImEESt5tupleIJNSH_6TensorESM_SM_EERKSM_lbbbEUlllE0_EEPmJS6_EEE10hipError_tPvRmT3_T4_T5_T6_T7_T9_mT8_P12ihipStream_tbDpT10_ENKUlT_T0_E_clISt17integral_constantIbLb1EES1C_EEDaS17_S18_EUlS17_E_NS1_11comp_targetILNS1_3genE4ELNS1_11target_archE910ELNS1_3gpuE8ELNS1_3repE0EEENS1_30default_config_static_selectorELNS0_4arch9wavefront6targetE1EEEvT1_,"axG",@progbits,_ZN7rocprim17ROCPRIM_400000_NS6detail17trampoline_kernelINS0_14default_configENS1_25partition_config_selectorILNS1_17partition_subalgoE8ElNS0_10empty_typeEbEEZZNS1_14partition_implILS5_8ELb0ES3_jPlPS6_PKS6_NS0_5tupleIJS9_S6_EEENSD_IJSA_SA_EEENS0_18inequality_wrapperIZN2at6native12_GLOBAL__N_124unique_dim_cuda_templateImEESt5tupleIJNSH_6TensorESM_SM_EERKSM_lbbbEUlllE0_EEPmJS6_EEE10hipError_tPvRmT3_T4_T5_T6_T7_T9_mT8_P12ihipStream_tbDpT10_ENKUlT_T0_E_clISt17integral_constantIbLb1EES1C_EEDaS17_S18_EUlS17_E_NS1_11comp_targetILNS1_3genE4ELNS1_11target_archE910ELNS1_3gpuE8ELNS1_3repE0EEENS1_30default_config_static_selectorELNS0_4arch9wavefront6targetE1EEEvT1_,comdat
.Lfunc_end1671:
	.size	_ZN7rocprim17ROCPRIM_400000_NS6detail17trampoline_kernelINS0_14default_configENS1_25partition_config_selectorILNS1_17partition_subalgoE8ElNS0_10empty_typeEbEEZZNS1_14partition_implILS5_8ELb0ES3_jPlPS6_PKS6_NS0_5tupleIJS9_S6_EEENSD_IJSA_SA_EEENS0_18inequality_wrapperIZN2at6native12_GLOBAL__N_124unique_dim_cuda_templateImEESt5tupleIJNSH_6TensorESM_SM_EERKSM_lbbbEUlllE0_EEPmJS6_EEE10hipError_tPvRmT3_T4_T5_T6_T7_T9_mT8_P12ihipStream_tbDpT10_ENKUlT_T0_E_clISt17integral_constantIbLb1EES1C_EEDaS17_S18_EUlS17_E_NS1_11comp_targetILNS1_3genE4ELNS1_11target_archE910ELNS1_3gpuE8ELNS1_3repE0EEENS1_30default_config_static_selectorELNS0_4arch9wavefront6targetE1EEEvT1_, .Lfunc_end1671-_ZN7rocprim17ROCPRIM_400000_NS6detail17trampoline_kernelINS0_14default_configENS1_25partition_config_selectorILNS1_17partition_subalgoE8ElNS0_10empty_typeEbEEZZNS1_14partition_implILS5_8ELb0ES3_jPlPS6_PKS6_NS0_5tupleIJS9_S6_EEENSD_IJSA_SA_EEENS0_18inequality_wrapperIZN2at6native12_GLOBAL__N_124unique_dim_cuda_templateImEESt5tupleIJNSH_6TensorESM_SM_EERKSM_lbbbEUlllE0_EEPmJS6_EEE10hipError_tPvRmT3_T4_T5_T6_T7_T9_mT8_P12ihipStream_tbDpT10_ENKUlT_T0_E_clISt17integral_constantIbLb1EES1C_EEDaS17_S18_EUlS17_E_NS1_11comp_targetILNS1_3genE4ELNS1_11target_archE910ELNS1_3gpuE8ELNS1_3repE0EEENS1_30default_config_static_selectorELNS0_4arch9wavefront6targetE1EEEvT1_
                                        ; -- End function
	.section	.AMDGPU.csdata,"",@progbits
; Kernel info:
; codeLenInByte = 11652
; NumSgprs: 56
; NumVgprs: 46
; NumAgprs: 0
; TotalNumVgprs: 46
; ScratchSize: 0
; MemoryBound: 1
; FloatMode: 240
; IeeeMode: 1
; LDSByteSize: 10252 bytes/workgroup (compile time only)
; SGPRBlocks: 6
; VGPRBlocks: 5
; NumSGPRsForWavesPerEU: 56
; NumVGPRsForWavesPerEU: 46
; AccumOffset: 48
; Occupancy: 6
; WaveLimiterHint : 1
; COMPUTE_PGM_RSRC2:SCRATCH_EN: 0
; COMPUTE_PGM_RSRC2:USER_SGPR: 6
; COMPUTE_PGM_RSRC2:TRAP_HANDLER: 0
; COMPUTE_PGM_RSRC2:TGID_X_EN: 1
; COMPUTE_PGM_RSRC2:TGID_Y_EN: 0
; COMPUTE_PGM_RSRC2:TGID_Z_EN: 0
; COMPUTE_PGM_RSRC2:TIDIG_COMP_CNT: 0
; COMPUTE_PGM_RSRC3_GFX90A:ACCUM_OFFSET: 11
; COMPUTE_PGM_RSRC3_GFX90A:TG_SPLIT: 0
	.section	.text._ZN7rocprim17ROCPRIM_400000_NS6detail17trampoline_kernelINS0_14default_configENS1_25partition_config_selectorILNS1_17partition_subalgoE8ElNS0_10empty_typeEbEEZZNS1_14partition_implILS5_8ELb0ES3_jPlPS6_PKS6_NS0_5tupleIJS9_S6_EEENSD_IJSA_SA_EEENS0_18inequality_wrapperIZN2at6native12_GLOBAL__N_124unique_dim_cuda_templateImEESt5tupleIJNSH_6TensorESM_SM_EERKSM_lbbbEUlllE0_EEPmJS6_EEE10hipError_tPvRmT3_T4_T5_T6_T7_T9_mT8_P12ihipStream_tbDpT10_ENKUlT_T0_E_clISt17integral_constantIbLb1EES1C_EEDaS17_S18_EUlS17_E_NS1_11comp_targetILNS1_3genE3ELNS1_11target_archE908ELNS1_3gpuE7ELNS1_3repE0EEENS1_30default_config_static_selectorELNS0_4arch9wavefront6targetE1EEEvT1_,"axG",@progbits,_ZN7rocprim17ROCPRIM_400000_NS6detail17trampoline_kernelINS0_14default_configENS1_25partition_config_selectorILNS1_17partition_subalgoE8ElNS0_10empty_typeEbEEZZNS1_14partition_implILS5_8ELb0ES3_jPlPS6_PKS6_NS0_5tupleIJS9_S6_EEENSD_IJSA_SA_EEENS0_18inequality_wrapperIZN2at6native12_GLOBAL__N_124unique_dim_cuda_templateImEESt5tupleIJNSH_6TensorESM_SM_EERKSM_lbbbEUlllE0_EEPmJS6_EEE10hipError_tPvRmT3_T4_T5_T6_T7_T9_mT8_P12ihipStream_tbDpT10_ENKUlT_T0_E_clISt17integral_constantIbLb1EES1C_EEDaS17_S18_EUlS17_E_NS1_11comp_targetILNS1_3genE3ELNS1_11target_archE908ELNS1_3gpuE7ELNS1_3repE0EEENS1_30default_config_static_selectorELNS0_4arch9wavefront6targetE1EEEvT1_,comdat
	.globl	_ZN7rocprim17ROCPRIM_400000_NS6detail17trampoline_kernelINS0_14default_configENS1_25partition_config_selectorILNS1_17partition_subalgoE8ElNS0_10empty_typeEbEEZZNS1_14partition_implILS5_8ELb0ES3_jPlPS6_PKS6_NS0_5tupleIJS9_S6_EEENSD_IJSA_SA_EEENS0_18inequality_wrapperIZN2at6native12_GLOBAL__N_124unique_dim_cuda_templateImEESt5tupleIJNSH_6TensorESM_SM_EERKSM_lbbbEUlllE0_EEPmJS6_EEE10hipError_tPvRmT3_T4_T5_T6_T7_T9_mT8_P12ihipStream_tbDpT10_ENKUlT_T0_E_clISt17integral_constantIbLb1EES1C_EEDaS17_S18_EUlS17_E_NS1_11comp_targetILNS1_3genE3ELNS1_11target_archE908ELNS1_3gpuE7ELNS1_3repE0EEENS1_30default_config_static_selectorELNS0_4arch9wavefront6targetE1EEEvT1_ ; -- Begin function _ZN7rocprim17ROCPRIM_400000_NS6detail17trampoline_kernelINS0_14default_configENS1_25partition_config_selectorILNS1_17partition_subalgoE8ElNS0_10empty_typeEbEEZZNS1_14partition_implILS5_8ELb0ES3_jPlPS6_PKS6_NS0_5tupleIJS9_S6_EEENSD_IJSA_SA_EEENS0_18inequality_wrapperIZN2at6native12_GLOBAL__N_124unique_dim_cuda_templateImEESt5tupleIJNSH_6TensorESM_SM_EERKSM_lbbbEUlllE0_EEPmJS6_EEE10hipError_tPvRmT3_T4_T5_T6_T7_T9_mT8_P12ihipStream_tbDpT10_ENKUlT_T0_E_clISt17integral_constantIbLb1EES1C_EEDaS17_S18_EUlS17_E_NS1_11comp_targetILNS1_3genE3ELNS1_11target_archE908ELNS1_3gpuE7ELNS1_3repE0EEENS1_30default_config_static_selectorELNS0_4arch9wavefront6targetE1EEEvT1_
	.p2align	8
	.type	_ZN7rocprim17ROCPRIM_400000_NS6detail17trampoline_kernelINS0_14default_configENS1_25partition_config_selectorILNS1_17partition_subalgoE8ElNS0_10empty_typeEbEEZZNS1_14partition_implILS5_8ELb0ES3_jPlPS6_PKS6_NS0_5tupleIJS9_S6_EEENSD_IJSA_SA_EEENS0_18inequality_wrapperIZN2at6native12_GLOBAL__N_124unique_dim_cuda_templateImEESt5tupleIJNSH_6TensorESM_SM_EERKSM_lbbbEUlllE0_EEPmJS6_EEE10hipError_tPvRmT3_T4_T5_T6_T7_T9_mT8_P12ihipStream_tbDpT10_ENKUlT_T0_E_clISt17integral_constantIbLb1EES1C_EEDaS17_S18_EUlS17_E_NS1_11comp_targetILNS1_3genE3ELNS1_11target_archE908ELNS1_3gpuE7ELNS1_3repE0EEENS1_30default_config_static_selectorELNS0_4arch9wavefront6targetE1EEEvT1_,@function
_ZN7rocprim17ROCPRIM_400000_NS6detail17trampoline_kernelINS0_14default_configENS1_25partition_config_selectorILNS1_17partition_subalgoE8ElNS0_10empty_typeEbEEZZNS1_14partition_implILS5_8ELb0ES3_jPlPS6_PKS6_NS0_5tupleIJS9_S6_EEENSD_IJSA_SA_EEENS0_18inequality_wrapperIZN2at6native12_GLOBAL__N_124unique_dim_cuda_templateImEESt5tupleIJNSH_6TensorESM_SM_EERKSM_lbbbEUlllE0_EEPmJS6_EEE10hipError_tPvRmT3_T4_T5_T6_T7_T9_mT8_P12ihipStream_tbDpT10_ENKUlT_T0_E_clISt17integral_constantIbLb1EES1C_EEDaS17_S18_EUlS17_E_NS1_11comp_targetILNS1_3genE3ELNS1_11target_archE908ELNS1_3gpuE7ELNS1_3repE0EEENS1_30default_config_static_selectorELNS0_4arch9wavefront6targetE1EEEvT1_: ; @_ZN7rocprim17ROCPRIM_400000_NS6detail17trampoline_kernelINS0_14default_configENS1_25partition_config_selectorILNS1_17partition_subalgoE8ElNS0_10empty_typeEbEEZZNS1_14partition_implILS5_8ELb0ES3_jPlPS6_PKS6_NS0_5tupleIJS9_S6_EEENSD_IJSA_SA_EEENS0_18inequality_wrapperIZN2at6native12_GLOBAL__N_124unique_dim_cuda_templateImEESt5tupleIJNSH_6TensorESM_SM_EERKSM_lbbbEUlllE0_EEPmJS6_EEE10hipError_tPvRmT3_T4_T5_T6_T7_T9_mT8_P12ihipStream_tbDpT10_ENKUlT_T0_E_clISt17integral_constantIbLb1EES1C_EEDaS17_S18_EUlS17_E_NS1_11comp_targetILNS1_3genE3ELNS1_11target_archE908ELNS1_3gpuE7ELNS1_3repE0EEENS1_30default_config_static_selectorELNS0_4arch9wavefront6targetE1EEEvT1_
; %bb.0:
	.section	.rodata,"a",@progbits
	.p2align	6, 0x0
	.amdhsa_kernel _ZN7rocprim17ROCPRIM_400000_NS6detail17trampoline_kernelINS0_14default_configENS1_25partition_config_selectorILNS1_17partition_subalgoE8ElNS0_10empty_typeEbEEZZNS1_14partition_implILS5_8ELb0ES3_jPlPS6_PKS6_NS0_5tupleIJS9_S6_EEENSD_IJSA_SA_EEENS0_18inequality_wrapperIZN2at6native12_GLOBAL__N_124unique_dim_cuda_templateImEESt5tupleIJNSH_6TensorESM_SM_EERKSM_lbbbEUlllE0_EEPmJS6_EEE10hipError_tPvRmT3_T4_T5_T6_T7_T9_mT8_P12ihipStream_tbDpT10_ENKUlT_T0_E_clISt17integral_constantIbLb1EES1C_EEDaS17_S18_EUlS17_E_NS1_11comp_targetILNS1_3genE3ELNS1_11target_archE908ELNS1_3gpuE7ELNS1_3repE0EEENS1_30default_config_static_selectorELNS0_4arch9wavefront6targetE1EEEvT1_
		.amdhsa_group_segment_fixed_size 0
		.amdhsa_private_segment_fixed_size 0
		.amdhsa_kernarg_size 136
		.amdhsa_user_sgpr_count 6
		.amdhsa_user_sgpr_private_segment_buffer 1
		.amdhsa_user_sgpr_dispatch_ptr 0
		.amdhsa_user_sgpr_queue_ptr 0
		.amdhsa_user_sgpr_kernarg_segment_ptr 1
		.amdhsa_user_sgpr_dispatch_id 0
		.amdhsa_user_sgpr_flat_scratch_init 0
		.amdhsa_user_sgpr_kernarg_preload_length 0
		.amdhsa_user_sgpr_kernarg_preload_offset 0
		.amdhsa_user_sgpr_private_segment_size 0
		.amdhsa_uses_dynamic_stack 0
		.amdhsa_system_sgpr_private_segment_wavefront_offset 0
		.amdhsa_system_sgpr_workgroup_id_x 1
		.amdhsa_system_sgpr_workgroup_id_y 0
		.amdhsa_system_sgpr_workgroup_id_z 0
		.amdhsa_system_sgpr_workgroup_info 0
		.amdhsa_system_vgpr_workitem_id 0
		.amdhsa_next_free_vgpr 1
		.amdhsa_next_free_sgpr 0
		.amdhsa_accum_offset 4
		.amdhsa_reserve_vcc 0
		.amdhsa_reserve_flat_scratch 0
		.amdhsa_float_round_mode_32 0
		.amdhsa_float_round_mode_16_64 0
		.amdhsa_float_denorm_mode_32 3
		.amdhsa_float_denorm_mode_16_64 3
		.amdhsa_dx10_clamp 1
		.amdhsa_ieee_mode 1
		.amdhsa_fp16_overflow 0
		.amdhsa_tg_split 0
		.amdhsa_exception_fp_ieee_invalid_op 0
		.amdhsa_exception_fp_denorm_src 0
		.amdhsa_exception_fp_ieee_div_zero 0
		.amdhsa_exception_fp_ieee_overflow 0
		.amdhsa_exception_fp_ieee_underflow 0
		.amdhsa_exception_fp_ieee_inexact 0
		.amdhsa_exception_int_div_zero 0
	.end_amdhsa_kernel
	.section	.text._ZN7rocprim17ROCPRIM_400000_NS6detail17trampoline_kernelINS0_14default_configENS1_25partition_config_selectorILNS1_17partition_subalgoE8ElNS0_10empty_typeEbEEZZNS1_14partition_implILS5_8ELb0ES3_jPlPS6_PKS6_NS0_5tupleIJS9_S6_EEENSD_IJSA_SA_EEENS0_18inequality_wrapperIZN2at6native12_GLOBAL__N_124unique_dim_cuda_templateImEESt5tupleIJNSH_6TensorESM_SM_EERKSM_lbbbEUlllE0_EEPmJS6_EEE10hipError_tPvRmT3_T4_T5_T6_T7_T9_mT8_P12ihipStream_tbDpT10_ENKUlT_T0_E_clISt17integral_constantIbLb1EES1C_EEDaS17_S18_EUlS17_E_NS1_11comp_targetILNS1_3genE3ELNS1_11target_archE908ELNS1_3gpuE7ELNS1_3repE0EEENS1_30default_config_static_selectorELNS0_4arch9wavefront6targetE1EEEvT1_,"axG",@progbits,_ZN7rocprim17ROCPRIM_400000_NS6detail17trampoline_kernelINS0_14default_configENS1_25partition_config_selectorILNS1_17partition_subalgoE8ElNS0_10empty_typeEbEEZZNS1_14partition_implILS5_8ELb0ES3_jPlPS6_PKS6_NS0_5tupleIJS9_S6_EEENSD_IJSA_SA_EEENS0_18inequality_wrapperIZN2at6native12_GLOBAL__N_124unique_dim_cuda_templateImEESt5tupleIJNSH_6TensorESM_SM_EERKSM_lbbbEUlllE0_EEPmJS6_EEE10hipError_tPvRmT3_T4_T5_T6_T7_T9_mT8_P12ihipStream_tbDpT10_ENKUlT_T0_E_clISt17integral_constantIbLb1EES1C_EEDaS17_S18_EUlS17_E_NS1_11comp_targetILNS1_3genE3ELNS1_11target_archE908ELNS1_3gpuE7ELNS1_3repE0EEENS1_30default_config_static_selectorELNS0_4arch9wavefront6targetE1EEEvT1_,comdat
.Lfunc_end1672:
	.size	_ZN7rocprim17ROCPRIM_400000_NS6detail17trampoline_kernelINS0_14default_configENS1_25partition_config_selectorILNS1_17partition_subalgoE8ElNS0_10empty_typeEbEEZZNS1_14partition_implILS5_8ELb0ES3_jPlPS6_PKS6_NS0_5tupleIJS9_S6_EEENSD_IJSA_SA_EEENS0_18inequality_wrapperIZN2at6native12_GLOBAL__N_124unique_dim_cuda_templateImEESt5tupleIJNSH_6TensorESM_SM_EERKSM_lbbbEUlllE0_EEPmJS6_EEE10hipError_tPvRmT3_T4_T5_T6_T7_T9_mT8_P12ihipStream_tbDpT10_ENKUlT_T0_E_clISt17integral_constantIbLb1EES1C_EEDaS17_S18_EUlS17_E_NS1_11comp_targetILNS1_3genE3ELNS1_11target_archE908ELNS1_3gpuE7ELNS1_3repE0EEENS1_30default_config_static_selectorELNS0_4arch9wavefront6targetE1EEEvT1_, .Lfunc_end1672-_ZN7rocprim17ROCPRIM_400000_NS6detail17trampoline_kernelINS0_14default_configENS1_25partition_config_selectorILNS1_17partition_subalgoE8ElNS0_10empty_typeEbEEZZNS1_14partition_implILS5_8ELb0ES3_jPlPS6_PKS6_NS0_5tupleIJS9_S6_EEENSD_IJSA_SA_EEENS0_18inequality_wrapperIZN2at6native12_GLOBAL__N_124unique_dim_cuda_templateImEESt5tupleIJNSH_6TensorESM_SM_EERKSM_lbbbEUlllE0_EEPmJS6_EEE10hipError_tPvRmT3_T4_T5_T6_T7_T9_mT8_P12ihipStream_tbDpT10_ENKUlT_T0_E_clISt17integral_constantIbLb1EES1C_EEDaS17_S18_EUlS17_E_NS1_11comp_targetILNS1_3genE3ELNS1_11target_archE908ELNS1_3gpuE7ELNS1_3repE0EEENS1_30default_config_static_selectorELNS0_4arch9wavefront6targetE1EEEvT1_
                                        ; -- End function
	.section	.AMDGPU.csdata,"",@progbits
; Kernel info:
; codeLenInByte = 0
; NumSgprs: 4
; NumVgprs: 0
; NumAgprs: 0
; TotalNumVgprs: 0
; ScratchSize: 0
; MemoryBound: 0
; FloatMode: 240
; IeeeMode: 1
; LDSByteSize: 0 bytes/workgroup (compile time only)
; SGPRBlocks: 0
; VGPRBlocks: 0
; NumSGPRsForWavesPerEU: 4
; NumVGPRsForWavesPerEU: 1
; AccumOffset: 4
; Occupancy: 8
; WaveLimiterHint : 0
; COMPUTE_PGM_RSRC2:SCRATCH_EN: 0
; COMPUTE_PGM_RSRC2:USER_SGPR: 6
; COMPUTE_PGM_RSRC2:TRAP_HANDLER: 0
; COMPUTE_PGM_RSRC2:TGID_X_EN: 1
; COMPUTE_PGM_RSRC2:TGID_Y_EN: 0
; COMPUTE_PGM_RSRC2:TGID_Z_EN: 0
; COMPUTE_PGM_RSRC2:TIDIG_COMP_CNT: 0
; COMPUTE_PGM_RSRC3_GFX90A:ACCUM_OFFSET: 0
; COMPUTE_PGM_RSRC3_GFX90A:TG_SPLIT: 0
	.section	.text._ZN7rocprim17ROCPRIM_400000_NS6detail17trampoline_kernelINS0_14default_configENS1_25partition_config_selectorILNS1_17partition_subalgoE8ElNS0_10empty_typeEbEEZZNS1_14partition_implILS5_8ELb0ES3_jPlPS6_PKS6_NS0_5tupleIJS9_S6_EEENSD_IJSA_SA_EEENS0_18inequality_wrapperIZN2at6native12_GLOBAL__N_124unique_dim_cuda_templateImEESt5tupleIJNSH_6TensorESM_SM_EERKSM_lbbbEUlllE0_EEPmJS6_EEE10hipError_tPvRmT3_T4_T5_T6_T7_T9_mT8_P12ihipStream_tbDpT10_ENKUlT_T0_E_clISt17integral_constantIbLb1EES1C_EEDaS17_S18_EUlS17_E_NS1_11comp_targetILNS1_3genE2ELNS1_11target_archE906ELNS1_3gpuE6ELNS1_3repE0EEENS1_30default_config_static_selectorELNS0_4arch9wavefront6targetE1EEEvT1_,"axG",@progbits,_ZN7rocprim17ROCPRIM_400000_NS6detail17trampoline_kernelINS0_14default_configENS1_25partition_config_selectorILNS1_17partition_subalgoE8ElNS0_10empty_typeEbEEZZNS1_14partition_implILS5_8ELb0ES3_jPlPS6_PKS6_NS0_5tupleIJS9_S6_EEENSD_IJSA_SA_EEENS0_18inequality_wrapperIZN2at6native12_GLOBAL__N_124unique_dim_cuda_templateImEESt5tupleIJNSH_6TensorESM_SM_EERKSM_lbbbEUlllE0_EEPmJS6_EEE10hipError_tPvRmT3_T4_T5_T6_T7_T9_mT8_P12ihipStream_tbDpT10_ENKUlT_T0_E_clISt17integral_constantIbLb1EES1C_EEDaS17_S18_EUlS17_E_NS1_11comp_targetILNS1_3genE2ELNS1_11target_archE906ELNS1_3gpuE6ELNS1_3repE0EEENS1_30default_config_static_selectorELNS0_4arch9wavefront6targetE1EEEvT1_,comdat
	.globl	_ZN7rocprim17ROCPRIM_400000_NS6detail17trampoline_kernelINS0_14default_configENS1_25partition_config_selectorILNS1_17partition_subalgoE8ElNS0_10empty_typeEbEEZZNS1_14partition_implILS5_8ELb0ES3_jPlPS6_PKS6_NS0_5tupleIJS9_S6_EEENSD_IJSA_SA_EEENS0_18inequality_wrapperIZN2at6native12_GLOBAL__N_124unique_dim_cuda_templateImEESt5tupleIJNSH_6TensorESM_SM_EERKSM_lbbbEUlllE0_EEPmJS6_EEE10hipError_tPvRmT3_T4_T5_T6_T7_T9_mT8_P12ihipStream_tbDpT10_ENKUlT_T0_E_clISt17integral_constantIbLb1EES1C_EEDaS17_S18_EUlS17_E_NS1_11comp_targetILNS1_3genE2ELNS1_11target_archE906ELNS1_3gpuE6ELNS1_3repE0EEENS1_30default_config_static_selectorELNS0_4arch9wavefront6targetE1EEEvT1_ ; -- Begin function _ZN7rocprim17ROCPRIM_400000_NS6detail17trampoline_kernelINS0_14default_configENS1_25partition_config_selectorILNS1_17partition_subalgoE8ElNS0_10empty_typeEbEEZZNS1_14partition_implILS5_8ELb0ES3_jPlPS6_PKS6_NS0_5tupleIJS9_S6_EEENSD_IJSA_SA_EEENS0_18inequality_wrapperIZN2at6native12_GLOBAL__N_124unique_dim_cuda_templateImEESt5tupleIJNSH_6TensorESM_SM_EERKSM_lbbbEUlllE0_EEPmJS6_EEE10hipError_tPvRmT3_T4_T5_T6_T7_T9_mT8_P12ihipStream_tbDpT10_ENKUlT_T0_E_clISt17integral_constantIbLb1EES1C_EEDaS17_S18_EUlS17_E_NS1_11comp_targetILNS1_3genE2ELNS1_11target_archE906ELNS1_3gpuE6ELNS1_3repE0EEENS1_30default_config_static_selectorELNS0_4arch9wavefront6targetE1EEEvT1_
	.p2align	8
	.type	_ZN7rocprim17ROCPRIM_400000_NS6detail17trampoline_kernelINS0_14default_configENS1_25partition_config_selectorILNS1_17partition_subalgoE8ElNS0_10empty_typeEbEEZZNS1_14partition_implILS5_8ELb0ES3_jPlPS6_PKS6_NS0_5tupleIJS9_S6_EEENSD_IJSA_SA_EEENS0_18inequality_wrapperIZN2at6native12_GLOBAL__N_124unique_dim_cuda_templateImEESt5tupleIJNSH_6TensorESM_SM_EERKSM_lbbbEUlllE0_EEPmJS6_EEE10hipError_tPvRmT3_T4_T5_T6_T7_T9_mT8_P12ihipStream_tbDpT10_ENKUlT_T0_E_clISt17integral_constantIbLb1EES1C_EEDaS17_S18_EUlS17_E_NS1_11comp_targetILNS1_3genE2ELNS1_11target_archE906ELNS1_3gpuE6ELNS1_3repE0EEENS1_30default_config_static_selectorELNS0_4arch9wavefront6targetE1EEEvT1_,@function
_ZN7rocprim17ROCPRIM_400000_NS6detail17trampoline_kernelINS0_14default_configENS1_25partition_config_selectorILNS1_17partition_subalgoE8ElNS0_10empty_typeEbEEZZNS1_14partition_implILS5_8ELb0ES3_jPlPS6_PKS6_NS0_5tupleIJS9_S6_EEENSD_IJSA_SA_EEENS0_18inequality_wrapperIZN2at6native12_GLOBAL__N_124unique_dim_cuda_templateImEESt5tupleIJNSH_6TensorESM_SM_EERKSM_lbbbEUlllE0_EEPmJS6_EEE10hipError_tPvRmT3_T4_T5_T6_T7_T9_mT8_P12ihipStream_tbDpT10_ENKUlT_T0_E_clISt17integral_constantIbLb1EES1C_EEDaS17_S18_EUlS17_E_NS1_11comp_targetILNS1_3genE2ELNS1_11target_archE906ELNS1_3gpuE6ELNS1_3repE0EEENS1_30default_config_static_selectorELNS0_4arch9wavefront6targetE1EEEvT1_: ; @_ZN7rocprim17ROCPRIM_400000_NS6detail17trampoline_kernelINS0_14default_configENS1_25partition_config_selectorILNS1_17partition_subalgoE8ElNS0_10empty_typeEbEEZZNS1_14partition_implILS5_8ELb0ES3_jPlPS6_PKS6_NS0_5tupleIJS9_S6_EEENSD_IJSA_SA_EEENS0_18inequality_wrapperIZN2at6native12_GLOBAL__N_124unique_dim_cuda_templateImEESt5tupleIJNSH_6TensorESM_SM_EERKSM_lbbbEUlllE0_EEPmJS6_EEE10hipError_tPvRmT3_T4_T5_T6_T7_T9_mT8_P12ihipStream_tbDpT10_ENKUlT_T0_E_clISt17integral_constantIbLb1EES1C_EEDaS17_S18_EUlS17_E_NS1_11comp_targetILNS1_3genE2ELNS1_11target_archE906ELNS1_3gpuE6ELNS1_3repE0EEENS1_30default_config_static_selectorELNS0_4arch9wavefront6targetE1EEEvT1_
; %bb.0:
	.section	.rodata,"a",@progbits
	.p2align	6, 0x0
	.amdhsa_kernel _ZN7rocprim17ROCPRIM_400000_NS6detail17trampoline_kernelINS0_14default_configENS1_25partition_config_selectorILNS1_17partition_subalgoE8ElNS0_10empty_typeEbEEZZNS1_14partition_implILS5_8ELb0ES3_jPlPS6_PKS6_NS0_5tupleIJS9_S6_EEENSD_IJSA_SA_EEENS0_18inequality_wrapperIZN2at6native12_GLOBAL__N_124unique_dim_cuda_templateImEESt5tupleIJNSH_6TensorESM_SM_EERKSM_lbbbEUlllE0_EEPmJS6_EEE10hipError_tPvRmT3_T4_T5_T6_T7_T9_mT8_P12ihipStream_tbDpT10_ENKUlT_T0_E_clISt17integral_constantIbLb1EES1C_EEDaS17_S18_EUlS17_E_NS1_11comp_targetILNS1_3genE2ELNS1_11target_archE906ELNS1_3gpuE6ELNS1_3repE0EEENS1_30default_config_static_selectorELNS0_4arch9wavefront6targetE1EEEvT1_
		.amdhsa_group_segment_fixed_size 0
		.amdhsa_private_segment_fixed_size 0
		.amdhsa_kernarg_size 136
		.amdhsa_user_sgpr_count 6
		.amdhsa_user_sgpr_private_segment_buffer 1
		.amdhsa_user_sgpr_dispatch_ptr 0
		.amdhsa_user_sgpr_queue_ptr 0
		.amdhsa_user_sgpr_kernarg_segment_ptr 1
		.amdhsa_user_sgpr_dispatch_id 0
		.amdhsa_user_sgpr_flat_scratch_init 0
		.amdhsa_user_sgpr_kernarg_preload_length 0
		.amdhsa_user_sgpr_kernarg_preload_offset 0
		.amdhsa_user_sgpr_private_segment_size 0
		.amdhsa_uses_dynamic_stack 0
		.amdhsa_system_sgpr_private_segment_wavefront_offset 0
		.amdhsa_system_sgpr_workgroup_id_x 1
		.amdhsa_system_sgpr_workgroup_id_y 0
		.amdhsa_system_sgpr_workgroup_id_z 0
		.amdhsa_system_sgpr_workgroup_info 0
		.amdhsa_system_vgpr_workitem_id 0
		.amdhsa_next_free_vgpr 1
		.amdhsa_next_free_sgpr 0
		.amdhsa_accum_offset 4
		.amdhsa_reserve_vcc 0
		.amdhsa_reserve_flat_scratch 0
		.amdhsa_float_round_mode_32 0
		.amdhsa_float_round_mode_16_64 0
		.amdhsa_float_denorm_mode_32 3
		.amdhsa_float_denorm_mode_16_64 3
		.amdhsa_dx10_clamp 1
		.amdhsa_ieee_mode 1
		.amdhsa_fp16_overflow 0
		.amdhsa_tg_split 0
		.amdhsa_exception_fp_ieee_invalid_op 0
		.amdhsa_exception_fp_denorm_src 0
		.amdhsa_exception_fp_ieee_div_zero 0
		.amdhsa_exception_fp_ieee_overflow 0
		.amdhsa_exception_fp_ieee_underflow 0
		.amdhsa_exception_fp_ieee_inexact 0
		.amdhsa_exception_int_div_zero 0
	.end_amdhsa_kernel
	.section	.text._ZN7rocprim17ROCPRIM_400000_NS6detail17trampoline_kernelINS0_14default_configENS1_25partition_config_selectorILNS1_17partition_subalgoE8ElNS0_10empty_typeEbEEZZNS1_14partition_implILS5_8ELb0ES3_jPlPS6_PKS6_NS0_5tupleIJS9_S6_EEENSD_IJSA_SA_EEENS0_18inequality_wrapperIZN2at6native12_GLOBAL__N_124unique_dim_cuda_templateImEESt5tupleIJNSH_6TensorESM_SM_EERKSM_lbbbEUlllE0_EEPmJS6_EEE10hipError_tPvRmT3_T4_T5_T6_T7_T9_mT8_P12ihipStream_tbDpT10_ENKUlT_T0_E_clISt17integral_constantIbLb1EES1C_EEDaS17_S18_EUlS17_E_NS1_11comp_targetILNS1_3genE2ELNS1_11target_archE906ELNS1_3gpuE6ELNS1_3repE0EEENS1_30default_config_static_selectorELNS0_4arch9wavefront6targetE1EEEvT1_,"axG",@progbits,_ZN7rocprim17ROCPRIM_400000_NS6detail17trampoline_kernelINS0_14default_configENS1_25partition_config_selectorILNS1_17partition_subalgoE8ElNS0_10empty_typeEbEEZZNS1_14partition_implILS5_8ELb0ES3_jPlPS6_PKS6_NS0_5tupleIJS9_S6_EEENSD_IJSA_SA_EEENS0_18inequality_wrapperIZN2at6native12_GLOBAL__N_124unique_dim_cuda_templateImEESt5tupleIJNSH_6TensorESM_SM_EERKSM_lbbbEUlllE0_EEPmJS6_EEE10hipError_tPvRmT3_T4_T5_T6_T7_T9_mT8_P12ihipStream_tbDpT10_ENKUlT_T0_E_clISt17integral_constantIbLb1EES1C_EEDaS17_S18_EUlS17_E_NS1_11comp_targetILNS1_3genE2ELNS1_11target_archE906ELNS1_3gpuE6ELNS1_3repE0EEENS1_30default_config_static_selectorELNS0_4arch9wavefront6targetE1EEEvT1_,comdat
.Lfunc_end1673:
	.size	_ZN7rocprim17ROCPRIM_400000_NS6detail17trampoline_kernelINS0_14default_configENS1_25partition_config_selectorILNS1_17partition_subalgoE8ElNS0_10empty_typeEbEEZZNS1_14partition_implILS5_8ELb0ES3_jPlPS6_PKS6_NS0_5tupleIJS9_S6_EEENSD_IJSA_SA_EEENS0_18inequality_wrapperIZN2at6native12_GLOBAL__N_124unique_dim_cuda_templateImEESt5tupleIJNSH_6TensorESM_SM_EERKSM_lbbbEUlllE0_EEPmJS6_EEE10hipError_tPvRmT3_T4_T5_T6_T7_T9_mT8_P12ihipStream_tbDpT10_ENKUlT_T0_E_clISt17integral_constantIbLb1EES1C_EEDaS17_S18_EUlS17_E_NS1_11comp_targetILNS1_3genE2ELNS1_11target_archE906ELNS1_3gpuE6ELNS1_3repE0EEENS1_30default_config_static_selectorELNS0_4arch9wavefront6targetE1EEEvT1_, .Lfunc_end1673-_ZN7rocprim17ROCPRIM_400000_NS6detail17trampoline_kernelINS0_14default_configENS1_25partition_config_selectorILNS1_17partition_subalgoE8ElNS0_10empty_typeEbEEZZNS1_14partition_implILS5_8ELb0ES3_jPlPS6_PKS6_NS0_5tupleIJS9_S6_EEENSD_IJSA_SA_EEENS0_18inequality_wrapperIZN2at6native12_GLOBAL__N_124unique_dim_cuda_templateImEESt5tupleIJNSH_6TensorESM_SM_EERKSM_lbbbEUlllE0_EEPmJS6_EEE10hipError_tPvRmT3_T4_T5_T6_T7_T9_mT8_P12ihipStream_tbDpT10_ENKUlT_T0_E_clISt17integral_constantIbLb1EES1C_EEDaS17_S18_EUlS17_E_NS1_11comp_targetILNS1_3genE2ELNS1_11target_archE906ELNS1_3gpuE6ELNS1_3repE0EEENS1_30default_config_static_selectorELNS0_4arch9wavefront6targetE1EEEvT1_
                                        ; -- End function
	.section	.AMDGPU.csdata,"",@progbits
; Kernel info:
; codeLenInByte = 0
; NumSgprs: 4
; NumVgprs: 0
; NumAgprs: 0
; TotalNumVgprs: 0
; ScratchSize: 0
; MemoryBound: 0
; FloatMode: 240
; IeeeMode: 1
; LDSByteSize: 0 bytes/workgroup (compile time only)
; SGPRBlocks: 0
; VGPRBlocks: 0
; NumSGPRsForWavesPerEU: 4
; NumVGPRsForWavesPerEU: 1
; AccumOffset: 4
; Occupancy: 8
; WaveLimiterHint : 0
; COMPUTE_PGM_RSRC2:SCRATCH_EN: 0
; COMPUTE_PGM_RSRC2:USER_SGPR: 6
; COMPUTE_PGM_RSRC2:TRAP_HANDLER: 0
; COMPUTE_PGM_RSRC2:TGID_X_EN: 1
; COMPUTE_PGM_RSRC2:TGID_Y_EN: 0
; COMPUTE_PGM_RSRC2:TGID_Z_EN: 0
; COMPUTE_PGM_RSRC2:TIDIG_COMP_CNT: 0
; COMPUTE_PGM_RSRC3_GFX90A:ACCUM_OFFSET: 0
; COMPUTE_PGM_RSRC3_GFX90A:TG_SPLIT: 0
	.section	.text._ZN7rocprim17ROCPRIM_400000_NS6detail17trampoline_kernelINS0_14default_configENS1_25partition_config_selectorILNS1_17partition_subalgoE8ElNS0_10empty_typeEbEEZZNS1_14partition_implILS5_8ELb0ES3_jPlPS6_PKS6_NS0_5tupleIJS9_S6_EEENSD_IJSA_SA_EEENS0_18inequality_wrapperIZN2at6native12_GLOBAL__N_124unique_dim_cuda_templateImEESt5tupleIJNSH_6TensorESM_SM_EERKSM_lbbbEUlllE0_EEPmJS6_EEE10hipError_tPvRmT3_T4_T5_T6_T7_T9_mT8_P12ihipStream_tbDpT10_ENKUlT_T0_E_clISt17integral_constantIbLb1EES1C_EEDaS17_S18_EUlS17_E_NS1_11comp_targetILNS1_3genE10ELNS1_11target_archE1200ELNS1_3gpuE4ELNS1_3repE0EEENS1_30default_config_static_selectorELNS0_4arch9wavefront6targetE1EEEvT1_,"axG",@progbits,_ZN7rocprim17ROCPRIM_400000_NS6detail17trampoline_kernelINS0_14default_configENS1_25partition_config_selectorILNS1_17partition_subalgoE8ElNS0_10empty_typeEbEEZZNS1_14partition_implILS5_8ELb0ES3_jPlPS6_PKS6_NS0_5tupleIJS9_S6_EEENSD_IJSA_SA_EEENS0_18inequality_wrapperIZN2at6native12_GLOBAL__N_124unique_dim_cuda_templateImEESt5tupleIJNSH_6TensorESM_SM_EERKSM_lbbbEUlllE0_EEPmJS6_EEE10hipError_tPvRmT3_T4_T5_T6_T7_T9_mT8_P12ihipStream_tbDpT10_ENKUlT_T0_E_clISt17integral_constantIbLb1EES1C_EEDaS17_S18_EUlS17_E_NS1_11comp_targetILNS1_3genE10ELNS1_11target_archE1200ELNS1_3gpuE4ELNS1_3repE0EEENS1_30default_config_static_selectorELNS0_4arch9wavefront6targetE1EEEvT1_,comdat
	.globl	_ZN7rocprim17ROCPRIM_400000_NS6detail17trampoline_kernelINS0_14default_configENS1_25partition_config_selectorILNS1_17partition_subalgoE8ElNS0_10empty_typeEbEEZZNS1_14partition_implILS5_8ELb0ES3_jPlPS6_PKS6_NS0_5tupleIJS9_S6_EEENSD_IJSA_SA_EEENS0_18inequality_wrapperIZN2at6native12_GLOBAL__N_124unique_dim_cuda_templateImEESt5tupleIJNSH_6TensorESM_SM_EERKSM_lbbbEUlllE0_EEPmJS6_EEE10hipError_tPvRmT3_T4_T5_T6_T7_T9_mT8_P12ihipStream_tbDpT10_ENKUlT_T0_E_clISt17integral_constantIbLb1EES1C_EEDaS17_S18_EUlS17_E_NS1_11comp_targetILNS1_3genE10ELNS1_11target_archE1200ELNS1_3gpuE4ELNS1_3repE0EEENS1_30default_config_static_selectorELNS0_4arch9wavefront6targetE1EEEvT1_ ; -- Begin function _ZN7rocprim17ROCPRIM_400000_NS6detail17trampoline_kernelINS0_14default_configENS1_25partition_config_selectorILNS1_17partition_subalgoE8ElNS0_10empty_typeEbEEZZNS1_14partition_implILS5_8ELb0ES3_jPlPS6_PKS6_NS0_5tupleIJS9_S6_EEENSD_IJSA_SA_EEENS0_18inequality_wrapperIZN2at6native12_GLOBAL__N_124unique_dim_cuda_templateImEESt5tupleIJNSH_6TensorESM_SM_EERKSM_lbbbEUlllE0_EEPmJS6_EEE10hipError_tPvRmT3_T4_T5_T6_T7_T9_mT8_P12ihipStream_tbDpT10_ENKUlT_T0_E_clISt17integral_constantIbLb1EES1C_EEDaS17_S18_EUlS17_E_NS1_11comp_targetILNS1_3genE10ELNS1_11target_archE1200ELNS1_3gpuE4ELNS1_3repE0EEENS1_30default_config_static_selectorELNS0_4arch9wavefront6targetE1EEEvT1_
	.p2align	8
	.type	_ZN7rocprim17ROCPRIM_400000_NS6detail17trampoline_kernelINS0_14default_configENS1_25partition_config_selectorILNS1_17partition_subalgoE8ElNS0_10empty_typeEbEEZZNS1_14partition_implILS5_8ELb0ES3_jPlPS6_PKS6_NS0_5tupleIJS9_S6_EEENSD_IJSA_SA_EEENS0_18inequality_wrapperIZN2at6native12_GLOBAL__N_124unique_dim_cuda_templateImEESt5tupleIJNSH_6TensorESM_SM_EERKSM_lbbbEUlllE0_EEPmJS6_EEE10hipError_tPvRmT3_T4_T5_T6_T7_T9_mT8_P12ihipStream_tbDpT10_ENKUlT_T0_E_clISt17integral_constantIbLb1EES1C_EEDaS17_S18_EUlS17_E_NS1_11comp_targetILNS1_3genE10ELNS1_11target_archE1200ELNS1_3gpuE4ELNS1_3repE0EEENS1_30default_config_static_selectorELNS0_4arch9wavefront6targetE1EEEvT1_,@function
_ZN7rocprim17ROCPRIM_400000_NS6detail17trampoline_kernelINS0_14default_configENS1_25partition_config_selectorILNS1_17partition_subalgoE8ElNS0_10empty_typeEbEEZZNS1_14partition_implILS5_8ELb0ES3_jPlPS6_PKS6_NS0_5tupleIJS9_S6_EEENSD_IJSA_SA_EEENS0_18inequality_wrapperIZN2at6native12_GLOBAL__N_124unique_dim_cuda_templateImEESt5tupleIJNSH_6TensorESM_SM_EERKSM_lbbbEUlllE0_EEPmJS6_EEE10hipError_tPvRmT3_T4_T5_T6_T7_T9_mT8_P12ihipStream_tbDpT10_ENKUlT_T0_E_clISt17integral_constantIbLb1EES1C_EEDaS17_S18_EUlS17_E_NS1_11comp_targetILNS1_3genE10ELNS1_11target_archE1200ELNS1_3gpuE4ELNS1_3repE0EEENS1_30default_config_static_selectorELNS0_4arch9wavefront6targetE1EEEvT1_: ; @_ZN7rocprim17ROCPRIM_400000_NS6detail17trampoline_kernelINS0_14default_configENS1_25partition_config_selectorILNS1_17partition_subalgoE8ElNS0_10empty_typeEbEEZZNS1_14partition_implILS5_8ELb0ES3_jPlPS6_PKS6_NS0_5tupleIJS9_S6_EEENSD_IJSA_SA_EEENS0_18inequality_wrapperIZN2at6native12_GLOBAL__N_124unique_dim_cuda_templateImEESt5tupleIJNSH_6TensorESM_SM_EERKSM_lbbbEUlllE0_EEPmJS6_EEE10hipError_tPvRmT3_T4_T5_T6_T7_T9_mT8_P12ihipStream_tbDpT10_ENKUlT_T0_E_clISt17integral_constantIbLb1EES1C_EEDaS17_S18_EUlS17_E_NS1_11comp_targetILNS1_3genE10ELNS1_11target_archE1200ELNS1_3gpuE4ELNS1_3repE0EEENS1_30default_config_static_selectorELNS0_4arch9wavefront6targetE1EEEvT1_
; %bb.0:
	.section	.rodata,"a",@progbits
	.p2align	6, 0x0
	.amdhsa_kernel _ZN7rocprim17ROCPRIM_400000_NS6detail17trampoline_kernelINS0_14default_configENS1_25partition_config_selectorILNS1_17partition_subalgoE8ElNS0_10empty_typeEbEEZZNS1_14partition_implILS5_8ELb0ES3_jPlPS6_PKS6_NS0_5tupleIJS9_S6_EEENSD_IJSA_SA_EEENS0_18inequality_wrapperIZN2at6native12_GLOBAL__N_124unique_dim_cuda_templateImEESt5tupleIJNSH_6TensorESM_SM_EERKSM_lbbbEUlllE0_EEPmJS6_EEE10hipError_tPvRmT3_T4_T5_T6_T7_T9_mT8_P12ihipStream_tbDpT10_ENKUlT_T0_E_clISt17integral_constantIbLb1EES1C_EEDaS17_S18_EUlS17_E_NS1_11comp_targetILNS1_3genE10ELNS1_11target_archE1200ELNS1_3gpuE4ELNS1_3repE0EEENS1_30default_config_static_selectorELNS0_4arch9wavefront6targetE1EEEvT1_
		.amdhsa_group_segment_fixed_size 0
		.amdhsa_private_segment_fixed_size 0
		.amdhsa_kernarg_size 136
		.amdhsa_user_sgpr_count 6
		.amdhsa_user_sgpr_private_segment_buffer 1
		.amdhsa_user_sgpr_dispatch_ptr 0
		.amdhsa_user_sgpr_queue_ptr 0
		.amdhsa_user_sgpr_kernarg_segment_ptr 1
		.amdhsa_user_sgpr_dispatch_id 0
		.amdhsa_user_sgpr_flat_scratch_init 0
		.amdhsa_user_sgpr_kernarg_preload_length 0
		.amdhsa_user_sgpr_kernarg_preload_offset 0
		.amdhsa_user_sgpr_private_segment_size 0
		.amdhsa_uses_dynamic_stack 0
		.amdhsa_system_sgpr_private_segment_wavefront_offset 0
		.amdhsa_system_sgpr_workgroup_id_x 1
		.amdhsa_system_sgpr_workgroup_id_y 0
		.amdhsa_system_sgpr_workgroup_id_z 0
		.amdhsa_system_sgpr_workgroup_info 0
		.amdhsa_system_vgpr_workitem_id 0
		.amdhsa_next_free_vgpr 1
		.amdhsa_next_free_sgpr 0
		.amdhsa_accum_offset 4
		.amdhsa_reserve_vcc 0
		.amdhsa_reserve_flat_scratch 0
		.amdhsa_float_round_mode_32 0
		.amdhsa_float_round_mode_16_64 0
		.amdhsa_float_denorm_mode_32 3
		.amdhsa_float_denorm_mode_16_64 3
		.amdhsa_dx10_clamp 1
		.amdhsa_ieee_mode 1
		.amdhsa_fp16_overflow 0
		.amdhsa_tg_split 0
		.amdhsa_exception_fp_ieee_invalid_op 0
		.amdhsa_exception_fp_denorm_src 0
		.amdhsa_exception_fp_ieee_div_zero 0
		.amdhsa_exception_fp_ieee_overflow 0
		.amdhsa_exception_fp_ieee_underflow 0
		.amdhsa_exception_fp_ieee_inexact 0
		.amdhsa_exception_int_div_zero 0
	.end_amdhsa_kernel
	.section	.text._ZN7rocprim17ROCPRIM_400000_NS6detail17trampoline_kernelINS0_14default_configENS1_25partition_config_selectorILNS1_17partition_subalgoE8ElNS0_10empty_typeEbEEZZNS1_14partition_implILS5_8ELb0ES3_jPlPS6_PKS6_NS0_5tupleIJS9_S6_EEENSD_IJSA_SA_EEENS0_18inequality_wrapperIZN2at6native12_GLOBAL__N_124unique_dim_cuda_templateImEESt5tupleIJNSH_6TensorESM_SM_EERKSM_lbbbEUlllE0_EEPmJS6_EEE10hipError_tPvRmT3_T4_T5_T6_T7_T9_mT8_P12ihipStream_tbDpT10_ENKUlT_T0_E_clISt17integral_constantIbLb1EES1C_EEDaS17_S18_EUlS17_E_NS1_11comp_targetILNS1_3genE10ELNS1_11target_archE1200ELNS1_3gpuE4ELNS1_3repE0EEENS1_30default_config_static_selectorELNS0_4arch9wavefront6targetE1EEEvT1_,"axG",@progbits,_ZN7rocprim17ROCPRIM_400000_NS6detail17trampoline_kernelINS0_14default_configENS1_25partition_config_selectorILNS1_17partition_subalgoE8ElNS0_10empty_typeEbEEZZNS1_14partition_implILS5_8ELb0ES3_jPlPS6_PKS6_NS0_5tupleIJS9_S6_EEENSD_IJSA_SA_EEENS0_18inequality_wrapperIZN2at6native12_GLOBAL__N_124unique_dim_cuda_templateImEESt5tupleIJNSH_6TensorESM_SM_EERKSM_lbbbEUlllE0_EEPmJS6_EEE10hipError_tPvRmT3_T4_T5_T6_T7_T9_mT8_P12ihipStream_tbDpT10_ENKUlT_T0_E_clISt17integral_constantIbLb1EES1C_EEDaS17_S18_EUlS17_E_NS1_11comp_targetILNS1_3genE10ELNS1_11target_archE1200ELNS1_3gpuE4ELNS1_3repE0EEENS1_30default_config_static_selectorELNS0_4arch9wavefront6targetE1EEEvT1_,comdat
.Lfunc_end1674:
	.size	_ZN7rocprim17ROCPRIM_400000_NS6detail17trampoline_kernelINS0_14default_configENS1_25partition_config_selectorILNS1_17partition_subalgoE8ElNS0_10empty_typeEbEEZZNS1_14partition_implILS5_8ELb0ES3_jPlPS6_PKS6_NS0_5tupleIJS9_S6_EEENSD_IJSA_SA_EEENS0_18inequality_wrapperIZN2at6native12_GLOBAL__N_124unique_dim_cuda_templateImEESt5tupleIJNSH_6TensorESM_SM_EERKSM_lbbbEUlllE0_EEPmJS6_EEE10hipError_tPvRmT3_T4_T5_T6_T7_T9_mT8_P12ihipStream_tbDpT10_ENKUlT_T0_E_clISt17integral_constantIbLb1EES1C_EEDaS17_S18_EUlS17_E_NS1_11comp_targetILNS1_3genE10ELNS1_11target_archE1200ELNS1_3gpuE4ELNS1_3repE0EEENS1_30default_config_static_selectorELNS0_4arch9wavefront6targetE1EEEvT1_, .Lfunc_end1674-_ZN7rocprim17ROCPRIM_400000_NS6detail17trampoline_kernelINS0_14default_configENS1_25partition_config_selectorILNS1_17partition_subalgoE8ElNS0_10empty_typeEbEEZZNS1_14partition_implILS5_8ELb0ES3_jPlPS6_PKS6_NS0_5tupleIJS9_S6_EEENSD_IJSA_SA_EEENS0_18inequality_wrapperIZN2at6native12_GLOBAL__N_124unique_dim_cuda_templateImEESt5tupleIJNSH_6TensorESM_SM_EERKSM_lbbbEUlllE0_EEPmJS6_EEE10hipError_tPvRmT3_T4_T5_T6_T7_T9_mT8_P12ihipStream_tbDpT10_ENKUlT_T0_E_clISt17integral_constantIbLb1EES1C_EEDaS17_S18_EUlS17_E_NS1_11comp_targetILNS1_3genE10ELNS1_11target_archE1200ELNS1_3gpuE4ELNS1_3repE0EEENS1_30default_config_static_selectorELNS0_4arch9wavefront6targetE1EEEvT1_
                                        ; -- End function
	.section	.AMDGPU.csdata,"",@progbits
; Kernel info:
; codeLenInByte = 0
; NumSgprs: 4
; NumVgprs: 0
; NumAgprs: 0
; TotalNumVgprs: 0
; ScratchSize: 0
; MemoryBound: 0
; FloatMode: 240
; IeeeMode: 1
; LDSByteSize: 0 bytes/workgroup (compile time only)
; SGPRBlocks: 0
; VGPRBlocks: 0
; NumSGPRsForWavesPerEU: 4
; NumVGPRsForWavesPerEU: 1
; AccumOffset: 4
; Occupancy: 8
; WaveLimiterHint : 0
; COMPUTE_PGM_RSRC2:SCRATCH_EN: 0
; COMPUTE_PGM_RSRC2:USER_SGPR: 6
; COMPUTE_PGM_RSRC2:TRAP_HANDLER: 0
; COMPUTE_PGM_RSRC2:TGID_X_EN: 1
; COMPUTE_PGM_RSRC2:TGID_Y_EN: 0
; COMPUTE_PGM_RSRC2:TGID_Z_EN: 0
; COMPUTE_PGM_RSRC2:TIDIG_COMP_CNT: 0
; COMPUTE_PGM_RSRC3_GFX90A:ACCUM_OFFSET: 0
; COMPUTE_PGM_RSRC3_GFX90A:TG_SPLIT: 0
	.section	.text._ZN7rocprim17ROCPRIM_400000_NS6detail17trampoline_kernelINS0_14default_configENS1_25partition_config_selectorILNS1_17partition_subalgoE8ElNS0_10empty_typeEbEEZZNS1_14partition_implILS5_8ELb0ES3_jPlPS6_PKS6_NS0_5tupleIJS9_S6_EEENSD_IJSA_SA_EEENS0_18inequality_wrapperIZN2at6native12_GLOBAL__N_124unique_dim_cuda_templateImEESt5tupleIJNSH_6TensorESM_SM_EERKSM_lbbbEUlllE0_EEPmJS6_EEE10hipError_tPvRmT3_T4_T5_T6_T7_T9_mT8_P12ihipStream_tbDpT10_ENKUlT_T0_E_clISt17integral_constantIbLb1EES1C_EEDaS17_S18_EUlS17_E_NS1_11comp_targetILNS1_3genE9ELNS1_11target_archE1100ELNS1_3gpuE3ELNS1_3repE0EEENS1_30default_config_static_selectorELNS0_4arch9wavefront6targetE1EEEvT1_,"axG",@progbits,_ZN7rocprim17ROCPRIM_400000_NS6detail17trampoline_kernelINS0_14default_configENS1_25partition_config_selectorILNS1_17partition_subalgoE8ElNS0_10empty_typeEbEEZZNS1_14partition_implILS5_8ELb0ES3_jPlPS6_PKS6_NS0_5tupleIJS9_S6_EEENSD_IJSA_SA_EEENS0_18inequality_wrapperIZN2at6native12_GLOBAL__N_124unique_dim_cuda_templateImEESt5tupleIJNSH_6TensorESM_SM_EERKSM_lbbbEUlllE0_EEPmJS6_EEE10hipError_tPvRmT3_T4_T5_T6_T7_T9_mT8_P12ihipStream_tbDpT10_ENKUlT_T0_E_clISt17integral_constantIbLb1EES1C_EEDaS17_S18_EUlS17_E_NS1_11comp_targetILNS1_3genE9ELNS1_11target_archE1100ELNS1_3gpuE3ELNS1_3repE0EEENS1_30default_config_static_selectorELNS0_4arch9wavefront6targetE1EEEvT1_,comdat
	.globl	_ZN7rocprim17ROCPRIM_400000_NS6detail17trampoline_kernelINS0_14default_configENS1_25partition_config_selectorILNS1_17partition_subalgoE8ElNS0_10empty_typeEbEEZZNS1_14partition_implILS5_8ELb0ES3_jPlPS6_PKS6_NS0_5tupleIJS9_S6_EEENSD_IJSA_SA_EEENS0_18inequality_wrapperIZN2at6native12_GLOBAL__N_124unique_dim_cuda_templateImEESt5tupleIJNSH_6TensorESM_SM_EERKSM_lbbbEUlllE0_EEPmJS6_EEE10hipError_tPvRmT3_T4_T5_T6_T7_T9_mT8_P12ihipStream_tbDpT10_ENKUlT_T0_E_clISt17integral_constantIbLb1EES1C_EEDaS17_S18_EUlS17_E_NS1_11comp_targetILNS1_3genE9ELNS1_11target_archE1100ELNS1_3gpuE3ELNS1_3repE0EEENS1_30default_config_static_selectorELNS0_4arch9wavefront6targetE1EEEvT1_ ; -- Begin function _ZN7rocprim17ROCPRIM_400000_NS6detail17trampoline_kernelINS0_14default_configENS1_25partition_config_selectorILNS1_17partition_subalgoE8ElNS0_10empty_typeEbEEZZNS1_14partition_implILS5_8ELb0ES3_jPlPS6_PKS6_NS0_5tupleIJS9_S6_EEENSD_IJSA_SA_EEENS0_18inequality_wrapperIZN2at6native12_GLOBAL__N_124unique_dim_cuda_templateImEESt5tupleIJNSH_6TensorESM_SM_EERKSM_lbbbEUlllE0_EEPmJS6_EEE10hipError_tPvRmT3_T4_T5_T6_T7_T9_mT8_P12ihipStream_tbDpT10_ENKUlT_T0_E_clISt17integral_constantIbLb1EES1C_EEDaS17_S18_EUlS17_E_NS1_11comp_targetILNS1_3genE9ELNS1_11target_archE1100ELNS1_3gpuE3ELNS1_3repE0EEENS1_30default_config_static_selectorELNS0_4arch9wavefront6targetE1EEEvT1_
	.p2align	8
	.type	_ZN7rocprim17ROCPRIM_400000_NS6detail17trampoline_kernelINS0_14default_configENS1_25partition_config_selectorILNS1_17partition_subalgoE8ElNS0_10empty_typeEbEEZZNS1_14partition_implILS5_8ELb0ES3_jPlPS6_PKS6_NS0_5tupleIJS9_S6_EEENSD_IJSA_SA_EEENS0_18inequality_wrapperIZN2at6native12_GLOBAL__N_124unique_dim_cuda_templateImEESt5tupleIJNSH_6TensorESM_SM_EERKSM_lbbbEUlllE0_EEPmJS6_EEE10hipError_tPvRmT3_T4_T5_T6_T7_T9_mT8_P12ihipStream_tbDpT10_ENKUlT_T0_E_clISt17integral_constantIbLb1EES1C_EEDaS17_S18_EUlS17_E_NS1_11comp_targetILNS1_3genE9ELNS1_11target_archE1100ELNS1_3gpuE3ELNS1_3repE0EEENS1_30default_config_static_selectorELNS0_4arch9wavefront6targetE1EEEvT1_,@function
_ZN7rocprim17ROCPRIM_400000_NS6detail17trampoline_kernelINS0_14default_configENS1_25partition_config_selectorILNS1_17partition_subalgoE8ElNS0_10empty_typeEbEEZZNS1_14partition_implILS5_8ELb0ES3_jPlPS6_PKS6_NS0_5tupleIJS9_S6_EEENSD_IJSA_SA_EEENS0_18inequality_wrapperIZN2at6native12_GLOBAL__N_124unique_dim_cuda_templateImEESt5tupleIJNSH_6TensorESM_SM_EERKSM_lbbbEUlllE0_EEPmJS6_EEE10hipError_tPvRmT3_T4_T5_T6_T7_T9_mT8_P12ihipStream_tbDpT10_ENKUlT_T0_E_clISt17integral_constantIbLb1EES1C_EEDaS17_S18_EUlS17_E_NS1_11comp_targetILNS1_3genE9ELNS1_11target_archE1100ELNS1_3gpuE3ELNS1_3repE0EEENS1_30default_config_static_selectorELNS0_4arch9wavefront6targetE1EEEvT1_: ; @_ZN7rocprim17ROCPRIM_400000_NS6detail17trampoline_kernelINS0_14default_configENS1_25partition_config_selectorILNS1_17partition_subalgoE8ElNS0_10empty_typeEbEEZZNS1_14partition_implILS5_8ELb0ES3_jPlPS6_PKS6_NS0_5tupleIJS9_S6_EEENSD_IJSA_SA_EEENS0_18inequality_wrapperIZN2at6native12_GLOBAL__N_124unique_dim_cuda_templateImEESt5tupleIJNSH_6TensorESM_SM_EERKSM_lbbbEUlllE0_EEPmJS6_EEE10hipError_tPvRmT3_T4_T5_T6_T7_T9_mT8_P12ihipStream_tbDpT10_ENKUlT_T0_E_clISt17integral_constantIbLb1EES1C_EEDaS17_S18_EUlS17_E_NS1_11comp_targetILNS1_3genE9ELNS1_11target_archE1100ELNS1_3gpuE3ELNS1_3repE0EEENS1_30default_config_static_selectorELNS0_4arch9wavefront6targetE1EEEvT1_
; %bb.0:
	.section	.rodata,"a",@progbits
	.p2align	6, 0x0
	.amdhsa_kernel _ZN7rocprim17ROCPRIM_400000_NS6detail17trampoline_kernelINS0_14default_configENS1_25partition_config_selectorILNS1_17partition_subalgoE8ElNS0_10empty_typeEbEEZZNS1_14partition_implILS5_8ELb0ES3_jPlPS6_PKS6_NS0_5tupleIJS9_S6_EEENSD_IJSA_SA_EEENS0_18inequality_wrapperIZN2at6native12_GLOBAL__N_124unique_dim_cuda_templateImEESt5tupleIJNSH_6TensorESM_SM_EERKSM_lbbbEUlllE0_EEPmJS6_EEE10hipError_tPvRmT3_T4_T5_T6_T7_T9_mT8_P12ihipStream_tbDpT10_ENKUlT_T0_E_clISt17integral_constantIbLb1EES1C_EEDaS17_S18_EUlS17_E_NS1_11comp_targetILNS1_3genE9ELNS1_11target_archE1100ELNS1_3gpuE3ELNS1_3repE0EEENS1_30default_config_static_selectorELNS0_4arch9wavefront6targetE1EEEvT1_
		.amdhsa_group_segment_fixed_size 0
		.amdhsa_private_segment_fixed_size 0
		.amdhsa_kernarg_size 136
		.amdhsa_user_sgpr_count 6
		.amdhsa_user_sgpr_private_segment_buffer 1
		.amdhsa_user_sgpr_dispatch_ptr 0
		.amdhsa_user_sgpr_queue_ptr 0
		.amdhsa_user_sgpr_kernarg_segment_ptr 1
		.amdhsa_user_sgpr_dispatch_id 0
		.amdhsa_user_sgpr_flat_scratch_init 0
		.amdhsa_user_sgpr_kernarg_preload_length 0
		.amdhsa_user_sgpr_kernarg_preload_offset 0
		.amdhsa_user_sgpr_private_segment_size 0
		.amdhsa_uses_dynamic_stack 0
		.amdhsa_system_sgpr_private_segment_wavefront_offset 0
		.amdhsa_system_sgpr_workgroup_id_x 1
		.amdhsa_system_sgpr_workgroup_id_y 0
		.amdhsa_system_sgpr_workgroup_id_z 0
		.amdhsa_system_sgpr_workgroup_info 0
		.amdhsa_system_vgpr_workitem_id 0
		.amdhsa_next_free_vgpr 1
		.amdhsa_next_free_sgpr 0
		.amdhsa_accum_offset 4
		.amdhsa_reserve_vcc 0
		.amdhsa_reserve_flat_scratch 0
		.amdhsa_float_round_mode_32 0
		.amdhsa_float_round_mode_16_64 0
		.amdhsa_float_denorm_mode_32 3
		.amdhsa_float_denorm_mode_16_64 3
		.amdhsa_dx10_clamp 1
		.amdhsa_ieee_mode 1
		.amdhsa_fp16_overflow 0
		.amdhsa_tg_split 0
		.amdhsa_exception_fp_ieee_invalid_op 0
		.amdhsa_exception_fp_denorm_src 0
		.amdhsa_exception_fp_ieee_div_zero 0
		.amdhsa_exception_fp_ieee_overflow 0
		.amdhsa_exception_fp_ieee_underflow 0
		.amdhsa_exception_fp_ieee_inexact 0
		.amdhsa_exception_int_div_zero 0
	.end_amdhsa_kernel
	.section	.text._ZN7rocprim17ROCPRIM_400000_NS6detail17trampoline_kernelINS0_14default_configENS1_25partition_config_selectorILNS1_17partition_subalgoE8ElNS0_10empty_typeEbEEZZNS1_14partition_implILS5_8ELb0ES3_jPlPS6_PKS6_NS0_5tupleIJS9_S6_EEENSD_IJSA_SA_EEENS0_18inequality_wrapperIZN2at6native12_GLOBAL__N_124unique_dim_cuda_templateImEESt5tupleIJNSH_6TensorESM_SM_EERKSM_lbbbEUlllE0_EEPmJS6_EEE10hipError_tPvRmT3_T4_T5_T6_T7_T9_mT8_P12ihipStream_tbDpT10_ENKUlT_T0_E_clISt17integral_constantIbLb1EES1C_EEDaS17_S18_EUlS17_E_NS1_11comp_targetILNS1_3genE9ELNS1_11target_archE1100ELNS1_3gpuE3ELNS1_3repE0EEENS1_30default_config_static_selectorELNS0_4arch9wavefront6targetE1EEEvT1_,"axG",@progbits,_ZN7rocprim17ROCPRIM_400000_NS6detail17trampoline_kernelINS0_14default_configENS1_25partition_config_selectorILNS1_17partition_subalgoE8ElNS0_10empty_typeEbEEZZNS1_14partition_implILS5_8ELb0ES3_jPlPS6_PKS6_NS0_5tupleIJS9_S6_EEENSD_IJSA_SA_EEENS0_18inequality_wrapperIZN2at6native12_GLOBAL__N_124unique_dim_cuda_templateImEESt5tupleIJNSH_6TensorESM_SM_EERKSM_lbbbEUlllE0_EEPmJS6_EEE10hipError_tPvRmT3_T4_T5_T6_T7_T9_mT8_P12ihipStream_tbDpT10_ENKUlT_T0_E_clISt17integral_constantIbLb1EES1C_EEDaS17_S18_EUlS17_E_NS1_11comp_targetILNS1_3genE9ELNS1_11target_archE1100ELNS1_3gpuE3ELNS1_3repE0EEENS1_30default_config_static_selectorELNS0_4arch9wavefront6targetE1EEEvT1_,comdat
.Lfunc_end1675:
	.size	_ZN7rocprim17ROCPRIM_400000_NS6detail17trampoline_kernelINS0_14default_configENS1_25partition_config_selectorILNS1_17partition_subalgoE8ElNS0_10empty_typeEbEEZZNS1_14partition_implILS5_8ELb0ES3_jPlPS6_PKS6_NS0_5tupleIJS9_S6_EEENSD_IJSA_SA_EEENS0_18inequality_wrapperIZN2at6native12_GLOBAL__N_124unique_dim_cuda_templateImEESt5tupleIJNSH_6TensorESM_SM_EERKSM_lbbbEUlllE0_EEPmJS6_EEE10hipError_tPvRmT3_T4_T5_T6_T7_T9_mT8_P12ihipStream_tbDpT10_ENKUlT_T0_E_clISt17integral_constantIbLb1EES1C_EEDaS17_S18_EUlS17_E_NS1_11comp_targetILNS1_3genE9ELNS1_11target_archE1100ELNS1_3gpuE3ELNS1_3repE0EEENS1_30default_config_static_selectorELNS0_4arch9wavefront6targetE1EEEvT1_, .Lfunc_end1675-_ZN7rocprim17ROCPRIM_400000_NS6detail17trampoline_kernelINS0_14default_configENS1_25partition_config_selectorILNS1_17partition_subalgoE8ElNS0_10empty_typeEbEEZZNS1_14partition_implILS5_8ELb0ES3_jPlPS6_PKS6_NS0_5tupleIJS9_S6_EEENSD_IJSA_SA_EEENS0_18inequality_wrapperIZN2at6native12_GLOBAL__N_124unique_dim_cuda_templateImEESt5tupleIJNSH_6TensorESM_SM_EERKSM_lbbbEUlllE0_EEPmJS6_EEE10hipError_tPvRmT3_T4_T5_T6_T7_T9_mT8_P12ihipStream_tbDpT10_ENKUlT_T0_E_clISt17integral_constantIbLb1EES1C_EEDaS17_S18_EUlS17_E_NS1_11comp_targetILNS1_3genE9ELNS1_11target_archE1100ELNS1_3gpuE3ELNS1_3repE0EEENS1_30default_config_static_selectorELNS0_4arch9wavefront6targetE1EEEvT1_
                                        ; -- End function
	.section	.AMDGPU.csdata,"",@progbits
; Kernel info:
; codeLenInByte = 0
; NumSgprs: 4
; NumVgprs: 0
; NumAgprs: 0
; TotalNumVgprs: 0
; ScratchSize: 0
; MemoryBound: 0
; FloatMode: 240
; IeeeMode: 1
; LDSByteSize: 0 bytes/workgroup (compile time only)
; SGPRBlocks: 0
; VGPRBlocks: 0
; NumSGPRsForWavesPerEU: 4
; NumVGPRsForWavesPerEU: 1
; AccumOffset: 4
; Occupancy: 8
; WaveLimiterHint : 0
; COMPUTE_PGM_RSRC2:SCRATCH_EN: 0
; COMPUTE_PGM_RSRC2:USER_SGPR: 6
; COMPUTE_PGM_RSRC2:TRAP_HANDLER: 0
; COMPUTE_PGM_RSRC2:TGID_X_EN: 1
; COMPUTE_PGM_RSRC2:TGID_Y_EN: 0
; COMPUTE_PGM_RSRC2:TGID_Z_EN: 0
; COMPUTE_PGM_RSRC2:TIDIG_COMP_CNT: 0
; COMPUTE_PGM_RSRC3_GFX90A:ACCUM_OFFSET: 0
; COMPUTE_PGM_RSRC3_GFX90A:TG_SPLIT: 0
	.section	.text._ZN7rocprim17ROCPRIM_400000_NS6detail17trampoline_kernelINS0_14default_configENS1_25partition_config_selectorILNS1_17partition_subalgoE8ElNS0_10empty_typeEbEEZZNS1_14partition_implILS5_8ELb0ES3_jPlPS6_PKS6_NS0_5tupleIJS9_S6_EEENSD_IJSA_SA_EEENS0_18inequality_wrapperIZN2at6native12_GLOBAL__N_124unique_dim_cuda_templateImEESt5tupleIJNSH_6TensorESM_SM_EERKSM_lbbbEUlllE0_EEPmJS6_EEE10hipError_tPvRmT3_T4_T5_T6_T7_T9_mT8_P12ihipStream_tbDpT10_ENKUlT_T0_E_clISt17integral_constantIbLb1EES1C_EEDaS17_S18_EUlS17_E_NS1_11comp_targetILNS1_3genE8ELNS1_11target_archE1030ELNS1_3gpuE2ELNS1_3repE0EEENS1_30default_config_static_selectorELNS0_4arch9wavefront6targetE1EEEvT1_,"axG",@progbits,_ZN7rocprim17ROCPRIM_400000_NS6detail17trampoline_kernelINS0_14default_configENS1_25partition_config_selectorILNS1_17partition_subalgoE8ElNS0_10empty_typeEbEEZZNS1_14partition_implILS5_8ELb0ES3_jPlPS6_PKS6_NS0_5tupleIJS9_S6_EEENSD_IJSA_SA_EEENS0_18inequality_wrapperIZN2at6native12_GLOBAL__N_124unique_dim_cuda_templateImEESt5tupleIJNSH_6TensorESM_SM_EERKSM_lbbbEUlllE0_EEPmJS6_EEE10hipError_tPvRmT3_T4_T5_T6_T7_T9_mT8_P12ihipStream_tbDpT10_ENKUlT_T0_E_clISt17integral_constantIbLb1EES1C_EEDaS17_S18_EUlS17_E_NS1_11comp_targetILNS1_3genE8ELNS1_11target_archE1030ELNS1_3gpuE2ELNS1_3repE0EEENS1_30default_config_static_selectorELNS0_4arch9wavefront6targetE1EEEvT1_,comdat
	.globl	_ZN7rocprim17ROCPRIM_400000_NS6detail17trampoline_kernelINS0_14default_configENS1_25partition_config_selectorILNS1_17partition_subalgoE8ElNS0_10empty_typeEbEEZZNS1_14partition_implILS5_8ELb0ES3_jPlPS6_PKS6_NS0_5tupleIJS9_S6_EEENSD_IJSA_SA_EEENS0_18inequality_wrapperIZN2at6native12_GLOBAL__N_124unique_dim_cuda_templateImEESt5tupleIJNSH_6TensorESM_SM_EERKSM_lbbbEUlllE0_EEPmJS6_EEE10hipError_tPvRmT3_T4_T5_T6_T7_T9_mT8_P12ihipStream_tbDpT10_ENKUlT_T0_E_clISt17integral_constantIbLb1EES1C_EEDaS17_S18_EUlS17_E_NS1_11comp_targetILNS1_3genE8ELNS1_11target_archE1030ELNS1_3gpuE2ELNS1_3repE0EEENS1_30default_config_static_selectorELNS0_4arch9wavefront6targetE1EEEvT1_ ; -- Begin function _ZN7rocprim17ROCPRIM_400000_NS6detail17trampoline_kernelINS0_14default_configENS1_25partition_config_selectorILNS1_17partition_subalgoE8ElNS0_10empty_typeEbEEZZNS1_14partition_implILS5_8ELb0ES3_jPlPS6_PKS6_NS0_5tupleIJS9_S6_EEENSD_IJSA_SA_EEENS0_18inequality_wrapperIZN2at6native12_GLOBAL__N_124unique_dim_cuda_templateImEESt5tupleIJNSH_6TensorESM_SM_EERKSM_lbbbEUlllE0_EEPmJS6_EEE10hipError_tPvRmT3_T4_T5_T6_T7_T9_mT8_P12ihipStream_tbDpT10_ENKUlT_T0_E_clISt17integral_constantIbLb1EES1C_EEDaS17_S18_EUlS17_E_NS1_11comp_targetILNS1_3genE8ELNS1_11target_archE1030ELNS1_3gpuE2ELNS1_3repE0EEENS1_30default_config_static_selectorELNS0_4arch9wavefront6targetE1EEEvT1_
	.p2align	8
	.type	_ZN7rocprim17ROCPRIM_400000_NS6detail17trampoline_kernelINS0_14default_configENS1_25partition_config_selectorILNS1_17partition_subalgoE8ElNS0_10empty_typeEbEEZZNS1_14partition_implILS5_8ELb0ES3_jPlPS6_PKS6_NS0_5tupleIJS9_S6_EEENSD_IJSA_SA_EEENS0_18inequality_wrapperIZN2at6native12_GLOBAL__N_124unique_dim_cuda_templateImEESt5tupleIJNSH_6TensorESM_SM_EERKSM_lbbbEUlllE0_EEPmJS6_EEE10hipError_tPvRmT3_T4_T5_T6_T7_T9_mT8_P12ihipStream_tbDpT10_ENKUlT_T0_E_clISt17integral_constantIbLb1EES1C_EEDaS17_S18_EUlS17_E_NS1_11comp_targetILNS1_3genE8ELNS1_11target_archE1030ELNS1_3gpuE2ELNS1_3repE0EEENS1_30default_config_static_selectorELNS0_4arch9wavefront6targetE1EEEvT1_,@function
_ZN7rocprim17ROCPRIM_400000_NS6detail17trampoline_kernelINS0_14default_configENS1_25partition_config_selectorILNS1_17partition_subalgoE8ElNS0_10empty_typeEbEEZZNS1_14partition_implILS5_8ELb0ES3_jPlPS6_PKS6_NS0_5tupleIJS9_S6_EEENSD_IJSA_SA_EEENS0_18inequality_wrapperIZN2at6native12_GLOBAL__N_124unique_dim_cuda_templateImEESt5tupleIJNSH_6TensorESM_SM_EERKSM_lbbbEUlllE0_EEPmJS6_EEE10hipError_tPvRmT3_T4_T5_T6_T7_T9_mT8_P12ihipStream_tbDpT10_ENKUlT_T0_E_clISt17integral_constantIbLb1EES1C_EEDaS17_S18_EUlS17_E_NS1_11comp_targetILNS1_3genE8ELNS1_11target_archE1030ELNS1_3gpuE2ELNS1_3repE0EEENS1_30default_config_static_selectorELNS0_4arch9wavefront6targetE1EEEvT1_: ; @_ZN7rocprim17ROCPRIM_400000_NS6detail17trampoline_kernelINS0_14default_configENS1_25partition_config_selectorILNS1_17partition_subalgoE8ElNS0_10empty_typeEbEEZZNS1_14partition_implILS5_8ELb0ES3_jPlPS6_PKS6_NS0_5tupleIJS9_S6_EEENSD_IJSA_SA_EEENS0_18inequality_wrapperIZN2at6native12_GLOBAL__N_124unique_dim_cuda_templateImEESt5tupleIJNSH_6TensorESM_SM_EERKSM_lbbbEUlllE0_EEPmJS6_EEE10hipError_tPvRmT3_T4_T5_T6_T7_T9_mT8_P12ihipStream_tbDpT10_ENKUlT_T0_E_clISt17integral_constantIbLb1EES1C_EEDaS17_S18_EUlS17_E_NS1_11comp_targetILNS1_3genE8ELNS1_11target_archE1030ELNS1_3gpuE2ELNS1_3repE0EEENS1_30default_config_static_selectorELNS0_4arch9wavefront6targetE1EEEvT1_
; %bb.0:
	.section	.rodata,"a",@progbits
	.p2align	6, 0x0
	.amdhsa_kernel _ZN7rocprim17ROCPRIM_400000_NS6detail17trampoline_kernelINS0_14default_configENS1_25partition_config_selectorILNS1_17partition_subalgoE8ElNS0_10empty_typeEbEEZZNS1_14partition_implILS5_8ELb0ES3_jPlPS6_PKS6_NS0_5tupleIJS9_S6_EEENSD_IJSA_SA_EEENS0_18inequality_wrapperIZN2at6native12_GLOBAL__N_124unique_dim_cuda_templateImEESt5tupleIJNSH_6TensorESM_SM_EERKSM_lbbbEUlllE0_EEPmJS6_EEE10hipError_tPvRmT3_T4_T5_T6_T7_T9_mT8_P12ihipStream_tbDpT10_ENKUlT_T0_E_clISt17integral_constantIbLb1EES1C_EEDaS17_S18_EUlS17_E_NS1_11comp_targetILNS1_3genE8ELNS1_11target_archE1030ELNS1_3gpuE2ELNS1_3repE0EEENS1_30default_config_static_selectorELNS0_4arch9wavefront6targetE1EEEvT1_
		.amdhsa_group_segment_fixed_size 0
		.amdhsa_private_segment_fixed_size 0
		.amdhsa_kernarg_size 136
		.amdhsa_user_sgpr_count 6
		.amdhsa_user_sgpr_private_segment_buffer 1
		.amdhsa_user_sgpr_dispatch_ptr 0
		.amdhsa_user_sgpr_queue_ptr 0
		.amdhsa_user_sgpr_kernarg_segment_ptr 1
		.amdhsa_user_sgpr_dispatch_id 0
		.amdhsa_user_sgpr_flat_scratch_init 0
		.amdhsa_user_sgpr_kernarg_preload_length 0
		.amdhsa_user_sgpr_kernarg_preload_offset 0
		.amdhsa_user_sgpr_private_segment_size 0
		.amdhsa_uses_dynamic_stack 0
		.amdhsa_system_sgpr_private_segment_wavefront_offset 0
		.amdhsa_system_sgpr_workgroup_id_x 1
		.amdhsa_system_sgpr_workgroup_id_y 0
		.amdhsa_system_sgpr_workgroup_id_z 0
		.amdhsa_system_sgpr_workgroup_info 0
		.amdhsa_system_vgpr_workitem_id 0
		.amdhsa_next_free_vgpr 1
		.amdhsa_next_free_sgpr 0
		.amdhsa_accum_offset 4
		.amdhsa_reserve_vcc 0
		.amdhsa_reserve_flat_scratch 0
		.amdhsa_float_round_mode_32 0
		.amdhsa_float_round_mode_16_64 0
		.amdhsa_float_denorm_mode_32 3
		.amdhsa_float_denorm_mode_16_64 3
		.amdhsa_dx10_clamp 1
		.amdhsa_ieee_mode 1
		.amdhsa_fp16_overflow 0
		.amdhsa_tg_split 0
		.amdhsa_exception_fp_ieee_invalid_op 0
		.amdhsa_exception_fp_denorm_src 0
		.amdhsa_exception_fp_ieee_div_zero 0
		.amdhsa_exception_fp_ieee_overflow 0
		.amdhsa_exception_fp_ieee_underflow 0
		.amdhsa_exception_fp_ieee_inexact 0
		.amdhsa_exception_int_div_zero 0
	.end_amdhsa_kernel
	.section	.text._ZN7rocprim17ROCPRIM_400000_NS6detail17trampoline_kernelINS0_14default_configENS1_25partition_config_selectorILNS1_17partition_subalgoE8ElNS0_10empty_typeEbEEZZNS1_14partition_implILS5_8ELb0ES3_jPlPS6_PKS6_NS0_5tupleIJS9_S6_EEENSD_IJSA_SA_EEENS0_18inequality_wrapperIZN2at6native12_GLOBAL__N_124unique_dim_cuda_templateImEESt5tupleIJNSH_6TensorESM_SM_EERKSM_lbbbEUlllE0_EEPmJS6_EEE10hipError_tPvRmT3_T4_T5_T6_T7_T9_mT8_P12ihipStream_tbDpT10_ENKUlT_T0_E_clISt17integral_constantIbLb1EES1C_EEDaS17_S18_EUlS17_E_NS1_11comp_targetILNS1_3genE8ELNS1_11target_archE1030ELNS1_3gpuE2ELNS1_3repE0EEENS1_30default_config_static_selectorELNS0_4arch9wavefront6targetE1EEEvT1_,"axG",@progbits,_ZN7rocprim17ROCPRIM_400000_NS6detail17trampoline_kernelINS0_14default_configENS1_25partition_config_selectorILNS1_17partition_subalgoE8ElNS0_10empty_typeEbEEZZNS1_14partition_implILS5_8ELb0ES3_jPlPS6_PKS6_NS0_5tupleIJS9_S6_EEENSD_IJSA_SA_EEENS0_18inequality_wrapperIZN2at6native12_GLOBAL__N_124unique_dim_cuda_templateImEESt5tupleIJNSH_6TensorESM_SM_EERKSM_lbbbEUlllE0_EEPmJS6_EEE10hipError_tPvRmT3_T4_T5_T6_T7_T9_mT8_P12ihipStream_tbDpT10_ENKUlT_T0_E_clISt17integral_constantIbLb1EES1C_EEDaS17_S18_EUlS17_E_NS1_11comp_targetILNS1_3genE8ELNS1_11target_archE1030ELNS1_3gpuE2ELNS1_3repE0EEENS1_30default_config_static_selectorELNS0_4arch9wavefront6targetE1EEEvT1_,comdat
.Lfunc_end1676:
	.size	_ZN7rocprim17ROCPRIM_400000_NS6detail17trampoline_kernelINS0_14default_configENS1_25partition_config_selectorILNS1_17partition_subalgoE8ElNS0_10empty_typeEbEEZZNS1_14partition_implILS5_8ELb0ES3_jPlPS6_PKS6_NS0_5tupleIJS9_S6_EEENSD_IJSA_SA_EEENS0_18inequality_wrapperIZN2at6native12_GLOBAL__N_124unique_dim_cuda_templateImEESt5tupleIJNSH_6TensorESM_SM_EERKSM_lbbbEUlllE0_EEPmJS6_EEE10hipError_tPvRmT3_T4_T5_T6_T7_T9_mT8_P12ihipStream_tbDpT10_ENKUlT_T0_E_clISt17integral_constantIbLb1EES1C_EEDaS17_S18_EUlS17_E_NS1_11comp_targetILNS1_3genE8ELNS1_11target_archE1030ELNS1_3gpuE2ELNS1_3repE0EEENS1_30default_config_static_selectorELNS0_4arch9wavefront6targetE1EEEvT1_, .Lfunc_end1676-_ZN7rocprim17ROCPRIM_400000_NS6detail17trampoline_kernelINS0_14default_configENS1_25partition_config_selectorILNS1_17partition_subalgoE8ElNS0_10empty_typeEbEEZZNS1_14partition_implILS5_8ELb0ES3_jPlPS6_PKS6_NS0_5tupleIJS9_S6_EEENSD_IJSA_SA_EEENS0_18inequality_wrapperIZN2at6native12_GLOBAL__N_124unique_dim_cuda_templateImEESt5tupleIJNSH_6TensorESM_SM_EERKSM_lbbbEUlllE0_EEPmJS6_EEE10hipError_tPvRmT3_T4_T5_T6_T7_T9_mT8_P12ihipStream_tbDpT10_ENKUlT_T0_E_clISt17integral_constantIbLb1EES1C_EEDaS17_S18_EUlS17_E_NS1_11comp_targetILNS1_3genE8ELNS1_11target_archE1030ELNS1_3gpuE2ELNS1_3repE0EEENS1_30default_config_static_selectorELNS0_4arch9wavefront6targetE1EEEvT1_
                                        ; -- End function
	.section	.AMDGPU.csdata,"",@progbits
; Kernel info:
; codeLenInByte = 0
; NumSgprs: 4
; NumVgprs: 0
; NumAgprs: 0
; TotalNumVgprs: 0
; ScratchSize: 0
; MemoryBound: 0
; FloatMode: 240
; IeeeMode: 1
; LDSByteSize: 0 bytes/workgroup (compile time only)
; SGPRBlocks: 0
; VGPRBlocks: 0
; NumSGPRsForWavesPerEU: 4
; NumVGPRsForWavesPerEU: 1
; AccumOffset: 4
; Occupancy: 8
; WaveLimiterHint : 0
; COMPUTE_PGM_RSRC2:SCRATCH_EN: 0
; COMPUTE_PGM_RSRC2:USER_SGPR: 6
; COMPUTE_PGM_RSRC2:TRAP_HANDLER: 0
; COMPUTE_PGM_RSRC2:TGID_X_EN: 1
; COMPUTE_PGM_RSRC2:TGID_Y_EN: 0
; COMPUTE_PGM_RSRC2:TGID_Z_EN: 0
; COMPUTE_PGM_RSRC2:TIDIG_COMP_CNT: 0
; COMPUTE_PGM_RSRC3_GFX90A:ACCUM_OFFSET: 0
; COMPUTE_PGM_RSRC3_GFX90A:TG_SPLIT: 0
	.section	.text._ZN7rocprim17ROCPRIM_400000_NS6detail17trampoline_kernelINS0_14default_configENS1_25partition_config_selectorILNS1_17partition_subalgoE8ElNS0_10empty_typeEbEEZZNS1_14partition_implILS5_8ELb0ES3_jPlPS6_PKS6_NS0_5tupleIJS9_S6_EEENSD_IJSA_SA_EEENS0_18inequality_wrapperIZN2at6native12_GLOBAL__N_124unique_dim_cuda_templateImEESt5tupleIJNSH_6TensorESM_SM_EERKSM_lbbbEUlllE0_EEPmJS6_EEE10hipError_tPvRmT3_T4_T5_T6_T7_T9_mT8_P12ihipStream_tbDpT10_ENKUlT_T0_E_clISt17integral_constantIbLb1EES1B_IbLb0EEEEDaS17_S18_EUlS17_E_NS1_11comp_targetILNS1_3genE0ELNS1_11target_archE4294967295ELNS1_3gpuE0ELNS1_3repE0EEENS1_30default_config_static_selectorELNS0_4arch9wavefront6targetE1EEEvT1_,"axG",@progbits,_ZN7rocprim17ROCPRIM_400000_NS6detail17trampoline_kernelINS0_14default_configENS1_25partition_config_selectorILNS1_17partition_subalgoE8ElNS0_10empty_typeEbEEZZNS1_14partition_implILS5_8ELb0ES3_jPlPS6_PKS6_NS0_5tupleIJS9_S6_EEENSD_IJSA_SA_EEENS0_18inequality_wrapperIZN2at6native12_GLOBAL__N_124unique_dim_cuda_templateImEESt5tupleIJNSH_6TensorESM_SM_EERKSM_lbbbEUlllE0_EEPmJS6_EEE10hipError_tPvRmT3_T4_T5_T6_T7_T9_mT8_P12ihipStream_tbDpT10_ENKUlT_T0_E_clISt17integral_constantIbLb1EES1B_IbLb0EEEEDaS17_S18_EUlS17_E_NS1_11comp_targetILNS1_3genE0ELNS1_11target_archE4294967295ELNS1_3gpuE0ELNS1_3repE0EEENS1_30default_config_static_selectorELNS0_4arch9wavefront6targetE1EEEvT1_,comdat
	.globl	_ZN7rocprim17ROCPRIM_400000_NS6detail17trampoline_kernelINS0_14default_configENS1_25partition_config_selectorILNS1_17partition_subalgoE8ElNS0_10empty_typeEbEEZZNS1_14partition_implILS5_8ELb0ES3_jPlPS6_PKS6_NS0_5tupleIJS9_S6_EEENSD_IJSA_SA_EEENS0_18inequality_wrapperIZN2at6native12_GLOBAL__N_124unique_dim_cuda_templateImEESt5tupleIJNSH_6TensorESM_SM_EERKSM_lbbbEUlllE0_EEPmJS6_EEE10hipError_tPvRmT3_T4_T5_T6_T7_T9_mT8_P12ihipStream_tbDpT10_ENKUlT_T0_E_clISt17integral_constantIbLb1EES1B_IbLb0EEEEDaS17_S18_EUlS17_E_NS1_11comp_targetILNS1_3genE0ELNS1_11target_archE4294967295ELNS1_3gpuE0ELNS1_3repE0EEENS1_30default_config_static_selectorELNS0_4arch9wavefront6targetE1EEEvT1_ ; -- Begin function _ZN7rocprim17ROCPRIM_400000_NS6detail17trampoline_kernelINS0_14default_configENS1_25partition_config_selectorILNS1_17partition_subalgoE8ElNS0_10empty_typeEbEEZZNS1_14partition_implILS5_8ELb0ES3_jPlPS6_PKS6_NS0_5tupleIJS9_S6_EEENSD_IJSA_SA_EEENS0_18inequality_wrapperIZN2at6native12_GLOBAL__N_124unique_dim_cuda_templateImEESt5tupleIJNSH_6TensorESM_SM_EERKSM_lbbbEUlllE0_EEPmJS6_EEE10hipError_tPvRmT3_T4_T5_T6_T7_T9_mT8_P12ihipStream_tbDpT10_ENKUlT_T0_E_clISt17integral_constantIbLb1EES1B_IbLb0EEEEDaS17_S18_EUlS17_E_NS1_11comp_targetILNS1_3genE0ELNS1_11target_archE4294967295ELNS1_3gpuE0ELNS1_3repE0EEENS1_30default_config_static_selectorELNS0_4arch9wavefront6targetE1EEEvT1_
	.p2align	8
	.type	_ZN7rocprim17ROCPRIM_400000_NS6detail17trampoline_kernelINS0_14default_configENS1_25partition_config_selectorILNS1_17partition_subalgoE8ElNS0_10empty_typeEbEEZZNS1_14partition_implILS5_8ELb0ES3_jPlPS6_PKS6_NS0_5tupleIJS9_S6_EEENSD_IJSA_SA_EEENS0_18inequality_wrapperIZN2at6native12_GLOBAL__N_124unique_dim_cuda_templateImEESt5tupleIJNSH_6TensorESM_SM_EERKSM_lbbbEUlllE0_EEPmJS6_EEE10hipError_tPvRmT3_T4_T5_T6_T7_T9_mT8_P12ihipStream_tbDpT10_ENKUlT_T0_E_clISt17integral_constantIbLb1EES1B_IbLb0EEEEDaS17_S18_EUlS17_E_NS1_11comp_targetILNS1_3genE0ELNS1_11target_archE4294967295ELNS1_3gpuE0ELNS1_3repE0EEENS1_30default_config_static_selectorELNS0_4arch9wavefront6targetE1EEEvT1_,@function
_ZN7rocprim17ROCPRIM_400000_NS6detail17trampoline_kernelINS0_14default_configENS1_25partition_config_selectorILNS1_17partition_subalgoE8ElNS0_10empty_typeEbEEZZNS1_14partition_implILS5_8ELb0ES3_jPlPS6_PKS6_NS0_5tupleIJS9_S6_EEENSD_IJSA_SA_EEENS0_18inequality_wrapperIZN2at6native12_GLOBAL__N_124unique_dim_cuda_templateImEESt5tupleIJNSH_6TensorESM_SM_EERKSM_lbbbEUlllE0_EEPmJS6_EEE10hipError_tPvRmT3_T4_T5_T6_T7_T9_mT8_P12ihipStream_tbDpT10_ENKUlT_T0_E_clISt17integral_constantIbLb1EES1B_IbLb0EEEEDaS17_S18_EUlS17_E_NS1_11comp_targetILNS1_3genE0ELNS1_11target_archE4294967295ELNS1_3gpuE0ELNS1_3repE0EEENS1_30default_config_static_selectorELNS0_4arch9wavefront6targetE1EEEvT1_: ; @_ZN7rocprim17ROCPRIM_400000_NS6detail17trampoline_kernelINS0_14default_configENS1_25partition_config_selectorILNS1_17partition_subalgoE8ElNS0_10empty_typeEbEEZZNS1_14partition_implILS5_8ELb0ES3_jPlPS6_PKS6_NS0_5tupleIJS9_S6_EEENSD_IJSA_SA_EEENS0_18inequality_wrapperIZN2at6native12_GLOBAL__N_124unique_dim_cuda_templateImEESt5tupleIJNSH_6TensorESM_SM_EERKSM_lbbbEUlllE0_EEPmJS6_EEE10hipError_tPvRmT3_T4_T5_T6_T7_T9_mT8_P12ihipStream_tbDpT10_ENKUlT_T0_E_clISt17integral_constantIbLb1EES1B_IbLb0EEEEDaS17_S18_EUlS17_E_NS1_11comp_targetILNS1_3genE0ELNS1_11target_archE4294967295ELNS1_3gpuE0ELNS1_3repE0EEENS1_30default_config_static_selectorELNS0_4arch9wavefront6targetE1EEEvT1_
; %bb.0:
	.section	.rodata,"a",@progbits
	.p2align	6, 0x0
	.amdhsa_kernel _ZN7rocprim17ROCPRIM_400000_NS6detail17trampoline_kernelINS0_14default_configENS1_25partition_config_selectorILNS1_17partition_subalgoE8ElNS0_10empty_typeEbEEZZNS1_14partition_implILS5_8ELb0ES3_jPlPS6_PKS6_NS0_5tupleIJS9_S6_EEENSD_IJSA_SA_EEENS0_18inequality_wrapperIZN2at6native12_GLOBAL__N_124unique_dim_cuda_templateImEESt5tupleIJNSH_6TensorESM_SM_EERKSM_lbbbEUlllE0_EEPmJS6_EEE10hipError_tPvRmT3_T4_T5_T6_T7_T9_mT8_P12ihipStream_tbDpT10_ENKUlT_T0_E_clISt17integral_constantIbLb1EES1B_IbLb0EEEEDaS17_S18_EUlS17_E_NS1_11comp_targetILNS1_3genE0ELNS1_11target_archE4294967295ELNS1_3gpuE0ELNS1_3repE0EEENS1_30default_config_static_selectorELNS0_4arch9wavefront6targetE1EEEvT1_
		.amdhsa_group_segment_fixed_size 0
		.amdhsa_private_segment_fixed_size 0
		.amdhsa_kernarg_size 120
		.amdhsa_user_sgpr_count 6
		.amdhsa_user_sgpr_private_segment_buffer 1
		.amdhsa_user_sgpr_dispatch_ptr 0
		.amdhsa_user_sgpr_queue_ptr 0
		.amdhsa_user_sgpr_kernarg_segment_ptr 1
		.amdhsa_user_sgpr_dispatch_id 0
		.amdhsa_user_sgpr_flat_scratch_init 0
		.amdhsa_user_sgpr_kernarg_preload_length 0
		.amdhsa_user_sgpr_kernarg_preload_offset 0
		.amdhsa_user_sgpr_private_segment_size 0
		.amdhsa_uses_dynamic_stack 0
		.amdhsa_system_sgpr_private_segment_wavefront_offset 0
		.amdhsa_system_sgpr_workgroup_id_x 1
		.amdhsa_system_sgpr_workgroup_id_y 0
		.amdhsa_system_sgpr_workgroup_id_z 0
		.amdhsa_system_sgpr_workgroup_info 0
		.amdhsa_system_vgpr_workitem_id 0
		.amdhsa_next_free_vgpr 1
		.amdhsa_next_free_sgpr 0
		.amdhsa_accum_offset 4
		.amdhsa_reserve_vcc 0
		.amdhsa_reserve_flat_scratch 0
		.amdhsa_float_round_mode_32 0
		.amdhsa_float_round_mode_16_64 0
		.amdhsa_float_denorm_mode_32 3
		.amdhsa_float_denorm_mode_16_64 3
		.amdhsa_dx10_clamp 1
		.amdhsa_ieee_mode 1
		.amdhsa_fp16_overflow 0
		.amdhsa_tg_split 0
		.amdhsa_exception_fp_ieee_invalid_op 0
		.amdhsa_exception_fp_denorm_src 0
		.amdhsa_exception_fp_ieee_div_zero 0
		.amdhsa_exception_fp_ieee_overflow 0
		.amdhsa_exception_fp_ieee_underflow 0
		.amdhsa_exception_fp_ieee_inexact 0
		.amdhsa_exception_int_div_zero 0
	.end_amdhsa_kernel
	.section	.text._ZN7rocprim17ROCPRIM_400000_NS6detail17trampoline_kernelINS0_14default_configENS1_25partition_config_selectorILNS1_17partition_subalgoE8ElNS0_10empty_typeEbEEZZNS1_14partition_implILS5_8ELb0ES3_jPlPS6_PKS6_NS0_5tupleIJS9_S6_EEENSD_IJSA_SA_EEENS0_18inequality_wrapperIZN2at6native12_GLOBAL__N_124unique_dim_cuda_templateImEESt5tupleIJNSH_6TensorESM_SM_EERKSM_lbbbEUlllE0_EEPmJS6_EEE10hipError_tPvRmT3_T4_T5_T6_T7_T9_mT8_P12ihipStream_tbDpT10_ENKUlT_T0_E_clISt17integral_constantIbLb1EES1B_IbLb0EEEEDaS17_S18_EUlS17_E_NS1_11comp_targetILNS1_3genE0ELNS1_11target_archE4294967295ELNS1_3gpuE0ELNS1_3repE0EEENS1_30default_config_static_selectorELNS0_4arch9wavefront6targetE1EEEvT1_,"axG",@progbits,_ZN7rocprim17ROCPRIM_400000_NS6detail17trampoline_kernelINS0_14default_configENS1_25partition_config_selectorILNS1_17partition_subalgoE8ElNS0_10empty_typeEbEEZZNS1_14partition_implILS5_8ELb0ES3_jPlPS6_PKS6_NS0_5tupleIJS9_S6_EEENSD_IJSA_SA_EEENS0_18inequality_wrapperIZN2at6native12_GLOBAL__N_124unique_dim_cuda_templateImEESt5tupleIJNSH_6TensorESM_SM_EERKSM_lbbbEUlllE0_EEPmJS6_EEE10hipError_tPvRmT3_T4_T5_T6_T7_T9_mT8_P12ihipStream_tbDpT10_ENKUlT_T0_E_clISt17integral_constantIbLb1EES1B_IbLb0EEEEDaS17_S18_EUlS17_E_NS1_11comp_targetILNS1_3genE0ELNS1_11target_archE4294967295ELNS1_3gpuE0ELNS1_3repE0EEENS1_30default_config_static_selectorELNS0_4arch9wavefront6targetE1EEEvT1_,comdat
.Lfunc_end1677:
	.size	_ZN7rocprim17ROCPRIM_400000_NS6detail17trampoline_kernelINS0_14default_configENS1_25partition_config_selectorILNS1_17partition_subalgoE8ElNS0_10empty_typeEbEEZZNS1_14partition_implILS5_8ELb0ES3_jPlPS6_PKS6_NS0_5tupleIJS9_S6_EEENSD_IJSA_SA_EEENS0_18inequality_wrapperIZN2at6native12_GLOBAL__N_124unique_dim_cuda_templateImEESt5tupleIJNSH_6TensorESM_SM_EERKSM_lbbbEUlllE0_EEPmJS6_EEE10hipError_tPvRmT3_T4_T5_T6_T7_T9_mT8_P12ihipStream_tbDpT10_ENKUlT_T0_E_clISt17integral_constantIbLb1EES1B_IbLb0EEEEDaS17_S18_EUlS17_E_NS1_11comp_targetILNS1_3genE0ELNS1_11target_archE4294967295ELNS1_3gpuE0ELNS1_3repE0EEENS1_30default_config_static_selectorELNS0_4arch9wavefront6targetE1EEEvT1_, .Lfunc_end1677-_ZN7rocprim17ROCPRIM_400000_NS6detail17trampoline_kernelINS0_14default_configENS1_25partition_config_selectorILNS1_17partition_subalgoE8ElNS0_10empty_typeEbEEZZNS1_14partition_implILS5_8ELb0ES3_jPlPS6_PKS6_NS0_5tupleIJS9_S6_EEENSD_IJSA_SA_EEENS0_18inequality_wrapperIZN2at6native12_GLOBAL__N_124unique_dim_cuda_templateImEESt5tupleIJNSH_6TensorESM_SM_EERKSM_lbbbEUlllE0_EEPmJS6_EEE10hipError_tPvRmT3_T4_T5_T6_T7_T9_mT8_P12ihipStream_tbDpT10_ENKUlT_T0_E_clISt17integral_constantIbLb1EES1B_IbLb0EEEEDaS17_S18_EUlS17_E_NS1_11comp_targetILNS1_3genE0ELNS1_11target_archE4294967295ELNS1_3gpuE0ELNS1_3repE0EEENS1_30default_config_static_selectorELNS0_4arch9wavefront6targetE1EEEvT1_
                                        ; -- End function
	.section	.AMDGPU.csdata,"",@progbits
; Kernel info:
; codeLenInByte = 0
; NumSgprs: 4
; NumVgprs: 0
; NumAgprs: 0
; TotalNumVgprs: 0
; ScratchSize: 0
; MemoryBound: 0
; FloatMode: 240
; IeeeMode: 1
; LDSByteSize: 0 bytes/workgroup (compile time only)
; SGPRBlocks: 0
; VGPRBlocks: 0
; NumSGPRsForWavesPerEU: 4
; NumVGPRsForWavesPerEU: 1
; AccumOffset: 4
; Occupancy: 8
; WaveLimiterHint : 0
; COMPUTE_PGM_RSRC2:SCRATCH_EN: 0
; COMPUTE_PGM_RSRC2:USER_SGPR: 6
; COMPUTE_PGM_RSRC2:TRAP_HANDLER: 0
; COMPUTE_PGM_RSRC2:TGID_X_EN: 1
; COMPUTE_PGM_RSRC2:TGID_Y_EN: 0
; COMPUTE_PGM_RSRC2:TGID_Z_EN: 0
; COMPUTE_PGM_RSRC2:TIDIG_COMP_CNT: 0
; COMPUTE_PGM_RSRC3_GFX90A:ACCUM_OFFSET: 0
; COMPUTE_PGM_RSRC3_GFX90A:TG_SPLIT: 0
	.section	.text._ZN7rocprim17ROCPRIM_400000_NS6detail17trampoline_kernelINS0_14default_configENS1_25partition_config_selectorILNS1_17partition_subalgoE8ElNS0_10empty_typeEbEEZZNS1_14partition_implILS5_8ELb0ES3_jPlPS6_PKS6_NS0_5tupleIJS9_S6_EEENSD_IJSA_SA_EEENS0_18inequality_wrapperIZN2at6native12_GLOBAL__N_124unique_dim_cuda_templateImEESt5tupleIJNSH_6TensorESM_SM_EERKSM_lbbbEUlllE0_EEPmJS6_EEE10hipError_tPvRmT3_T4_T5_T6_T7_T9_mT8_P12ihipStream_tbDpT10_ENKUlT_T0_E_clISt17integral_constantIbLb1EES1B_IbLb0EEEEDaS17_S18_EUlS17_E_NS1_11comp_targetILNS1_3genE5ELNS1_11target_archE942ELNS1_3gpuE9ELNS1_3repE0EEENS1_30default_config_static_selectorELNS0_4arch9wavefront6targetE1EEEvT1_,"axG",@progbits,_ZN7rocprim17ROCPRIM_400000_NS6detail17trampoline_kernelINS0_14default_configENS1_25partition_config_selectorILNS1_17partition_subalgoE8ElNS0_10empty_typeEbEEZZNS1_14partition_implILS5_8ELb0ES3_jPlPS6_PKS6_NS0_5tupleIJS9_S6_EEENSD_IJSA_SA_EEENS0_18inequality_wrapperIZN2at6native12_GLOBAL__N_124unique_dim_cuda_templateImEESt5tupleIJNSH_6TensorESM_SM_EERKSM_lbbbEUlllE0_EEPmJS6_EEE10hipError_tPvRmT3_T4_T5_T6_T7_T9_mT8_P12ihipStream_tbDpT10_ENKUlT_T0_E_clISt17integral_constantIbLb1EES1B_IbLb0EEEEDaS17_S18_EUlS17_E_NS1_11comp_targetILNS1_3genE5ELNS1_11target_archE942ELNS1_3gpuE9ELNS1_3repE0EEENS1_30default_config_static_selectorELNS0_4arch9wavefront6targetE1EEEvT1_,comdat
	.globl	_ZN7rocprim17ROCPRIM_400000_NS6detail17trampoline_kernelINS0_14default_configENS1_25partition_config_selectorILNS1_17partition_subalgoE8ElNS0_10empty_typeEbEEZZNS1_14partition_implILS5_8ELb0ES3_jPlPS6_PKS6_NS0_5tupleIJS9_S6_EEENSD_IJSA_SA_EEENS0_18inequality_wrapperIZN2at6native12_GLOBAL__N_124unique_dim_cuda_templateImEESt5tupleIJNSH_6TensorESM_SM_EERKSM_lbbbEUlllE0_EEPmJS6_EEE10hipError_tPvRmT3_T4_T5_T6_T7_T9_mT8_P12ihipStream_tbDpT10_ENKUlT_T0_E_clISt17integral_constantIbLb1EES1B_IbLb0EEEEDaS17_S18_EUlS17_E_NS1_11comp_targetILNS1_3genE5ELNS1_11target_archE942ELNS1_3gpuE9ELNS1_3repE0EEENS1_30default_config_static_selectorELNS0_4arch9wavefront6targetE1EEEvT1_ ; -- Begin function _ZN7rocprim17ROCPRIM_400000_NS6detail17trampoline_kernelINS0_14default_configENS1_25partition_config_selectorILNS1_17partition_subalgoE8ElNS0_10empty_typeEbEEZZNS1_14partition_implILS5_8ELb0ES3_jPlPS6_PKS6_NS0_5tupleIJS9_S6_EEENSD_IJSA_SA_EEENS0_18inequality_wrapperIZN2at6native12_GLOBAL__N_124unique_dim_cuda_templateImEESt5tupleIJNSH_6TensorESM_SM_EERKSM_lbbbEUlllE0_EEPmJS6_EEE10hipError_tPvRmT3_T4_T5_T6_T7_T9_mT8_P12ihipStream_tbDpT10_ENKUlT_T0_E_clISt17integral_constantIbLb1EES1B_IbLb0EEEEDaS17_S18_EUlS17_E_NS1_11comp_targetILNS1_3genE5ELNS1_11target_archE942ELNS1_3gpuE9ELNS1_3repE0EEENS1_30default_config_static_selectorELNS0_4arch9wavefront6targetE1EEEvT1_
	.p2align	8
	.type	_ZN7rocprim17ROCPRIM_400000_NS6detail17trampoline_kernelINS0_14default_configENS1_25partition_config_selectorILNS1_17partition_subalgoE8ElNS0_10empty_typeEbEEZZNS1_14partition_implILS5_8ELb0ES3_jPlPS6_PKS6_NS0_5tupleIJS9_S6_EEENSD_IJSA_SA_EEENS0_18inequality_wrapperIZN2at6native12_GLOBAL__N_124unique_dim_cuda_templateImEESt5tupleIJNSH_6TensorESM_SM_EERKSM_lbbbEUlllE0_EEPmJS6_EEE10hipError_tPvRmT3_T4_T5_T6_T7_T9_mT8_P12ihipStream_tbDpT10_ENKUlT_T0_E_clISt17integral_constantIbLb1EES1B_IbLb0EEEEDaS17_S18_EUlS17_E_NS1_11comp_targetILNS1_3genE5ELNS1_11target_archE942ELNS1_3gpuE9ELNS1_3repE0EEENS1_30default_config_static_selectorELNS0_4arch9wavefront6targetE1EEEvT1_,@function
_ZN7rocprim17ROCPRIM_400000_NS6detail17trampoline_kernelINS0_14default_configENS1_25partition_config_selectorILNS1_17partition_subalgoE8ElNS0_10empty_typeEbEEZZNS1_14partition_implILS5_8ELb0ES3_jPlPS6_PKS6_NS0_5tupleIJS9_S6_EEENSD_IJSA_SA_EEENS0_18inequality_wrapperIZN2at6native12_GLOBAL__N_124unique_dim_cuda_templateImEESt5tupleIJNSH_6TensorESM_SM_EERKSM_lbbbEUlllE0_EEPmJS6_EEE10hipError_tPvRmT3_T4_T5_T6_T7_T9_mT8_P12ihipStream_tbDpT10_ENKUlT_T0_E_clISt17integral_constantIbLb1EES1B_IbLb0EEEEDaS17_S18_EUlS17_E_NS1_11comp_targetILNS1_3genE5ELNS1_11target_archE942ELNS1_3gpuE9ELNS1_3repE0EEENS1_30default_config_static_selectorELNS0_4arch9wavefront6targetE1EEEvT1_: ; @_ZN7rocprim17ROCPRIM_400000_NS6detail17trampoline_kernelINS0_14default_configENS1_25partition_config_selectorILNS1_17partition_subalgoE8ElNS0_10empty_typeEbEEZZNS1_14partition_implILS5_8ELb0ES3_jPlPS6_PKS6_NS0_5tupleIJS9_S6_EEENSD_IJSA_SA_EEENS0_18inequality_wrapperIZN2at6native12_GLOBAL__N_124unique_dim_cuda_templateImEESt5tupleIJNSH_6TensorESM_SM_EERKSM_lbbbEUlllE0_EEPmJS6_EEE10hipError_tPvRmT3_T4_T5_T6_T7_T9_mT8_P12ihipStream_tbDpT10_ENKUlT_T0_E_clISt17integral_constantIbLb1EES1B_IbLb0EEEEDaS17_S18_EUlS17_E_NS1_11comp_targetILNS1_3genE5ELNS1_11target_archE942ELNS1_3gpuE9ELNS1_3repE0EEENS1_30default_config_static_selectorELNS0_4arch9wavefront6targetE1EEEvT1_
; %bb.0:
	.section	.rodata,"a",@progbits
	.p2align	6, 0x0
	.amdhsa_kernel _ZN7rocprim17ROCPRIM_400000_NS6detail17trampoline_kernelINS0_14default_configENS1_25partition_config_selectorILNS1_17partition_subalgoE8ElNS0_10empty_typeEbEEZZNS1_14partition_implILS5_8ELb0ES3_jPlPS6_PKS6_NS0_5tupleIJS9_S6_EEENSD_IJSA_SA_EEENS0_18inequality_wrapperIZN2at6native12_GLOBAL__N_124unique_dim_cuda_templateImEESt5tupleIJNSH_6TensorESM_SM_EERKSM_lbbbEUlllE0_EEPmJS6_EEE10hipError_tPvRmT3_T4_T5_T6_T7_T9_mT8_P12ihipStream_tbDpT10_ENKUlT_T0_E_clISt17integral_constantIbLb1EES1B_IbLb0EEEEDaS17_S18_EUlS17_E_NS1_11comp_targetILNS1_3genE5ELNS1_11target_archE942ELNS1_3gpuE9ELNS1_3repE0EEENS1_30default_config_static_selectorELNS0_4arch9wavefront6targetE1EEEvT1_
		.amdhsa_group_segment_fixed_size 0
		.amdhsa_private_segment_fixed_size 0
		.amdhsa_kernarg_size 120
		.amdhsa_user_sgpr_count 6
		.amdhsa_user_sgpr_private_segment_buffer 1
		.amdhsa_user_sgpr_dispatch_ptr 0
		.amdhsa_user_sgpr_queue_ptr 0
		.amdhsa_user_sgpr_kernarg_segment_ptr 1
		.amdhsa_user_sgpr_dispatch_id 0
		.amdhsa_user_sgpr_flat_scratch_init 0
		.amdhsa_user_sgpr_kernarg_preload_length 0
		.amdhsa_user_sgpr_kernarg_preload_offset 0
		.amdhsa_user_sgpr_private_segment_size 0
		.amdhsa_uses_dynamic_stack 0
		.amdhsa_system_sgpr_private_segment_wavefront_offset 0
		.amdhsa_system_sgpr_workgroup_id_x 1
		.amdhsa_system_sgpr_workgroup_id_y 0
		.amdhsa_system_sgpr_workgroup_id_z 0
		.amdhsa_system_sgpr_workgroup_info 0
		.amdhsa_system_vgpr_workitem_id 0
		.amdhsa_next_free_vgpr 1
		.amdhsa_next_free_sgpr 0
		.amdhsa_accum_offset 4
		.amdhsa_reserve_vcc 0
		.amdhsa_reserve_flat_scratch 0
		.amdhsa_float_round_mode_32 0
		.amdhsa_float_round_mode_16_64 0
		.amdhsa_float_denorm_mode_32 3
		.amdhsa_float_denorm_mode_16_64 3
		.amdhsa_dx10_clamp 1
		.amdhsa_ieee_mode 1
		.amdhsa_fp16_overflow 0
		.amdhsa_tg_split 0
		.amdhsa_exception_fp_ieee_invalid_op 0
		.amdhsa_exception_fp_denorm_src 0
		.amdhsa_exception_fp_ieee_div_zero 0
		.amdhsa_exception_fp_ieee_overflow 0
		.amdhsa_exception_fp_ieee_underflow 0
		.amdhsa_exception_fp_ieee_inexact 0
		.amdhsa_exception_int_div_zero 0
	.end_amdhsa_kernel
	.section	.text._ZN7rocprim17ROCPRIM_400000_NS6detail17trampoline_kernelINS0_14default_configENS1_25partition_config_selectorILNS1_17partition_subalgoE8ElNS0_10empty_typeEbEEZZNS1_14partition_implILS5_8ELb0ES3_jPlPS6_PKS6_NS0_5tupleIJS9_S6_EEENSD_IJSA_SA_EEENS0_18inequality_wrapperIZN2at6native12_GLOBAL__N_124unique_dim_cuda_templateImEESt5tupleIJNSH_6TensorESM_SM_EERKSM_lbbbEUlllE0_EEPmJS6_EEE10hipError_tPvRmT3_T4_T5_T6_T7_T9_mT8_P12ihipStream_tbDpT10_ENKUlT_T0_E_clISt17integral_constantIbLb1EES1B_IbLb0EEEEDaS17_S18_EUlS17_E_NS1_11comp_targetILNS1_3genE5ELNS1_11target_archE942ELNS1_3gpuE9ELNS1_3repE0EEENS1_30default_config_static_selectorELNS0_4arch9wavefront6targetE1EEEvT1_,"axG",@progbits,_ZN7rocprim17ROCPRIM_400000_NS6detail17trampoline_kernelINS0_14default_configENS1_25partition_config_selectorILNS1_17partition_subalgoE8ElNS0_10empty_typeEbEEZZNS1_14partition_implILS5_8ELb0ES3_jPlPS6_PKS6_NS0_5tupleIJS9_S6_EEENSD_IJSA_SA_EEENS0_18inequality_wrapperIZN2at6native12_GLOBAL__N_124unique_dim_cuda_templateImEESt5tupleIJNSH_6TensorESM_SM_EERKSM_lbbbEUlllE0_EEPmJS6_EEE10hipError_tPvRmT3_T4_T5_T6_T7_T9_mT8_P12ihipStream_tbDpT10_ENKUlT_T0_E_clISt17integral_constantIbLb1EES1B_IbLb0EEEEDaS17_S18_EUlS17_E_NS1_11comp_targetILNS1_3genE5ELNS1_11target_archE942ELNS1_3gpuE9ELNS1_3repE0EEENS1_30default_config_static_selectorELNS0_4arch9wavefront6targetE1EEEvT1_,comdat
.Lfunc_end1678:
	.size	_ZN7rocprim17ROCPRIM_400000_NS6detail17trampoline_kernelINS0_14default_configENS1_25partition_config_selectorILNS1_17partition_subalgoE8ElNS0_10empty_typeEbEEZZNS1_14partition_implILS5_8ELb0ES3_jPlPS6_PKS6_NS0_5tupleIJS9_S6_EEENSD_IJSA_SA_EEENS0_18inequality_wrapperIZN2at6native12_GLOBAL__N_124unique_dim_cuda_templateImEESt5tupleIJNSH_6TensorESM_SM_EERKSM_lbbbEUlllE0_EEPmJS6_EEE10hipError_tPvRmT3_T4_T5_T6_T7_T9_mT8_P12ihipStream_tbDpT10_ENKUlT_T0_E_clISt17integral_constantIbLb1EES1B_IbLb0EEEEDaS17_S18_EUlS17_E_NS1_11comp_targetILNS1_3genE5ELNS1_11target_archE942ELNS1_3gpuE9ELNS1_3repE0EEENS1_30default_config_static_selectorELNS0_4arch9wavefront6targetE1EEEvT1_, .Lfunc_end1678-_ZN7rocprim17ROCPRIM_400000_NS6detail17trampoline_kernelINS0_14default_configENS1_25partition_config_selectorILNS1_17partition_subalgoE8ElNS0_10empty_typeEbEEZZNS1_14partition_implILS5_8ELb0ES3_jPlPS6_PKS6_NS0_5tupleIJS9_S6_EEENSD_IJSA_SA_EEENS0_18inequality_wrapperIZN2at6native12_GLOBAL__N_124unique_dim_cuda_templateImEESt5tupleIJNSH_6TensorESM_SM_EERKSM_lbbbEUlllE0_EEPmJS6_EEE10hipError_tPvRmT3_T4_T5_T6_T7_T9_mT8_P12ihipStream_tbDpT10_ENKUlT_T0_E_clISt17integral_constantIbLb1EES1B_IbLb0EEEEDaS17_S18_EUlS17_E_NS1_11comp_targetILNS1_3genE5ELNS1_11target_archE942ELNS1_3gpuE9ELNS1_3repE0EEENS1_30default_config_static_selectorELNS0_4arch9wavefront6targetE1EEEvT1_
                                        ; -- End function
	.section	.AMDGPU.csdata,"",@progbits
; Kernel info:
; codeLenInByte = 0
; NumSgprs: 4
; NumVgprs: 0
; NumAgprs: 0
; TotalNumVgprs: 0
; ScratchSize: 0
; MemoryBound: 0
; FloatMode: 240
; IeeeMode: 1
; LDSByteSize: 0 bytes/workgroup (compile time only)
; SGPRBlocks: 0
; VGPRBlocks: 0
; NumSGPRsForWavesPerEU: 4
; NumVGPRsForWavesPerEU: 1
; AccumOffset: 4
; Occupancy: 8
; WaveLimiterHint : 0
; COMPUTE_PGM_RSRC2:SCRATCH_EN: 0
; COMPUTE_PGM_RSRC2:USER_SGPR: 6
; COMPUTE_PGM_RSRC2:TRAP_HANDLER: 0
; COMPUTE_PGM_RSRC2:TGID_X_EN: 1
; COMPUTE_PGM_RSRC2:TGID_Y_EN: 0
; COMPUTE_PGM_RSRC2:TGID_Z_EN: 0
; COMPUTE_PGM_RSRC2:TIDIG_COMP_CNT: 0
; COMPUTE_PGM_RSRC3_GFX90A:ACCUM_OFFSET: 0
; COMPUTE_PGM_RSRC3_GFX90A:TG_SPLIT: 0
	.section	.text._ZN7rocprim17ROCPRIM_400000_NS6detail17trampoline_kernelINS0_14default_configENS1_25partition_config_selectorILNS1_17partition_subalgoE8ElNS0_10empty_typeEbEEZZNS1_14partition_implILS5_8ELb0ES3_jPlPS6_PKS6_NS0_5tupleIJS9_S6_EEENSD_IJSA_SA_EEENS0_18inequality_wrapperIZN2at6native12_GLOBAL__N_124unique_dim_cuda_templateImEESt5tupleIJNSH_6TensorESM_SM_EERKSM_lbbbEUlllE0_EEPmJS6_EEE10hipError_tPvRmT3_T4_T5_T6_T7_T9_mT8_P12ihipStream_tbDpT10_ENKUlT_T0_E_clISt17integral_constantIbLb1EES1B_IbLb0EEEEDaS17_S18_EUlS17_E_NS1_11comp_targetILNS1_3genE4ELNS1_11target_archE910ELNS1_3gpuE8ELNS1_3repE0EEENS1_30default_config_static_selectorELNS0_4arch9wavefront6targetE1EEEvT1_,"axG",@progbits,_ZN7rocprim17ROCPRIM_400000_NS6detail17trampoline_kernelINS0_14default_configENS1_25partition_config_selectorILNS1_17partition_subalgoE8ElNS0_10empty_typeEbEEZZNS1_14partition_implILS5_8ELb0ES3_jPlPS6_PKS6_NS0_5tupleIJS9_S6_EEENSD_IJSA_SA_EEENS0_18inequality_wrapperIZN2at6native12_GLOBAL__N_124unique_dim_cuda_templateImEESt5tupleIJNSH_6TensorESM_SM_EERKSM_lbbbEUlllE0_EEPmJS6_EEE10hipError_tPvRmT3_T4_T5_T6_T7_T9_mT8_P12ihipStream_tbDpT10_ENKUlT_T0_E_clISt17integral_constantIbLb1EES1B_IbLb0EEEEDaS17_S18_EUlS17_E_NS1_11comp_targetILNS1_3genE4ELNS1_11target_archE910ELNS1_3gpuE8ELNS1_3repE0EEENS1_30default_config_static_selectorELNS0_4arch9wavefront6targetE1EEEvT1_,comdat
	.globl	_ZN7rocprim17ROCPRIM_400000_NS6detail17trampoline_kernelINS0_14default_configENS1_25partition_config_selectorILNS1_17partition_subalgoE8ElNS0_10empty_typeEbEEZZNS1_14partition_implILS5_8ELb0ES3_jPlPS6_PKS6_NS0_5tupleIJS9_S6_EEENSD_IJSA_SA_EEENS0_18inequality_wrapperIZN2at6native12_GLOBAL__N_124unique_dim_cuda_templateImEESt5tupleIJNSH_6TensorESM_SM_EERKSM_lbbbEUlllE0_EEPmJS6_EEE10hipError_tPvRmT3_T4_T5_T6_T7_T9_mT8_P12ihipStream_tbDpT10_ENKUlT_T0_E_clISt17integral_constantIbLb1EES1B_IbLb0EEEEDaS17_S18_EUlS17_E_NS1_11comp_targetILNS1_3genE4ELNS1_11target_archE910ELNS1_3gpuE8ELNS1_3repE0EEENS1_30default_config_static_selectorELNS0_4arch9wavefront6targetE1EEEvT1_ ; -- Begin function _ZN7rocprim17ROCPRIM_400000_NS6detail17trampoline_kernelINS0_14default_configENS1_25partition_config_selectorILNS1_17partition_subalgoE8ElNS0_10empty_typeEbEEZZNS1_14partition_implILS5_8ELb0ES3_jPlPS6_PKS6_NS0_5tupleIJS9_S6_EEENSD_IJSA_SA_EEENS0_18inequality_wrapperIZN2at6native12_GLOBAL__N_124unique_dim_cuda_templateImEESt5tupleIJNSH_6TensorESM_SM_EERKSM_lbbbEUlllE0_EEPmJS6_EEE10hipError_tPvRmT3_T4_T5_T6_T7_T9_mT8_P12ihipStream_tbDpT10_ENKUlT_T0_E_clISt17integral_constantIbLb1EES1B_IbLb0EEEEDaS17_S18_EUlS17_E_NS1_11comp_targetILNS1_3genE4ELNS1_11target_archE910ELNS1_3gpuE8ELNS1_3repE0EEENS1_30default_config_static_selectorELNS0_4arch9wavefront6targetE1EEEvT1_
	.p2align	8
	.type	_ZN7rocprim17ROCPRIM_400000_NS6detail17trampoline_kernelINS0_14default_configENS1_25partition_config_selectorILNS1_17partition_subalgoE8ElNS0_10empty_typeEbEEZZNS1_14partition_implILS5_8ELb0ES3_jPlPS6_PKS6_NS0_5tupleIJS9_S6_EEENSD_IJSA_SA_EEENS0_18inequality_wrapperIZN2at6native12_GLOBAL__N_124unique_dim_cuda_templateImEESt5tupleIJNSH_6TensorESM_SM_EERKSM_lbbbEUlllE0_EEPmJS6_EEE10hipError_tPvRmT3_T4_T5_T6_T7_T9_mT8_P12ihipStream_tbDpT10_ENKUlT_T0_E_clISt17integral_constantIbLb1EES1B_IbLb0EEEEDaS17_S18_EUlS17_E_NS1_11comp_targetILNS1_3genE4ELNS1_11target_archE910ELNS1_3gpuE8ELNS1_3repE0EEENS1_30default_config_static_selectorELNS0_4arch9wavefront6targetE1EEEvT1_,@function
_ZN7rocprim17ROCPRIM_400000_NS6detail17trampoline_kernelINS0_14default_configENS1_25partition_config_selectorILNS1_17partition_subalgoE8ElNS0_10empty_typeEbEEZZNS1_14partition_implILS5_8ELb0ES3_jPlPS6_PKS6_NS0_5tupleIJS9_S6_EEENSD_IJSA_SA_EEENS0_18inequality_wrapperIZN2at6native12_GLOBAL__N_124unique_dim_cuda_templateImEESt5tupleIJNSH_6TensorESM_SM_EERKSM_lbbbEUlllE0_EEPmJS6_EEE10hipError_tPvRmT3_T4_T5_T6_T7_T9_mT8_P12ihipStream_tbDpT10_ENKUlT_T0_E_clISt17integral_constantIbLb1EES1B_IbLb0EEEEDaS17_S18_EUlS17_E_NS1_11comp_targetILNS1_3genE4ELNS1_11target_archE910ELNS1_3gpuE8ELNS1_3repE0EEENS1_30default_config_static_selectorELNS0_4arch9wavefront6targetE1EEEvT1_: ; @_ZN7rocprim17ROCPRIM_400000_NS6detail17trampoline_kernelINS0_14default_configENS1_25partition_config_selectorILNS1_17partition_subalgoE8ElNS0_10empty_typeEbEEZZNS1_14partition_implILS5_8ELb0ES3_jPlPS6_PKS6_NS0_5tupleIJS9_S6_EEENSD_IJSA_SA_EEENS0_18inequality_wrapperIZN2at6native12_GLOBAL__N_124unique_dim_cuda_templateImEESt5tupleIJNSH_6TensorESM_SM_EERKSM_lbbbEUlllE0_EEPmJS6_EEE10hipError_tPvRmT3_T4_T5_T6_T7_T9_mT8_P12ihipStream_tbDpT10_ENKUlT_T0_E_clISt17integral_constantIbLb1EES1B_IbLb0EEEEDaS17_S18_EUlS17_E_NS1_11comp_targetILNS1_3genE4ELNS1_11target_archE910ELNS1_3gpuE8ELNS1_3repE0EEENS1_30default_config_static_selectorELNS0_4arch9wavefront6targetE1EEEvT1_
; %bb.0:
	s_load_dwordx8 s[20:27], s[4:5], 0x40
	s_load_dwordx4 s[0:3], s[4:5], 0x8
	s_load_dwordx4 s[28:31], s[4:5], 0x60
	s_load_dword s7, s[4:5], 0x70
	s_waitcnt lgkmcnt(0)
	v_mov_b32_e32 v2, s24
	s_lshl_b64 s[8:9], s[2:3], 3
	s_add_u32 s12, s0, s8
	s_mul_i32 s8, s7, 0x500
	s_addc_u32 s13, s1, s9
	s_add_i32 s1, s8, s2
	s_add_i32 s10, s7, -1
	s_sub_i32 s7, s24, s1
	s_add_u32 s8, s2, s8
	s_addc_u32 s9, s3, 0
	v_mov_b32_e32 v3, s25
	s_cmp_eq_u32 s6, s10
	s_load_dwordx2 s[22:23], s[22:23], 0x0
	v_cmp_ge_u64_e32 vcc, s[8:9], v[2:3]
	s_cselect_b64 s[24:25], -1, 0
	s_mul_i32 s0, s6, 0x500
	s_mov_b32 s1, 0
	s_and_b64 s[10:11], s[24:25], vcc
	s_xor_b64 s[34:35], s[10:11], -1
	s_lshl_b64 s[0:1], s[0:1], 3
	s_add_u32 s0, s12, s0
	s_mov_b64 s[8:9], -1
	s_addc_u32 s1, s13, s1
	s_and_b64 vcc, exec, s[34:35]
	s_cbranch_vccz .LBB1679_2
; %bb.1:
	v_lshlrev_b32_e32 v1, 3, v0
	v_mov_b32_e32 v2, s1
	v_add_co_u32_e32 v12, vcc, s0, v1
	v_addc_co_u32_e32 v13, vcc, 0, v2, vcc
	v_add_co_u32_e32 v2, vcc, 0x1000, v12
	v_addc_co_u32_e32 v3, vcc, 0, v13, vcc
	global_load_dwordx2 v[4:5], v1, s[0:1]
	global_load_dwordx2 v[6:7], v1, s[0:1] offset:2048
	global_load_dwordx2 v[8:9], v[2:3], off
	global_load_dwordx2 v[10:11], v[2:3], off offset:2048
	v_add_co_u32_e32 v2, vcc, 0x2000, v12
	v_addc_co_u32_e32 v3, vcc, 0, v13, vcc
	global_load_dwordx2 v[2:3], v[2:3], off
	s_mov_b64 s[8:9], 0
	s_waitcnt vmcnt(3)
	ds_write2st64_b64 v1, v[4:5], v[6:7] offset1:4
	s_waitcnt vmcnt(1)
	ds_write2st64_b64 v1, v[8:9], v[10:11] offset0:8 offset1:12
	s_waitcnt vmcnt(0)
	ds_write_b64 v1, v[2:3] offset:8192
	s_waitcnt lgkmcnt(0)
	s_barrier
.LBB1679_2:
	s_andn2_b64 vcc, exec, s[8:9]
	s_addk_i32 s7, 0x500
	s_cbranch_vccnz .LBB1679_14
; %bb.3:
	v_cmp_gt_u32_e32 vcc, s7, v0
                                        ; implicit-def: $vgpr2_vgpr3_vgpr4_vgpr5_vgpr6_vgpr7_vgpr8_vgpr9_vgpr10_vgpr11_vgpr12_vgpr13_vgpr14_vgpr15_vgpr16_vgpr17
	s_and_saveexec_b64 s[8:9], vcc
	s_cbranch_execz .LBB1679_5
; %bb.4:
	v_lshlrev_b32_e32 v1, 3, v0
	global_load_dwordx2 v[2:3], v1, s[0:1]
.LBB1679_5:
	s_or_b64 exec, exec, s[8:9]
	v_or_b32_e32 v1, 0x100, v0
	v_cmp_gt_u32_e32 vcc, s7, v1
	s_and_saveexec_b64 s[8:9], vcc
	s_cbranch_execz .LBB1679_7
; %bb.6:
	v_lshlrev_b32_e32 v1, 3, v0
	global_load_dwordx2 v[4:5], v1, s[0:1] offset:2048
.LBB1679_7:
	s_or_b64 exec, exec, s[8:9]
	v_or_b32_e32 v1, 0x200, v0
	v_cmp_gt_u32_e32 vcc, s7, v1
	s_and_saveexec_b64 s[8:9], vcc
	s_cbranch_execz .LBB1679_9
; %bb.8:
	v_lshlrev_b32_e32 v1, 3, v1
	global_load_dwordx2 v[6:7], v1, s[0:1]
.LBB1679_9:
	s_or_b64 exec, exec, s[8:9]
	v_or_b32_e32 v1, 0x300, v0
	v_cmp_gt_u32_e32 vcc, s7, v1
	s_and_saveexec_b64 s[8:9], vcc
	s_cbranch_execz .LBB1679_11
; %bb.10:
	v_lshlrev_b32_e32 v1, 3, v1
	global_load_dwordx2 v[8:9], v1, s[0:1]
.LBB1679_11:
	;; [unrolled: 9-line block ×3, first 2 shown]
	s_or_b64 exec, exec, s[8:9]
	v_lshlrev_b32_e32 v1, 3, v0
	s_waitcnt vmcnt(0)
	ds_write2st64_b64 v1, v[2:3], v[4:5] offset1:4
	ds_write2st64_b64 v1, v[6:7], v[8:9] offset0:8 offset1:12
	ds_write_b64 v1, v[10:11] offset:8192
	s_waitcnt lgkmcnt(0)
	s_barrier
.LBB1679_14:
	v_mul_u32_u24_e32 v1, 5, v0
	v_lshlrev_b32_e32 v20, 3, v1
	s_waitcnt lgkmcnt(0)
	ds_read2_b64 v[6:9], v20 offset1:1
	ds_read2_b64 v[2:5], v20 offset0:2 offset1:3
	ds_read_b64 v[10:11], v20 offset:32
	s_cmp_lg_u32 s6, 0
	s_cselect_b64 s[16:17], -1, 0
	s_cmp_lg_u64 s[2:3], 0
	s_cselect_b64 s[2:3], -1, 0
	s_or_b64 s[2:3], s[16:17], s[2:3]
	v_mad_u32_u24 v24, v0, 5, 1
	v_mad_u32_u24 v22, v0, 5, 2
	;; [unrolled: 1-line block ×4, first 2 shown]
	s_mov_b64 s[12:13], 0
	s_and_b64 vcc, exec, s[2:3]
	v_cmp_gt_i64_e64 s[2:3], s[26:27], 0
	s_waitcnt lgkmcnt(0)
	s_barrier
	s_cbranch_vccz .LBB1679_23
; %bb.15:
	s_add_u32 s0, s0, -8
	s_addc_u32 s1, s1, -1
	s_load_dwordx2 s[12:13], s[0:1], 0x0
	v_cndmask_b32_e64 v12, 0, 1, s[2:3]
	v_lshlrev_b32_e32 v21, 3, v0
	s_mov_b64 s[14:15], 0
	s_and_b64 vcc, exec, s[34:35]
	v_cmp_ne_u32_e64 s[0:1], 1, v12
	ds_write_b64 v21, v[10:11]
	s_cbranch_vccz .LBB1679_24
; %bb.16:
	v_mul_lo_u32 v14, v5, s26
	v_mul_lo_u32 v15, v4, s27
	v_mad_u64_u32 v[12:13], s[2:3], v4, s26, 0
	v_add3_u32 v13, v13, v15, v14
	s_and_b64 vcc, exec, s[0:1]
	v_lshlrev_b64 v[12:13], 3, v[12:13]
	s_cbranch_vccnz .LBB1679_27
; %bb.17:
	v_mul_lo_u32 v16, v11, s26
	v_mul_lo_u32 v17, v10, s27
	v_mad_u64_u32 v[14:15], s[2:3], v10, s26, 0
	v_add3_u32 v15, v15, v17, v16
	v_mov_b32_e32 v17, s29
	v_add_co_u32_e32 v16, vcc, s28, v12
	v_addc_co_u32_e64 v17, s[2:3], v17, v13, vcc
	v_lshlrev_b64 v[14:15], 3, v[14:15]
	v_mov_b32_e32 v19, s29
	v_add_co_u32_e64 v18, s[2:3], s28, v14
	v_addc_co_u32_e64 v19, s[8:9], v19, v15, s[2:3]
	global_load_dwordx2 v[26:27], v[16:17], off
	global_load_dwordx2 v[28:29], v[18:19], off
	s_mov_b64 s[14:15], -1
	s_waitcnt vmcnt(0)
	v_cmp_eq_u64_e64 s[8:9], v[26:27], v[28:29]
	s_and_saveexec_b64 s[18:19], s[8:9]
	s_cbranch_execz .LBB1679_26
; %bb.18:
	v_mov_b32_e32 v14, s29
	v_addc_co_u32_e64 v15, s[2:3], v15, v14, s[2:3]
	v_add_co_u32_e64 v14, s[2:3], 8, v18
	v_mov_b32_e32 v17, s29
	v_addc_co_u32_e64 v15, s[2:3], 0, v15, s[2:3]
	v_addc_co_u32_e32 v17, vcc, v13, v17, vcc
	v_add_co_u32_e32 v16, vcc, 8, v16
	s_add_u32 s2, s26, -1
	v_addc_co_u32_e32 v17, vcc, 0, v17, vcc
	s_addc_u32 s3, s27, -1
	s_mov_b64 s[8:9], 0
	s_mov_b64 s[36:37], 0
                                        ; implicit-def: $sgpr14_sgpr15
	s_branch .LBB1679_21
.LBB1679_19:                            ;   in Loop: Header=BB1679_21 Depth=1
	global_load_dwordx2 v[18:19], v[16:17], off
	global_load_dwordx2 v[26:27], v[14:15], off
	v_add_co_u32_e32 v14, vcc, 8, v14
	v_addc_co_u32_e32 v15, vcc, 0, v15, vcc
	v_add_co_u32_e32 v16, vcc, 8, v16
	v_addc_co_u32_e32 v17, vcc, 0, v17, vcc
	s_add_u32 s36, s36, 1
	s_addc_u32 s37, s37, 0
	s_andn2_b64 s[14:15], s[14:15], exec
	s_waitcnt vmcnt(0)
	v_cmp_ne_u64_e32 vcc, v[18:19], v[26:27]
	s_and_b64 s[38:39], vcc, exec
	s_or_b64 s[14:15], s[14:15], s[38:39]
.LBB1679_20:                            ;   in Loop: Header=BB1679_21 Depth=1
	s_and_b64 s[38:39], exec, s[14:15]
	s_or_b64 s[8:9], s[38:39], s[8:9]
	v_pk_mov_b32 v[18:19], s[36:37], s[36:37] op_sel:[0,1]
	s_andn2_b64 exec, exec, s[8:9]
	s_cbranch_execz .LBB1679_25
.LBB1679_21:                            ; =>This Inner Loop Header: Depth=1
	s_or_b64 s[14:15], s[14:15], exec
	s_cmp_eq_u64 s[2:3], s[36:37]
	s_cbranch_scc0 .LBB1679_19
; %bb.22:                               ;   in Loop: Header=BB1679_21 Depth=1
                                        ; implicit-def: $vgpr14_vgpr15
                                        ; implicit-def: $vgpr16_vgpr17
	s_mov_b64 s[36:37], s[26:27]
	s_branch .LBB1679_20
.LBB1679_23:
                                        ; implicit-def: $sgpr18_sgpr19
                                        ; implicit-def: $vgpr13
                                        ; implicit-def: $vgpr16
	s_branch .LBB1679_125
.LBB1679_24:
                                        ; implicit-def: $sgpr18_sgpr19
                                        ; implicit-def: $vgpr13
                                        ; implicit-def: $vgpr16
	s_cbranch_execnz .LBB1679_66
	s_branch .LBB1679_124
.LBB1679_25:
	s_or_b64 exec, exec, s[8:9]
	v_cmp_gt_i64_e32 vcc, s[26:27], v[18:19]
	s_orn2_b64 s[14:15], vcc, exec
.LBB1679_26:
	s_or_b64 exec, exec, s[18:19]
.LBB1679_27:
	v_mul_lo_u32 v16, v3, s26
	v_mul_lo_u32 v17, v2, s27
	v_mad_u64_u32 v[14:15], s[2:3], v2, s26, 0
	v_add3_u32 v15, v15, v17, v16
	s_mov_b64 s[18:19], 0
	s_and_b64 vcc, exec, s[0:1]
	v_lshlrev_b64 v[16:17], 3, v[14:15]
	s_mov_b64 s[36:37], 0
	s_cbranch_vccnz .LBB1679_36
; %bb.28:
	v_mov_b32_e32 v15, s29
	v_add_co_u32_e32 v14, vcc, s28, v16
	v_addc_co_u32_e64 v15, s[2:3], v15, v17, vcc
	v_mov_b32_e32 v19, s29
	v_add_co_u32_e64 v18, s[2:3], s28, v12
	v_addc_co_u32_e64 v19, s[8:9], v19, v13, s[2:3]
	global_load_dwordx2 v[26:27], v[14:15], off
	global_load_dwordx2 v[28:29], v[18:19], off
	s_mov_b64 s[36:37], -1
	s_waitcnt vmcnt(0)
	v_cmp_eq_u64_e64 s[8:9], v[26:27], v[28:29]
	s_and_saveexec_b64 s[38:39], s[8:9]
	s_cbranch_execz .LBB1679_35
; %bb.29:
	v_mov_b32_e32 v12, s29
	v_addc_co_u32_e64 v13, s[2:3], v13, v12, s[2:3]
	v_add_co_u32_e64 v12, s[2:3], 8, v18
	v_mov_b32_e32 v15, s29
	v_addc_co_u32_e64 v13, s[2:3], 0, v13, s[2:3]
	v_addc_co_u32_e32 v15, vcc, v17, v15, vcc
	v_add_co_u32_e32 v14, vcc, 8, v14
	s_add_u32 s2, s26, -1
	v_addc_co_u32_e32 v15, vcc, 0, v15, vcc
	s_addc_u32 s3, s27, -1
	s_mov_b64 s[8:9], 0
	s_mov_b64 s[40:41], 0
                                        ; implicit-def: $sgpr36_sgpr37
	s_branch .LBB1679_32
.LBB1679_30:                            ;   in Loop: Header=BB1679_32 Depth=1
	global_load_dwordx2 v[18:19], v[14:15], off
	global_load_dwordx2 v[26:27], v[12:13], off
	v_add_co_u32_e32 v12, vcc, 8, v12
	v_addc_co_u32_e32 v13, vcc, 0, v13, vcc
	v_add_co_u32_e32 v14, vcc, 8, v14
	v_addc_co_u32_e32 v15, vcc, 0, v15, vcc
	s_add_u32 s40, s40, 1
	s_addc_u32 s41, s41, 0
	s_andn2_b64 s[36:37], s[36:37], exec
	s_waitcnt vmcnt(0)
	v_cmp_ne_u64_e32 vcc, v[18:19], v[26:27]
	s_and_b64 s[42:43], vcc, exec
	s_or_b64 s[36:37], s[36:37], s[42:43]
.LBB1679_31:                            ;   in Loop: Header=BB1679_32 Depth=1
	s_and_b64 s[42:43], exec, s[36:37]
	s_or_b64 s[8:9], s[42:43], s[8:9]
	v_pk_mov_b32 v[18:19], s[40:41], s[40:41] op_sel:[0,1]
	s_andn2_b64 exec, exec, s[8:9]
	s_cbranch_execz .LBB1679_34
.LBB1679_32:                            ; =>This Inner Loop Header: Depth=1
	s_or_b64 s[36:37], s[36:37], exec
	s_cmp_eq_u64 s[2:3], s[40:41]
	s_cbranch_scc0 .LBB1679_30
; %bb.33:                               ;   in Loop: Header=BB1679_32 Depth=1
                                        ; implicit-def: $vgpr12_vgpr13
                                        ; implicit-def: $vgpr14_vgpr15
	s_mov_b64 s[40:41], s[26:27]
	s_branch .LBB1679_31
.LBB1679_34:
	s_or_b64 exec, exec, s[8:9]
	v_cmp_gt_i64_e32 vcc, s[26:27], v[18:19]
	s_orn2_b64 s[36:37], vcc, exec
.LBB1679_35:
	s_or_b64 exec, exec, s[38:39]
.LBB1679_36:
	v_mul_lo_u32 v14, v9, s26
	v_mul_lo_u32 v15, v8, s27
	v_mad_u64_u32 v[12:13], s[2:3], v8, s26, 0
	v_add3_u32 v13, v13, v15, v14
	s_and_b64 vcc, exec, s[0:1]
	v_lshlrev_b64 v[14:15], 3, v[12:13]
	s_cbranch_vccnz .LBB1679_45
; %bb.37:
	v_mov_b32_e32 v12, s29
	v_add_co_u32_e32 v18, vcc, s28, v14
	v_addc_co_u32_e64 v19, s[2:3], v12, v15, vcc
	v_mov_b32_e32 v13, s29
	v_add_co_u32_e64 v12, s[2:3], s28, v16
	v_addc_co_u32_e64 v13, s[8:9], v13, v17, s[2:3]
	global_load_dwordx2 v[26:27], v[18:19], off
	global_load_dwordx2 v[28:29], v[12:13], off
	s_mov_b64 s[18:19], -1
	s_waitcnt vmcnt(0)
	v_cmp_eq_u64_e64 s[8:9], v[26:27], v[28:29]
	s_and_saveexec_b64 s[38:39], s[8:9]
	s_cbranch_execz .LBB1679_44
; %bb.38:
	v_mov_b32_e32 v13, s29
	v_addc_co_u32_e64 v13, s[2:3], v17, v13, s[2:3]
	v_add_co_u32_e64 v12, s[2:3], 8, v12
	v_mov_b32_e32 v16, s29
	v_addc_co_u32_e64 v13, s[2:3], 0, v13, s[2:3]
	v_addc_co_u32_e32 v17, vcc, v15, v16, vcc
	v_add_co_u32_e32 v16, vcc, 8, v18
	s_add_u32 s2, s26, -1
	v_addc_co_u32_e32 v17, vcc, 0, v17, vcc
	s_addc_u32 s3, s27, -1
	s_mov_b64 s[8:9], 0
	s_mov_b64 s[40:41], 0
                                        ; implicit-def: $sgpr18_sgpr19
	s_branch .LBB1679_41
.LBB1679_39:                            ;   in Loop: Header=BB1679_41 Depth=1
	global_load_dwordx2 v[18:19], v[16:17], off
	global_load_dwordx2 v[26:27], v[12:13], off
	v_add_co_u32_e32 v12, vcc, 8, v12
	v_addc_co_u32_e32 v13, vcc, 0, v13, vcc
	v_add_co_u32_e32 v16, vcc, 8, v16
	v_addc_co_u32_e32 v17, vcc, 0, v17, vcc
	s_add_u32 s40, s40, 1
	s_addc_u32 s41, s41, 0
	s_andn2_b64 s[18:19], s[18:19], exec
	s_waitcnt vmcnt(0)
	v_cmp_ne_u64_e32 vcc, v[18:19], v[26:27]
	s_and_b64 s[42:43], vcc, exec
	s_or_b64 s[18:19], s[18:19], s[42:43]
.LBB1679_40:                            ;   in Loop: Header=BB1679_41 Depth=1
	s_and_b64 s[42:43], exec, s[18:19]
	s_or_b64 s[8:9], s[42:43], s[8:9]
	v_pk_mov_b32 v[18:19], s[40:41], s[40:41] op_sel:[0,1]
	s_andn2_b64 exec, exec, s[8:9]
	s_cbranch_execz .LBB1679_43
.LBB1679_41:                            ; =>This Inner Loop Header: Depth=1
	s_or_b64 s[18:19], s[18:19], exec
	s_cmp_eq_u64 s[2:3], s[40:41]
	s_cbranch_scc0 .LBB1679_39
; %bb.42:                               ;   in Loop: Header=BB1679_41 Depth=1
                                        ; implicit-def: $vgpr12_vgpr13
                                        ; implicit-def: $vgpr16_vgpr17
	s_mov_b64 s[40:41], s[26:27]
	s_branch .LBB1679_40
.LBB1679_43:
	s_or_b64 exec, exec, s[8:9]
	v_cmp_gt_i64_e32 vcc, s[26:27], v[18:19]
	s_orn2_b64 s[18:19], vcc, exec
.LBB1679_44:
	s_or_b64 exec, exec, s[38:39]
.LBB1679_45:
	v_mul_lo_u32 v16, v7, s26
	v_mul_lo_u32 v17, v6, s27
	v_mad_u64_u32 v[12:13], s[2:3], v6, s26, 0
	v_add3_u32 v13, v13, v17, v16
	s_mov_b64 s[40:41], 0
	s_and_b64 vcc, exec, s[0:1]
	v_lshlrev_b64 v[12:13], 3, v[12:13]
	s_cbranch_vccnz .LBB1679_54
; %bb.46:
	v_mov_b32_e32 v17, s29
	v_add_co_u32_e32 v16, vcc, s28, v12
	v_addc_co_u32_e64 v17, s[2:3], v17, v13, vcc
	v_mov_b32_e32 v19, s29
	v_add_co_u32_e64 v18, s[2:3], s28, v14
	v_addc_co_u32_e64 v19, s[8:9], v19, v15, s[2:3]
	global_load_dwordx2 v[26:27], v[16:17], off
	global_load_dwordx2 v[28:29], v[18:19], off
	s_mov_b64 s[40:41], -1
	s_waitcnt vmcnt(0)
	v_cmp_eq_u64_e64 s[8:9], v[26:27], v[28:29]
	s_and_saveexec_b64 s[38:39], s[8:9]
	s_cbranch_execz .LBB1679_53
; %bb.47:
	v_mov_b32_e32 v14, s29
	v_addc_co_u32_e64 v15, s[2:3], v15, v14, s[2:3]
	v_add_co_u32_e64 v14, s[2:3], 8, v18
	v_mov_b32_e32 v17, s29
	v_addc_co_u32_e64 v15, s[2:3], 0, v15, s[2:3]
	v_addc_co_u32_e32 v17, vcc, v13, v17, vcc
	v_add_co_u32_e32 v16, vcc, 8, v16
	s_add_u32 s2, s26, -1
	v_addc_co_u32_e32 v17, vcc, 0, v17, vcc
	s_addc_u32 s3, s27, -1
	s_mov_b64 s[8:9], 0
	s_mov_b64 s[42:43], 0
                                        ; implicit-def: $sgpr40_sgpr41
	s_branch .LBB1679_50
.LBB1679_48:                            ;   in Loop: Header=BB1679_50 Depth=1
	global_load_dwordx2 v[18:19], v[16:17], off
	global_load_dwordx2 v[26:27], v[14:15], off
	v_add_co_u32_e32 v14, vcc, 8, v14
	v_addc_co_u32_e32 v15, vcc, 0, v15, vcc
	v_add_co_u32_e32 v16, vcc, 8, v16
	v_addc_co_u32_e32 v17, vcc, 0, v17, vcc
	s_add_u32 s42, s42, 1
	s_addc_u32 s43, s43, 0
	s_andn2_b64 s[40:41], s[40:41], exec
	s_waitcnt vmcnt(0)
	v_cmp_ne_u64_e32 vcc, v[18:19], v[26:27]
	s_and_b64 s[44:45], vcc, exec
	s_or_b64 s[40:41], s[40:41], s[44:45]
.LBB1679_49:                            ;   in Loop: Header=BB1679_50 Depth=1
	s_and_b64 s[44:45], exec, s[40:41]
	s_or_b64 s[8:9], s[44:45], s[8:9]
	v_pk_mov_b32 v[18:19], s[42:43], s[42:43] op_sel:[0,1]
	s_andn2_b64 exec, exec, s[8:9]
	s_cbranch_execz .LBB1679_52
.LBB1679_50:                            ; =>This Inner Loop Header: Depth=1
	s_or_b64 s[40:41], s[40:41], exec
	s_cmp_eq_u64 s[2:3], s[42:43]
	s_cbranch_scc0 .LBB1679_48
; %bb.51:                               ;   in Loop: Header=BB1679_50 Depth=1
                                        ; implicit-def: $vgpr14_vgpr15
                                        ; implicit-def: $vgpr16_vgpr17
	s_mov_b64 s[42:43], s[26:27]
	s_branch .LBB1679_49
.LBB1679_52:
	s_or_b64 exec, exec, s[8:9]
	v_cmp_gt_i64_e32 vcc, s[26:27], v[18:19]
	s_orn2_b64 s[40:41], vcc, exec
.LBB1679_53:
	s_or_b64 exec, exec, s[38:39]
.LBB1679_54:
	v_cmp_ne_u32_e32 vcc, 0, v0
	s_waitcnt lgkmcnt(0)
	v_pk_mov_b32 v[14:15], s[12:13], s[12:13] op_sel:[0,1]
	s_barrier
	s_and_saveexec_b64 s[2:3], vcc
	s_cbranch_execz .LBB1679_56
; %bb.55:
	v_add_u32_e32 v14, -8, v21
	ds_read_b64 v[14:15], v14
.LBB1679_56:
	s_or_b64 exec, exec, s[2:3]
	v_cndmask_b32_e64 v17, 0, 1, s[36:37]
	v_cndmask_b32_e64 v16, 0, 1, s[18:19]
	;; [unrolled: 1-line block ×3, first 2 shown]
	v_lshlrev_b16_e32 v17, 8, v17
	v_lshlrev_b16_e32 v26, 8, v18
	v_or_b32_sdwa v27, v16, v17 dst_sel:WORD_1 dst_unused:UNUSED_PAD src0_sel:DWORD src1_sel:DWORD
	s_mov_b64 s[36:37], 0
	s_and_b64 vcc, exec, s[0:1]
	s_mov_b64 s[18:19], 0
	s_cbranch_vccnz .LBB1679_65
; %bb.57:
	s_waitcnt lgkmcnt(0)
	v_mul_lo_u32 v16, v15, s26
	v_mul_lo_u32 v17, v14, s27
	v_mad_u64_u32 v[14:15], s[2:3], v14, s26, 0
	v_add3_u32 v15, v15, v17, v16
	v_lshlrev_b64 v[14:15], 3, v[14:15]
	v_mov_b32_e32 v17, s29
	v_add_co_u32_e32 v16, vcc, s28, v14
	v_addc_co_u32_e64 v17, s[2:3], v17, v15, vcc
	v_mov_b32_e32 v14, s29
	v_add_co_u32_e64 v18, s[2:3], s28, v12
	v_addc_co_u32_e64 v19, s[8:9], v14, v13, s[2:3]
	global_load_dwordx2 v[28:29], v[16:17], off
	global_load_dwordx2 v[30:31], v[18:19], off
	s_mov_b64 s[18:19], -1
	s_waitcnt vmcnt(0)
	v_cmp_eq_u64_e64 s[8:9], v[28:29], v[30:31]
	s_and_saveexec_b64 s[38:39], s[8:9]
	s_cbranch_execz .LBB1679_64
; %bb.58:
	v_mov_b32_e32 v12, s29
	v_addc_co_u32_e64 v13, s[2:3], v13, v12, s[2:3]
	v_add_co_u32_e64 v12, s[2:3], 8, v18
	v_mov_b32_e32 v14, s29
	v_addc_co_u32_e64 v13, s[2:3], 0, v13, s[2:3]
	v_addc_co_u32_e32 v15, vcc, v15, v14, vcc
	v_add_co_u32_e32 v14, vcc, 8, v16
	s_add_u32 s2, s26, -1
	v_addc_co_u32_e32 v15, vcc, 0, v15, vcc
	s_addc_u32 s3, s27, -1
	s_mov_b64 s[8:9], 0
	s_mov_b64 s[40:41], 0
                                        ; implicit-def: $sgpr18_sgpr19
	s_branch .LBB1679_61
.LBB1679_59:                            ;   in Loop: Header=BB1679_61 Depth=1
	global_load_dwordx2 v[16:17], v[14:15], off
	global_load_dwordx2 v[18:19], v[12:13], off
	v_add_co_u32_e32 v12, vcc, 8, v12
	v_addc_co_u32_e32 v13, vcc, 0, v13, vcc
	v_add_co_u32_e32 v14, vcc, 8, v14
	v_addc_co_u32_e32 v15, vcc, 0, v15, vcc
	s_add_u32 s40, s40, 1
	s_addc_u32 s41, s41, 0
	s_andn2_b64 s[18:19], s[18:19], exec
	s_waitcnt vmcnt(0)
	v_cmp_ne_u64_e32 vcc, v[16:17], v[18:19]
	s_and_b64 s[42:43], vcc, exec
	s_or_b64 s[18:19], s[18:19], s[42:43]
.LBB1679_60:                            ;   in Loop: Header=BB1679_61 Depth=1
	s_and_b64 s[42:43], exec, s[18:19]
	s_or_b64 s[8:9], s[42:43], s[8:9]
	v_pk_mov_b32 v[16:17], s[40:41], s[40:41] op_sel:[0,1]
	s_andn2_b64 exec, exec, s[8:9]
	s_cbranch_execz .LBB1679_63
.LBB1679_61:                            ; =>This Inner Loop Header: Depth=1
	s_or_b64 s[18:19], s[18:19], exec
	s_cmp_eq_u64 s[2:3], s[40:41]
	s_cbranch_scc0 .LBB1679_59
; %bb.62:                               ;   in Loop: Header=BB1679_61 Depth=1
                                        ; implicit-def: $vgpr12_vgpr13
                                        ; implicit-def: $vgpr14_vgpr15
	s_mov_b64 s[40:41], s[26:27]
	s_branch .LBB1679_60
.LBB1679_63:
	s_or_b64 exec, exec, s[8:9]
	v_cmp_gt_i64_e32 vcc, s[26:27], v[16:17]
	s_orn2_b64 s[18:19], vcc, exec
.LBB1679_64:
	s_or_b64 exec, exec, s[38:39]
.LBB1679_65:
	v_cndmask_b32_e64 v13, 0, 1, s[14:15]
	v_or_b32_e32 v16, v26, v27
	s_and_b64 vcc, exec, s[36:37]
	s_cbranch_vccz .LBB1679_124
.LBB1679_66:
	v_cmp_gt_u32_e32 vcc, s7, v23
	s_mov_b64 s[18:19], 0
	s_mov_b64 s[14:15], 0
	s_and_saveexec_b64 s[36:37], vcc
	s_cbranch_execz .LBB1679_77
; %bb.67:
	s_and_b64 vcc, exec, s[0:1]
	s_mov_b64 s[38:39], 0
	s_cbranch_vccnz .LBB1679_76
; %bb.68:
	s_waitcnt lgkmcnt(0)
	v_mul_lo_u32 v14, v5, s26
	v_mul_lo_u32 v15, v4, s27
	v_mad_u64_u32 v[12:13], s[2:3], v4, s26, 0
	v_add3_u32 v13, v13, v15, v14
	v_mul_lo_u32 v14, v11, s26
	v_mul_lo_u32 v15, v10, s27
	v_mad_u64_u32 v[18:19], s[2:3], v10, s26, 0
	v_add3_u32 v19, v19, v15, v14
	v_lshlrev_b64 v[14:15], 3, v[12:13]
	v_mov_b32_e32 v12, s29
	v_add_co_u32_e32 v16, vcc, s28, v14
	v_addc_co_u32_e64 v17, s[2:3], v12, v15, vcc
	v_lshlrev_b64 v[12:13], 3, v[18:19]
	v_mov_b32_e32 v14, s29
	v_add_co_u32_e64 v18, s[2:3], s28, v12
	v_addc_co_u32_e64 v19, s[8:9], v14, v13, s[2:3]
	global_load_dwordx2 v[26:27], v[16:17], off
	global_load_dwordx2 v[28:29], v[18:19], off
	s_mov_b64 s[38:39], -1
	s_waitcnt vmcnt(0)
	v_cmp_eq_u64_e64 s[8:9], v[26:27], v[28:29]
	s_and_saveexec_b64 s[14:15], s[8:9]
	s_cbranch_execz .LBB1679_75
; %bb.69:
	v_mov_b32_e32 v12, s29
	v_addc_co_u32_e64 v13, s[2:3], v13, v12, s[2:3]
	v_add_co_u32_e64 v12, s[2:3], 8, v18
	v_mov_b32_e32 v14, s29
	v_addc_co_u32_e64 v13, s[2:3], 0, v13, s[2:3]
	v_addc_co_u32_e32 v15, vcc, v15, v14, vcc
	v_add_co_u32_e32 v14, vcc, 8, v16
	s_add_u32 s2, s26, -1
	v_addc_co_u32_e32 v15, vcc, 0, v15, vcc
	s_addc_u32 s3, s27, -1
	s_mov_b64 s[8:9], 0
	s_mov_b64 s[40:41], 0
                                        ; implicit-def: $sgpr38_sgpr39
	s_branch .LBB1679_72
.LBB1679_70:                            ;   in Loop: Header=BB1679_72 Depth=1
	global_load_dwordx2 v[16:17], v[14:15], off
	global_load_dwordx2 v[18:19], v[12:13], off
	v_add_co_u32_e32 v12, vcc, 8, v12
	v_addc_co_u32_e32 v13, vcc, 0, v13, vcc
	v_add_co_u32_e32 v14, vcc, 8, v14
	v_addc_co_u32_e32 v15, vcc, 0, v15, vcc
	s_add_u32 s40, s40, 1
	s_addc_u32 s41, s41, 0
	s_andn2_b64 s[38:39], s[38:39], exec
	s_waitcnt vmcnt(0)
	v_cmp_ne_u64_e32 vcc, v[16:17], v[18:19]
	s_and_b64 s[42:43], vcc, exec
	s_or_b64 s[38:39], s[38:39], s[42:43]
.LBB1679_71:                            ;   in Loop: Header=BB1679_72 Depth=1
	s_and_b64 s[42:43], exec, s[38:39]
	s_or_b64 s[8:9], s[42:43], s[8:9]
	v_pk_mov_b32 v[16:17], s[40:41], s[40:41] op_sel:[0,1]
	s_andn2_b64 exec, exec, s[8:9]
	s_cbranch_execz .LBB1679_74
.LBB1679_72:                            ; =>This Inner Loop Header: Depth=1
	s_or_b64 s[38:39], s[38:39], exec
	s_cmp_eq_u64 s[2:3], s[40:41]
	s_cbranch_scc0 .LBB1679_70
; %bb.73:                               ;   in Loop: Header=BB1679_72 Depth=1
                                        ; implicit-def: $vgpr12_vgpr13
                                        ; implicit-def: $vgpr14_vgpr15
	s_mov_b64 s[40:41], s[26:27]
	s_branch .LBB1679_71
.LBB1679_74:
	s_or_b64 exec, exec, s[8:9]
	v_cmp_gt_i64_e32 vcc, s[26:27], v[16:17]
	s_orn2_b64 s[38:39], vcc, exec
.LBB1679_75:
	s_or_b64 exec, exec, s[14:15]
.LBB1679_76:
	s_and_b64 s[14:15], s[38:39], exec
.LBB1679_77:
	s_or_b64 exec, exec, s[36:37]
	v_cmp_gt_u32_e32 vcc, s7, v25
	s_and_saveexec_b64 s[36:37], vcc
	s_cbranch_execz .LBB1679_88
; %bb.78:
	s_and_b64 vcc, exec, s[0:1]
	s_mov_b64 s[38:39], 0
	s_cbranch_vccnz .LBB1679_87
; %bb.79:
	s_waitcnt lgkmcnt(0)
	v_mul_lo_u32 v14, v3, s26
	v_mul_lo_u32 v15, v2, s27
	v_mad_u64_u32 v[12:13], s[2:3], v2, s26, 0
	v_add3_u32 v13, v13, v15, v14
	v_mul_lo_u32 v14, v5, s26
	v_mul_lo_u32 v15, v4, s27
	v_mad_u64_u32 v[18:19], s[2:3], v4, s26, 0
	v_add3_u32 v19, v19, v15, v14
	v_lshlrev_b64 v[14:15], 3, v[12:13]
	v_mov_b32_e32 v12, s29
	v_add_co_u32_e32 v16, vcc, s28, v14
	v_addc_co_u32_e64 v17, s[2:3], v12, v15, vcc
	v_lshlrev_b64 v[12:13], 3, v[18:19]
	v_mov_b32_e32 v14, s29
	v_add_co_u32_e64 v18, s[2:3], s28, v12
	v_addc_co_u32_e64 v19, s[8:9], v14, v13, s[2:3]
	global_load_dwordx2 v[26:27], v[16:17], off
	global_load_dwordx2 v[28:29], v[18:19], off
	s_mov_b64 s[38:39], -1
	s_waitcnt vmcnt(0)
	v_cmp_eq_u64_e64 s[8:9], v[26:27], v[28:29]
	s_and_saveexec_b64 s[18:19], s[8:9]
	s_cbranch_execz .LBB1679_86
; %bb.80:
	v_mov_b32_e32 v12, s29
	v_addc_co_u32_e64 v13, s[2:3], v13, v12, s[2:3]
	v_add_co_u32_e64 v12, s[2:3], 8, v18
	v_mov_b32_e32 v14, s29
	v_addc_co_u32_e64 v13, s[2:3], 0, v13, s[2:3]
	v_addc_co_u32_e32 v15, vcc, v15, v14, vcc
	v_add_co_u32_e32 v14, vcc, 8, v16
	s_add_u32 s2, s26, -1
	v_addc_co_u32_e32 v15, vcc, 0, v15, vcc
	s_addc_u32 s3, s27, -1
	s_mov_b64 s[8:9], 0
	s_mov_b64 s[40:41], 0
                                        ; implicit-def: $sgpr38_sgpr39
	s_branch .LBB1679_83
.LBB1679_81:                            ;   in Loop: Header=BB1679_83 Depth=1
	global_load_dwordx2 v[16:17], v[14:15], off
	global_load_dwordx2 v[18:19], v[12:13], off
	v_add_co_u32_e32 v12, vcc, 8, v12
	v_addc_co_u32_e32 v13, vcc, 0, v13, vcc
	v_add_co_u32_e32 v14, vcc, 8, v14
	v_addc_co_u32_e32 v15, vcc, 0, v15, vcc
	s_add_u32 s40, s40, 1
	s_addc_u32 s41, s41, 0
	s_andn2_b64 s[38:39], s[38:39], exec
	s_waitcnt vmcnt(0)
	v_cmp_ne_u64_e32 vcc, v[16:17], v[18:19]
	s_and_b64 s[42:43], vcc, exec
	s_or_b64 s[38:39], s[38:39], s[42:43]
.LBB1679_82:                            ;   in Loop: Header=BB1679_83 Depth=1
	s_and_b64 s[42:43], exec, s[38:39]
	s_or_b64 s[8:9], s[42:43], s[8:9]
	v_pk_mov_b32 v[16:17], s[40:41], s[40:41] op_sel:[0,1]
	s_andn2_b64 exec, exec, s[8:9]
	s_cbranch_execz .LBB1679_85
.LBB1679_83:                            ; =>This Inner Loop Header: Depth=1
	s_or_b64 s[38:39], s[38:39], exec
	s_cmp_eq_u64 s[2:3], s[40:41]
	s_cbranch_scc0 .LBB1679_81
; %bb.84:                               ;   in Loop: Header=BB1679_83 Depth=1
                                        ; implicit-def: $vgpr12_vgpr13
                                        ; implicit-def: $vgpr14_vgpr15
	s_mov_b64 s[40:41], s[26:27]
	s_branch .LBB1679_82
.LBB1679_85:
	s_or_b64 exec, exec, s[8:9]
	v_cmp_gt_i64_e32 vcc, s[26:27], v[16:17]
	s_orn2_b64 s[38:39], vcc, exec
.LBB1679_86:
	s_or_b64 exec, exec, s[18:19]
.LBB1679_87:
	s_and_b64 s[18:19], s[38:39], exec
.LBB1679_88:
	s_or_b64 exec, exec, s[36:37]
	v_cmp_gt_u32_e32 vcc, s7, v22
	s_mov_b64 s[36:37], 0
	s_mov_b64 s[38:39], 0
	s_and_saveexec_b64 s[40:41], vcc
	s_cbranch_execz .LBB1679_99
; %bb.89:
	s_and_b64 vcc, exec, s[0:1]
	s_mov_b64 s[42:43], 0
	s_cbranch_vccnz .LBB1679_98
; %bb.90:
	s_waitcnt lgkmcnt(0)
	v_mul_lo_u32 v14, v9, s26
	v_mul_lo_u32 v15, v8, s27
	v_mad_u64_u32 v[12:13], s[2:3], v8, s26, 0
	v_add3_u32 v13, v13, v15, v14
	v_mul_lo_u32 v14, v3, s26
	v_mul_lo_u32 v15, v2, s27
	v_mad_u64_u32 v[18:19], s[2:3], v2, s26, 0
	v_add3_u32 v19, v19, v15, v14
	v_lshlrev_b64 v[14:15], 3, v[12:13]
	v_mov_b32_e32 v12, s29
	v_add_co_u32_e32 v16, vcc, s28, v14
	v_addc_co_u32_e64 v17, s[2:3], v12, v15, vcc
	v_lshlrev_b64 v[12:13], 3, v[18:19]
	v_mov_b32_e32 v14, s29
	v_add_co_u32_e64 v18, s[2:3], s28, v12
	v_addc_co_u32_e64 v19, s[8:9], v14, v13, s[2:3]
	global_load_dwordx2 v[26:27], v[16:17], off
	global_load_dwordx2 v[28:29], v[18:19], off
	s_mov_b64 s[42:43], -1
	s_waitcnt vmcnt(0)
	v_cmp_eq_u64_e64 s[8:9], v[26:27], v[28:29]
	s_and_saveexec_b64 s[38:39], s[8:9]
	s_cbranch_execz .LBB1679_97
; %bb.91:
	v_mov_b32_e32 v12, s29
	v_addc_co_u32_e64 v13, s[2:3], v13, v12, s[2:3]
	v_add_co_u32_e64 v12, s[2:3], 8, v18
	v_mov_b32_e32 v14, s29
	v_addc_co_u32_e64 v13, s[2:3], 0, v13, s[2:3]
	v_addc_co_u32_e32 v15, vcc, v15, v14, vcc
	v_add_co_u32_e32 v14, vcc, 8, v16
	s_add_u32 s2, s26, -1
	v_addc_co_u32_e32 v15, vcc, 0, v15, vcc
	s_addc_u32 s3, s27, -1
	s_mov_b64 s[8:9], 0
	s_mov_b64 s[44:45], 0
                                        ; implicit-def: $sgpr42_sgpr43
	s_branch .LBB1679_94
.LBB1679_92:                            ;   in Loop: Header=BB1679_94 Depth=1
	global_load_dwordx2 v[16:17], v[14:15], off
	global_load_dwordx2 v[18:19], v[12:13], off
	v_add_co_u32_e32 v12, vcc, 8, v12
	v_addc_co_u32_e32 v13, vcc, 0, v13, vcc
	v_add_co_u32_e32 v14, vcc, 8, v14
	v_addc_co_u32_e32 v15, vcc, 0, v15, vcc
	s_add_u32 s44, s44, 1
	s_addc_u32 s45, s45, 0
	s_andn2_b64 s[42:43], s[42:43], exec
	s_waitcnt vmcnt(0)
	v_cmp_ne_u64_e32 vcc, v[16:17], v[18:19]
	s_and_b64 s[46:47], vcc, exec
	s_or_b64 s[42:43], s[42:43], s[46:47]
.LBB1679_93:                            ;   in Loop: Header=BB1679_94 Depth=1
	s_and_b64 s[46:47], exec, s[42:43]
	s_or_b64 s[8:9], s[46:47], s[8:9]
	v_pk_mov_b32 v[16:17], s[44:45], s[44:45] op_sel:[0,1]
	s_andn2_b64 exec, exec, s[8:9]
	s_cbranch_execz .LBB1679_96
.LBB1679_94:                            ; =>This Inner Loop Header: Depth=1
	s_or_b64 s[42:43], s[42:43], exec
	s_cmp_eq_u64 s[2:3], s[44:45]
	s_cbranch_scc0 .LBB1679_92
; %bb.95:                               ;   in Loop: Header=BB1679_94 Depth=1
                                        ; implicit-def: $vgpr12_vgpr13
                                        ; implicit-def: $vgpr14_vgpr15
	s_mov_b64 s[44:45], s[26:27]
	s_branch .LBB1679_93
.LBB1679_96:
	s_or_b64 exec, exec, s[8:9]
	v_cmp_gt_i64_e32 vcc, s[26:27], v[16:17]
	s_orn2_b64 s[42:43], vcc, exec
.LBB1679_97:
	s_or_b64 exec, exec, s[38:39]
.LBB1679_98:
	s_and_b64 s[38:39], s[42:43], exec
.LBB1679_99:
	s_or_b64 exec, exec, s[40:41]
	v_cmp_gt_u32_e32 vcc, s7, v24
	s_and_saveexec_b64 s[40:41], vcc
	s_cbranch_execz .LBB1679_110
; %bb.100:
	s_and_b64 vcc, exec, s[0:1]
	s_mov_b64 s[42:43], 0
	s_cbranch_vccnz .LBB1679_109
; %bb.101:
	s_waitcnt lgkmcnt(0)
	v_mul_lo_u32 v14, v7, s26
	v_mul_lo_u32 v15, v6, s27
	v_mad_u64_u32 v[12:13], s[2:3], v6, s26, 0
	v_add3_u32 v13, v13, v15, v14
	v_mul_lo_u32 v14, v9, s26
	v_mul_lo_u32 v15, v8, s27
	v_mad_u64_u32 v[18:19], s[2:3], v8, s26, 0
	v_add3_u32 v19, v19, v15, v14
	v_lshlrev_b64 v[14:15], 3, v[12:13]
	v_mov_b32_e32 v12, s29
	v_add_co_u32_e32 v16, vcc, s28, v14
	v_addc_co_u32_e64 v17, s[2:3], v12, v15, vcc
	v_lshlrev_b64 v[12:13], 3, v[18:19]
	v_mov_b32_e32 v14, s29
	v_add_co_u32_e64 v18, s[2:3], s28, v12
	v_addc_co_u32_e64 v19, s[8:9], v14, v13, s[2:3]
	global_load_dwordx2 v[26:27], v[16:17], off
	global_load_dwordx2 v[28:29], v[18:19], off
	s_mov_b64 s[42:43], -1
	s_waitcnt vmcnt(0)
	v_cmp_eq_u64_e64 s[8:9], v[26:27], v[28:29]
	s_and_saveexec_b64 s[36:37], s[8:9]
	s_cbranch_execz .LBB1679_108
; %bb.102:
	v_mov_b32_e32 v12, s29
	v_addc_co_u32_e64 v13, s[2:3], v13, v12, s[2:3]
	v_add_co_u32_e64 v12, s[2:3], 8, v18
	v_mov_b32_e32 v14, s29
	v_addc_co_u32_e64 v13, s[2:3], 0, v13, s[2:3]
	v_addc_co_u32_e32 v15, vcc, v15, v14, vcc
	v_add_co_u32_e32 v14, vcc, 8, v16
	s_add_u32 s2, s26, -1
	v_addc_co_u32_e32 v15, vcc, 0, v15, vcc
	s_addc_u32 s3, s27, -1
	s_mov_b64 s[8:9], 0
	s_mov_b64 s[44:45], 0
                                        ; implicit-def: $sgpr42_sgpr43
	s_branch .LBB1679_105
.LBB1679_103:                           ;   in Loop: Header=BB1679_105 Depth=1
	global_load_dwordx2 v[16:17], v[14:15], off
	global_load_dwordx2 v[18:19], v[12:13], off
	v_add_co_u32_e32 v12, vcc, 8, v12
	v_addc_co_u32_e32 v13, vcc, 0, v13, vcc
	v_add_co_u32_e32 v14, vcc, 8, v14
	v_addc_co_u32_e32 v15, vcc, 0, v15, vcc
	s_add_u32 s44, s44, 1
	s_addc_u32 s45, s45, 0
	s_andn2_b64 s[42:43], s[42:43], exec
	s_waitcnt vmcnt(0)
	v_cmp_ne_u64_e32 vcc, v[16:17], v[18:19]
	s_and_b64 s[46:47], vcc, exec
	s_or_b64 s[42:43], s[42:43], s[46:47]
.LBB1679_104:                           ;   in Loop: Header=BB1679_105 Depth=1
	s_and_b64 s[46:47], exec, s[42:43]
	s_or_b64 s[8:9], s[46:47], s[8:9]
	v_pk_mov_b32 v[16:17], s[44:45], s[44:45] op_sel:[0,1]
	s_andn2_b64 exec, exec, s[8:9]
	s_cbranch_execz .LBB1679_107
.LBB1679_105:                           ; =>This Inner Loop Header: Depth=1
	s_or_b64 s[42:43], s[42:43], exec
	s_cmp_eq_u64 s[2:3], s[44:45]
	s_cbranch_scc0 .LBB1679_103
; %bb.106:                              ;   in Loop: Header=BB1679_105 Depth=1
                                        ; implicit-def: $vgpr12_vgpr13
                                        ; implicit-def: $vgpr14_vgpr15
	s_mov_b64 s[44:45], s[26:27]
	s_branch .LBB1679_104
.LBB1679_107:
	s_or_b64 exec, exec, s[8:9]
	v_cmp_gt_i64_e32 vcc, s[26:27], v[16:17]
	s_orn2_b64 s[42:43], vcc, exec
.LBB1679_108:
	s_or_b64 exec, exec, s[36:37]
.LBB1679_109:
	s_and_b64 s[36:37], s[42:43], exec
.LBB1679_110:
	s_or_b64 exec, exec, s[40:41]
	v_cmp_ne_u32_e32 vcc, 0, v0
	s_waitcnt lgkmcnt(0)
	v_pk_mov_b32 v[12:13], s[12:13], s[12:13] op_sel:[0,1]
	s_barrier
	s_and_saveexec_b64 s[2:3], vcc
	s_cbranch_execz .LBB1679_112
; %bb.111:
	v_add_u32_e32 v12, -8, v21
	ds_read_b64 v[12:13], v12
.LBB1679_112:
	s_or_b64 exec, exec, s[2:3]
	v_cndmask_b32_e64 v15, 0, 1, s[18:19]
	v_cndmask_b32_e64 v14, 0, 1, s[38:39]
	;; [unrolled: 1-line block ×3, first 2 shown]
	v_lshlrev_b16_e32 v15, 8, v15
	v_cmp_gt_u32_e32 vcc, s7, v1
	v_lshlrev_b16_e32 v21, 8, v16
	v_or_b32_sdwa v26, v14, v15 dst_sel:WORD_1 dst_unused:UNUSED_PAD src0_sel:DWORD src1_sel:DWORD
	s_mov_b64 s[18:19], 0
	s_and_saveexec_b64 s[8:9], vcc
	s_cbranch_execz .LBB1679_123
; %bb.113:
	s_and_b64 vcc, exec, s[0:1]
	s_cbranch_vccnz .LBB1679_122
; %bb.114:
	s_waitcnt lgkmcnt(0)
	v_mul_lo_u32 v14, v13, s26
	v_mul_lo_u32 v15, v12, s27
	v_mad_u64_u32 v[12:13], s[0:1], v12, s26, 0
	v_add3_u32 v13, v13, v15, v14
	v_mul_lo_u32 v14, v7, s26
	v_mul_lo_u32 v15, v6, s27
	v_mad_u64_u32 v[18:19], s[0:1], v6, s26, 0
	v_add3_u32 v19, v19, v15, v14
	v_lshlrev_b64 v[14:15], 3, v[12:13]
	v_mov_b32_e32 v12, s29
	v_add_co_u32_e32 v16, vcc, s28, v14
	v_addc_co_u32_e64 v17, s[0:1], v12, v15, vcc
	v_lshlrev_b64 v[12:13], 3, v[18:19]
	v_mov_b32_e32 v14, s29
	v_add_co_u32_e64 v18, s[0:1], s28, v12
	v_addc_co_u32_e64 v19, s[2:3], v14, v13, s[0:1]
	global_load_dwordx2 v[28:29], v[16:17], off
	global_load_dwordx2 v[30:31], v[18:19], off
	s_mov_b64 s[18:19], -1
	s_waitcnt vmcnt(0)
	v_cmp_eq_u64_e64 s[2:3], v[28:29], v[30:31]
	s_and_saveexec_b64 s[12:13], s[2:3]
	s_cbranch_execz .LBB1679_121
; %bb.115:
	v_mov_b32_e32 v12, s29
	v_addc_co_u32_e64 v13, s[0:1], v13, v12, s[0:1]
	v_add_co_u32_e64 v12, s[0:1], 8, v18
	v_mov_b32_e32 v14, s29
	v_addc_co_u32_e64 v13, s[0:1], 0, v13, s[0:1]
	v_addc_co_u32_e32 v15, vcc, v15, v14, vcc
	v_add_co_u32_e32 v14, vcc, 8, v16
	s_add_u32 s0, s26, -1
	v_addc_co_u32_e32 v15, vcc, 0, v15, vcc
	s_addc_u32 s1, s27, -1
	s_mov_b64 s[2:3], 0
	s_mov_b64 s[36:37], 0
                                        ; implicit-def: $sgpr18_sgpr19
	s_branch .LBB1679_118
.LBB1679_116:                           ;   in Loop: Header=BB1679_118 Depth=1
	global_load_dwordx2 v[16:17], v[14:15], off
	global_load_dwordx2 v[18:19], v[12:13], off
	v_add_co_u32_e32 v12, vcc, 8, v12
	v_addc_co_u32_e32 v13, vcc, 0, v13, vcc
	v_add_co_u32_e32 v14, vcc, 8, v14
	v_addc_co_u32_e32 v15, vcc, 0, v15, vcc
	s_add_u32 s36, s36, 1
	s_addc_u32 s37, s37, 0
	s_andn2_b64 s[18:19], s[18:19], exec
	s_waitcnt vmcnt(0)
	v_cmp_ne_u64_e32 vcc, v[16:17], v[18:19]
	s_and_b64 s[38:39], vcc, exec
	s_or_b64 s[18:19], s[18:19], s[38:39]
.LBB1679_117:                           ;   in Loop: Header=BB1679_118 Depth=1
	s_and_b64 s[38:39], exec, s[18:19]
	s_or_b64 s[2:3], s[38:39], s[2:3]
	v_pk_mov_b32 v[16:17], s[36:37], s[36:37] op_sel:[0,1]
	s_andn2_b64 exec, exec, s[2:3]
	s_cbranch_execz .LBB1679_120
.LBB1679_118:                           ; =>This Inner Loop Header: Depth=1
	s_or_b64 s[18:19], s[18:19], exec
	s_cmp_eq_u64 s[0:1], s[36:37]
	s_cbranch_scc0 .LBB1679_116
; %bb.119:                              ;   in Loop: Header=BB1679_118 Depth=1
                                        ; implicit-def: $vgpr12_vgpr13
                                        ; implicit-def: $vgpr14_vgpr15
	s_mov_b64 s[36:37], s[26:27]
	s_branch .LBB1679_117
.LBB1679_120:
	s_or_b64 exec, exec, s[2:3]
	v_cmp_gt_i64_e32 vcc, s[26:27], v[16:17]
	s_orn2_b64 s[18:19], vcc, exec
.LBB1679_121:
	s_or_b64 exec, exec, s[12:13]
.LBB1679_122:
	s_and_b64 s[18:19], s[18:19], exec
.LBB1679_123:
	s_or_b64 exec, exec, s[8:9]
	s_waitcnt lgkmcnt(0)
	v_cndmask_b32_e64 v13, 0, 1, s[14:15]
	v_or_b32_e32 v16, v21, v26
.LBB1679_124:
	s_waitcnt lgkmcnt(0)
	s_mov_b64 s[12:13], -1
	s_cbranch_execnz .LBB1679_233
.LBB1679_125:
	v_lshlrev_b32_e32 v12, 5, v0
	v_sub_u32_e32 v26, v20, v12
	s_mov_b64 s[18:19], 0
	v_cmp_gt_i64_e64 s[14:15], s[26:27], 0
	s_and_b64 vcc, exec, s[34:35]
	ds_write_b64 v26, v[10:11]
	s_cbranch_vccz .LBB1679_133
; %bb.126:
	v_mul_lo_u32 v14, v5, s26
	v_mul_lo_u32 v15, v4, s27
	v_mad_u64_u32 v[12:13], s[0:1], v4, s26, 0
	v_add3_u32 v13, v13, v15, v14
	v_cndmask_b32_e64 v14, 0, 1, s[14:15]
	v_cmp_ne_u32_e64 s[0:1], 1, v14
	s_andn2_b64 vcc, exec, s[14:15]
	v_lshlrev_b64 v[12:13], 3, v[12:13]
	s_cbranch_vccnz .LBB1679_136
; %bb.127:
	v_mul_lo_u32 v16, v11, s26
	v_mul_lo_u32 v17, v10, s27
	v_mad_u64_u32 v[14:15], s[2:3], v10, s26, 0
	v_add3_u32 v15, v15, v17, v16
	v_mov_b32_e32 v17, s29
	v_add_co_u32_e32 v16, vcc, s28, v12
	v_addc_co_u32_e64 v17, s[2:3], v17, v13, vcc
	v_lshlrev_b64 v[14:15], 3, v[14:15]
	v_mov_b32_e32 v19, s29
	v_add_co_u32_e64 v18, s[2:3], s28, v14
	v_addc_co_u32_e64 v19, s[8:9], v19, v15, s[2:3]
	global_load_dwordx2 v[20:21], v[16:17], off
	global_load_dwordx2 v[28:29], v[18:19], off
	s_mov_b64 s[18:19], -1
	s_waitcnt vmcnt(0)
	v_cmp_eq_u64_e64 s[8:9], v[20:21], v[28:29]
	s_and_saveexec_b64 s[36:37], s[8:9]
	s_cbranch_execz .LBB1679_135
; %bb.128:
	v_mov_b32_e32 v14, s29
	v_addc_co_u32_e64 v15, s[2:3], v15, v14, s[2:3]
	v_add_co_u32_e64 v14, s[2:3], 8, v18
	v_mov_b32_e32 v17, s29
	v_addc_co_u32_e64 v15, s[2:3], 0, v15, s[2:3]
	v_addc_co_u32_e32 v17, vcc, v13, v17, vcc
	v_add_co_u32_e32 v16, vcc, 8, v16
	s_add_u32 s2, s26, -1
	v_addc_co_u32_e32 v17, vcc, 0, v17, vcc
	s_addc_u32 s3, s27, -1
	s_mov_b64 s[8:9], 0
	s_mov_b64 s[38:39], 0
                                        ; implicit-def: $sgpr18_sgpr19
	s_branch .LBB1679_131
.LBB1679_129:                           ;   in Loop: Header=BB1679_131 Depth=1
	global_load_dwordx2 v[18:19], v[16:17], off
	global_load_dwordx2 v[20:21], v[14:15], off
	v_add_co_u32_e32 v14, vcc, 8, v14
	v_addc_co_u32_e32 v15, vcc, 0, v15, vcc
	v_add_co_u32_e32 v16, vcc, 8, v16
	v_addc_co_u32_e32 v17, vcc, 0, v17, vcc
	s_add_u32 s38, s38, 1
	s_addc_u32 s39, s39, 0
	s_andn2_b64 s[18:19], s[18:19], exec
	s_waitcnt vmcnt(0)
	v_cmp_ne_u64_e32 vcc, v[18:19], v[20:21]
	s_and_b64 s[40:41], vcc, exec
	s_or_b64 s[18:19], s[18:19], s[40:41]
.LBB1679_130:                           ;   in Loop: Header=BB1679_131 Depth=1
	s_and_b64 s[40:41], exec, s[18:19]
	s_or_b64 s[8:9], s[40:41], s[8:9]
	v_pk_mov_b32 v[18:19], s[38:39], s[38:39] op_sel:[0,1]
	s_andn2_b64 exec, exec, s[8:9]
	s_cbranch_execz .LBB1679_134
.LBB1679_131:                           ; =>This Inner Loop Header: Depth=1
	s_or_b64 s[18:19], s[18:19], exec
	s_cmp_eq_u64 s[2:3], s[38:39]
	s_cbranch_scc0 .LBB1679_129
; %bb.132:                              ;   in Loop: Header=BB1679_131 Depth=1
                                        ; implicit-def: $vgpr14_vgpr15
                                        ; implicit-def: $vgpr16_vgpr17
	s_mov_b64 s[38:39], s[26:27]
	s_branch .LBB1679_130
.LBB1679_133:
                                        ; implicit-def: $sgpr18_sgpr19
                                        ; implicit-def: $vgpr13
                                        ; implicit-def: $vgpr16
	s_cbranch_execnz .LBB1679_175
	s_branch .LBB1679_233
.LBB1679_134:
	s_or_b64 exec, exec, s[8:9]
	v_cmp_gt_i64_e32 vcc, s[26:27], v[18:19]
	s_orn2_b64 s[18:19], vcc, exec
.LBB1679_135:
	s_or_b64 exec, exec, s[36:37]
.LBB1679_136:
	v_mul_lo_u32 v16, v3, s26
	v_mul_lo_u32 v17, v2, s27
	v_mad_u64_u32 v[14:15], s[2:3], v2, s26, 0
	v_add3_u32 v15, v15, v17, v16
	s_mov_b64 s[36:37], 0
	s_and_b64 vcc, exec, s[0:1]
	v_lshlrev_b64 v[14:15], 3, v[14:15]
	s_mov_b64 s[38:39], 0
	s_cbranch_vccnz .LBB1679_145
; %bb.137:
	v_mov_b32_e32 v17, s29
	v_add_co_u32_e32 v16, vcc, s28, v14
	v_addc_co_u32_e64 v17, s[2:3], v17, v15, vcc
	v_mov_b32_e32 v19, s29
	v_add_co_u32_e64 v18, s[2:3], s28, v12
	v_addc_co_u32_e64 v19, s[8:9], v19, v13, s[2:3]
	global_load_dwordx2 v[20:21], v[16:17], off
	global_load_dwordx2 v[28:29], v[18:19], off
	s_mov_b64 s[38:39], -1
	s_waitcnt vmcnt(0)
	v_cmp_eq_u64_e64 s[8:9], v[20:21], v[28:29]
	s_and_saveexec_b64 s[40:41], s[8:9]
	s_cbranch_execz .LBB1679_144
; %bb.138:
	v_mov_b32_e32 v12, s29
	v_addc_co_u32_e64 v13, s[2:3], v13, v12, s[2:3]
	v_add_co_u32_e64 v12, s[2:3], 8, v18
	v_mov_b32_e32 v17, s29
	v_addc_co_u32_e64 v13, s[2:3], 0, v13, s[2:3]
	v_addc_co_u32_e32 v17, vcc, v15, v17, vcc
	v_add_co_u32_e32 v16, vcc, 8, v16
	s_add_u32 s2, s26, -1
	v_addc_co_u32_e32 v17, vcc, 0, v17, vcc
	s_addc_u32 s3, s27, -1
	s_mov_b64 s[8:9], 0
	s_mov_b64 s[42:43], 0
                                        ; implicit-def: $sgpr38_sgpr39
	s_branch .LBB1679_141
.LBB1679_139:                           ;   in Loop: Header=BB1679_141 Depth=1
	global_load_dwordx2 v[18:19], v[16:17], off
	global_load_dwordx2 v[20:21], v[12:13], off
	v_add_co_u32_e32 v12, vcc, 8, v12
	v_addc_co_u32_e32 v13, vcc, 0, v13, vcc
	v_add_co_u32_e32 v16, vcc, 8, v16
	v_addc_co_u32_e32 v17, vcc, 0, v17, vcc
	s_add_u32 s42, s42, 1
	s_addc_u32 s43, s43, 0
	s_andn2_b64 s[38:39], s[38:39], exec
	s_waitcnt vmcnt(0)
	v_cmp_ne_u64_e32 vcc, v[18:19], v[20:21]
	s_and_b64 s[44:45], vcc, exec
	s_or_b64 s[38:39], s[38:39], s[44:45]
.LBB1679_140:                           ;   in Loop: Header=BB1679_141 Depth=1
	s_and_b64 s[44:45], exec, s[38:39]
	s_or_b64 s[8:9], s[44:45], s[8:9]
	v_pk_mov_b32 v[18:19], s[42:43], s[42:43] op_sel:[0,1]
	s_andn2_b64 exec, exec, s[8:9]
	s_cbranch_execz .LBB1679_143
.LBB1679_141:                           ; =>This Inner Loop Header: Depth=1
	s_or_b64 s[38:39], s[38:39], exec
	s_cmp_eq_u64 s[2:3], s[42:43]
	s_cbranch_scc0 .LBB1679_139
; %bb.142:                              ;   in Loop: Header=BB1679_141 Depth=1
                                        ; implicit-def: $vgpr12_vgpr13
                                        ; implicit-def: $vgpr16_vgpr17
	s_mov_b64 s[42:43], s[26:27]
	s_branch .LBB1679_140
.LBB1679_143:
	s_or_b64 exec, exec, s[8:9]
	v_cmp_gt_i64_e32 vcc, s[26:27], v[18:19]
	s_orn2_b64 s[38:39], vcc, exec
.LBB1679_144:
	s_or_b64 exec, exec, s[40:41]
.LBB1679_145:
	v_mul_lo_u32 v16, v9, s26
	v_mul_lo_u32 v17, v8, s27
	v_mad_u64_u32 v[12:13], s[2:3], v8, s26, 0
	v_add3_u32 v13, v13, v17, v16
	s_and_b64 vcc, exec, s[0:1]
	v_lshlrev_b64 v[12:13], 3, v[12:13]
	s_cbranch_vccnz .LBB1679_154
; %bb.146:
	v_mov_b32_e32 v17, s29
	v_add_co_u32_e32 v16, vcc, s28, v12
	v_addc_co_u32_e64 v17, s[2:3], v17, v13, vcc
	v_mov_b32_e32 v19, s29
	v_add_co_u32_e64 v18, s[2:3], s28, v14
	v_addc_co_u32_e64 v19, s[8:9], v19, v15, s[2:3]
	global_load_dwordx2 v[20:21], v[16:17], off
	global_load_dwordx2 v[28:29], v[18:19], off
	s_mov_b64 s[36:37], -1
	s_waitcnt vmcnt(0)
	v_cmp_eq_u64_e64 s[8:9], v[20:21], v[28:29]
	s_and_saveexec_b64 s[40:41], s[8:9]
	s_cbranch_execz .LBB1679_153
; %bb.147:
	v_mov_b32_e32 v14, s29
	v_addc_co_u32_e64 v15, s[2:3], v15, v14, s[2:3]
	v_add_co_u32_e64 v14, s[2:3], 8, v18
	v_mov_b32_e32 v17, s29
	v_addc_co_u32_e64 v15, s[2:3], 0, v15, s[2:3]
	v_addc_co_u32_e32 v17, vcc, v13, v17, vcc
	v_add_co_u32_e32 v16, vcc, 8, v16
	s_add_u32 s2, s26, -1
	v_addc_co_u32_e32 v17, vcc, 0, v17, vcc
	s_addc_u32 s3, s27, -1
	s_mov_b64 s[8:9], 0
	s_mov_b64 s[42:43], 0
                                        ; implicit-def: $sgpr36_sgpr37
	s_branch .LBB1679_150
.LBB1679_148:                           ;   in Loop: Header=BB1679_150 Depth=1
	global_load_dwordx2 v[18:19], v[16:17], off
	global_load_dwordx2 v[20:21], v[14:15], off
	v_add_co_u32_e32 v14, vcc, 8, v14
	v_addc_co_u32_e32 v15, vcc, 0, v15, vcc
	v_add_co_u32_e32 v16, vcc, 8, v16
	v_addc_co_u32_e32 v17, vcc, 0, v17, vcc
	s_add_u32 s42, s42, 1
	s_addc_u32 s43, s43, 0
	s_andn2_b64 s[36:37], s[36:37], exec
	s_waitcnt vmcnt(0)
	v_cmp_ne_u64_e32 vcc, v[18:19], v[20:21]
	s_and_b64 s[44:45], vcc, exec
	s_or_b64 s[36:37], s[36:37], s[44:45]
.LBB1679_149:                           ;   in Loop: Header=BB1679_150 Depth=1
	s_and_b64 s[44:45], exec, s[36:37]
	s_or_b64 s[8:9], s[44:45], s[8:9]
	v_pk_mov_b32 v[18:19], s[42:43], s[42:43] op_sel:[0,1]
	s_andn2_b64 exec, exec, s[8:9]
	s_cbranch_execz .LBB1679_152
.LBB1679_150:                           ; =>This Inner Loop Header: Depth=1
	s_or_b64 s[36:37], s[36:37], exec
	s_cmp_eq_u64 s[2:3], s[42:43]
	s_cbranch_scc0 .LBB1679_148
; %bb.151:                              ;   in Loop: Header=BB1679_150 Depth=1
                                        ; implicit-def: $vgpr14_vgpr15
                                        ; implicit-def: $vgpr16_vgpr17
	s_mov_b64 s[42:43], s[26:27]
	s_branch .LBB1679_149
.LBB1679_152:
	s_or_b64 exec, exec, s[8:9]
	v_cmp_gt_i64_e32 vcc, s[26:27], v[18:19]
	s_orn2_b64 s[36:37], vcc, exec
.LBB1679_153:
	s_or_b64 exec, exec, s[40:41]
.LBB1679_154:
	v_mul_lo_u32 v16, v7, s26
	v_mul_lo_u32 v17, v6, s27
	v_mad_u64_u32 v[14:15], s[2:3], v6, s26, 0
	v_add3_u32 v15, v15, v17, v16
	s_and_b64 vcc, exec, s[0:1]
	s_mov_b64 s[42:43], 0
	s_cbranch_vccnz .LBB1679_163
; %bb.155:
	v_lshlrev_b64 v[16:17], 3, v[14:15]
	v_mov_b32_e32 v19, s29
	v_add_co_u32_e32 v18, vcc, s28, v16
	v_addc_co_u32_e64 v19, s[2:3], v19, v17, vcc
	v_mov_b32_e32 v16, s29
	v_add_co_u32_e64 v20, s[2:3], s28, v12
	v_addc_co_u32_e64 v21, s[8:9], v16, v13, s[2:3]
	global_load_dwordx2 v[28:29], v[18:19], off
	global_load_dwordx2 v[30:31], v[20:21], off
	s_mov_b64 s[42:43], -1
	s_waitcnt vmcnt(0)
	v_cmp_eq_u64_e64 s[8:9], v[28:29], v[30:31]
	s_and_saveexec_b64 s[40:41], s[8:9]
	s_cbranch_execz .LBB1679_162
; %bb.156:
	v_mov_b32_e32 v12, s29
	v_addc_co_u32_e64 v13, s[2:3], v13, v12, s[2:3]
	v_add_co_u32_e64 v12, s[2:3], 8, v20
	v_mov_b32_e32 v16, s29
	v_addc_co_u32_e64 v13, s[2:3], 0, v13, s[2:3]
	v_addc_co_u32_e32 v17, vcc, v17, v16, vcc
	v_add_co_u32_e32 v16, vcc, 8, v18
	s_add_u32 s2, s26, -1
	v_addc_co_u32_e32 v17, vcc, 0, v17, vcc
	s_addc_u32 s3, s27, -1
	s_mov_b64 s[8:9], 0
	s_mov_b64 s[44:45], 0
                                        ; implicit-def: $sgpr42_sgpr43
	s_branch .LBB1679_159
.LBB1679_157:                           ;   in Loop: Header=BB1679_159 Depth=1
	global_load_dwordx2 v[18:19], v[16:17], off
	global_load_dwordx2 v[20:21], v[12:13], off
	v_add_co_u32_e32 v12, vcc, 8, v12
	v_addc_co_u32_e32 v13, vcc, 0, v13, vcc
	v_add_co_u32_e32 v16, vcc, 8, v16
	v_addc_co_u32_e32 v17, vcc, 0, v17, vcc
	s_add_u32 s44, s44, 1
	s_addc_u32 s45, s45, 0
	s_andn2_b64 s[42:43], s[42:43], exec
	s_waitcnt vmcnt(0)
	v_cmp_ne_u64_e32 vcc, v[18:19], v[20:21]
	s_and_b64 s[46:47], vcc, exec
	s_or_b64 s[42:43], s[42:43], s[46:47]
.LBB1679_158:                           ;   in Loop: Header=BB1679_159 Depth=1
	s_and_b64 s[46:47], exec, s[42:43]
	s_or_b64 s[8:9], s[46:47], s[8:9]
	v_pk_mov_b32 v[18:19], s[44:45], s[44:45] op_sel:[0,1]
	s_andn2_b64 exec, exec, s[8:9]
	s_cbranch_execz .LBB1679_161
.LBB1679_159:                           ; =>This Inner Loop Header: Depth=1
	s_or_b64 s[42:43], s[42:43], exec
	s_cmp_eq_u64 s[2:3], s[44:45]
	s_cbranch_scc0 .LBB1679_157
; %bb.160:                              ;   in Loop: Header=BB1679_159 Depth=1
                                        ; implicit-def: $vgpr12_vgpr13
                                        ; implicit-def: $vgpr16_vgpr17
	s_mov_b64 s[44:45], s[26:27]
	s_branch .LBB1679_158
.LBB1679_161:
	s_or_b64 exec, exec, s[8:9]
	v_cmp_gt_i64_e32 vcc, s[26:27], v[18:19]
	s_orn2_b64 s[42:43], vcc, exec
.LBB1679_162:
	s_or_b64 exec, exec, s[40:41]
.LBB1679_163:
	v_cndmask_b32_e64 v13, 0, 1, s[38:39]
	v_cndmask_b32_e64 v16, 0, 1, s[42:43]
	;; [unrolled: 1-line block ×3, first 2 shown]
	v_lshlrev_b16_e32 v16, 8, v16
	v_lshlrev_b16_e32 v13, 8, v13
	v_or_b32_e32 v16, 1, v16
	v_or_b32_sdwa v12, v12, v13 dst_sel:WORD_1 dst_unused:UNUSED_PAD src0_sel:DWORD src1_sel:DWORD
	v_or_b32_sdwa v12, v16, v12 dst_sel:DWORD dst_unused:UNUSED_PAD src0_sel:WORD_0 src1_sel:DWORD
	v_cndmask_b32_e64 v13, 0, 1, s[18:19]
	v_cmp_ne_u32_e32 vcc, 0, v0
	s_waitcnt lgkmcnt(0)
	s_barrier
	s_waitcnt lgkmcnt(0)
                                        ; implicit-def: $sgpr18_sgpr19
                                        ; implicit-def: $vgpr16
	s_and_saveexec_b64 s[2:3], vcc
	s_xor_b64 s[8:9], exec, s[2:3]
	s_cbranch_execz .LBB1679_174
; %bb.164:
	s_mov_b32 s33, 0x3020104
	s_and_b64 vcc, exec, s[0:1]
	s_mov_b64 s[36:37], 0
	s_cbranch_vccnz .LBB1679_173
; %bb.165:
	v_add_u32_e32 v16, -8, v26
	ds_read_b64 v[16:17], v16
	v_mov_b32_e32 v19, s29
	v_lshlrev_b64 v[14:15], 3, v[14:15]
	s_mov_b64 s[36:37], -1
	s_waitcnt lgkmcnt(0)
	v_mul_lo_u32 v18, v17, s26
	v_mul_lo_u32 v20, v16, s27
	v_mad_u64_u32 v[16:17], s[0:1], v16, s26, 0
	v_add3_u32 v17, v17, v20, v18
	v_lshlrev_b64 v[16:17], 3, v[16:17]
	v_add_co_u32_e32 v18, vcc, s28, v16
	v_addc_co_u32_e64 v19, s[0:1], v19, v17, vcc
	v_mov_b32_e32 v16, s29
	v_add_co_u32_e64 v20, s[0:1], s28, v14
	v_addc_co_u32_e64 v21, s[2:3], v16, v15, s[0:1]
	global_load_dwordx2 v[28:29], v[18:19], off
	global_load_dwordx2 v[30:31], v[20:21], off
	s_waitcnt vmcnt(0)
	v_cmp_eq_u64_e64 s[2:3], v[28:29], v[30:31]
	s_and_saveexec_b64 s[18:19], s[2:3]
	s_cbranch_execz .LBB1679_172
; %bb.166:
	v_mov_b32_e32 v14, s29
	v_addc_co_u32_e64 v15, s[0:1], v15, v14, s[0:1]
	v_add_co_u32_e64 v14, s[0:1], 8, v20
	v_mov_b32_e32 v16, s29
	v_addc_co_u32_e64 v15, s[0:1], 0, v15, s[0:1]
	v_addc_co_u32_e32 v17, vcc, v17, v16, vcc
	v_add_co_u32_e32 v16, vcc, 8, v18
	s_add_u32 s0, s26, -1
	v_addc_co_u32_e32 v17, vcc, 0, v17, vcc
	s_addc_u32 s1, s27, -1
	s_mov_b64 s[2:3], 0
	s_mov_b64 s[38:39], 0
                                        ; implicit-def: $sgpr36_sgpr37
	s_branch .LBB1679_169
.LBB1679_167:                           ;   in Loop: Header=BB1679_169 Depth=1
	global_load_dwordx2 v[18:19], v[16:17], off
	global_load_dwordx2 v[20:21], v[14:15], off
	v_add_co_u32_e32 v14, vcc, 8, v14
	v_addc_co_u32_e32 v15, vcc, 0, v15, vcc
	v_add_co_u32_e32 v16, vcc, 8, v16
	v_addc_co_u32_e32 v17, vcc, 0, v17, vcc
	s_add_u32 s38, s38, 1
	s_addc_u32 s39, s39, 0
	s_andn2_b64 s[36:37], s[36:37], exec
	s_waitcnt vmcnt(0)
	v_cmp_ne_u64_e32 vcc, v[18:19], v[20:21]
	s_and_b64 s[40:41], vcc, exec
	s_or_b64 s[36:37], s[36:37], s[40:41]
.LBB1679_168:                           ;   in Loop: Header=BB1679_169 Depth=1
	s_and_b64 s[40:41], exec, s[36:37]
	s_or_b64 s[2:3], s[40:41], s[2:3]
	v_pk_mov_b32 v[18:19], s[38:39], s[38:39] op_sel:[0,1]
	s_andn2_b64 exec, exec, s[2:3]
	s_cbranch_execz .LBB1679_171
.LBB1679_169:                           ; =>This Inner Loop Header: Depth=1
	s_or_b64 s[36:37], s[36:37], exec
	s_cmp_eq_u64 s[0:1], s[38:39]
	s_cbranch_scc0 .LBB1679_167
; %bb.170:                              ;   in Loop: Header=BB1679_169 Depth=1
                                        ; implicit-def: $vgpr14_vgpr15
                                        ; implicit-def: $vgpr16_vgpr17
	s_mov_b64 s[38:39], s[26:27]
	s_branch .LBB1679_168
.LBB1679_171:
	s_or_b64 exec, exec, s[2:3]
	v_cmp_gt_i64_e32 vcc, s[26:27], v[18:19]
	s_orn2_b64 s[36:37], vcc, exec
.LBB1679_172:
	s_or_b64 exec, exec, s[18:19]
.LBB1679_173:
	v_perm_b32 v16, v12, v12, s33
	s_and_b64 s[18:19], s[36:37], exec
	s_or_b64 s[12:13], s[12:13], exec
.LBB1679_174:
	s_or_b64 exec, exec, s[8:9]
	s_branch .LBB1679_233
.LBB1679_175:
	v_cmp_gt_u32_e32 vcc, s7, v23
	s_mov_b64 s[18:19], 0
	s_mov_b64 s[8:9], 0
	s_and_saveexec_b64 s[36:37], vcc
	s_cbranch_execz .LBB1679_186
; %bb.176:
	s_andn2_b64 vcc, exec, s[14:15]
	s_mov_b64 s[38:39], 0
	s_cbranch_vccnz .LBB1679_185
; %bb.177:
	v_mul_lo_u32 v14, v5, s26
	v_mul_lo_u32 v15, v4, s27
	v_mad_u64_u32 v[12:13], s[0:1], v4, s26, 0
	v_add3_u32 v13, v13, v15, v14
	v_mul_lo_u32 v14, v11, s26
	v_mul_lo_u32 v15, v10, s27
	v_mad_u64_u32 v[18:19], s[0:1], v10, s26, 0
	v_add3_u32 v19, v19, v15, v14
	v_lshlrev_b64 v[14:15], 3, v[12:13]
	v_mov_b32_e32 v12, s29
	v_add_co_u32_e32 v16, vcc, s28, v14
	v_addc_co_u32_e64 v17, s[0:1], v12, v15, vcc
	v_lshlrev_b64 v[12:13], 3, v[18:19]
	v_mov_b32_e32 v14, s29
	v_add_co_u32_e64 v18, s[0:1], s28, v12
	v_addc_co_u32_e64 v19, s[2:3], v14, v13, s[0:1]
	global_load_dwordx2 v[20:21], v[16:17], off
	global_load_dwordx2 v[28:29], v[18:19], off
	s_mov_b64 s[38:39], -1
	s_waitcnt vmcnt(0)
	v_cmp_eq_u64_e64 s[2:3], v[20:21], v[28:29]
	s_and_saveexec_b64 s[8:9], s[2:3]
	s_cbranch_execz .LBB1679_184
; %bb.178:
	v_mov_b32_e32 v12, s29
	v_addc_co_u32_e64 v13, s[0:1], v13, v12, s[0:1]
	v_add_co_u32_e64 v12, s[0:1], 8, v18
	v_mov_b32_e32 v14, s29
	v_addc_co_u32_e64 v13, s[0:1], 0, v13, s[0:1]
	v_addc_co_u32_e32 v15, vcc, v15, v14, vcc
	v_add_co_u32_e32 v14, vcc, 8, v16
	s_add_u32 s0, s26, -1
	v_addc_co_u32_e32 v15, vcc, 0, v15, vcc
	s_addc_u32 s1, s27, -1
	s_mov_b64 s[2:3], 0
	s_mov_b64 s[40:41], 0
                                        ; implicit-def: $sgpr38_sgpr39
	s_branch .LBB1679_181
.LBB1679_179:                           ;   in Loop: Header=BB1679_181 Depth=1
	global_load_dwordx2 v[16:17], v[14:15], off
	global_load_dwordx2 v[18:19], v[12:13], off
	v_add_co_u32_e32 v12, vcc, 8, v12
	v_addc_co_u32_e32 v13, vcc, 0, v13, vcc
	v_add_co_u32_e32 v14, vcc, 8, v14
	v_addc_co_u32_e32 v15, vcc, 0, v15, vcc
	s_add_u32 s40, s40, 1
	s_addc_u32 s41, s41, 0
	s_andn2_b64 s[38:39], s[38:39], exec
	s_waitcnt vmcnt(0)
	v_cmp_ne_u64_e32 vcc, v[16:17], v[18:19]
	s_and_b64 s[42:43], vcc, exec
	s_or_b64 s[38:39], s[38:39], s[42:43]
.LBB1679_180:                           ;   in Loop: Header=BB1679_181 Depth=1
	s_and_b64 s[42:43], exec, s[38:39]
	s_or_b64 s[2:3], s[42:43], s[2:3]
	v_pk_mov_b32 v[16:17], s[40:41], s[40:41] op_sel:[0,1]
	s_andn2_b64 exec, exec, s[2:3]
	s_cbranch_execz .LBB1679_183
.LBB1679_181:                           ; =>This Inner Loop Header: Depth=1
	s_or_b64 s[38:39], s[38:39], exec
	s_cmp_eq_u64 s[0:1], s[40:41]
	s_cbranch_scc0 .LBB1679_179
; %bb.182:                              ;   in Loop: Header=BB1679_181 Depth=1
                                        ; implicit-def: $vgpr12_vgpr13
                                        ; implicit-def: $vgpr14_vgpr15
	s_mov_b64 s[40:41], s[26:27]
	s_branch .LBB1679_180
.LBB1679_183:
	s_or_b64 exec, exec, s[2:3]
	v_cmp_gt_i64_e32 vcc, s[26:27], v[16:17]
	s_orn2_b64 s[38:39], vcc, exec
.LBB1679_184:
	s_or_b64 exec, exec, s[8:9]
.LBB1679_185:
	s_and_b64 s[8:9], s[38:39], exec
.LBB1679_186:
	s_or_b64 exec, exec, s[36:37]
	v_cmp_gt_u32_e32 vcc, s7, v25
	s_and_saveexec_b64 s[36:37], vcc
	s_cbranch_execz .LBB1679_197
; %bb.187:
	s_andn2_b64 vcc, exec, s[14:15]
	s_mov_b64 s[38:39], 0
	s_cbranch_vccnz .LBB1679_196
; %bb.188:
	v_mul_lo_u32 v14, v3, s26
	v_mul_lo_u32 v15, v2, s27
	v_mad_u64_u32 v[12:13], s[0:1], v2, s26, 0
	v_add3_u32 v13, v13, v15, v14
	v_mul_lo_u32 v14, v5, s26
	v_mul_lo_u32 v15, v4, s27
	v_mad_u64_u32 v[18:19], s[0:1], v4, s26, 0
	v_add3_u32 v19, v19, v15, v14
	v_lshlrev_b64 v[14:15], 3, v[12:13]
	v_mov_b32_e32 v12, s29
	v_add_co_u32_e32 v16, vcc, s28, v14
	v_addc_co_u32_e64 v17, s[0:1], v12, v15, vcc
	v_lshlrev_b64 v[12:13], 3, v[18:19]
	v_mov_b32_e32 v14, s29
	v_add_co_u32_e64 v18, s[0:1], s28, v12
	v_addc_co_u32_e64 v19, s[2:3], v14, v13, s[0:1]
	global_load_dwordx2 v[20:21], v[16:17], off
	global_load_dwordx2 v[28:29], v[18:19], off
	s_mov_b64 s[38:39], -1
	s_waitcnt vmcnt(0)
	v_cmp_eq_u64_e64 s[2:3], v[20:21], v[28:29]
	s_and_saveexec_b64 s[18:19], s[2:3]
	s_cbranch_execz .LBB1679_195
; %bb.189:
	v_mov_b32_e32 v12, s29
	v_addc_co_u32_e64 v13, s[0:1], v13, v12, s[0:1]
	v_add_co_u32_e64 v12, s[0:1], 8, v18
	v_mov_b32_e32 v14, s29
	v_addc_co_u32_e64 v13, s[0:1], 0, v13, s[0:1]
	v_addc_co_u32_e32 v15, vcc, v15, v14, vcc
	v_add_co_u32_e32 v14, vcc, 8, v16
	s_add_u32 s0, s26, -1
	v_addc_co_u32_e32 v15, vcc, 0, v15, vcc
	s_addc_u32 s1, s27, -1
	s_mov_b64 s[2:3], 0
	s_mov_b64 s[40:41], 0
                                        ; implicit-def: $sgpr38_sgpr39
	s_branch .LBB1679_192
.LBB1679_190:                           ;   in Loop: Header=BB1679_192 Depth=1
	global_load_dwordx2 v[16:17], v[14:15], off
	global_load_dwordx2 v[18:19], v[12:13], off
	v_add_co_u32_e32 v12, vcc, 8, v12
	v_addc_co_u32_e32 v13, vcc, 0, v13, vcc
	v_add_co_u32_e32 v14, vcc, 8, v14
	v_addc_co_u32_e32 v15, vcc, 0, v15, vcc
	s_add_u32 s40, s40, 1
	s_addc_u32 s41, s41, 0
	s_andn2_b64 s[38:39], s[38:39], exec
	s_waitcnt vmcnt(0)
	v_cmp_ne_u64_e32 vcc, v[16:17], v[18:19]
	s_and_b64 s[42:43], vcc, exec
	s_or_b64 s[38:39], s[38:39], s[42:43]
.LBB1679_191:                           ;   in Loop: Header=BB1679_192 Depth=1
	s_and_b64 s[42:43], exec, s[38:39]
	s_or_b64 s[2:3], s[42:43], s[2:3]
	v_pk_mov_b32 v[16:17], s[40:41], s[40:41] op_sel:[0,1]
	s_andn2_b64 exec, exec, s[2:3]
	s_cbranch_execz .LBB1679_194
.LBB1679_192:                           ; =>This Inner Loop Header: Depth=1
	s_or_b64 s[38:39], s[38:39], exec
	s_cmp_eq_u64 s[0:1], s[40:41]
	s_cbranch_scc0 .LBB1679_190
; %bb.193:                              ;   in Loop: Header=BB1679_192 Depth=1
                                        ; implicit-def: $vgpr12_vgpr13
                                        ; implicit-def: $vgpr14_vgpr15
	s_mov_b64 s[40:41], s[26:27]
	s_branch .LBB1679_191
.LBB1679_194:
	s_or_b64 exec, exec, s[2:3]
	v_cmp_gt_i64_e32 vcc, s[26:27], v[16:17]
	s_orn2_b64 s[38:39], vcc, exec
.LBB1679_195:
	s_or_b64 exec, exec, s[18:19]
.LBB1679_196:
	s_and_b64 s[18:19], s[38:39], exec
.LBB1679_197:
	s_or_b64 exec, exec, s[36:37]
	v_cmp_gt_u32_e32 vcc, s7, v22
	s_mov_b64 s[36:37], 0
	s_mov_b64 s[38:39], 0
	s_and_saveexec_b64 s[40:41], vcc
	s_cbranch_execz .LBB1679_208
; %bb.198:
	s_andn2_b64 vcc, exec, s[14:15]
	s_mov_b64 s[42:43], 0
	s_cbranch_vccnz .LBB1679_207
; %bb.199:
	v_mul_lo_u32 v14, v9, s26
	v_mul_lo_u32 v15, v8, s27
	v_mad_u64_u32 v[12:13], s[0:1], v8, s26, 0
	v_add3_u32 v13, v13, v15, v14
	v_mul_lo_u32 v14, v3, s26
	v_mul_lo_u32 v15, v2, s27
	v_mad_u64_u32 v[18:19], s[0:1], v2, s26, 0
	v_add3_u32 v19, v19, v15, v14
	v_lshlrev_b64 v[14:15], 3, v[12:13]
	v_mov_b32_e32 v12, s29
	v_add_co_u32_e32 v16, vcc, s28, v14
	v_addc_co_u32_e64 v17, s[0:1], v12, v15, vcc
	v_lshlrev_b64 v[12:13], 3, v[18:19]
	v_mov_b32_e32 v14, s29
	v_add_co_u32_e64 v18, s[0:1], s28, v12
	v_addc_co_u32_e64 v19, s[2:3], v14, v13, s[0:1]
	global_load_dwordx2 v[20:21], v[16:17], off
	global_load_dwordx2 v[28:29], v[18:19], off
	s_mov_b64 s[42:43], -1
	s_waitcnt vmcnt(0)
	v_cmp_eq_u64_e64 s[2:3], v[20:21], v[28:29]
	s_and_saveexec_b64 s[38:39], s[2:3]
	s_cbranch_execz .LBB1679_206
; %bb.200:
	v_mov_b32_e32 v12, s29
	v_addc_co_u32_e64 v13, s[0:1], v13, v12, s[0:1]
	v_add_co_u32_e64 v12, s[0:1], 8, v18
	v_mov_b32_e32 v14, s29
	v_addc_co_u32_e64 v13, s[0:1], 0, v13, s[0:1]
	v_addc_co_u32_e32 v15, vcc, v15, v14, vcc
	v_add_co_u32_e32 v14, vcc, 8, v16
	s_add_u32 s0, s26, -1
	v_addc_co_u32_e32 v15, vcc, 0, v15, vcc
	s_addc_u32 s1, s27, -1
	s_mov_b64 s[2:3], 0
	s_mov_b64 s[44:45], 0
                                        ; implicit-def: $sgpr42_sgpr43
	s_branch .LBB1679_203
.LBB1679_201:                           ;   in Loop: Header=BB1679_203 Depth=1
	global_load_dwordx2 v[16:17], v[14:15], off
	global_load_dwordx2 v[18:19], v[12:13], off
	v_add_co_u32_e32 v12, vcc, 8, v12
	v_addc_co_u32_e32 v13, vcc, 0, v13, vcc
	v_add_co_u32_e32 v14, vcc, 8, v14
	v_addc_co_u32_e32 v15, vcc, 0, v15, vcc
	s_add_u32 s44, s44, 1
	s_addc_u32 s45, s45, 0
	s_andn2_b64 s[42:43], s[42:43], exec
	s_waitcnt vmcnt(0)
	v_cmp_ne_u64_e32 vcc, v[16:17], v[18:19]
	s_and_b64 s[46:47], vcc, exec
	s_or_b64 s[42:43], s[42:43], s[46:47]
.LBB1679_202:                           ;   in Loop: Header=BB1679_203 Depth=1
	s_and_b64 s[46:47], exec, s[42:43]
	s_or_b64 s[2:3], s[46:47], s[2:3]
	v_pk_mov_b32 v[16:17], s[44:45], s[44:45] op_sel:[0,1]
	s_andn2_b64 exec, exec, s[2:3]
	s_cbranch_execz .LBB1679_205
.LBB1679_203:                           ; =>This Inner Loop Header: Depth=1
	s_or_b64 s[42:43], s[42:43], exec
	s_cmp_eq_u64 s[0:1], s[44:45]
	s_cbranch_scc0 .LBB1679_201
; %bb.204:                              ;   in Loop: Header=BB1679_203 Depth=1
                                        ; implicit-def: $vgpr12_vgpr13
                                        ; implicit-def: $vgpr14_vgpr15
	s_mov_b64 s[44:45], s[26:27]
	s_branch .LBB1679_202
.LBB1679_205:
	s_or_b64 exec, exec, s[2:3]
	v_cmp_gt_i64_e32 vcc, s[26:27], v[16:17]
	s_orn2_b64 s[42:43], vcc, exec
.LBB1679_206:
	s_or_b64 exec, exec, s[38:39]
.LBB1679_207:
	s_and_b64 s[38:39], s[42:43], exec
.LBB1679_208:
	s_or_b64 exec, exec, s[40:41]
	v_cmp_gt_u32_e32 vcc, s7, v24
	s_and_saveexec_b64 s[40:41], vcc
	s_cbranch_execz .LBB1679_219
; %bb.209:
	s_andn2_b64 vcc, exec, s[14:15]
	s_mov_b64 s[42:43], 0
	s_cbranch_vccnz .LBB1679_218
; %bb.210:
	v_mul_lo_u32 v14, v7, s26
	v_mul_lo_u32 v15, v6, s27
	v_mad_u64_u32 v[12:13], s[0:1], v6, s26, 0
	v_add3_u32 v13, v13, v15, v14
	v_mul_lo_u32 v14, v9, s26
	v_mul_lo_u32 v15, v8, s27
	v_mad_u64_u32 v[18:19], s[0:1], v8, s26, 0
	v_add3_u32 v19, v19, v15, v14
	v_lshlrev_b64 v[14:15], 3, v[12:13]
	v_mov_b32_e32 v12, s29
	v_add_co_u32_e32 v16, vcc, s28, v14
	v_addc_co_u32_e64 v17, s[0:1], v12, v15, vcc
	v_lshlrev_b64 v[12:13], 3, v[18:19]
	v_mov_b32_e32 v14, s29
	v_add_co_u32_e64 v18, s[0:1], s28, v12
	v_addc_co_u32_e64 v19, s[2:3], v14, v13, s[0:1]
	global_load_dwordx2 v[20:21], v[16:17], off
	global_load_dwordx2 v[28:29], v[18:19], off
	s_mov_b64 s[42:43], -1
	s_waitcnt vmcnt(0)
	v_cmp_eq_u64_e64 s[2:3], v[20:21], v[28:29]
	s_and_saveexec_b64 s[36:37], s[2:3]
	s_cbranch_execz .LBB1679_217
; %bb.211:
	v_mov_b32_e32 v12, s29
	v_addc_co_u32_e64 v13, s[0:1], v13, v12, s[0:1]
	v_add_co_u32_e64 v12, s[0:1], 8, v18
	v_mov_b32_e32 v14, s29
	v_addc_co_u32_e64 v13, s[0:1], 0, v13, s[0:1]
	v_addc_co_u32_e32 v15, vcc, v15, v14, vcc
	v_add_co_u32_e32 v14, vcc, 8, v16
	s_add_u32 s0, s26, -1
	v_addc_co_u32_e32 v15, vcc, 0, v15, vcc
	s_addc_u32 s1, s27, -1
	s_mov_b64 s[2:3], 0
	s_mov_b64 s[44:45], 0
                                        ; implicit-def: $sgpr42_sgpr43
	s_branch .LBB1679_214
.LBB1679_212:                           ;   in Loop: Header=BB1679_214 Depth=1
	global_load_dwordx2 v[16:17], v[14:15], off
	global_load_dwordx2 v[18:19], v[12:13], off
	v_add_co_u32_e32 v12, vcc, 8, v12
	v_addc_co_u32_e32 v13, vcc, 0, v13, vcc
	v_add_co_u32_e32 v14, vcc, 8, v14
	v_addc_co_u32_e32 v15, vcc, 0, v15, vcc
	s_add_u32 s44, s44, 1
	s_addc_u32 s45, s45, 0
	s_andn2_b64 s[42:43], s[42:43], exec
	s_waitcnt vmcnt(0)
	v_cmp_ne_u64_e32 vcc, v[16:17], v[18:19]
	s_and_b64 s[46:47], vcc, exec
	s_or_b64 s[42:43], s[42:43], s[46:47]
.LBB1679_213:                           ;   in Loop: Header=BB1679_214 Depth=1
	s_and_b64 s[46:47], exec, s[42:43]
	s_or_b64 s[2:3], s[46:47], s[2:3]
	v_pk_mov_b32 v[16:17], s[44:45], s[44:45] op_sel:[0,1]
	s_andn2_b64 exec, exec, s[2:3]
	s_cbranch_execz .LBB1679_216
.LBB1679_214:                           ; =>This Inner Loop Header: Depth=1
	s_or_b64 s[42:43], s[42:43], exec
	s_cmp_eq_u64 s[0:1], s[44:45]
	s_cbranch_scc0 .LBB1679_212
; %bb.215:                              ;   in Loop: Header=BB1679_214 Depth=1
                                        ; implicit-def: $vgpr12_vgpr13
                                        ; implicit-def: $vgpr14_vgpr15
	s_mov_b64 s[44:45], s[26:27]
	s_branch .LBB1679_213
.LBB1679_216:
	s_or_b64 exec, exec, s[2:3]
	v_cmp_gt_i64_e32 vcc, s[26:27], v[16:17]
	s_orn2_b64 s[42:43], vcc, exec
.LBB1679_217:
	s_or_b64 exec, exec, s[36:37]
.LBB1679_218:
	s_and_b64 s[36:37], s[42:43], exec
.LBB1679_219:
	s_or_b64 exec, exec, s[40:41]
	v_cndmask_b32_e64 v13, 0, 1, s[18:19]
	v_cndmask_b32_e64 v14, 0, 1, s[36:37]
	;; [unrolled: 1-line block ×3, first 2 shown]
	v_lshlrev_b16_e32 v14, 8, v14
	v_lshlrev_b16_e32 v13, 8, v13
	v_or_b32_e32 v14, 1, v14
	v_or_b32_sdwa v12, v12, v13 dst_sel:WORD_1 dst_unused:UNUSED_PAD src0_sel:DWORD src1_sel:DWORD
	v_or_b32_sdwa v12, v14, v12 dst_sel:DWORD dst_unused:UNUSED_PAD src0_sel:WORD_0 src1_sel:DWORD
	v_cndmask_b32_e64 v13, 0, 1, s[8:9]
	v_cmp_ne_u32_e32 vcc, 0, v0
	s_waitcnt lgkmcnt(0)
	s_barrier
	s_waitcnt lgkmcnt(0)
                                        ; implicit-def: $sgpr18_sgpr19
                                        ; implicit-def: $vgpr16
	s_and_saveexec_b64 s[8:9], vcc
	s_cbranch_execz .LBB1679_232
; %bb.220:
	v_cmp_gt_u32_e32 vcc, s7, v1
	s_mov_b32 s33, 0x3020104
	s_mov_b64 s[0:1], 0
	s_and_saveexec_b64 s[18:19], vcc
	s_cbranch_execz .LBB1679_231
; %bb.221:
	s_andn2_b64 vcc, exec, s[14:15]
	s_mov_b64 s[36:37], 0
	s_cbranch_vccnz .LBB1679_230
; %bb.222:
	v_add_u32_e32 v14, -8, v26
	ds_read_b64 v[14:15], v14
	v_mul_lo_u32 v16, v7, s26
	v_mad_u64_u32 v[20:21], s[0:1], v6, s26, 0
	s_mov_b64 s[36:37], -1
	s_waitcnt lgkmcnt(0)
	v_mul_lo_u32 v17, v15, s26
	v_mul_lo_u32 v18, v14, s27
	v_mad_u64_u32 v[14:15], s[0:1], v14, s26, 0
	v_add3_u32 v15, v15, v18, v17
	v_mul_lo_u32 v17, v6, s27
	v_add3_u32 v21, v21, v17, v16
	v_lshlrev_b64 v[16:17], 3, v[14:15]
	v_mov_b32_e32 v14, s29
	v_add_co_u32_e32 v18, vcc, s28, v16
	v_addc_co_u32_e64 v19, s[0:1], v14, v17, vcc
	v_lshlrev_b64 v[14:15], 3, v[20:21]
	v_mov_b32_e32 v16, s29
	v_add_co_u32_e64 v20, s[0:1], s28, v14
	v_addc_co_u32_e64 v21, s[2:3], v16, v15, s[0:1]
	global_load_dwordx2 v[26:27], v[18:19], off
	global_load_dwordx2 v[28:29], v[20:21], off
	s_waitcnt vmcnt(0)
	v_cmp_eq_u64_e64 s[2:3], v[26:27], v[28:29]
	s_and_saveexec_b64 s[14:15], s[2:3]
	s_cbranch_execz .LBB1679_229
; %bb.223:
	v_mov_b32_e32 v14, s29
	v_addc_co_u32_e64 v15, s[0:1], v15, v14, s[0:1]
	v_add_co_u32_e64 v14, s[0:1], 8, v20
	v_mov_b32_e32 v16, s29
	v_addc_co_u32_e64 v15, s[0:1], 0, v15, s[0:1]
	v_addc_co_u32_e32 v17, vcc, v17, v16, vcc
	v_add_co_u32_e32 v16, vcc, 8, v18
	s_add_u32 s0, s26, -1
	v_addc_co_u32_e32 v17, vcc, 0, v17, vcc
	s_addc_u32 s1, s27, -1
	s_mov_b64 s[2:3], 0
	s_mov_b64 s[36:37], 0
                                        ; implicit-def: $sgpr28_sgpr29
	s_branch .LBB1679_226
.LBB1679_224:                           ;   in Loop: Header=BB1679_226 Depth=1
	global_load_dwordx2 v[18:19], v[16:17], off
	global_load_dwordx2 v[20:21], v[14:15], off
	v_add_co_u32_e32 v14, vcc, 8, v14
	v_addc_co_u32_e32 v15, vcc, 0, v15, vcc
	v_add_co_u32_e32 v16, vcc, 8, v16
	v_addc_co_u32_e32 v17, vcc, 0, v17, vcc
	s_add_u32 s36, s36, 1
	s_addc_u32 s37, s37, 0
	s_andn2_b64 s[28:29], s[28:29], exec
	s_waitcnt vmcnt(0)
	v_cmp_ne_u64_e32 vcc, v[18:19], v[20:21]
	s_and_b64 s[38:39], vcc, exec
	s_or_b64 s[28:29], s[28:29], s[38:39]
.LBB1679_225:                           ;   in Loop: Header=BB1679_226 Depth=1
	s_and_b64 s[38:39], exec, s[28:29]
	s_or_b64 s[2:3], s[38:39], s[2:3]
	v_pk_mov_b32 v[18:19], s[36:37], s[36:37] op_sel:[0,1]
	s_andn2_b64 exec, exec, s[2:3]
	s_cbranch_execz .LBB1679_228
.LBB1679_226:                           ; =>This Inner Loop Header: Depth=1
	s_or_b64 s[28:29], s[28:29], exec
	s_cmp_eq_u64 s[0:1], s[36:37]
	s_cbranch_scc0 .LBB1679_224
; %bb.227:                              ;   in Loop: Header=BB1679_226 Depth=1
                                        ; implicit-def: $vgpr14_vgpr15
                                        ; implicit-def: $vgpr16_vgpr17
	s_mov_b64 s[36:37], s[26:27]
	s_branch .LBB1679_225
.LBB1679_228:
	s_or_b64 exec, exec, s[2:3]
	v_cmp_gt_i64_e32 vcc, s[26:27], v[18:19]
	s_orn2_b64 s[36:37], vcc, exec
.LBB1679_229:
	s_or_b64 exec, exec, s[14:15]
.LBB1679_230:
	s_and_b64 s[0:1], s[36:37], exec
.LBB1679_231:
	s_or_b64 exec, exec, s[18:19]
	v_perm_b32 v16, v12, v12, s33
	s_and_b64 s[18:19], s[0:1], exec
	s_or_b64 s[12:13], s[12:13], exec
.LBB1679_232:
	s_or_b64 exec, exec, s[8:9]
.LBB1679_233:
	s_and_saveexec_b64 s[0:1], s[12:13]
	s_cbranch_execz .LBB1679_235
; %bb.234:
	v_lshrrev_b32_e32 v14, 24, v16
	s_movk_i32 s2, 0xff
	v_lshlrev_b16_e32 v14, 8, v14
	v_and_b32_sdwa v15, v16, s2 dst_sel:DWORD dst_unused:UNUSED_PAD src0_sel:WORD_1 src1_sel:DWORD
	v_or_b32_sdwa v14, v15, v14 dst_sel:WORD_1 dst_unused:UNUSED_PAD src0_sel:DWORD src1_sel:DWORD
	v_mov_b32_e32 v15, 8
	v_cndmask_b32_e64 v12, 0, 1, s[18:19]
	v_lshrrev_b32_sdwa v15, v15, v16 dst_sel:BYTE_1 dst_unused:UNUSED_PAD src0_sel:DWORD src1_sel:DWORD
	v_or_b32_e32 v12, v12, v15
	s_mov_b32 s2, 0xffff
	v_or_b32_sdwa v12, v12, v14 dst_sel:DWORD dst_unused:UNUSED_PAD src0_sel:WORD_0 src1_sel:DWORD
	v_and_b32_sdwa v13, s2, v13 dst_sel:DWORD dst_unused:UNUSED_PAD src0_sel:DWORD src1_sel:BYTE_0
.LBB1679_235:
	s_or_b64 exec, exec, s[0:1]
	s_andn2_b64 vcc, exec, s[10:11]
	s_cbranch_vccnz .LBB1679_237
; %bb.236:
	v_cmp_gt_u32_e32 vcc, s7, v1
	v_cndmask_b32_e32 v1, 0, v12, vcc
	v_and_b32_e32 v1, 0xffff00ff, v1
	v_cmp_gt_u32_e64 s[0:1], s7, v24
	v_cndmask_b32_e64 v1, v1, v12, s[0:1]
	v_lshrrev_b32_e32 v14, 24, v1
	s_mov_b32 s2, 0x40c0100
	v_perm_b32 v1, v14, v1, s2
	v_cmp_gt_u32_e64 s[2:3], s7, v22
	v_cmp_gt_u32_e64 s[8:9], s7, v25
	v_cndmask_b32_e64 v1, v1, v12, s[2:3]
	s_or_b64 s[2:3], s[8:9], s[2:3]
	s_or_b64 s[0:1], s[2:3], s[0:1]
	s_or_b64 vcc, s[0:1], vcc
	v_and_b32_e32 v1, 0xffffff, v1
	v_cndmask_b32_e32 v14, 0, v13, vcc
	v_cndmask_b32_e64 v1, v1, v12, s[8:9]
	v_and_b32_e32 v14, 0xffffff00, v14
	v_cmp_gt_u32_e32 vcc, s7, v23
	v_cndmask_b32_e32 v1, v1, v12, vcc
	v_cndmask_b32_e32 v12, v14, v13, vcc
	s_mov_b32 s0, 0x3020104
	v_and_b32_e32 v13, 0xff, v12
	v_perm_b32 v12, v1, v1, s0
.LBB1679_237:
	v_and_b32_e32 v1, 0xff, v12
	v_bfe_u32 v25, v12, 8, 8
	v_bfe_u32 v27, v12, 16, 8
	v_alignbit_b32 v14, v13, v12, 24
	v_and_b32_e32 v28, 0xff, v14
	v_and_b32_e32 v14, 0xff, v13
	v_add3_u32 v15, v25, v1, v27
	v_add3_u32 v31, v15, v28, v14
	v_mbcnt_lo_u32_b32 v14, -1, 0
	v_mbcnt_hi_u32_b32 v29, -1, v14
	v_and_b32_e32 v14, 15, v29
	v_cmp_eq_u32_e64 s[14:15], 0, v14
	v_cmp_lt_u32_e64 s[12:13], 1, v14
	v_cmp_lt_u32_e64 s[10:11], 3, v14
	;; [unrolled: 1-line block ×3, first 2 shown]
	v_and_b32_e32 v14, 16, v29
	v_cmp_eq_u32_e64 s[18:19], 0, v14
	v_or_b32_e32 v14, 63, v0
	v_cmp_lt_u32_e64 s[0:1], 31, v29
	v_lshrrev_b32_e32 v30, 6, v0
	v_cmp_eq_u32_e64 s[2:3], v14, v0
	s_and_b64 vcc, exec, s[16:17]
	s_waitcnt lgkmcnt(0)
	s_barrier
	s_cbranch_vccz .LBB1679_268
; %bb.238:
	v_mov_b32_dpp v14, v31 row_shr:1 row_mask:0xf bank_mask:0xf
	v_cndmask_b32_e64 v14, v14, 0, s[14:15]
	v_add_u32_e32 v14, v14, v31
	s_nop 1
	v_mov_b32_dpp v15, v14 row_shr:2 row_mask:0xf bank_mask:0xf
	v_cndmask_b32_e64 v15, 0, v15, s[12:13]
	v_add_u32_e32 v14, v14, v15
	s_nop 1
	;; [unrolled: 4-line block ×4, first 2 shown]
	v_mov_b32_dpp v15, v14 row_bcast:15 row_mask:0xf bank_mask:0xf
	v_cndmask_b32_e64 v15, v15, 0, s[18:19]
	v_add_u32_e32 v14, v14, v15
	s_nop 1
	v_mov_b32_dpp v15, v14 row_bcast:31 row_mask:0xf bank_mask:0xf
	v_cndmask_b32_e64 v15, 0, v15, s[0:1]
	v_add_u32_e32 v14, v14, v15
	s_and_saveexec_b64 s[16:17], s[2:3]
	s_cbranch_execz .LBB1679_240
; %bb.239:
	v_lshlrev_b32_e32 v15, 2, v30
	ds_write_b32 v15, v14
.LBB1679_240:
	s_or_b64 exec, exec, s[16:17]
	v_cmp_gt_u32_e32 vcc, 4, v0
	s_waitcnt lgkmcnt(0)
	s_barrier
	s_and_saveexec_b64 s[16:17], vcc
	s_cbranch_execz .LBB1679_242
; %bb.241:
	v_lshlrev_b32_e32 v15, 2, v0
	ds_read_b32 v16, v15
	v_and_b32_e32 v17, 3, v29
	v_cmp_ne_u32_e32 vcc, 0, v17
	s_waitcnt lgkmcnt(0)
	v_mov_b32_dpp v18, v16 row_shr:1 row_mask:0xf bank_mask:0xf
	v_cndmask_b32_e32 v18, 0, v18, vcc
	v_add_u32_e32 v16, v18, v16
	v_cmp_lt_u32_e32 vcc, 1, v17
	s_nop 0
	v_mov_b32_dpp v18, v16 row_shr:2 row_mask:0xf bank_mask:0xf
	v_cndmask_b32_e32 v17, 0, v18, vcc
	v_add_u32_e32 v16, v16, v17
	ds_write_b32 v15, v16
.LBB1679_242:
	s_or_b64 exec, exec, s[16:17]
	v_cmp_gt_u32_e32 vcc, 64, v0
	v_cmp_lt_u32_e64 s[16:17], 63, v0
	s_waitcnt lgkmcnt(0)
	s_barrier
	s_waitcnt lgkmcnt(0)
                                        ; implicit-def: $vgpr24
	s_and_saveexec_b64 s[26:27], s[16:17]
	s_cbranch_execz .LBB1679_244
; %bb.243:
	v_lshl_add_u32 v15, v30, 2, -4
	ds_read_b32 v24, v15
	s_waitcnt lgkmcnt(0)
	v_add_u32_e32 v14, v24, v14
.LBB1679_244:
	s_or_b64 exec, exec, s[26:27]
	v_add_u32_e32 v15, -1, v29
	v_and_b32_e32 v16, 64, v29
	v_cmp_lt_i32_e64 s[16:17], v15, v16
	v_cndmask_b32_e64 v15, v15, v29, s[16:17]
	v_lshlrev_b32_e32 v15, 2, v15
	ds_bpermute_b32 v26, v15, v14
	v_cmp_eq_u32_e64 s[16:17], 0, v29
	s_and_saveexec_b64 s[26:27], vcc
	s_cbranch_execz .LBB1679_267
; %bb.245:
	v_mov_b32_e32 v23, 0
	ds_read_b32 v14, v23 offset:12
	s_and_saveexec_b64 s[28:29], s[16:17]
	s_cbranch_execz .LBB1679_247
; %bb.246:
	s_add_i32 s36, s6, 64
	s_mov_b32 s37, 0
	s_lshl_b64 s[36:37], s[36:37], 3
	s_add_u32 s36, s30, s36
	v_mov_b32_e32 v15, 1
	s_addc_u32 s37, s31, s37
	s_waitcnt lgkmcnt(0)
	global_store_dwordx2 v23, v[14:15], s[36:37]
.LBB1679_247:
	s_or_b64 exec, exec, s[28:29]
	v_xad_u32 v16, v29, -1, s6
	v_add_u32_e32 v22, 64, v16
	v_lshlrev_b64 v[18:19], 3, v[22:23]
	v_mov_b32_e32 v15, s31
	v_add_co_u32_e32 v18, vcc, s30, v18
	v_addc_co_u32_e32 v19, vcc, v15, v19, vcc
	global_load_dwordx2 v[20:21], v[18:19], off glc
	s_waitcnt vmcnt(0)
	v_cmp_eq_u16_sdwa s[36:37], v21, v23 src0_sel:BYTE_0 src1_sel:DWORD
	s_and_saveexec_b64 s[28:29], s[36:37]
	s_cbranch_execz .LBB1679_253
; %bb.248:
	s_mov_b32 s7, 1
	s_mov_b64 s[36:37], 0
	v_mov_b32_e32 v15, 0
.LBB1679_249:                           ; =>This Loop Header: Depth=1
                                        ;     Child Loop BB1679_250 Depth 2
	s_max_u32 s33, s7, 1
.LBB1679_250:                           ;   Parent Loop BB1679_249 Depth=1
                                        ; =>  This Inner Loop Header: Depth=2
	s_add_i32 s33, s33, -1
	s_cmp_eq_u32 s33, 0
	s_sleep 1
	s_cbranch_scc0 .LBB1679_250
; %bb.251:                              ;   in Loop: Header=BB1679_249 Depth=1
	global_load_dwordx2 v[20:21], v[18:19], off glc
	s_cmp_lt_u32 s7, 32
	s_cselect_b64 s[38:39], -1, 0
	s_cmp_lg_u64 s[38:39], 0
	s_addc_u32 s7, s7, 0
	s_waitcnt vmcnt(0)
	v_cmp_ne_u16_sdwa s[38:39], v21, v15 src0_sel:BYTE_0 src1_sel:DWORD
	s_or_b64 s[36:37], s[38:39], s[36:37]
	s_andn2_b64 exec, exec, s[36:37]
	s_cbranch_execnz .LBB1679_249
; %bb.252:
	s_or_b64 exec, exec, s[36:37]
.LBB1679_253:
	s_or_b64 exec, exec, s[28:29]
	v_and_b32_e32 v32, 63, v29
	v_mov_b32_e32 v15, 2
	v_cmp_ne_u32_e32 vcc, 63, v32
	v_cmp_eq_u16_sdwa s[28:29], v21, v15 src0_sel:BYTE_0 src1_sel:DWORD
	v_lshlrev_b64 v[18:19], v29, -1
	v_addc_co_u32_e32 v23, vcc, 0, v29, vcc
	v_and_b32_e32 v17, s29, v19
	v_lshlrev_b32_e32 v33, 2, v23
	v_or_b32_e32 v17, 0x80000000, v17
	ds_bpermute_b32 v23, v33, v20
	v_and_b32_e32 v22, s28, v18
	v_ffbl_b32_e32 v17, v17
	v_add_u32_e32 v17, 32, v17
	v_ffbl_b32_e32 v22, v22
	v_min_u32_e32 v17, v22, v17
	v_cmp_lt_u32_e32 vcc, v32, v17
	s_waitcnt lgkmcnt(0)
	v_cndmask_b32_e32 v22, 0, v23, vcc
	v_cmp_gt_u32_e32 vcc, 62, v32
	v_add_u32_e32 v20, v22, v20
	v_cndmask_b32_e64 v22, 0, 1, vcc
	v_lshlrev_b32_e32 v22, 1, v22
	v_add_lshl_u32 v34, v22, v29, 2
	ds_bpermute_b32 v22, v34, v20
	v_add_u32_e32 v35, 2, v32
	v_cmp_le_u32_e32 vcc, v35, v17
	v_add_u32_e32 v37, 4, v32
	v_add_u32_e32 v39, 8, v32
	s_waitcnt lgkmcnt(0)
	v_cndmask_b32_e32 v22, 0, v22, vcc
	v_cmp_gt_u32_e32 vcc, 60, v32
	v_add_u32_e32 v20, v20, v22
	v_cndmask_b32_e64 v22, 0, 1, vcc
	v_lshlrev_b32_e32 v22, 2, v22
	v_add_lshl_u32 v36, v22, v29, 2
	ds_bpermute_b32 v22, v36, v20
	v_cmp_le_u32_e32 vcc, v37, v17
	v_add_u32_e32 v42, 16, v32
	v_add_u32_e32 v44, 32, v32
	s_waitcnt lgkmcnt(0)
	v_cndmask_b32_e32 v22, 0, v22, vcc
	v_cmp_gt_u32_e32 vcc, 56, v32
	v_add_u32_e32 v20, v20, v22
	v_cndmask_b32_e64 v22, 0, 1, vcc
	v_lshlrev_b32_e32 v22, 3, v22
	v_add_lshl_u32 v38, v22, v29, 2
	ds_bpermute_b32 v22, v38, v20
	v_cmp_le_u32_e32 vcc, v39, v17
	s_waitcnt lgkmcnt(0)
	v_cndmask_b32_e32 v22, 0, v22, vcc
	v_cmp_gt_u32_e32 vcc, 48, v32
	v_add_u32_e32 v20, v20, v22
	v_cndmask_b32_e64 v22, 0, 1, vcc
	v_lshlrev_b32_e32 v22, 4, v22
	v_add_lshl_u32 v41, v22, v29, 2
	ds_bpermute_b32 v22, v41, v20
	v_cmp_le_u32_e32 vcc, v42, v17
	;; [unrolled: 9-line block ×3, first 2 shown]
	s_waitcnt lgkmcnt(0)
	v_cndmask_b32_e32 v17, 0, v22, vcc
	v_add_u32_e32 v20, v20, v17
	v_mov_b32_e32 v17, 0
	s_branch .LBB1679_255
.LBB1679_254:                           ;   in Loop: Header=BB1679_255 Depth=1
	s_or_b64 exec, exec, s[28:29]
	v_cmp_eq_u16_sdwa s[28:29], v21, v15 src0_sel:BYTE_0 src1_sel:DWORD
	v_and_b32_e32 v22, s29, v19
	v_or_b32_e32 v22, 0x80000000, v22
	ds_bpermute_b32 v45, v33, v20
	v_and_b32_e32 v23, s28, v18
	v_ffbl_b32_e32 v22, v22
	v_add_u32_e32 v22, 32, v22
	v_ffbl_b32_e32 v23, v23
	v_min_u32_e32 v22, v23, v22
	v_cmp_lt_u32_e32 vcc, v32, v22
	s_waitcnt lgkmcnt(0)
	v_cndmask_b32_e32 v23, 0, v45, vcc
	v_add_u32_e32 v20, v23, v20
	ds_bpermute_b32 v23, v34, v20
	v_cmp_le_u32_e32 vcc, v35, v22
	v_subrev_u32_e32 v16, 64, v16
	s_waitcnt lgkmcnt(0)
	v_cndmask_b32_e32 v23, 0, v23, vcc
	v_add_u32_e32 v20, v20, v23
	ds_bpermute_b32 v23, v36, v20
	v_cmp_le_u32_e32 vcc, v37, v22
	s_waitcnt lgkmcnt(0)
	v_cndmask_b32_e32 v23, 0, v23, vcc
	v_add_u32_e32 v20, v20, v23
	ds_bpermute_b32 v23, v38, v20
	v_cmp_le_u32_e32 vcc, v39, v22
	;; [unrolled: 5-line block ×4, first 2 shown]
	s_waitcnt lgkmcnt(0)
	v_cndmask_b32_e32 v22, 0, v23, vcc
	v_add3_u32 v20, v22, v40, v20
.LBB1679_255:                           ; =>This Loop Header: Depth=1
                                        ;     Child Loop BB1679_258 Depth 2
                                        ;       Child Loop BB1679_259 Depth 3
	v_cmp_ne_u16_sdwa s[28:29], v21, v15 src0_sel:BYTE_0 src1_sel:DWORD
	v_cndmask_b32_e64 v21, 0, 1, s[28:29]
	;;#ASMSTART
	;;#ASMEND
	v_cmp_ne_u32_e32 vcc, 0, v21
	s_cmp_lg_u64 vcc, exec
	v_mov_b32_e32 v40, v20
	s_cbranch_scc1 .LBB1679_262
; %bb.256:                              ;   in Loop: Header=BB1679_255 Depth=1
	v_lshlrev_b64 v[20:21], 3, v[16:17]
	v_mov_b32_e32 v23, s31
	v_add_co_u32_e32 v22, vcc, s30, v20
	v_addc_co_u32_e32 v23, vcc, v23, v21, vcc
	global_load_dwordx2 v[20:21], v[22:23], off glc
	s_waitcnt vmcnt(0)
	v_cmp_eq_u16_sdwa s[36:37], v21, v17 src0_sel:BYTE_0 src1_sel:DWORD
	s_and_saveexec_b64 s[28:29], s[36:37]
	s_cbranch_execz .LBB1679_254
; %bb.257:                              ;   in Loop: Header=BB1679_255 Depth=1
	s_mov_b32 s7, 1
	s_mov_b64 s[36:37], 0
.LBB1679_258:                           ;   Parent Loop BB1679_255 Depth=1
                                        ; =>  This Loop Header: Depth=2
                                        ;       Child Loop BB1679_259 Depth 3
	s_max_u32 s33, s7, 1
.LBB1679_259:                           ;   Parent Loop BB1679_255 Depth=1
                                        ;     Parent Loop BB1679_258 Depth=2
                                        ; =>    This Inner Loop Header: Depth=3
	s_add_i32 s33, s33, -1
	s_cmp_eq_u32 s33, 0
	s_sleep 1
	s_cbranch_scc0 .LBB1679_259
; %bb.260:                              ;   in Loop: Header=BB1679_258 Depth=2
	global_load_dwordx2 v[20:21], v[22:23], off glc
	s_cmp_lt_u32 s7, 32
	s_cselect_b64 s[38:39], -1, 0
	s_cmp_lg_u64 s[38:39], 0
	s_addc_u32 s7, s7, 0
	s_waitcnt vmcnt(0)
	v_cmp_ne_u16_sdwa s[38:39], v21, v17 src0_sel:BYTE_0 src1_sel:DWORD
	s_or_b64 s[36:37], s[38:39], s[36:37]
	s_andn2_b64 exec, exec, s[36:37]
	s_cbranch_execnz .LBB1679_258
; %bb.261:                              ;   in Loop: Header=BB1679_255 Depth=1
	s_or_b64 exec, exec, s[36:37]
	s_branch .LBB1679_254
.LBB1679_262:                           ;   in Loop: Header=BB1679_255 Depth=1
                                        ; implicit-def: $vgpr20
                                        ; implicit-def: $vgpr21
	s_cbranch_execz .LBB1679_255
; %bb.263:
	s_and_saveexec_b64 s[28:29], s[16:17]
	s_cbranch_execz .LBB1679_265
; %bb.264:
	s_add_i32 s6, s6, 64
	s_mov_b32 s7, 0
	s_lshl_b64 s[6:7], s[6:7], 3
	s_add_u32 s6, s30, s6
	v_add_u32_e32 v16, v40, v14
	v_mov_b32_e32 v17, 2
	s_addc_u32 s7, s31, s7
	v_mov_b32_e32 v15, 0
	global_store_dwordx2 v15, v[16:17], s[6:7]
	s_movk_i32 s6, 0x2800
	v_add_u32_e64 v15, s6, 0
	ds_write2_b32 v15, v14, v40 offset1:2
.LBB1679_265:
	s_or_b64 exec, exec, s[28:29]
	v_cmp_eq_u32_e32 vcc, 0, v0
	s_and_b64 exec, exec, vcc
	s_cbranch_execz .LBB1679_267
; %bb.266:
	v_mov_b32_e32 v14, 0
	ds_write_b32 v14, v40 offset:12
.LBB1679_267:
	s_or_b64 exec, exec, s[26:27]
	v_mov_b32_e32 v14, 0
	s_waitcnt lgkmcnt(0)
	s_barrier
	ds_read_b32 v14, v14 offset:12
	v_cndmask_b32_e64 v15, v26, v24, s[16:17]
	v_cmp_ne_u32_e32 vcc, 0, v0
	v_cndmask_b32_e32 v15, 0, v15, vcc
	s_movk_i32 s6, 0x2800
	s_waitcnt lgkmcnt(0)
	v_add_u32_e32 v26, v14, v15
	v_add_u32_e64 v14, s6, 0
	s_barrier
	ds_read2_b32 v[14:15], v14 offset1:2
	v_add_u32_e32 v24, v26, v1
	v_add_u32_e32 v22, v24, v25
	;; [unrolled: 1-line block ×4, first 2 shown]
	s_load_dwordx2 s[4:5], s[4:5], 0x28
	v_lshrrev_b64 v[16:17], 24, v[12:13]
	s_branch .LBB1679_278
.LBB1679_268:
                                        ; implicit-def: $vgpr18
                                        ; implicit-def: $vgpr20
                                        ; implicit-def: $vgpr22
                                        ; implicit-def: $vgpr24
                                        ; implicit-def: $vgpr26
                                        ; implicit-def: $vgpr15
	s_load_dwordx2 s[4:5], s[4:5], 0x28
	v_lshrrev_b64 v[16:17], 24, v[12:13]
	s_cbranch_execz .LBB1679_278
; %bb.269:
	s_waitcnt lgkmcnt(0)
	v_mov_b32_dpp v14, v31 row_shr:1 row_mask:0xf bank_mask:0xf
	v_cndmask_b32_e64 v14, v14, 0, s[14:15]
	v_add_u32_e32 v14, v14, v31
	s_nop 1
	v_mov_b32_dpp v15, v14 row_shr:2 row_mask:0xf bank_mask:0xf
	v_cndmask_b32_e64 v15, 0, v15, s[12:13]
	v_add_u32_e32 v14, v14, v15
	s_nop 1
	;; [unrolled: 4-line block ×4, first 2 shown]
	v_mov_b32_dpp v15, v14 row_bcast:15 row_mask:0xf bank_mask:0xf
	v_cndmask_b32_e64 v15, v15, 0, s[18:19]
	v_add_u32_e32 v14, v14, v15
	s_nop 1
	v_mov_b32_dpp v15, v14 row_bcast:31 row_mask:0xf bank_mask:0xf
	v_cndmask_b32_e64 v15, 0, v15, s[0:1]
	v_add_u32_e32 v14, v14, v15
	s_and_saveexec_b64 s[0:1], s[2:3]
	s_cbranch_execz .LBB1679_271
; %bb.270:
	v_lshlrev_b32_e32 v15, 2, v30
	ds_write_b32 v15, v14
.LBB1679_271:
	s_or_b64 exec, exec, s[0:1]
	v_cmp_gt_u32_e32 vcc, 4, v0
	s_waitcnt lgkmcnt(0)
	s_barrier
	s_and_saveexec_b64 s[0:1], vcc
	s_cbranch_execz .LBB1679_273
; %bb.272:
	v_lshlrev_b32_e32 v15, 2, v0
	ds_read_b32 v17, v15
	v_and_b32_e32 v18, 3, v29
	v_cmp_ne_u32_e32 vcc, 0, v18
	s_waitcnt lgkmcnt(0)
	v_mov_b32_dpp v19, v17 row_shr:1 row_mask:0xf bank_mask:0xf
	v_cndmask_b32_e32 v19, 0, v19, vcc
	v_add_u32_e32 v17, v19, v17
	v_cmp_lt_u32_e32 vcc, 1, v18
	s_nop 0
	v_mov_b32_dpp v19, v17 row_shr:2 row_mask:0xf bank_mask:0xf
	v_cndmask_b32_e32 v18, 0, v19, vcc
	v_add_u32_e32 v17, v17, v18
	ds_write_b32 v15, v17
.LBB1679_273:
	s_or_b64 exec, exec, s[0:1]
	v_cmp_lt_u32_e32 vcc, 63, v0
	v_mov_b32_e32 v15, 0
	v_mov_b32_e32 v17, 0
	s_waitcnt lgkmcnt(0)
	s_barrier
	s_and_saveexec_b64 s[0:1], vcc
	s_cbranch_execz .LBB1679_275
; %bb.274:
	v_lshl_add_u32 v17, v30, 2, -4
	ds_read_b32 v17, v17
.LBB1679_275:
	s_or_b64 exec, exec, s[0:1]
	v_add_u32_e32 v18, -1, v29
	v_and_b32_e32 v19, 64, v29
	v_cmp_lt_i32_e32 vcc, v18, v19
	v_cndmask_b32_e32 v18, v18, v29, vcc
	s_waitcnt lgkmcnt(0)
	v_add_u32_e32 v14, v17, v14
	v_lshlrev_b32_e32 v18, 2, v18
	ds_bpermute_b32 v18, v18, v14
	ds_read_b32 v14, v15 offset:12
	v_cmp_eq_u32_e32 vcc, 0, v0
	s_and_saveexec_b64 s[0:1], vcc
	s_cbranch_execz .LBB1679_277
; %bb.276:
	v_mov_b32_e32 v19, 0
	v_mov_b32_e32 v15, 2
	s_waitcnt lgkmcnt(0)
	global_store_dwordx2 v19, v[14:15], s[30:31] offset:512
.LBB1679_277:
	s_or_b64 exec, exec, s[0:1]
	v_cmp_eq_u32_e64 s[0:1], 0, v29
	s_waitcnt lgkmcnt(1)
	v_cndmask_b32_e64 v17, v18, v17, s[0:1]
	v_cndmask_b32_e64 v26, v17, 0, vcc
	v_add_u32_e32 v24, v26, v1
	v_add_u32_e32 v22, v24, v25
	v_add_u32_e32 v20, v22, v27
	v_mov_b32_e32 v15, 0
	v_add_u32_e32 v18, v20, v28
	s_waitcnt lgkmcnt(0)
	s_barrier
.LBB1679_278:
	s_movk_i32 s0, 0x101
	s_waitcnt lgkmcnt(0)
	v_cmp_gt_u32_e32 vcc, s0, v14
	v_lshrrev_b32_e32 v1, 8, v12
	s_mov_b64 s[0:1], -1
	s_cbranch_vccnz .LBB1679_282
; %bb.279:
	s_and_b64 vcc, exec, s[0:1]
	s_cbranch_vccnz .LBB1679_298
.LBB1679_280:
	v_cmp_eq_u32_e32 vcc, 0, v0
	s_and_b64 s[0:1], vcc, s[24:25]
	s_and_saveexec_b64 s[2:3], s[0:1]
	s_cbranch_execnz .LBB1679_312
.LBB1679_281:
	s_endpgm
.LBB1679_282:
	v_add_u32_e32 v17, v15, v14
	v_cmp_lt_u32_e32 vcc, v26, v17
	s_or_b64 s[2:3], s[34:35], vcc
	s_and_saveexec_b64 s[0:1], s[2:3]
	s_cbranch_execz .LBB1679_285
; %bb.283:
	v_and_b32_e32 v19, 1, v12
	v_cmp_eq_u32_e32 vcc, 1, v19
	s_and_b64 exec, exec, vcc
	s_cbranch_execz .LBB1679_285
; %bb.284:
	s_lshl_b64 s[2:3], s[22:23], 3
	s_add_u32 s2, s4, s2
	v_mov_b32_e32 v27, 0
	s_addc_u32 s3, s5, s3
	v_lshlrev_b64 v[28:29], 3, v[26:27]
	v_mov_b32_e32 v19, s3
	v_add_co_u32_e32 v28, vcc, s2, v28
	v_addc_co_u32_e32 v29, vcc, v19, v29, vcc
	global_store_dwordx2 v[28:29], v[6:7], off
.LBB1679_285:
	s_or_b64 exec, exec, s[0:1]
	v_cmp_lt_u32_e32 vcc, v24, v17
	s_or_b64 s[2:3], s[34:35], vcc
	s_and_saveexec_b64 s[0:1], s[2:3]
	s_cbranch_execz .LBB1679_288
; %bb.286:
	v_and_b32_e32 v19, 1, v1
	v_cmp_eq_u32_e32 vcc, 1, v19
	s_and_b64 exec, exec, vcc
	s_cbranch_execz .LBB1679_288
; %bb.287:
	s_lshl_b64 s[2:3], s[22:23], 3
	s_add_u32 s2, s4, s2
	v_mov_b32_e32 v25, 0
	s_addc_u32 s3, s5, s3
	v_lshlrev_b64 v[28:29], 3, v[24:25]
	v_mov_b32_e32 v19, s3
	v_add_co_u32_e32 v28, vcc, s2, v28
	v_addc_co_u32_e32 v29, vcc, v19, v29, vcc
	global_store_dwordx2 v[28:29], v[8:9], off
.LBB1679_288:
	s_or_b64 exec, exec, s[0:1]
	v_cmp_lt_u32_e32 vcc, v22, v17
	s_or_b64 s[2:3], s[34:35], vcc
	s_and_saveexec_b64 s[0:1], s[2:3]
	s_cbranch_execz .LBB1679_291
; %bb.289:
	v_mov_b32_e32 v19, 1
	v_and_b32_sdwa v19, v19, v12 dst_sel:DWORD dst_unused:UNUSED_PAD src0_sel:DWORD src1_sel:WORD_1
	v_cmp_eq_u32_e32 vcc, 1, v19
	s_and_b64 exec, exec, vcc
	s_cbranch_execz .LBB1679_291
; %bb.290:
	s_lshl_b64 s[2:3], s[22:23], 3
	s_add_u32 s2, s4, s2
	v_mov_b32_e32 v23, 0
	s_addc_u32 s3, s5, s3
	v_lshlrev_b64 v[28:29], 3, v[22:23]
	v_mov_b32_e32 v19, s3
	v_add_co_u32_e32 v28, vcc, s2, v28
	v_addc_co_u32_e32 v29, vcc, v19, v29, vcc
	global_store_dwordx2 v[28:29], v[2:3], off
.LBB1679_291:
	s_or_b64 exec, exec, s[0:1]
	v_cmp_lt_u32_e32 vcc, v20, v17
	s_or_b64 s[2:3], s[34:35], vcc
	s_and_saveexec_b64 s[0:1], s[2:3]
	s_cbranch_execz .LBB1679_294
; %bb.292:
	v_and_b32_e32 v19, 1, v16
	v_cmp_eq_u32_e32 vcc, 1, v19
	s_and_b64 exec, exec, vcc
	s_cbranch_execz .LBB1679_294
; %bb.293:
	s_lshl_b64 s[2:3], s[22:23], 3
	s_add_u32 s2, s4, s2
	v_mov_b32_e32 v21, 0
	s_addc_u32 s3, s5, s3
	v_lshlrev_b64 v[28:29], 3, v[20:21]
	v_mov_b32_e32 v19, s3
	v_add_co_u32_e32 v28, vcc, s2, v28
	v_addc_co_u32_e32 v29, vcc, v19, v29, vcc
	global_store_dwordx2 v[28:29], v[4:5], off
.LBB1679_294:
	s_or_b64 exec, exec, s[0:1]
	v_cmp_lt_u32_e32 vcc, v18, v17
	s_or_b64 s[2:3], s[34:35], vcc
	s_and_saveexec_b64 s[0:1], s[2:3]
	s_cbranch_execz .LBB1679_297
; %bb.295:
	v_and_b32_e32 v17, 1, v13
	v_cmp_eq_u32_e32 vcc, 1, v17
	s_and_b64 exec, exec, vcc
	s_cbranch_execz .LBB1679_297
; %bb.296:
	s_lshl_b64 s[2:3], s[22:23], 3
	s_add_u32 s2, s4, s2
	v_mov_b32_e32 v19, 0
	s_addc_u32 s3, s5, s3
	v_lshlrev_b64 v[28:29], 3, v[18:19]
	v_mov_b32_e32 v17, s3
	v_add_co_u32_e32 v28, vcc, s2, v28
	v_addc_co_u32_e32 v29, vcc, v17, v29, vcc
	global_store_dwordx2 v[28:29], v[10:11], off
.LBB1679_297:
	s_or_b64 exec, exec, s[0:1]
	s_branch .LBB1679_280
.LBB1679_298:
	v_and_b32_e32 v17, 1, v12
	v_cmp_eq_u32_e32 vcc, 1, v17
	s_and_saveexec_b64 s[0:1], vcc
	s_cbranch_execz .LBB1679_300
; %bb.299:
	v_sub_u32_e32 v17, v26, v15
	v_lshlrev_b32_e32 v17, 3, v17
	ds_write_b64 v17, v[6:7]
.LBB1679_300:
	s_or_b64 exec, exec, s[0:1]
	v_and_b32_e32 v1, 1, v1
	v_cmp_eq_u32_e32 vcc, 1, v1
	s_and_saveexec_b64 s[0:1], vcc
	s_cbranch_execz .LBB1679_302
; %bb.301:
	v_sub_u32_e32 v1, v24, v15
	v_lshlrev_b32_e32 v1, 3, v1
	ds_write_b64 v1, v[8:9]
.LBB1679_302:
	s_or_b64 exec, exec, s[0:1]
	v_mov_b32_e32 v1, 1
	v_and_b32_sdwa v1, v1, v12 dst_sel:DWORD dst_unused:UNUSED_PAD src0_sel:DWORD src1_sel:WORD_1
	v_cmp_eq_u32_e32 vcc, 1, v1
	s_and_saveexec_b64 s[0:1], vcc
	s_cbranch_execz .LBB1679_304
; %bb.303:
	v_sub_u32_e32 v1, v22, v15
	v_lshlrev_b32_e32 v1, 3, v1
	ds_write_b64 v1, v[2:3]
.LBB1679_304:
	s_or_b64 exec, exec, s[0:1]
	v_and_b32_e32 v1, 1, v16
	v_cmp_eq_u32_e32 vcc, 1, v1
	s_and_saveexec_b64 s[0:1], vcc
	s_cbranch_execz .LBB1679_306
; %bb.305:
	v_sub_u32_e32 v1, v20, v15
	v_lshlrev_b32_e32 v1, 3, v1
	ds_write_b64 v1, v[4:5]
.LBB1679_306:
	s_or_b64 exec, exec, s[0:1]
	v_and_b32_e32 v1, 1, v13
	v_cmp_eq_u32_e32 vcc, 1, v1
	s_and_saveexec_b64 s[0:1], vcc
	s_cbranch_execz .LBB1679_308
; %bb.307:
	v_sub_u32_e32 v1, v18, v15
	v_lshlrev_b32_e32 v1, 3, v1
	ds_write_b64 v1, v[10:11]
.LBB1679_308:
	s_or_b64 exec, exec, s[0:1]
	v_cmp_lt_u32_e32 vcc, v0, v14
	s_waitcnt lgkmcnt(0)
	s_barrier
	s_and_saveexec_b64 s[0:1], vcc
	s_cbranch_execz .LBB1679_311
; %bb.309:
	v_mov_b32_e32 v3, 0
	v_mov_b32_e32 v2, v15
	v_lshlrev_b64 v[4:5], 3, v[2:3]
	v_mov_b32_e32 v1, s5
	v_add_co_u32_e32 v2, vcc, s4, v4
	v_addc_co_u32_e32 v4, vcc, v1, v5, vcc
	s_lshl_b64 s[2:3], s[22:23], 3
	v_mov_b32_e32 v5, s3
	v_add_co_u32_e32 v1, vcc, s2, v2
	v_addc_co_u32_e32 v4, vcc, v4, v5, vcc
	v_lshlrev_b32_e32 v5, 3, v0
	s_mov_b64 s[2:3], 0
	v_mov_b32_e32 v2, v0
.LBB1679_310:                           ; =>This Inner Loop Header: Depth=1
	ds_read_b64 v[6:7], v5
	v_lshlrev_b64 v[8:9], 3, v[2:3]
	v_add_co_u32_e32 v8, vcc, v1, v8
	v_add_u32_e32 v2, 0x100, v2
	v_addc_co_u32_e32 v9, vcc, v4, v9, vcc
	v_cmp_ge_u32_e32 vcc, v2, v14
	v_add_u32_e32 v5, 0x800, v5
	s_or_b64 s[2:3], vcc, s[2:3]
	s_waitcnt lgkmcnt(0)
	global_store_dwordx2 v[8:9], v[6:7], off
	s_andn2_b64 exec, exec, s[2:3]
	s_cbranch_execnz .LBB1679_310
.LBB1679_311:
	s_or_b64 exec, exec, s[0:1]
	v_cmp_eq_u32_e32 vcc, 0, v0
	s_and_b64 s[0:1], vcc, s[24:25]
	s_and_saveexec_b64 s[2:3], s[0:1]
	s_cbranch_execz .LBB1679_281
.LBB1679_312:
	v_mov_b32_e32 v0, s23
	v_add_co_u32_e32 v1, vcc, s22, v14
	v_addc_co_u32_e32 v3, vcc, 0, v0, vcc
	v_add_co_u32_e32 v0, vcc, v1, v15
	v_mov_b32_e32 v2, 0
	v_addc_co_u32_e32 v1, vcc, 0, v3, vcc
	global_store_dwordx2 v2, v[0:1], s[20:21]
	s_endpgm
	.section	.rodata,"a",@progbits
	.p2align	6, 0x0
	.amdhsa_kernel _ZN7rocprim17ROCPRIM_400000_NS6detail17trampoline_kernelINS0_14default_configENS1_25partition_config_selectorILNS1_17partition_subalgoE8ElNS0_10empty_typeEbEEZZNS1_14partition_implILS5_8ELb0ES3_jPlPS6_PKS6_NS0_5tupleIJS9_S6_EEENSD_IJSA_SA_EEENS0_18inequality_wrapperIZN2at6native12_GLOBAL__N_124unique_dim_cuda_templateImEESt5tupleIJNSH_6TensorESM_SM_EERKSM_lbbbEUlllE0_EEPmJS6_EEE10hipError_tPvRmT3_T4_T5_T6_T7_T9_mT8_P12ihipStream_tbDpT10_ENKUlT_T0_E_clISt17integral_constantIbLb1EES1B_IbLb0EEEEDaS17_S18_EUlS17_E_NS1_11comp_targetILNS1_3genE4ELNS1_11target_archE910ELNS1_3gpuE8ELNS1_3repE0EEENS1_30default_config_static_selectorELNS0_4arch9wavefront6targetE1EEEvT1_
		.amdhsa_group_segment_fixed_size 10252
		.amdhsa_private_segment_fixed_size 0
		.amdhsa_kernarg_size 120
		.amdhsa_user_sgpr_count 6
		.amdhsa_user_sgpr_private_segment_buffer 1
		.amdhsa_user_sgpr_dispatch_ptr 0
		.amdhsa_user_sgpr_queue_ptr 0
		.amdhsa_user_sgpr_kernarg_segment_ptr 1
		.amdhsa_user_sgpr_dispatch_id 0
		.amdhsa_user_sgpr_flat_scratch_init 0
		.amdhsa_user_sgpr_kernarg_preload_length 0
		.amdhsa_user_sgpr_kernarg_preload_offset 0
		.amdhsa_user_sgpr_private_segment_size 0
		.amdhsa_uses_dynamic_stack 0
		.amdhsa_system_sgpr_private_segment_wavefront_offset 0
		.amdhsa_system_sgpr_workgroup_id_x 1
		.amdhsa_system_sgpr_workgroup_id_y 0
		.amdhsa_system_sgpr_workgroup_id_z 0
		.amdhsa_system_sgpr_workgroup_info 0
		.amdhsa_system_vgpr_workitem_id 0
		.amdhsa_next_free_vgpr 46
		.amdhsa_next_free_sgpr 48
		.amdhsa_accum_offset 48
		.amdhsa_reserve_vcc 1
		.amdhsa_reserve_flat_scratch 0
		.amdhsa_float_round_mode_32 0
		.amdhsa_float_round_mode_16_64 0
		.amdhsa_float_denorm_mode_32 3
		.amdhsa_float_denorm_mode_16_64 3
		.amdhsa_dx10_clamp 1
		.amdhsa_ieee_mode 1
		.amdhsa_fp16_overflow 0
		.amdhsa_tg_split 0
		.amdhsa_exception_fp_ieee_invalid_op 0
		.amdhsa_exception_fp_denorm_src 0
		.amdhsa_exception_fp_ieee_div_zero 0
		.amdhsa_exception_fp_ieee_overflow 0
		.amdhsa_exception_fp_ieee_underflow 0
		.amdhsa_exception_fp_ieee_inexact 0
		.amdhsa_exception_int_div_zero 0
	.end_amdhsa_kernel
	.section	.text._ZN7rocprim17ROCPRIM_400000_NS6detail17trampoline_kernelINS0_14default_configENS1_25partition_config_selectorILNS1_17partition_subalgoE8ElNS0_10empty_typeEbEEZZNS1_14partition_implILS5_8ELb0ES3_jPlPS6_PKS6_NS0_5tupleIJS9_S6_EEENSD_IJSA_SA_EEENS0_18inequality_wrapperIZN2at6native12_GLOBAL__N_124unique_dim_cuda_templateImEESt5tupleIJNSH_6TensorESM_SM_EERKSM_lbbbEUlllE0_EEPmJS6_EEE10hipError_tPvRmT3_T4_T5_T6_T7_T9_mT8_P12ihipStream_tbDpT10_ENKUlT_T0_E_clISt17integral_constantIbLb1EES1B_IbLb0EEEEDaS17_S18_EUlS17_E_NS1_11comp_targetILNS1_3genE4ELNS1_11target_archE910ELNS1_3gpuE8ELNS1_3repE0EEENS1_30default_config_static_selectorELNS0_4arch9wavefront6targetE1EEEvT1_,"axG",@progbits,_ZN7rocprim17ROCPRIM_400000_NS6detail17trampoline_kernelINS0_14default_configENS1_25partition_config_selectorILNS1_17partition_subalgoE8ElNS0_10empty_typeEbEEZZNS1_14partition_implILS5_8ELb0ES3_jPlPS6_PKS6_NS0_5tupleIJS9_S6_EEENSD_IJSA_SA_EEENS0_18inequality_wrapperIZN2at6native12_GLOBAL__N_124unique_dim_cuda_templateImEESt5tupleIJNSH_6TensorESM_SM_EERKSM_lbbbEUlllE0_EEPmJS6_EEE10hipError_tPvRmT3_T4_T5_T6_T7_T9_mT8_P12ihipStream_tbDpT10_ENKUlT_T0_E_clISt17integral_constantIbLb1EES1B_IbLb0EEEEDaS17_S18_EUlS17_E_NS1_11comp_targetILNS1_3genE4ELNS1_11target_archE910ELNS1_3gpuE8ELNS1_3repE0EEENS1_30default_config_static_selectorELNS0_4arch9wavefront6targetE1EEEvT1_,comdat
.Lfunc_end1679:
	.size	_ZN7rocprim17ROCPRIM_400000_NS6detail17trampoline_kernelINS0_14default_configENS1_25partition_config_selectorILNS1_17partition_subalgoE8ElNS0_10empty_typeEbEEZZNS1_14partition_implILS5_8ELb0ES3_jPlPS6_PKS6_NS0_5tupleIJS9_S6_EEENSD_IJSA_SA_EEENS0_18inequality_wrapperIZN2at6native12_GLOBAL__N_124unique_dim_cuda_templateImEESt5tupleIJNSH_6TensorESM_SM_EERKSM_lbbbEUlllE0_EEPmJS6_EEE10hipError_tPvRmT3_T4_T5_T6_T7_T9_mT8_P12ihipStream_tbDpT10_ENKUlT_T0_E_clISt17integral_constantIbLb1EES1B_IbLb0EEEEDaS17_S18_EUlS17_E_NS1_11comp_targetILNS1_3genE4ELNS1_11target_archE910ELNS1_3gpuE8ELNS1_3repE0EEENS1_30default_config_static_selectorELNS0_4arch9wavefront6targetE1EEEvT1_, .Lfunc_end1679-_ZN7rocprim17ROCPRIM_400000_NS6detail17trampoline_kernelINS0_14default_configENS1_25partition_config_selectorILNS1_17partition_subalgoE8ElNS0_10empty_typeEbEEZZNS1_14partition_implILS5_8ELb0ES3_jPlPS6_PKS6_NS0_5tupleIJS9_S6_EEENSD_IJSA_SA_EEENS0_18inequality_wrapperIZN2at6native12_GLOBAL__N_124unique_dim_cuda_templateImEESt5tupleIJNSH_6TensorESM_SM_EERKSM_lbbbEUlllE0_EEPmJS6_EEE10hipError_tPvRmT3_T4_T5_T6_T7_T9_mT8_P12ihipStream_tbDpT10_ENKUlT_T0_E_clISt17integral_constantIbLb1EES1B_IbLb0EEEEDaS17_S18_EUlS17_E_NS1_11comp_targetILNS1_3genE4ELNS1_11target_archE910ELNS1_3gpuE8ELNS1_3repE0EEENS1_30default_config_static_selectorELNS0_4arch9wavefront6targetE1EEEvT1_
                                        ; -- End function
	.section	.AMDGPU.csdata,"",@progbits
; Kernel info:
; codeLenInByte = 11456
; NumSgprs: 52
; NumVgprs: 46
; NumAgprs: 0
; TotalNumVgprs: 46
; ScratchSize: 0
; MemoryBound: 1
; FloatMode: 240
; IeeeMode: 1
; LDSByteSize: 10252 bytes/workgroup (compile time only)
; SGPRBlocks: 6
; VGPRBlocks: 5
; NumSGPRsForWavesPerEU: 52
; NumVGPRsForWavesPerEU: 46
; AccumOffset: 48
; Occupancy: 6
; WaveLimiterHint : 1
; COMPUTE_PGM_RSRC2:SCRATCH_EN: 0
; COMPUTE_PGM_RSRC2:USER_SGPR: 6
; COMPUTE_PGM_RSRC2:TRAP_HANDLER: 0
; COMPUTE_PGM_RSRC2:TGID_X_EN: 1
; COMPUTE_PGM_RSRC2:TGID_Y_EN: 0
; COMPUTE_PGM_RSRC2:TGID_Z_EN: 0
; COMPUTE_PGM_RSRC2:TIDIG_COMP_CNT: 0
; COMPUTE_PGM_RSRC3_GFX90A:ACCUM_OFFSET: 11
; COMPUTE_PGM_RSRC3_GFX90A:TG_SPLIT: 0
	.section	.text._ZN7rocprim17ROCPRIM_400000_NS6detail17trampoline_kernelINS0_14default_configENS1_25partition_config_selectorILNS1_17partition_subalgoE8ElNS0_10empty_typeEbEEZZNS1_14partition_implILS5_8ELb0ES3_jPlPS6_PKS6_NS0_5tupleIJS9_S6_EEENSD_IJSA_SA_EEENS0_18inequality_wrapperIZN2at6native12_GLOBAL__N_124unique_dim_cuda_templateImEESt5tupleIJNSH_6TensorESM_SM_EERKSM_lbbbEUlllE0_EEPmJS6_EEE10hipError_tPvRmT3_T4_T5_T6_T7_T9_mT8_P12ihipStream_tbDpT10_ENKUlT_T0_E_clISt17integral_constantIbLb1EES1B_IbLb0EEEEDaS17_S18_EUlS17_E_NS1_11comp_targetILNS1_3genE3ELNS1_11target_archE908ELNS1_3gpuE7ELNS1_3repE0EEENS1_30default_config_static_selectorELNS0_4arch9wavefront6targetE1EEEvT1_,"axG",@progbits,_ZN7rocprim17ROCPRIM_400000_NS6detail17trampoline_kernelINS0_14default_configENS1_25partition_config_selectorILNS1_17partition_subalgoE8ElNS0_10empty_typeEbEEZZNS1_14partition_implILS5_8ELb0ES3_jPlPS6_PKS6_NS0_5tupleIJS9_S6_EEENSD_IJSA_SA_EEENS0_18inequality_wrapperIZN2at6native12_GLOBAL__N_124unique_dim_cuda_templateImEESt5tupleIJNSH_6TensorESM_SM_EERKSM_lbbbEUlllE0_EEPmJS6_EEE10hipError_tPvRmT3_T4_T5_T6_T7_T9_mT8_P12ihipStream_tbDpT10_ENKUlT_T0_E_clISt17integral_constantIbLb1EES1B_IbLb0EEEEDaS17_S18_EUlS17_E_NS1_11comp_targetILNS1_3genE3ELNS1_11target_archE908ELNS1_3gpuE7ELNS1_3repE0EEENS1_30default_config_static_selectorELNS0_4arch9wavefront6targetE1EEEvT1_,comdat
	.globl	_ZN7rocprim17ROCPRIM_400000_NS6detail17trampoline_kernelINS0_14default_configENS1_25partition_config_selectorILNS1_17partition_subalgoE8ElNS0_10empty_typeEbEEZZNS1_14partition_implILS5_8ELb0ES3_jPlPS6_PKS6_NS0_5tupleIJS9_S6_EEENSD_IJSA_SA_EEENS0_18inequality_wrapperIZN2at6native12_GLOBAL__N_124unique_dim_cuda_templateImEESt5tupleIJNSH_6TensorESM_SM_EERKSM_lbbbEUlllE0_EEPmJS6_EEE10hipError_tPvRmT3_T4_T5_T6_T7_T9_mT8_P12ihipStream_tbDpT10_ENKUlT_T0_E_clISt17integral_constantIbLb1EES1B_IbLb0EEEEDaS17_S18_EUlS17_E_NS1_11comp_targetILNS1_3genE3ELNS1_11target_archE908ELNS1_3gpuE7ELNS1_3repE0EEENS1_30default_config_static_selectorELNS0_4arch9wavefront6targetE1EEEvT1_ ; -- Begin function _ZN7rocprim17ROCPRIM_400000_NS6detail17trampoline_kernelINS0_14default_configENS1_25partition_config_selectorILNS1_17partition_subalgoE8ElNS0_10empty_typeEbEEZZNS1_14partition_implILS5_8ELb0ES3_jPlPS6_PKS6_NS0_5tupleIJS9_S6_EEENSD_IJSA_SA_EEENS0_18inequality_wrapperIZN2at6native12_GLOBAL__N_124unique_dim_cuda_templateImEESt5tupleIJNSH_6TensorESM_SM_EERKSM_lbbbEUlllE0_EEPmJS6_EEE10hipError_tPvRmT3_T4_T5_T6_T7_T9_mT8_P12ihipStream_tbDpT10_ENKUlT_T0_E_clISt17integral_constantIbLb1EES1B_IbLb0EEEEDaS17_S18_EUlS17_E_NS1_11comp_targetILNS1_3genE3ELNS1_11target_archE908ELNS1_3gpuE7ELNS1_3repE0EEENS1_30default_config_static_selectorELNS0_4arch9wavefront6targetE1EEEvT1_
	.p2align	8
	.type	_ZN7rocprim17ROCPRIM_400000_NS6detail17trampoline_kernelINS0_14default_configENS1_25partition_config_selectorILNS1_17partition_subalgoE8ElNS0_10empty_typeEbEEZZNS1_14partition_implILS5_8ELb0ES3_jPlPS6_PKS6_NS0_5tupleIJS9_S6_EEENSD_IJSA_SA_EEENS0_18inequality_wrapperIZN2at6native12_GLOBAL__N_124unique_dim_cuda_templateImEESt5tupleIJNSH_6TensorESM_SM_EERKSM_lbbbEUlllE0_EEPmJS6_EEE10hipError_tPvRmT3_T4_T5_T6_T7_T9_mT8_P12ihipStream_tbDpT10_ENKUlT_T0_E_clISt17integral_constantIbLb1EES1B_IbLb0EEEEDaS17_S18_EUlS17_E_NS1_11comp_targetILNS1_3genE3ELNS1_11target_archE908ELNS1_3gpuE7ELNS1_3repE0EEENS1_30default_config_static_selectorELNS0_4arch9wavefront6targetE1EEEvT1_,@function
_ZN7rocprim17ROCPRIM_400000_NS6detail17trampoline_kernelINS0_14default_configENS1_25partition_config_selectorILNS1_17partition_subalgoE8ElNS0_10empty_typeEbEEZZNS1_14partition_implILS5_8ELb0ES3_jPlPS6_PKS6_NS0_5tupleIJS9_S6_EEENSD_IJSA_SA_EEENS0_18inequality_wrapperIZN2at6native12_GLOBAL__N_124unique_dim_cuda_templateImEESt5tupleIJNSH_6TensorESM_SM_EERKSM_lbbbEUlllE0_EEPmJS6_EEE10hipError_tPvRmT3_T4_T5_T6_T7_T9_mT8_P12ihipStream_tbDpT10_ENKUlT_T0_E_clISt17integral_constantIbLb1EES1B_IbLb0EEEEDaS17_S18_EUlS17_E_NS1_11comp_targetILNS1_3genE3ELNS1_11target_archE908ELNS1_3gpuE7ELNS1_3repE0EEENS1_30default_config_static_selectorELNS0_4arch9wavefront6targetE1EEEvT1_: ; @_ZN7rocprim17ROCPRIM_400000_NS6detail17trampoline_kernelINS0_14default_configENS1_25partition_config_selectorILNS1_17partition_subalgoE8ElNS0_10empty_typeEbEEZZNS1_14partition_implILS5_8ELb0ES3_jPlPS6_PKS6_NS0_5tupleIJS9_S6_EEENSD_IJSA_SA_EEENS0_18inequality_wrapperIZN2at6native12_GLOBAL__N_124unique_dim_cuda_templateImEESt5tupleIJNSH_6TensorESM_SM_EERKSM_lbbbEUlllE0_EEPmJS6_EEE10hipError_tPvRmT3_T4_T5_T6_T7_T9_mT8_P12ihipStream_tbDpT10_ENKUlT_T0_E_clISt17integral_constantIbLb1EES1B_IbLb0EEEEDaS17_S18_EUlS17_E_NS1_11comp_targetILNS1_3genE3ELNS1_11target_archE908ELNS1_3gpuE7ELNS1_3repE0EEENS1_30default_config_static_selectorELNS0_4arch9wavefront6targetE1EEEvT1_
; %bb.0:
	.section	.rodata,"a",@progbits
	.p2align	6, 0x0
	.amdhsa_kernel _ZN7rocprim17ROCPRIM_400000_NS6detail17trampoline_kernelINS0_14default_configENS1_25partition_config_selectorILNS1_17partition_subalgoE8ElNS0_10empty_typeEbEEZZNS1_14partition_implILS5_8ELb0ES3_jPlPS6_PKS6_NS0_5tupleIJS9_S6_EEENSD_IJSA_SA_EEENS0_18inequality_wrapperIZN2at6native12_GLOBAL__N_124unique_dim_cuda_templateImEESt5tupleIJNSH_6TensorESM_SM_EERKSM_lbbbEUlllE0_EEPmJS6_EEE10hipError_tPvRmT3_T4_T5_T6_T7_T9_mT8_P12ihipStream_tbDpT10_ENKUlT_T0_E_clISt17integral_constantIbLb1EES1B_IbLb0EEEEDaS17_S18_EUlS17_E_NS1_11comp_targetILNS1_3genE3ELNS1_11target_archE908ELNS1_3gpuE7ELNS1_3repE0EEENS1_30default_config_static_selectorELNS0_4arch9wavefront6targetE1EEEvT1_
		.amdhsa_group_segment_fixed_size 0
		.amdhsa_private_segment_fixed_size 0
		.amdhsa_kernarg_size 120
		.amdhsa_user_sgpr_count 6
		.amdhsa_user_sgpr_private_segment_buffer 1
		.amdhsa_user_sgpr_dispatch_ptr 0
		.amdhsa_user_sgpr_queue_ptr 0
		.amdhsa_user_sgpr_kernarg_segment_ptr 1
		.amdhsa_user_sgpr_dispatch_id 0
		.amdhsa_user_sgpr_flat_scratch_init 0
		.amdhsa_user_sgpr_kernarg_preload_length 0
		.amdhsa_user_sgpr_kernarg_preload_offset 0
		.amdhsa_user_sgpr_private_segment_size 0
		.amdhsa_uses_dynamic_stack 0
		.amdhsa_system_sgpr_private_segment_wavefront_offset 0
		.amdhsa_system_sgpr_workgroup_id_x 1
		.amdhsa_system_sgpr_workgroup_id_y 0
		.amdhsa_system_sgpr_workgroup_id_z 0
		.amdhsa_system_sgpr_workgroup_info 0
		.amdhsa_system_vgpr_workitem_id 0
		.amdhsa_next_free_vgpr 1
		.amdhsa_next_free_sgpr 0
		.amdhsa_accum_offset 4
		.amdhsa_reserve_vcc 0
		.amdhsa_reserve_flat_scratch 0
		.amdhsa_float_round_mode_32 0
		.amdhsa_float_round_mode_16_64 0
		.amdhsa_float_denorm_mode_32 3
		.amdhsa_float_denorm_mode_16_64 3
		.amdhsa_dx10_clamp 1
		.amdhsa_ieee_mode 1
		.amdhsa_fp16_overflow 0
		.amdhsa_tg_split 0
		.amdhsa_exception_fp_ieee_invalid_op 0
		.amdhsa_exception_fp_denorm_src 0
		.amdhsa_exception_fp_ieee_div_zero 0
		.amdhsa_exception_fp_ieee_overflow 0
		.amdhsa_exception_fp_ieee_underflow 0
		.amdhsa_exception_fp_ieee_inexact 0
		.amdhsa_exception_int_div_zero 0
	.end_amdhsa_kernel
	.section	.text._ZN7rocprim17ROCPRIM_400000_NS6detail17trampoline_kernelINS0_14default_configENS1_25partition_config_selectorILNS1_17partition_subalgoE8ElNS0_10empty_typeEbEEZZNS1_14partition_implILS5_8ELb0ES3_jPlPS6_PKS6_NS0_5tupleIJS9_S6_EEENSD_IJSA_SA_EEENS0_18inequality_wrapperIZN2at6native12_GLOBAL__N_124unique_dim_cuda_templateImEESt5tupleIJNSH_6TensorESM_SM_EERKSM_lbbbEUlllE0_EEPmJS6_EEE10hipError_tPvRmT3_T4_T5_T6_T7_T9_mT8_P12ihipStream_tbDpT10_ENKUlT_T0_E_clISt17integral_constantIbLb1EES1B_IbLb0EEEEDaS17_S18_EUlS17_E_NS1_11comp_targetILNS1_3genE3ELNS1_11target_archE908ELNS1_3gpuE7ELNS1_3repE0EEENS1_30default_config_static_selectorELNS0_4arch9wavefront6targetE1EEEvT1_,"axG",@progbits,_ZN7rocprim17ROCPRIM_400000_NS6detail17trampoline_kernelINS0_14default_configENS1_25partition_config_selectorILNS1_17partition_subalgoE8ElNS0_10empty_typeEbEEZZNS1_14partition_implILS5_8ELb0ES3_jPlPS6_PKS6_NS0_5tupleIJS9_S6_EEENSD_IJSA_SA_EEENS0_18inequality_wrapperIZN2at6native12_GLOBAL__N_124unique_dim_cuda_templateImEESt5tupleIJNSH_6TensorESM_SM_EERKSM_lbbbEUlllE0_EEPmJS6_EEE10hipError_tPvRmT3_T4_T5_T6_T7_T9_mT8_P12ihipStream_tbDpT10_ENKUlT_T0_E_clISt17integral_constantIbLb1EES1B_IbLb0EEEEDaS17_S18_EUlS17_E_NS1_11comp_targetILNS1_3genE3ELNS1_11target_archE908ELNS1_3gpuE7ELNS1_3repE0EEENS1_30default_config_static_selectorELNS0_4arch9wavefront6targetE1EEEvT1_,comdat
.Lfunc_end1680:
	.size	_ZN7rocprim17ROCPRIM_400000_NS6detail17trampoline_kernelINS0_14default_configENS1_25partition_config_selectorILNS1_17partition_subalgoE8ElNS0_10empty_typeEbEEZZNS1_14partition_implILS5_8ELb0ES3_jPlPS6_PKS6_NS0_5tupleIJS9_S6_EEENSD_IJSA_SA_EEENS0_18inequality_wrapperIZN2at6native12_GLOBAL__N_124unique_dim_cuda_templateImEESt5tupleIJNSH_6TensorESM_SM_EERKSM_lbbbEUlllE0_EEPmJS6_EEE10hipError_tPvRmT3_T4_T5_T6_T7_T9_mT8_P12ihipStream_tbDpT10_ENKUlT_T0_E_clISt17integral_constantIbLb1EES1B_IbLb0EEEEDaS17_S18_EUlS17_E_NS1_11comp_targetILNS1_3genE3ELNS1_11target_archE908ELNS1_3gpuE7ELNS1_3repE0EEENS1_30default_config_static_selectorELNS0_4arch9wavefront6targetE1EEEvT1_, .Lfunc_end1680-_ZN7rocprim17ROCPRIM_400000_NS6detail17trampoline_kernelINS0_14default_configENS1_25partition_config_selectorILNS1_17partition_subalgoE8ElNS0_10empty_typeEbEEZZNS1_14partition_implILS5_8ELb0ES3_jPlPS6_PKS6_NS0_5tupleIJS9_S6_EEENSD_IJSA_SA_EEENS0_18inequality_wrapperIZN2at6native12_GLOBAL__N_124unique_dim_cuda_templateImEESt5tupleIJNSH_6TensorESM_SM_EERKSM_lbbbEUlllE0_EEPmJS6_EEE10hipError_tPvRmT3_T4_T5_T6_T7_T9_mT8_P12ihipStream_tbDpT10_ENKUlT_T0_E_clISt17integral_constantIbLb1EES1B_IbLb0EEEEDaS17_S18_EUlS17_E_NS1_11comp_targetILNS1_3genE3ELNS1_11target_archE908ELNS1_3gpuE7ELNS1_3repE0EEENS1_30default_config_static_selectorELNS0_4arch9wavefront6targetE1EEEvT1_
                                        ; -- End function
	.section	.AMDGPU.csdata,"",@progbits
; Kernel info:
; codeLenInByte = 0
; NumSgprs: 4
; NumVgprs: 0
; NumAgprs: 0
; TotalNumVgprs: 0
; ScratchSize: 0
; MemoryBound: 0
; FloatMode: 240
; IeeeMode: 1
; LDSByteSize: 0 bytes/workgroup (compile time only)
; SGPRBlocks: 0
; VGPRBlocks: 0
; NumSGPRsForWavesPerEU: 4
; NumVGPRsForWavesPerEU: 1
; AccumOffset: 4
; Occupancy: 8
; WaveLimiterHint : 0
; COMPUTE_PGM_RSRC2:SCRATCH_EN: 0
; COMPUTE_PGM_RSRC2:USER_SGPR: 6
; COMPUTE_PGM_RSRC2:TRAP_HANDLER: 0
; COMPUTE_PGM_RSRC2:TGID_X_EN: 1
; COMPUTE_PGM_RSRC2:TGID_Y_EN: 0
; COMPUTE_PGM_RSRC2:TGID_Z_EN: 0
; COMPUTE_PGM_RSRC2:TIDIG_COMP_CNT: 0
; COMPUTE_PGM_RSRC3_GFX90A:ACCUM_OFFSET: 0
; COMPUTE_PGM_RSRC3_GFX90A:TG_SPLIT: 0
	.section	.text._ZN7rocprim17ROCPRIM_400000_NS6detail17trampoline_kernelINS0_14default_configENS1_25partition_config_selectorILNS1_17partition_subalgoE8ElNS0_10empty_typeEbEEZZNS1_14partition_implILS5_8ELb0ES3_jPlPS6_PKS6_NS0_5tupleIJS9_S6_EEENSD_IJSA_SA_EEENS0_18inequality_wrapperIZN2at6native12_GLOBAL__N_124unique_dim_cuda_templateImEESt5tupleIJNSH_6TensorESM_SM_EERKSM_lbbbEUlllE0_EEPmJS6_EEE10hipError_tPvRmT3_T4_T5_T6_T7_T9_mT8_P12ihipStream_tbDpT10_ENKUlT_T0_E_clISt17integral_constantIbLb1EES1B_IbLb0EEEEDaS17_S18_EUlS17_E_NS1_11comp_targetILNS1_3genE2ELNS1_11target_archE906ELNS1_3gpuE6ELNS1_3repE0EEENS1_30default_config_static_selectorELNS0_4arch9wavefront6targetE1EEEvT1_,"axG",@progbits,_ZN7rocprim17ROCPRIM_400000_NS6detail17trampoline_kernelINS0_14default_configENS1_25partition_config_selectorILNS1_17partition_subalgoE8ElNS0_10empty_typeEbEEZZNS1_14partition_implILS5_8ELb0ES3_jPlPS6_PKS6_NS0_5tupleIJS9_S6_EEENSD_IJSA_SA_EEENS0_18inequality_wrapperIZN2at6native12_GLOBAL__N_124unique_dim_cuda_templateImEESt5tupleIJNSH_6TensorESM_SM_EERKSM_lbbbEUlllE0_EEPmJS6_EEE10hipError_tPvRmT3_T4_T5_T6_T7_T9_mT8_P12ihipStream_tbDpT10_ENKUlT_T0_E_clISt17integral_constantIbLb1EES1B_IbLb0EEEEDaS17_S18_EUlS17_E_NS1_11comp_targetILNS1_3genE2ELNS1_11target_archE906ELNS1_3gpuE6ELNS1_3repE0EEENS1_30default_config_static_selectorELNS0_4arch9wavefront6targetE1EEEvT1_,comdat
	.globl	_ZN7rocprim17ROCPRIM_400000_NS6detail17trampoline_kernelINS0_14default_configENS1_25partition_config_selectorILNS1_17partition_subalgoE8ElNS0_10empty_typeEbEEZZNS1_14partition_implILS5_8ELb0ES3_jPlPS6_PKS6_NS0_5tupleIJS9_S6_EEENSD_IJSA_SA_EEENS0_18inequality_wrapperIZN2at6native12_GLOBAL__N_124unique_dim_cuda_templateImEESt5tupleIJNSH_6TensorESM_SM_EERKSM_lbbbEUlllE0_EEPmJS6_EEE10hipError_tPvRmT3_T4_T5_T6_T7_T9_mT8_P12ihipStream_tbDpT10_ENKUlT_T0_E_clISt17integral_constantIbLb1EES1B_IbLb0EEEEDaS17_S18_EUlS17_E_NS1_11comp_targetILNS1_3genE2ELNS1_11target_archE906ELNS1_3gpuE6ELNS1_3repE0EEENS1_30default_config_static_selectorELNS0_4arch9wavefront6targetE1EEEvT1_ ; -- Begin function _ZN7rocprim17ROCPRIM_400000_NS6detail17trampoline_kernelINS0_14default_configENS1_25partition_config_selectorILNS1_17partition_subalgoE8ElNS0_10empty_typeEbEEZZNS1_14partition_implILS5_8ELb0ES3_jPlPS6_PKS6_NS0_5tupleIJS9_S6_EEENSD_IJSA_SA_EEENS0_18inequality_wrapperIZN2at6native12_GLOBAL__N_124unique_dim_cuda_templateImEESt5tupleIJNSH_6TensorESM_SM_EERKSM_lbbbEUlllE0_EEPmJS6_EEE10hipError_tPvRmT3_T4_T5_T6_T7_T9_mT8_P12ihipStream_tbDpT10_ENKUlT_T0_E_clISt17integral_constantIbLb1EES1B_IbLb0EEEEDaS17_S18_EUlS17_E_NS1_11comp_targetILNS1_3genE2ELNS1_11target_archE906ELNS1_3gpuE6ELNS1_3repE0EEENS1_30default_config_static_selectorELNS0_4arch9wavefront6targetE1EEEvT1_
	.p2align	8
	.type	_ZN7rocprim17ROCPRIM_400000_NS6detail17trampoline_kernelINS0_14default_configENS1_25partition_config_selectorILNS1_17partition_subalgoE8ElNS0_10empty_typeEbEEZZNS1_14partition_implILS5_8ELb0ES3_jPlPS6_PKS6_NS0_5tupleIJS9_S6_EEENSD_IJSA_SA_EEENS0_18inequality_wrapperIZN2at6native12_GLOBAL__N_124unique_dim_cuda_templateImEESt5tupleIJNSH_6TensorESM_SM_EERKSM_lbbbEUlllE0_EEPmJS6_EEE10hipError_tPvRmT3_T4_T5_T6_T7_T9_mT8_P12ihipStream_tbDpT10_ENKUlT_T0_E_clISt17integral_constantIbLb1EES1B_IbLb0EEEEDaS17_S18_EUlS17_E_NS1_11comp_targetILNS1_3genE2ELNS1_11target_archE906ELNS1_3gpuE6ELNS1_3repE0EEENS1_30default_config_static_selectorELNS0_4arch9wavefront6targetE1EEEvT1_,@function
_ZN7rocprim17ROCPRIM_400000_NS6detail17trampoline_kernelINS0_14default_configENS1_25partition_config_selectorILNS1_17partition_subalgoE8ElNS0_10empty_typeEbEEZZNS1_14partition_implILS5_8ELb0ES3_jPlPS6_PKS6_NS0_5tupleIJS9_S6_EEENSD_IJSA_SA_EEENS0_18inequality_wrapperIZN2at6native12_GLOBAL__N_124unique_dim_cuda_templateImEESt5tupleIJNSH_6TensorESM_SM_EERKSM_lbbbEUlllE0_EEPmJS6_EEE10hipError_tPvRmT3_T4_T5_T6_T7_T9_mT8_P12ihipStream_tbDpT10_ENKUlT_T0_E_clISt17integral_constantIbLb1EES1B_IbLb0EEEEDaS17_S18_EUlS17_E_NS1_11comp_targetILNS1_3genE2ELNS1_11target_archE906ELNS1_3gpuE6ELNS1_3repE0EEENS1_30default_config_static_selectorELNS0_4arch9wavefront6targetE1EEEvT1_: ; @_ZN7rocprim17ROCPRIM_400000_NS6detail17trampoline_kernelINS0_14default_configENS1_25partition_config_selectorILNS1_17partition_subalgoE8ElNS0_10empty_typeEbEEZZNS1_14partition_implILS5_8ELb0ES3_jPlPS6_PKS6_NS0_5tupleIJS9_S6_EEENSD_IJSA_SA_EEENS0_18inequality_wrapperIZN2at6native12_GLOBAL__N_124unique_dim_cuda_templateImEESt5tupleIJNSH_6TensorESM_SM_EERKSM_lbbbEUlllE0_EEPmJS6_EEE10hipError_tPvRmT3_T4_T5_T6_T7_T9_mT8_P12ihipStream_tbDpT10_ENKUlT_T0_E_clISt17integral_constantIbLb1EES1B_IbLb0EEEEDaS17_S18_EUlS17_E_NS1_11comp_targetILNS1_3genE2ELNS1_11target_archE906ELNS1_3gpuE6ELNS1_3repE0EEENS1_30default_config_static_selectorELNS0_4arch9wavefront6targetE1EEEvT1_
; %bb.0:
	.section	.rodata,"a",@progbits
	.p2align	6, 0x0
	.amdhsa_kernel _ZN7rocprim17ROCPRIM_400000_NS6detail17trampoline_kernelINS0_14default_configENS1_25partition_config_selectorILNS1_17partition_subalgoE8ElNS0_10empty_typeEbEEZZNS1_14partition_implILS5_8ELb0ES3_jPlPS6_PKS6_NS0_5tupleIJS9_S6_EEENSD_IJSA_SA_EEENS0_18inequality_wrapperIZN2at6native12_GLOBAL__N_124unique_dim_cuda_templateImEESt5tupleIJNSH_6TensorESM_SM_EERKSM_lbbbEUlllE0_EEPmJS6_EEE10hipError_tPvRmT3_T4_T5_T6_T7_T9_mT8_P12ihipStream_tbDpT10_ENKUlT_T0_E_clISt17integral_constantIbLb1EES1B_IbLb0EEEEDaS17_S18_EUlS17_E_NS1_11comp_targetILNS1_3genE2ELNS1_11target_archE906ELNS1_3gpuE6ELNS1_3repE0EEENS1_30default_config_static_selectorELNS0_4arch9wavefront6targetE1EEEvT1_
		.amdhsa_group_segment_fixed_size 0
		.amdhsa_private_segment_fixed_size 0
		.amdhsa_kernarg_size 120
		.amdhsa_user_sgpr_count 6
		.amdhsa_user_sgpr_private_segment_buffer 1
		.amdhsa_user_sgpr_dispatch_ptr 0
		.amdhsa_user_sgpr_queue_ptr 0
		.amdhsa_user_sgpr_kernarg_segment_ptr 1
		.amdhsa_user_sgpr_dispatch_id 0
		.amdhsa_user_sgpr_flat_scratch_init 0
		.amdhsa_user_sgpr_kernarg_preload_length 0
		.amdhsa_user_sgpr_kernarg_preload_offset 0
		.amdhsa_user_sgpr_private_segment_size 0
		.amdhsa_uses_dynamic_stack 0
		.amdhsa_system_sgpr_private_segment_wavefront_offset 0
		.amdhsa_system_sgpr_workgroup_id_x 1
		.amdhsa_system_sgpr_workgroup_id_y 0
		.amdhsa_system_sgpr_workgroup_id_z 0
		.amdhsa_system_sgpr_workgroup_info 0
		.amdhsa_system_vgpr_workitem_id 0
		.amdhsa_next_free_vgpr 1
		.amdhsa_next_free_sgpr 0
		.amdhsa_accum_offset 4
		.amdhsa_reserve_vcc 0
		.amdhsa_reserve_flat_scratch 0
		.amdhsa_float_round_mode_32 0
		.amdhsa_float_round_mode_16_64 0
		.amdhsa_float_denorm_mode_32 3
		.amdhsa_float_denorm_mode_16_64 3
		.amdhsa_dx10_clamp 1
		.amdhsa_ieee_mode 1
		.amdhsa_fp16_overflow 0
		.amdhsa_tg_split 0
		.amdhsa_exception_fp_ieee_invalid_op 0
		.amdhsa_exception_fp_denorm_src 0
		.amdhsa_exception_fp_ieee_div_zero 0
		.amdhsa_exception_fp_ieee_overflow 0
		.amdhsa_exception_fp_ieee_underflow 0
		.amdhsa_exception_fp_ieee_inexact 0
		.amdhsa_exception_int_div_zero 0
	.end_amdhsa_kernel
	.section	.text._ZN7rocprim17ROCPRIM_400000_NS6detail17trampoline_kernelINS0_14default_configENS1_25partition_config_selectorILNS1_17partition_subalgoE8ElNS0_10empty_typeEbEEZZNS1_14partition_implILS5_8ELb0ES3_jPlPS6_PKS6_NS0_5tupleIJS9_S6_EEENSD_IJSA_SA_EEENS0_18inequality_wrapperIZN2at6native12_GLOBAL__N_124unique_dim_cuda_templateImEESt5tupleIJNSH_6TensorESM_SM_EERKSM_lbbbEUlllE0_EEPmJS6_EEE10hipError_tPvRmT3_T4_T5_T6_T7_T9_mT8_P12ihipStream_tbDpT10_ENKUlT_T0_E_clISt17integral_constantIbLb1EES1B_IbLb0EEEEDaS17_S18_EUlS17_E_NS1_11comp_targetILNS1_3genE2ELNS1_11target_archE906ELNS1_3gpuE6ELNS1_3repE0EEENS1_30default_config_static_selectorELNS0_4arch9wavefront6targetE1EEEvT1_,"axG",@progbits,_ZN7rocprim17ROCPRIM_400000_NS6detail17trampoline_kernelINS0_14default_configENS1_25partition_config_selectorILNS1_17partition_subalgoE8ElNS0_10empty_typeEbEEZZNS1_14partition_implILS5_8ELb0ES3_jPlPS6_PKS6_NS0_5tupleIJS9_S6_EEENSD_IJSA_SA_EEENS0_18inequality_wrapperIZN2at6native12_GLOBAL__N_124unique_dim_cuda_templateImEESt5tupleIJNSH_6TensorESM_SM_EERKSM_lbbbEUlllE0_EEPmJS6_EEE10hipError_tPvRmT3_T4_T5_T6_T7_T9_mT8_P12ihipStream_tbDpT10_ENKUlT_T0_E_clISt17integral_constantIbLb1EES1B_IbLb0EEEEDaS17_S18_EUlS17_E_NS1_11comp_targetILNS1_3genE2ELNS1_11target_archE906ELNS1_3gpuE6ELNS1_3repE0EEENS1_30default_config_static_selectorELNS0_4arch9wavefront6targetE1EEEvT1_,comdat
.Lfunc_end1681:
	.size	_ZN7rocprim17ROCPRIM_400000_NS6detail17trampoline_kernelINS0_14default_configENS1_25partition_config_selectorILNS1_17partition_subalgoE8ElNS0_10empty_typeEbEEZZNS1_14partition_implILS5_8ELb0ES3_jPlPS6_PKS6_NS0_5tupleIJS9_S6_EEENSD_IJSA_SA_EEENS0_18inequality_wrapperIZN2at6native12_GLOBAL__N_124unique_dim_cuda_templateImEESt5tupleIJNSH_6TensorESM_SM_EERKSM_lbbbEUlllE0_EEPmJS6_EEE10hipError_tPvRmT3_T4_T5_T6_T7_T9_mT8_P12ihipStream_tbDpT10_ENKUlT_T0_E_clISt17integral_constantIbLb1EES1B_IbLb0EEEEDaS17_S18_EUlS17_E_NS1_11comp_targetILNS1_3genE2ELNS1_11target_archE906ELNS1_3gpuE6ELNS1_3repE0EEENS1_30default_config_static_selectorELNS0_4arch9wavefront6targetE1EEEvT1_, .Lfunc_end1681-_ZN7rocprim17ROCPRIM_400000_NS6detail17trampoline_kernelINS0_14default_configENS1_25partition_config_selectorILNS1_17partition_subalgoE8ElNS0_10empty_typeEbEEZZNS1_14partition_implILS5_8ELb0ES3_jPlPS6_PKS6_NS0_5tupleIJS9_S6_EEENSD_IJSA_SA_EEENS0_18inequality_wrapperIZN2at6native12_GLOBAL__N_124unique_dim_cuda_templateImEESt5tupleIJNSH_6TensorESM_SM_EERKSM_lbbbEUlllE0_EEPmJS6_EEE10hipError_tPvRmT3_T4_T5_T6_T7_T9_mT8_P12ihipStream_tbDpT10_ENKUlT_T0_E_clISt17integral_constantIbLb1EES1B_IbLb0EEEEDaS17_S18_EUlS17_E_NS1_11comp_targetILNS1_3genE2ELNS1_11target_archE906ELNS1_3gpuE6ELNS1_3repE0EEENS1_30default_config_static_selectorELNS0_4arch9wavefront6targetE1EEEvT1_
                                        ; -- End function
	.section	.AMDGPU.csdata,"",@progbits
; Kernel info:
; codeLenInByte = 0
; NumSgprs: 4
; NumVgprs: 0
; NumAgprs: 0
; TotalNumVgprs: 0
; ScratchSize: 0
; MemoryBound: 0
; FloatMode: 240
; IeeeMode: 1
; LDSByteSize: 0 bytes/workgroup (compile time only)
; SGPRBlocks: 0
; VGPRBlocks: 0
; NumSGPRsForWavesPerEU: 4
; NumVGPRsForWavesPerEU: 1
; AccumOffset: 4
; Occupancy: 8
; WaveLimiterHint : 0
; COMPUTE_PGM_RSRC2:SCRATCH_EN: 0
; COMPUTE_PGM_RSRC2:USER_SGPR: 6
; COMPUTE_PGM_RSRC2:TRAP_HANDLER: 0
; COMPUTE_PGM_RSRC2:TGID_X_EN: 1
; COMPUTE_PGM_RSRC2:TGID_Y_EN: 0
; COMPUTE_PGM_RSRC2:TGID_Z_EN: 0
; COMPUTE_PGM_RSRC2:TIDIG_COMP_CNT: 0
; COMPUTE_PGM_RSRC3_GFX90A:ACCUM_OFFSET: 0
; COMPUTE_PGM_RSRC3_GFX90A:TG_SPLIT: 0
	.section	.text._ZN7rocprim17ROCPRIM_400000_NS6detail17trampoline_kernelINS0_14default_configENS1_25partition_config_selectorILNS1_17partition_subalgoE8ElNS0_10empty_typeEbEEZZNS1_14partition_implILS5_8ELb0ES3_jPlPS6_PKS6_NS0_5tupleIJS9_S6_EEENSD_IJSA_SA_EEENS0_18inequality_wrapperIZN2at6native12_GLOBAL__N_124unique_dim_cuda_templateImEESt5tupleIJNSH_6TensorESM_SM_EERKSM_lbbbEUlllE0_EEPmJS6_EEE10hipError_tPvRmT3_T4_T5_T6_T7_T9_mT8_P12ihipStream_tbDpT10_ENKUlT_T0_E_clISt17integral_constantIbLb1EES1B_IbLb0EEEEDaS17_S18_EUlS17_E_NS1_11comp_targetILNS1_3genE10ELNS1_11target_archE1200ELNS1_3gpuE4ELNS1_3repE0EEENS1_30default_config_static_selectorELNS0_4arch9wavefront6targetE1EEEvT1_,"axG",@progbits,_ZN7rocprim17ROCPRIM_400000_NS6detail17trampoline_kernelINS0_14default_configENS1_25partition_config_selectorILNS1_17partition_subalgoE8ElNS0_10empty_typeEbEEZZNS1_14partition_implILS5_8ELb0ES3_jPlPS6_PKS6_NS0_5tupleIJS9_S6_EEENSD_IJSA_SA_EEENS0_18inequality_wrapperIZN2at6native12_GLOBAL__N_124unique_dim_cuda_templateImEESt5tupleIJNSH_6TensorESM_SM_EERKSM_lbbbEUlllE0_EEPmJS6_EEE10hipError_tPvRmT3_T4_T5_T6_T7_T9_mT8_P12ihipStream_tbDpT10_ENKUlT_T0_E_clISt17integral_constantIbLb1EES1B_IbLb0EEEEDaS17_S18_EUlS17_E_NS1_11comp_targetILNS1_3genE10ELNS1_11target_archE1200ELNS1_3gpuE4ELNS1_3repE0EEENS1_30default_config_static_selectorELNS0_4arch9wavefront6targetE1EEEvT1_,comdat
	.globl	_ZN7rocprim17ROCPRIM_400000_NS6detail17trampoline_kernelINS0_14default_configENS1_25partition_config_selectorILNS1_17partition_subalgoE8ElNS0_10empty_typeEbEEZZNS1_14partition_implILS5_8ELb0ES3_jPlPS6_PKS6_NS0_5tupleIJS9_S6_EEENSD_IJSA_SA_EEENS0_18inequality_wrapperIZN2at6native12_GLOBAL__N_124unique_dim_cuda_templateImEESt5tupleIJNSH_6TensorESM_SM_EERKSM_lbbbEUlllE0_EEPmJS6_EEE10hipError_tPvRmT3_T4_T5_T6_T7_T9_mT8_P12ihipStream_tbDpT10_ENKUlT_T0_E_clISt17integral_constantIbLb1EES1B_IbLb0EEEEDaS17_S18_EUlS17_E_NS1_11comp_targetILNS1_3genE10ELNS1_11target_archE1200ELNS1_3gpuE4ELNS1_3repE0EEENS1_30default_config_static_selectorELNS0_4arch9wavefront6targetE1EEEvT1_ ; -- Begin function _ZN7rocprim17ROCPRIM_400000_NS6detail17trampoline_kernelINS0_14default_configENS1_25partition_config_selectorILNS1_17partition_subalgoE8ElNS0_10empty_typeEbEEZZNS1_14partition_implILS5_8ELb0ES3_jPlPS6_PKS6_NS0_5tupleIJS9_S6_EEENSD_IJSA_SA_EEENS0_18inequality_wrapperIZN2at6native12_GLOBAL__N_124unique_dim_cuda_templateImEESt5tupleIJNSH_6TensorESM_SM_EERKSM_lbbbEUlllE0_EEPmJS6_EEE10hipError_tPvRmT3_T4_T5_T6_T7_T9_mT8_P12ihipStream_tbDpT10_ENKUlT_T0_E_clISt17integral_constantIbLb1EES1B_IbLb0EEEEDaS17_S18_EUlS17_E_NS1_11comp_targetILNS1_3genE10ELNS1_11target_archE1200ELNS1_3gpuE4ELNS1_3repE0EEENS1_30default_config_static_selectorELNS0_4arch9wavefront6targetE1EEEvT1_
	.p2align	8
	.type	_ZN7rocprim17ROCPRIM_400000_NS6detail17trampoline_kernelINS0_14default_configENS1_25partition_config_selectorILNS1_17partition_subalgoE8ElNS0_10empty_typeEbEEZZNS1_14partition_implILS5_8ELb0ES3_jPlPS6_PKS6_NS0_5tupleIJS9_S6_EEENSD_IJSA_SA_EEENS0_18inequality_wrapperIZN2at6native12_GLOBAL__N_124unique_dim_cuda_templateImEESt5tupleIJNSH_6TensorESM_SM_EERKSM_lbbbEUlllE0_EEPmJS6_EEE10hipError_tPvRmT3_T4_T5_T6_T7_T9_mT8_P12ihipStream_tbDpT10_ENKUlT_T0_E_clISt17integral_constantIbLb1EES1B_IbLb0EEEEDaS17_S18_EUlS17_E_NS1_11comp_targetILNS1_3genE10ELNS1_11target_archE1200ELNS1_3gpuE4ELNS1_3repE0EEENS1_30default_config_static_selectorELNS0_4arch9wavefront6targetE1EEEvT1_,@function
_ZN7rocprim17ROCPRIM_400000_NS6detail17trampoline_kernelINS0_14default_configENS1_25partition_config_selectorILNS1_17partition_subalgoE8ElNS0_10empty_typeEbEEZZNS1_14partition_implILS5_8ELb0ES3_jPlPS6_PKS6_NS0_5tupleIJS9_S6_EEENSD_IJSA_SA_EEENS0_18inequality_wrapperIZN2at6native12_GLOBAL__N_124unique_dim_cuda_templateImEESt5tupleIJNSH_6TensorESM_SM_EERKSM_lbbbEUlllE0_EEPmJS6_EEE10hipError_tPvRmT3_T4_T5_T6_T7_T9_mT8_P12ihipStream_tbDpT10_ENKUlT_T0_E_clISt17integral_constantIbLb1EES1B_IbLb0EEEEDaS17_S18_EUlS17_E_NS1_11comp_targetILNS1_3genE10ELNS1_11target_archE1200ELNS1_3gpuE4ELNS1_3repE0EEENS1_30default_config_static_selectorELNS0_4arch9wavefront6targetE1EEEvT1_: ; @_ZN7rocprim17ROCPRIM_400000_NS6detail17trampoline_kernelINS0_14default_configENS1_25partition_config_selectorILNS1_17partition_subalgoE8ElNS0_10empty_typeEbEEZZNS1_14partition_implILS5_8ELb0ES3_jPlPS6_PKS6_NS0_5tupleIJS9_S6_EEENSD_IJSA_SA_EEENS0_18inequality_wrapperIZN2at6native12_GLOBAL__N_124unique_dim_cuda_templateImEESt5tupleIJNSH_6TensorESM_SM_EERKSM_lbbbEUlllE0_EEPmJS6_EEE10hipError_tPvRmT3_T4_T5_T6_T7_T9_mT8_P12ihipStream_tbDpT10_ENKUlT_T0_E_clISt17integral_constantIbLb1EES1B_IbLb0EEEEDaS17_S18_EUlS17_E_NS1_11comp_targetILNS1_3genE10ELNS1_11target_archE1200ELNS1_3gpuE4ELNS1_3repE0EEENS1_30default_config_static_selectorELNS0_4arch9wavefront6targetE1EEEvT1_
; %bb.0:
	.section	.rodata,"a",@progbits
	.p2align	6, 0x0
	.amdhsa_kernel _ZN7rocprim17ROCPRIM_400000_NS6detail17trampoline_kernelINS0_14default_configENS1_25partition_config_selectorILNS1_17partition_subalgoE8ElNS0_10empty_typeEbEEZZNS1_14partition_implILS5_8ELb0ES3_jPlPS6_PKS6_NS0_5tupleIJS9_S6_EEENSD_IJSA_SA_EEENS0_18inequality_wrapperIZN2at6native12_GLOBAL__N_124unique_dim_cuda_templateImEESt5tupleIJNSH_6TensorESM_SM_EERKSM_lbbbEUlllE0_EEPmJS6_EEE10hipError_tPvRmT3_T4_T5_T6_T7_T9_mT8_P12ihipStream_tbDpT10_ENKUlT_T0_E_clISt17integral_constantIbLb1EES1B_IbLb0EEEEDaS17_S18_EUlS17_E_NS1_11comp_targetILNS1_3genE10ELNS1_11target_archE1200ELNS1_3gpuE4ELNS1_3repE0EEENS1_30default_config_static_selectorELNS0_4arch9wavefront6targetE1EEEvT1_
		.amdhsa_group_segment_fixed_size 0
		.amdhsa_private_segment_fixed_size 0
		.amdhsa_kernarg_size 120
		.amdhsa_user_sgpr_count 6
		.amdhsa_user_sgpr_private_segment_buffer 1
		.amdhsa_user_sgpr_dispatch_ptr 0
		.amdhsa_user_sgpr_queue_ptr 0
		.amdhsa_user_sgpr_kernarg_segment_ptr 1
		.amdhsa_user_sgpr_dispatch_id 0
		.amdhsa_user_sgpr_flat_scratch_init 0
		.amdhsa_user_sgpr_kernarg_preload_length 0
		.amdhsa_user_sgpr_kernarg_preload_offset 0
		.amdhsa_user_sgpr_private_segment_size 0
		.amdhsa_uses_dynamic_stack 0
		.amdhsa_system_sgpr_private_segment_wavefront_offset 0
		.amdhsa_system_sgpr_workgroup_id_x 1
		.amdhsa_system_sgpr_workgroup_id_y 0
		.amdhsa_system_sgpr_workgroup_id_z 0
		.amdhsa_system_sgpr_workgroup_info 0
		.amdhsa_system_vgpr_workitem_id 0
		.amdhsa_next_free_vgpr 1
		.amdhsa_next_free_sgpr 0
		.amdhsa_accum_offset 4
		.amdhsa_reserve_vcc 0
		.amdhsa_reserve_flat_scratch 0
		.amdhsa_float_round_mode_32 0
		.amdhsa_float_round_mode_16_64 0
		.amdhsa_float_denorm_mode_32 3
		.amdhsa_float_denorm_mode_16_64 3
		.amdhsa_dx10_clamp 1
		.amdhsa_ieee_mode 1
		.amdhsa_fp16_overflow 0
		.amdhsa_tg_split 0
		.amdhsa_exception_fp_ieee_invalid_op 0
		.amdhsa_exception_fp_denorm_src 0
		.amdhsa_exception_fp_ieee_div_zero 0
		.amdhsa_exception_fp_ieee_overflow 0
		.amdhsa_exception_fp_ieee_underflow 0
		.amdhsa_exception_fp_ieee_inexact 0
		.amdhsa_exception_int_div_zero 0
	.end_amdhsa_kernel
	.section	.text._ZN7rocprim17ROCPRIM_400000_NS6detail17trampoline_kernelINS0_14default_configENS1_25partition_config_selectorILNS1_17partition_subalgoE8ElNS0_10empty_typeEbEEZZNS1_14partition_implILS5_8ELb0ES3_jPlPS6_PKS6_NS0_5tupleIJS9_S6_EEENSD_IJSA_SA_EEENS0_18inequality_wrapperIZN2at6native12_GLOBAL__N_124unique_dim_cuda_templateImEESt5tupleIJNSH_6TensorESM_SM_EERKSM_lbbbEUlllE0_EEPmJS6_EEE10hipError_tPvRmT3_T4_T5_T6_T7_T9_mT8_P12ihipStream_tbDpT10_ENKUlT_T0_E_clISt17integral_constantIbLb1EES1B_IbLb0EEEEDaS17_S18_EUlS17_E_NS1_11comp_targetILNS1_3genE10ELNS1_11target_archE1200ELNS1_3gpuE4ELNS1_3repE0EEENS1_30default_config_static_selectorELNS0_4arch9wavefront6targetE1EEEvT1_,"axG",@progbits,_ZN7rocprim17ROCPRIM_400000_NS6detail17trampoline_kernelINS0_14default_configENS1_25partition_config_selectorILNS1_17partition_subalgoE8ElNS0_10empty_typeEbEEZZNS1_14partition_implILS5_8ELb0ES3_jPlPS6_PKS6_NS0_5tupleIJS9_S6_EEENSD_IJSA_SA_EEENS0_18inequality_wrapperIZN2at6native12_GLOBAL__N_124unique_dim_cuda_templateImEESt5tupleIJNSH_6TensorESM_SM_EERKSM_lbbbEUlllE0_EEPmJS6_EEE10hipError_tPvRmT3_T4_T5_T6_T7_T9_mT8_P12ihipStream_tbDpT10_ENKUlT_T0_E_clISt17integral_constantIbLb1EES1B_IbLb0EEEEDaS17_S18_EUlS17_E_NS1_11comp_targetILNS1_3genE10ELNS1_11target_archE1200ELNS1_3gpuE4ELNS1_3repE0EEENS1_30default_config_static_selectorELNS0_4arch9wavefront6targetE1EEEvT1_,comdat
.Lfunc_end1682:
	.size	_ZN7rocprim17ROCPRIM_400000_NS6detail17trampoline_kernelINS0_14default_configENS1_25partition_config_selectorILNS1_17partition_subalgoE8ElNS0_10empty_typeEbEEZZNS1_14partition_implILS5_8ELb0ES3_jPlPS6_PKS6_NS0_5tupleIJS9_S6_EEENSD_IJSA_SA_EEENS0_18inequality_wrapperIZN2at6native12_GLOBAL__N_124unique_dim_cuda_templateImEESt5tupleIJNSH_6TensorESM_SM_EERKSM_lbbbEUlllE0_EEPmJS6_EEE10hipError_tPvRmT3_T4_T5_T6_T7_T9_mT8_P12ihipStream_tbDpT10_ENKUlT_T0_E_clISt17integral_constantIbLb1EES1B_IbLb0EEEEDaS17_S18_EUlS17_E_NS1_11comp_targetILNS1_3genE10ELNS1_11target_archE1200ELNS1_3gpuE4ELNS1_3repE0EEENS1_30default_config_static_selectorELNS0_4arch9wavefront6targetE1EEEvT1_, .Lfunc_end1682-_ZN7rocprim17ROCPRIM_400000_NS6detail17trampoline_kernelINS0_14default_configENS1_25partition_config_selectorILNS1_17partition_subalgoE8ElNS0_10empty_typeEbEEZZNS1_14partition_implILS5_8ELb0ES3_jPlPS6_PKS6_NS0_5tupleIJS9_S6_EEENSD_IJSA_SA_EEENS0_18inequality_wrapperIZN2at6native12_GLOBAL__N_124unique_dim_cuda_templateImEESt5tupleIJNSH_6TensorESM_SM_EERKSM_lbbbEUlllE0_EEPmJS6_EEE10hipError_tPvRmT3_T4_T5_T6_T7_T9_mT8_P12ihipStream_tbDpT10_ENKUlT_T0_E_clISt17integral_constantIbLb1EES1B_IbLb0EEEEDaS17_S18_EUlS17_E_NS1_11comp_targetILNS1_3genE10ELNS1_11target_archE1200ELNS1_3gpuE4ELNS1_3repE0EEENS1_30default_config_static_selectorELNS0_4arch9wavefront6targetE1EEEvT1_
                                        ; -- End function
	.section	.AMDGPU.csdata,"",@progbits
; Kernel info:
; codeLenInByte = 0
; NumSgprs: 4
; NumVgprs: 0
; NumAgprs: 0
; TotalNumVgprs: 0
; ScratchSize: 0
; MemoryBound: 0
; FloatMode: 240
; IeeeMode: 1
; LDSByteSize: 0 bytes/workgroup (compile time only)
; SGPRBlocks: 0
; VGPRBlocks: 0
; NumSGPRsForWavesPerEU: 4
; NumVGPRsForWavesPerEU: 1
; AccumOffset: 4
; Occupancy: 8
; WaveLimiterHint : 0
; COMPUTE_PGM_RSRC2:SCRATCH_EN: 0
; COMPUTE_PGM_RSRC2:USER_SGPR: 6
; COMPUTE_PGM_RSRC2:TRAP_HANDLER: 0
; COMPUTE_PGM_RSRC2:TGID_X_EN: 1
; COMPUTE_PGM_RSRC2:TGID_Y_EN: 0
; COMPUTE_PGM_RSRC2:TGID_Z_EN: 0
; COMPUTE_PGM_RSRC2:TIDIG_COMP_CNT: 0
; COMPUTE_PGM_RSRC3_GFX90A:ACCUM_OFFSET: 0
; COMPUTE_PGM_RSRC3_GFX90A:TG_SPLIT: 0
	.section	.text._ZN7rocprim17ROCPRIM_400000_NS6detail17trampoline_kernelINS0_14default_configENS1_25partition_config_selectorILNS1_17partition_subalgoE8ElNS0_10empty_typeEbEEZZNS1_14partition_implILS5_8ELb0ES3_jPlPS6_PKS6_NS0_5tupleIJS9_S6_EEENSD_IJSA_SA_EEENS0_18inequality_wrapperIZN2at6native12_GLOBAL__N_124unique_dim_cuda_templateImEESt5tupleIJNSH_6TensorESM_SM_EERKSM_lbbbEUlllE0_EEPmJS6_EEE10hipError_tPvRmT3_T4_T5_T6_T7_T9_mT8_P12ihipStream_tbDpT10_ENKUlT_T0_E_clISt17integral_constantIbLb1EES1B_IbLb0EEEEDaS17_S18_EUlS17_E_NS1_11comp_targetILNS1_3genE9ELNS1_11target_archE1100ELNS1_3gpuE3ELNS1_3repE0EEENS1_30default_config_static_selectorELNS0_4arch9wavefront6targetE1EEEvT1_,"axG",@progbits,_ZN7rocprim17ROCPRIM_400000_NS6detail17trampoline_kernelINS0_14default_configENS1_25partition_config_selectorILNS1_17partition_subalgoE8ElNS0_10empty_typeEbEEZZNS1_14partition_implILS5_8ELb0ES3_jPlPS6_PKS6_NS0_5tupleIJS9_S6_EEENSD_IJSA_SA_EEENS0_18inequality_wrapperIZN2at6native12_GLOBAL__N_124unique_dim_cuda_templateImEESt5tupleIJNSH_6TensorESM_SM_EERKSM_lbbbEUlllE0_EEPmJS6_EEE10hipError_tPvRmT3_T4_T5_T6_T7_T9_mT8_P12ihipStream_tbDpT10_ENKUlT_T0_E_clISt17integral_constantIbLb1EES1B_IbLb0EEEEDaS17_S18_EUlS17_E_NS1_11comp_targetILNS1_3genE9ELNS1_11target_archE1100ELNS1_3gpuE3ELNS1_3repE0EEENS1_30default_config_static_selectorELNS0_4arch9wavefront6targetE1EEEvT1_,comdat
	.globl	_ZN7rocprim17ROCPRIM_400000_NS6detail17trampoline_kernelINS0_14default_configENS1_25partition_config_selectorILNS1_17partition_subalgoE8ElNS0_10empty_typeEbEEZZNS1_14partition_implILS5_8ELb0ES3_jPlPS6_PKS6_NS0_5tupleIJS9_S6_EEENSD_IJSA_SA_EEENS0_18inequality_wrapperIZN2at6native12_GLOBAL__N_124unique_dim_cuda_templateImEESt5tupleIJNSH_6TensorESM_SM_EERKSM_lbbbEUlllE0_EEPmJS6_EEE10hipError_tPvRmT3_T4_T5_T6_T7_T9_mT8_P12ihipStream_tbDpT10_ENKUlT_T0_E_clISt17integral_constantIbLb1EES1B_IbLb0EEEEDaS17_S18_EUlS17_E_NS1_11comp_targetILNS1_3genE9ELNS1_11target_archE1100ELNS1_3gpuE3ELNS1_3repE0EEENS1_30default_config_static_selectorELNS0_4arch9wavefront6targetE1EEEvT1_ ; -- Begin function _ZN7rocprim17ROCPRIM_400000_NS6detail17trampoline_kernelINS0_14default_configENS1_25partition_config_selectorILNS1_17partition_subalgoE8ElNS0_10empty_typeEbEEZZNS1_14partition_implILS5_8ELb0ES3_jPlPS6_PKS6_NS0_5tupleIJS9_S6_EEENSD_IJSA_SA_EEENS0_18inequality_wrapperIZN2at6native12_GLOBAL__N_124unique_dim_cuda_templateImEESt5tupleIJNSH_6TensorESM_SM_EERKSM_lbbbEUlllE0_EEPmJS6_EEE10hipError_tPvRmT3_T4_T5_T6_T7_T9_mT8_P12ihipStream_tbDpT10_ENKUlT_T0_E_clISt17integral_constantIbLb1EES1B_IbLb0EEEEDaS17_S18_EUlS17_E_NS1_11comp_targetILNS1_3genE9ELNS1_11target_archE1100ELNS1_3gpuE3ELNS1_3repE0EEENS1_30default_config_static_selectorELNS0_4arch9wavefront6targetE1EEEvT1_
	.p2align	8
	.type	_ZN7rocprim17ROCPRIM_400000_NS6detail17trampoline_kernelINS0_14default_configENS1_25partition_config_selectorILNS1_17partition_subalgoE8ElNS0_10empty_typeEbEEZZNS1_14partition_implILS5_8ELb0ES3_jPlPS6_PKS6_NS0_5tupleIJS9_S6_EEENSD_IJSA_SA_EEENS0_18inequality_wrapperIZN2at6native12_GLOBAL__N_124unique_dim_cuda_templateImEESt5tupleIJNSH_6TensorESM_SM_EERKSM_lbbbEUlllE0_EEPmJS6_EEE10hipError_tPvRmT3_T4_T5_T6_T7_T9_mT8_P12ihipStream_tbDpT10_ENKUlT_T0_E_clISt17integral_constantIbLb1EES1B_IbLb0EEEEDaS17_S18_EUlS17_E_NS1_11comp_targetILNS1_3genE9ELNS1_11target_archE1100ELNS1_3gpuE3ELNS1_3repE0EEENS1_30default_config_static_selectorELNS0_4arch9wavefront6targetE1EEEvT1_,@function
_ZN7rocprim17ROCPRIM_400000_NS6detail17trampoline_kernelINS0_14default_configENS1_25partition_config_selectorILNS1_17partition_subalgoE8ElNS0_10empty_typeEbEEZZNS1_14partition_implILS5_8ELb0ES3_jPlPS6_PKS6_NS0_5tupleIJS9_S6_EEENSD_IJSA_SA_EEENS0_18inequality_wrapperIZN2at6native12_GLOBAL__N_124unique_dim_cuda_templateImEESt5tupleIJNSH_6TensorESM_SM_EERKSM_lbbbEUlllE0_EEPmJS6_EEE10hipError_tPvRmT3_T4_T5_T6_T7_T9_mT8_P12ihipStream_tbDpT10_ENKUlT_T0_E_clISt17integral_constantIbLb1EES1B_IbLb0EEEEDaS17_S18_EUlS17_E_NS1_11comp_targetILNS1_3genE9ELNS1_11target_archE1100ELNS1_3gpuE3ELNS1_3repE0EEENS1_30default_config_static_selectorELNS0_4arch9wavefront6targetE1EEEvT1_: ; @_ZN7rocprim17ROCPRIM_400000_NS6detail17trampoline_kernelINS0_14default_configENS1_25partition_config_selectorILNS1_17partition_subalgoE8ElNS0_10empty_typeEbEEZZNS1_14partition_implILS5_8ELb0ES3_jPlPS6_PKS6_NS0_5tupleIJS9_S6_EEENSD_IJSA_SA_EEENS0_18inequality_wrapperIZN2at6native12_GLOBAL__N_124unique_dim_cuda_templateImEESt5tupleIJNSH_6TensorESM_SM_EERKSM_lbbbEUlllE0_EEPmJS6_EEE10hipError_tPvRmT3_T4_T5_T6_T7_T9_mT8_P12ihipStream_tbDpT10_ENKUlT_T0_E_clISt17integral_constantIbLb1EES1B_IbLb0EEEEDaS17_S18_EUlS17_E_NS1_11comp_targetILNS1_3genE9ELNS1_11target_archE1100ELNS1_3gpuE3ELNS1_3repE0EEENS1_30default_config_static_selectorELNS0_4arch9wavefront6targetE1EEEvT1_
; %bb.0:
	.section	.rodata,"a",@progbits
	.p2align	6, 0x0
	.amdhsa_kernel _ZN7rocprim17ROCPRIM_400000_NS6detail17trampoline_kernelINS0_14default_configENS1_25partition_config_selectorILNS1_17partition_subalgoE8ElNS0_10empty_typeEbEEZZNS1_14partition_implILS5_8ELb0ES3_jPlPS6_PKS6_NS0_5tupleIJS9_S6_EEENSD_IJSA_SA_EEENS0_18inequality_wrapperIZN2at6native12_GLOBAL__N_124unique_dim_cuda_templateImEESt5tupleIJNSH_6TensorESM_SM_EERKSM_lbbbEUlllE0_EEPmJS6_EEE10hipError_tPvRmT3_T4_T5_T6_T7_T9_mT8_P12ihipStream_tbDpT10_ENKUlT_T0_E_clISt17integral_constantIbLb1EES1B_IbLb0EEEEDaS17_S18_EUlS17_E_NS1_11comp_targetILNS1_3genE9ELNS1_11target_archE1100ELNS1_3gpuE3ELNS1_3repE0EEENS1_30default_config_static_selectorELNS0_4arch9wavefront6targetE1EEEvT1_
		.amdhsa_group_segment_fixed_size 0
		.amdhsa_private_segment_fixed_size 0
		.amdhsa_kernarg_size 120
		.amdhsa_user_sgpr_count 6
		.amdhsa_user_sgpr_private_segment_buffer 1
		.amdhsa_user_sgpr_dispatch_ptr 0
		.amdhsa_user_sgpr_queue_ptr 0
		.amdhsa_user_sgpr_kernarg_segment_ptr 1
		.amdhsa_user_sgpr_dispatch_id 0
		.amdhsa_user_sgpr_flat_scratch_init 0
		.amdhsa_user_sgpr_kernarg_preload_length 0
		.amdhsa_user_sgpr_kernarg_preload_offset 0
		.amdhsa_user_sgpr_private_segment_size 0
		.amdhsa_uses_dynamic_stack 0
		.amdhsa_system_sgpr_private_segment_wavefront_offset 0
		.amdhsa_system_sgpr_workgroup_id_x 1
		.amdhsa_system_sgpr_workgroup_id_y 0
		.amdhsa_system_sgpr_workgroup_id_z 0
		.amdhsa_system_sgpr_workgroup_info 0
		.amdhsa_system_vgpr_workitem_id 0
		.amdhsa_next_free_vgpr 1
		.amdhsa_next_free_sgpr 0
		.amdhsa_accum_offset 4
		.amdhsa_reserve_vcc 0
		.amdhsa_reserve_flat_scratch 0
		.amdhsa_float_round_mode_32 0
		.amdhsa_float_round_mode_16_64 0
		.amdhsa_float_denorm_mode_32 3
		.amdhsa_float_denorm_mode_16_64 3
		.amdhsa_dx10_clamp 1
		.amdhsa_ieee_mode 1
		.amdhsa_fp16_overflow 0
		.amdhsa_tg_split 0
		.amdhsa_exception_fp_ieee_invalid_op 0
		.amdhsa_exception_fp_denorm_src 0
		.amdhsa_exception_fp_ieee_div_zero 0
		.amdhsa_exception_fp_ieee_overflow 0
		.amdhsa_exception_fp_ieee_underflow 0
		.amdhsa_exception_fp_ieee_inexact 0
		.amdhsa_exception_int_div_zero 0
	.end_amdhsa_kernel
	.section	.text._ZN7rocprim17ROCPRIM_400000_NS6detail17trampoline_kernelINS0_14default_configENS1_25partition_config_selectorILNS1_17partition_subalgoE8ElNS0_10empty_typeEbEEZZNS1_14partition_implILS5_8ELb0ES3_jPlPS6_PKS6_NS0_5tupleIJS9_S6_EEENSD_IJSA_SA_EEENS0_18inequality_wrapperIZN2at6native12_GLOBAL__N_124unique_dim_cuda_templateImEESt5tupleIJNSH_6TensorESM_SM_EERKSM_lbbbEUlllE0_EEPmJS6_EEE10hipError_tPvRmT3_T4_T5_T6_T7_T9_mT8_P12ihipStream_tbDpT10_ENKUlT_T0_E_clISt17integral_constantIbLb1EES1B_IbLb0EEEEDaS17_S18_EUlS17_E_NS1_11comp_targetILNS1_3genE9ELNS1_11target_archE1100ELNS1_3gpuE3ELNS1_3repE0EEENS1_30default_config_static_selectorELNS0_4arch9wavefront6targetE1EEEvT1_,"axG",@progbits,_ZN7rocprim17ROCPRIM_400000_NS6detail17trampoline_kernelINS0_14default_configENS1_25partition_config_selectorILNS1_17partition_subalgoE8ElNS0_10empty_typeEbEEZZNS1_14partition_implILS5_8ELb0ES3_jPlPS6_PKS6_NS0_5tupleIJS9_S6_EEENSD_IJSA_SA_EEENS0_18inequality_wrapperIZN2at6native12_GLOBAL__N_124unique_dim_cuda_templateImEESt5tupleIJNSH_6TensorESM_SM_EERKSM_lbbbEUlllE0_EEPmJS6_EEE10hipError_tPvRmT3_T4_T5_T6_T7_T9_mT8_P12ihipStream_tbDpT10_ENKUlT_T0_E_clISt17integral_constantIbLb1EES1B_IbLb0EEEEDaS17_S18_EUlS17_E_NS1_11comp_targetILNS1_3genE9ELNS1_11target_archE1100ELNS1_3gpuE3ELNS1_3repE0EEENS1_30default_config_static_selectorELNS0_4arch9wavefront6targetE1EEEvT1_,comdat
.Lfunc_end1683:
	.size	_ZN7rocprim17ROCPRIM_400000_NS6detail17trampoline_kernelINS0_14default_configENS1_25partition_config_selectorILNS1_17partition_subalgoE8ElNS0_10empty_typeEbEEZZNS1_14partition_implILS5_8ELb0ES3_jPlPS6_PKS6_NS0_5tupleIJS9_S6_EEENSD_IJSA_SA_EEENS0_18inequality_wrapperIZN2at6native12_GLOBAL__N_124unique_dim_cuda_templateImEESt5tupleIJNSH_6TensorESM_SM_EERKSM_lbbbEUlllE0_EEPmJS6_EEE10hipError_tPvRmT3_T4_T5_T6_T7_T9_mT8_P12ihipStream_tbDpT10_ENKUlT_T0_E_clISt17integral_constantIbLb1EES1B_IbLb0EEEEDaS17_S18_EUlS17_E_NS1_11comp_targetILNS1_3genE9ELNS1_11target_archE1100ELNS1_3gpuE3ELNS1_3repE0EEENS1_30default_config_static_selectorELNS0_4arch9wavefront6targetE1EEEvT1_, .Lfunc_end1683-_ZN7rocprim17ROCPRIM_400000_NS6detail17trampoline_kernelINS0_14default_configENS1_25partition_config_selectorILNS1_17partition_subalgoE8ElNS0_10empty_typeEbEEZZNS1_14partition_implILS5_8ELb0ES3_jPlPS6_PKS6_NS0_5tupleIJS9_S6_EEENSD_IJSA_SA_EEENS0_18inequality_wrapperIZN2at6native12_GLOBAL__N_124unique_dim_cuda_templateImEESt5tupleIJNSH_6TensorESM_SM_EERKSM_lbbbEUlllE0_EEPmJS6_EEE10hipError_tPvRmT3_T4_T5_T6_T7_T9_mT8_P12ihipStream_tbDpT10_ENKUlT_T0_E_clISt17integral_constantIbLb1EES1B_IbLb0EEEEDaS17_S18_EUlS17_E_NS1_11comp_targetILNS1_3genE9ELNS1_11target_archE1100ELNS1_3gpuE3ELNS1_3repE0EEENS1_30default_config_static_selectorELNS0_4arch9wavefront6targetE1EEEvT1_
                                        ; -- End function
	.section	.AMDGPU.csdata,"",@progbits
; Kernel info:
; codeLenInByte = 0
; NumSgprs: 4
; NumVgprs: 0
; NumAgprs: 0
; TotalNumVgprs: 0
; ScratchSize: 0
; MemoryBound: 0
; FloatMode: 240
; IeeeMode: 1
; LDSByteSize: 0 bytes/workgroup (compile time only)
; SGPRBlocks: 0
; VGPRBlocks: 0
; NumSGPRsForWavesPerEU: 4
; NumVGPRsForWavesPerEU: 1
; AccumOffset: 4
; Occupancy: 8
; WaveLimiterHint : 0
; COMPUTE_PGM_RSRC2:SCRATCH_EN: 0
; COMPUTE_PGM_RSRC2:USER_SGPR: 6
; COMPUTE_PGM_RSRC2:TRAP_HANDLER: 0
; COMPUTE_PGM_RSRC2:TGID_X_EN: 1
; COMPUTE_PGM_RSRC2:TGID_Y_EN: 0
; COMPUTE_PGM_RSRC2:TGID_Z_EN: 0
; COMPUTE_PGM_RSRC2:TIDIG_COMP_CNT: 0
; COMPUTE_PGM_RSRC3_GFX90A:ACCUM_OFFSET: 0
; COMPUTE_PGM_RSRC3_GFX90A:TG_SPLIT: 0
	.section	.text._ZN7rocprim17ROCPRIM_400000_NS6detail17trampoline_kernelINS0_14default_configENS1_25partition_config_selectorILNS1_17partition_subalgoE8ElNS0_10empty_typeEbEEZZNS1_14partition_implILS5_8ELb0ES3_jPlPS6_PKS6_NS0_5tupleIJS9_S6_EEENSD_IJSA_SA_EEENS0_18inequality_wrapperIZN2at6native12_GLOBAL__N_124unique_dim_cuda_templateImEESt5tupleIJNSH_6TensorESM_SM_EERKSM_lbbbEUlllE0_EEPmJS6_EEE10hipError_tPvRmT3_T4_T5_T6_T7_T9_mT8_P12ihipStream_tbDpT10_ENKUlT_T0_E_clISt17integral_constantIbLb1EES1B_IbLb0EEEEDaS17_S18_EUlS17_E_NS1_11comp_targetILNS1_3genE8ELNS1_11target_archE1030ELNS1_3gpuE2ELNS1_3repE0EEENS1_30default_config_static_selectorELNS0_4arch9wavefront6targetE1EEEvT1_,"axG",@progbits,_ZN7rocprim17ROCPRIM_400000_NS6detail17trampoline_kernelINS0_14default_configENS1_25partition_config_selectorILNS1_17partition_subalgoE8ElNS0_10empty_typeEbEEZZNS1_14partition_implILS5_8ELb0ES3_jPlPS6_PKS6_NS0_5tupleIJS9_S6_EEENSD_IJSA_SA_EEENS0_18inequality_wrapperIZN2at6native12_GLOBAL__N_124unique_dim_cuda_templateImEESt5tupleIJNSH_6TensorESM_SM_EERKSM_lbbbEUlllE0_EEPmJS6_EEE10hipError_tPvRmT3_T4_T5_T6_T7_T9_mT8_P12ihipStream_tbDpT10_ENKUlT_T0_E_clISt17integral_constantIbLb1EES1B_IbLb0EEEEDaS17_S18_EUlS17_E_NS1_11comp_targetILNS1_3genE8ELNS1_11target_archE1030ELNS1_3gpuE2ELNS1_3repE0EEENS1_30default_config_static_selectorELNS0_4arch9wavefront6targetE1EEEvT1_,comdat
	.globl	_ZN7rocprim17ROCPRIM_400000_NS6detail17trampoline_kernelINS0_14default_configENS1_25partition_config_selectorILNS1_17partition_subalgoE8ElNS0_10empty_typeEbEEZZNS1_14partition_implILS5_8ELb0ES3_jPlPS6_PKS6_NS0_5tupleIJS9_S6_EEENSD_IJSA_SA_EEENS0_18inequality_wrapperIZN2at6native12_GLOBAL__N_124unique_dim_cuda_templateImEESt5tupleIJNSH_6TensorESM_SM_EERKSM_lbbbEUlllE0_EEPmJS6_EEE10hipError_tPvRmT3_T4_T5_T6_T7_T9_mT8_P12ihipStream_tbDpT10_ENKUlT_T0_E_clISt17integral_constantIbLb1EES1B_IbLb0EEEEDaS17_S18_EUlS17_E_NS1_11comp_targetILNS1_3genE8ELNS1_11target_archE1030ELNS1_3gpuE2ELNS1_3repE0EEENS1_30default_config_static_selectorELNS0_4arch9wavefront6targetE1EEEvT1_ ; -- Begin function _ZN7rocprim17ROCPRIM_400000_NS6detail17trampoline_kernelINS0_14default_configENS1_25partition_config_selectorILNS1_17partition_subalgoE8ElNS0_10empty_typeEbEEZZNS1_14partition_implILS5_8ELb0ES3_jPlPS6_PKS6_NS0_5tupleIJS9_S6_EEENSD_IJSA_SA_EEENS0_18inequality_wrapperIZN2at6native12_GLOBAL__N_124unique_dim_cuda_templateImEESt5tupleIJNSH_6TensorESM_SM_EERKSM_lbbbEUlllE0_EEPmJS6_EEE10hipError_tPvRmT3_T4_T5_T6_T7_T9_mT8_P12ihipStream_tbDpT10_ENKUlT_T0_E_clISt17integral_constantIbLb1EES1B_IbLb0EEEEDaS17_S18_EUlS17_E_NS1_11comp_targetILNS1_3genE8ELNS1_11target_archE1030ELNS1_3gpuE2ELNS1_3repE0EEENS1_30default_config_static_selectorELNS0_4arch9wavefront6targetE1EEEvT1_
	.p2align	8
	.type	_ZN7rocprim17ROCPRIM_400000_NS6detail17trampoline_kernelINS0_14default_configENS1_25partition_config_selectorILNS1_17partition_subalgoE8ElNS0_10empty_typeEbEEZZNS1_14partition_implILS5_8ELb0ES3_jPlPS6_PKS6_NS0_5tupleIJS9_S6_EEENSD_IJSA_SA_EEENS0_18inequality_wrapperIZN2at6native12_GLOBAL__N_124unique_dim_cuda_templateImEESt5tupleIJNSH_6TensorESM_SM_EERKSM_lbbbEUlllE0_EEPmJS6_EEE10hipError_tPvRmT3_T4_T5_T6_T7_T9_mT8_P12ihipStream_tbDpT10_ENKUlT_T0_E_clISt17integral_constantIbLb1EES1B_IbLb0EEEEDaS17_S18_EUlS17_E_NS1_11comp_targetILNS1_3genE8ELNS1_11target_archE1030ELNS1_3gpuE2ELNS1_3repE0EEENS1_30default_config_static_selectorELNS0_4arch9wavefront6targetE1EEEvT1_,@function
_ZN7rocprim17ROCPRIM_400000_NS6detail17trampoline_kernelINS0_14default_configENS1_25partition_config_selectorILNS1_17partition_subalgoE8ElNS0_10empty_typeEbEEZZNS1_14partition_implILS5_8ELb0ES3_jPlPS6_PKS6_NS0_5tupleIJS9_S6_EEENSD_IJSA_SA_EEENS0_18inequality_wrapperIZN2at6native12_GLOBAL__N_124unique_dim_cuda_templateImEESt5tupleIJNSH_6TensorESM_SM_EERKSM_lbbbEUlllE0_EEPmJS6_EEE10hipError_tPvRmT3_T4_T5_T6_T7_T9_mT8_P12ihipStream_tbDpT10_ENKUlT_T0_E_clISt17integral_constantIbLb1EES1B_IbLb0EEEEDaS17_S18_EUlS17_E_NS1_11comp_targetILNS1_3genE8ELNS1_11target_archE1030ELNS1_3gpuE2ELNS1_3repE0EEENS1_30default_config_static_selectorELNS0_4arch9wavefront6targetE1EEEvT1_: ; @_ZN7rocprim17ROCPRIM_400000_NS6detail17trampoline_kernelINS0_14default_configENS1_25partition_config_selectorILNS1_17partition_subalgoE8ElNS0_10empty_typeEbEEZZNS1_14partition_implILS5_8ELb0ES3_jPlPS6_PKS6_NS0_5tupleIJS9_S6_EEENSD_IJSA_SA_EEENS0_18inequality_wrapperIZN2at6native12_GLOBAL__N_124unique_dim_cuda_templateImEESt5tupleIJNSH_6TensorESM_SM_EERKSM_lbbbEUlllE0_EEPmJS6_EEE10hipError_tPvRmT3_T4_T5_T6_T7_T9_mT8_P12ihipStream_tbDpT10_ENKUlT_T0_E_clISt17integral_constantIbLb1EES1B_IbLb0EEEEDaS17_S18_EUlS17_E_NS1_11comp_targetILNS1_3genE8ELNS1_11target_archE1030ELNS1_3gpuE2ELNS1_3repE0EEENS1_30default_config_static_selectorELNS0_4arch9wavefront6targetE1EEEvT1_
; %bb.0:
	.section	.rodata,"a",@progbits
	.p2align	6, 0x0
	.amdhsa_kernel _ZN7rocprim17ROCPRIM_400000_NS6detail17trampoline_kernelINS0_14default_configENS1_25partition_config_selectorILNS1_17partition_subalgoE8ElNS0_10empty_typeEbEEZZNS1_14partition_implILS5_8ELb0ES3_jPlPS6_PKS6_NS0_5tupleIJS9_S6_EEENSD_IJSA_SA_EEENS0_18inequality_wrapperIZN2at6native12_GLOBAL__N_124unique_dim_cuda_templateImEESt5tupleIJNSH_6TensorESM_SM_EERKSM_lbbbEUlllE0_EEPmJS6_EEE10hipError_tPvRmT3_T4_T5_T6_T7_T9_mT8_P12ihipStream_tbDpT10_ENKUlT_T0_E_clISt17integral_constantIbLb1EES1B_IbLb0EEEEDaS17_S18_EUlS17_E_NS1_11comp_targetILNS1_3genE8ELNS1_11target_archE1030ELNS1_3gpuE2ELNS1_3repE0EEENS1_30default_config_static_selectorELNS0_4arch9wavefront6targetE1EEEvT1_
		.amdhsa_group_segment_fixed_size 0
		.amdhsa_private_segment_fixed_size 0
		.amdhsa_kernarg_size 120
		.amdhsa_user_sgpr_count 6
		.amdhsa_user_sgpr_private_segment_buffer 1
		.amdhsa_user_sgpr_dispatch_ptr 0
		.amdhsa_user_sgpr_queue_ptr 0
		.amdhsa_user_sgpr_kernarg_segment_ptr 1
		.amdhsa_user_sgpr_dispatch_id 0
		.amdhsa_user_sgpr_flat_scratch_init 0
		.amdhsa_user_sgpr_kernarg_preload_length 0
		.amdhsa_user_sgpr_kernarg_preload_offset 0
		.amdhsa_user_sgpr_private_segment_size 0
		.amdhsa_uses_dynamic_stack 0
		.amdhsa_system_sgpr_private_segment_wavefront_offset 0
		.amdhsa_system_sgpr_workgroup_id_x 1
		.amdhsa_system_sgpr_workgroup_id_y 0
		.amdhsa_system_sgpr_workgroup_id_z 0
		.amdhsa_system_sgpr_workgroup_info 0
		.amdhsa_system_vgpr_workitem_id 0
		.amdhsa_next_free_vgpr 1
		.amdhsa_next_free_sgpr 0
		.amdhsa_accum_offset 4
		.amdhsa_reserve_vcc 0
		.amdhsa_reserve_flat_scratch 0
		.amdhsa_float_round_mode_32 0
		.amdhsa_float_round_mode_16_64 0
		.amdhsa_float_denorm_mode_32 3
		.amdhsa_float_denorm_mode_16_64 3
		.amdhsa_dx10_clamp 1
		.amdhsa_ieee_mode 1
		.amdhsa_fp16_overflow 0
		.amdhsa_tg_split 0
		.amdhsa_exception_fp_ieee_invalid_op 0
		.amdhsa_exception_fp_denorm_src 0
		.amdhsa_exception_fp_ieee_div_zero 0
		.amdhsa_exception_fp_ieee_overflow 0
		.amdhsa_exception_fp_ieee_underflow 0
		.amdhsa_exception_fp_ieee_inexact 0
		.amdhsa_exception_int_div_zero 0
	.end_amdhsa_kernel
	.section	.text._ZN7rocprim17ROCPRIM_400000_NS6detail17trampoline_kernelINS0_14default_configENS1_25partition_config_selectorILNS1_17partition_subalgoE8ElNS0_10empty_typeEbEEZZNS1_14partition_implILS5_8ELb0ES3_jPlPS6_PKS6_NS0_5tupleIJS9_S6_EEENSD_IJSA_SA_EEENS0_18inequality_wrapperIZN2at6native12_GLOBAL__N_124unique_dim_cuda_templateImEESt5tupleIJNSH_6TensorESM_SM_EERKSM_lbbbEUlllE0_EEPmJS6_EEE10hipError_tPvRmT3_T4_T5_T6_T7_T9_mT8_P12ihipStream_tbDpT10_ENKUlT_T0_E_clISt17integral_constantIbLb1EES1B_IbLb0EEEEDaS17_S18_EUlS17_E_NS1_11comp_targetILNS1_3genE8ELNS1_11target_archE1030ELNS1_3gpuE2ELNS1_3repE0EEENS1_30default_config_static_selectorELNS0_4arch9wavefront6targetE1EEEvT1_,"axG",@progbits,_ZN7rocprim17ROCPRIM_400000_NS6detail17trampoline_kernelINS0_14default_configENS1_25partition_config_selectorILNS1_17partition_subalgoE8ElNS0_10empty_typeEbEEZZNS1_14partition_implILS5_8ELb0ES3_jPlPS6_PKS6_NS0_5tupleIJS9_S6_EEENSD_IJSA_SA_EEENS0_18inequality_wrapperIZN2at6native12_GLOBAL__N_124unique_dim_cuda_templateImEESt5tupleIJNSH_6TensorESM_SM_EERKSM_lbbbEUlllE0_EEPmJS6_EEE10hipError_tPvRmT3_T4_T5_T6_T7_T9_mT8_P12ihipStream_tbDpT10_ENKUlT_T0_E_clISt17integral_constantIbLb1EES1B_IbLb0EEEEDaS17_S18_EUlS17_E_NS1_11comp_targetILNS1_3genE8ELNS1_11target_archE1030ELNS1_3gpuE2ELNS1_3repE0EEENS1_30default_config_static_selectorELNS0_4arch9wavefront6targetE1EEEvT1_,comdat
.Lfunc_end1684:
	.size	_ZN7rocprim17ROCPRIM_400000_NS6detail17trampoline_kernelINS0_14default_configENS1_25partition_config_selectorILNS1_17partition_subalgoE8ElNS0_10empty_typeEbEEZZNS1_14partition_implILS5_8ELb0ES3_jPlPS6_PKS6_NS0_5tupleIJS9_S6_EEENSD_IJSA_SA_EEENS0_18inequality_wrapperIZN2at6native12_GLOBAL__N_124unique_dim_cuda_templateImEESt5tupleIJNSH_6TensorESM_SM_EERKSM_lbbbEUlllE0_EEPmJS6_EEE10hipError_tPvRmT3_T4_T5_T6_T7_T9_mT8_P12ihipStream_tbDpT10_ENKUlT_T0_E_clISt17integral_constantIbLb1EES1B_IbLb0EEEEDaS17_S18_EUlS17_E_NS1_11comp_targetILNS1_3genE8ELNS1_11target_archE1030ELNS1_3gpuE2ELNS1_3repE0EEENS1_30default_config_static_selectorELNS0_4arch9wavefront6targetE1EEEvT1_, .Lfunc_end1684-_ZN7rocprim17ROCPRIM_400000_NS6detail17trampoline_kernelINS0_14default_configENS1_25partition_config_selectorILNS1_17partition_subalgoE8ElNS0_10empty_typeEbEEZZNS1_14partition_implILS5_8ELb0ES3_jPlPS6_PKS6_NS0_5tupleIJS9_S6_EEENSD_IJSA_SA_EEENS0_18inequality_wrapperIZN2at6native12_GLOBAL__N_124unique_dim_cuda_templateImEESt5tupleIJNSH_6TensorESM_SM_EERKSM_lbbbEUlllE0_EEPmJS6_EEE10hipError_tPvRmT3_T4_T5_T6_T7_T9_mT8_P12ihipStream_tbDpT10_ENKUlT_T0_E_clISt17integral_constantIbLb1EES1B_IbLb0EEEEDaS17_S18_EUlS17_E_NS1_11comp_targetILNS1_3genE8ELNS1_11target_archE1030ELNS1_3gpuE2ELNS1_3repE0EEENS1_30default_config_static_selectorELNS0_4arch9wavefront6targetE1EEEvT1_
                                        ; -- End function
	.section	.AMDGPU.csdata,"",@progbits
; Kernel info:
; codeLenInByte = 0
; NumSgprs: 4
; NumVgprs: 0
; NumAgprs: 0
; TotalNumVgprs: 0
; ScratchSize: 0
; MemoryBound: 0
; FloatMode: 240
; IeeeMode: 1
; LDSByteSize: 0 bytes/workgroup (compile time only)
; SGPRBlocks: 0
; VGPRBlocks: 0
; NumSGPRsForWavesPerEU: 4
; NumVGPRsForWavesPerEU: 1
; AccumOffset: 4
; Occupancy: 8
; WaveLimiterHint : 0
; COMPUTE_PGM_RSRC2:SCRATCH_EN: 0
; COMPUTE_PGM_RSRC2:USER_SGPR: 6
; COMPUTE_PGM_RSRC2:TRAP_HANDLER: 0
; COMPUTE_PGM_RSRC2:TGID_X_EN: 1
; COMPUTE_PGM_RSRC2:TGID_Y_EN: 0
; COMPUTE_PGM_RSRC2:TGID_Z_EN: 0
; COMPUTE_PGM_RSRC2:TIDIG_COMP_CNT: 0
; COMPUTE_PGM_RSRC3_GFX90A:ACCUM_OFFSET: 0
; COMPUTE_PGM_RSRC3_GFX90A:TG_SPLIT: 0
	.section	.text._ZN7rocprim17ROCPRIM_400000_NS6detail17trampoline_kernelINS0_14default_configENS1_25partition_config_selectorILNS1_17partition_subalgoE8ElNS0_10empty_typeEbEEZZNS1_14partition_implILS5_8ELb0ES3_jPlPS6_PKS6_NS0_5tupleIJS9_S6_EEENSD_IJSA_SA_EEENS0_18inequality_wrapperIZN2at6native12_GLOBAL__N_124unique_dim_cuda_templateImEESt5tupleIJNSH_6TensorESM_SM_EERKSM_lbbbEUlllE0_EEPmJS6_EEE10hipError_tPvRmT3_T4_T5_T6_T7_T9_mT8_P12ihipStream_tbDpT10_ENKUlT_T0_E_clISt17integral_constantIbLb0EES1B_IbLb1EEEEDaS17_S18_EUlS17_E_NS1_11comp_targetILNS1_3genE0ELNS1_11target_archE4294967295ELNS1_3gpuE0ELNS1_3repE0EEENS1_30default_config_static_selectorELNS0_4arch9wavefront6targetE1EEEvT1_,"axG",@progbits,_ZN7rocprim17ROCPRIM_400000_NS6detail17trampoline_kernelINS0_14default_configENS1_25partition_config_selectorILNS1_17partition_subalgoE8ElNS0_10empty_typeEbEEZZNS1_14partition_implILS5_8ELb0ES3_jPlPS6_PKS6_NS0_5tupleIJS9_S6_EEENSD_IJSA_SA_EEENS0_18inequality_wrapperIZN2at6native12_GLOBAL__N_124unique_dim_cuda_templateImEESt5tupleIJNSH_6TensorESM_SM_EERKSM_lbbbEUlllE0_EEPmJS6_EEE10hipError_tPvRmT3_T4_T5_T6_T7_T9_mT8_P12ihipStream_tbDpT10_ENKUlT_T0_E_clISt17integral_constantIbLb0EES1B_IbLb1EEEEDaS17_S18_EUlS17_E_NS1_11comp_targetILNS1_3genE0ELNS1_11target_archE4294967295ELNS1_3gpuE0ELNS1_3repE0EEENS1_30default_config_static_selectorELNS0_4arch9wavefront6targetE1EEEvT1_,comdat
	.globl	_ZN7rocprim17ROCPRIM_400000_NS6detail17trampoline_kernelINS0_14default_configENS1_25partition_config_selectorILNS1_17partition_subalgoE8ElNS0_10empty_typeEbEEZZNS1_14partition_implILS5_8ELb0ES3_jPlPS6_PKS6_NS0_5tupleIJS9_S6_EEENSD_IJSA_SA_EEENS0_18inequality_wrapperIZN2at6native12_GLOBAL__N_124unique_dim_cuda_templateImEESt5tupleIJNSH_6TensorESM_SM_EERKSM_lbbbEUlllE0_EEPmJS6_EEE10hipError_tPvRmT3_T4_T5_T6_T7_T9_mT8_P12ihipStream_tbDpT10_ENKUlT_T0_E_clISt17integral_constantIbLb0EES1B_IbLb1EEEEDaS17_S18_EUlS17_E_NS1_11comp_targetILNS1_3genE0ELNS1_11target_archE4294967295ELNS1_3gpuE0ELNS1_3repE0EEENS1_30default_config_static_selectorELNS0_4arch9wavefront6targetE1EEEvT1_ ; -- Begin function _ZN7rocprim17ROCPRIM_400000_NS6detail17trampoline_kernelINS0_14default_configENS1_25partition_config_selectorILNS1_17partition_subalgoE8ElNS0_10empty_typeEbEEZZNS1_14partition_implILS5_8ELb0ES3_jPlPS6_PKS6_NS0_5tupleIJS9_S6_EEENSD_IJSA_SA_EEENS0_18inequality_wrapperIZN2at6native12_GLOBAL__N_124unique_dim_cuda_templateImEESt5tupleIJNSH_6TensorESM_SM_EERKSM_lbbbEUlllE0_EEPmJS6_EEE10hipError_tPvRmT3_T4_T5_T6_T7_T9_mT8_P12ihipStream_tbDpT10_ENKUlT_T0_E_clISt17integral_constantIbLb0EES1B_IbLb1EEEEDaS17_S18_EUlS17_E_NS1_11comp_targetILNS1_3genE0ELNS1_11target_archE4294967295ELNS1_3gpuE0ELNS1_3repE0EEENS1_30default_config_static_selectorELNS0_4arch9wavefront6targetE1EEEvT1_
	.p2align	8
	.type	_ZN7rocprim17ROCPRIM_400000_NS6detail17trampoline_kernelINS0_14default_configENS1_25partition_config_selectorILNS1_17partition_subalgoE8ElNS0_10empty_typeEbEEZZNS1_14partition_implILS5_8ELb0ES3_jPlPS6_PKS6_NS0_5tupleIJS9_S6_EEENSD_IJSA_SA_EEENS0_18inequality_wrapperIZN2at6native12_GLOBAL__N_124unique_dim_cuda_templateImEESt5tupleIJNSH_6TensorESM_SM_EERKSM_lbbbEUlllE0_EEPmJS6_EEE10hipError_tPvRmT3_T4_T5_T6_T7_T9_mT8_P12ihipStream_tbDpT10_ENKUlT_T0_E_clISt17integral_constantIbLb0EES1B_IbLb1EEEEDaS17_S18_EUlS17_E_NS1_11comp_targetILNS1_3genE0ELNS1_11target_archE4294967295ELNS1_3gpuE0ELNS1_3repE0EEENS1_30default_config_static_selectorELNS0_4arch9wavefront6targetE1EEEvT1_,@function
_ZN7rocprim17ROCPRIM_400000_NS6detail17trampoline_kernelINS0_14default_configENS1_25partition_config_selectorILNS1_17partition_subalgoE8ElNS0_10empty_typeEbEEZZNS1_14partition_implILS5_8ELb0ES3_jPlPS6_PKS6_NS0_5tupleIJS9_S6_EEENSD_IJSA_SA_EEENS0_18inequality_wrapperIZN2at6native12_GLOBAL__N_124unique_dim_cuda_templateImEESt5tupleIJNSH_6TensorESM_SM_EERKSM_lbbbEUlllE0_EEPmJS6_EEE10hipError_tPvRmT3_T4_T5_T6_T7_T9_mT8_P12ihipStream_tbDpT10_ENKUlT_T0_E_clISt17integral_constantIbLb0EES1B_IbLb1EEEEDaS17_S18_EUlS17_E_NS1_11comp_targetILNS1_3genE0ELNS1_11target_archE4294967295ELNS1_3gpuE0ELNS1_3repE0EEENS1_30default_config_static_selectorELNS0_4arch9wavefront6targetE1EEEvT1_: ; @_ZN7rocprim17ROCPRIM_400000_NS6detail17trampoline_kernelINS0_14default_configENS1_25partition_config_selectorILNS1_17partition_subalgoE8ElNS0_10empty_typeEbEEZZNS1_14partition_implILS5_8ELb0ES3_jPlPS6_PKS6_NS0_5tupleIJS9_S6_EEENSD_IJSA_SA_EEENS0_18inequality_wrapperIZN2at6native12_GLOBAL__N_124unique_dim_cuda_templateImEESt5tupleIJNSH_6TensorESM_SM_EERKSM_lbbbEUlllE0_EEPmJS6_EEE10hipError_tPvRmT3_T4_T5_T6_T7_T9_mT8_P12ihipStream_tbDpT10_ENKUlT_T0_E_clISt17integral_constantIbLb0EES1B_IbLb1EEEEDaS17_S18_EUlS17_E_NS1_11comp_targetILNS1_3genE0ELNS1_11target_archE4294967295ELNS1_3gpuE0ELNS1_3repE0EEENS1_30default_config_static_selectorELNS0_4arch9wavefront6targetE1EEEvT1_
; %bb.0:
	.section	.rodata,"a",@progbits
	.p2align	6, 0x0
	.amdhsa_kernel _ZN7rocprim17ROCPRIM_400000_NS6detail17trampoline_kernelINS0_14default_configENS1_25partition_config_selectorILNS1_17partition_subalgoE8ElNS0_10empty_typeEbEEZZNS1_14partition_implILS5_8ELb0ES3_jPlPS6_PKS6_NS0_5tupleIJS9_S6_EEENSD_IJSA_SA_EEENS0_18inequality_wrapperIZN2at6native12_GLOBAL__N_124unique_dim_cuda_templateImEESt5tupleIJNSH_6TensorESM_SM_EERKSM_lbbbEUlllE0_EEPmJS6_EEE10hipError_tPvRmT3_T4_T5_T6_T7_T9_mT8_P12ihipStream_tbDpT10_ENKUlT_T0_E_clISt17integral_constantIbLb0EES1B_IbLb1EEEEDaS17_S18_EUlS17_E_NS1_11comp_targetILNS1_3genE0ELNS1_11target_archE4294967295ELNS1_3gpuE0ELNS1_3repE0EEENS1_30default_config_static_selectorELNS0_4arch9wavefront6targetE1EEEvT1_
		.amdhsa_group_segment_fixed_size 0
		.amdhsa_private_segment_fixed_size 0
		.amdhsa_kernarg_size 136
		.amdhsa_user_sgpr_count 6
		.amdhsa_user_sgpr_private_segment_buffer 1
		.amdhsa_user_sgpr_dispatch_ptr 0
		.amdhsa_user_sgpr_queue_ptr 0
		.amdhsa_user_sgpr_kernarg_segment_ptr 1
		.amdhsa_user_sgpr_dispatch_id 0
		.amdhsa_user_sgpr_flat_scratch_init 0
		.amdhsa_user_sgpr_kernarg_preload_length 0
		.amdhsa_user_sgpr_kernarg_preload_offset 0
		.amdhsa_user_sgpr_private_segment_size 0
		.amdhsa_uses_dynamic_stack 0
		.amdhsa_system_sgpr_private_segment_wavefront_offset 0
		.amdhsa_system_sgpr_workgroup_id_x 1
		.amdhsa_system_sgpr_workgroup_id_y 0
		.amdhsa_system_sgpr_workgroup_id_z 0
		.amdhsa_system_sgpr_workgroup_info 0
		.amdhsa_system_vgpr_workitem_id 0
		.amdhsa_next_free_vgpr 1
		.amdhsa_next_free_sgpr 0
		.amdhsa_accum_offset 4
		.amdhsa_reserve_vcc 0
		.amdhsa_reserve_flat_scratch 0
		.amdhsa_float_round_mode_32 0
		.amdhsa_float_round_mode_16_64 0
		.amdhsa_float_denorm_mode_32 3
		.amdhsa_float_denorm_mode_16_64 3
		.amdhsa_dx10_clamp 1
		.amdhsa_ieee_mode 1
		.amdhsa_fp16_overflow 0
		.amdhsa_tg_split 0
		.amdhsa_exception_fp_ieee_invalid_op 0
		.amdhsa_exception_fp_denorm_src 0
		.amdhsa_exception_fp_ieee_div_zero 0
		.amdhsa_exception_fp_ieee_overflow 0
		.amdhsa_exception_fp_ieee_underflow 0
		.amdhsa_exception_fp_ieee_inexact 0
		.amdhsa_exception_int_div_zero 0
	.end_amdhsa_kernel
	.section	.text._ZN7rocprim17ROCPRIM_400000_NS6detail17trampoline_kernelINS0_14default_configENS1_25partition_config_selectorILNS1_17partition_subalgoE8ElNS0_10empty_typeEbEEZZNS1_14partition_implILS5_8ELb0ES3_jPlPS6_PKS6_NS0_5tupleIJS9_S6_EEENSD_IJSA_SA_EEENS0_18inequality_wrapperIZN2at6native12_GLOBAL__N_124unique_dim_cuda_templateImEESt5tupleIJNSH_6TensorESM_SM_EERKSM_lbbbEUlllE0_EEPmJS6_EEE10hipError_tPvRmT3_T4_T5_T6_T7_T9_mT8_P12ihipStream_tbDpT10_ENKUlT_T0_E_clISt17integral_constantIbLb0EES1B_IbLb1EEEEDaS17_S18_EUlS17_E_NS1_11comp_targetILNS1_3genE0ELNS1_11target_archE4294967295ELNS1_3gpuE0ELNS1_3repE0EEENS1_30default_config_static_selectorELNS0_4arch9wavefront6targetE1EEEvT1_,"axG",@progbits,_ZN7rocprim17ROCPRIM_400000_NS6detail17trampoline_kernelINS0_14default_configENS1_25partition_config_selectorILNS1_17partition_subalgoE8ElNS0_10empty_typeEbEEZZNS1_14partition_implILS5_8ELb0ES3_jPlPS6_PKS6_NS0_5tupleIJS9_S6_EEENSD_IJSA_SA_EEENS0_18inequality_wrapperIZN2at6native12_GLOBAL__N_124unique_dim_cuda_templateImEESt5tupleIJNSH_6TensorESM_SM_EERKSM_lbbbEUlllE0_EEPmJS6_EEE10hipError_tPvRmT3_T4_T5_T6_T7_T9_mT8_P12ihipStream_tbDpT10_ENKUlT_T0_E_clISt17integral_constantIbLb0EES1B_IbLb1EEEEDaS17_S18_EUlS17_E_NS1_11comp_targetILNS1_3genE0ELNS1_11target_archE4294967295ELNS1_3gpuE0ELNS1_3repE0EEENS1_30default_config_static_selectorELNS0_4arch9wavefront6targetE1EEEvT1_,comdat
.Lfunc_end1685:
	.size	_ZN7rocprim17ROCPRIM_400000_NS6detail17trampoline_kernelINS0_14default_configENS1_25partition_config_selectorILNS1_17partition_subalgoE8ElNS0_10empty_typeEbEEZZNS1_14partition_implILS5_8ELb0ES3_jPlPS6_PKS6_NS0_5tupleIJS9_S6_EEENSD_IJSA_SA_EEENS0_18inequality_wrapperIZN2at6native12_GLOBAL__N_124unique_dim_cuda_templateImEESt5tupleIJNSH_6TensorESM_SM_EERKSM_lbbbEUlllE0_EEPmJS6_EEE10hipError_tPvRmT3_T4_T5_T6_T7_T9_mT8_P12ihipStream_tbDpT10_ENKUlT_T0_E_clISt17integral_constantIbLb0EES1B_IbLb1EEEEDaS17_S18_EUlS17_E_NS1_11comp_targetILNS1_3genE0ELNS1_11target_archE4294967295ELNS1_3gpuE0ELNS1_3repE0EEENS1_30default_config_static_selectorELNS0_4arch9wavefront6targetE1EEEvT1_, .Lfunc_end1685-_ZN7rocprim17ROCPRIM_400000_NS6detail17trampoline_kernelINS0_14default_configENS1_25partition_config_selectorILNS1_17partition_subalgoE8ElNS0_10empty_typeEbEEZZNS1_14partition_implILS5_8ELb0ES3_jPlPS6_PKS6_NS0_5tupleIJS9_S6_EEENSD_IJSA_SA_EEENS0_18inequality_wrapperIZN2at6native12_GLOBAL__N_124unique_dim_cuda_templateImEESt5tupleIJNSH_6TensorESM_SM_EERKSM_lbbbEUlllE0_EEPmJS6_EEE10hipError_tPvRmT3_T4_T5_T6_T7_T9_mT8_P12ihipStream_tbDpT10_ENKUlT_T0_E_clISt17integral_constantIbLb0EES1B_IbLb1EEEEDaS17_S18_EUlS17_E_NS1_11comp_targetILNS1_3genE0ELNS1_11target_archE4294967295ELNS1_3gpuE0ELNS1_3repE0EEENS1_30default_config_static_selectorELNS0_4arch9wavefront6targetE1EEEvT1_
                                        ; -- End function
	.section	.AMDGPU.csdata,"",@progbits
; Kernel info:
; codeLenInByte = 0
; NumSgprs: 4
; NumVgprs: 0
; NumAgprs: 0
; TotalNumVgprs: 0
; ScratchSize: 0
; MemoryBound: 0
; FloatMode: 240
; IeeeMode: 1
; LDSByteSize: 0 bytes/workgroup (compile time only)
; SGPRBlocks: 0
; VGPRBlocks: 0
; NumSGPRsForWavesPerEU: 4
; NumVGPRsForWavesPerEU: 1
; AccumOffset: 4
; Occupancy: 8
; WaveLimiterHint : 0
; COMPUTE_PGM_RSRC2:SCRATCH_EN: 0
; COMPUTE_PGM_RSRC2:USER_SGPR: 6
; COMPUTE_PGM_RSRC2:TRAP_HANDLER: 0
; COMPUTE_PGM_RSRC2:TGID_X_EN: 1
; COMPUTE_PGM_RSRC2:TGID_Y_EN: 0
; COMPUTE_PGM_RSRC2:TGID_Z_EN: 0
; COMPUTE_PGM_RSRC2:TIDIG_COMP_CNT: 0
; COMPUTE_PGM_RSRC3_GFX90A:ACCUM_OFFSET: 0
; COMPUTE_PGM_RSRC3_GFX90A:TG_SPLIT: 0
	.section	.text._ZN7rocprim17ROCPRIM_400000_NS6detail17trampoline_kernelINS0_14default_configENS1_25partition_config_selectorILNS1_17partition_subalgoE8ElNS0_10empty_typeEbEEZZNS1_14partition_implILS5_8ELb0ES3_jPlPS6_PKS6_NS0_5tupleIJS9_S6_EEENSD_IJSA_SA_EEENS0_18inequality_wrapperIZN2at6native12_GLOBAL__N_124unique_dim_cuda_templateImEESt5tupleIJNSH_6TensorESM_SM_EERKSM_lbbbEUlllE0_EEPmJS6_EEE10hipError_tPvRmT3_T4_T5_T6_T7_T9_mT8_P12ihipStream_tbDpT10_ENKUlT_T0_E_clISt17integral_constantIbLb0EES1B_IbLb1EEEEDaS17_S18_EUlS17_E_NS1_11comp_targetILNS1_3genE5ELNS1_11target_archE942ELNS1_3gpuE9ELNS1_3repE0EEENS1_30default_config_static_selectorELNS0_4arch9wavefront6targetE1EEEvT1_,"axG",@progbits,_ZN7rocprim17ROCPRIM_400000_NS6detail17trampoline_kernelINS0_14default_configENS1_25partition_config_selectorILNS1_17partition_subalgoE8ElNS0_10empty_typeEbEEZZNS1_14partition_implILS5_8ELb0ES3_jPlPS6_PKS6_NS0_5tupleIJS9_S6_EEENSD_IJSA_SA_EEENS0_18inequality_wrapperIZN2at6native12_GLOBAL__N_124unique_dim_cuda_templateImEESt5tupleIJNSH_6TensorESM_SM_EERKSM_lbbbEUlllE0_EEPmJS6_EEE10hipError_tPvRmT3_T4_T5_T6_T7_T9_mT8_P12ihipStream_tbDpT10_ENKUlT_T0_E_clISt17integral_constantIbLb0EES1B_IbLb1EEEEDaS17_S18_EUlS17_E_NS1_11comp_targetILNS1_3genE5ELNS1_11target_archE942ELNS1_3gpuE9ELNS1_3repE0EEENS1_30default_config_static_selectorELNS0_4arch9wavefront6targetE1EEEvT1_,comdat
	.globl	_ZN7rocprim17ROCPRIM_400000_NS6detail17trampoline_kernelINS0_14default_configENS1_25partition_config_selectorILNS1_17partition_subalgoE8ElNS0_10empty_typeEbEEZZNS1_14partition_implILS5_8ELb0ES3_jPlPS6_PKS6_NS0_5tupleIJS9_S6_EEENSD_IJSA_SA_EEENS0_18inequality_wrapperIZN2at6native12_GLOBAL__N_124unique_dim_cuda_templateImEESt5tupleIJNSH_6TensorESM_SM_EERKSM_lbbbEUlllE0_EEPmJS6_EEE10hipError_tPvRmT3_T4_T5_T6_T7_T9_mT8_P12ihipStream_tbDpT10_ENKUlT_T0_E_clISt17integral_constantIbLb0EES1B_IbLb1EEEEDaS17_S18_EUlS17_E_NS1_11comp_targetILNS1_3genE5ELNS1_11target_archE942ELNS1_3gpuE9ELNS1_3repE0EEENS1_30default_config_static_selectorELNS0_4arch9wavefront6targetE1EEEvT1_ ; -- Begin function _ZN7rocprim17ROCPRIM_400000_NS6detail17trampoline_kernelINS0_14default_configENS1_25partition_config_selectorILNS1_17partition_subalgoE8ElNS0_10empty_typeEbEEZZNS1_14partition_implILS5_8ELb0ES3_jPlPS6_PKS6_NS0_5tupleIJS9_S6_EEENSD_IJSA_SA_EEENS0_18inequality_wrapperIZN2at6native12_GLOBAL__N_124unique_dim_cuda_templateImEESt5tupleIJNSH_6TensorESM_SM_EERKSM_lbbbEUlllE0_EEPmJS6_EEE10hipError_tPvRmT3_T4_T5_T6_T7_T9_mT8_P12ihipStream_tbDpT10_ENKUlT_T0_E_clISt17integral_constantIbLb0EES1B_IbLb1EEEEDaS17_S18_EUlS17_E_NS1_11comp_targetILNS1_3genE5ELNS1_11target_archE942ELNS1_3gpuE9ELNS1_3repE0EEENS1_30default_config_static_selectorELNS0_4arch9wavefront6targetE1EEEvT1_
	.p2align	8
	.type	_ZN7rocprim17ROCPRIM_400000_NS6detail17trampoline_kernelINS0_14default_configENS1_25partition_config_selectorILNS1_17partition_subalgoE8ElNS0_10empty_typeEbEEZZNS1_14partition_implILS5_8ELb0ES3_jPlPS6_PKS6_NS0_5tupleIJS9_S6_EEENSD_IJSA_SA_EEENS0_18inequality_wrapperIZN2at6native12_GLOBAL__N_124unique_dim_cuda_templateImEESt5tupleIJNSH_6TensorESM_SM_EERKSM_lbbbEUlllE0_EEPmJS6_EEE10hipError_tPvRmT3_T4_T5_T6_T7_T9_mT8_P12ihipStream_tbDpT10_ENKUlT_T0_E_clISt17integral_constantIbLb0EES1B_IbLb1EEEEDaS17_S18_EUlS17_E_NS1_11comp_targetILNS1_3genE5ELNS1_11target_archE942ELNS1_3gpuE9ELNS1_3repE0EEENS1_30default_config_static_selectorELNS0_4arch9wavefront6targetE1EEEvT1_,@function
_ZN7rocprim17ROCPRIM_400000_NS6detail17trampoline_kernelINS0_14default_configENS1_25partition_config_selectorILNS1_17partition_subalgoE8ElNS0_10empty_typeEbEEZZNS1_14partition_implILS5_8ELb0ES3_jPlPS6_PKS6_NS0_5tupleIJS9_S6_EEENSD_IJSA_SA_EEENS0_18inequality_wrapperIZN2at6native12_GLOBAL__N_124unique_dim_cuda_templateImEESt5tupleIJNSH_6TensorESM_SM_EERKSM_lbbbEUlllE0_EEPmJS6_EEE10hipError_tPvRmT3_T4_T5_T6_T7_T9_mT8_P12ihipStream_tbDpT10_ENKUlT_T0_E_clISt17integral_constantIbLb0EES1B_IbLb1EEEEDaS17_S18_EUlS17_E_NS1_11comp_targetILNS1_3genE5ELNS1_11target_archE942ELNS1_3gpuE9ELNS1_3repE0EEENS1_30default_config_static_selectorELNS0_4arch9wavefront6targetE1EEEvT1_: ; @_ZN7rocprim17ROCPRIM_400000_NS6detail17trampoline_kernelINS0_14default_configENS1_25partition_config_selectorILNS1_17partition_subalgoE8ElNS0_10empty_typeEbEEZZNS1_14partition_implILS5_8ELb0ES3_jPlPS6_PKS6_NS0_5tupleIJS9_S6_EEENSD_IJSA_SA_EEENS0_18inequality_wrapperIZN2at6native12_GLOBAL__N_124unique_dim_cuda_templateImEESt5tupleIJNSH_6TensorESM_SM_EERKSM_lbbbEUlllE0_EEPmJS6_EEE10hipError_tPvRmT3_T4_T5_T6_T7_T9_mT8_P12ihipStream_tbDpT10_ENKUlT_T0_E_clISt17integral_constantIbLb0EES1B_IbLb1EEEEDaS17_S18_EUlS17_E_NS1_11comp_targetILNS1_3genE5ELNS1_11target_archE942ELNS1_3gpuE9ELNS1_3repE0EEENS1_30default_config_static_selectorELNS0_4arch9wavefront6targetE1EEEvT1_
; %bb.0:
	.section	.rodata,"a",@progbits
	.p2align	6, 0x0
	.amdhsa_kernel _ZN7rocprim17ROCPRIM_400000_NS6detail17trampoline_kernelINS0_14default_configENS1_25partition_config_selectorILNS1_17partition_subalgoE8ElNS0_10empty_typeEbEEZZNS1_14partition_implILS5_8ELb0ES3_jPlPS6_PKS6_NS0_5tupleIJS9_S6_EEENSD_IJSA_SA_EEENS0_18inequality_wrapperIZN2at6native12_GLOBAL__N_124unique_dim_cuda_templateImEESt5tupleIJNSH_6TensorESM_SM_EERKSM_lbbbEUlllE0_EEPmJS6_EEE10hipError_tPvRmT3_T4_T5_T6_T7_T9_mT8_P12ihipStream_tbDpT10_ENKUlT_T0_E_clISt17integral_constantIbLb0EES1B_IbLb1EEEEDaS17_S18_EUlS17_E_NS1_11comp_targetILNS1_3genE5ELNS1_11target_archE942ELNS1_3gpuE9ELNS1_3repE0EEENS1_30default_config_static_selectorELNS0_4arch9wavefront6targetE1EEEvT1_
		.amdhsa_group_segment_fixed_size 0
		.amdhsa_private_segment_fixed_size 0
		.amdhsa_kernarg_size 136
		.amdhsa_user_sgpr_count 6
		.amdhsa_user_sgpr_private_segment_buffer 1
		.amdhsa_user_sgpr_dispatch_ptr 0
		.amdhsa_user_sgpr_queue_ptr 0
		.amdhsa_user_sgpr_kernarg_segment_ptr 1
		.amdhsa_user_sgpr_dispatch_id 0
		.amdhsa_user_sgpr_flat_scratch_init 0
		.amdhsa_user_sgpr_kernarg_preload_length 0
		.amdhsa_user_sgpr_kernarg_preload_offset 0
		.amdhsa_user_sgpr_private_segment_size 0
		.amdhsa_uses_dynamic_stack 0
		.amdhsa_system_sgpr_private_segment_wavefront_offset 0
		.amdhsa_system_sgpr_workgroup_id_x 1
		.amdhsa_system_sgpr_workgroup_id_y 0
		.amdhsa_system_sgpr_workgroup_id_z 0
		.amdhsa_system_sgpr_workgroup_info 0
		.amdhsa_system_vgpr_workitem_id 0
		.amdhsa_next_free_vgpr 1
		.amdhsa_next_free_sgpr 0
		.amdhsa_accum_offset 4
		.amdhsa_reserve_vcc 0
		.amdhsa_reserve_flat_scratch 0
		.amdhsa_float_round_mode_32 0
		.amdhsa_float_round_mode_16_64 0
		.amdhsa_float_denorm_mode_32 3
		.amdhsa_float_denorm_mode_16_64 3
		.amdhsa_dx10_clamp 1
		.amdhsa_ieee_mode 1
		.amdhsa_fp16_overflow 0
		.amdhsa_tg_split 0
		.amdhsa_exception_fp_ieee_invalid_op 0
		.amdhsa_exception_fp_denorm_src 0
		.amdhsa_exception_fp_ieee_div_zero 0
		.amdhsa_exception_fp_ieee_overflow 0
		.amdhsa_exception_fp_ieee_underflow 0
		.amdhsa_exception_fp_ieee_inexact 0
		.amdhsa_exception_int_div_zero 0
	.end_amdhsa_kernel
	.section	.text._ZN7rocprim17ROCPRIM_400000_NS6detail17trampoline_kernelINS0_14default_configENS1_25partition_config_selectorILNS1_17partition_subalgoE8ElNS0_10empty_typeEbEEZZNS1_14partition_implILS5_8ELb0ES3_jPlPS6_PKS6_NS0_5tupleIJS9_S6_EEENSD_IJSA_SA_EEENS0_18inequality_wrapperIZN2at6native12_GLOBAL__N_124unique_dim_cuda_templateImEESt5tupleIJNSH_6TensorESM_SM_EERKSM_lbbbEUlllE0_EEPmJS6_EEE10hipError_tPvRmT3_T4_T5_T6_T7_T9_mT8_P12ihipStream_tbDpT10_ENKUlT_T0_E_clISt17integral_constantIbLb0EES1B_IbLb1EEEEDaS17_S18_EUlS17_E_NS1_11comp_targetILNS1_3genE5ELNS1_11target_archE942ELNS1_3gpuE9ELNS1_3repE0EEENS1_30default_config_static_selectorELNS0_4arch9wavefront6targetE1EEEvT1_,"axG",@progbits,_ZN7rocprim17ROCPRIM_400000_NS6detail17trampoline_kernelINS0_14default_configENS1_25partition_config_selectorILNS1_17partition_subalgoE8ElNS0_10empty_typeEbEEZZNS1_14partition_implILS5_8ELb0ES3_jPlPS6_PKS6_NS0_5tupleIJS9_S6_EEENSD_IJSA_SA_EEENS0_18inequality_wrapperIZN2at6native12_GLOBAL__N_124unique_dim_cuda_templateImEESt5tupleIJNSH_6TensorESM_SM_EERKSM_lbbbEUlllE0_EEPmJS6_EEE10hipError_tPvRmT3_T4_T5_T6_T7_T9_mT8_P12ihipStream_tbDpT10_ENKUlT_T0_E_clISt17integral_constantIbLb0EES1B_IbLb1EEEEDaS17_S18_EUlS17_E_NS1_11comp_targetILNS1_3genE5ELNS1_11target_archE942ELNS1_3gpuE9ELNS1_3repE0EEENS1_30default_config_static_selectorELNS0_4arch9wavefront6targetE1EEEvT1_,comdat
.Lfunc_end1686:
	.size	_ZN7rocprim17ROCPRIM_400000_NS6detail17trampoline_kernelINS0_14default_configENS1_25partition_config_selectorILNS1_17partition_subalgoE8ElNS0_10empty_typeEbEEZZNS1_14partition_implILS5_8ELb0ES3_jPlPS6_PKS6_NS0_5tupleIJS9_S6_EEENSD_IJSA_SA_EEENS0_18inequality_wrapperIZN2at6native12_GLOBAL__N_124unique_dim_cuda_templateImEESt5tupleIJNSH_6TensorESM_SM_EERKSM_lbbbEUlllE0_EEPmJS6_EEE10hipError_tPvRmT3_T4_T5_T6_T7_T9_mT8_P12ihipStream_tbDpT10_ENKUlT_T0_E_clISt17integral_constantIbLb0EES1B_IbLb1EEEEDaS17_S18_EUlS17_E_NS1_11comp_targetILNS1_3genE5ELNS1_11target_archE942ELNS1_3gpuE9ELNS1_3repE0EEENS1_30default_config_static_selectorELNS0_4arch9wavefront6targetE1EEEvT1_, .Lfunc_end1686-_ZN7rocprim17ROCPRIM_400000_NS6detail17trampoline_kernelINS0_14default_configENS1_25partition_config_selectorILNS1_17partition_subalgoE8ElNS0_10empty_typeEbEEZZNS1_14partition_implILS5_8ELb0ES3_jPlPS6_PKS6_NS0_5tupleIJS9_S6_EEENSD_IJSA_SA_EEENS0_18inequality_wrapperIZN2at6native12_GLOBAL__N_124unique_dim_cuda_templateImEESt5tupleIJNSH_6TensorESM_SM_EERKSM_lbbbEUlllE0_EEPmJS6_EEE10hipError_tPvRmT3_T4_T5_T6_T7_T9_mT8_P12ihipStream_tbDpT10_ENKUlT_T0_E_clISt17integral_constantIbLb0EES1B_IbLb1EEEEDaS17_S18_EUlS17_E_NS1_11comp_targetILNS1_3genE5ELNS1_11target_archE942ELNS1_3gpuE9ELNS1_3repE0EEENS1_30default_config_static_selectorELNS0_4arch9wavefront6targetE1EEEvT1_
                                        ; -- End function
	.section	.AMDGPU.csdata,"",@progbits
; Kernel info:
; codeLenInByte = 0
; NumSgprs: 4
; NumVgprs: 0
; NumAgprs: 0
; TotalNumVgprs: 0
; ScratchSize: 0
; MemoryBound: 0
; FloatMode: 240
; IeeeMode: 1
; LDSByteSize: 0 bytes/workgroup (compile time only)
; SGPRBlocks: 0
; VGPRBlocks: 0
; NumSGPRsForWavesPerEU: 4
; NumVGPRsForWavesPerEU: 1
; AccumOffset: 4
; Occupancy: 8
; WaveLimiterHint : 0
; COMPUTE_PGM_RSRC2:SCRATCH_EN: 0
; COMPUTE_PGM_RSRC2:USER_SGPR: 6
; COMPUTE_PGM_RSRC2:TRAP_HANDLER: 0
; COMPUTE_PGM_RSRC2:TGID_X_EN: 1
; COMPUTE_PGM_RSRC2:TGID_Y_EN: 0
; COMPUTE_PGM_RSRC2:TGID_Z_EN: 0
; COMPUTE_PGM_RSRC2:TIDIG_COMP_CNT: 0
; COMPUTE_PGM_RSRC3_GFX90A:ACCUM_OFFSET: 0
; COMPUTE_PGM_RSRC3_GFX90A:TG_SPLIT: 0
	.section	.text._ZN7rocprim17ROCPRIM_400000_NS6detail17trampoline_kernelINS0_14default_configENS1_25partition_config_selectorILNS1_17partition_subalgoE8ElNS0_10empty_typeEbEEZZNS1_14partition_implILS5_8ELb0ES3_jPlPS6_PKS6_NS0_5tupleIJS9_S6_EEENSD_IJSA_SA_EEENS0_18inequality_wrapperIZN2at6native12_GLOBAL__N_124unique_dim_cuda_templateImEESt5tupleIJNSH_6TensorESM_SM_EERKSM_lbbbEUlllE0_EEPmJS6_EEE10hipError_tPvRmT3_T4_T5_T6_T7_T9_mT8_P12ihipStream_tbDpT10_ENKUlT_T0_E_clISt17integral_constantIbLb0EES1B_IbLb1EEEEDaS17_S18_EUlS17_E_NS1_11comp_targetILNS1_3genE4ELNS1_11target_archE910ELNS1_3gpuE8ELNS1_3repE0EEENS1_30default_config_static_selectorELNS0_4arch9wavefront6targetE1EEEvT1_,"axG",@progbits,_ZN7rocprim17ROCPRIM_400000_NS6detail17trampoline_kernelINS0_14default_configENS1_25partition_config_selectorILNS1_17partition_subalgoE8ElNS0_10empty_typeEbEEZZNS1_14partition_implILS5_8ELb0ES3_jPlPS6_PKS6_NS0_5tupleIJS9_S6_EEENSD_IJSA_SA_EEENS0_18inequality_wrapperIZN2at6native12_GLOBAL__N_124unique_dim_cuda_templateImEESt5tupleIJNSH_6TensorESM_SM_EERKSM_lbbbEUlllE0_EEPmJS6_EEE10hipError_tPvRmT3_T4_T5_T6_T7_T9_mT8_P12ihipStream_tbDpT10_ENKUlT_T0_E_clISt17integral_constantIbLb0EES1B_IbLb1EEEEDaS17_S18_EUlS17_E_NS1_11comp_targetILNS1_3genE4ELNS1_11target_archE910ELNS1_3gpuE8ELNS1_3repE0EEENS1_30default_config_static_selectorELNS0_4arch9wavefront6targetE1EEEvT1_,comdat
	.globl	_ZN7rocprim17ROCPRIM_400000_NS6detail17trampoline_kernelINS0_14default_configENS1_25partition_config_selectorILNS1_17partition_subalgoE8ElNS0_10empty_typeEbEEZZNS1_14partition_implILS5_8ELb0ES3_jPlPS6_PKS6_NS0_5tupleIJS9_S6_EEENSD_IJSA_SA_EEENS0_18inequality_wrapperIZN2at6native12_GLOBAL__N_124unique_dim_cuda_templateImEESt5tupleIJNSH_6TensorESM_SM_EERKSM_lbbbEUlllE0_EEPmJS6_EEE10hipError_tPvRmT3_T4_T5_T6_T7_T9_mT8_P12ihipStream_tbDpT10_ENKUlT_T0_E_clISt17integral_constantIbLb0EES1B_IbLb1EEEEDaS17_S18_EUlS17_E_NS1_11comp_targetILNS1_3genE4ELNS1_11target_archE910ELNS1_3gpuE8ELNS1_3repE0EEENS1_30default_config_static_selectorELNS0_4arch9wavefront6targetE1EEEvT1_ ; -- Begin function _ZN7rocprim17ROCPRIM_400000_NS6detail17trampoline_kernelINS0_14default_configENS1_25partition_config_selectorILNS1_17partition_subalgoE8ElNS0_10empty_typeEbEEZZNS1_14partition_implILS5_8ELb0ES3_jPlPS6_PKS6_NS0_5tupleIJS9_S6_EEENSD_IJSA_SA_EEENS0_18inequality_wrapperIZN2at6native12_GLOBAL__N_124unique_dim_cuda_templateImEESt5tupleIJNSH_6TensorESM_SM_EERKSM_lbbbEUlllE0_EEPmJS6_EEE10hipError_tPvRmT3_T4_T5_T6_T7_T9_mT8_P12ihipStream_tbDpT10_ENKUlT_T0_E_clISt17integral_constantIbLb0EES1B_IbLb1EEEEDaS17_S18_EUlS17_E_NS1_11comp_targetILNS1_3genE4ELNS1_11target_archE910ELNS1_3gpuE8ELNS1_3repE0EEENS1_30default_config_static_selectorELNS0_4arch9wavefront6targetE1EEEvT1_
	.p2align	8
	.type	_ZN7rocprim17ROCPRIM_400000_NS6detail17trampoline_kernelINS0_14default_configENS1_25partition_config_selectorILNS1_17partition_subalgoE8ElNS0_10empty_typeEbEEZZNS1_14partition_implILS5_8ELb0ES3_jPlPS6_PKS6_NS0_5tupleIJS9_S6_EEENSD_IJSA_SA_EEENS0_18inequality_wrapperIZN2at6native12_GLOBAL__N_124unique_dim_cuda_templateImEESt5tupleIJNSH_6TensorESM_SM_EERKSM_lbbbEUlllE0_EEPmJS6_EEE10hipError_tPvRmT3_T4_T5_T6_T7_T9_mT8_P12ihipStream_tbDpT10_ENKUlT_T0_E_clISt17integral_constantIbLb0EES1B_IbLb1EEEEDaS17_S18_EUlS17_E_NS1_11comp_targetILNS1_3genE4ELNS1_11target_archE910ELNS1_3gpuE8ELNS1_3repE0EEENS1_30default_config_static_selectorELNS0_4arch9wavefront6targetE1EEEvT1_,@function
_ZN7rocprim17ROCPRIM_400000_NS6detail17trampoline_kernelINS0_14default_configENS1_25partition_config_selectorILNS1_17partition_subalgoE8ElNS0_10empty_typeEbEEZZNS1_14partition_implILS5_8ELb0ES3_jPlPS6_PKS6_NS0_5tupleIJS9_S6_EEENSD_IJSA_SA_EEENS0_18inequality_wrapperIZN2at6native12_GLOBAL__N_124unique_dim_cuda_templateImEESt5tupleIJNSH_6TensorESM_SM_EERKSM_lbbbEUlllE0_EEPmJS6_EEE10hipError_tPvRmT3_T4_T5_T6_T7_T9_mT8_P12ihipStream_tbDpT10_ENKUlT_T0_E_clISt17integral_constantIbLb0EES1B_IbLb1EEEEDaS17_S18_EUlS17_E_NS1_11comp_targetILNS1_3genE4ELNS1_11target_archE910ELNS1_3gpuE8ELNS1_3repE0EEENS1_30default_config_static_selectorELNS0_4arch9wavefront6targetE1EEEvT1_: ; @_ZN7rocprim17ROCPRIM_400000_NS6detail17trampoline_kernelINS0_14default_configENS1_25partition_config_selectorILNS1_17partition_subalgoE8ElNS0_10empty_typeEbEEZZNS1_14partition_implILS5_8ELb0ES3_jPlPS6_PKS6_NS0_5tupleIJS9_S6_EEENSD_IJSA_SA_EEENS0_18inequality_wrapperIZN2at6native12_GLOBAL__N_124unique_dim_cuda_templateImEESt5tupleIJNSH_6TensorESM_SM_EERKSM_lbbbEUlllE0_EEPmJS6_EEE10hipError_tPvRmT3_T4_T5_T6_T7_T9_mT8_P12ihipStream_tbDpT10_ENKUlT_T0_E_clISt17integral_constantIbLb0EES1B_IbLb1EEEEDaS17_S18_EUlS17_E_NS1_11comp_targetILNS1_3genE4ELNS1_11target_archE910ELNS1_3gpuE8ELNS1_3repE0EEENS1_30default_config_static_selectorELNS0_4arch9wavefront6targetE1EEEvT1_
; %bb.0:
	s_load_dwordx2 s[28:29], s[4:5], 0x28
	s_load_dwordx8 s[20:27], s[4:5], 0x40
	s_load_dwordx4 s[16:19], s[4:5], 0x60
	v_cmp_ne_u32_e64 s[2:3], 0, v0
	v_cmp_eq_u32_e64 s[0:1], 0, v0
	s_and_saveexec_b64 s[6:7], s[0:1]
	s_cbranch_execz .LBB1687_4
; %bb.1:
	s_mov_b64 s[10:11], exec
	v_mbcnt_lo_u32_b32 v1, s10, 0
	v_mbcnt_hi_u32_b32 v1, s11, v1
	v_cmp_eq_u32_e32 vcc, 0, v1
                                        ; implicit-def: $vgpr2
	s_and_saveexec_b64 s[8:9], vcc
	s_cbranch_execz .LBB1687_3
; %bb.2:
	s_load_dwordx2 s[12:13], s[4:5], 0x78
	s_bcnt1_i32_b64 s10, s[10:11]
	v_mov_b32_e32 v2, 0
	v_mov_b32_e32 v3, s10
	s_waitcnt lgkmcnt(0)
	global_atomic_add v2, v2, v3, s[12:13] glc
.LBB1687_3:
	s_or_b64 exec, exec, s[8:9]
	s_waitcnt vmcnt(0)
	v_readfirstlane_b32 s8, v2
	v_add_u32_e32 v1, s8, v1
	v_mov_b32_e32 v2, 0
	ds_write_b32 v2, v1
.LBB1687_4:
	s_or_b64 exec, exec, s[6:7]
	v_mov_b32_e32 v3, 0
	s_load_dwordx4 s[8:11], s[4:5], 0x8
	s_load_dword s12, s[4:5], 0x70
	s_waitcnt lgkmcnt(0)
	s_barrier
	ds_read_b32 v1, v3
	s_waitcnt lgkmcnt(0)
	s_barrier
	global_load_dwordx2 v[4:5], v3, s[22:23]
	s_lshl_b64 s[4:5], s[10:11], 3
	s_mul_i32 s14, s12, 0x500
	s_add_u32 s8, s8, s4
	s_addc_u32 s4, s9, s5
	s_add_i32 s5, s14, s10
	s_add_i32 s12, s12, -1
	s_sub_i32 s48, s24, s5
	v_mov_b32_e32 v8, s4
	s_add_u32 s4, s10, s14
	s_addc_u32 s5, s11, 0
	v_readfirstlane_b32 s33, v1
	v_mov_b32_e32 v6, s24
	v_mov_b32_e32 v7, s25
	s_movk_i32 s13, 0x500
	s_cmp_eq_u32 s33, s12
	v_mul_lo_u32 v2, v1, s13
	v_cmp_ge_u64_e32 vcc, s[4:5], v[6:7]
	s_cselect_b64 s[24:25], -1, 0
	v_lshlrev_b64 v[2:3], 3, v[2:3]
	s_and_b64 s[12:13], vcc, s[24:25]
	v_add_co_u32_e64 v18, s[4:5], s8, v2
	s_xor_b64 s[30:31], s[12:13], -1
	s_mov_b64 s[6:7], -1
	v_addc_co_u32_e64 v19, s[4:5], v8, v3, s[4:5]
	s_and_b64 vcc, exec, s[30:31]
	s_waitcnt vmcnt(0)
	v_readfirstlane_b32 s22, v4
	v_readfirstlane_b32 s23, v5
	s_cbranch_vccz .LBB1687_6
; %bb.5:
	v_lshlrev_b32_e32 v1, 3, v0
	v_add_co_u32_e32 v12, vcc, v18, v1
	v_addc_co_u32_e32 v13, vcc, 0, v19, vcc
	v_add_co_u32_e32 v2, vcc, 0x1000, v12
	v_readfirstlane_b32 s4, v18
	v_readfirstlane_b32 s5, v19
	v_addc_co_u32_e32 v3, vcc, 0, v13, vcc
	s_nop 3
	global_load_dwordx2 v[4:5], v1, s[4:5]
	global_load_dwordx2 v[6:7], v1, s[4:5] offset:2048
	global_load_dwordx2 v[8:9], v[2:3], off
	global_load_dwordx2 v[10:11], v[2:3], off offset:2048
	v_add_co_u32_e32 v2, vcc, 0x2000, v12
	v_addc_co_u32_e32 v3, vcc, 0, v13, vcc
	global_load_dwordx2 v[2:3], v[2:3], off
	s_mov_b64 s[6:7], 0
	s_waitcnt vmcnt(3)
	ds_write2st64_b64 v1, v[4:5], v[6:7] offset1:4
	s_waitcnt vmcnt(1)
	ds_write2st64_b64 v1, v[8:9], v[10:11] offset0:8 offset1:12
	s_waitcnt vmcnt(0)
	ds_write_b64 v1, v[2:3] offset:8192
	s_waitcnt lgkmcnt(0)
	s_barrier
.LBB1687_6:
	s_andn2_b64 vcc, exec, s[6:7]
	s_addk_i32 s48, 0x500
	s_cbranch_vccnz .LBB1687_18
; %bb.7:
	v_cmp_gt_u32_e32 vcc, s48, v0
                                        ; implicit-def: $vgpr2_vgpr3_vgpr4_vgpr5_vgpr6_vgpr7_vgpr8_vgpr9_vgpr10_vgpr11_vgpr12_vgpr13_vgpr14_vgpr15_vgpr16_vgpr17
	s_and_saveexec_b64 s[4:5], vcc
	s_cbranch_execz .LBB1687_9
; %bb.8:
	v_lshlrev_b32_e32 v1, 3, v0
	v_readfirstlane_b32 s6, v18
	v_readfirstlane_b32 s7, v19
	s_nop 4
	global_load_dwordx2 v[2:3], v1, s[6:7]
.LBB1687_9:
	s_or_b64 exec, exec, s[4:5]
	v_or_b32_e32 v1, 0x100, v0
	v_cmp_gt_u32_e32 vcc, s48, v1
	s_and_saveexec_b64 s[4:5], vcc
	s_cbranch_execz .LBB1687_11
; %bb.10:
	v_lshlrev_b32_e32 v1, 3, v0
	v_readfirstlane_b32 s6, v18
	v_readfirstlane_b32 s7, v19
	s_nop 4
	global_load_dwordx2 v[4:5], v1, s[6:7] offset:2048
.LBB1687_11:
	s_or_b64 exec, exec, s[4:5]
	v_or_b32_e32 v1, 0x200, v0
	v_cmp_gt_u32_e32 vcc, s48, v1
	s_and_saveexec_b64 s[4:5], vcc
	s_cbranch_execz .LBB1687_13
; %bb.12:
	v_lshlrev_b32_e32 v1, 3, v1
	v_readfirstlane_b32 s6, v18
	v_readfirstlane_b32 s7, v19
	s_nop 4
	global_load_dwordx2 v[6:7], v1, s[6:7]
.LBB1687_13:
	s_or_b64 exec, exec, s[4:5]
	v_or_b32_e32 v1, 0x300, v0
	v_cmp_gt_u32_e32 vcc, s48, v1
	s_and_saveexec_b64 s[4:5], vcc
	s_cbranch_execz .LBB1687_15
; %bb.14:
	v_lshlrev_b32_e32 v1, 3, v1
	v_readfirstlane_b32 s6, v18
	v_readfirstlane_b32 s7, v19
	s_nop 4
	global_load_dwordx2 v[8:9], v1, s[6:7]
.LBB1687_15:
	;; [unrolled: 12-line block ×3, first 2 shown]
	s_or_b64 exec, exec, s[4:5]
	v_lshlrev_b32_e32 v1, 3, v0
	s_waitcnt vmcnt(0)
	ds_write2st64_b64 v1, v[2:3], v[4:5] offset1:4
	ds_write2st64_b64 v1, v[6:7], v[8:9] offset0:8 offset1:12
	ds_write_b64 v1, v[10:11] offset:8192
	s_waitcnt lgkmcnt(0)
	s_barrier
.LBB1687_18:
	v_mul_u32_u24_e32 v1, 5, v0
	v_lshlrev_b32_e32 v26, 3, v1
	ds_read2_b64 v[6:9], v26 offset1:1
	ds_read2_b64 v[2:5], v26 offset0:2 offset1:3
	ds_read_b64 v[10:11], v26 offset:32
	s_cmp_lg_u32 s33, 0
	s_cselect_b64 s[34:35], -1, 0
	s_cmp_lg_u64 s[10:11], 0
	s_cselect_b64 s[4:5], -1, 0
	s_or_b64 s[4:5], s[4:5], s[34:35]
	v_mad_u32_u24 v24, v0, 5, 1
	v_mad_u32_u24 v22, v0, 5, 2
	;; [unrolled: 1-line block ×4, first 2 shown]
	s_mov_b64 s[14:15], 0
	s_and_b64 vcc, exec, s[4:5]
	v_cmp_gt_i64_e64 s[4:5], s[26:27], 0
	s_waitcnt lgkmcnt(0)
	s_barrier
	s_cbranch_vccz .LBB1687_27
; %bb.19:
	global_load_dwordx2 v[14:15], v[18:19], off offset:-8
	v_cndmask_b32_e64 v12, 0, 1, s[4:5]
	v_lshlrev_b32_e32 v27, 3, v0
	s_mov_b64 s[10:11], 0
	s_and_b64 vcc, exec, s[30:31]
	v_cmp_ne_u32_e64 s[4:5], 1, v12
	ds_write_b64 v27, v[10:11]
	s_cbranch_vccz .LBB1687_28
; %bb.20:
	v_mul_lo_u32 v16, v5, s26
	v_mul_lo_u32 v17, v4, s27
	v_mad_u64_u32 v[12:13], s[6:7], v4, s26, 0
	v_add3_u32 v13, v13, v17, v16
	s_and_b64 vcc, exec, s[4:5]
	v_lshlrev_b64 v[12:13], 3, v[12:13]
	s_cbranch_vccnz .LBB1687_31
; %bb.21:
	v_mul_lo_u32 v18, v11, s26
	v_mul_lo_u32 v19, v10, s27
	v_mad_u64_u32 v[16:17], s[6:7], v10, s26, 0
	v_add3_u32 v17, v17, v19, v18
	v_mov_b32_e32 v19, s17
	v_add_co_u32_e32 v18, vcc, s16, v12
	v_addc_co_u32_e64 v19, s[6:7], v19, v13, vcc
	v_lshlrev_b64 v[16:17], 3, v[16:17]
	v_mov_b32_e32 v21, s17
	v_add_co_u32_e64 v20, s[6:7], s16, v16
	v_addc_co_u32_e64 v21, s[8:9], v21, v17, s[6:7]
	global_load_dwordx2 v[28:29], v[18:19], off
	global_load_dwordx2 v[30:31], v[20:21], off
	s_mov_b64 s[10:11], -1
	s_waitcnt vmcnt(0)
	v_cmp_eq_u64_e64 s[8:9], v[28:29], v[30:31]
	s_and_saveexec_b64 s[14:15], s[8:9]
	s_cbranch_execz .LBB1687_30
; %bb.22:
	v_mov_b32_e32 v16, s17
	v_addc_co_u32_e64 v17, s[6:7], v17, v16, s[6:7]
	v_add_co_u32_e64 v16, s[6:7], 8, v20
	v_mov_b32_e32 v19, s17
	v_addc_co_u32_e64 v17, s[6:7], 0, v17, s[6:7]
	v_addc_co_u32_e32 v19, vcc, v13, v19, vcc
	v_add_co_u32_e32 v18, vcc, 8, v18
	s_add_u32 s6, s26, -1
	v_addc_co_u32_e32 v19, vcc, 0, v19, vcc
	s_addc_u32 s7, s27, -1
	s_mov_b64 s[8:9], 0
	s_mov_b64 s[36:37], 0
                                        ; implicit-def: $sgpr10_sgpr11
	s_branch .LBB1687_25
.LBB1687_23:                            ;   in Loop: Header=BB1687_25 Depth=1
	global_load_dwordx2 v[20:21], v[18:19], off
	global_load_dwordx2 v[28:29], v[16:17], off
	v_add_co_u32_e32 v16, vcc, 8, v16
	v_addc_co_u32_e32 v17, vcc, 0, v17, vcc
	v_add_co_u32_e32 v18, vcc, 8, v18
	v_addc_co_u32_e32 v19, vcc, 0, v19, vcc
	s_add_u32 s36, s36, 1
	s_addc_u32 s37, s37, 0
	s_andn2_b64 s[10:11], s[10:11], exec
	s_waitcnt vmcnt(0)
	v_cmp_ne_u64_e32 vcc, v[20:21], v[28:29]
	s_and_b64 s[38:39], vcc, exec
	s_or_b64 s[10:11], s[10:11], s[38:39]
.LBB1687_24:                            ;   in Loop: Header=BB1687_25 Depth=1
	s_and_b64 s[38:39], exec, s[10:11]
	s_or_b64 s[8:9], s[38:39], s[8:9]
	v_pk_mov_b32 v[20:21], s[36:37], s[36:37] op_sel:[0,1]
	s_andn2_b64 exec, exec, s[8:9]
	s_cbranch_execz .LBB1687_29
.LBB1687_25:                            ; =>This Inner Loop Header: Depth=1
	s_or_b64 s[10:11], s[10:11], exec
	s_cmp_eq_u64 s[6:7], s[36:37]
	s_cbranch_scc0 .LBB1687_23
; %bb.26:                               ;   in Loop: Header=BB1687_25 Depth=1
                                        ; implicit-def: $vgpr16_vgpr17
                                        ; implicit-def: $vgpr18_vgpr19
	s_mov_b64 s[36:37], s[26:27]
	s_branch .LBB1687_24
.LBB1687_27:
                                        ; implicit-def: $sgpr36_sgpr37
                                        ; implicit-def: $vgpr13
                                        ; implicit-def: $vgpr16
	s_branch .LBB1687_129
.LBB1687_28:
                                        ; implicit-def: $sgpr36_sgpr37
                                        ; implicit-def: $vgpr13
                                        ; implicit-def: $vgpr16
	s_cbranch_execnz .LBB1687_70
	s_branch .LBB1687_128
.LBB1687_29:
	s_or_b64 exec, exec, s[8:9]
	v_cmp_gt_i64_e32 vcc, s[26:27], v[20:21]
	s_orn2_b64 s[10:11], vcc, exec
.LBB1687_30:
	s_or_b64 exec, exec, s[14:15]
.LBB1687_31:
	v_mul_lo_u32 v18, v3, s26
	v_mul_lo_u32 v19, v2, s27
	v_mad_u64_u32 v[16:17], s[6:7], v2, s26, 0
	v_add3_u32 v17, v17, v19, v18
	s_mov_b64 s[14:15], 0
	s_and_b64 vcc, exec, s[4:5]
	v_lshlrev_b64 v[18:19], 3, v[16:17]
	s_mov_b64 s[36:37], 0
	s_cbranch_vccnz .LBB1687_40
; %bb.32:
	v_mov_b32_e32 v17, s17
	v_add_co_u32_e32 v16, vcc, s16, v18
	v_addc_co_u32_e64 v17, s[6:7], v17, v19, vcc
	v_mov_b32_e32 v21, s17
	v_add_co_u32_e64 v20, s[6:7], s16, v12
	v_addc_co_u32_e64 v21, s[8:9], v21, v13, s[6:7]
	global_load_dwordx2 v[28:29], v[16:17], off
	global_load_dwordx2 v[30:31], v[20:21], off
	s_mov_b64 s[36:37], -1
	s_waitcnt vmcnt(0)
	v_cmp_eq_u64_e64 s[8:9], v[28:29], v[30:31]
	s_and_saveexec_b64 s[38:39], s[8:9]
	s_cbranch_execz .LBB1687_39
; %bb.33:
	v_mov_b32_e32 v12, s17
	v_addc_co_u32_e64 v13, s[6:7], v13, v12, s[6:7]
	v_add_co_u32_e64 v12, s[6:7], 8, v20
	v_mov_b32_e32 v17, s17
	v_addc_co_u32_e64 v13, s[6:7], 0, v13, s[6:7]
	v_addc_co_u32_e32 v17, vcc, v19, v17, vcc
	v_add_co_u32_e32 v16, vcc, 8, v16
	s_add_u32 s6, s26, -1
	v_addc_co_u32_e32 v17, vcc, 0, v17, vcc
	s_addc_u32 s7, s27, -1
	s_mov_b64 s[8:9], 0
	s_mov_b64 s[40:41], 0
                                        ; implicit-def: $sgpr36_sgpr37
	s_branch .LBB1687_36
.LBB1687_34:                            ;   in Loop: Header=BB1687_36 Depth=1
	global_load_dwordx2 v[20:21], v[16:17], off
	global_load_dwordx2 v[28:29], v[12:13], off
	v_add_co_u32_e32 v12, vcc, 8, v12
	v_addc_co_u32_e32 v13, vcc, 0, v13, vcc
	v_add_co_u32_e32 v16, vcc, 8, v16
	v_addc_co_u32_e32 v17, vcc, 0, v17, vcc
	s_add_u32 s40, s40, 1
	s_addc_u32 s41, s41, 0
	s_andn2_b64 s[36:37], s[36:37], exec
	s_waitcnt vmcnt(0)
	v_cmp_ne_u64_e32 vcc, v[20:21], v[28:29]
	s_and_b64 s[42:43], vcc, exec
	s_or_b64 s[36:37], s[36:37], s[42:43]
.LBB1687_35:                            ;   in Loop: Header=BB1687_36 Depth=1
	s_and_b64 s[42:43], exec, s[36:37]
	s_or_b64 s[8:9], s[42:43], s[8:9]
	v_pk_mov_b32 v[20:21], s[40:41], s[40:41] op_sel:[0,1]
	s_andn2_b64 exec, exec, s[8:9]
	s_cbranch_execz .LBB1687_38
.LBB1687_36:                            ; =>This Inner Loop Header: Depth=1
	s_or_b64 s[36:37], s[36:37], exec
	s_cmp_eq_u64 s[6:7], s[40:41]
	s_cbranch_scc0 .LBB1687_34
; %bb.37:                               ;   in Loop: Header=BB1687_36 Depth=1
                                        ; implicit-def: $vgpr12_vgpr13
                                        ; implicit-def: $vgpr16_vgpr17
	s_mov_b64 s[40:41], s[26:27]
	s_branch .LBB1687_35
.LBB1687_38:
	s_or_b64 exec, exec, s[8:9]
	v_cmp_gt_i64_e32 vcc, s[26:27], v[20:21]
	s_orn2_b64 s[36:37], vcc, exec
.LBB1687_39:
	s_or_b64 exec, exec, s[38:39]
.LBB1687_40:
	v_mul_lo_u32 v16, v9, s26
	v_mul_lo_u32 v17, v8, s27
	v_mad_u64_u32 v[12:13], s[6:7], v8, s26, 0
	v_add3_u32 v13, v13, v17, v16
	s_and_b64 vcc, exec, s[4:5]
	v_lshlrev_b64 v[16:17], 3, v[12:13]
	s_cbranch_vccnz .LBB1687_49
; %bb.41:
	v_mov_b32_e32 v12, s17
	v_add_co_u32_e32 v20, vcc, s16, v16
	v_addc_co_u32_e64 v21, s[6:7], v12, v17, vcc
	v_mov_b32_e32 v13, s17
	v_add_co_u32_e64 v12, s[6:7], s16, v18
	v_addc_co_u32_e64 v13, s[8:9], v13, v19, s[6:7]
	global_load_dwordx2 v[28:29], v[20:21], off
	global_load_dwordx2 v[30:31], v[12:13], off
	s_mov_b64 s[14:15], -1
	s_waitcnt vmcnt(0)
	v_cmp_eq_u64_e64 s[8:9], v[28:29], v[30:31]
	s_and_saveexec_b64 s[38:39], s[8:9]
	s_cbranch_execz .LBB1687_48
; %bb.42:
	v_mov_b32_e32 v13, s17
	v_addc_co_u32_e64 v13, s[6:7], v19, v13, s[6:7]
	v_add_co_u32_e64 v12, s[6:7], 8, v12
	v_mov_b32_e32 v18, s17
	v_addc_co_u32_e64 v13, s[6:7], 0, v13, s[6:7]
	v_addc_co_u32_e32 v19, vcc, v17, v18, vcc
	v_add_co_u32_e32 v18, vcc, 8, v20
	s_add_u32 s6, s26, -1
	v_addc_co_u32_e32 v19, vcc, 0, v19, vcc
	s_addc_u32 s7, s27, -1
	s_mov_b64 s[8:9], 0
	s_mov_b64 s[40:41], 0
                                        ; implicit-def: $sgpr14_sgpr15
	s_branch .LBB1687_45
.LBB1687_43:                            ;   in Loop: Header=BB1687_45 Depth=1
	global_load_dwordx2 v[20:21], v[18:19], off
	global_load_dwordx2 v[28:29], v[12:13], off
	v_add_co_u32_e32 v12, vcc, 8, v12
	v_addc_co_u32_e32 v13, vcc, 0, v13, vcc
	v_add_co_u32_e32 v18, vcc, 8, v18
	v_addc_co_u32_e32 v19, vcc, 0, v19, vcc
	s_add_u32 s40, s40, 1
	s_addc_u32 s41, s41, 0
	s_andn2_b64 s[14:15], s[14:15], exec
	s_waitcnt vmcnt(0)
	v_cmp_ne_u64_e32 vcc, v[20:21], v[28:29]
	s_and_b64 s[42:43], vcc, exec
	s_or_b64 s[14:15], s[14:15], s[42:43]
.LBB1687_44:                            ;   in Loop: Header=BB1687_45 Depth=1
	s_and_b64 s[42:43], exec, s[14:15]
	s_or_b64 s[8:9], s[42:43], s[8:9]
	v_pk_mov_b32 v[20:21], s[40:41], s[40:41] op_sel:[0,1]
	s_andn2_b64 exec, exec, s[8:9]
	s_cbranch_execz .LBB1687_47
.LBB1687_45:                            ; =>This Inner Loop Header: Depth=1
	s_or_b64 s[14:15], s[14:15], exec
	s_cmp_eq_u64 s[6:7], s[40:41]
	s_cbranch_scc0 .LBB1687_43
; %bb.46:                               ;   in Loop: Header=BB1687_45 Depth=1
                                        ; implicit-def: $vgpr12_vgpr13
                                        ; implicit-def: $vgpr18_vgpr19
	s_mov_b64 s[40:41], s[26:27]
	s_branch .LBB1687_44
.LBB1687_47:
	s_or_b64 exec, exec, s[8:9]
	v_cmp_gt_i64_e32 vcc, s[26:27], v[20:21]
	s_orn2_b64 s[14:15], vcc, exec
.LBB1687_48:
	s_or_b64 exec, exec, s[38:39]
.LBB1687_49:
	v_mul_lo_u32 v18, v7, s26
	v_mul_lo_u32 v19, v6, s27
	v_mad_u64_u32 v[12:13], s[6:7], v6, s26, 0
	v_add3_u32 v13, v13, v19, v18
	s_mov_b64 s[40:41], 0
	s_and_b64 vcc, exec, s[4:5]
	v_lshlrev_b64 v[12:13], 3, v[12:13]
	s_cbranch_vccnz .LBB1687_58
; %bb.50:
	v_mov_b32_e32 v19, s17
	v_add_co_u32_e32 v18, vcc, s16, v12
	v_addc_co_u32_e64 v19, s[6:7], v19, v13, vcc
	v_mov_b32_e32 v21, s17
	v_add_co_u32_e64 v20, s[6:7], s16, v16
	v_addc_co_u32_e64 v21, s[8:9], v21, v17, s[6:7]
	global_load_dwordx2 v[28:29], v[18:19], off
	global_load_dwordx2 v[30:31], v[20:21], off
	s_mov_b64 s[40:41], -1
	s_waitcnt vmcnt(0)
	v_cmp_eq_u64_e64 s[8:9], v[28:29], v[30:31]
	s_and_saveexec_b64 s[38:39], s[8:9]
	s_cbranch_execz .LBB1687_57
; %bb.51:
	v_mov_b32_e32 v16, s17
	v_addc_co_u32_e64 v17, s[6:7], v17, v16, s[6:7]
	v_add_co_u32_e64 v16, s[6:7], 8, v20
	v_mov_b32_e32 v19, s17
	v_addc_co_u32_e64 v17, s[6:7], 0, v17, s[6:7]
	v_addc_co_u32_e32 v19, vcc, v13, v19, vcc
	v_add_co_u32_e32 v18, vcc, 8, v18
	s_add_u32 s6, s26, -1
	v_addc_co_u32_e32 v19, vcc, 0, v19, vcc
	s_addc_u32 s7, s27, -1
	s_mov_b64 s[8:9], 0
	s_mov_b64 s[42:43], 0
                                        ; implicit-def: $sgpr40_sgpr41
	s_branch .LBB1687_54
.LBB1687_52:                            ;   in Loop: Header=BB1687_54 Depth=1
	global_load_dwordx2 v[20:21], v[18:19], off
	global_load_dwordx2 v[28:29], v[16:17], off
	v_add_co_u32_e32 v16, vcc, 8, v16
	v_addc_co_u32_e32 v17, vcc, 0, v17, vcc
	v_add_co_u32_e32 v18, vcc, 8, v18
	v_addc_co_u32_e32 v19, vcc, 0, v19, vcc
	s_add_u32 s42, s42, 1
	s_addc_u32 s43, s43, 0
	s_andn2_b64 s[40:41], s[40:41], exec
	s_waitcnt vmcnt(0)
	v_cmp_ne_u64_e32 vcc, v[20:21], v[28:29]
	s_and_b64 s[44:45], vcc, exec
	s_or_b64 s[40:41], s[40:41], s[44:45]
.LBB1687_53:                            ;   in Loop: Header=BB1687_54 Depth=1
	s_and_b64 s[44:45], exec, s[40:41]
	s_or_b64 s[8:9], s[44:45], s[8:9]
	v_pk_mov_b32 v[20:21], s[42:43], s[42:43] op_sel:[0,1]
	s_andn2_b64 exec, exec, s[8:9]
	s_cbranch_execz .LBB1687_56
.LBB1687_54:                            ; =>This Inner Loop Header: Depth=1
	s_or_b64 s[40:41], s[40:41], exec
	s_cmp_eq_u64 s[6:7], s[42:43]
	s_cbranch_scc0 .LBB1687_52
; %bb.55:                               ;   in Loop: Header=BB1687_54 Depth=1
                                        ; implicit-def: $vgpr16_vgpr17
                                        ; implicit-def: $vgpr18_vgpr19
	s_mov_b64 s[42:43], s[26:27]
	s_branch .LBB1687_53
.LBB1687_56:
	s_or_b64 exec, exec, s[8:9]
	v_cmp_gt_i64_e32 vcc, s[26:27], v[20:21]
	s_orn2_b64 s[40:41], vcc, exec
.LBB1687_57:
	s_or_b64 exec, exec, s[38:39]
.LBB1687_58:
	s_waitcnt vmcnt(0)
	v_pk_mov_b32 v[16:17], v[14:15], v[14:15] op_sel:[0,1]
	s_waitcnt lgkmcnt(0)
	s_barrier
	s_and_saveexec_b64 s[6:7], s[2:3]
	s_cbranch_execz .LBB1687_60
; %bb.59:
	v_add_u32_e32 v16, -8, v27
	ds_read_b64 v[16:17], v16
.LBB1687_60:
	s_or_b64 exec, exec, s[6:7]
	v_cndmask_b32_e64 v19, 0, 1, s[36:37]
	v_cndmask_b32_e64 v18, 0, 1, s[14:15]
	;; [unrolled: 1-line block ×3, first 2 shown]
	v_lshlrev_b16_e32 v19, 8, v19
	v_lshlrev_b16_e32 v28, 8, v20
	v_or_b32_sdwa v29, v18, v19 dst_sel:WORD_1 dst_unused:UNUSED_PAD src0_sel:DWORD src1_sel:DWORD
	s_mov_b64 s[14:15], 0
	s_and_b64 vcc, exec, s[4:5]
	s_mov_b64 s[36:37], 0
	s_cbranch_vccnz .LBB1687_69
; %bb.61:
	s_waitcnt lgkmcnt(0)
	v_mul_lo_u32 v18, v17, s26
	v_mul_lo_u32 v19, v16, s27
	v_mad_u64_u32 v[16:17], s[6:7], v16, s26, 0
	v_add3_u32 v17, v17, v19, v18
	v_lshlrev_b64 v[16:17], 3, v[16:17]
	v_mov_b32_e32 v19, s17
	v_add_co_u32_e32 v18, vcc, s16, v16
	v_addc_co_u32_e64 v19, s[6:7], v19, v17, vcc
	v_mov_b32_e32 v16, s17
	v_add_co_u32_e64 v20, s[6:7], s16, v12
	v_addc_co_u32_e64 v21, s[8:9], v16, v13, s[6:7]
	global_load_dwordx2 v[30:31], v[18:19], off
	global_load_dwordx2 v[32:33], v[20:21], off
	s_mov_b64 s[36:37], -1
	s_waitcnt vmcnt(0)
	v_cmp_eq_u64_e64 s[8:9], v[30:31], v[32:33]
	s_and_saveexec_b64 s[38:39], s[8:9]
	s_cbranch_execz .LBB1687_68
; %bb.62:
	v_mov_b32_e32 v12, s17
	v_addc_co_u32_e64 v13, s[6:7], v13, v12, s[6:7]
	v_add_co_u32_e64 v12, s[6:7], 8, v20
	v_mov_b32_e32 v16, s17
	v_addc_co_u32_e64 v13, s[6:7], 0, v13, s[6:7]
	v_addc_co_u32_e32 v17, vcc, v17, v16, vcc
	v_add_co_u32_e32 v16, vcc, 8, v18
	s_add_u32 s6, s26, -1
	v_addc_co_u32_e32 v17, vcc, 0, v17, vcc
	s_addc_u32 s7, s27, -1
	s_mov_b64 s[8:9], 0
	s_mov_b64 s[40:41], 0
                                        ; implicit-def: $sgpr36_sgpr37
	s_branch .LBB1687_65
.LBB1687_63:                            ;   in Loop: Header=BB1687_65 Depth=1
	global_load_dwordx2 v[18:19], v[16:17], off
	global_load_dwordx2 v[20:21], v[12:13], off
	v_add_co_u32_e32 v12, vcc, 8, v12
	v_addc_co_u32_e32 v13, vcc, 0, v13, vcc
	v_add_co_u32_e32 v16, vcc, 8, v16
	v_addc_co_u32_e32 v17, vcc, 0, v17, vcc
	s_add_u32 s40, s40, 1
	s_addc_u32 s41, s41, 0
	s_andn2_b64 s[36:37], s[36:37], exec
	s_waitcnt vmcnt(0)
	v_cmp_ne_u64_e32 vcc, v[18:19], v[20:21]
	s_and_b64 s[42:43], vcc, exec
	s_or_b64 s[36:37], s[36:37], s[42:43]
.LBB1687_64:                            ;   in Loop: Header=BB1687_65 Depth=1
	s_and_b64 s[42:43], exec, s[36:37]
	s_or_b64 s[8:9], s[42:43], s[8:9]
	v_pk_mov_b32 v[18:19], s[40:41], s[40:41] op_sel:[0,1]
	s_andn2_b64 exec, exec, s[8:9]
	s_cbranch_execz .LBB1687_67
.LBB1687_65:                            ; =>This Inner Loop Header: Depth=1
	s_or_b64 s[36:37], s[36:37], exec
	s_cmp_eq_u64 s[6:7], s[40:41]
	s_cbranch_scc0 .LBB1687_63
; %bb.66:                               ;   in Loop: Header=BB1687_65 Depth=1
                                        ; implicit-def: $vgpr12_vgpr13
                                        ; implicit-def: $vgpr16_vgpr17
	s_mov_b64 s[40:41], s[26:27]
	s_branch .LBB1687_64
.LBB1687_67:
	s_or_b64 exec, exec, s[8:9]
	v_cmp_gt_i64_e32 vcc, s[26:27], v[18:19]
	s_orn2_b64 s[36:37], vcc, exec
.LBB1687_68:
	s_or_b64 exec, exec, s[38:39]
.LBB1687_69:
	v_cndmask_b32_e64 v13, 0, 1, s[10:11]
	s_waitcnt lgkmcnt(0)
	v_or_b32_e32 v16, v28, v29
	s_and_b64 vcc, exec, s[14:15]
	s_cbranch_vccz .LBB1687_128
.LBB1687_70:
	v_cmp_gt_u32_e32 vcc, s48, v23
	s_mov_b64 s[14:15], 0
	s_mov_b64 s[10:11], 0
	s_and_saveexec_b64 s[36:37], vcc
	s_cbranch_execz .LBB1687_81
; %bb.71:
	s_and_b64 vcc, exec, s[4:5]
	s_mov_b64 s[38:39], 0
	s_cbranch_vccnz .LBB1687_80
; %bb.72:
	v_mul_lo_u32 v16, v5, s26
	v_mul_lo_u32 v17, v4, s27
	v_mad_u64_u32 v[12:13], s[6:7], v4, s26, 0
	v_add3_u32 v13, v13, v17, v16
	v_mul_lo_u32 v16, v11, s26
	v_mul_lo_u32 v17, v10, s27
	v_mad_u64_u32 v[20:21], s[6:7], v10, s26, 0
	v_add3_u32 v21, v21, v17, v16
	v_lshlrev_b64 v[16:17], 3, v[12:13]
	v_mov_b32_e32 v12, s17
	v_add_co_u32_e32 v18, vcc, s16, v16
	v_addc_co_u32_e64 v19, s[6:7], v12, v17, vcc
	v_lshlrev_b64 v[12:13], 3, v[20:21]
	v_mov_b32_e32 v16, s17
	v_add_co_u32_e64 v20, s[6:7], s16, v12
	v_addc_co_u32_e64 v21, s[8:9], v16, v13, s[6:7]
	global_load_dwordx2 v[28:29], v[18:19], off
	global_load_dwordx2 v[30:31], v[20:21], off
	s_mov_b64 s[38:39], -1
	s_waitcnt vmcnt(0)
	v_cmp_eq_u64_e64 s[8:9], v[28:29], v[30:31]
	s_and_saveexec_b64 s[10:11], s[8:9]
	s_cbranch_execz .LBB1687_79
; %bb.73:
	v_mov_b32_e32 v12, s17
	v_addc_co_u32_e64 v13, s[6:7], v13, v12, s[6:7]
	v_add_co_u32_e64 v12, s[6:7], 8, v20
	v_mov_b32_e32 v16, s17
	v_addc_co_u32_e64 v13, s[6:7], 0, v13, s[6:7]
	v_addc_co_u32_e32 v17, vcc, v17, v16, vcc
	v_add_co_u32_e32 v16, vcc, 8, v18
	s_add_u32 s6, s26, -1
	v_addc_co_u32_e32 v17, vcc, 0, v17, vcc
	s_addc_u32 s7, s27, -1
	s_mov_b64 s[8:9], 0
	s_mov_b64 s[40:41], 0
                                        ; implicit-def: $sgpr38_sgpr39
	s_branch .LBB1687_76
.LBB1687_74:                            ;   in Loop: Header=BB1687_76 Depth=1
	global_load_dwordx2 v[18:19], v[16:17], off
	global_load_dwordx2 v[20:21], v[12:13], off
	v_add_co_u32_e32 v12, vcc, 8, v12
	v_addc_co_u32_e32 v13, vcc, 0, v13, vcc
	v_add_co_u32_e32 v16, vcc, 8, v16
	v_addc_co_u32_e32 v17, vcc, 0, v17, vcc
	s_add_u32 s40, s40, 1
	s_addc_u32 s41, s41, 0
	s_andn2_b64 s[38:39], s[38:39], exec
	s_waitcnt vmcnt(0)
	v_cmp_ne_u64_e32 vcc, v[18:19], v[20:21]
	s_and_b64 s[42:43], vcc, exec
	s_or_b64 s[38:39], s[38:39], s[42:43]
.LBB1687_75:                            ;   in Loop: Header=BB1687_76 Depth=1
	s_and_b64 s[42:43], exec, s[38:39]
	s_or_b64 s[8:9], s[42:43], s[8:9]
	v_pk_mov_b32 v[18:19], s[40:41], s[40:41] op_sel:[0,1]
	s_andn2_b64 exec, exec, s[8:9]
	s_cbranch_execz .LBB1687_78
.LBB1687_76:                            ; =>This Inner Loop Header: Depth=1
	s_or_b64 s[38:39], s[38:39], exec
	s_cmp_eq_u64 s[6:7], s[40:41]
	s_cbranch_scc0 .LBB1687_74
; %bb.77:                               ;   in Loop: Header=BB1687_76 Depth=1
                                        ; implicit-def: $vgpr12_vgpr13
                                        ; implicit-def: $vgpr16_vgpr17
	s_mov_b64 s[40:41], s[26:27]
	s_branch .LBB1687_75
.LBB1687_78:
	s_or_b64 exec, exec, s[8:9]
	v_cmp_gt_i64_e32 vcc, s[26:27], v[18:19]
	s_orn2_b64 s[38:39], vcc, exec
.LBB1687_79:
	s_or_b64 exec, exec, s[10:11]
.LBB1687_80:
	s_and_b64 s[10:11], s[38:39], exec
.LBB1687_81:
	s_or_b64 exec, exec, s[36:37]
	v_cmp_gt_u32_e32 vcc, s48, v25
	s_and_saveexec_b64 s[36:37], vcc
	s_cbranch_execz .LBB1687_92
; %bb.82:
	s_and_b64 vcc, exec, s[4:5]
	s_mov_b64 s[38:39], 0
	s_cbranch_vccnz .LBB1687_91
; %bb.83:
	v_mul_lo_u32 v16, v3, s26
	v_mul_lo_u32 v17, v2, s27
	v_mad_u64_u32 v[12:13], s[6:7], v2, s26, 0
	v_add3_u32 v13, v13, v17, v16
	v_mul_lo_u32 v16, v5, s26
	v_mul_lo_u32 v17, v4, s27
	v_mad_u64_u32 v[20:21], s[6:7], v4, s26, 0
	v_add3_u32 v21, v21, v17, v16
	v_lshlrev_b64 v[16:17], 3, v[12:13]
	v_mov_b32_e32 v12, s17
	v_add_co_u32_e32 v18, vcc, s16, v16
	v_addc_co_u32_e64 v19, s[6:7], v12, v17, vcc
	v_lshlrev_b64 v[12:13], 3, v[20:21]
	v_mov_b32_e32 v16, s17
	v_add_co_u32_e64 v20, s[6:7], s16, v12
	v_addc_co_u32_e64 v21, s[8:9], v16, v13, s[6:7]
	global_load_dwordx2 v[28:29], v[18:19], off
	global_load_dwordx2 v[30:31], v[20:21], off
	s_mov_b64 s[38:39], -1
	s_waitcnt vmcnt(0)
	v_cmp_eq_u64_e64 s[8:9], v[28:29], v[30:31]
	s_and_saveexec_b64 s[14:15], s[8:9]
	s_cbranch_execz .LBB1687_90
; %bb.84:
	v_mov_b32_e32 v12, s17
	v_addc_co_u32_e64 v13, s[6:7], v13, v12, s[6:7]
	v_add_co_u32_e64 v12, s[6:7], 8, v20
	v_mov_b32_e32 v16, s17
	v_addc_co_u32_e64 v13, s[6:7], 0, v13, s[6:7]
	v_addc_co_u32_e32 v17, vcc, v17, v16, vcc
	v_add_co_u32_e32 v16, vcc, 8, v18
	s_add_u32 s6, s26, -1
	v_addc_co_u32_e32 v17, vcc, 0, v17, vcc
	s_addc_u32 s7, s27, -1
	s_mov_b64 s[8:9], 0
	s_mov_b64 s[40:41], 0
                                        ; implicit-def: $sgpr38_sgpr39
	s_branch .LBB1687_87
.LBB1687_85:                            ;   in Loop: Header=BB1687_87 Depth=1
	global_load_dwordx2 v[18:19], v[16:17], off
	global_load_dwordx2 v[20:21], v[12:13], off
	v_add_co_u32_e32 v12, vcc, 8, v12
	v_addc_co_u32_e32 v13, vcc, 0, v13, vcc
	v_add_co_u32_e32 v16, vcc, 8, v16
	v_addc_co_u32_e32 v17, vcc, 0, v17, vcc
	s_add_u32 s40, s40, 1
	s_addc_u32 s41, s41, 0
	s_andn2_b64 s[38:39], s[38:39], exec
	s_waitcnt vmcnt(0)
	v_cmp_ne_u64_e32 vcc, v[18:19], v[20:21]
	s_and_b64 s[42:43], vcc, exec
	s_or_b64 s[38:39], s[38:39], s[42:43]
.LBB1687_86:                            ;   in Loop: Header=BB1687_87 Depth=1
	s_and_b64 s[42:43], exec, s[38:39]
	s_or_b64 s[8:9], s[42:43], s[8:9]
	v_pk_mov_b32 v[18:19], s[40:41], s[40:41] op_sel:[0,1]
	s_andn2_b64 exec, exec, s[8:9]
	s_cbranch_execz .LBB1687_89
.LBB1687_87:                            ; =>This Inner Loop Header: Depth=1
	s_or_b64 s[38:39], s[38:39], exec
	s_cmp_eq_u64 s[6:7], s[40:41]
	s_cbranch_scc0 .LBB1687_85
; %bb.88:                               ;   in Loop: Header=BB1687_87 Depth=1
                                        ; implicit-def: $vgpr12_vgpr13
                                        ; implicit-def: $vgpr16_vgpr17
	s_mov_b64 s[40:41], s[26:27]
	s_branch .LBB1687_86
.LBB1687_89:
	s_or_b64 exec, exec, s[8:9]
	v_cmp_gt_i64_e32 vcc, s[26:27], v[18:19]
	s_orn2_b64 s[38:39], vcc, exec
.LBB1687_90:
	s_or_b64 exec, exec, s[14:15]
.LBB1687_91:
	s_and_b64 s[14:15], s[38:39], exec
.LBB1687_92:
	s_or_b64 exec, exec, s[36:37]
	v_cmp_gt_u32_e32 vcc, s48, v22
	s_mov_b64 s[36:37], 0
	s_mov_b64 s[38:39], 0
	s_and_saveexec_b64 s[40:41], vcc
	s_cbranch_execz .LBB1687_103
; %bb.93:
	s_and_b64 vcc, exec, s[4:5]
	s_mov_b64 s[42:43], 0
	s_cbranch_vccnz .LBB1687_102
; %bb.94:
	v_mul_lo_u32 v16, v9, s26
	v_mul_lo_u32 v17, v8, s27
	v_mad_u64_u32 v[12:13], s[6:7], v8, s26, 0
	v_add3_u32 v13, v13, v17, v16
	v_mul_lo_u32 v16, v3, s26
	v_mul_lo_u32 v17, v2, s27
	v_mad_u64_u32 v[20:21], s[6:7], v2, s26, 0
	v_add3_u32 v21, v21, v17, v16
	v_lshlrev_b64 v[16:17], 3, v[12:13]
	v_mov_b32_e32 v12, s17
	v_add_co_u32_e32 v18, vcc, s16, v16
	v_addc_co_u32_e64 v19, s[6:7], v12, v17, vcc
	v_lshlrev_b64 v[12:13], 3, v[20:21]
	v_mov_b32_e32 v16, s17
	v_add_co_u32_e64 v20, s[6:7], s16, v12
	v_addc_co_u32_e64 v21, s[8:9], v16, v13, s[6:7]
	global_load_dwordx2 v[28:29], v[18:19], off
	global_load_dwordx2 v[30:31], v[20:21], off
	s_mov_b64 s[42:43], -1
	s_waitcnt vmcnt(0)
	v_cmp_eq_u64_e64 s[8:9], v[28:29], v[30:31]
	s_and_saveexec_b64 s[38:39], s[8:9]
	s_cbranch_execz .LBB1687_101
; %bb.95:
	v_mov_b32_e32 v12, s17
	v_addc_co_u32_e64 v13, s[6:7], v13, v12, s[6:7]
	v_add_co_u32_e64 v12, s[6:7], 8, v20
	v_mov_b32_e32 v16, s17
	v_addc_co_u32_e64 v13, s[6:7], 0, v13, s[6:7]
	v_addc_co_u32_e32 v17, vcc, v17, v16, vcc
	v_add_co_u32_e32 v16, vcc, 8, v18
	s_add_u32 s6, s26, -1
	v_addc_co_u32_e32 v17, vcc, 0, v17, vcc
	s_addc_u32 s7, s27, -1
	s_mov_b64 s[8:9], 0
	s_mov_b64 s[44:45], 0
                                        ; implicit-def: $sgpr42_sgpr43
	s_branch .LBB1687_98
.LBB1687_96:                            ;   in Loop: Header=BB1687_98 Depth=1
	global_load_dwordx2 v[18:19], v[16:17], off
	global_load_dwordx2 v[20:21], v[12:13], off
	v_add_co_u32_e32 v12, vcc, 8, v12
	v_addc_co_u32_e32 v13, vcc, 0, v13, vcc
	v_add_co_u32_e32 v16, vcc, 8, v16
	v_addc_co_u32_e32 v17, vcc, 0, v17, vcc
	s_add_u32 s44, s44, 1
	s_addc_u32 s45, s45, 0
	s_andn2_b64 s[42:43], s[42:43], exec
	s_waitcnt vmcnt(0)
	v_cmp_ne_u64_e32 vcc, v[18:19], v[20:21]
	s_and_b64 s[46:47], vcc, exec
	s_or_b64 s[42:43], s[42:43], s[46:47]
.LBB1687_97:                            ;   in Loop: Header=BB1687_98 Depth=1
	s_and_b64 s[46:47], exec, s[42:43]
	s_or_b64 s[8:9], s[46:47], s[8:9]
	v_pk_mov_b32 v[18:19], s[44:45], s[44:45] op_sel:[0,1]
	s_andn2_b64 exec, exec, s[8:9]
	s_cbranch_execz .LBB1687_100
.LBB1687_98:                            ; =>This Inner Loop Header: Depth=1
	s_or_b64 s[42:43], s[42:43], exec
	s_cmp_eq_u64 s[6:7], s[44:45]
	s_cbranch_scc0 .LBB1687_96
; %bb.99:                               ;   in Loop: Header=BB1687_98 Depth=1
                                        ; implicit-def: $vgpr12_vgpr13
                                        ; implicit-def: $vgpr16_vgpr17
	s_mov_b64 s[44:45], s[26:27]
	s_branch .LBB1687_97
.LBB1687_100:
	s_or_b64 exec, exec, s[8:9]
	v_cmp_gt_i64_e32 vcc, s[26:27], v[18:19]
	s_orn2_b64 s[42:43], vcc, exec
.LBB1687_101:
	s_or_b64 exec, exec, s[38:39]
.LBB1687_102:
	s_and_b64 s[38:39], s[42:43], exec
.LBB1687_103:
	s_or_b64 exec, exec, s[40:41]
	v_cmp_gt_u32_e32 vcc, s48, v24
	s_and_saveexec_b64 s[40:41], vcc
	s_cbranch_execz .LBB1687_114
; %bb.104:
	s_and_b64 vcc, exec, s[4:5]
	s_mov_b64 s[42:43], 0
	s_cbranch_vccnz .LBB1687_113
; %bb.105:
	v_mul_lo_u32 v16, v7, s26
	v_mul_lo_u32 v17, v6, s27
	v_mad_u64_u32 v[12:13], s[6:7], v6, s26, 0
	v_add3_u32 v13, v13, v17, v16
	v_mul_lo_u32 v16, v9, s26
	v_mul_lo_u32 v17, v8, s27
	v_mad_u64_u32 v[20:21], s[6:7], v8, s26, 0
	v_add3_u32 v21, v21, v17, v16
	v_lshlrev_b64 v[16:17], 3, v[12:13]
	v_mov_b32_e32 v12, s17
	v_add_co_u32_e32 v18, vcc, s16, v16
	v_addc_co_u32_e64 v19, s[6:7], v12, v17, vcc
	v_lshlrev_b64 v[12:13], 3, v[20:21]
	v_mov_b32_e32 v16, s17
	v_add_co_u32_e64 v20, s[6:7], s16, v12
	v_addc_co_u32_e64 v21, s[8:9], v16, v13, s[6:7]
	global_load_dwordx2 v[28:29], v[18:19], off
	global_load_dwordx2 v[30:31], v[20:21], off
	s_mov_b64 s[42:43], -1
	s_waitcnt vmcnt(0)
	v_cmp_eq_u64_e64 s[8:9], v[28:29], v[30:31]
	s_and_saveexec_b64 s[36:37], s[8:9]
	s_cbranch_execz .LBB1687_112
; %bb.106:
	v_mov_b32_e32 v12, s17
	v_addc_co_u32_e64 v13, s[6:7], v13, v12, s[6:7]
	v_add_co_u32_e64 v12, s[6:7], 8, v20
	v_mov_b32_e32 v16, s17
	v_addc_co_u32_e64 v13, s[6:7], 0, v13, s[6:7]
	v_addc_co_u32_e32 v17, vcc, v17, v16, vcc
	v_add_co_u32_e32 v16, vcc, 8, v18
	s_add_u32 s6, s26, -1
	v_addc_co_u32_e32 v17, vcc, 0, v17, vcc
	s_addc_u32 s7, s27, -1
	s_mov_b64 s[8:9], 0
	s_mov_b64 s[44:45], 0
                                        ; implicit-def: $sgpr42_sgpr43
	s_branch .LBB1687_109
.LBB1687_107:                           ;   in Loop: Header=BB1687_109 Depth=1
	global_load_dwordx2 v[18:19], v[16:17], off
	global_load_dwordx2 v[20:21], v[12:13], off
	v_add_co_u32_e32 v12, vcc, 8, v12
	v_addc_co_u32_e32 v13, vcc, 0, v13, vcc
	v_add_co_u32_e32 v16, vcc, 8, v16
	v_addc_co_u32_e32 v17, vcc, 0, v17, vcc
	s_add_u32 s44, s44, 1
	s_addc_u32 s45, s45, 0
	s_andn2_b64 s[42:43], s[42:43], exec
	s_waitcnt vmcnt(0)
	v_cmp_ne_u64_e32 vcc, v[18:19], v[20:21]
	s_and_b64 s[46:47], vcc, exec
	s_or_b64 s[42:43], s[42:43], s[46:47]
.LBB1687_108:                           ;   in Loop: Header=BB1687_109 Depth=1
	s_and_b64 s[46:47], exec, s[42:43]
	s_or_b64 s[8:9], s[46:47], s[8:9]
	v_pk_mov_b32 v[18:19], s[44:45], s[44:45] op_sel:[0,1]
	s_andn2_b64 exec, exec, s[8:9]
	s_cbranch_execz .LBB1687_111
.LBB1687_109:                           ; =>This Inner Loop Header: Depth=1
	s_or_b64 s[42:43], s[42:43], exec
	s_cmp_eq_u64 s[6:7], s[44:45]
	s_cbranch_scc0 .LBB1687_107
; %bb.110:                              ;   in Loop: Header=BB1687_109 Depth=1
                                        ; implicit-def: $vgpr12_vgpr13
                                        ; implicit-def: $vgpr16_vgpr17
	s_mov_b64 s[44:45], s[26:27]
	s_branch .LBB1687_108
.LBB1687_111:
	s_or_b64 exec, exec, s[8:9]
	v_cmp_gt_i64_e32 vcc, s[26:27], v[18:19]
	s_orn2_b64 s[42:43], vcc, exec
.LBB1687_112:
	s_or_b64 exec, exec, s[36:37]
.LBB1687_113:
	s_and_b64 s[36:37], s[42:43], exec
.LBB1687_114:
	s_or_b64 exec, exec, s[40:41]
	s_waitcnt lgkmcnt(0)
	s_barrier
	s_and_saveexec_b64 s[6:7], s[2:3]
	s_cbranch_execz .LBB1687_116
; %bb.115:
	v_add_u32_e32 v12, -8, v27
	s_waitcnt vmcnt(0)
	ds_read_b64 v[14:15], v12
.LBB1687_116:
	s_or_b64 exec, exec, s[6:7]
	v_cndmask_b32_e64 v13, 0, 1, s[14:15]
	v_cndmask_b32_e64 v12, 0, 1, s[38:39]
	;; [unrolled: 1-line block ×3, first 2 shown]
	v_lshlrev_b16_e32 v13, 8, v13
	v_cmp_gt_u32_e32 vcc, s48, v1
	v_lshlrev_b16_e32 v20, 8, v16
	v_or_b32_sdwa v21, v12, v13 dst_sel:WORD_1 dst_unused:UNUSED_PAD src0_sel:DWORD src1_sel:DWORD
	s_mov_b64 s[36:37], 0
	s_and_saveexec_b64 s[8:9], vcc
	s_cbranch_execz .LBB1687_127
; %bb.117:
	s_and_b64 vcc, exec, s[4:5]
	s_cbranch_vccnz .LBB1687_126
; %bb.118:
	s_waitcnt vmcnt(0) lgkmcnt(0)
	v_mul_lo_u32 v15, v15, s26
	v_mul_lo_u32 v16, v14, s27
	v_mad_u64_u32 v[12:13], s[4:5], v14, s26, 0
	v_add3_u32 v13, v13, v16, v15
	v_mul_lo_u32 v14, v7, s26
	v_mul_lo_u32 v15, v6, s27
	v_mad_u64_u32 v[18:19], s[4:5], v6, s26, 0
	v_add3_u32 v19, v19, v15, v14
	v_lshlrev_b64 v[14:15], 3, v[12:13]
	v_mov_b32_e32 v12, s17
	v_add_co_u32_e32 v16, vcc, s16, v14
	v_addc_co_u32_e64 v17, s[4:5], v12, v15, vcc
	v_lshlrev_b64 v[12:13], 3, v[18:19]
	v_mov_b32_e32 v14, s17
	v_add_co_u32_e64 v18, s[4:5], s16, v12
	v_addc_co_u32_e64 v19, s[6:7], v14, v13, s[4:5]
	global_load_dwordx2 v[28:29], v[16:17], off
	global_load_dwordx2 v[30:31], v[18:19], off
	s_mov_b64 s[36:37], -1
	s_waitcnt vmcnt(0)
	v_cmp_eq_u64_e64 s[6:7], v[28:29], v[30:31]
	s_and_saveexec_b64 s[14:15], s[6:7]
	s_cbranch_execz .LBB1687_125
; %bb.119:
	v_mov_b32_e32 v12, s17
	v_addc_co_u32_e64 v13, s[4:5], v13, v12, s[4:5]
	v_add_co_u32_e64 v12, s[4:5], 8, v18
	v_mov_b32_e32 v14, s17
	v_addc_co_u32_e64 v13, s[4:5], 0, v13, s[4:5]
	v_addc_co_u32_e32 v15, vcc, v15, v14, vcc
	v_add_co_u32_e32 v14, vcc, 8, v16
	s_add_u32 s4, s26, -1
	v_addc_co_u32_e32 v15, vcc, 0, v15, vcc
	s_addc_u32 s5, s27, -1
	s_mov_b64 s[6:7], 0
	s_mov_b64 s[38:39], 0
                                        ; implicit-def: $sgpr36_sgpr37
	s_branch .LBB1687_122
.LBB1687_120:                           ;   in Loop: Header=BB1687_122 Depth=1
	global_load_dwordx2 v[16:17], v[14:15], off
	global_load_dwordx2 v[18:19], v[12:13], off
	v_add_co_u32_e32 v12, vcc, 8, v12
	v_addc_co_u32_e32 v13, vcc, 0, v13, vcc
	v_add_co_u32_e32 v14, vcc, 8, v14
	v_addc_co_u32_e32 v15, vcc, 0, v15, vcc
	s_add_u32 s38, s38, 1
	s_addc_u32 s39, s39, 0
	s_andn2_b64 s[36:37], s[36:37], exec
	s_waitcnt vmcnt(0)
	v_cmp_ne_u64_e32 vcc, v[16:17], v[18:19]
	s_and_b64 s[40:41], vcc, exec
	s_or_b64 s[36:37], s[36:37], s[40:41]
.LBB1687_121:                           ;   in Loop: Header=BB1687_122 Depth=1
	s_and_b64 s[40:41], exec, s[36:37]
	s_or_b64 s[6:7], s[40:41], s[6:7]
	v_pk_mov_b32 v[16:17], s[38:39], s[38:39] op_sel:[0,1]
	s_andn2_b64 exec, exec, s[6:7]
	s_cbranch_execz .LBB1687_124
.LBB1687_122:                           ; =>This Inner Loop Header: Depth=1
	s_or_b64 s[36:37], s[36:37], exec
	s_cmp_eq_u64 s[4:5], s[38:39]
	s_cbranch_scc0 .LBB1687_120
; %bb.123:                              ;   in Loop: Header=BB1687_122 Depth=1
                                        ; implicit-def: $vgpr12_vgpr13
                                        ; implicit-def: $vgpr14_vgpr15
	s_mov_b64 s[38:39], s[26:27]
	s_branch .LBB1687_121
.LBB1687_124:
	s_or_b64 exec, exec, s[6:7]
	v_cmp_gt_i64_e32 vcc, s[26:27], v[16:17]
	s_orn2_b64 s[36:37], vcc, exec
.LBB1687_125:
	s_or_b64 exec, exec, s[14:15]
.LBB1687_126:
	s_and_b64 s[36:37], s[36:37], exec
.LBB1687_127:
	s_or_b64 exec, exec, s[8:9]
	v_cndmask_b32_e64 v13, 0, 1, s[10:11]
	v_or_b32_e32 v16, v20, v21
.LBB1687_128:
	s_mov_b64 s[14:15], -1
	s_cbranch_execnz .LBB1687_237
.LBB1687_129:
	v_lshlrev_b32_e32 v12, 5, v0
	v_sub_u32_e32 v26, v26, v12
	s_mov_b64 s[36:37], 0
	v_cmp_gt_i64_e64 s[10:11], s[26:27], 0
	s_and_b64 vcc, exec, s[30:31]
	ds_write_b64 v26, v[10:11]
	s_cbranch_vccz .LBB1687_137
; %bb.130:
	s_waitcnt vmcnt(0) lgkmcnt(1)
	v_mul_lo_u32 v14, v5, s26
	v_mul_lo_u32 v15, v4, s27
	v_mad_u64_u32 v[12:13], s[4:5], v4, s26, 0
	v_add3_u32 v13, v13, v15, v14
	v_cndmask_b32_e64 v14, 0, 1, s[10:11]
	v_cmp_ne_u32_e64 s[4:5], 1, v14
	s_andn2_b64 vcc, exec, s[10:11]
	v_lshlrev_b64 v[12:13], 3, v[12:13]
	s_cbranch_vccnz .LBB1687_140
; %bb.131:
	v_mul_lo_u32 v16, v11, s26
	v_mul_lo_u32 v17, v10, s27
	v_mad_u64_u32 v[14:15], s[6:7], v10, s26, 0
	v_add3_u32 v15, v15, v17, v16
	v_mov_b32_e32 v17, s17
	v_add_co_u32_e32 v16, vcc, s16, v12
	v_addc_co_u32_e64 v17, s[6:7], v17, v13, vcc
	v_lshlrev_b64 v[14:15], 3, v[14:15]
	v_mov_b32_e32 v19, s17
	v_add_co_u32_e64 v18, s[6:7], s16, v14
	v_addc_co_u32_e64 v19, s[8:9], v19, v15, s[6:7]
	global_load_dwordx2 v[20:21], v[16:17], off
	global_load_dwordx2 v[28:29], v[18:19], off
	s_mov_b64 s[36:37], -1
	s_waitcnt vmcnt(0)
	v_cmp_eq_u64_e64 s[8:9], v[20:21], v[28:29]
	s_and_saveexec_b64 s[38:39], s[8:9]
	s_cbranch_execz .LBB1687_139
; %bb.132:
	v_mov_b32_e32 v14, s17
	v_addc_co_u32_e64 v15, s[6:7], v15, v14, s[6:7]
	v_add_co_u32_e64 v14, s[6:7], 8, v18
	v_mov_b32_e32 v17, s17
	v_addc_co_u32_e64 v15, s[6:7], 0, v15, s[6:7]
	v_addc_co_u32_e32 v17, vcc, v13, v17, vcc
	v_add_co_u32_e32 v16, vcc, 8, v16
	s_add_u32 s6, s26, -1
	v_addc_co_u32_e32 v17, vcc, 0, v17, vcc
	s_addc_u32 s7, s27, -1
	s_mov_b64 s[8:9], 0
	s_mov_b64 s[40:41], 0
                                        ; implicit-def: $sgpr36_sgpr37
	s_branch .LBB1687_135
.LBB1687_133:                           ;   in Loop: Header=BB1687_135 Depth=1
	global_load_dwordx2 v[18:19], v[16:17], off
	global_load_dwordx2 v[20:21], v[14:15], off
	v_add_co_u32_e32 v14, vcc, 8, v14
	v_addc_co_u32_e32 v15, vcc, 0, v15, vcc
	v_add_co_u32_e32 v16, vcc, 8, v16
	v_addc_co_u32_e32 v17, vcc, 0, v17, vcc
	s_add_u32 s40, s40, 1
	s_addc_u32 s41, s41, 0
	s_andn2_b64 s[36:37], s[36:37], exec
	s_waitcnt vmcnt(0)
	v_cmp_ne_u64_e32 vcc, v[18:19], v[20:21]
	s_and_b64 s[42:43], vcc, exec
	s_or_b64 s[36:37], s[36:37], s[42:43]
.LBB1687_134:                           ;   in Loop: Header=BB1687_135 Depth=1
	s_and_b64 s[42:43], exec, s[36:37]
	s_or_b64 s[8:9], s[42:43], s[8:9]
	v_pk_mov_b32 v[18:19], s[40:41], s[40:41] op_sel:[0,1]
	s_andn2_b64 exec, exec, s[8:9]
	s_cbranch_execz .LBB1687_138
.LBB1687_135:                           ; =>This Inner Loop Header: Depth=1
	s_or_b64 s[36:37], s[36:37], exec
	s_cmp_eq_u64 s[6:7], s[40:41]
	s_cbranch_scc0 .LBB1687_133
; %bb.136:                              ;   in Loop: Header=BB1687_135 Depth=1
                                        ; implicit-def: $vgpr14_vgpr15
                                        ; implicit-def: $vgpr16_vgpr17
	s_mov_b64 s[40:41], s[26:27]
	s_branch .LBB1687_134
.LBB1687_137:
                                        ; implicit-def: $sgpr36_sgpr37
                                        ; implicit-def: $vgpr13
                                        ; implicit-def: $vgpr16
	s_cbranch_execnz .LBB1687_179
	s_branch .LBB1687_237
.LBB1687_138:
	s_or_b64 exec, exec, s[8:9]
	v_cmp_gt_i64_e32 vcc, s[26:27], v[18:19]
	s_orn2_b64 s[36:37], vcc, exec
.LBB1687_139:
	s_or_b64 exec, exec, s[38:39]
.LBB1687_140:
	v_mul_lo_u32 v16, v3, s26
	v_mul_lo_u32 v17, v2, s27
	v_mad_u64_u32 v[14:15], s[6:7], v2, s26, 0
	v_add3_u32 v15, v15, v17, v16
	s_mov_b64 s[38:39], 0
	s_and_b64 vcc, exec, s[4:5]
	v_lshlrev_b64 v[14:15], 3, v[14:15]
	s_mov_b64 s[40:41], 0
	s_cbranch_vccnz .LBB1687_149
; %bb.141:
	v_mov_b32_e32 v17, s17
	v_add_co_u32_e32 v16, vcc, s16, v14
	v_addc_co_u32_e64 v17, s[6:7], v17, v15, vcc
	v_mov_b32_e32 v19, s17
	v_add_co_u32_e64 v18, s[6:7], s16, v12
	v_addc_co_u32_e64 v19, s[8:9], v19, v13, s[6:7]
	global_load_dwordx2 v[20:21], v[16:17], off
	global_load_dwordx2 v[28:29], v[18:19], off
	s_mov_b64 s[40:41], -1
	s_waitcnt vmcnt(0)
	v_cmp_eq_u64_e64 s[8:9], v[20:21], v[28:29]
	s_and_saveexec_b64 s[42:43], s[8:9]
	s_cbranch_execz .LBB1687_148
; %bb.142:
	v_mov_b32_e32 v12, s17
	v_addc_co_u32_e64 v13, s[6:7], v13, v12, s[6:7]
	v_add_co_u32_e64 v12, s[6:7], 8, v18
	v_mov_b32_e32 v17, s17
	v_addc_co_u32_e64 v13, s[6:7], 0, v13, s[6:7]
	v_addc_co_u32_e32 v17, vcc, v15, v17, vcc
	v_add_co_u32_e32 v16, vcc, 8, v16
	s_add_u32 s6, s26, -1
	v_addc_co_u32_e32 v17, vcc, 0, v17, vcc
	s_addc_u32 s7, s27, -1
	s_mov_b64 s[8:9], 0
	s_mov_b64 s[44:45], 0
                                        ; implicit-def: $sgpr40_sgpr41
	s_branch .LBB1687_145
.LBB1687_143:                           ;   in Loop: Header=BB1687_145 Depth=1
	global_load_dwordx2 v[18:19], v[16:17], off
	global_load_dwordx2 v[20:21], v[12:13], off
	v_add_co_u32_e32 v12, vcc, 8, v12
	v_addc_co_u32_e32 v13, vcc, 0, v13, vcc
	v_add_co_u32_e32 v16, vcc, 8, v16
	v_addc_co_u32_e32 v17, vcc, 0, v17, vcc
	s_add_u32 s44, s44, 1
	s_addc_u32 s45, s45, 0
	s_andn2_b64 s[40:41], s[40:41], exec
	s_waitcnt vmcnt(0)
	v_cmp_ne_u64_e32 vcc, v[18:19], v[20:21]
	s_and_b64 s[46:47], vcc, exec
	s_or_b64 s[40:41], s[40:41], s[46:47]
.LBB1687_144:                           ;   in Loop: Header=BB1687_145 Depth=1
	s_and_b64 s[46:47], exec, s[40:41]
	s_or_b64 s[8:9], s[46:47], s[8:9]
	v_pk_mov_b32 v[18:19], s[44:45], s[44:45] op_sel:[0,1]
	s_andn2_b64 exec, exec, s[8:9]
	s_cbranch_execz .LBB1687_147
.LBB1687_145:                           ; =>This Inner Loop Header: Depth=1
	s_or_b64 s[40:41], s[40:41], exec
	s_cmp_eq_u64 s[6:7], s[44:45]
	s_cbranch_scc0 .LBB1687_143
; %bb.146:                              ;   in Loop: Header=BB1687_145 Depth=1
                                        ; implicit-def: $vgpr12_vgpr13
                                        ; implicit-def: $vgpr16_vgpr17
	s_mov_b64 s[44:45], s[26:27]
	s_branch .LBB1687_144
.LBB1687_147:
	s_or_b64 exec, exec, s[8:9]
	v_cmp_gt_i64_e32 vcc, s[26:27], v[18:19]
	s_orn2_b64 s[40:41], vcc, exec
.LBB1687_148:
	s_or_b64 exec, exec, s[42:43]
.LBB1687_149:
	v_mul_lo_u32 v16, v9, s26
	v_mul_lo_u32 v17, v8, s27
	v_mad_u64_u32 v[12:13], s[6:7], v8, s26, 0
	v_add3_u32 v13, v13, v17, v16
	s_and_b64 vcc, exec, s[4:5]
	v_lshlrev_b64 v[12:13], 3, v[12:13]
	s_cbranch_vccnz .LBB1687_158
; %bb.150:
	v_mov_b32_e32 v17, s17
	v_add_co_u32_e32 v16, vcc, s16, v12
	v_addc_co_u32_e64 v17, s[6:7], v17, v13, vcc
	v_mov_b32_e32 v19, s17
	v_add_co_u32_e64 v18, s[6:7], s16, v14
	v_addc_co_u32_e64 v19, s[8:9], v19, v15, s[6:7]
	global_load_dwordx2 v[20:21], v[16:17], off
	global_load_dwordx2 v[28:29], v[18:19], off
	s_mov_b64 s[38:39], -1
	s_waitcnt vmcnt(0)
	v_cmp_eq_u64_e64 s[8:9], v[20:21], v[28:29]
	s_and_saveexec_b64 s[42:43], s[8:9]
	s_cbranch_execz .LBB1687_157
; %bb.151:
	v_mov_b32_e32 v14, s17
	v_addc_co_u32_e64 v15, s[6:7], v15, v14, s[6:7]
	v_add_co_u32_e64 v14, s[6:7], 8, v18
	v_mov_b32_e32 v17, s17
	v_addc_co_u32_e64 v15, s[6:7], 0, v15, s[6:7]
	v_addc_co_u32_e32 v17, vcc, v13, v17, vcc
	v_add_co_u32_e32 v16, vcc, 8, v16
	s_add_u32 s6, s26, -1
	v_addc_co_u32_e32 v17, vcc, 0, v17, vcc
	s_addc_u32 s7, s27, -1
	s_mov_b64 s[8:9], 0
	s_mov_b64 s[44:45], 0
                                        ; implicit-def: $sgpr38_sgpr39
	s_branch .LBB1687_154
.LBB1687_152:                           ;   in Loop: Header=BB1687_154 Depth=1
	global_load_dwordx2 v[18:19], v[16:17], off
	global_load_dwordx2 v[20:21], v[14:15], off
	v_add_co_u32_e32 v14, vcc, 8, v14
	v_addc_co_u32_e32 v15, vcc, 0, v15, vcc
	v_add_co_u32_e32 v16, vcc, 8, v16
	v_addc_co_u32_e32 v17, vcc, 0, v17, vcc
	s_add_u32 s44, s44, 1
	s_addc_u32 s45, s45, 0
	s_andn2_b64 s[38:39], s[38:39], exec
	s_waitcnt vmcnt(0)
	v_cmp_ne_u64_e32 vcc, v[18:19], v[20:21]
	s_and_b64 s[46:47], vcc, exec
	s_or_b64 s[38:39], s[38:39], s[46:47]
.LBB1687_153:                           ;   in Loop: Header=BB1687_154 Depth=1
	s_and_b64 s[46:47], exec, s[38:39]
	s_or_b64 s[8:9], s[46:47], s[8:9]
	v_pk_mov_b32 v[18:19], s[44:45], s[44:45] op_sel:[0,1]
	s_andn2_b64 exec, exec, s[8:9]
	s_cbranch_execz .LBB1687_156
.LBB1687_154:                           ; =>This Inner Loop Header: Depth=1
	s_or_b64 s[38:39], s[38:39], exec
	s_cmp_eq_u64 s[6:7], s[44:45]
	s_cbranch_scc0 .LBB1687_152
; %bb.155:                              ;   in Loop: Header=BB1687_154 Depth=1
                                        ; implicit-def: $vgpr14_vgpr15
                                        ; implicit-def: $vgpr16_vgpr17
	s_mov_b64 s[44:45], s[26:27]
	s_branch .LBB1687_153
.LBB1687_156:
	s_or_b64 exec, exec, s[8:9]
	v_cmp_gt_i64_e32 vcc, s[26:27], v[18:19]
	s_orn2_b64 s[38:39], vcc, exec
.LBB1687_157:
	s_or_b64 exec, exec, s[42:43]
.LBB1687_158:
	v_mul_lo_u32 v16, v7, s26
	v_mul_lo_u32 v17, v6, s27
	v_mad_u64_u32 v[14:15], s[6:7], v6, s26, 0
	v_add3_u32 v15, v15, v17, v16
	s_and_b64 vcc, exec, s[4:5]
	s_mov_b64 s[44:45], 0
	s_cbranch_vccnz .LBB1687_167
; %bb.159:
	v_lshlrev_b64 v[16:17], 3, v[14:15]
	v_mov_b32_e32 v19, s17
	v_add_co_u32_e32 v18, vcc, s16, v16
	v_addc_co_u32_e64 v19, s[6:7], v19, v17, vcc
	v_mov_b32_e32 v16, s17
	v_add_co_u32_e64 v20, s[6:7], s16, v12
	v_addc_co_u32_e64 v21, s[8:9], v16, v13, s[6:7]
	global_load_dwordx2 v[28:29], v[18:19], off
	global_load_dwordx2 v[30:31], v[20:21], off
	s_mov_b64 s[44:45], -1
	s_waitcnt vmcnt(0)
	v_cmp_eq_u64_e64 s[8:9], v[28:29], v[30:31]
	s_and_saveexec_b64 s[42:43], s[8:9]
	s_cbranch_execz .LBB1687_166
; %bb.160:
	v_mov_b32_e32 v12, s17
	v_addc_co_u32_e64 v13, s[6:7], v13, v12, s[6:7]
	v_add_co_u32_e64 v12, s[6:7], 8, v20
	v_mov_b32_e32 v16, s17
	v_addc_co_u32_e64 v13, s[6:7], 0, v13, s[6:7]
	v_addc_co_u32_e32 v17, vcc, v17, v16, vcc
	v_add_co_u32_e32 v16, vcc, 8, v18
	s_add_u32 s6, s26, -1
	v_addc_co_u32_e32 v17, vcc, 0, v17, vcc
	s_addc_u32 s7, s27, -1
	s_mov_b64 s[8:9], 0
	s_mov_b64 s[46:47], 0
                                        ; implicit-def: $sgpr44_sgpr45
	s_branch .LBB1687_163
.LBB1687_161:                           ;   in Loop: Header=BB1687_163 Depth=1
	global_load_dwordx2 v[18:19], v[16:17], off
	global_load_dwordx2 v[20:21], v[12:13], off
	v_add_co_u32_e32 v12, vcc, 8, v12
	v_addc_co_u32_e32 v13, vcc, 0, v13, vcc
	v_add_co_u32_e32 v16, vcc, 8, v16
	v_addc_co_u32_e32 v17, vcc, 0, v17, vcc
	s_add_u32 s46, s46, 1
	s_addc_u32 s47, s47, 0
	s_andn2_b64 s[44:45], s[44:45], exec
	s_waitcnt vmcnt(0)
	v_cmp_ne_u64_e32 vcc, v[18:19], v[20:21]
	s_and_b64 s[50:51], vcc, exec
	s_or_b64 s[44:45], s[44:45], s[50:51]
.LBB1687_162:                           ;   in Loop: Header=BB1687_163 Depth=1
	s_and_b64 s[50:51], exec, s[44:45]
	s_or_b64 s[8:9], s[50:51], s[8:9]
	v_pk_mov_b32 v[18:19], s[46:47], s[46:47] op_sel:[0,1]
	s_andn2_b64 exec, exec, s[8:9]
	s_cbranch_execz .LBB1687_165
.LBB1687_163:                           ; =>This Inner Loop Header: Depth=1
	s_or_b64 s[44:45], s[44:45], exec
	s_cmp_eq_u64 s[6:7], s[46:47]
	s_cbranch_scc0 .LBB1687_161
; %bb.164:                              ;   in Loop: Header=BB1687_163 Depth=1
                                        ; implicit-def: $vgpr12_vgpr13
                                        ; implicit-def: $vgpr16_vgpr17
	s_mov_b64 s[46:47], s[26:27]
	s_branch .LBB1687_162
.LBB1687_165:
	s_or_b64 exec, exec, s[8:9]
	v_cmp_gt_i64_e32 vcc, s[26:27], v[18:19]
	s_orn2_b64 s[44:45], vcc, exec
.LBB1687_166:
	s_or_b64 exec, exec, s[42:43]
.LBB1687_167:
	v_cndmask_b32_e64 v13, 0, 1, s[40:41]
	v_cndmask_b32_e64 v16, 0, 1, s[44:45]
	;; [unrolled: 1-line block ×3, first 2 shown]
	v_lshlrev_b16_e32 v16, 8, v16
	v_lshlrev_b16_e32 v13, 8, v13
	v_or_b32_e32 v16, 1, v16
	v_or_b32_sdwa v12, v12, v13 dst_sel:WORD_1 dst_unused:UNUSED_PAD src0_sel:DWORD src1_sel:DWORD
	v_or_b32_sdwa v12, v16, v12 dst_sel:DWORD dst_unused:UNUSED_PAD src0_sel:WORD_0 src1_sel:DWORD
	v_cndmask_b32_e64 v13, 0, 1, s[36:37]
	s_waitcnt lgkmcnt(0)
	s_barrier
	s_waitcnt lgkmcnt(0)
                                        ; implicit-def: $sgpr36_sgpr37
                                        ; implicit-def: $vgpr16
	s_and_saveexec_b64 s[6:7], s[2:3]
	s_xor_b64 s[8:9], exec, s[6:7]
	s_cbranch_execz .LBB1687_178
; %bb.168:
	s_mov_b32 s42, 0x3020104
	s_and_b64 vcc, exec, s[4:5]
	s_mov_b64 s[38:39], 0
	s_cbranch_vccnz .LBB1687_177
; %bb.169:
	v_add_u32_e32 v16, -8, v26
	ds_read_b64 v[16:17], v16
	v_mov_b32_e32 v19, s17
	v_lshlrev_b64 v[14:15], 3, v[14:15]
	s_mov_b64 s[38:39], -1
	s_waitcnt lgkmcnt(0)
	v_mul_lo_u32 v18, v17, s26
	v_mul_lo_u32 v20, v16, s27
	v_mad_u64_u32 v[16:17], s[4:5], v16, s26, 0
	v_add3_u32 v17, v17, v20, v18
	v_lshlrev_b64 v[16:17], 3, v[16:17]
	v_add_co_u32_e32 v18, vcc, s16, v16
	v_addc_co_u32_e64 v19, s[4:5], v19, v17, vcc
	v_mov_b32_e32 v16, s17
	v_add_co_u32_e64 v20, s[4:5], s16, v14
	v_addc_co_u32_e64 v21, s[6:7], v16, v15, s[4:5]
	global_load_dwordx2 v[28:29], v[18:19], off
	global_load_dwordx2 v[30:31], v[20:21], off
	s_waitcnt vmcnt(0)
	v_cmp_eq_u64_e64 s[6:7], v[28:29], v[30:31]
	s_and_saveexec_b64 s[36:37], s[6:7]
	s_cbranch_execz .LBB1687_176
; %bb.170:
	v_mov_b32_e32 v14, s17
	v_addc_co_u32_e64 v15, s[4:5], v15, v14, s[4:5]
	v_add_co_u32_e64 v14, s[4:5], 8, v20
	v_mov_b32_e32 v16, s17
	v_addc_co_u32_e64 v15, s[4:5], 0, v15, s[4:5]
	v_addc_co_u32_e32 v17, vcc, v17, v16, vcc
	v_add_co_u32_e32 v16, vcc, 8, v18
	s_add_u32 s4, s26, -1
	v_addc_co_u32_e32 v17, vcc, 0, v17, vcc
	s_addc_u32 s5, s27, -1
	s_mov_b64 s[6:7], 0
	s_mov_b64 s[40:41], 0
                                        ; implicit-def: $sgpr38_sgpr39
	s_branch .LBB1687_173
.LBB1687_171:                           ;   in Loop: Header=BB1687_173 Depth=1
	global_load_dwordx2 v[18:19], v[16:17], off
	global_load_dwordx2 v[20:21], v[14:15], off
	v_add_co_u32_e32 v14, vcc, 8, v14
	v_addc_co_u32_e32 v15, vcc, 0, v15, vcc
	v_add_co_u32_e32 v16, vcc, 8, v16
	v_addc_co_u32_e32 v17, vcc, 0, v17, vcc
	s_add_u32 s40, s40, 1
	s_addc_u32 s41, s41, 0
	s_andn2_b64 s[38:39], s[38:39], exec
	s_waitcnt vmcnt(0)
	v_cmp_ne_u64_e32 vcc, v[18:19], v[20:21]
	s_and_b64 s[44:45], vcc, exec
	s_or_b64 s[38:39], s[38:39], s[44:45]
.LBB1687_172:                           ;   in Loop: Header=BB1687_173 Depth=1
	s_and_b64 s[44:45], exec, s[38:39]
	s_or_b64 s[6:7], s[44:45], s[6:7]
	v_pk_mov_b32 v[18:19], s[40:41], s[40:41] op_sel:[0,1]
	s_andn2_b64 exec, exec, s[6:7]
	s_cbranch_execz .LBB1687_175
.LBB1687_173:                           ; =>This Inner Loop Header: Depth=1
	s_or_b64 s[38:39], s[38:39], exec
	s_cmp_eq_u64 s[4:5], s[40:41]
	s_cbranch_scc0 .LBB1687_171
; %bb.174:                              ;   in Loop: Header=BB1687_173 Depth=1
                                        ; implicit-def: $vgpr14_vgpr15
                                        ; implicit-def: $vgpr16_vgpr17
	s_mov_b64 s[40:41], s[26:27]
	s_branch .LBB1687_172
.LBB1687_175:
	s_or_b64 exec, exec, s[6:7]
	v_cmp_gt_i64_e32 vcc, s[26:27], v[18:19]
	s_orn2_b64 s[38:39], vcc, exec
.LBB1687_176:
	s_or_b64 exec, exec, s[36:37]
.LBB1687_177:
	v_perm_b32 v16, v12, v12, s42
	s_and_b64 s[36:37], s[38:39], exec
	s_or_b64 s[14:15], s[14:15], exec
.LBB1687_178:
	s_or_b64 exec, exec, s[8:9]
	s_branch .LBB1687_237
.LBB1687_179:
	v_cmp_gt_u32_e32 vcc, s48, v23
	s_mov_b64 s[36:37], 0
	s_mov_b64 s[8:9], 0
	s_and_saveexec_b64 s[38:39], vcc
	s_cbranch_execz .LBB1687_190
; %bb.180:
	s_andn2_b64 vcc, exec, s[10:11]
	s_mov_b64 s[40:41], 0
	s_cbranch_vccnz .LBB1687_189
; %bb.181:
	s_waitcnt vmcnt(0) lgkmcnt(1)
	v_mul_lo_u32 v14, v5, s26
	v_mul_lo_u32 v15, v4, s27
	v_mad_u64_u32 v[12:13], s[4:5], v4, s26, 0
	v_add3_u32 v13, v13, v15, v14
	v_mul_lo_u32 v14, v11, s26
	v_mul_lo_u32 v15, v10, s27
	v_mad_u64_u32 v[18:19], s[4:5], v10, s26, 0
	v_add3_u32 v19, v19, v15, v14
	v_lshlrev_b64 v[14:15], 3, v[12:13]
	v_mov_b32_e32 v12, s17
	v_add_co_u32_e32 v16, vcc, s16, v14
	v_addc_co_u32_e64 v17, s[4:5], v12, v15, vcc
	v_lshlrev_b64 v[12:13], 3, v[18:19]
	v_mov_b32_e32 v14, s17
	v_add_co_u32_e64 v18, s[4:5], s16, v12
	v_addc_co_u32_e64 v19, s[6:7], v14, v13, s[4:5]
	global_load_dwordx2 v[20:21], v[16:17], off
	global_load_dwordx2 v[28:29], v[18:19], off
	s_mov_b64 s[40:41], -1
	s_waitcnt vmcnt(0)
	v_cmp_eq_u64_e64 s[6:7], v[20:21], v[28:29]
	s_and_saveexec_b64 s[8:9], s[6:7]
	s_cbranch_execz .LBB1687_188
; %bb.182:
	v_mov_b32_e32 v12, s17
	v_addc_co_u32_e64 v13, s[4:5], v13, v12, s[4:5]
	v_add_co_u32_e64 v12, s[4:5], 8, v18
	v_mov_b32_e32 v14, s17
	v_addc_co_u32_e64 v13, s[4:5], 0, v13, s[4:5]
	v_addc_co_u32_e32 v15, vcc, v15, v14, vcc
	v_add_co_u32_e32 v14, vcc, 8, v16
	s_add_u32 s4, s26, -1
	v_addc_co_u32_e32 v15, vcc, 0, v15, vcc
	s_addc_u32 s5, s27, -1
	s_mov_b64 s[6:7], 0
	s_mov_b64 s[42:43], 0
                                        ; implicit-def: $sgpr40_sgpr41
	s_branch .LBB1687_185
.LBB1687_183:                           ;   in Loop: Header=BB1687_185 Depth=1
	global_load_dwordx2 v[16:17], v[14:15], off
	global_load_dwordx2 v[18:19], v[12:13], off
	v_add_co_u32_e32 v12, vcc, 8, v12
	v_addc_co_u32_e32 v13, vcc, 0, v13, vcc
	v_add_co_u32_e32 v14, vcc, 8, v14
	v_addc_co_u32_e32 v15, vcc, 0, v15, vcc
	s_add_u32 s42, s42, 1
	s_addc_u32 s43, s43, 0
	s_andn2_b64 s[40:41], s[40:41], exec
	s_waitcnt vmcnt(0)
	v_cmp_ne_u64_e32 vcc, v[16:17], v[18:19]
	s_and_b64 s[44:45], vcc, exec
	s_or_b64 s[40:41], s[40:41], s[44:45]
.LBB1687_184:                           ;   in Loop: Header=BB1687_185 Depth=1
	s_and_b64 s[44:45], exec, s[40:41]
	s_or_b64 s[6:7], s[44:45], s[6:7]
	v_pk_mov_b32 v[16:17], s[42:43], s[42:43] op_sel:[0,1]
	s_andn2_b64 exec, exec, s[6:7]
	s_cbranch_execz .LBB1687_187
.LBB1687_185:                           ; =>This Inner Loop Header: Depth=1
	s_or_b64 s[40:41], s[40:41], exec
	s_cmp_eq_u64 s[4:5], s[42:43]
	s_cbranch_scc0 .LBB1687_183
; %bb.186:                              ;   in Loop: Header=BB1687_185 Depth=1
                                        ; implicit-def: $vgpr12_vgpr13
                                        ; implicit-def: $vgpr14_vgpr15
	s_mov_b64 s[42:43], s[26:27]
	s_branch .LBB1687_184
.LBB1687_187:
	s_or_b64 exec, exec, s[6:7]
	v_cmp_gt_i64_e32 vcc, s[26:27], v[16:17]
	s_orn2_b64 s[40:41], vcc, exec
.LBB1687_188:
	s_or_b64 exec, exec, s[8:9]
.LBB1687_189:
	s_and_b64 s[8:9], s[40:41], exec
.LBB1687_190:
	s_or_b64 exec, exec, s[38:39]
	v_cmp_gt_u32_e32 vcc, s48, v25
	s_and_saveexec_b64 s[38:39], vcc
	s_cbranch_execz .LBB1687_201
; %bb.191:
	s_andn2_b64 vcc, exec, s[10:11]
	s_mov_b64 s[40:41], 0
	s_cbranch_vccnz .LBB1687_200
; %bb.192:
	s_waitcnt vmcnt(0) lgkmcnt(1)
	v_mul_lo_u32 v14, v3, s26
	v_mul_lo_u32 v15, v2, s27
	v_mad_u64_u32 v[12:13], s[4:5], v2, s26, 0
	v_add3_u32 v13, v13, v15, v14
	v_mul_lo_u32 v14, v5, s26
	v_mul_lo_u32 v15, v4, s27
	v_mad_u64_u32 v[18:19], s[4:5], v4, s26, 0
	v_add3_u32 v19, v19, v15, v14
	v_lshlrev_b64 v[14:15], 3, v[12:13]
	v_mov_b32_e32 v12, s17
	v_add_co_u32_e32 v16, vcc, s16, v14
	v_addc_co_u32_e64 v17, s[4:5], v12, v15, vcc
	v_lshlrev_b64 v[12:13], 3, v[18:19]
	v_mov_b32_e32 v14, s17
	v_add_co_u32_e64 v18, s[4:5], s16, v12
	v_addc_co_u32_e64 v19, s[6:7], v14, v13, s[4:5]
	global_load_dwordx2 v[20:21], v[16:17], off
	global_load_dwordx2 v[28:29], v[18:19], off
	s_mov_b64 s[40:41], -1
	s_waitcnt vmcnt(0)
	v_cmp_eq_u64_e64 s[6:7], v[20:21], v[28:29]
	s_and_saveexec_b64 s[36:37], s[6:7]
	s_cbranch_execz .LBB1687_199
; %bb.193:
	v_mov_b32_e32 v12, s17
	v_addc_co_u32_e64 v13, s[4:5], v13, v12, s[4:5]
	v_add_co_u32_e64 v12, s[4:5], 8, v18
	v_mov_b32_e32 v14, s17
	v_addc_co_u32_e64 v13, s[4:5], 0, v13, s[4:5]
	v_addc_co_u32_e32 v15, vcc, v15, v14, vcc
	v_add_co_u32_e32 v14, vcc, 8, v16
	s_add_u32 s4, s26, -1
	v_addc_co_u32_e32 v15, vcc, 0, v15, vcc
	s_addc_u32 s5, s27, -1
	s_mov_b64 s[6:7], 0
	s_mov_b64 s[42:43], 0
                                        ; implicit-def: $sgpr40_sgpr41
	s_branch .LBB1687_196
.LBB1687_194:                           ;   in Loop: Header=BB1687_196 Depth=1
	global_load_dwordx2 v[16:17], v[14:15], off
	global_load_dwordx2 v[18:19], v[12:13], off
	v_add_co_u32_e32 v12, vcc, 8, v12
	v_addc_co_u32_e32 v13, vcc, 0, v13, vcc
	v_add_co_u32_e32 v14, vcc, 8, v14
	v_addc_co_u32_e32 v15, vcc, 0, v15, vcc
	s_add_u32 s42, s42, 1
	s_addc_u32 s43, s43, 0
	s_andn2_b64 s[40:41], s[40:41], exec
	s_waitcnt vmcnt(0)
	v_cmp_ne_u64_e32 vcc, v[16:17], v[18:19]
	s_and_b64 s[44:45], vcc, exec
	s_or_b64 s[40:41], s[40:41], s[44:45]
.LBB1687_195:                           ;   in Loop: Header=BB1687_196 Depth=1
	s_and_b64 s[44:45], exec, s[40:41]
	s_or_b64 s[6:7], s[44:45], s[6:7]
	v_pk_mov_b32 v[16:17], s[42:43], s[42:43] op_sel:[0,1]
	s_andn2_b64 exec, exec, s[6:7]
	s_cbranch_execz .LBB1687_198
.LBB1687_196:                           ; =>This Inner Loop Header: Depth=1
	s_or_b64 s[40:41], s[40:41], exec
	s_cmp_eq_u64 s[4:5], s[42:43]
	s_cbranch_scc0 .LBB1687_194
; %bb.197:                              ;   in Loop: Header=BB1687_196 Depth=1
                                        ; implicit-def: $vgpr12_vgpr13
                                        ; implicit-def: $vgpr14_vgpr15
	s_mov_b64 s[42:43], s[26:27]
	s_branch .LBB1687_195
.LBB1687_198:
	s_or_b64 exec, exec, s[6:7]
	v_cmp_gt_i64_e32 vcc, s[26:27], v[16:17]
	s_orn2_b64 s[40:41], vcc, exec
.LBB1687_199:
	s_or_b64 exec, exec, s[36:37]
.LBB1687_200:
	s_and_b64 s[36:37], s[40:41], exec
.LBB1687_201:
	s_or_b64 exec, exec, s[38:39]
	v_cmp_gt_u32_e32 vcc, s48, v22
	s_mov_b64 s[38:39], 0
	s_mov_b64 s[40:41], 0
	s_and_saveexec_b64 s[42:43], vcc
	s_cbranch_execz .LBB1687_212
; %bb.202:
	s_andn2_b64 vcc, exec, s[10:11]
	s_mov_b64 s[44:45], 0
	s_cbranch_vccnz .LBB1687_211
; %bb.203:
	s_waitcnt vmcnt(0) lgkmcnt(1)
	v_mul_lo_u32 v14, v9, s26
	v_mul_lo_u32 v15, v8, s27
	v_mad_u64_u32 v[12:13], s[4:5], v8, s26, 0
	v_add3_u32 v13, v13, v15, v14
	v_mul_lo_u32 v14, v3, s26
	v_mul_lo_u32 v15, v2, s27
	v_mad_u64_u32 v[18:19], s[4:5], v2, s26, 0
	v_add3_u32 v19, v19, v15, v14
	v_lshlrev_b64 v[14:15], 3, v[12:13]
	v_mov_b32_e32 v12, s17
	v_add_co_u32_e32 v16, vcc, s16, v14
	v_addc_co_u32_e64 v17, s[4:5], v12, v15, vcc
	v_lshlrev_b64 v[12:13], 3, v[18:19]
	v_mov_b32_e32 v14, s17
	v_add_co_u32_e64 v18, s[4:5], s16, v12
	v_addc_co_u32_e64 v19, s[6:7], v14, v13, s[4:5]
	global_load_dwordx2 v[20:21], v[16:17], off
	global_load_dwordx2 v[28:29], v[18:19], off
	s_mov_b64 s[44:45], -1
	s_waitcnt vmcnt(0)
	v_cmp_eq_u64_e64 s[6:7], v[20:21], v[28:29]
	s_and_saveexec_b64 s[40:41], s[6:7]
	s_cbranch_execz .LBB1687_210
; %bb.204:
	v_mov_b32_e32 v12, s17
	v_addc_co_u32_e64 v13, s[4:5], v13, v12, s[4:5]
	v_add_co_u32_e64 v12, s[4:5], 8, v18
	v_mov_b32_e32 v14, s17
	v_addc_co_u32_e64 v13, s[4:5], 0, v13, s[4:5]
	v_addc_co_u32_e32 v15, vcc, v15, v14, vcc
	v_add_co_u32_e32 v14, vcc, 8, v16
	s_add_u32 s4, s26, -1
	v_addc_co_u32_e32 v15, vcc, 0, v15, vcc
	s_addc_u32 s5, s27, -1
	s_mov_b64 s[6:7], 0
	s_mov_b64 s[46:47], 0
                                        ; implicit-def: $sgpr44_sgpr45
	s_branch .LBB1687_207
.LBB1687_205:                           ;   in Loop: Header=BB1687_207 Depth=1
	global_load_dwordx2 v[16:17], v[14:15], off
	global_load_dwordx2 v[18:19], v[12:13], off
	v_add_co_u32_e32 v12, vcc, 8, v12
	v_addc_co_u32_e32 v13, vcc, 0, v13, vcc
	v_add_co_u32_e32 v14, vcc, 8, v14
	v_addc_co_u32_e32 v15, vcc, 0, v15, vcc
	s_add_u32 s46, s46, 1
	s_addc_u32 s47, s47, 0
	s_andn2_b64 s[44:45], s[44:45], exec
	s_waitcnt vmcnt(0)
	v_cmp_ne_u64_e32 vcc, v[16:17], v[18:19]
	s_and_b64 s[50:51], vcc, exec
	s_or_b64 s[44:45], s[44:45], s[50:51]
.LBB1687_206:                           ;   in Loop: Header=BB1687_207 Depth=1
	s_and_b64 s[50:51], exec, s[44:45]
	s_or_b64 s[6:7], s[50:51], s[6:7]
	v_pk_mov_b32 v[16:17], s[46:47], s[46:47] op_sel:[0,1]
	s_andn2_b64 exec, exec, s[6:7]
	s_cbranch_execz .LBB1687_209
.LBB1687_207:                           ; =>This Inner Loop Header: Depth=1
	s_or_b64 s[44:45], s[44:45], exec
	s_cmp_eq_u64 s[4:5], s[46:47]
	s_cbranch_scc0 .LBB1687_205
; %bb.208:                              ;   in Loop: Header=BB1687_207 Depth=1
                                        ; implicit-def: $vgpr12_vgpr13
                                        ; implicit-def: $vgpr14_vgpr15
	s_mov_b64 s[46:47], s[26:27]
	s_branch .LBB1687_206
.LBB1687_209:
	s_or_b64 exec, exec, s[6:7]
	v_cmp_gt_i64_e32 vcc, s[26:27], v[16:17]
	s_orn2_b64 s[44:45], vcc, exec
.LBB1687_210:
	s_or_b64 exec, exec, s[40:41]
.LBB1687_211:
	s_and_b64 s[40:41], s[44:45], exec
.LBB1687_212:
	s_or_b64 exec, exec, s[42:43]
	v_cmp_gt_u32_e32 vcc, s48, v24
	s_and_saveexec_b64 s[42:43], vcc
	s_cbranch_execz .LBB1687_223
; %bb.213:
	s_andn2_b64 vcc, exec, s[10:11]
	s_mov_b64 s[44:45], 0
	s_cbranch_vccnz .LBB1687_222
; %bb.214:
	s_waitcnt vmcnt(0) lgkmcnt(1)
	v_mul_lo_u32 v14, v7, s26
	v_mul_lo_u32 v15, v6, s27
	v_mad_u64_u32 v[12:13], s[4:5], v6, s26, 0
	v_add3_u32 v13, v13, v15, v14
	v_mul_lo_u32 v14, v9, s26
	v_mul_lo_u32 v15, v8, s27
	v_mad_u64_u32 v[18:19], s[4:5], v8, s26, 0
	v_add3_u32 v19, v19, v15, v14
	v_lshlrev_b64 v[14:15], 3, v[12:13]
	v_mov_b32_e32 v12, s17
	v_add_co_u32_e32 v16, vcc, s16, v14
	v_addc_co_u32_e64 v17, s[4:5], v12, v15, vcc
	v_lshlrev_b64 v[12:13], 3, v[18:19]
	v_mov_b32_e32 v14, s17
	v_add_co_u32_e64 v18, s[4:5], s16, v12
	v_addc_co_u32_e64 v19, s[6:7], v14, v13, s[4:5]
	global_load_dwordx2 v[20:21], v[16:17], off
	global_load_dwordx2 v[28:29], v[18:19], off
	s_mov_b64 s[44:45], -1
	s_waitcnt vmcnt(0)
	v_cmp_eq_u64_e64 s[6:7], v[20:21], v[28:29]
	s_and_saveexec_b64 s[38:39], s[6:7]
	s_cbranch_execz .LBB1687_221
; %bb.215:
	v_mov_b32_e32 v12, s17
	v_addc_co_u32_e64 v13, s[4:5], v13, v12, s[4:5]
	v_add_co_u32_e64 v12, s[4:5], 8, v18
	v_mov_b32_e32 v14, s17
	v_addc_co_u32_e64 v13, s[4:5], 0, v13, s[4:5]
	v_addc_co_u32_e32 v15, vcc, v15, v14, vcc
	v_add_co_u32_e32 v14, vcc, 8, v16
	s_add_u32 s4, s26, -1
	v_addc_co_u32_e32 v15, vcc, 0, v15, vcc
	s_addc_u32 s5, s27, -1
	s_mov_b64 s[6:7], 0
	s_mov_b64 s[46:47], 0
                                        ; implicit-def: $sgpr44_sgpr45
	s_branch .LBB1687_218
.LBB1687_216:                           ;   in Loop: Header=BB1687_218 Depth=1
	global_load_dwordx2 v[16:17], v[14:15], off
	global_load_dwordx2 v[18:19], v[12:13], off
	v_add_co_u32_e32 v12, vcc, 8, v12
	v_addc_co_u32_e32 v13, vcc, 0, v13, vcc
	v_add_co_u32_e32 v14, vcc, 8, v14
	v_addc_co_u32_e32 v15, vcc, 0, v15, vcc
	s_add_u32 s46, s46, 1
	s_addc_u32 s47, s47, 0
	s_andn2_b64 s[44:45], s[44:45], exec
	s_waitcnt vmcnt(0)
	v_cmp_ne_u64_e32 vcc, v[16:17], v[18:19]
	s_and_b64 s[50:51], vcc, exec
	s_or_b64 s[44:45], s[44:45], s[50:51]
.LBB1687_217:                           ;   in Loop: Header=BB1687_218 Depth=1
	s_and_b64 s[50:51], exec, s[44:45]
	s_or_b64 s[6:7], s[50:51], s[6:7]
	v_pk_mov_b32 v[16:17], s[46:47], s[46:47] op_sel:[0,1]
	s_andn2_b64 exec, exec, s[6:7]
	s_cbranch_execz .LBB1687_220
.LBB1687_218:                           ; =>This Inner Loop Header: Depth=1
	s_or_b64 s[44:45], s[44:45], exec
	s_cmp_eq_u64 s[4:5], s[46:47]
	s_cbranch_scc0 .LBB1687_216
; %bb.219:                              ;   in Loop: Header=BB1687_218 Depth=1
                                        ; implicit-def: $vgpr12_vgpr13
                                        ; implicit-def: $vgpr14_vgpr15
	s_mov_b64 s[46:47], s[26:27]
	s_branch .LBB1687_217
.LBB1687_220:
	s_or_b64 exec, exec, s[6:7]
	v_cmp_gt_i64_e32 vcc, s[26:27], v[16:17]
	s_orn2_b64 s[44:45], vcc, exec
.LBB1687_221:
	s_or_b64 exec, exec, s[38:39]
.LBB1687_222:
	s_and_b64 s[38:39], s[44:45], exec
.LBB1687_223:
	s_or_b64 exec, exec, s[42:43]
	v_cndmask_b32_e64 v13, 0, 1, s[36:37]
	s_waitcnt vmcnt(0) lgkmcnt(1)
	v_cndmask_b32_e64 v14, 0, 1, s[38:39]
	v_cndmask_b32_e64 v12, 0, 1, s[40:41]
	v_lshlrev_b16_e32 v14, 8, v14
	v_lshlrev_b16_e32 v13, 8, v13
	v_or_b32_e32 v14, 1, v14
	v_or_b32_sdwa v12, v12, v13 dst_sel:WORD_1 dst_unused:UNUSED_PAD src0_sel:DWORD src1_sel:DWORD
	v_or_b32_sdwa v12, v14, v12 dst_sel:DWORD dst_unused:UNUSED_PAD src0_sel:WORD_0 src1_sel:DWORD
	v_cndmask_b32_e64 v13, 0, 1, s[8:9]
	s_waitcnt lgkmcnt(0)
	s_barrier
	s_waitcnt lgkmcnt(0)
                                        ; implicit-def: $sgpr36_sgpr37
                                        ; implicit-def: $vgpr16
	s_and_saveexec_b64 s[6:7], s[2:3]
	s_cbranch_execz .LBB1687_236
; %bb.224:
	v_cmp_gt_u32_e32 vcc, s48, v1
	s_mov_b32 s38, 0x3020104
	s_mov_b64 s[2:3], 0
	s_and_saveexec_b64 s[8:9], vcc
	s_cbranch_execz .LBB1687_235
; %bb.225:
	s_andn2_b64 vcc, exec, s[10:11]
	s_mov_b64 s[36:37], 0
	s_cbranch_vccnz .LBB1687_234
; %bb.226:
	v_add_u32_e32 v14, -8, v26
	ds_read_b64 v[14:15], v14
	v_mul_lo_u32 v16, v7, s26
	v_mad_u64_u32 v[20:21], s[2:3], v6, s26, 0
	s_mov_b64 s[36:37], -1
	s_waitcnt lgkmcnt(0)
	v_mul_lo_u32 v17, v15, s26
	v_mul_lo_u32 v18, v14, s27
	v_mad_u64_u32 v[14:15], s[2:3], v14, s26, 0
	v_add3_u32 v15, v15, v18, v17
	v_mul_lo_u32 v17, v6, s27
	v_add3_u32 v21, v21, v17, v16
	v_lshlrev_b64 v[16:17], 3, v[14:15]
	v_mov_b32_e32 v14, s17
	v_add_co_u32_e32 v18, vcc, s16, v16
	v_addc_co_u32_e64 v19, s[2:3], v14, v17, vcc
	v_lshlrev_b64 v[14:15], 3, v[20:21]
	v_mov_b32_e32 v16, s17
	v_add_co_u32_e64 v20, s[2:3], s16, v14
	v_addc_co_u32_e64 v21, s[4:5], v16, v15, s[2:3]
	global_load_dwordx2 v[26:27], v[18:19], off
	global_load_dwordx2 v[28:29], v[20:21], off
	s_waitcnt vmcnt(0)
	v_cmp_eq_u64_e64 s[4:5], v[26:27], v[28:29]
	s_and_saveexec_b64 s[10:11], s[4:5]
	s_cbranch_execz .LBB1687_233
; %bb.227:
	v_mov_b32_e32 v14, s17
	v_addc_co_u32_e64 v15, s[2:3], v15, v14, s[2:3]
	v_add_co_u32_e64 v14, s[2:3], 8, v20
	v_mov_b32_e32 v16, s17
	v_addc_co_u32_e64 v15, s[2:3], 0, v15, s[2:3]
	v_addc_co_u32_e32 v17, vcc, v17, v16, vcc
	v_add_co_u32_e32 v16, vcc, 8, v18
	s_add_u32 s2, s26, -1
	v_addc_co_u32_e32 v17, vcc, 0, v17, vcc
	s_addc_u32 s3, s27, -1
	s_mov_b64 s[4:5], 0
	s_mov_b64 s[36:37], 0
                                        ; implicit-def: $sgpr16_sgpr17
	s_branch .LBB1687_230
.LBB1687_228:                           ;   in Loop: Header=BB1687_230 Depth=1
	global_load_dwordx2 v[18:19], v[16:17], off
	global_load_dwordx2 v[20:21], v[14:15], off
	v_add_co_u32_e32 v14, vcc, 8, v14
	v_addc_co_u32_e32 v15, vcc, 0, v15, vcc
	v_add_co_u32_e32 v16, vcc, 8, v16
	v_addc_co_u32_e32 v17, vcc, 0, v17, vcc
	s_add_u32 s36, s36, 1
	s_addc_u32 s37, s37, 0
	s_andn2_b64 s[16:17], s[16:17], exec
	s_waitcnt vmcnt(0)
	v_cmp_ne_u64_e32 vcc, v[18:19], v[20:21]
	s_and_b64 s[40:41], vcc, exec
	s_or_b64 s[16:17], s[16:17], s[40:41]
.LBB1687_229:                           ;   in Loop: Header=BB1687_230 Depth=1
	s_and_b64 s[40:41], exec, s[16:17]
	s_or_b64 s[4:5], s[40:41], s[4:5]
	v_pk_mov_b32 v[18:19], s[36:37], s[36:37] op_sel:[0,1]
	s_andn2_b64 exec, exec, s[4:5]
	s_cbranch_execz .LBB1687_232
.LBB1687_230:                           ; =>This Inner Loop Header: Depth=1
	s_or_b64 s[16:17], s[16:17], exec
	s_cmp_eq_u64 s[2:3], s[36:37]
	s_cbranch_scc0 .LBB1687_228
; %bb.231:                              ;   in Loop: Header=BB1687_230 Depth=1
                                        ; implicit-def: $vgpr14_vgpr15
                                        ; implicit-def: $vgpr16_vgpr17
	s_mov_b64 s[36:37], s[26:27]
	s_branch .LBB1687_229
.LBB1687_232:
	s_or_b64 exec, exec, s[4:5]
	v_cmp_gt_i64_e32 vcc, s[26:27], v[18:19]
	s_orn2_b64 s[36:37], vcc, exec
.LBB1687_233:
	s_or_b64 exec, exec, s[10:11]
.LBB1687_234:
	s_and_b64 s[2:3], s[36:37], exec
.LBB1687_235:
	s_or_b64 exec, exec, s[8:9]
	v_perm_b32 v16, v12, v12, s38
	s_and_b64 s[36:37], s[2:3], exec
	s_or_b64 s[14:15], s[14:15], exec
.LBB1687_236:
	s_or_b64 exec, exec, s[6:7]
.LBB1687_237:
	s_and_saveexec_b64 s[2:3], s[14:15]
	s_cbranch_execz .LBB1687_239
; %bb.238:
	s_waitcnt vmcnt(0) lgkmcnt(0)
	v_lshrrev_b32_e32 v14, 24, v16
	s_movk_i32 s4, 0xff
	v_lshlrev_b16_e32 v14, 8, v14
	v_and_b32_sdwa v15, v16, s4 dst_sel:DWORD dst_unused:UNUSED_PAD src0_sel:WORD_1 src1_sel:DWORD
	v_or_b32_sdwa v14, v15, v14 dst_sel:WORD_1 dst_unused:UNUSED_PAD src0_sel:DWORD src1_sel:DWORD
	v_mov_b32_e32 v15, 8
	v_cndmask_b32_e64 v12, 0, 1, s[36:37]
	v_lshrrev_b32_sdwa v15, v15, v16 dst_sel:BYTE_1 dst_unused:UNUSED_PAD src0_sel:DWORD src1_sel:DWORD
	v_or_b32_e32 v12, v12, v15
	s_mov_b32 s4, 0xffff
	v_or_b32_sdwa v12, v12, v14 dst_sel:DWORD dst_unused:UNUSED_PAD src0_sel:WORD_0 src1_sel:DWORD
	v_and_b32_sdwa v13, s4, v13 dst_sel:DWORD dst_unused:UNUSED_PAD src0_sel:DWORD src1_sel:BYTE_0
.LBB1687_239:
	s_or_b64 exec, exec, s[2:3]
	s_andn2_b64 vcc, exec, s[12:13]
	s_cbranch_vccnz .LBB1687_241
; %bb.240:
	v_cmp_gt_u32_e32 vcc, s48, v1
	v_cndmask_b32_e32 v1, 0, v12, vcc
	v_and_b32_e32 v1, 0xffff00ff, v1
	v_cmp_gt_u32_e64 s[2:3], s48, v24
	v_cndmask_b32_e64 v1, v1, v12, s[2:3]
	s_waitcnt vmcnt(0) lgkmcnt(0)
	v_lshrrev_b32_e32 v14, 24, v1
	s_mov_b32 s4, 0x40c0100
	v_perm_b32 v1, v14, v1, s4
	v_cmp_gt_u32_e64 s[4:5], s48, v22
	v_cmp_gt_u32_e64 s[6:7], s48, v25
	v_cndmask_b32_e64 v1, v1, v12, s[4:5]
	s_or_b64 s[4:5], s[6:7], s[4:5]
	s_or_b64 s[2:3], s[4:5], s[2:3]
	s_or_b64 vcc, s[2:3], vcc
	v_and_b32_e32 v1, 0xffffff, v1
	v_cndmask_b32_e32 v14, 0, v13, vcc
	v_cndmask_b32_e64 v1, v1, v12, s[6:7]
	v_and_b32_e32 v14, 0xffffff00, v14
	v_cmp_gt_u32_e32 vcc, s48, v23
	v_cndmask_b32_e32 v1, v1, v12, vcc
	v_cndmask_b32_e32 v12, v14, v13, vcc
	s_mov_b32 s2, 0x3020104
	v_and_b32_e32 v13, 0xff, v12
	v_perm_b32 v12, v1, v1, s2
.LBB1687_241:
	v_and_b32_e32 v1, 0xff, v12
	v_bfe_u32 v25, v12, 8, 8
	v_bfe_u32 v27, v12, 16, 8
	s_waitcnt vmcnt(0) lgkmcnt(0)
	v_alignbit_b32 v14, v13, v12, 24
	v_and_b32_e32 v28, 0xff, v14
	v_and_b32_e32 v14, 0xff, v13
	v_add3_u32 v15, v25, v1, v27
	v_add3_u32 v31, v15, v28, v14
	v_mbcnt_lo_u32_b32 v14, -1, 0
	v_mbcnt_hi_u32_b32 v29, -1, v14
	v_and_b32_e32 v14, 15, v29
	v_cmp_eq_u32_e64 s[14:15], 0, v14
	v_cmp_lt_u32_e64 s[12:13], 1, v14
	v_cmp_lt_u32_e64 s[10:11], 3, v14
	;; [unrolled: 1-line block ×3, first 2 shown]
	v_and_b32_e32 v14, 16, v29
	v_cmp_eq_u32_e64 s[6:7], 0, v14
	v_or_b32_e32 v14, 63, v0
	v_cmp_lt_u32_e64 s[2:3], 31, v29
	v_lshrrev_b32_e32 v30, 6, v0
	v_cmp_eq_u32_e64 s[4:5], v14, v0
	s_and_b64 vcc, exec, s[34:35]
	s_barrier
	s_cbranch_vccz .LBB1687_268
; %bb.242:
	v_mov_b32_dpp v14, v31 row_shr:1 row_mask:0xf bank_mask:0xf
	v_cndmask_b32_e64 v14, v14, 0, s[14:15]
	v_add_u32_e32 v14, v14, v31
	s_nop 1
	v_mov_b32_dpp v15, v14 row_shr:2 row_mask:0xf bank_mask:0xf
	v_cndmask_b32_e64 v15, 0, v15, s[12:13]
	v_add_u32_e32 v14, v14, v15
	s_nop 1
	;; [unrolled: 4-line block ×4, first 2 shown]
	v_mov_b32_dpp v15, v14 row_bcast:15 row_mask:0xf bank_mask:0xf
	v_cndmask_b32_e64 v15, v15, 0, s[6:7]
	v_add_u32_e32 v14, v14, v15
	s_nop 1
	v_mov_b32_dpp v15, v14 row_bcast:31 row_mask:0xf bank_mask:0xf
	v_cndmask_b32_e64 v15, 0, v15, s[2:3]
	v_add_u32_e32 v14, v14, v15
	s_and_saveexec_b64 s[16:17], s[4:5]
	s_cbranch_execz .LBB1687_244
; %bb.243:
	v_lshlrev_b32_e32 v15, 2, v30
	ds_write_b32 v15, v14
.LBB1687_244:
	s_or_b64 exec, exec, s[16:17]
	v_cmp_gt_u32_e32 vcc, 4, v0
	s_waitcnt lgkmcnt(0)
	s_barrier
	s_and_saveexec_b64 s[16:17], vcc
	s_cbranch_execz .LBB1687_246
; %bb.245:
	v_lshlrev_b32_e32 v15, 2, v0
	ds_read_b32 v16, v15
	v_and_b32_e32 v17, 3, v29
	v_cmp_ne_u32_e32 vcc, 0, v17
	s_waitcnt lgkmcnt(0)
	v_mov_b32_dpp v18, v16 row_shr:1 row_mask:0xf bank_mask:0xf
	v_cndmask_b32_e32 v18, 0, v18, vcc
	v_add_u32_e32 v16, v18, v16
	v_cmp_lt_u32_e32 vcc, 1, v17
	s_nop 0
	v_mov_b32_dpp v18, v16 row_shr:2 row_mask:0xf bank_mask:0xf
	v_cndmask_b32_e32 v17, 0, v18, vcc
	v_add_u32_e32 v16, v16, v17
	ds_write_b32 v15, v16
.LBB1687_246:
	s_or_b64 exec, exec, s[16:17]
	v_cmp_gt_u32_e32 vcc, 64, v0
	v_cmp_lt_u32_e64 s[16:17], 63, v0
	s_waitcnt lgkmcnt(0)
	s_barrier
	s_waitcnt lgkmcnt(0)
                                        ; implicit-def: $vgpr24
	s_and_saveexec_b64 s[26:27], s[16:17]
	s_cbranch_execz .LBB1687_248
; %bb.247:
	v_lshl_add_u32 v15, v30, 2, -4
	ds_read_b32 v24, v15
	s_waitcnt lgkmcnt(0)
	v_add_u32_e32 v14, v24, v14
.LBB1687_248:
	s_or_b64 exec, exec, s[26:27]
	v_add_u32_e32 v15, -1, v29
	v_and_b32_e32 v16, 64, v29
	v_cmp_lt_i32_e64 s[16:17], v15, v16
	v_cndmask_b32_e64 v15, v15, v29, s[16:17]
	v_lshlrev_b32_e32 v15, 2, v15
	ds_bpermute_b32 v26, v15, v14
	v_cmp_eq_u32_e64 s[16:17], 0, v29
	s_and_saveexec_b64 s[26:27], vcc
	s_cbranch_execz .LBB1687_267
; %bb.249:
	v_mov_b32_e32 v21, 0
	ds_read_b32 v14, v21 offset:12
	s_and_saveexec_b64 s[34:35], s[16:17]
	s_cbranch_execz .LBB1687_251
; %bb.250:
	s_add_i32 s36, s33, 64
	s_mov_b32 s37, 0
	s_lshl_b64 s[36:37], s[36:37], 3
	s_add_u32 s36, s18, s36
	v_mov_b32_e32 v15, 1
	s_addc_u32 s37, s19, s37
	s_waitcnt lgkmcnt(0)
	global_store_dwordx2 v21, v[14:15], s[36:37]
.LBB1687_251:
	s_or_b64 exec, exec, s[34:35]
	v_xad_u32 v16, v29, -1, s33
	v_add_u32_e32 v20, 64, v16
	v_lshlrev_b64 v[18:19], 3, v[20:21]
	v_mov_b32_e32 v15, s19
	v_add_co_u32_e32 v22, vcc, s18, v18
	v_addc_co_u32_e32 v23, vcc, v15, v19, vcc
	global_load_dwordx2 v[18:19], v[22:23], off glc
	s_waitcnt vmcnt(0)
	v_cmp_eq_u16_sdwa s[36:37], v19, v21 src0_sel:BYTE_0 src1_sel:DWORD
	s_and_saveexec_b64 s[34:35], s[36:37]
	s_cbranch_execz .LBB1687_255
; %bb.252:
	s_mov_b64 s[36:37], 0
	v_mov_b32_e32 v15, 0
.LBB1687_253:                           ; =>This Inner Loop Header: Depth=1
	global_load_dwordx2 v[18:19], v[22:23], off glc
	s_waitcnt vmcnt(0)
	v_cmp_ne_u16_sdwa s[38:39], v19, v15 src0_sel:BYTE_0 src1_sel:DWORD
	s_or_b64 s[36:37], s[38:39], s[36:37]
	s_andn2_b64 exec, exec, s[36:37]
	s_cbranch_execnz .LBB1687_253
; %bb.254:
	s_or_b64 exec, exec, s[36:37]
.LBB1687_255:
	s_or_b64 exec, exec, s[34:35]
	v_and_b32_e32 v32, 63, v29
	v_mov_b32_e32 v15, 2
	v_cmp_ne_u32_e32 vcc, 63, v32
	v_cmp_eq_u16_sdwa s[34:35], v19, v15 src0_sel:BYTE_0 src1_sel:DWORD
	v_lshlrev_b64 v[20:21], v29, -1
	v_addc_co_u32_e32 v23, vcc, 0, v29, vcc
	v_and_b32_e32 v17, s35, v21
	v_lshlrev_b32_e32 v33, 2, v23
	v_or_b32_e32 v17, 0x80000000, v17
	ds_bpermute_b32 v23, v33, v18
	v_and_b32_e32 v22, s34, v20
	v_ffbl_b32_e32 v17, v17
	v_add_u32_e32 v17, 32, v17
	v_ffbl_b32_e32 v22, v22
	v_min_u32_e32 v17, v22, v17
	v_cmp_lt_u32_e32 vcc, v32, v17
	s_waitcnt lgkmcnt(0)
	v_cndmask_b32_e32 v22, 0, v23, vcc
	v_cmp_gt_u32_e32 vcc, 62, v32
	v_add_u32_e32 v18, v22, v18
	v_cndmask_b32_e64 v22, 0, 1, vcc
	v_lshlrev_b32_e32 v22, 1, v22
	v_add_lshl_u32 v34, v22, v29, 2
	ds_bpermute_b32 v22, v34, v18
	v_add_u32_e32 v35, 2, v32
	v_cmp_le_u32_e32 vcc, v35, v17
	v_add_u32_e32 v37, 4, v32
	v_add_u32_e32 v39, 8, v32
	s_waitcnt lgkmcnt(0)
	v_cndmask_b32_e32 v22, 0, v22, vcc
	v_cmp_gt_u32_e32 vcc, 60, v32
	v_add_u32_e32 v18, v18, v22
	v_cndmask_b32_e64 v22, 0, 1, vcc
	v_lshlrev_b32_e32 v22, 2, v22
	v_add_lshl_u32 v36, v22, v29, 2
	ds_bpermute_b32 v22, v36, v18
	v_cmp_le_u32_e32 vcc, v37, v17
	v_add_u32_e32 v42, 16, v32
	v_add_u32_e32 v44, 32, v32
	s_waitcnt lgkmcnt(0)
	v_cndmask_b32_e32 v22, 0, v22, vcc
	v_cmp_gt_u32_e32 vcc, 56, v32
	v_add_u32_e32 v18, v18, v22
	v_cndmask_b32_e64 v22, 0, 1, vcc
	v_lshlrev_b32_e32 v22, 3, v22
	v_add_lshl_u32 v38, v22, v29, 2
	ds_bpermute_b32 v22, v38, v18
	v_cmp_le_u32_e32 vcc, v39, v17
	s_waitcnt lgkmcnt(0)
	v_cndmask_b32_e32 v22, 0, v22, vcc
	v_cmp_gt_u32_e32 vcc, 48, v32
	v_add_u32_e32 v18, v18, v22
	v_cndmask_b32_e64 v22, 0, 1, vcc
	v_lshlrev_b32_e32 v22, 4, v22
	v_add_lshl_u32 v41, v22, v29, 2
	ds_bpermute_b32 v22, v41, v18
	v_cmp_le_u32_e32 vcc, v42, v17
	;; [unrolled: 9-line block ×3, first 2 shown]
	s_waitcnt lgkmcnt(0)
	v_cndmask_b32_e32 v17, 0, v22, vcc
	v_add_u32_e32 v18, v18, v17
	v_mov_b32_e32 v17, 0
	s_branch .LBB1687_257
.LBB1687_256:                           ;   in Loop: Header=BB1687_257 Depth=1
	s_or_b64 exec, exec, s[34:35]
	v_cmp_eq_u16_sdwa s[34:35], v19, v15 src0_sel:BYTE_0 src1_sel:DWORD
	v_and_b32_e32 v22, s35, v21
	v_or_b32_e32 v22, 0x80000000, v22
	ds_bpermute_b32 v45, v33, v18
	v_and_b32_e32 v23, s34, v20
	v_ffbl_b32_e32 v22, v22
	v_add_u32_e32 v22, 32, v22
	v_ffbl_b32_e32 v23, v23
	v_min_u32_e32 v22, v23, v22
	v_cmp_lt_u32_e32 vcc, v32, v22
	s_waitcnt lgkmcnt(0)
	v_cndmask_b32_e32 v23, 0, v45, vcc
	v_add_u32_e32 v18, v23, v18
	ds_bpermute_b32 v23, v34, v18
	v_cmp_le_u32_e32 vcc, v35, v22
	v_subrev_u32_e32 v16, 64, v16
	s_waitcnt lgkmcnt(0)
	v_cndmask_b32_e32 v23, 0, v23, vcc
	v_add_u32_e32 v18, v18, v23
	ds_bpermute_b32 v23, v36, v18
	v_cmp_le_u32_e32 vcc, v37, v22
	s_waitcnt lgkmcnt(0)
	v_cndmask_b32_e32 v23, 0, v23, vcc
	v_add_u32_e32 v18, v18, v23
	ds_bpermute_b32 v23, v38, v18
	v_cmp_le_u32_e32 vcc, v39, v22
	;; [unrolled: 5-line block ×4, first 2 shown]
	s_waitcnt lgkmcnt(0)
	v_cndmask_b32_e32 v22, 0, v23, vcc
	v_add3_u32 v18, v22, v40, v18
.LBB1687_257:                           ; =>This Loop Header: Depth=1
                                        ;     Child Loop BB1687_260 Depth 2
	v_cmp_ne_u16_sdwa s[34:35], v19, v15 src0_sel:BYTE_0 src1_sel:DWORD
	v_cndmask_b32_e64 v19, 0, 1, s[34:35]
	;;#ASMSTART
	;;#ASMEND
	v_cmp_ne_u32_e32 vcc, 0, v19
	s_cmp_lg_u64 vcc, exec
	v_mov_b32_e32 v40, v18
	s_cbranch_scc1 .LBB1687_262
; %bb.258:                              ;   in Loop: Header=BB1687_257 Depth=1
	v_lshlrev_b64 v[18:19], 3, v[16:17]
	v_mov_b32_e32 v23, s19
	v_add_co_u32_e32 v22, vcc, s18, v18
	v_addc_co_u32_e32 v23, vcc, v23, v19, vcc
	global_load_dwordx2 v[18:19], v[22:23], off glc
	s_waitcnt vmcnt(0)
	v_cmp_eq_u16_sdwa s[36:37], v19, v17 src0_sel:BYTE_0 src1_sel:DWORD
	s_and_saveexec_b64 s[34:35], s[36:37]
	s_cbranch_execz .LBB1687_256
; %bb.259:                              ;   in Loop: Header=BB1687_257 Depth=1
	s_mov_b64 s[36:37], 0
.LBB1687_260:                           ;   Parent Loop BB1687_257 Depth=1
                                        ; =>  This Inner Loop Header: Depth=2
	global_load_dwordx2 v[18:19], v[22:23], off glc
	s_waitcnt vmcnt(0)
	v_cmp_ne_u16_sdwa s[38:39], v19, v17 src0_sel:BYTE_0 src1_sel:DWORD
	s_or_b64 s[36:37], s[38:39], s[36:37]
	s_andn2_b64 exec, exec, s[36:37]
	s_cbranch_execnz .LBB1687_260
; %bb.261:                              ;   in Loop: Header=BB1687_257 Depth=1
	s_or_b64 exec, exec, s[36:37]
	s_branch .LBB1687_256
.LBB1687_262:                           ;   in Loop: Header=BB1687_257 Depth=1
                                        ; implicit-def: $vgpr18
                                        ; implicit-def: $vgpr19
	s_cbranch_execz .LBB1687_257
; %bb.263:
	s_and_saveexec_b64 s[34:35], s[16:17]
	s_cbranch_execz .LBB1687_265
; %bb.264:
	s_add_i32 s36, s33, 64
	s_mov_b32 s37, 0
	s_lshl_b64 s[36:37], s[36:37], 3
	s_add_u32 s36, s18, s36
	v_add_u32_e32 v16, v40, v14
	v_mov_b32_e32 v17, 2
	s_addc_u32 s37, s19, s37
	v_mov_b32_e32 v15, 0
	s_movk_i32 s33, 0x2800
	global_store_dwordx2 v15, v[16:17], s[36:37]
	v_add_u32_e64 v15, s33, 0
	ds_write2_b32 v15, v14, v40 offset1:2
.LBB1687_265:
	s_or_b64 exec, exec, s[34:35]
	s_and_b64 exec, exec, s[0:1]
	s_cbranch_execz .LBB1687_267
; %bb.266:
	v_mov_b32_e32 v14, 0
	ds_write_b32 v14, v40 offset:12
.LBB1687_267:
	s_or_b64 exec, exec, s[26:27]
	v_mov_b32_e32 v14, 0
	s_waitcnt lgkmcnt(0)
	s_barrier
	ds_read_b32 v14, v14 offset:12
	v_cndmask_b32_e64 v15, v26, v24, s[16:17]
	v_cndmask_b32_e64 v15, v15, 0, s[0:1]
	s_movk_i32 s16, 0x2800
	s_waitcnt lgkmcnt(0)
	v_add_u32_e32 v26, v14, v15
	v_add_u32_e64 v14, s16, 0
	s_barrier
	ds_read2_b32 v[14:15], v14 offset1:2
	v_add_u32_e32 v24, v26, v1
	v_add_u32_e32 v22, v24, v25
	v_add_u32_e32 v20, v22, v27
	v_add_u32_e32 v18, v20, v28
	v_lshrrev_b64 v[16:17], 24, v[12:13]
	s_branch .LBB1687_278
.LBB1687_268:
                                        ; implicit-def: $vgpr18
                                        ; implicit-def: $vgpr20
                                        ; implicit-def: $vgpr22
                                        ; implicit-def: $vgpr24
                                        ; implicit-def: $vgpr26
                                        ; implicit-def: $vgpr15
	v_lshrrev_b64 v[16:17], 24, v[12:13]
	s_cbranch_execz .LBB1687_278
; %bb.269:
	s_waitcnt lgkmcnt(0)
	v_mov_b32_dpp v14, v31 row_shr:1 row_mask:0xf bank_mask:0xf
	v_cndmask_b32_e64 v14, v14, 0, s[14:15]
	v_add_u32_e32 v14, v14, v31
	s_nop 1
	v_mov_b32_dpp v15, v14 row_shr:2 row_mask:0xf bank_mask:0xf
	v_cndmask_b32_e64 v15, 0, v15, s[12:13]
	v_add_u32_e32 v14, v14, v15
	s_nop 1
	v_mov_b32_dpp v15, v14 row_shr:4 row_mask:0xf bank_mask:0xf
	v_cndmask_b32_e64 v15, 0, v15, s[10:11]
	v_add_u32_e32 v14, v14, v15
	s_nop 1
	v_mov_b32_dpp v15, v14 row_shr:8 row_mask:0xf bank_mask:0xf
	v_cndmask_b32_e64 v15, 0, v15, s[8:9]
	v_add_u32_e32 v14, v14, v15
	s_nop 1
	v_mov_b32_dpp v15, v14 row_bcast:15 row_mask:0xf bank_mask:0xf
	v_cndmask_b32_e64 v15, v15, 0, s[6:7]
	v_add_u32_e32 v14, v14, v15
	s_nop 1
	v_mov_b32_dpp v15, v14 row_bcast:31 row_mask:0xf bank_mask:0xf
	v_cndmask_b32_e64 v15, 0, v15, s[2:3]
	v_add_u32_e32 v14, v14, v15
	s_and_saveexec_b64 s[2:3], s[4:5]
	s_cbranch_execz .LBB1687_271
; %bb.270:
	v_lshlrev_b32_e32 v15, 2, v30
	ds_write_b32 v15, v14
.LBB1687_271:
	s_or_b64 exec, exec, s[2:3]
	v_cmp_gt_u32_e32 vcc, 4, v0
	s_waitcnt lgkmcnt(0)
	s_barrier
	s_and_saveexec_b64 s[2:3], vcc
	s_cbranch_execz .LBB1687_273
; %bb.272:
	v_lshlrev_b32_e32 v15, 2, v0
	ds_read_b32 v17, v15
	v_and_b32_e32 v18, 3, v29
	v_cmp_ne_u32_e32 vcc, 0, v18
	s_waitcnt lgkmcnt(0)
	v_mov_b32_dpp v19, v17 row_shr:1 row_mask:0xf bank_mask:0xf
	v_cndmask_b32_e32 v19, 0, v19, vcc
	v_add_u32_e32 v17, v19, v17
	v_cmp_lt_u32_e32 vcc, 1, v18
	s_nop 0
	v_mov_b32_dpp v19, v17 row_shr:2 row_mask:0xf bank_mask:0xf
	v_cndmask_b32_e32 v18, 0, v19, vcc
	v_add_u32_e32 v17, v17, v18
	ds_write_b32 v15, v17
.LBB1687_273:
	s_or_b64 exec, exec, s[2:3]
	v_cmp_lt_u32_e32 vcc, 63, v0
	v_mov_b32_e32 v15, 0
	v_mov_b32_e32 v17, 0
	s_waitcnt lgkmcnt(0)
	s_barrier
	s_and_saveexec_b64 s[2:3], vcc
	s_cbranch_execz .LBB1687_275
; %bb.274:
	v_lshl_add_u32 v17, v30, 2, -4
	ds_read_b32 v17, v17
.LBB1687_275:
	s_or_b64 exec, exec, s[2:3]
	v_add_u32_e32 v18, -1, v29
	v_and_b32_e32 v19, 64, v29
	v_cmp_lt_i32_e32 vcc, v18, v19
	v_cndmask_b32_e32 v18, v18, v29, vcc
	s_waitcnt lgkmcnt(0)
	v_add_u32_e32 v14, v17, v14
	v_lshlrev_b32_e32 v18, 2, v18
	ds_bpermute_b32 v18, v18, v14
	ds_read_b32 v14, v15 offset:12
	s_and_saveexec_b64 s[2:3], s[0:1]
	s_cbranch_execz .LBB1687_277
; %bb.276:
	v_mov_b32_e32 v19, 0
	v_mov_b32_e32 v15, 2
	s_waitcnt lgkmcnt(0)
	global_store_dwordx2 v19, v[14:15], s[18:19] offset:512
.LBB1687_277:
	s_or_b64 exec, exec, s[2:3]
	v_cmp_eq_u32_e32 vcc, 0, v29
	s_waitcnt lgkmcnt(1)
	v_cndmask_b32_e32 v17, v18, v17, vcc
	v_cndmask_b32_e64 v26, v17, 0, s[0:1]
	v_add_u32_e32 v24, v26, v1
	v_add_u32_e32 v22, v24, v25
	;; [unrolled: 1-line block ×3, first 2 shown]
	v_mov_b32_e32 v15, 0
	v_add_u32_e32 v18, v20, v28
	s_waitcnt lgkmcnt(0)
	s_barrier
.LBB1687_278:
	s_movk_i32 s2, 0x101
	s_waitcnt lgkmcnt(0)
	v_cmp_gt_u32_e32 vcc, s2, v14
	v_lshrrev_b32_e32 v1, 8, v12
	s_mov_b64 s[2:3], -1
	s_cbranch_vccnz .LBB1687_282
; %bb.279:
	s_and_b64 vcc, exec, s[2:3]
	s_cbranch_vccnz .LBB1687_298
.LBB1687_280:
	s_and_b64 s[0:1], s[0:1], s[24:25]
	s_and_saveexec_b64 s[2:3], s[0:1]
	s_cbranch_execnz .LBB1687_312
.LBB1687_281:
	s_endpgm
.LBB1687_282:
	v_add_u32_e32 v17, v15, v14
	v_cmp_lt_u32_e32 vcc, v26, v17
	s_or_b64 s[4:5], s[30:31], vcc
	s_and_saveexec_b64 s[2:3], s[4:5]
	s_cbranch_execz .LBB1687_285
; %bb.283:
	v_and_b32_e32 v19, 1, v12
	v_cmp_eq_u32_e32 vcc, 1, v19
	s_and_b64 exec, exec, vcc
	s_cbranch_execz .LBB1687_285
; %bb.284:
	s_lshl_b64 s[4:5], s[22:23], 3
	s_add_u32 s4, s28, s4
	v_mov_b32_e32 v27, 0
	s_addc_u32 s5, s29, s5
	v_lshlrev_b64 v[28:29], 3, v[26:27]
	v_mov_b32_e32 v19, s5
	v_add_co_u32_e32 v28, vcc, s4, v28
	v_addc_co_u32_e32 v29, vcc, v19, v29, vcc
	global_store_dwordx2 v[28:29], v[6:7], off
.LBB1687_285:
	s_or_b64 exec, exec, s[2:3]
	v_cmp_lt_u32_e32 vcc, v24, v17
	s_or_b64 s[4:5], s[30:31], vcc
	s_and_saveexec_b64 s[2:3], s[4:5]
	s_cbranch_execz .LBB1687_288
; %bb.286:
	v_and_b32_e32 v19, 1, v1
	v_cmp_eq_u32_e32 vcc, 1, v19
	s_and_b64 exec, exec, vcc
	s_cbranch_execz .LBB1687_288
; %bb.287:
	s_lshl_b64 s[4:5], s[22:23], 3
	s_add_u32 s4, s28, s4
	v_mov_b32_e32 v25, 0
	s_addc_u32 s5, s29, s5
	v_lshlrev_b64 v[28:29], 3, v[24:25]
	v_mov_b32_e32 v19, s5
	v_add_co_u32_e32 v28, vcc, s4, v28
	v_addc_co_u32_e32 v29, vcc, v19, v29, vcc
	global_store_dwordx2 v[28:29], v[8:9], off
.LBB1687_288:
	s_or_b64 exec, exec, s[2:3]
	v_cmp_lt_u32_e32 vcc, v22, v17
	s_or_b64 s[4:5], s[30:31], vcc
	s_and_saveexec_b64 s[2:3], s[4:5]
	s_cbranch_execz .LBB1687_291
; %bb.289:
	v_mov_b32_e32 v19, 1
	v_and_b32_sdwa v19, v19, v12 dst_sel:DWORD dst_unused:UNUSED_PAD src0_sel:DWORD src1_sel:WORD_1
	v_cmp_eq_u32_e32 vcc, 1, v19
	s_and_b64 exec, exec, vcc
	s_cbranch_execz .LBB1687_291
; %bb.290:
	s_lshl_b64 s[4:5], s[22:23], 3
	s_add_u32 s4, s28, s4
	v_mov_b32_e32 v23, 0
	s_addc_u32 s5, s29, s5
	v_lshlrev_b64 v[28:29], 3, v[22:23]
	v_mov_b32_e32 v19, s5
	v_add_co_u32_e32 v28, vcc, s4, v28
	v_addc_co_u32_e32 v29, vcc, v19, v29, vcc
	global_store_dwordx2 v[28:29], v[2:3], off
.LBB1687_291:
	s_or_b64 exec, exec, s[2:3]
	v_cmp_lt_u32_e32 vcc, v20, v17
	s_or_b64 s[4:5], s[30:31], vcc
	s_and_saveexec_b64 s[2:3], s[4:5]
	s_cbranch_execz .LBB1687_294
; %bb.292:
	v_and_b32_e32 v19, 1, v16
	v_cmp_eq_u32_e32 vcc, 1, v19
	s_and_b64 exec, exec, vcc
	s_cbranch_execz .LBB1687_294
; %bb.293:
	s_lshl_b64 s[4:5], s[22:23], 3
	s_add_u32 s4, s28, s4
	v_mov_b32_e32 v21, 0
	s_addc_u32 s5, s29, s5
	v_lshlrev_b64 v[28:29], 3, v[20:21]
	v_mov_b32_e32 v19, s5
	v_add_co_u32_e32 v28, vcc, s4, v28
	v_addc_co_u32_e32 v29, vcc, v19, v29, vcc
	global_store_dwordx2 v[28:29], v[4:5], off
.LBB1687_294:
	s_or_b64 exec, exec, s[2:3]
	v_cmp_lt_u32_e32 vcc, v18, v17
	s_or_b64 s[4:5], s[30:31], vcc
	s_and_saveexec_b64 s[2:3], s[4:5]
	s_cbranch_execz .LBB1687_297
; %bb.295:
	v_and_b32_e32 v17, 1, v13
	v_cmp_eq_u32_e32 vcc, 1, v17
	s_and_b64 exec, exec, vcc
	s_cbranch_execz .LBB1687_297
; %bb.296:
	s_lshl_b64 s[4:5], s[22:23], 3
	s_add_u32 s4, s28, s4
	v_mov_b32_e32 v19, 0
	s_addc_u32 s5, s29, s5
	v_lshlrev_b64 v[28:29], 3, v[18:19]
	v_mov_b32_e32 v17, s5
	v_add_co_u32_e32 v28, vcc, s4, v28
	v_addc_co_u32_e32 v29, vcc, v17, v29, vcc
	global_store_dwordx2 v[28:29], v[10:11], off
.LBB1687_297:
	s_or_b64 exec, exec, s[2:3]
	s_branch .LBB1687_280
.LBB1687_298:
	v_and_b32_e32 v17, 1, v12
	v_cmp_eq_u32_e32 vcc, 1, v17
	s_and_saveexec_b64 s[2:3], vcc
	s_cbranch_execz .LBB1687_300
; %bb.299:
	v_sub_u32_e32 v17, v26, v15
	v_lshlrev_b32_e32 v17, 3, v17
	ds_write_b64 v17, v[6:7]
.LBB1687_300:
	s_or_b64 exec, exec, s[2:3]
	v_and_b32_e32 v1, 1, v1
	v_cmp_eq_u32_e32 vcc, 1, v1
	s_and_saveexec_b64 s[2:3], vcc
	s_cbranch_execz .LBB1687_302
; %bb.301:
	v_sub_u32_e32 v1, v24, v15
	v_lshlrev_b32_e32 v1, 3, v1
	ds_write_b64 v1, v[8:9]
.LBB1687_302:
	s_or_b64 exec, exec, s[2:3]
	v_mov_b32_e32 v1, 1
	v_and_b32_sdwa v1, v1, v12 dst_sel:DWORD dst_unused:UNUSED_PAD src0_sel:DWORD src1_sel:WORD_1
	v_cmp_eq_u32_e32 vcc, 1, v1
	s_and_saveexec_b64 s[2:3], vcc
	s_cbranch_execz .LBB1687_304
; %bb.303:
	v_sub_u32_e32 v1, v22, v15
	v_lshlrev_b32_e32 v1, 3, v1
	ds_write_b64 v1, v[2:3]
.LBB1687_304:
	s_or_b64 exec, exec, s[2:3]
	v_and_b32_e32 v1, 1, v16
	v_cmp_eq_u32_e32 vcc, 1, v1
	s_and_saveexec_b64 s[2:3], vcc
	s_cbranch_execz .LBB1687_306
; %bb.305:
	v_sub_u32_e32 v1, v20, v15
	v_lshlrev_b32_e32 v1, 3, v1
	ds_write_b64 v1, v[4:5]
.LBB1687_306:
	s_or_b64 exec, exec, s[2:3]
	v_and_b32_e32 v1, 1, v13
	v_cmp_eq_u32_e32 vcc, 1, v1
	s_and_saveexec_b64 s[2:3], vcc
	s_cbranch_execz .LBB1687_308
; %bb.307:
	v_sub_u32_e32 v1, v18, v15
	v_lshlrev_b32_e32 v1, 3, v1
	ds_write_b64 v1, v[10:11]
.LBB1687_308:
	s_or_b64 exec, exec, s[2:3]
	v_cmp_lt_u32_e32 vcc, v0, v14
	s_waitcnt lgkmcnt(0)
	s_barrier
	s_and_saveexec_b64 s[2:3], vcc
	s_cbranch_execz .LBB1687_311
; %bb.309:
	v_mov_b32_e32 v1, 0
	v_mov_b32_e32 v2, v15
	;; [unrolled: 1-line block ×3, first 2 shown]
	v_lshlrev_b64 v[2:3], 3, v[2:3]
	v_mov_b32_e32 v4, s29
	v_add_co_u32_e32 v2, vcc, s28, v2
	v_addc_co_u32_e32 v3, vcc, v4, v3, vcc
	s_lshl_b64 s[4:5], s[22:23], 3
	v_mov_b32_e32 v4, s5
	v_add_co_u32_e32 v2, vcc, s4, v2
	v_addc_co_u32_e32 v3, vcc, v3, v4, vcc
	v_lshlrev_b32_e32 v4, 3, v0
	s_mov_b64 s[4:5], 0
.LBB1687_310:                           ; =>This Inner Loop Header: Depth=1
	ds_read_b64 v[6:7], v4
	v_lshlrev_b64 v[8:9], 3, v[0:1]
	v_add_co_u32_e32 v8, vcc, v2, v8
	v_add_u32_e32 v0, 0x100, v0
	v_addc_co_u32_e32 v9, vcc, v3, v9, vcc
	v_cmp_ge_u32_e32 vcc, v0, v14
	v_add_u32_e32 v4, 0x800, v4
	s_or_b64 s[4:5], vcc, s[4:5]
	s_waitcnt lgkmcnt(0)
	global_store_dwordx2 v[8:9], v[6:7], off
	s_andn2_b64 exec, exec, s[4:5]
	s_cbranch_execnz .LBB1687_310
.LBB1687_311:
	s_or_b64 exec, exec, s[2:3]
	s_and_b64 s[0:1], s[0:1], s[24:25]
	s_and_saveexec_b64 s[2:3], s[0:1]
	s_cbranch_execz .LBB1687_281
.LBB1687_312:
	v_mov_b32_e32 v0, s23
	v_add_co_u32_e32 v1, vcc, s22, v14
	v_addc_co_u32_e32 v3, vcc, 0, v0, vcc
	v_add_co_u32_e32 v0, vcc, v1, v15
	v_mov_b32_e32 v2, 0
	v_addc_co_u32_e32 v1, vcc, 0, v3, vcc
	global_store_dwordx2 v2, v[0:1], s[20:21]
	s_endpgm
	.section	.rodata,"a",@progbits
	.p2align	6, 0x0
	.amdhsa_kernel _ZN7rocprim17ROCPRIM_400000_NS6detail17trampoline_kernelINS0_14default_configENS1_25partition_config_selectorILNS1_17partition_subalgoE8ElNS0_10empty_typeEbEEZZNS1_14partition_implILS5_8ELb0ES3_jPlPS6_PKS6_NS0_5tupleIJS9_S6_EEENSD_IJSA_SA_EEENS0_18inequality_wrapperIZN2at6native12_GLOBAL__N_124unique_dim_cuda_templateImEESt5tupleIJNSH_6TensorESM_SM_EERKSM_lbbbEUlllE0_EEPmJS6_EEE10hipError_tPvRmT3_T4_T5_T6_T7_T9_mT8_P12ihipStream_tbDpT10_ENKUlT_T0_E_clISt17integral_constantIbLb0EES1B_IbLb1EEEEDaS17_S18_EUlS17_E_NS1_11comp_targetILNS1_3genE4ELNS1_11target_archE910ELNS1_3gpuE8ELNS1_3repE0EEENS1_30default_config_static_selectorELNS0_4arch9wavefront6targetE1EEEvT1_
		.amdhsa_group_segment_fixed_size 10252
		.amdhsa_private_segment_fixed_size 0
		.amdhsa_kernarg_size 136
		.amdhsa_user_sgpr_count 6
		.amdhsa_user_sgpr_private_segment_buffer 1
		.amdhsa_user_sgpr_dispatch_ptr 0
		.amdhsa_user_sgpr_queue_ptr 0
		.amdhsa_user_sgpr_kernarg_segment_ptr 1
		.amdhsa_user_sgpr_dispatch_id 0
		.amdhsa_user_sgpr_flat_scratch_init 0
		.amdhsa_user_sgpr_kernarg_preload_length 0
		.amdhsa_user_sgpr_kernarg_preload_offset 0
		.amdhsa_user_sgpr_private_segment_size 0
		.amdhsa_uses_dynamic_stack 0
		.amdhsa_system_sgpr_private_segment_wavefront_offset 0
		.amdhsa_system_sgpr_workgroup_id_x 1
		.amdhsa_system_sgpr_workgroup_id_y 0
		.amdhsa_system_sgpr_workgroup_id_z 0
		.amdhsa_system_sgpr_workgroup_info 0
		.amdhsa_system_vgpr_workitem_id 0
		.amdhsa_next_free_vgpr 46
		.amdhsa_next_free_sgpr 52
		.amdhsa_accum_offset 48
		.amdhsa_reserve_vcc 1
		.amdhsa_reserve_flat_scratch 0
		.amdhsa_float_round_mode_32 0
		.amdhsa_float_round_mode_16_64 0
		.amdhsa_float_denorm_mode_32 3
		.amdhsa_float_denorm_mode_16_64 3
		.amdhsa_dx10_clamp 1
		.amdhsa_ieee_mode 1
		.amdhsa_fp16_overflow 0
		.amdhsa_tg_split 0
		.amdhsa_exception_fp_ieee_invalid_op 0
		.amdhsa_exception_fp_denorm_src 0
		.amdhsa_exception_fp_ieee_div_zero 0
		.amdhsa_exception_fp_ieee_overflow 0
		.amdhsa_exception_fp_ieee_underflow 0
		.amdhsa_exception_fp_ieee_inexact 0
		.amdhsa_exception_int_div_zero 0
	.end_amdhsa_kernel
	.section	.text._ZN7rocprim17ROCPRIM_400000_NS6detail17trampoline_kernelINS0_14default_configENS1_25partition_config_selectorILNS1_17partition_subalgoE8ElNS0_10empty_typeEbEEZZNS1_14partition_implILS5_8ELb0ES3_jPlPS6_PKS6_NS0_5tupleIJS9_S6_EEENSD_IJSA_SA_EEENS0_18inequality_wrapperIZN2at6native12_GLOBAL__N_124unique_dim_cuda_templateImEESt5tupleIJNSH_6TensorESM_SM_EERKSM_lbbbEUlllE0_EEPmJS6_EEE10hipError_tPvRmT3_T4_T5_T6_T7_T9_mT8_P12ihipStream_tbDpT10_ENKUlT_T0_E_clISt17integral_constantIbLb0EES1B_IbLb1EEEEDaS17_S18_EUlS17_E_NS1_11comp_targetILNS1_3genE4ELNS1_11target_archE910ELNS1_3gpuE8ELNS1_3repE0EEENS1_30default_config_static_selectorELNS0_4arch9wavefront6targetE1EEEvT1_,"axG",@progbits,_ZN7rocprim17ROCPRIM_400000_NS6detail17trampoline_kernelINS0_14default_configENS1_25partition_config_selectorILNS1_17partition_subalgoE8ElNS0_10empty_typeEbEEZZNS1_14partition_implILS5_8ELb0ES3_jPlPS6_PKS6_NS0_5tupleIJS9_S6_EEENSD_IJSA_SA_EEENS0_18inequality_wrapperIZN2at6native12_GLOBAL__N_124unique_dim_cuda_templateImEESt5tupleIJNSH_6TensorESM_SM_EERKSM_lbbbEUlllE0_EEPmJS6_EEE10hipError_tPvRmT3_T4_T5_T6_T7_T9_mT8_P12ihipStream_tbDpT10_ENKUlT_T0_E_clISt17integral_constantIbLb0EES1B_IbLb1EEEEDaS17_S18_EUlS17_E_NS1_11comp_targetILNS1_3genE4ELNS1_11target_archE910ELNS1_3gpuE8ELNS1_3repE0EEENS1_30default_config_static_selectorELNS0_4arch9wavefront6targetE1EEEvT1_,comdat
.Lfunc_end1687:
	.size	_ZN7rocprim17ROCPRIM_400000_NS6detail17trampoline_kernelINS0_14default_configENS1_25partition_config_selectorILNS1_17partition_subalgoE8ElNS0_10empty_typeEbEEZZNS1_14partition_implILS5_8ELb0ES3_jPlPS6_PKS6_NS0_5tupleIJS9_S6_EEENSD_IJSA_SA_EEENS0_18inequality_wrapperIZN2at6native12_GLOBAL__N_124unique_dim_cuda_templateImEESt5tupleIJNSH_6TensorESM_SM_EERKSM_lbbbEUlllE0_EEPmJS6_EEE10hipError_tPvRmT3_T4_T5_T6_T7_T9_mT8_P12ihipStream_tbDpT10_ENKUlT_T0_E_clISt17integral_constantIbLb0EES1B_IbLb1EEEEDaS17_S18_EUlS17_E_NS1_11comp_targetILNS1_3genE4ELNS1_11target_archE910ELNS1_3gpuE8ELNS1_3repE0EEENS1_30default_config_static_selectorELNS0_4arch9wavefront6targetE1EEEvT1_, .Lfunc_end1687-_ZN7rocprim17ROCPRIM_400000_NS6detail17trampoline_kernelINS0_14default_configENS1_25partition_config_selectorILNS1_17partition_subalgoE8ElNS0_10empty_typeEbEEZZNS1_14partition_implILS5_8ELb0ES3_jPlPS6_PKS6_NS0_5tupleIJS9_S6_EEENSD_IJSA_SA_EEENS0_18inequality_wrapperIZN2at6native12_GLOBAL__N_124unique_dim_cuda_templateImEESt5tupleIJNSH_6TensorESM_SM_EERKSM_lbbbEUlllE0_EEPmJS6_EEE10hipError_tPvRmT3_T4_T5_T6_T7_T9_mT8_P12ihipStream_tbDpT10_ENKUlT_T0_E_clISt17integral_constantIbLb0EES1B_IbLb1EEEEDaS17_S18_EUlS17_E_NS1_11comp_targetILNS1_3genE4ELNS1_11target_archE910ELNS1_3gpuE8ELNS1_3repE0EEENS1_30default_config_static_selectorELNS0_4arch9wavefront6targetE1EEEvT1_
                                        ; -- End function
	.section	.AMDGPU.csdata,"",@progbits
; Kernel info:
; codeLenInByte = 11572
; NumSgprs: 56
; NumVgprs: 46
; NumAgprs: 0
; TotalNumVgprs: 46
; ScratchSize: 0
; MemoryBound: 1
; FloatMode: 240
; IeeeMode: 1
; LDSByteSize: 10252 bytes/workgroup (compile time only)
; SGPRBlocks: 6
; VGPRBlocks: 5
; NumSGPRsForWavesPerEU: 56
; NumVGPRsForWavesPerEU: 46
; AccumOffset: 48
; Occupancy: 6
; WaveLimiterHint : 1
; COMPUTE_PGM_RSRC2:SCRATCH_EN: 0
; COMPUTE_PGM_RSRC2:USER_SGPR: 6
; COMPUTE_PGM_RSRC2:TRAP_HANDLER: 0
; COMPUTE_PGM_RSRC2:TGID_X_EN: 1
; COMPUTE_PGM_RSRC2:TGID_Y_EN: 0
; COMPUTE_PGM_RSRC2:TGID_Z_EN: 0
; COMPUTE_PGM_RSRC2:TIDIG_COMP_CNT: 0
; COMPUTE_PGM_RSRC3_GFX90A:ACCUM_OFFSET: 11
; COMPUTE_PGM_RSRC3_GFX90A:TG_SPLIT: 0
	.section	.text._ZN7rocprim17ROCPRIM_400000_NS6detail17trampoline_kernelINS0_14default_configENS1_25partition_config_selectorILNS1_17partition_subalgoE8ElNS0_10empty_typeEbEEZZNS1_14partition_implILS5_8ELb0ES3_jPlPS6_PKS6_NS0_5tupleIJS9_S6_EEENSD_IJSA_SA_EEENS0_18inequality_wrapperIZN2at6native12_GLOBAL__N_124unique_dim_cuda_templateImEESt5tupleIJNSH_6TensorESM_SM_EERKSM_lbbbEUlllE0_EEPmJS6_EEE10hipError_tPvRmT3_T4_T5_T6_T7_T9_mT8_P12ihipStream_tbDpT10_ENKUlT_T0_E_clISt17integral_constantIbLb0EES1B_IbLb1EEEEDaS17_S18_EUlS17_E_NS1_11comp_targetILNS1_3genE3ELNS1_11target_archE908ELNS1_3gpuE7ELNS1_3repE0EEENS1_30default_config_static_selectorELNS0_4arch9wavefront6targetE1EEEvT1_,"axG",@progbits,_ZN7rocprim17ROCPRIM_400000_NS6detail17trampoline_kernelINS0_14default_configENS1_25partition_config_selectorILNS1_17partition_subalgoE8ElNS0_10empty_typeEbEEZZNS1_14partition_implILS5_8ELb0ES3_jPlPS6_PKS6_NS0_5tupleIJS9_S6_EEENSD_IJSA_SA_EEENS0_18inequality_wrapperIZN2at6native12_GLOBAL__N_124unique_dim_cuda_templateImEESt5tupleIJNSH_6TensorESM_SM_EERKSM_lbbbEUlllE0_EEPmJS6_EEE10hipError_tPvRmT3_T4_T5_T6_T7_T9_mT8_P12ihipStream_tbDpT10_ENKUlT_T0_E_clISt17integral_constantIbLb0EES1B_IbLb1EEEEDaS17_S18_EUlS17_E_NS1_11comp_targetILNS1_3genE3ELNS1_11target_archE908ELNS1_3gpuE7ELNS1_3repE0EEENS1_30default_config_static_selectorELNS0_4arch9wavefront6targetE1EEEvT1_,comdat
	.globl	_ZN7rocprim17ROCPRIM_400000_NS6detail17trampoline_kernelINS0_14default_configENS1_25partition_config_selectorILNS1_17partition_subalgoE8ElNS0_10empty_typeEbEEZZNS1_14partition_implILS5_8ELb0ES3_jPlPS6_PKS6_NS0_5tupleIJS9_S6_EEENSD_IJSA_SA_EEENS0_18inequality_wrapperIZN2at6native12_GLOBAL__N_124unique_dim_cuda_templateImEESt5tupleIJNSH_6TensorESM_SM_EERKSM_lbbbEUlllE0_EEPmJS6_EEE10hipError_tPvRmT3_T4_T5_T6_T7_T9_mT8_P12ihipStream_tbDpT10_ENKUlT_T0_E_clISt17integral_constantIbLb0EES1B_IbLb1EEEEDaS17_S18_EUlS17_E_NS1_11comp_targetILNS1_3genE3ELNS1_11target_archE908ELNS1_3gpuE7ELNS1_3repE0EEENS1_30default_config_static_selectorELNS0_4arch9wavefront6targetE1EEEvT1_ ; -- Begin function _ZN7rocprim17ROCPRIM_400000_NS6detail17trampoline_kernelINS0_14default_configENS1_25partition_config_selectorILNS1_17partition_subalgoE8ElNS0_10empty_typeEbEEZZNS1_14partition_implILS5_8ELb0ES3_jPlPS6_PKS6_NS0_5tupleIJS9_S6_EEENSD_IJSA_SA_EEENS0_18inequality_wrapperIZN2at6native12_GLOBAL__N_124unique_dim_cuda_templateImEESt5tupleIJNSH_6TensorESM_SM_EERKSM_lbbbEUlllE0_EEPmJS6_EEE10hipError_tPvRmT3_T4_T5_T6_T7_T9_mT8_P12ihipStream_tbDpT10_ENKUlT_T0_E_clISt17integral_constantIbLb0EES1B_IbLb1EEEEDaS17_S18_EUlS17_E_NS1_11comp_targetILNS1_3genE3ELNS1_11target_archE908ELNS1_3gpuE7ELNS1_3repE0EEENS1_30default_config_static_selectorELNS0_4arch9wavefront6targetE1EEEvT1_
	.p2align	8
	.type	_ZN7rocprim17ROCPRIM_400000_NS6detail17trampoline_kernelINS0_14default_configENS1_25partition_config_selectorILNS1_17partition_subalgoE8ElNS0_10empty_typeEbEEZZNS1_14partition_implILS5_8ELb0ES3_jPlPS6_PKS6_NS0_5tupleIJS9_S6_EEENSD_IJSA_SA_EEENS0_18inequality_wrapperIZN2at6native12_GLOBAL__N_124unique_dim_cuda_templateImEESt5tupleIJNSH_6TensorESM_SM_EERKSM_lbbbEUlllE0_EEPmJS6_EEE10hipError_tPvRmT3_T4_T5_T6_T7_T9_mT8_P12ihipStream_tbDpT10_ENKUlT_T0_E_clISt17integral_constantIbLb0EES1B_IbLb1EEEEDaS17_S18_EUlS17_E_NS1_11comp_targetILNS1_3genE3ELNS1_11target_archE908ELNS1_3gpuE7ELNS1_3repE0EEENS1_30default_config_static_selectorELNS0_4arch9wavefront6targetE1EEEvT1_,@function
_ZN7rocprim17ROCPRIM_400000_NS6detail17trampoline_kernelINS0_14default_configENS1_25partition_config_selectorILNS1_17partition_subalgoE8ElNS0_10empty_typeEbEEZZNS1_14partition_implILS5_8ELb0ES3_jPlPS6_PKS6_NS0_5tupleIJS9_S6_EEENSD_IJSA_SA_EEENS0_18inequality_wrapperIZN2at6native12_GLOBAL__N_124unique_dim_cuda_templateImEESt5tupleIJNSH_6TensorESM_SM_EERKSM_lbbbEUlllE0_EEPmJS6_EEE10hipError_tPvRmT3_T4_T5_T6_T7_T9_mT8_P12ihipStream_tbDpT10_ENKUlT_T0_E_clISt17integral_constantIbLb0EES1B_IbLb1EEEEDaS17_S18_EUlS17_E_NS1_11comp_targetILNS1_3genE3ELNS1_11target_archE908ELNS1_3gpuE7ELNS1_3repE0EEENS1_30default_config_static_selectorELNS0_4arch9wavefront6targetE1EEEvT1_: ; @_ZN7rocprim17ROCPRIM_400000_NS6detail17trampoline_kernelINS0_14default_configENS1_25partition_config_selectorILNS1_17partition_subalgoE8ElNS0_10empty_typeEbEEZZNS1_14partition_implILS5_8ELb0ES3_jPlPS6_PKS6_NS0_5tupleIJS9_S6_EEENSD_IJSA_SA_EEENS0_18inequality_wrapperIZN2at6native12_GLOBAL__N_124unique_dim_cuda_templateImEESt5tupleIJNSH_6TensorESM_SM_EERKSM_lbbbEUlllE0_EEPmJS6_EEE10hipError_tPvRmT3_T4_T5_T6_T7_T9_mT8_P12ihipStream_tbDpT10_ENKUlT_T0_E_clISt17integral_constantIbLb0EES1B_IbLb1EEEEDaS17_S18_EUlS17_E_NS1_11comp_targetILNS1_3genE3ELNS1_11target_archE908ELNS1_3gpuE7ELNS1_3repE0EEENS1_30default_config_static_selectorELNS0_4arch9wavefront6targetE1EEEvT1_
; %bb.0:
	.section	.rodata,"a",@progbits
	.p2align	6, 0x0
	.amdhsa_kernel _ZN7rocprim17ROCPRIM_400000_NS6detail17trampoline_kernelINS0_14default_configENS1_25partition_config_selectorILNS1_17partition_subalgoE8ElNS0_10empty_typeEbEEZZNS1_14partition_implILS5_8ELb0ES3_jPlPS6_PKS6_NS0_5tupleIJS9_S6_EEENSD_IJSA_SA_EEENS0_18inequality_wrapperIZN2at6native12_GLOBAL__N_124unique_dim_cuda_templateImEESt5tupleIJNSH_6TensorESM_SM_EERKSM_lbbbEUlllE0_EEPmJS6_EEE10hipError_tPvRmT3_T4_T5_T6_T7_T9_mT8_P12ihipStream_tbDpT10_ENKUlT_T0_E_clISt17integral_constantIbLb0EES1B_IbLb1EEEEDaS17_S18_EUlS17_E_NS1_11comp_targetILNS1_3genE3ELNS1_11target_archE908ELNS1_3gpuE7ELNS1_3repE0EEENS1_30default_config_static_selectorELNS0_4arch9wavefront6targetE1EEEvT1_
		.amdhsa_group_segment_fixed_size 0
		.amdhsa_private_segment_fixed_size 0
		.amdhsa_kernarg_size 136
		.amdhsa_user_sgpr_count 6
		.amdhsa_user_sgpr_private_segment_buffer 1
		.amdhsa_user_sgpr_dispatch_ptr 0
		.amdhsa_user_sgpr_queue_ptr 0
		.amdhsa_user_sgpr_kernarg_segment_ptr 1
		.amdhsa_user_sgpr_dispatch_id 0
		.amdhsa_user_sgpr_flat_scratch_init 0
		.amdhsa_user_sgpr_kernarg_preload_length 0
		.amdhsa_user_sgpr_kernarg_preload_offset 0
		.amdhsa_user_sgpr_private_segment_size 0
		.amdhsa_uses_dynamic_stack 0
		.amdhsa_system_sgpr_private_segment_wavefront_offset 0
		.amdhsa_system_sgpr_workgroup_id_x 1
		.amdhsa_system_sgpr_workgroup_id_y 0
		.amdhsa_system_sgpr_workgroup_id_z 0
		.amdhsa_system_sgpr_workgroup_info 0
		.amdhsa_system_vgpr_workitem_id 0
		.amdhsa_next_free_vgpr 1
		.amdhsa_next_free_sgpr 0
		.amdhsa_accum_offset 4
		.amdhsa_reserve_vcc 0
		.amdhsa_reserve_flat_scratch 0
		.amdhsa_float_round_mode_32 0
		.amdhsa_float_round_mode_16_64 0
		.amdhsa_float_denorm_mode_32 3
		.amdhsa_float_denorm_mode_16_64 3
		.amdhsa_dx10_clamp 1
		.amdhsa_ieee_mode 1
		.amdhsa_fp16_overflow 0
		.amdhsa_tg_split 0
		.amdhsa_exception_fp_ieee_invalid_op 0
		.amdhsa_exception_fp_denorm_src 0
		.amdhsa_exception_fp_ieee_div_zero 0
		.amdhsa_exception_fp_ieee_overflow 0
		.amdhsa_exception_fp_ieee_underflow 0
		.amdhsa_exception_fp_ieee_inexact 0
		.amdhsa_exception_int_div_zero 0
	.end_amdhsa_kernel
	.section	.text._ZN7rocprim17ROCPRIM_400000_NS6detail17trampoline_kernelINS0_14default_configENS1_25partition_config_selectorILNS1_17partition_subalgoE8ElNS0_10empty_typeEbEEZZNS1_14partition_implILS5_8ELb0ES3_jPlPS6_PKS6_NS0_5tupleIJS9_S6_EEENSD_IJSA_SA_EEENS0_18inequality_wrapperIZN2at6native12_GLOBAL__N_124unique_dim_cuda_templateImEESt5tupleIJNSH_6TensorESM_SM_EERKSM_lbbbEUlllE0_EEPmJS6_EEE10hipError_tPvRmT3_T4_T5_T6_T7_T9_mT8_P12ihipStream_tbDpT10_ENKUlT_T0_E_clISt17integral_constantIbLb0EES1B_IbLb1EEEEDaS17_S18_EUlS17_E_NS1_11comp_targetILNS1_3genE3ELNS1_11target_archE908ELNS1_3gpuE7ELNS1_3repE0EEENS1_30default_config_static_selectorELNS0_4arch9wavefront6targetE1EEEvT1_,"axG",@progbits,_ZN7rocprim17ROCPRIM_400000_NS6detail17trampoline_kernelINS0_14default_configENS1_25partition_config_selectorILNS1_17partition_subalgoE8ElNS0_10empty_typeEbEEZZNS1_14partition_implILS5_8ELb0ES3_jPlPS6_PKS6_NS0_5tupleIJS9_S6_EEENSD_IJSA_SA_EEENS0_18inequality_wrapperIZN2at6native12_GLOBAL__N_124unique_dim_cuda_templateImEESt5tupleIJNSH_6TensorESM_SM_EERKSM_lbbbEUlllE0_EEPmJS6_EEE10hipError_tPvRmT3_T4_T5_T6_T7_T9_mT8_P12ihipStream_tbDpT10_ENKUlT_T0_E_clISt17integral_constantIbLb0EES1B_IbLb1EEEEDaS17_S18_EUlS17_E_NS1_11comp_targetILNS1_3genE3ELNS1_11target_archE908ELNS1_3gpuE7ELNS1_3repE0EEENS1_30default_config_static_selectorELNS0_4arch9wavefront6targetE1EEEvT1_,comdat
.Lfunc_end1688:
	.size	_ZN7rocprim17ROCPRIM_400000_NS6detail17trampoline_kernelINS0_14default_configENS1_25partition_config_selectorILNS1_17partition_subalgoE8ElNS0_10empty_typeEbEEZZNS1_14partition_implILS5_8ELb0ES3_jPlPS6_PKS6_NS0_5tupleIJS9_S6_EEENSD_IJSA_SA_EEENS0_18inequality_wrapperIZN2at6native12_GLOBAL__N_124unique_dim_cuda_templateImEESt5tupleIJNSH_6TensorESM_SM_EERKSM_lbbbEUlllE0_EEPmJS6_EEE10hipError_tPvRmT3_T4_T5_T6_T7_T9_mT8_P12ihipStream_tbDpT10_ENKUlT_T0_E_clISt17integral_constantIbLb0EES1B_IbLb1EEEEDaS17_S18_EUlS17_E_NS1_11comp_targetILNS1_3genE3ELNS1_11target_archE908ELNS1_3gpuE7ELNS1_3repE0EEENS1_30default_config_static_selectorELNS0_4arch9wavefront6targetE1EEEvT1_, .Lfunc_end1688-_ZN7rocprim17ROCPRIM_400000_NS6detail17trampoline_kernelINS0_14default_configENS1_25partition_config_selectorILNS1_17partition_subalgoE8ElNS0_10empty_typeEbEEZZNS1_14partition_implILS5_8ELb0ES3_jPlPS6_PKS6_NS0_5tupleIJS9_S6_EEENSD_IJSA_SA_EEENS0_18inequality_wrapperIZN2at6native12_GLOBAL__N_124unique_dim_cuda_templateImEESt5tupleIJNSH_6TensorESM_SM_EERKSM_lbbbEUlllE0_EEPmJS6_EEE10hipError_tPvRmT3_T4_T5_T6_T7_T9_mT8_P12ihipStream_tbDpT10_ENKUlT_T0_E_clISt17integral_constantIbLb0EES1B_IbLb1EEEEDaS17_S18_EUlS17_E_NS1_11comp_targetILNS1_3genE3ELNS1_11target_archE908ELNS1_3gpuE7ELNS1_3repE0EEENS1_30default_config_static_selectorELNS0_4arch9wavefront6targetE1EEEvT1_
                                        ; -- End function
	.section	.AMDGPU.csdata,"",@progbits
; Kernel info:
; codeLenInByte = 0
; NumSgprs: 4
; NumVgprs: 0
; NumAgprs: 0
; TotalNumVgprs: 0
; ScratchSize: 0
; MemoryBound: 0
; FloatMode: 240
; IeeeMode: 1
; LDSByteSize: 0 bytes/workgroup (compile time only)
; SGPRBlocks: 0
; VGPRBlocks: 0
; NumSGPRsForWavesPerEU: 4
; NumVGPRsForWavesPerEU: 1
; AccumOffset: 4
; Occupancy: 8
; WaveLimiterHint : 0
; COMPUTE_PGM_RSRC2:SCRATCH_EN: 0
; COMPUTE_PGM_RSRC2:USER_SGPR: 6
; COMPUTE_PGM_RSRC2:TRAP_HANDLER: 0
; COMPUTE_PGM_RSRC2:TGID_X_EN: 1
; COMPUTE_PGM_RSRC2:TGID_Y_EN: 0
; COMPUTE_PGM_RSRC2:TGID_Z_EN: 0
; COMPUTE_PGM_RSRC2:TIDIG_COMP_CNT: 0
; COMPUTE_PGM_RSRC3_GFX90A:ACCUM_OFFSET: 0
; COMPUTE_PGM_RSRC3_GFX90A:TG_SPLIT: 0
	.section	.text._ZN7rocprim17ROCPRIM_400000_NS6detail17trampoline_kernelINS0_14default_configENS1_25partition_config_selectorILNS1_17partition_subalgoE8ElNS0_10empty_typeEbEEZZNS1_14partition_implILS5_8ELb0ES3_jPlPS6_PKS6_NS0_5tupleIJS9_S6_EEENSD_IJSA_SA_EEENS0_18inequality_wrapperIZN2at6native12_GLOBAL__N_124unique_dim_cuda_templateImEESt5tupleIJNSH_6TensorESM_SM_EERKSM_lbbbEUlllE0_EEPmJS6_EEE10hipError_tPvRmT3_T4_T5_T6_T7_T9_mT8_P12ihipStream_tbDpT10_ENKUlT_T0_E_clISt17integral_constantIbLb0EES1B_IbLb1EEEEDaS17_S18_EUlS17_E_NS1_11comp_targetILNS1_3genE2ELNS1_11target_archE906ELNS1_3gpuE6ELNS1_3repE0EEENS1_30default_config_static_selectorELNS0_4arch9wavefront6targetE1EEEvT1_,"axG",@progbits,_ZN7rocprim17ROCPRIM_400000_NS6detail17trampoline_kernelINS0_14default_configENS1_25partition_config_selectorILNS1_17partition_subalgoE8ElNS0_10empty_typeEbEEZZNS1_14partition_implILS5_8ELb0ES3_jPlPS6_PKS6_NS0_5tupleIJS9_S6_EEENSD_IJSA_SA_EEENS0_18inequality_wrapperIZN2at6native12_GLOBAL__N_124unique_dim_cuda_templateImEESt5tupleIJNSH_6TensorESM_SM_EERKSM_lbbbEUlllE0_EEPmJS6_EEE10hipError_tPvRmT3_T4_T5_T6_T7_T9_mT8_P12ihipStream_tbDpT10_ENKUlT_T0_E_clISt17integral_constantIbLb0EES1B_IbLb1EEEEDaS17_S18_EUlS17_E_NS1_11comp_targetILNS1_3genE2ELNS1_11target_archE906ELNS1_3gpuE6ELNS1_3repE0EEENS1_30default_config_static_selectorELNS0_4arch9wavefront6targetE1EEEvT1_,comdat
	.globl	_ZN7rocprim17ROCPRIM_400000_NS6detail17trampoline_kernelINS0_14default_configENS1_25partition_config_selectorILNS1_17partition_subalgoE8ElNS0_10empty_typeEbEEZZNS1_14partition_implILS5_8ELb0ES3_jPlPS6_PKS6_NS0_5tupleIJS9_S6_EEENSD_IJSA_SA_EEENS0_18inequality_wrapperIZN2at6native12_GLOBAL__N_124unique_dim_cuda_templateImEESt5tupleIJNSH_6TensorESM_SM_EERKSM_lbbbEUlllE0_EEPmJS6_EEE10hipError_tPvRmT3_T4_T5_T6_T7_T9_mT8_P12ihipStream_tbDpT10_ENKUlT_T0_E_clISt17integral_constantIbLb0EES1B_IbLb1EEEEDaS17_S18_EUlS17_E_NS1_11comp_targetILNS1_3genE2ELNS1_11target_archE906ELNS1_3gpuE6ELNS1_3repE0EEENS1_30default_config_static_selectorELNS0_4arch9wavefront6targetE1EEEvT1_ ; -- Begin function _ZN7rocprim17ROCPRIM_400000_NS6detail17trampoline_kernelINS0_14default_configENS1_25partition_config_selectorILNS1_17partition_subalgoE8ElNS0_10empty_typeEbEEZZNS1_14partition_implILS5_8ELb0ES3_jPlPS6_PKS6_NS0_5tupleIJS9_S6_EEENSD_IJSA_SA_EEENS0_18inequality_wrapperIZN2at6native12_GLOBAL__N_124unique_dim_cuda_templateImEESt5tupleIJNSH_6TensorESM_SM_EERKSM_lbbbEUlllE0_EEPmJS6_EEE10hipError_tPvRmT3_T4_T5_T6_T7_T9_mT8_P12ihipStream_tbDpT10_ENKUlT_T0_E_clISt17integral_constantIbLb0EES1B_IbLb1EEEEDaS17_S18_EUlS17_E_NS1_11comp_targetILNS1_3genE2ELNS1_11target_archE906ELNS1_3gpuE6ELNS1_3repE0EEENS1_30default_config_static_selectorELNS0_4arch9wavefront6targetE1EEEvT1_
	.p2align	8
	.type	_ZN7rocprim17ROCPRIM_400000_NS6detail17trampoline_kernelINS0_14default_configENS1_25partition_config_selectorILNS1_17partition_subalgoE8ElNS0_10empty_typeEbEEZZNS1_14partition_implILS5_8ELb0ES3_jPlPS6_PKS6_NS0_5tupleIJS9_S6_EEENSD_IJSA_SA_EEENS0_18inequality_wrapperIZN2at6native12_GLOBAL__N_124unique_dim_cuda_templateImEESt5tupleIJNSH_6TensorESM_SM_EERKSM_lbbbEUlllE0_EEPmJS6_EEE10hipError_tPvRmT3_T4_T5_T6_T7_T9_mT8_P12ihipStream_tbDpT10_ENKUlT_T0_E_clISt17integral_constantIbLb0EES1B_IbLb1EEEEDaS17_S18_EUlS17_E_NS1_11comp_targetILNS1_3genE2ELNS1_11target_archE906ELNS1_3gpuE6ELNS1_3repE0EEENS1_30default_config_static_selectorELNS0_4arch9wavefront6targetE1EEEvT1_,@function
_ZN7rocprim17ROCPRIM_400000_NS6detail17trampoline_kernelINS0_14default_configENS1_25partition_config_selectorILNS1_17partition_subalgoE8ElNS0_10empty_typeEbEEZZNS1_14partition_implILS5_8ELb0ES3_jPlPS6_PKS6_NS0_5tupleIJS9_S6_EEENSD_IJSA_SA_EEENS0_18inequality_wrapperIZN2at6native12_GLOBAL__N_124unique_dim_cuda_templateImEESt5tupleIJNSH_6TensorESM_SM_EERKSM_lbbbEUlllE0_EEPmJS6_EEE10hipError_tPvRmT3_T4_T5_T6_T7_T9_mT8_P12ihipStream_tbDpT10_ENKUlT_T0_E_clISt17integral_constantIbLb0EES1B_IbLb1EEEEDaS17_S18_EUlS17_E_NS1_11comp_targetILNS1_3genE2ELNS1_11target_archE906ELNS1_3gpuE6ELNS1_3repE0EEENS1_30default_config_static_selectorELNS0_4arch9wavefront6targetE1EEEvT1_: ; @_ZN7rocprim17ROCPRIM_400000_NS6detail17trampoline_kernelINS0_14default_configENS1_25partition_config_selectorILNS1_17partition_subalgoE8ElNS0_10empty_typeEbEEZZNS1_14partition_implILS5_8ELb0ES3_jPlPS6_PKS6_NS0_5tupleIJS9_S6_EEENSD_IJSA_SA_EEENS0_18inequality_wrapperIZN2at6native12_GLOBAL__N_124unique_dim_cuda_templateImEESt5tupleIJNSH_6TensorESM_SM_EERKSM_lbbbEUlllE0_EEPmJS6_EEE10hipError_tPvRmT3_T4_T5_T6_T7_T9_mT8_P12ihipStream_tbDpT10_ENKUlT_T0_E_clISt17integral_constantIbLb0EES1B_IbLb1EEEEDaS17_S18_EUlS17_E_NS1_11comp_targetILNS1_3genE2ELNS1_11target_archE906ELNS1_3gpuE6ELNS1_3repE0EEENS1_30default_config_static_selectorELNS0_4arch9wavefront6targetE1EEEvT1_
; %bb.0:
	.section	.rodata,"a",@progbits
	.p2align	6, 0x0
	.amdhsa_kernel _ZN7rocprim17ROCPRIM_400000_NS6detail17trampoline_kernelINS0_14default_configENS1_25partition_config_selectorILNS1_17partition_subalgoE8ElNS0_10empty_typeEbEEZZNS1_14partition_implILS5_8ELb0ES3_jPlPS6_PKS6_NS0_5tupleIJS9_S6_EEENSD_IJSA_SA_EEENS0_18inequality_wrapperIZN2at6native12_GLOBAL__N_124unique_dim_cuda_templateImEESt5tupleIJNSH_6TensorESM_SM_EERKSM_lbbbEUlllE0_EEPmJS6_EEE10hipError_tPvRmT3_T4_T5_T6_T7_T9_mT8_P12ihipStream_tbDpT10_ENKUlT_T0_E_clISt17integral_constantIbLb0EES1B_IbLb1EEEEDaS17_S18_EUlS17_E_NS1_11comp_targetILNS1_3genE2ELNS1_11target_archE906ELNS1_3gpuE6ELNS1_3repE0EEENS1_30default_config_static_selectorELNS0_4arch9wavefront6targetE1EEEvT1_
		.amdhsa_group_segment_fixed_size 0
		.amdhsa_private_segment_fixed_size 0
		.amdhsa_kernarg_size 136
		.amdhsa_user_sgpr_count 6
		.amdhsa_user_sgpr_private_segment_buffer 1
		.amdhsa_user_sgpr_dispatch_ptr 0
		.amdhsa_user_sgpr_queue_ptr 0
		.amdhsa_user_sgpr_kernarg_segment_ptr 1
		.amdhsa_user_sgpr_dispatch_id 0
		.amdhsa_user_sgpr_flat_scratch_init 0
		.amdhsa_user_sgpr_kernarg_preload_length 0
		.amdhsa_user_sgpr_kernarg_preload_offset 0
		.amdhsa_user_sgpr_private_segment_size 0
		.amdhsa_uses_dynamic_stack 0
		.amdhsa_system_sgpr_private_segment_wavefront_offset 0
		.amdhsa_system_sgpr_workgroup_id_x 1
		.amdhsa_system_sgpr_workgroup_id_y 0
		.amdhsa_system_sgpr_workgroup_id_z 0
		.amdhsa_system_sgpr_workgroup_info 0
		.amdhsa_system_vgpr_workitem_id 0
		.amdhsa_next_free_vgpr 1
		.amdhsa_next_free_sgpr 0
		.amdhsa_accum_offset 4
		.amdhsa_reserve_vcc 0
		.amdhsa_reserve_flat_scratch 0
		.amdhsa_float_round_mode_32 0
		.amdhsa_float_round_mode_16_64 0
		.amdhsa_float_denorm_mode_32 3
		.amdhsa_float_denorm_mode_16_64 3
		.amdhsa_dx10_clamp 1
		.amdhsa_ieee_mode 1
		.amdhsa_fp16_overflow 0
		.amdhsa_tg_split 0
		.amdhsa_exception_fp_ieee_invalid_op 0
		.amdhsa_exception_fp_denorm_src 0
		.amdhsa_exception_fp_ieee_div_zero 0
		.amdhsa_exception_fp_ieee_overflow 0
		.amdhsa_exception_fp_ieee_underflow 0
		.amdhsa_exception_fp_ieee_inexact 0
		.amdhsa_exception_int_div_zero 0
	.end_amdhsa_kernel
	.section	.text._ZN7rocprim17ROCPRIM_400000_NS6detail17trampoline_kernelINS0_14default_configENS1_25partition_config_selectorILNS1_17partition_subalgoE8ElNS0_10empty_typeEbEEZZNS1_14partition_implILS5_8ELb0ES3_jPlPS6_PKS6_NS0_5tupleIJS9_S6_EEENSD_IJSA_SA_EEENS0_18inequality_wrapperIZN2at6native12_GLOBAL__N_124unique_dim_cuda_templateImEESt5tupleIJNSH_6TensorESM_SM_EERKSM_lbbbEUlllE0_EEPmJS6_EEE10hipError_tPvRmT3_T4_T5_T6_T7_T9_mT8_P12ihipStream_tbDpT10_ENKUlT_T0_E_clISt17integral_constantIbLb0EES1B_IbLb1EEEEDaS17_S18_EUlS17_E_NS1_11comp_targetILNS1_3genE2ELNS1_11target_archE906ELNS1_3gpuE6ELNS1_3repE0EEENS1_30default_config_static_selectorELNS0_4arch9wavefront6targetE1EEEvT1_,"axG",@progbits,_ZN7rocprim17ROCPRIM_400000_NS6detail17trampoline_kernelINS0_14default_configENS1_25partition_config_selectorILNS1_17partition_subalgoE8ElNS0_10empty_typeEbEEZZNS1_14partition_implILS5_8ELb0ES3_jPlPS6_PKS6_NS0_5tupleIJS9_S6_EEENSD_IJSA_SA_EEENS0_18inequality_wrapperIZN2at6native12_GLOBAL__N_124unique_dim_cuda_templateImEESt5tupleIJNSH_6TensorESM_SM_EERKSM_lbbbEUlllE0_EEPmJS6_EEE10hipError_tPvRmT3_T4_T5_T6_T7_T9_mT8_P12ihipStream_tbDpT10_ENKUlT_T0_E_clISt17integral_constantIbLb0EES1B_IbLb1EEEEDaS17_S18_EUlS17_E_NS1_11comp_targetILNS1_3genE2ELNS1_11target_archE906ELNS1_3gpuE6ELNS1_3repE0EEENS1_30default_config_static_selectorELNS0_4arch9wavefront6targetE1EEEvT1_,comdat
.Lfunc_end1689:
	.size	_ZN7rocprim17ROCPRIM_400000_NS6detail17trampoline_kernelINS0_14default_configENS1_25partition_config_selectorILNS1_17partition_subalgoE8ElNS0_10empty_typeEbEEZZNS1_14partition_implILS5_8ELb0ES3_jPlPS6_PKS6_NS0_5tupleIJS9_S6_EEENSD_IJSA_SA_EEENS0_18inequality_wrapperIZN2at6native12_GLOBAL__N_124unique_dim_cuda_templateImEESt5tupleIJNSH_6TensorESM_SM_EERKSM_lbbbEUlllE0_EEPmJS6_EEE10hipError_tPvRmT3_T4_T5_T6_T7_T9_mT8_P12ihipStream_tbDpT10_ENKUlT_T0_E_clISt17integral_constantIbLb0EES1B_IbLb1EEEEDaS17_S18_EUlS17_E_NS1_11comp_targetILNS1_3genE2ELNS1_11target_archE906ELNS1_3gpuE6ELNS1_3repE0EEENS1_30default_config_static_selectorELNS0_4arch9wavefront6targetE1EEEvT1_, .Lfunc_end1689-_ZN7rocprim17ROCPRIM_400000_NS6detail17trampoline_kernelINS0_14default_configENS1_25partition_config_selectorILNS1_17partition_subalgoE8ElNS0_10empty_typeEbEEZZNS1_14partition_implILS5_8ELb0ES3_jPlPS6_PKS6_NS0_5tupleIJS9_S6_EEENSD_IJSA_SA_EEENS0_18inequality_wrapperIZN2at6native12_GLOBAL__N_124unique_dim_cuda_templateImEESt5tupleIJNSH_6TensorESM_SM_EERKSM_lbbbEUlllE0_EEPmJS6_EEE10hipError_tPvRmT3_T4_T5_T6_T7_T9_mT8_P12ihipStream_tbDpT10_ENKUlT_T0_E_clISt17integral_constantIbLb0EES1B_IbLb1EEEEDaS17_S18_EUlS17_E_NS1_11comp_targetILNS1_3genE2ELNS1_11target_archE906ELNS1_3gpuE6ELNS1_3repE0EEENS1_30default_config_static_selectorELNS0_4arch9wavefront6targetE1EEEvT1_
                                        ; -- End function
	.section	.AMDGPU.csdata,"",@progbits
; Kernel info:
; codeLenInByte = 0
; NumSgprs: 4
; NumVgprs: 0
; NumAgprs: 0
; TotalNumVgprs: 0
; ScratchSize: 0
; MemoryBound: 0
; FloatMode: 240
; IeeeMode: 1
; LDSByteSize: 0 bytes/workgroup (compile time only)
; SGPRBlocks: 0
; VGPRBlocks: 0
; NumSGPRsForWavesPerEU: 4
; NumVGPRsForWavesPerEU: 1
; AccumOffset: 4
; Occupancy: 8
; WaveLimiterHint : 0
; COMPUTE_PGM_RSRC2:SCRATCH_EN: 0
; COMPUTE_PGM_RSRC2:USER_SGPR: 6
; COMPUTE_PGM_RSRC2:TRAP_HANDLER: 0
; COMPUTE_PGM_RSRC2:TGID_X_EN: 1
; COMPUTE_PGM_RSRC2:TGID_Y_EN: 0
; COMPUTE_PGM_RSRC2:TGID_Z_EN: 0
; COMPUTE_PGM_RSRC2:TIDIG_COMP_CNT: 0
; COMPUTE_PGM_RSRC3_GFX90A:ACCUM_OFFSET: 0
; COMPUTE_PGM_RSRC3_GFX90A:TG_SPLIT: 0
	.section	.text._ZN7rocprim17ROCPRIM_400000_NS6detail17trampoline_kernelINS0_14default_configENS1_25partition_config_selectorILNS1_17partition_subalgoE8ElNS0_10empty_typeEbEEZZNS1_14partition_implILS5_8ELb0ES3_jPlPS6_PKS6_NS0_5tupleIJS9_S6_EEENSD_IJSA_SA_EEENS0_18inequality_wrapperIZN2at6native12_GLOBAL__N_124unique_dim_cuda_templateImEESt5tupleIJNSH_6TensorESM_SM_EERKSM_lbbbEUlllE0_EEPmJS6_EEE10hipError_tPvRmT3_T4_T5_T6_T7_T9_mT8_P12ihipStream_tbDpT10_ENKUlT_T0_E_clISt17integral_constantIbLb0EES1B_IbLb1EEEEDaS17_S18_EUlS17_E_NS1_11comp_targetILNS1_3genE10ELNS1_11target_archE1200ELNS1_3gpuE4ELNS1_3repE0EEENS1_30default_config_static_selectorELNS0_4arch9wavefront6targetE1EEEvT1_,"axG",@progbits,_ZN7rocprim17ROCPRIM_400000_NS6detail17trampoline_kernelINS0_14default_configENS1_25partition_config_selectorILNS1_17partition_subalgoE8ElNS0_10empty_typeEbEEZZNS1_14partition_implILS5_8ELb0ES3_jPlPS6_PKS6_NS0_5tupleIJS9_S6_EEENSD_IJSA_SA_EEENS0_18inequality_wrapperIZN2at6native12_GLOBAL__N_124unique_dim_cuda_templateImEESt5tupleIJNSH_6TensorESM_SM_EERKSM_lbbbEUlllE0_EEPmJS6_EEE10hipError_tPvRmT3_T4_T5_T6_T7_T9_mT8_P12ihipStream_tbDpT10_ENKUlT_T0_E_clISt17integral_constantIbLb0EES1B_IbLb1EEEEDaS17_S18_EUlS17_E_NS1_11comp_targetILNS1_3genE10ELNS1_11target_archE1200ELNS1_3gpuE4ELNS1_3repE0EEENS1_30default_config_static_selectorELNS0_4arch9wavefront6targetE1EEEvT1_,comdat
	.globl	_ZN7rocprim17ROCPRIM_400000_NS6detail17trampoline_kernelINS0_14default_configENS1_25partition_config_selectorILNS1_17partition_subalgoE8ElNS0_10empty_typeEbEEZZNS1_14partition_implILS5_8ELb0ES3_jPlPS6_PKS6_NS0_5tupleIJS9_S6_EEENSD_IJSA_SA_EEENS0_18inequality_wrapperIZN2at6native12_GLOBAL__N_124unique_dim_cuda_templateImEESt5tupleIJNSH_6TensorESM_SM_EERKSM_lbbbEUlllE0_EEPmJS6_EEE10hipError_tPvRmT3_T4_T5_T6_T7_T9_mT8_P12ihipStream_tbDpT10_ENKUlT_T0_E_clISt17integral_constantIbLb0EES1B_IbLb1EEEEDaS17_S18_EUlS17_E_NS1_11comp_targetILNS1_3genE10ELNS1_11target_archE1200ELNS1_3gpuE4ELNS1_3repE0EEENS1_30default_config_static_selectorELNS0_4arch9wavefront6targetE1EEEvT1_ ; -- Begin function _ZN7rocprim17ROCPRIM_400000_NS6detail17trampoline_kernelINS0_14default_configENS1_25partition_config_selectorILNS1_17partition_subalgoE8ElNS0_10empty_typeEbEEZZNS1_14partition_implILS5_8ELb0ES3_jPlPS6_PKS6_NS0_5tupleIJS9_S6_EEENSD_IJSA_SA_EEENS0_18inequality_wrapperIZN2at6native12_GLOBAL__N_124unique_dim_cuda_templateImEESt5tupleIJNSH_6TensorESM_SM_EERKSM_lbbbEUlllE0_EEPmJS6_EEE10hipError_tPvRmT3_T4_T5_T6_T7_T9_mT8_P12ihipStream_tbDpT10_ENKUlT_T0_E_clISt17integral_constantIbLb0EES1B_IbLb1EEEEDaS17_S18_EUlS17_E_NS1_11comp_targetILNS1_3genE10ELNS1_11target_archE1200ELNS1_3gpuE4ELNS1_3repE0EEENS1_30default_config_static_selectorELNS0_4arch9wavefront6targetE1EEEvT1_
	.p2align	8
	.type	_ZN7rocprim17ROCPRIM_400000_NS6detail17trampoline_kernelINS0_14default_configENS1_25partition_config_selectorILNS1_17partition_subalgoE8ElNS0_10empty_typeEbEEZZNS1_14partition_implILS5_8ELb0ES3_jPlPS6_PKS6_NS0_5tupleIJS9_S6_EEENSD_IJSA_SA_EEENS0_18inequality_wrapperIZN2at6native12_GLOBAL__N_124unique_dim_cuda_templateImEESt5tupleIJNSH_6TensorESM_SM_EERKSM_lbbbEUlllE0_EEPmJS6_EEE10hipError_tPvRmT3_T4_T5_T6_T7_T9_mT8_P12ihipStream_tbDpT10_ENKUlT_T0_E_clISt17integral_constantIbLb0EES1B_IbLb1EEEEDaS17_S18_EUlS17_E_NS1_11comp_targetILNS1_3genE10ELNS1_11target_archE1200ELNS1_3gpuE4ELNS1_3repE0EEENS1_30default_config_static_selectorELNS0_4arch9wavefront6targetE1EEEvT1_,@function
_ZN7rocprim17ROCPRIM_400000_NS6detail17trampoline_kernelINS0_14default_configENS1_25partition_config_selectorILNS1_17partition_subalgoE8ElNS0_10empty_typeEbEEZZNS1_14partition_implILS5_8ELb0ES3_jPlPS6_PKS6_NS0_5tupleIJS9_S6_EEENSD_IJSA_SA_EEENS0_18inequality_wrapperIZN2at6native12_GLOBAL__N_124unique_dim_cuda_templateImEESt5tupleIJNSH_6TensorESM_SM_EERKSM_lbbbEUlllE0_EEPmJS6_EEE10hipError_tPvRmT3_T4_T5_T6_T7_T9_mT8_P12ihipStream_tbDpT10_ENKUlT_T0_E_clISt17integral_constantIbLb0EES1B_IbLb1EEEEDaS17_S18_EUlS17_E_NS1_11comp_targetILNS1_3genE10ELNS1_11target_archE1200ELNS1_3gpuE4ELNS1_3repE0EEENS1_30default_config_static_selectorELNS0_4arch9wavefront6targetE1EEEvT1_: ; @_ZN7rocprim17ROCPRIM_400000_NS6detail17trampoline_kernelINS0_14default_configENS1_25partition_config_selectorILNS1_17partition_subalgoE8ElNS0_10empty_typeEbEEZZNS1_14partition_implILS5_8ELb0ES3_jPlPS6_PKS6_NS0_5tupleIJS9_S6_EEENSD_IJSA_SA_EEENS0_18inequality_wrapperIZN2at6native12_GLOBAL__N_124unique_dim_cuda_templateImEESt5tupleIJNSH_6TensorESM_SM_EERKSM_lbbbEUlllE0_EEPmJS6_EEE10hipError_tPvRmT3_T4_T5_T6_T7_T9_mT8_P12ihipStream_tbDpT10_ENKUlT_T0_E_clISt17integral_constantIbLb0EES1B_IbLb1EEEEDaS17_S18_EUlS17_E_NS1_11comp_targetILNS1_3genE10ELNS1_11target_archE1200ELNS1_3gpuE4ELNS1_3repE0EEENS1_30default_config_static_selectorELNS0_4arch9wavefront6targetE1EEEvT1_
; %bb.0:
	.section	.rodata,"a",@progbits
	.p2align	6, 0x0
	.amdhsa_kernel _ZN7rocprim17ROCPRIM_400000_NS6detail17trampoline_kernelINS0_14default_configENS1_25partition_config_selectorILNS1_17partition_subalgoE8ElNS0_10empty_typeEbEEZZNS1_14partition_implILS5_8ELb0ES3_jPlPS6_PKS6_NS0_5tupleIJS9_S6_EEENSD_IJSA_SA_EEENS0_18inequality_wrapperIZN2at6native12_GLOBAL__N_124unique_dim_cuda_templateImEESt5tupleIJNSH_6TensorESM_SM_EERKSM_lbbbEUlllE0_EEPmJS6_EEE10hipError_tPvRmT3_T4_T5_T6_T7_T9_mT8_P12ihipStream_tbDpT10_ENKUlT_T0_E_clISt17integral_constantIbLb0EES1B_IbLb1EEEEDaS17_S18_EUlS17_E_NS1_11comp_targetILNS1_3genE10ELNS1_11target_archE1200ELNS1_3gpuE4ELNS1_3repE0EEENS1_30default_config_static_selectorELNS0_4arch9wavefront6targetE1EEEvT1_
		.amdhsa_group_segment_fixed_size 0
		.amdhsa_private_segment_fixed_size 0
		.amdhsa_kernarg_size 136
		.amdhsa_user_sgpr_count 6
		.amdhsa_user_sgpr_private_segment_buffer 1
		.amdhsa_user_sgpr_dispatch_ptr 0
		.amdhsa_user_sgpr_queue_ptr 0
		.amdhsa_user_sgpr_kernarg_segment_ptr 1
		.amdhsa_user_sgpr_dispatch_id 0
		.amdhsa_user_sgpr_flat_scratch_init 0
		.amdhsa_user_sgpr_kernarg_preload_length 0
		.amdhsa_user_sgpr_kernarg_preload_offset 0
		.amdhsa_user_sgpr_private_segment_size 0
		.amdhsa_uses_dynamic_stack 0
		.amdhsa_system_sgpr_private_segment_wavefront_offset 0
		.amdhsa_system_sgpr_workgroup_id_x 1
		.amdhsa_system_sgpr_workgroup_id_y 0
		.amdhsa_system_sgpr_workgroup_id_z 0
		.amdhsa_system_sgpr_workgroup_info 0
		.amdhsa_system_vgpr_workitem_id 0
		.amdhsa_next_free_vgpr 1
		.amdhsa_next_free_sgpr 0
		.amdhsa_accum_offset 4
		.amdhsa_reserve_vcc 0
		.amdhsa_reserve_flat_scratch 0
		.amdhsa_float_round_mode_32 0
		.amdhsa_float_round_mode_16_64 0
		.amdhsa_float_denorm_mode_32 3
		.amdhsa_float_denorm_mode_16_64 3
		.amdhsa_dx10_clamp 1
		.amdhsa_ieee_mode 1
		.amdhsa_fp16_overflow 0
		.amdhsa_tg_split 0
		.amdhsa_exception_fp_ieee_invalid_op 0
		.amdhsa_exception_fp_denorm_src 0
		.amdhsa_exception_fp_ieee_div_zero 0
		.amdhsa_exception_fp_ieee_overflow 0
		.amdhsa_exception_fp_ieee_underflow 0
		.amdhsa_exception_fp_ieee_inexact 0
		.amdhsa_exception_int_div_zero 0
	.end_amdhsa_kernel
	.section	.text._ZN7rocprim17ROCPRIM_400000_NS6detail17trampoline_kernelINS0_14default_configENS1_25partition_config_selectorILNS1_17partition_subalgoE8ElNS0_10empty_typeEbEEZZNS1_14partition_implILS5_8ELb0ES3_jPlPS6_PKS6_NS0_5tupleIJS9_S6_EEENSD_IJSA_SA_EEENS0_18inequality_wrapperIZN2at6native12_GLOBAL__N_124unique_dim_cuda_templateImEESt5tupleIJNSH_6TensorESM_SM_EERKSM_lbbbEUlllE0_EEPmJS6_EEE10hipError_tPvRmT3_T4_T5_T6_T7_T9_mT8_P12ihipStream_tbDpT10_ENKUlT_T0_E_clISt17integral_constantIbLb0EES1B_IbLb1EEEEDaS17_S18_EUlS17_E_NS1_11comp_targetILNS1_3genE10ELNS1_11target_archE1200ELNS1_3gpuE4ELNS1_3repE0EEENS1_30default_config_static_selectorELNS0_4arch9wavefront6targetE1EEEvT1_,"axG",@progbits,_ZN7rocprim17ROCPRIM_400000_NS6detail17trampoline_kernelINS0_14default_configENS1_25partition_config_selectorILNS1_17partition_subalgoE8ElNS0_10empty_typeEbEEZZNS1_14partition_implILS5_8ELb0ES3_jPlPS6_PKS6_NS0_5tupleIJS9_S6_EEENSD_IJSA_SA_EEENS0_18inequality_wrapperIZN2at6native12_GLOBAL__N_124unique_dim_cuda_templateImEESt5tupleIJNSH_6TensorESM_SM_EERKSM_lbbbEUlllE0_EEPmJS6_EEE10hipError_tPvRmT3_T4_T5_T6_T7_T9_mT8_P12ihipStream_tbDpT10_ENKUlT_T0_E_clISt17integral_constantIbLb0EES1B_IbLb1EEEEDaS17_S18_EUlS17_E_NS1_11comp_targetILNS1_3genE10ELNS1_11target_archE1200ELNS1_3gpuE4ELNS1_3repE0EEENS1_30default_config_static_selectorELNS0_4arch9wavefront6targetE1EEEvT1_,comdat
.Lfunc_end1690:
	.size	_ZN7rocprim17ROCPRIM_400000_NS6detail17trampoline_kernelINS0_14default_configENS1_25partition_config_selectorILNS1_17partition_subalgoE8ElNS0_10empty_typeEbEEZZNS1_14partition_implILS5_8ELb0ES3_jPlPS6_PKS6_NS0_5tupleIJS9_S6_EEENSD_IJSA_SA_EEENS0_18inequality_wrapperIZN2at6native12_GLOBAL__N_124unique_dim_cuda_templateImEESt5tupleIJNSH_6TensorESM_SM_EERKSM_lbbbEUlllE0_EEPmJS6_EEE10hipError_tPvRmT3_T4_T5_T6_T7_T9_mT8_P12ihipStream_tbDpT10_ENKUlT_T0_E_clISt17integral_constantIbLb0EES1B_IbLb1EEEEDaS17_S18_EUlS17_E_NS1_11comp_targetILNS1_3genE10ELNS1_11target_archE1200ELNS1_3gpuE4ELNS1_3repE0EEENS1_30default_config_static_selectorELNS0_4arch9wavefront6targetE1EEEvT1_, .Lfunc_end1690-_ZN7rocprim17ROCPRIM_400000_NS6detail17trampoline_kernelINS0_14default_configENS1_25partition_config_selectorILNS1_17partition_subalgoE8ElNS0_10empty_typeEbEEZZNS1_14partition_implILS5_8ELb0ES3_jPlPS6_PKS6_NS0_5tupleIJS9_S6_EEENSD_IJSA_SA_EEENS0_18inequality_wrapperIZN2at6native12_GLOBAL__N_124unique_dim_cuda_templateImEESt5tupleIJNSH_6TensorESM_SM_EERKSM_lbbbEUlllE0_EEPmJS6_EEE10hipError_tPvRmT3_T4_T5_T6_T7_T9_mT8_P12ihipStream_tbDpT10_ENKUlT_T0_E_clISt17integral_constantIbLb0EES1B_IbLb1EEEEDaS17_S18_EUlS17_E_NS1_11comp_targetILNS1_3genE10ELNS1_11target_archE1200ELNS1_3gpuE4ELNS1_3repE0EEENS1_30default_config_static_selectorELNS0_4arch9wavefront6targetE1EEEvT1_
                                        ; -- End function
	.section	.AMDGPU.csdata,"",@progbits
; Kernel info:
; codeLenInByte = 0
; NumSgprs: 4
; NumVgprs: 0
; NumAgprs: 0
; TotalNumVgprs: 0
; ScratchSize: 0
; MemoryBound: 0
; FloatMode: 240
; IeeeMode: 1
; LDSByteSize: 0 bytes/workgroup (compile time only)
; SGPRBlocks: 0
; VGPRBlocks: 0
; NumSGPRsForWavesPerEU: 4
; NumVGPRsForWavesPerEU: 1
; AccumOffset: 4
; Occupancy: 8
; WaveLimiterHint : 0
; COMPUTE_PGM_RSRC2:SCRATCH_EN: 0
; COMPUTE_PGM_RSRC2:USER_SGPR: 6
; COMPUTE_PGM_RSRC2:TRAP_HANDLER: 0
; COMPUTE_PGM_RSRC2:TGID_X_EN: 1
; COMPUTE_PGM_RSRC2:TGID_Y_EN: 0
; COMPUTE_PGM_RSRC2:TGID_Z_EN: 0
; COMPUTE_PGM_RSRC2:TIDIG_COMP_CNT: 0
; COMPUTE_PGM_RSRC3_GFX90A:ACCUM_OFFSET: 0
; COMPUTE_PGM_RSRC3_GFX90A:TG_SPLIT: 0
	.section	.text._ZN7rocprim17ROCPRIM_400000_NS6detail17trampoline_kernelINS0_14default_configENS1_25partition_config_selectorILNS1_17partition_subalgoE8ElNS0_10empty_typeEbEEZZNS1_14partition_implILS5_8ELb0ES3_jPlPS6_PKS6_NS0_5tupleIJS9_S6_EEENSD_IJSA_SA_EEENS0_18inequality_wrapperIZN2at6native12_GLOBAL__N_124unique_dim_cuda_templateImEESt5tupleIJNSH_6TensorESM_SM_EERKSM_lbbbEUlllE0_EEPmJS6_EEE10hipError_tPvRmT3_T4_T5_T6_T7_T9_mT8_P12ihipStream_tbDpT10_ENKUlT_T0_E_clISt17integral_constantIbLb0EES1B_IbLb1EEEEDaS17_S18_EUlS17_E_NS1_11comp_targetILNS1_3genE9ELNS1_11target_archE1100ELNS1_3gpuE3ELNS1_3repE0EEENS1_30default_config_static_selectorELNS0_4arch9wavefront6targetE1EEEvT1_,"axG",@progbits,_ZN7rocprim17ROCPRIM_400000_NS6detail17trampoline_kernelINS0_14default_configENS1_25partition_config_selectorILNS1_17partition_subalgoE8ElNS0_10empty_typeEbEEZZNS1_14partition_implILS5_8ELb0ES3_jPlPS6_PKS6_NS0_5tupleIJS9_S6_EEENSD_IJSA_SA_EEENS0_18inequality_wrapperIZN2at6native12_GLOBAL__N_124unique_dim_cuda_templateImEESt5tupleIJNSH_6TensorESM_SM_EERKSM_lbbbEUlllE0_EEPmJS6_EEE10hipError_tPvRmT3_T4_T5_T6_T7_T9_mT8_P12ihipStream_tbDpT10_ENKUlT_T0_E_clISt17integral_constantIbLb0EES1B_IbLb1EEEEDaS17_S18_EUlS17_E_NS1_11comp_targetILNS1_3genE9ELNS1_11target_archE1100ELNS1_3gpuE3ELNS1_3repE0EEENS1_30default_config_static_selectorELNS0_4arch9wavefront6targetE1EEEvT1_,comdat
	.globl	_ZN7rocprim17ROCPRIM_400000_NS6detail17trampoline_kernelINS0_14default_configENS1_25partition_config_selectorILNS1_17partition_subalgoE8ElNS0_10empty_typeEbEEZZNS1_14partition_implILS5_8ELb0ES3_jPlPS6_PKS6_NS0_5tupleIJS9_S6_EEENSD_IJSA_SA_EEENS0_18inequality_wrapperIZN2at6native12_GLOBAL__N_124unique_dim_cuda_templateImEESt5tupleIJNSH_6TensorESM_SM_EERKSM_lbbbEUlllE0_EEPmJS6_EEE10hipError_tPvRmT3_T4_T5_T6_T7_T9_mT8_P12ihipStream_tbDpT10_ENKUlT_T0_E_clISt17integral_constantIbLb0EES1B_IbLb1EEEEDaS17_S18_EUlS17_E_NS1_11comp_targetILNS1_3genE9ELNS1_11target_archE1100ELNS1_3gpuE3ELNS1_3repE0EEENS1_30default_config_static_selectorELNS0_4arch9wavefront6targetE1EEEvT1_ ; -- Begin function _ZN7rocprim17ROCPRIM_400000_NS6detail17trampoline_kernelINS0_14default_configENS1_25partition_config_selectorILNS1_17partition_subalgoE8ElNS0_10empty_typeEbEEZZNS1_14partition_implILS5_8ELb0ES3_jPlPS6_PKS6_NS0_5tupleIJS9_S6_EEENSD_IJSA_SA_EEENS0_18inequality_wrapperIZN2at6native12_GLOBAL__N_124unique_dim_cuda_templateImEESt5tupleIJNSH_6TensorESM_SM_EERKSM_lbbbEUlllE0_EEPmJS6_EEE10hipError_tPvRmT3_T4_T5_T6_T7_T9_mT8_P12ihipStream_tbDpT10_ENKUlT_T0_E_clISt17integral_constantIbLb0EES1B_IbLb1EEEEDaS17_S18_EUlS17_E_NS1_11comp_targetILNS1_3genE9ELNS1_11target_archE1100ELNS1_3gpuE3ELNS1_3repE0EEENS1_30default_config_static_selectorELNS0_4arch9wavefront6targetE1EEEvT1_
	.p2align	8
	.type	_ZN7rocprim17ROCPRIM_400000_NS6detail17trampoline_kernelINS0_14default_configENS1_25partition_config_selectorILNS1_17partition_subalgoE8ElNS0_10empty_typeEbEEZZNS1_14partition_implILS5_8ELb0ES3_jPlPS6_PKS6_NS0_5tupleIJS9_S6_EEENSD_IJSA_SA_EEENS0_18inequality_wrapperIZN2at6native12_GLOBAL__N_124unique_dim_cuda_templateImEESt5tupleIJNSH_6TensorESM_SM_EERKSM_lbbbEUlllE0_EEPmJS6_EEE10hipError_tPvRmT3_T4_T5_T6_T7_T9_mT8_P12ihipStream_tbDpT10_ENKUlT_T0_E_clISt17integral_constantIbLb0EES1B_IbLb1EEEEDaS17_S18_EUlS17_E_NS1_11comp_targetILNS1_3genE9ELNS1_11target_archE1100ELNS1_3gpuE3ELNS1_3repE0EEENS1_30default_config_static_selectorELNS0_4arch9wavefront6targetE1EEEvT1_,@function
_ZN7rocprim17ROCPRIM_400000_NS6detail17trampoline_kernelINS0_14default_configENS1_25partition_config_selectorILNS1_17partition_subalgoE8ElNS0_10empty_typeEbEEZZNS1_14partition_implILS5_8ELb0ES3_jPlPS6_PKS6_NS0_5tupleIJS9_S6_EEENSD_IJSA_SA_EEENS0_18inequality_wrapperIZN2at6native12_GLOBAL__N_124unique_dim_cuda_templateImEESt5tupleIJNSH_6TensorESM_SM_EERKSM_lbbbEUlllE0_EEPmJS6_EEE10hipError_tPvRmT3_T4_T5_T6_T7_T9_mT8_P12ihipStream_tbDpT10_ENKUlT_T0_E_clISt17integral_constantIbLb0EES1B_IbLb1EEEEDaS17_S18_EUlS17_E_NS1_11comp_targetILNS1_3genE9ELNS1_11target_archE1100ELNS1_3gpuE3ELNS1_3repE0EEENS1_30default_config_static_selectorELNS0_4arch9wavefront6targetE1EEEvT1_: ; @_ZN7rocprim17ROCPRIM_400000_NS6detail17trampoline_kernelINS0_14default_configENS1_25partition_config_selectorILNS1_17partition_subalgoE8ElNS0_10empty_typeEbEEZZNS1_14partition_implILS5_8ELb0ES3_jPlPS6_PKS6_NS0_5tupleIJS9_S6_EEENSD_IJSA_SA_EEENS0_18inequality_wrapperIZN2at6native12_GLOBAL__N_124unique_dim_cuda_templateImEESt5tupleIJNSH_6TensorESM_SM_EERKSM_lbbbEUlllE0_EEPmJS6_EEE10hipError_tPvRmT3_T4_T5_T6_T7_T9_mT8_P12ihipStream_tbDpT10_ENKUlT_T0_E_clISt17integral_constantIbLb0EES1B_IbLb1EEEEDaS17_S18_EUlS17_E_NS1_11comp_targetILNS1_3genE9ELNS1_11target_archE1100ELNS1_3gpuE3ELNS1_3repE0EEENS1_30default_config_static_selectorELNS0_4arch9wavefront6targetE1EEEvT1_
; %bb.0:
	.section	.rodata,"a",@progbits
	.p2align	6, 0x0
	.amdhsa_kernel _ZN7rocprim17ROCPRIM_400000_NS6detail17trampoline_kernelINS0_14default_configENS1_25partition_config_selectorILNS1_17partition_subalgoE8ElNS0_10empty_typeEbEEZZNS1_14partition_implILS5_8ELb0ES3_jPlPS6_PKS6_NS0_5tupleIJS9_S6_EEENSD_IJSA_SA_EEENS0_18inequality_wrapperIZN2at6native12_GLOBAL__N_124unique_dim_cuda_templateImEESt5tupleIJNSH_6TensorESM_SM_EERKSM_lbbbEUlllE0_EEPmJS6_EEE10hipError_tPvRmT3_T4_T5_T6_T7_T9_mT8_P12ihipStream_tbDpT10_ENKUlT_T0_E_clISt17integral_constantIbLb0EES1B_IbLb1EEEEDaS17_S18_EUlS17_E_NS1_11comp_targetILNS1_3genE9ELNS1_11target_archE1100ELNS1_3gpuE3ELNS1_3repE0EEENS1_30default_config_static_selectorELNS0_4arch9wavefront6targetE1EEEvT1_
		.amdhsa_group_segment_fixed_size 0
		.amdhsa_private_segment_fixed_size 0
		.amdhsa_kernarg_size 136
		.amdhsa_user_sgpr_count 6
		.amdhsa_user_sgpr_private_segment_buffer 1
		.amdhsa_user_sgpr_dispatch_ptr 0
		.amdhsa_user_sgpr_queue_ptr 0
		.amdhsa_user_sgpr_kernarg_segment_ptr 1
		.amdhsa_user_sgpr_dispatch_id 0
		.amdhsa_user_sgpr_flat_scratch_init 0
		.amdhsa_user_sgpr_kernarg_preload_length 0
		.amdhsa_user_sgpr_kernarg_preload_offset 0
		.amdhsa_user_sgpr_private_segment_size 0
		.amdhsa_uses_dynamic_stack 0
		.amdhsa_system_sgpr_private_segment_wavefront_offset 0
		.amdhsa_system_sgpr_workgroup_id_x 1
		.amdhsa_system_sgpr_workgroup_id_y 0
		.amdhsa_system_sgpr_workgroup_id_z 0
		.amdhsa_system_sgpr_workgroup_info 0
		.amdhsa_system_vgpr_workitem_id 0
		.amdhsa_next_free_vgpr 1
		.amdhsa_next_free_sgpr 0
		.amdhsa_accum_offset 4
		.amdhsa_reserve_vcc 0
		.amdhsa_reserve_flat_scratch 0
		.amdhsa_float_round_mode_32 0
		.amdhsa_float_round_mode_16_64 0
		.amdhsa_float_denorm_mode_32 3
		.amdhsa_float_denorm_mode_16_64 3
		.amdhsa_dx10_clamp 1
		.amdhsa_ieee_mode 1
		.amdhsa_fp16_overflow 0
		.amdhsa_tg_split 0
		.amdhsa_exception_fp_ieee_invalid_op 0
		.amdhsa_exception_fp_denorm_src 0
		.amdhsa_exception_fp_ieee_div_zero 0
		.amdhsa_exception_fp_ieee_overflow 0
		.amdhsa_exception_fp_ieee_underflow 0
		.amdhsa_exception_fp_ieee_inexact 0
		.amdhsa_exception_int_div_zero 0
	.end_amdhsa_kernel
	.section	.text._ZN7rocprim17ROCPRIM_400000_NS6detail17trampoline_kernelINS0_14default_configENS1_25partition_config_selectorILNS1_17partition_subalgoE8ElNS0_10empty_typeEbEEZZNS1_14partition_implILS5_8ELb0ES3_jPlPS6_PKS6_NS0_5tupleIJS9_S6_EEENSD_IJSA_SA_EEENS0_18inequality_wrapperIZN2at6native12_GLOBAL__N_124unique_dim_cuda_templateImEESt5tupleIJNSH_6TensorESM_SM_EERKSM_lbbbEUlllE0_EEPmJS6_EEE10hipError_tPvRmT3_T4_T5_T6_T7_T9_mT8_P12ihipStream_tbDpT10_ENKUlT_T0_E_clISt17integral_constantIbLb0EES1B_IbLb1EEEEDaS17_S18_EUlS17_E_NS1_11comp_targetILNS1_3genE9ELNS1_11target_archE1100ELNS1_3gpuE3ELNS1_3repE0EEENS1_30default_config_static_selectorELNS0_4arch9wavefront6targetE1EEEvT1_,"axG",@progbits,_ZN7rocprim17ROCPRIM_400000_NS6detail17trampoline_kernelINS0_14default_configENS1_25partition_config_selectorILNS1_17partition_subalgoE8ElNS0_10empty_typeEbEEZZNS1_14partition_implILS5_8ELb0ES3_jPlPS6_PKS6_NS0_5tupleIJS9_S6_EEENSD_IJSA_SA_EEENS0_18inequality_wrapperIZN2at6native12_GLOBAL__N_124unique_dim_cuda_templateImEESt5tupleIJNSH_6TensorESM_SM_EERKSM_lbbbEUlllE0_EEPmJS6_EEE10hipError_tPvRmT3_T4_T5_T6_T7_T9_mT8_P12ihipStream_tbDpT10_ENKUlT_T0_E_clISt17integral_constantIbLb0EES1B_IbLb1EEEEDaS17_S18_EUlS17_E_NS1_11comp_targetILNS1_3genE9ELNS1_11target_archE1100ELNS1_3gpuE3ELNS1_3repE0EEENS1_30default_config_static_selectorELNS0_4arch9wavefront6targetE1EEEvT1_,comdat
.Lfunc_end1691:
	.size	_ZN7rocprim17ROCPRIM_400000_NS6detail17trampoline_kernelINS0_14default_configENS1_25partition_config_selectorILNS1_17partition_subalgoE8ElNS0_10empty_typeEbEEZZNS1_14partition_implILS5_8ELb0ES3_jPlPS6_PKS6_NS0_5tupleIJS9_S6_EEENSD_IJSA_SA_EEENS0_18inequality_wrapperIZN2at6native12_GLOBAL__N_124unique_dim_cuda_templateImEESt5tupleIJNSH_6TensorESM_SM_EERKSM_lbbbEUlllE0_EEPmJS6_EEE10hipError_tPvRmT3_T4_T5_T6_T7_T9_mT8_P12ihipStream_tbDpT10_ENKUlT_T0_E_clISt17integral_constantIbLb0EES1B_IbLb1EEEEDaS17_S18_EUlS17_E_NS1_11comp_targetILNS1_3genE9ELNS1_11target_archE1100ELNS1_3gpuE3ELNS1_3repE0EEENS1_30default_config_static_selectorELNS0_4arch9wavefront6targetE1EEEvT1_, .Lfunc_end1691-_ZN7rocprim17ROCPRIM_400000_NS6detail17trampoline_kernelINS0_14default_configENS1_25partition_config_selectorILNS1_17partition_subalgoE8ElNS0_10empty_typeEbEEZZNS1_14partition_implILS5_8ELb0ES3_jPlPS6_PKS6_NS0_5tupleIJS9_S6_EEENSD_IJSA_SA_EEENS0_18inequality_wrapperIZN2at6native12_GLOBAL__N_124unique_dim_cuda_templateImEESt5tupleIJNSH_6TensorESM_SM_EERKSM_lbbbEUlllE0_EEPmJS6_EEE10hipError_tPvRmT3_T4_T5_T6_T7_T9_mT8_P12ihipStream_tbDpT10_ENKUlT_T0_E_clISt17integral_constantIbLb0EES1B_IbLb1EEEEDaS17_S18_EUlS17_E_NS1_11comp_targetILNS1_3genE9ELNS1_11target_archE1100ELNS1_3gpuE3ELNS1_3repE0EEENS1_30default_config_static_selectorELNS0_4arch9wavefront6targetE1EEEvT1_
                                        ; -- End function
	.section	.AMDGPU.csdata,"",@progbits
; Kernel info:
; codeLenInByte = 0
; NumSgprs: 4
; NumVgprs: 0
; NumAgprs: 0
; TotalNumVgprs: 0
; ScratchSize: 0
; MemoryBound: 0
; FloatMode: 240
; IeeeMode: 1
; LDSByteSize: 0 bytes/workgroup (compile time only)
; SGPRBlocks: 0
; VGPRBlocks: 0
; NumSGPRsForWavesPerEU: 4
; NumVGPRsForWavesPerEU: 1
; AccumOffset: 4
; Occupancy: 8
; WaveLimiterHint : 0
; COMPUTE_PGM_RSRC2:SCRATCH_EN: 0
; COMPUTE_PGM_RSRC2:USER_SGPR: 6
; COMPUTE_PGM_RSRC2:TRAP_HANDLER: 0
; COMPUTE_PGM_RSRC2:TGID_X_EN: 1
; COMPUTE_PGM_RSRC2:TGID_Y_EN: 0
; COMPUTE_PGM_RSRC2:TGID_Z_EN: 0
; COMPUTE_PGM_RSRC2:TIDIG_COMP_CNT: 0
; COMPUTE_PGM_RSRC3_GFX90A:ACCUM_OFFSET: 0
; COMPUTE_PGM_RSRC3_GFX90A:TG_SPLIT: 0
	.section	.text._ZN7rocprim17ROCPRIM_400000_NS6detail17trampoline_kernelINS0_14default_configENS1_25partition_config_selectorILNS1_17partition_subalgoE8ElNS0_10empty_typeEbEEZZNS1_14partition_implILS5_8ELb0ES3_jPlPS6_PKS6_NS0_5tupleIJS9_S6_EEENSD_IJSA_SA_EEENS0_18inequality_wrapperIZN2at6native12_GLOBAL__N_124unique_dim_cuda_templateImEESt5tupleIJNSH_6TensorESM_SM_EERKSM_lbbbEUlllE0_EEPmJS6_EEE10hipError_tPvRmT3_T4_T5_T6_T7_T9_mT8_P12ihipStream_tbDpT10_ENKUlT_T0_E_clISt17integral_constantIbLb0EES1B_IbLb1EEEEDaS17_S18_EUlS17_E_NS1_11comp_targetILNS1_3genE8ELNS1_11target_archE1030ELNS1_3gpuE2ELNS1_3repE0EEENS1_30default_config_static_selectorELNS0_4arch9wavefront6targetE1EEEvT1_,"axG",@progbits,_ZN7rocprim17ROCPRIM_400000_NS6detail17trampoline_kernelINS0_14default_configENS1_25partition_config_selectorILNS1_17partition_subalgoE8ElNS0_10empty_typeEbEEZZNS1_14partition_implILS5_8ELb0ES3_jPlPS6_PKS6_NS0_5tupleIJS9_S6_EEENSD_IJSA_SA_EEENS0_18inequality_wrapperIZN2at6native12_GLOBAL__N_124unique_dim_cuda_templateImEESt5tupleIJNSH_6TensorESM_SM_EERKSM_lbbbEUlllE0_EEPmJS6_EEE10hipError_tPvRmT3_T4_T5_T6_T7_T9_mT8_P12ihipStream_tbDpT10_ENKUlT_T0_E_clISt17integral_constantIbLb0EES1B_IbLb1EEEEDaS17_S18_EUlS17_E_NS1_11comp_targetILNS1_3genE8ELNS1_11target_archE1030ELNS1_3gpuE2ELNS1_3repE0EEENS1_30default_config_static_selectorELNS0_4arch9wavefront6targetE1EEEvT1_,comdat
	.globl	_ZN7rocprim17ROCPRIM_400000_NS6detail17trampoline_kernelINS0_14default_configENS1_25partition_config_selectorILNS1_17partition_subalgoE8ElNS0_10empty_typeEbEEZZNS1_14partition_implILS5_8ELb0ES3_jPlPS6_PKS6_NS0_5tupleIJS9_S6_EEENSD_IJSA_SA_EEENS0_18inequality_wrapperIZN2at6native12_GLOBAL__N_124unique_dim_cuda_templateImEESt5tupleIJNSH_6TensorESM_SM_EERKSM_lbbbEUlllE0_EEPmJS6_EEE10hipError_tPvRmT3_T4_T5_T6_T7_T9_mT8_P12ihipStream_tbDpT10_ENKUlT_T0_E_clISt17integral_constantIbLb0EES1B_IbLb1EEEEDaS17_S18_EUlS17_E_NS1_11comp_targetILNS1_3genE8ELNS1_11target_archE1030ELNS1_3gpuE2ELNS1_3repE0EEENS1_30default_config_static_selectorELNS0_4arch9wavefront6targetE1EEEvT1_ ; -- Begin function _ZN7rocprim17ROCPRIM_400000_NS6detail17trampoline_kernelINS0_14default_configENS1_25partition_config_selectorILNS1_17partition_subalgoE8ElNS0_10empty_typeEbEEZZNS1_14partition_implILS5_8ELb0ES3_jPlPS6_PKS6_NS0_5tupleIJS9_S6_EEENSD_IJSA_SA_EEENS0_18inequality_wrapperIZN2at6native12_GLOBAL__N_124unique_dim_cuda_templateImEESt5tupleIJNSH_6TensorESM_SM_EERKSM_lbbbEUlllE0_EEPmJS6_EEE10hipError_tPvRmT3_T4_T5_T6_T7_T9_mT8_P12ihipStream_tbDpT10_ENKUlT_T0_E_clISt17integral_constantIbLb0EES1B_IbLb1EEEEDaS17_S18_EUlS17_E_NS1_11comp_targetILNS1_3genE8ELNS1_11target_archE1030ELNS1_3gpuE2ELNS1_3repE0EEENS1_30default_config_static_selectorELNS0_4arch9wavefront6targetE1EEEvT1_
	.p2align	8
	.type	_ZN7rocprim17ROCPRIM_400000_NS6detail17trampoline_kernelINS0_14default_configENS1_25partition_config_selectorILNS1_17partition_subalgoE8ElNS0_10empty_typeEbEEZZNS1_14partition_implILS5_8ELb0ES3_jPlPS6_PKS6_NS0_5tupleIJS9_S6_EEENSD_IJSA_SA_EEENS0_18inequality_wrapperIZN2at6native12_GLOBAL__N_124unique_dim_cuda_templateImEESt5tupleIJNSH_6TensorESM_SM_EERKSM_lbbbEUlllE0_EEPmJS6_EEE10hipError_tPvRmT3_T4_T5_T6_T7_T9_mT8_P12ihipStream_tbDpT10_ENKUlT_T0_E_clISt17integral_constantIbLb0EES1B_IbLb1EEEEDaS17_S18_EUlS17_E_NS1_11comp_targetILNS1_3genE8ELNS1_11target_archE1030ELNS1_3gpuE2ELNS1_3repE0EEENS1_30default_config_static_selectorELNS0_4arch9wavefront6targetE1EEEvT1_,@function
_ZN7rocprim17ROCPRIM_400000_NS6detail17trampoline_kernelINS0_14default_configENS1_25partition_config_selectorILNS1_17partition_subalgoE8ElNS0_10empty_typeEbEEZZNS1_14partition_implILS5_8ELb0ES3_jPlPS6_PKS6_NS0_5tupleIJS9_S6_EEENSD_IJSA_SA_EEENS0_18inequality_wrapperIZN2at6native12_GLOBAL__N_124unique_dim_cuda_templateImEESt5tupleIJNSH_6TensorESM_SM_EERKSM_lbbbEUlllE0_EEPmJS6_EEE10hipError_tPvRmT3_T4_T5_T6_T7_T9_mT8_P12ihipStream_tbDpT10_ENKUlT_T0_E_clISt17integral_constantIbLb0EES1B_IbLb1EEEEDaS17_S18_EUlS17_E_NS1_11comp_targetILNS1_3genE8ELNS1_11target_archE1030ELNS1_3gpuE2ELNS1_3repE0EEENS1_30default_config_static_selectorELNS0_4arch9wavefront6targetE1EEEvT1_: ; @_ZN7rocprim17ROCPRIM_400000_NS6detail17trampoline_kernelINS0_14default_configENS1_25partition_config_selectorILNS1_17partition_subalgoE8ElNS0_10empty_typeEbEEZZNS1_14partition_implILS5_8ELb0ES3_jPlPS6_PKS6_NS0_5tupleIJS9_S6_EEENSD_IJSA_SA_EEENS0_18inequality_wrapperIZN2at6native12_GLOBAL__N_124unique_dim_cuda_templateImEESt5tupleIJNSH_6TensorESM_SM_EERKSM_lbbbEUlllE0_EEPmJS6_EEE10hipError_tPvRmT3_T4_T5_T6_T7_T9_mT8_P12ihipStream_tbDpT10_ENKUlT_T0_E_clISt17integral_constantIbLb0EES1B_IbLb1EEEEDaS17_S18_EUlS17_E_NS1_11comp_targetILNS1_3genE8ELNS1_11target_archE1030ELNS1_3gpuE2ELNS1_3repE0EEENS1_30default_config_static_selectorELNS0_4arch9wavefront6targetE1EEEvT1_
; %bb.0:
	.section	.rodata,"a",@progbits
	.p2align	6, 0x0
	.amdhsa_kernel _ZN7rocprim17ROCPRIM_400000_NS6detail17trampoline_kernelINS0_14default_configENS1_25partition_config_selectorILNS1_17partition_subalgoE8ElNS0_10empty_typeEbEEZZNS1_14partition_implILS5_8ELb0ES3_jPlPS6_PKS6_NS0_5tupleIJS9_S6_EEENSD_IJSA_SA_EEENS0_18inequality_wrapperIZN2at6native12_GLOBAL__N_124unique_dim_cuda_templateImEESt5tupleIJNSH_6TensorESM_SM_EERKSM_lbbbEUlllE0_EEPmJS6_EEE10hipError_tPvRmT3_T4_T5_T6_T7_T9_mT8_P12ihipStream_tbDpT10_ENKUlT_T0_E_clISt17integral_constantIbLb0EES1B_IbLb1EEEEDaS17_S18_EUlS17_E_NS1_11comp_targetILNS1_3genE8ELNS1_11target_archE1030ELNS1_3gpuE2ELNS1_3repE0EEENS1_30default_config_static_selectorELNS0_4arch9wavefront6targetE1EEEvT1_
		.amdhsa_group_segment_fixed_size 0
		.amdhsa_private_segment_fixed_size 0
		.amdhsa_kernarg_size 136
		.amdhsa_user_sgpr_count 6
		.amdhsa_user_sgpr_private_segment_buffer 1
		.amdhsa_user_sgpr_dispatch_ptr 0
		.amdhsa_user_sgpr_queue_ptr 0
		.amdhsa_user_sgpr_kernarg_segment_ptr 1
		.amdhsa_user_sgpr_dispatch_id 0
		.amdhsa_user_sgpr_flat_scratch_init 0
		.amdhsa_user_sgpr_kernarg_preload_length 0
		.amdhsa_user_sgpr_kernarg_preload_offset 0
		.amdhsa_user_sgpr_private_segment_size 0
		.amdhsa_uses_dynamic_stack 0
		.amdhsa_system_sgpr_private_segment_wavefront_offset 0
		.amdhsa_system_sgpr_workgroup_id_x 1
		.amdhsa_system_sgpr_workgroup_id_y 0
		.amdhsa_system_sgpr_workgroup_id_z 0
		.amdhsa_system_sgpr_workgroup_info 0
		.amdhsa_system_vgpr_workitem_id 0
		.amdhsa_next_free_vgpr 1
		.amdhsa_next_free_sgpr 0
		.amdhsa_accum_offset 4
		.amdhsa_reserve_vcc 0
		.amdhsa_reserve_flat_scratch 0
		.amdhsa_float_round_mode_32 0
		.amdhsa_float_round_mode_16_64 0
		.amdhsa_float_denorm_mode_32 3
		.amdhsa_float_denorm_mode_16_64 3
		.amdhsa_dx10_clamp 1
		.amdhsa_ieee_mode 1
		.amdhsa_fp16_overflow 0
		.amdhsa_tg_split 0
		.amdhsa_exception_fp_ieee_invalid_op 0
		.amdhsa_exception_fp_denorm_src 0
		.amdhsa_exception_fp_ieee_div_zero 0
		.amdhsa_exception_fp_ieee_overflow 0
		.amdhsa_exception_fp_ieee_underflow 0
		.amdhsa_exception_fp_ieee_inexact 0
		.amdhsa_exception_int_div_zero 0
	.end_amdhsa_kernel
	.section	.text._ZN7rocprim17ROCPRIM_400000_NS6detail17trampoline_kernelINS0_14default_configENS1_25partition_config_selectorILNS1_17partition_subalgoE8ElNS0_10empty_typeEbEEZZNS1_14partition_implILS5_8ELb0ES3_jPlPS6_PKS6_NS0_5tupleIJS9_S6_EEENSD_IJSA_SA_EEENS0_18inequality_wrapperIZN2at6native12_GLOBAL__N_124unique_dim_cuda_templateImEESt5tupleIJNSH_6TensorESM_SM_EERKSM_lbbbEUlllE0_EEPmJS6_EEE10hipError_tPvRmT3_T4_T5_T6_T7_T9_mT8_P12ihipStream_tbDpT10_ENKUlT_T0_E_clISt17integral_constantIbLb0EES1B_IbLb1EEEEDaS17_S18_EUlS17_E_NS1_11comp_targetILNS1_3genE8ELNS1_11target_archE1030ELNS1_3gpuE2ELNS1_3repE0EEENS1_30default_config_static_selectorELNS0_4arch9wavefront6targetE1EEEvT1_,"axG",@progbits,_ZN7rocprim17ROCPRIM_400000_NS6detail17trampoline_kernelINS0_14default_configENS1_25partition_config_selectorILNS1_17partition_subalgoE8ElNS0_10empty_typeEbEEZZNS1_14partition_implILS5_8ELb0ES3_jPlPS6_PKS6_NS0_5tupleIJS9_S6_EEENSD_IJSA_SA_EEENS0_18inequality_wrapperIZN2at6native12_GLOBAL__N_124unique_dim_cuda_templateImEESt5tupleIJNSH_6TensorESM_SM_EERKSM_lbbbEUlllE0_EEPmJS6_EEE10hipError_tPvRmT3_T4_T5_T6_T7_T9_mT8_P12ihipStream_tbDpT10_ENKUlT_T0_E_clISt17integral_constantIbLb0EES1B_IbLb1EEEEDaS17_S18_EUlS17_E_NS1_11comp_targetILNS1_3genE8ELNS1_11target_archE1030ELNS1_3gpuE2ELNS1_3repE0EEENS1_30default_config_static_selectorELNS0_4arch9wavefront6targetE1EEEvT1_,comdat
.Lfunc_end1692:
	.size	_ZN7rocprim17ROCPRIM_400000_NS6detail17trampoline_kernelINS0_14default_configENS1_25partition_config_selectorILNS1_17partition_subalgoE8ElNS0_10empty_typeEbEEZZNS1_14partition_implILS5_8ELb0ES3_jPlPS6_PKS6_NS0_5tupleIJS9_S6_EEENSD_IJSA_SA_EEENS0_18inequality_wrapperIZN2at6native12_GLOBAL__N_124unique_dim_cuda_templateImEESt5tupleIJNSH_6TensorESM_SM_EERKSM_lbbbEUlllE0_EEPmJS6_EEE10hipError_tPvRmT3_T4_T5_T6_T7_T9_mT8_P12ihipStream_tbDpT10_ENKUlT_T0_E_clISt17integral_constantIbLb0EES1B_IbLb1EEEEDaS17_S18_EUlS17_E_NS1_11comp_targetILNS1_3genE8ELNS1_11target_archE1030ELNS1_3gpuE2ELNS1_3repE0EEENS1_30default_config_static_selectorELNS0_4arch9wavefront6targetE1EEEvT1_, .Lfunc_end1692-_ZN7rocprim17ROCPRIM_400000_NS6detail17trampoline_kernelINS0_14default_configENS1_25partition_config_selectorILNS1_17partition_subalgoE8ElNS0_10empty_typeEbEEZZNS1_14partition_implILS5_8ELb0ES3_jPlPS6_PKS6_NS0_5tupleIJS9_S6_EEENSD_IJSA_SA_EEENS0_18inequality_wrapperIZN2at6native12_GLOBAL__N_124unique_dim_cuda_templateImEESt5tupleIJNSH_6TensorESM_SM_EERKSM_lbbbEUlllE0_EEPmJS6_EEE10hipError_tPvRmT3_T4_T5_T6_T7_T9_mT8_P12ihipStream_tbDpT10_ENKUlT_T0_E_clISt17integral_constantIbLb0EES1B_IbLb1EEEEDaS17_S18_EUlS17_E_NS1_11comp_targetILNS1_3genE8ELNS1_11target_archE1030ELNS1_3gpuE2ELNS1_3repE0EEENS1_30default_config_static_selectorELNS0_4arch9wavefront6targetE1EEEvT1_
                                        ; -- End function
	.section	.AMDGPU.csdata,"",@progbits
; Kernel info:
; codeLenInByte = 0
; NumSgprs: 4
; NumVgprs: 0
; NumAgprs: 0
; TotalNumVgprs: 0
; ScratchSize: 0
; MemoryBound: 0
; FloatMode: 240
; IeeeMode: 1
; LDSByteSize: 0 bytes/workgroup (compile time only)
; SGPRBlocks: 0
; VGPRBlocks: 0
; NumSGPRsForWavesPerEU: 4
; NumVGPRsForWavesPerEU: 1
; AccumOffset: 4
; Occupancy: 8
; WaveLimiterHint : 0
; COMPUTE_PGM_RSRC2:SCRATCH_EN: 0
; COMPUTE_PGM_RSRC2:USER_SGPR: 6
; COMPUTE_PGM_RSRC2:TRAP_HANDLER: 0
; COMPUTE_PGM_RSRC2:TGID_X_EN: 1
; COMPUTE_PGM_RSRC2:TGID_Y_EN: 0
; COMPUTE_PGM_RSRC2:TGID_Z_EN: 0
; COMPUTE_PGM_RSRC2:TIDIG_COMP_CNT: 0
; COMPUTE_PGM_RSRC3_GFX90A:ACCUM_OFFSET: 0
; COMPUTE_PGM_RSRC3_GFX90A:TG_SPLIT: 0
	.section	.text._ZN7rocprim17ROCPRIM_400000_NS6detail17trampoline_kernelINS0_14default_configENS1_25partition_config_selectorILNS1_17partition_subalgoE9EllbEEZZNS1_14partition_implILS5_9ELb0ES3_jPlS8_PNS0_10empty_typeENS0_5tupleIJS8_S9_EEENSB_IJS8_SA_EEENS0_18inequality_wrapperIZN2at6native12_GLOBAL__N_124unique_dim_cuda_templateImEESt5tupleIJNSF_6TensorESK_SK_EERKSK_lbbbEUlllE0_EEPmJS9_EEE10hipError_tPvRmT3_T4_T5_T6_T7_T9_mT8_P12ihipStream_tbDpT10_ENKUlT_T0_E_clISt17integral_constantIbLb0EES1A_EEDaS15_S16_EUlS15_E_NS1_11comp_targetILNS1_3genE0ELNS1_11target_archE4294967295ELNS1_3gpuE0ELNS1_3repE0EEENS1_30default_config_static_selectorELNS0_4arch9wavefront6targetE1EEEvT1_,"axG",@progbits,_ZN7rocprim17ROCPRIM_400000_NS6detail17trampoline_kernelINS0_14default_configENS1_25partition_config_selectorILNS1_17partition_subalgoE9EllbEEZZNS1_14partition_implILS5_9ELb0ES3_jPlS8_PNS0_10empty_typeENS0_5tupleIJS8_S9_EEENSB_IJS8_SA_EEENS0_18inequality_wrapperIZN2at6native12_GLOBAL__N_124unique_dim_cuda_templateImEESt5tupleIJNSF_6TensorESK_SK_EERKSK_lbbbEUlllE0_EEPmJS9_EEE10hipError_tPvRmT3_T4_T5_T6_T7_T9_mT8_P12ihipStream_tbDpT10_ENKUlT_T0_E_clISt17integral_constantIbLb0EES1A_EEDaS15_S16_EUlS15_E_NS1_11comp_targetILNS1_3genE0ELNS1_11target_archE4294967295ELNS1_3gpuE0ELNS1_3repE0EEENS1_30default_config_static_selectorELNS0_4arch9wavefront6targetE1EEEvT1_,comdat
	.globl	_ZN7rocprim17ROCPRIM_400000_NS6detail17trampoline_kernelINS0_14default_configENS1_25partition_config_selectorILNS1_17partition_subalgoE9EllbEEZZNS1_14partition_implILS5_9ELb0ES3_jPlS8_PNS0_10empty_typeENS0_5tupleIJS8_S9_EEENSB_IJS8_SA_EEENS0_18inequality_wrapperIZN2at6native12_GLOBAL__N_124unique_dim_cuda_templateImEESt5tupleIJNSF_6TensorESK_SK_EERKSK_lbbbEUlllE0_EEPmJS9_EEE10hipError_tPvRmT3_T4_T5_T6_T7_T9_mT8_P12ihipStream_tbDpT10_ENKUlT_T0_E_clISt17integral_constantIbLb0EES1A_EEDaS15_S16_EUlS15_E_NS1_11comp_targetILNS1_3genE0ELNS1_11target_archE4294967295ELNS1_3gpuE0ELNS1_3repE0EEENS1_30default_config_static_selectorELNS0_4arch9wavefront6targetE1EEEvT1_ ; -- Begin function _ZN7rocprim17ROCPRIM_400000_NS6detail17trampoline_kernelINS0_14default_configENS1_25partition_config_selectorILNS1_17partition_subalgoE9EllbEEZZNS1_14partition_implILS5_9ELb0ES3_jPlS8_PNS0_10empty_typeENS0_5tupleIJS8_S9_EEENSB_IJS8_SA_EEENS0_18inequality_wrapperIZN2at6native12_GLOBAL__N_124unique_dim_cuda_templateImEESt5tupleIJNSF_6TensorESK_SK_EERKSK_lbbbEUlllE0_EEPmJS9_EEE10hipError_tPvRmT3_T4_T5_T6_T7_T9_mT8_P12ihipStream_tbDpT10_ENKUlT_T0_E_clISt17integral_constantIbLb0EES1A_EEDaS15_S16_EUlS15_E_NS1_11comp_targetILNS1_3genE0ELNS1_11target_archE4294967295ELNS1_3gpuE0ELNS1_3repE0EEENS1_30default_config_static_selectorELNS0_4arch9wavefront6targetE1EEEvT1_
	.p2align	8
	.type	_ZN7rocprim17ROCPRIM_400000_NS6detail17trampoline_kernelINS0_14default_configENS1_25partition_config_selectorILNS1_17partition_subalgoE9EllbEEZZNS1_14partition_implILS5_9ELb0ES3_jPlS8_PNS0_10empty_typeENS0_5tupleIJS8_S9_EEENSB_IJS8_SA_EEENS0_18inequality_wrapperIZN2at6native12_GLOBAL__N_124unique_dim_cuda_templateImEESt5tupleIJNSF_6TensorESK_SK_EERKSK_lbbbEUlllE0_EEPmJS9_EEE10hipError_tPvRmT3_T4_T5_T6_T7_T9_mT8_P12ihipStream_tbDpT10_ENKUlT_T0_E_clISt17integral_constantIbLb0EES1A_EEDaS15_S16_EUlS15_E_NS1_11comp_targetILNS1_3genE0ELNS1_11target_archE4294967295ELNS1_3gpuE0ELNS1_3repE0EEENS1_30default_config_static_selectorELNS0_4arch9wavefront6targetE1EEEvT1_,@function
_ZN7rocprim17ROCPRIM_400000_NS6detail17trampoline_kernelINS0_14default_configENS1_25partition_config_selectorILNS1_17partition_subalgoE9EllbEEZZNS1_14partition_implILS5_9ELb0ES3_jPlS8_PNS0_10empty_typeENS0_5tupleIJS8_S9_EEENSB_IJS8_SA_EEENS0_18inequality_wrapperIZN2at6native12_GLOBAL__N_124unique_dim_cuda_templateImEESt5tupleIJNSF_6TensorESK_SK_EERKSK_lbbbEUlllE0_EEPmJS9_EEE10hipError_tPvRmT3_T4_T5_T6_T7_T9_mT8_P12ihipStream_tbDpT10_ENKUlT_T0_E_clISt17integral_constantIbLb0EES1A_EEDaS15_S16_EUlS15_E_NS1_11comp_targetILNS1_3genE0ELNS1_11target_archE4294967295ELNS1_3gpuE0ELNS1_3repE0EEENS1_30default_config_static_selectorELNS0_4arch9wavefront6targetE1EEEvT1_: ; @_ZN7rocprim17ROCPRIM_400000_NS6detail17trampoline_kernelINS0_14default_configENS1_25partition_config_selectorILNS1_17partition_subalgoE9EllbEEZZNS1_14partition_implILS5_9ELb0ES3_jPlS8_PNS0_10empty_typeENS0_5tupleIJS8_S9_EEENSB_IJS8_SA_EEENS0_18inequality_wrapperIZN2at6native12_GLOBAL__N_124unique_dim_cuda_templateImEESt5tupleIJNSF_6TensorESK_SK_EERKSK_lbbbEUlllE0_EEPmJS9_EEE10hipError_tPvRmT3_T4_T5_T6_T7_T9_mT8_P12ihipStream_tbDpT10_ENKUlT_T0_E_clISt17integral_constantIbLb0EES1A_EEDaS15_S16_EUlS15_E_NS1_11comp_targetILNS1_3genE0ELNS1_11target_archE4294967295ELNS1_3gpuE0ELNS1_3repE0EEENS1_30default_config_static_selectorELNS0_4arch9wavefront6targetE1EEEvT1_
; %bb.0:
	.section	.rodata,"a",@progbits
	.p2align	6, 0x0
	.amdhsa_kernel _ZN7rocprim17ROCPRIM_400000_NS6detail17trampoline_kernelINS0_14default_configENS1_25partition_config_selectorILNS1_17partition_subalgoE9EllbEEZZNS1_14partition_implILS5_9ELb0ES3_jPlS8_PNS0_10empty_typeENS0_5tupleIJS8_S9_EEENSB_IJS8_SA_EEENS0_18inequality_wrapperIZN2at6native12_GLOBAL__N_124unique_dim_cuda_templateImEESt5tupleIJNSF_6TensorESK_SK_EERKSK_lbbbEUlllE0_EEPmJS9_EEE10hipError_tPvRmT3_T4_T5_T6_T7_T9_mT8_P12ihipStream_tbDpT10_ENKUlT_T0_E_clISt17integral_constantIbLb0EES1A_EEDaS15_S16_EUlS15_E_NS1_11comp_targetILNS1_3genE0ELNS1_11target_archE4294967295ELNS1_3gpuE0ELNS1_3repE0EEENS1_30default_config_static_selectorELNS0_4arch9wavefront6targetE1EEEvT1_
		.amdhsa_group_segment_fixed_size 0
		.amdhsa_private_segment_fixed_size 0
		.amdhsa_kernarg_size 120
		.amdhsa_user_sgpr_count 6
		.amdhsa_user_sgpr_private_segment_buffer 1
		.amdhsa_user_sgpr_dispatch_ptr 0
		.amdhsa_user_sgpr_queue_ptr 0
		.amdhsa_user_sgpr_kernarg_segment_ptr 1
		.amdhsa_user_sgpr_dispatch_id 0
		.amdhsa_user_sgpr_flat_scratch_init 0
		.amdhsa_user_sgpr_kernarg_preload_length 0
		.amdhsa_user_sgpr_kernarg_preload_offset 0
		.amdhsa_user_sgpr_private_segment_size 0
		.amdhsa_uses_dynamic_stack 0
		.amdhsa_system_sgpr_private_segment_wavefront_offset 0
		.amdhsa_system_sgpr_workgroup_id_x 1
		.amdhsa_system_sgpr_workgroup_id_y 0
		.amdhsa_system_sgpr_workgroup_id_z 0
		.amdhsa_system_sgpr_workgroup_info 0
		.amdhsa_system_vgpr_workitem_id 0
		.amdhsa_next_free_vgpr 1
		.amdhsa_next_free_sgpr 0
		.amdhsa_accum_offset 4
		.amdhsa_reserve_vcc 0
		.amdhsa_reserve_flat_scratch 0
		.amdhsa_float_round_mode_32 0
		.amdhsa_float_round_mode_16_64 0
		.amdhsa_float_denorm_mode_32 3
		.amdhsa_float_denorm_mode_16_64 3
		.amdhsa_dx10_clamp 1
		.amdhsa_ieee_mode 1
		.amdhsa_fp16_overflow 0
		.amdhsa_tg_split 0
		.amdhsa_exception_fp_ieee_invalid_op 0
		.amdhsa_exception_fp_denorm_src 0
		.amdhsa_exception_fp_ieee_div_zero 0
		.amdhsa_exception_fp_ieee_overflow 0
		.amdhsa_exception_fp_ieee_underflow 0
		.amdhsa_exception_fp_ieee_inexact 0
		.amdhsa_exception_int_div_zero 0
	.end_amdhsa_kernel
	.section	.text._ZN7rocprim17ROCPRIM_400000_NS6detail17trampoline_kernelINS0_14default_configENS1_25partition_config_selectorILNS1_17partition_subalgoE9EllbEEZZNS1_14partition_implILS5_9ELb0ES3_jPlS8_PNS0_10empty_typeENS0_5tupleIJS8_S9_EEENSB_IJS8_SA_EEENS0_18inequality_wrapperIZN2at6native12_GLOBAL__N_124unique_dim_cuda_templateImEESt5tupleIJNSF_6TensorESK_SK_EERKSK_lbbbEUlllE0_EEPmJS9_EEE10hipError_tPvRmT3_T4_T5_T6_T7_T9_mT8_P12ihipStream_tbDpT10_ENKUlT_T0_E_clISt17integral_constantIbLb0EES1A_EEDaS15_S16_EUlS15_E_NS1_11comp_targetILNS1_3genE0ELNS1_11target_archE4294967295ELNS1_3gpuE0ELNS1_3repE0EEENS1_30default_config_static_selectorELNS0_4arch9wavefront6targetE1EEEvT1_,"axG",@progbits,_ZN7rocprim17ROCPRIM_400000_NS6detail17trampoline_kernelINS0_14default_configENS1_25partition_config_selectorILNS1_17partition_subalgoE9EllbEEZZNS1_14partition_implILS5_9ELb0ES3_jPlS8_PNS0_10empty_typeENS0_5tupleIJS8_S9_EEENSB_IJS8_SA_EEENS0_18inequality_wrapperIZN2at6native12_GLOBAL__N_124unique_dim_cuda_templateImEESt5tupleIJNSF_6TensorESK_SK_EERKSK_lbbbEUlllE0_EEPmJS9_EEE10hipError_tPvRmT3_T4_T5_T6_T7_T9_mT8_P12ihipStream_tbDpT10_ENKUlT_T0_E_clISt17integral_constantIbLb0EES1A_EEDaS15_S16_EUlS15_E_NS1_11comp_targetILNS1_3genE0ELNS1_11target_archE4294967295ELNS1_3gpuE0ELNS1_3repE0EEENS1_30default_config_static_selectorELNS0_4arch9wavefront6targetE1EEEvT1_,comdat
.Lfunc_end1693:
	.size	_ZN7rocprim17ROCPRIM_400000_NS6detail17trampoline_kernelINS0_14default_configENS1_25partition_config_selectorILNS1_17partition_subalgoE9EllbEEZZNS1_14partition_implILS5_9ELb0ES3_jPlS8_PNS0_10empty_typeENS0_5tupleIJS8_S9_EEENSB_IJS8_SA_EEENS0_18inequality_wrapperIZN2at6native12_GLOBAL__N_124unique_dim_cuda_templateImEESt5tupleIJNSF_6TensorESK_SK_EERKSK_lbbbEUlllE0_EEPmJS9_EEE10hipError_tPvRmT3_T4_T5_T6_T7_T9_mT8_P12ihipStream_tbDpT10_ENKUlT_T0_E_clISt17integral_constantIbLb0EES1A_EEDaS15_S16_EUlS15_E_NS1_11comp_targetILNS1_3genE0ELNS1_11target_archE4294967295ELNS1_3gpuE0ELNS1_3repE0EEENS1_30default_config_static_selectorELNS0_4arch9wavefront6targetE1EEEvT1_, .Lfunc_end1693-_ZN7rocprim17ROCPRIM_400000_NS6detail17trampoline_kernelINS0_14default_configENS1_25partition_config_selectorILNS1_17partition_subalgoE9EllbEEZZNS1_14partition_implILS5_9ELb0ES3_jPlS8_PNS0_10empty_typeENS0_5tupleIJS8_S9_EEENSB_IJS8_SA_EEENS0_18inequality_wrapperIZN2at6native12_GLOBAL__N_124unique_dim_cuda_templateImEESt5tupleIJNSF_6TensorESK_SK_EERKSK_lbbbEUlllE0_EEPmJS9_EEE10hipError_tPvRmT3_T4_T5_T6_T7_T9_mT8_P12ihipStream_tbDpT10_ENKUlT_T0_E_clISt17integral_constantIbLb0EES1A_EEDaS15_S16_EUlS15_E_NS1_11comp_targetILNS1_3genE0ELNS1_11target_archE4294967295ELNS1_3gpuE0ELNS1_3repE0EEENS1_30default_config_static_selectorELNS0_4arch9wavefront6targetE1EEEvT1_
                                        ; -- End function
	.section	.AMDGPU.csdata,"",@progbits
; Kernel info:
; codeLenInByte = 0
; NumSgprs: 4
; NumVgprs: 0
; NumAgprs: 0
; TotalNumVgprs: 0
; ScratchSize: 0
; MemoryBound: 0
; FloatMode: 240
; IeeeMode: 1
; LDSByteSize: 0 bytes/workgroup (compile time only)
; SGPRBlocks: 0
; VGPRBlocks: 0
; NumSGPRsForWavesPerEU: 4
; NumVGPRsForWavesPerEU: 1
; AccumOffset: 4
; Occupancy: 8
; WaveLimiterHint : 0
; COMPUTE_PGM_RSRC2:SCRATCH_EN: 0
; COMPUTE_PGM_RSRC2:USER_SGPR: 6
; COMPUTE_PGM_RSRC2:TRAP_HANDLER: 0
; COMPUTE_PGM_RSRC2:TGID_X_EN: 1
; COMPUTE_PGM_RSRC2:TGID_Y_EN: 0
; COMPUTE_PGM_RSRC2:TGID_Z_EN: 0
; COMPUTE_PGM_RSRC2:TIDIG_COMP_CNT: 0
; COMPUTE_PGM_RSRC3_GFX90A:ACCUM_OFFSET: 0
; COMPUTE_PGM_RSRC3_GFX90A:TG_SPLIT: 0
	.section	.text._ZN7rocprim17ROCPRIM_400000_NS6detail17trampoline_kernelINS0_14default_configENS1_25partition_config_selectorILNS1_17partition_subalgoE9EllbEEZZNS1_14partition_implILS5_9ELb0ES3_jPlS8_PNS0_10empty_typeENS0_5tupleIJS8_S9_EEENSB_IJS8_SA_EEENS0_18inequality_wrapperIZN2at6native12_GLOBAL__N_124unique_dim_cuda_templateImEESt5tupleIJNSF_6TensorESK_SK_EERKSK_lbbbEUlllE0_EEPmJS9_EEE10hipError_tPvRmT3_T4_T5_T6_T7_T9_mT8_P12ihipStream_tbDpT10_ENKUlT_T0_E_clISt17integral_constantIbLb0EES1A_EEDaS15_S16_EUlS15_E_NS1_11comp_targetILNS1_3genE5ELNS1_11target_archE942ELNS1_3gpuE9ELNS1_3repE0EEENS1_30default_config_static_selectorELNS0_4arch9wavefront6targetE1EEEvT1_,"axG",@progbits,_ZN7rocprim17ROCPRIM_400000_NS6detail17trampoline_kernelINS0_14default_configENS1_25partition_config_selectorILNS1_17partition_subalgoE9EllbEEZZNS1_14partition_implILS5_9ELb0ES3_jPlS8_PNS0_10empty_typeENS0_5tupleIJS8_S9_EEENSB_IJS8_SA_EEENS0_18inequality_wrapperIZN2at6native12_GLOBAL__N_124unique_dim_cuda_templateImEESt5tupleIJNSF_6TensorESK_SK_EERKSK_lbbbEUlllE0_EEPmJS9_EEE10hipError_tPvRmT3_T4_T5_T6_T7_T9_mT8_P12ihipStream_tbDpT10_ENKUlT_T0_E_clISt17integral_constantIbLb0EES1A_EEDaS15_S16_EUlS15_E_NS1_11comp_targetILNS1_3genE5ELNS1_11target_archE942ELNS1_3gpuE9ELNS1_3repE0EEENS1_30default_config_static_selectorELNS0_4arch9wavefront6targetE1EEEvT1_,comdat
	.globl	_ZN7rocprim17ROCPRIM_400000_NS6detail17trampoline_kernelINS0_14default_configENS1_25partition_config_selectorILNS1_17partition_subalgoE9EllbEEZZNS1_14partition_implILS5_9ELb0ES3_jPlS8_PNS0_10empty_typeENS0_5tupleIJS8_S9_EEENSB_IJS8_SA_EEENS0_18inequality_wrapperIZN2at6native12_GLOBAL__N_124unique_dim_cuda_templateImEESt5tupleIJNSF_6TensorESK_SK_EERKSK_lbbbEUlllE0_EEPmJS9_EEE10hipError_tPvRmT3_T4_T5_T6_T7_T9_mT8_P12ihipStream_tbDpT10_ENKUlT_T0_E_clISt17integral_constantIbLb0EES1A_EEDaS15_S16_EUlS15_E_NS1_11comp_targetILNS1_3genE5ELNS1_11target_archE942ELNS1_3gpuE9ELNS1_3repE0EEENS1_30default_config_static_selectorELNS0_4arch9wavefront6targetE1EEEvT1_ ; -- Begin function _ZN7rocprim17ROCPRIM_400000_NS6detail17trampoline_kernelINS0_14default_configENS1_25partition_config_selectorILNS1_17partition_subalgoE9EllbEEZZNS1_14partition_implILS5_9ELb0ES3_jPlS8_PNS0_10empty_typeENS0_5tupleIJS8_S9_EEENSB_IJS8_SA_EEENS0_18inequality_wrapperIZN2at6native12_GLOBAL__N_124unique_dim_cuda_templateImEESt5tupleIJNSF_6TensorESK_SK_EERKSK_lbbbEUlllE0_EEPmJS9_EEE10hipError_tPvRmT3_T4_T5_T6_T7_T9_mT8_P12ihipStream_tbDpT10_ENKUlT_T0_E_clISt17integral_constantIbLb0EES1A_EEDaS15_S16_EUlS15_E_NS1_11comp_targetILNS1_3genE5ELNS1_11target_archE942ELNS1_3gpuE9ELNS1_3repE0EEENS1_30default_config_static_selectorELNS0_4arch9wavefront6targetE1EEEvT1_
	.p2align	8
	.type	_ZN7rocprim17ROCPRIM_400000_NS6detail17trampoline_kernelINS0_14default_configENS1_25partition_config_selectorILNS1_17partition_subalgoE9EllbEEZZNS1_14partition_implILS5_9ELb0ES3_jPlS8_PNS0_10empty_typeENS0_5tupleIJS8_S9_EEENSB_IJS8_SA_EEENS0_18inequality_wrapperIZN2at6native12_GLOBAL__N_124unique_dim_cuda_templateImEESt5tupleIJNSF_6TensorESK_SK_EERKSK_lbbbEUlllE0_EEPmJS9_EEE10hipError_tPvRmT3_T4_T5_T6_T7_T9_mT8_P12ihipStream_tbDpT10_ENKUlT_T0_E_clISt17integral_constantIbLb0EES1A_EEDaS15_S16_EUlS15_E_NS1_11comp_targetILNS1_3genE5ELNS1_11target_archE942ELNS1_3gpuE9ELNS1_3repE0EEENS1_30default_config_static_selectorELNS0_4arch9wavefront6targetE1EEEvT1_,@function
_ZN7rocprim17ROCPRIM_400000_NS6detail17trampoline_kernelINS0_14default_configENS1_25partition_config_selectorILNS1_17partition_subalgoE9EllbEEZZNS1_14partition_implILS5_9ELb0ES3_jPlS8_PNS0_10empty_typeENS0_5tupleIJS8_S9_EEENSB_IJS8_SA_EEENS0_18inequality_wrapperIZN2at6native12_GLOBAL__N_124unique_dim_cuda_templateImEESt5tupleIJNSF_6TensorESK_SK_EERKSK_lbbbEUlllE0_EEPmJS9_EEE10hipError_tPvRmT3_T4_T5_T6_T7_T9_mT8_P12ihipStream_tbDpT10_ENKUlT_T0_E_clISt17integral_constantIbLb0EES1A_EEDaS15_S16_EUlS15_E_NS1_11comp_targetILNS1_3genE5ELNS1_11target_archE942ELNS1_3gpuE9ELNS1_3repE0EEENS1_30default_config_static_selectorELNS0_4arch9wavefront6targetE1EEEvT1_: ; @_ZN7rocprim17ROCPRIM_400000_NS6detail17trampoline_kernelINS0_14default_configENS1_25partition_config_selectorILNS1_17partition_subalgoE9EllbEEZZNS1_14partition_implILS5_9ELb0ES3_jPlS8_PNS0_10empty_typeENS0_5tupleIJS8_S9_EEENSB_IJS8_SA_EEENS0_18inequality_wrapperIZN2at6native12_GLOBAL__N_124unique_dim_cuda_templateImEESt5tupleIJNSF_6TensorESK_SK_EERKSK_lbbbEUlllE0_EEPmJS9_EEE10hipError_tPvRmT3_T4_T5_T6_T7_T9_mT8_P12ihipStream_tbDpT10_ENKUlT_T0_E_clISt17integral_constantIbLb0EES1A_EEDaS15_S16_EUlS15_E_NS1_11comp_targetILNS1_3genE5ELNS1_11target_archE942ELNS1_3gpuE9ELNS1_3repE0EEENS1_30default_config_static_selectorELNS0_4arch9wavefront6targetE1EEEvT1_
; %bb.0:
	.section	.rodata,"a",@progbits
	.p2align	6, 0x0
	.amdhsa_kernel _ZN7rocprim17ROCPRIM_400000_NS6detail17trampoline_kernelINS0_14default_configENS1_25partition_config_selectorILNS1_17partition_subalgoE9EllbEEZZNS1_14partition_implILS5_9ELb0ES3_jPlS8_PNS0_10empty_typeENS0_5tupleIJS8_S9_EEENSB_IJS8_SA_EEENS0_18inequality_wrapperIZN2at6native12_GLOBAL__N_124unique_dim_cuda_templateImEESt5tupleIJNSF_6TensorESK_SK_EERKSK_lbbbEUlllE0_EEPmJS9_EEE10hipError_tPvRmT3_T4_T5_T6_T7_T9_mT8_P12ihipStream_tbDpT10_ENKUlT_T0_E_clISt17integral_constantIbLb0EES1A_EEDaS15_S16_EUlS15_E_NS1_11comp_targetILNS1_3genE5ELNS1_11target_archE942ELNS1_3gpuE9ELNS1_3repE0EEENS1_30default_config_static_selectorELNS0_4arch9wavefront6targetE1EEEvT1_
		.amdhsa_group_segment_fixed_size 0
		.amdhsa_private_segment_fixed_size 0
		.amdhsa_kernarg_size 120
		.amdhsa_user_sgpr_count 6
		.amdhsa_user_sgpr_private_segment_buffer 1
		.amdhsa_user_sgpr_dispatch_ptr 0
		.amdhsa_user_sgpr_queue_ptr 0
		.amdhsa_user_sgpr_kernarg_segment_ptr 1
		.amdhsa_user_sgpr_dispatch_id 0
		.amdhsa_user_sgpr_flat_scratch_init 0
		.amdhsa_user_sgpr_kernarg_preload_length 0
		.amdhsa_user_sgpr_kernarg_preload_offset 0
		.amdhsa_user_sgpr_private_segment_size 0
		.amdhsa_uses_dynamic_stack 0
		.amdhsa_system_sgpr_private_segment_wavefront_offset 0
		.amdhsa_system_sgpr_workgroup_id_x 1
		.amdhsa_system_sgpr_workgroup_id_y 0
		.amdhsa_system_sgpr_workgroup_id_z 0
		.amdhsa_system_sgpr_workgroup_info 0
		.amdhsa_system_vgpr_workitem_id 0
		.amdhsa_next_free_vgpr 1
		.amdhsa_next_free_sgpr 0
		.amdhsa_accum_offset 4
		.amdhsa_reserve_vcc 0
		.amdhsa_reserve_flat_scratch 0
		.amdhsa_float_round_mode_32 0
		.amdhsa_float_round_mode_16_64 0
		.amdhsa_float_denorm_mode_32 3
		.amdhsa_float_denorm_mode_16_64 3
		.amdhsa_dx10_clamp 1
		.amdhsa_ieee_mode 1
		.amdhsa_fp16_overflow 0
		.amdhsa_tg_split 0
		.amdhsa_exception_fp_ieee_invalid_op 0
		.amdhsa_exception_fp_denorm_src 0
		.amdhsa_exception_fp_ieee_div_zero 0
		.amdhsa_exception_fp_ieee_overflow 0
		.amdhsa_exception_fp_ieee_underflow 0
		.amdhsa_exception_fp_ieee_inexact 0
		.amdhsa_exception_int_div_zero 0
	.end_amdhsa_kernel
	.section	.text._ZN7rocprim17ROCPRIM_400000_NS6detail17trampoline_kernelINS0_14default_configENS1_25partition_config_selectorILNS1_17partition_subalgoE9EllbEEZZNS1_14partition_implILS5_9ELb0ES3_jPlS8_PNS0_10empty_typeENS0_5tupleIJS8_S9_EEENSB_IJS8_SA_EEENS0_18inequality_wrapperIZN2at6native12_GLOBAL__N_124unique_dim_cuda_templateImEESt5tupleIJNSF_6TensorESK_SK_EERKSK_lbbbEUlllE0_EEPmJS9_EEE10hipError_tPvRmT3_T4_T5_T6_T7_T9_mT8_P12ihipStream_tbDpT10_ENKUlT_T0_E_clISt17integral_constantIbLb0EES1A_EEDaS15_S16_EUlS15_E_NS1_11comp_targetILNS1_3genE5ELNS1_11target_archE942ELNS1_3gpuE9ELNS1_3repE0EEENS1_30default_config_static_selectorELNS0_4arch9wavefront6targetE1EEEvT1_,"axG",@progbits,_ZN7rocprim17ROCPRIM_400000_NS6detail17trampoline_kernelINS0_14default_configENS1_25partition_config_selectorILNS1_17partition_subalgoE9EllbEEZZNS1_14partition_implILS5_9ELb0ES3_jPlS8_PNS0_10empty_typeENS0_5tupleIJS8_S9_EEENSB_IJS8_SA_EEENS0_18inequality_wrapperIZN2at6native12_GLOBAL__N_124unique_dim_cuda_templateImEESt5tupleIJNSF_6TensorESK_SK_EERKSK_lbbbEUlllE0_EEPmJS9_EEE10hipError_tPvRmT3_T4_T5_T6_T7_T9_mT8_P12ihipStream_tbDpT10_ENKUlT_T0_E_clISt17integral_constantIbLb0EES1A_EEDaS15_S16_EUlS15_E_NS1_11comp_targetILNS1_3genE5ELNS1_11target_archE942ELNS1_3gpuE9ELNS1_3repE0EEENS1_30default_config_static_selectorELNS0_4arch9wavefront6targetE1EEEvT1_,comdat
.Lfunc_end1694:
	.size	_ZN7rocprim17ROCPRIM_400000_NS6detail17trampoline_kernelINS0_14default_configENS1_25partition_config_selectorILNS1_17partition_subalgoE9EllbEEZZNS1_14partition_implILS5_9ELb0ES3_jPlS8_PNS0_10empty_typeENS0_5tupleIJS8_S9_EEENSB_IJS8_SA_EEENS0_18inequality_wrapperIZN2at6native12_GLOBAL__N_124unique_dim_cuda_templateImEESt5tupleIJNSF_6TensorESK_SK_EERKSK_lbbbEUlllE0_EEPmJS9_EEE10hipError_tPvRmT3_T4_T5_T6_T7_T9_mT8_P12ihipStream_tbDpT10_ENKUlT_T0_E_clISt17integral_constantIbLb0EES1A_EEDaS15_S16_EUlS15_E_NS1_11comp_targetILNS1_3genE5ELNS1_11target_archE942ELNS1_3gpuE9ELNS1_3repE0EEENS1_30default_config_static_selectorELNS0_4arch9wavefront6targetE1EEEvT1_, .Lfunc_end1694-_ZN7rocprim17ROCPRIM_400000_NS6detail17trampoline_kernelINS0_14default_configENS1_25partition_config_selectorILNS1_17partition_subalgoE9EllbEEZZNS1_14partition_implILS5_9ELb0ES3_jPlS8_PNS0_10empty_typeENS0_5tupleIJS8_S9_EEENSB_IJS8_SA_EEENS0_18inequality_wrapperIZN2at6native12_GLOBAL__N_124unique_dim_cuda_templateImEESt5tupleIJNSF_6TensorESK_SK_EERKSK_lbbbEUlllE0_EEPmJS9_EEE10hipError_tPvRmT3_T4_T5_T6_T7_T9_mT8_P12ihipStream_tbDpT10_ENKUlT_T0_E_clISt17integral_constantIbLb0EES1A_EEDaS15_S16_EUlS15_E_NS1_11comp_targetILNS1_3genE5ELNS1_11target_archE942ELNS1_3gpuE9ELNS1_3repE0EEENS1_30default_config_static_selectorELNS0_4arch9wavefront6targetE1EEEvT1_
                                        ; -- End function
	.section	.AMDGPU.csdata,"",@progbits
; Kernel info:
; codeLenInByte = 0
; NumSgprs: 4
; NumVgprs: 0
; NumAgprs: 0
; TotalNumVgprs: 0
; ScratchSize: 0
; MemoryBound: 0
; FloatMode: 240
; IeeeMode: 1
; LDSByteSize: 0 bytes/workgroup (compile time only)
; SGPRBlocks: 0
; VGPRBlocks: 0
; NumSGPRsForWavesPerEU: 4
; NumVGPRsForWavesPerEU: 1
; AccumOffset: 4
; Occupancy: 8
; WaveLimiterHint : 0
; COMPUTE_PGM_RSRC2:SCRATCH_EN: 0
; COMPUTE_PGM_RSRC2:USER_SGPR: 6
; COMPUTE_PGM_RSRC2:TRAP_HANDLER: 0
; COMPUTE_PGM_RSRC2:TGID_X_EN: 1
; COMPUTE_PGM_RSRC2:TGID_Y_EN: 0
; COMPUTE_PGM_RSRC2:TGID_Z_EN: 0
; COMPUTE_PGM_RSRC2:TIDIG_COMP_CNT: 0
; COMPUTE_PGM_RSRC3_GFX90A:ACCUM_OFFSET: 0
; COMPUTE_PGM_RSRC3_GFX90A:TG_SPLIT: 0
	.section	.text._ZN7rocprim17ROCPRIM_400000_NS6detail17trampoline_kernelINS0_14default_configENS1_25partition_config_selectorILNS1_17partition_subalgoE9EllbEEZZNS1_14partition_implILS5_9ELb0ES3_jPlS8_PNS0_10empty_typeENS0_5tupleIJS8_S9_EEENSB_IJS8_SA_EEENS0_18inequality_wrapperIZN2at6native12_GLOBAL__N_124unique_dim_cuda_templateImEESt5tupleIJNSF_6TensorESK_SK_EERKSK_lbbbEUlllE0_EEPmJS9_EEE10hipError_tPvRmT3_T4_T5_T6_T7_T9_mT8_P12ihipStream_tbDpT10_ENKUlT_T0_E_clISt17integral_constantIbLb0EES1A_EEDaS15_S16_EUlS15_E_NS1_11comp_targetILNS1_3genE4ELNS1_11target_archE910ELNS1_3gpuE8ELNS1_3repE0EEENS1_30default_config_static_selectorELNS0_4arch9wavefront6targetE1EEEvT1_,"axG",@progbits,_ZN7rocprim17ROCPRIM_400000_NS6detail17trampoline_kernelINS0_14default_configENS1_25partition_config_selectorILNS1_17partition_subalgoE9EllbEEZZNS1_14partition_implILS5_9ELb0ES3_jPlS8_PNS0_10empty_typeENS0_5tupleIJS8_S9_EEENSB_IJS8_SA_EEENS0_18inequality_wrapperIZN2at6native12_GLOBAL__N_124unique_dim_cuda_templateImEESt5tupleIJNSF_6TensorESK_SK_EERKSK_lbbbEUlllE0_EEPmJS9_EEE10hipError_tPvRmT3_T4_T5_T6_T7_T9_mT8_P12ihipStream_tbDpT10_ENKUlT_T0_E_clISt17integral_constantIbLb0EES1A_EEDaS15_S16_EUlS15_E_NS1_11comp_targetILNS1_3genE4ELNS1_11target_archE910ELNS1_3gpuE8ELNS1_3repE0EEENS1_30default_config_static_selectorELNS0_4arch9wavefront6targetE1EEEvT1_,comdat
	.globl	_ZN7rocprim17ROCPRIM_400000_NS6detail17trampoline_kernelINS0_14default_configENS1_25partition_config_selectorILNS1_17partition_subalgoE9EllbEEZZNS1_14partition_implILS5_9ELb0ES3_jPlS8_PNS0_10empty_typeENS0_5tupleIJS8_S9_EEENSB_IJS8_SA_EEENS0_18inequality_wrapperIZN2at6native12_GLOBAL__N_124unique_dim_cuda_templateImEESt5tupleIJNSF_6TensorESK_SK_EERKSK_lbbbEUlllE0_EEPmJS9_EEE10hipError_tPvRmT3_T4_T5_T6_T7_T9_mT8_P12ihipStream_tbDpT10_ENKUlT_T0_E_clISt17integral_constantIbLb0EES1A_EEDaS15_S16_EUlS15_E_NS1_11comp_targetILNS1_3genE4ELNS1_11target_archE910ELNS1_3gpuE8ELNS1_3repE0EEENS1_30default_config_static_selectorELNS0_4arch9wavefront6targetE1EEEvT1_ ; -- Begin function _ZN7rocprim17ROCPRIM_400000_NS6detail17trampoline_kernelINS0_14default_configENS1_25partition_config_selectorILNS1_17partition_subalgoE9EllbEEZZNS1_14partition_implILS5_9ELb0ES3_jPlS8_PNS0_10empty_typeENS0_5tupleIJS8_S9_EEENSB_IJS8_SA_EEENS0_18inequality_wrapperIZN2at6native12_GLOBAL__N_124unique_dim_cuda_templateImEESt5tupleIJNSF_6TensorESK_SK_EERKSK_lbbbEUlllE0_EEPmJS9_EEE10hipError_tPvRmT3_T4_T5_T6_T7_T9_mT8_P12ihipStream_tbDpT10_ENKUlT_T0_E_clISt17integral_constantIbLb0EES1A_EEDaS15_S16_EUlS15_E_NS1_11comp_targetILNS1_3genE4ELNS1_11target_archE910ELNS1_3gpuE8ELNS1_3repE0EEENS1_30default_config_static_selectorELNS0_4arch9wavefront6targetE1EEEvT1_
	.p2align	8
	.type	_ZN7rocprim17ROCPRIM_400000_NS6detail17trampoline_kernelINS0_14default_configENS1_25partition_config_selectorILNS1_17partition_subalgoE9EllbEEZZNS1_14partition_implILS5_9ELb0ES3_jPlS8_PNS0_10empty_typeENS0_5tupleIJS8_S9_EEENSB_IJS8_SA_EEENS0_18inequality_wrapperIZN2at6native12_GLOBAL__N_124unique_dim_cuda_templateImEESt5tupleIJNSF_6TensorESK_SK_EERKSK_lbbbEUlllE0_EEPmJS9_EEE10hipError_tPvRmT3_T4_T5_T6_T7_T9_mT8_P12ihipStream_tbDpT10_ENKUlT_T0_E_clISt17integral_constantIbLb0EES1A_EEDaS15_S16_EUlS15_E_NS1_11comp_targetILNS1_3genE4ELNS1_11target_archE910ELNS1_3gpuE8ELNS1_3repE0EEENS1_30default_config_static_selectorELNS0_4arch9wavefront6targetE1EEEvT1_,@function
_ZN7rocprim17ROCPRIM_400000_NS6detail17trampoline_kernelINS0_14default_configENS1_25partition_config_selectorILNS1_17partition_subalgoE9EllbEEZZNS1_14partition_implILS5_9ELb0ES3_jPlS8_PNS0_10empty_typeENS0_5tupleIJS8_S9_EEENSB_IJS8_SA_EEENS0_18inequality_wrapperIZN2at6native12_GLOBAL__N_124unique_dim_cuda_templateImEESt5tupleIJNSF_6TensorESK_SK_EERKSK_lbbbEUlllE0_EEPmJS9_EEE10hipError_tPvRmT3_T4_T5_T6_T7_T9_mT8_P12ihipStream_tbDpT10_ENKUlT_T0_E_clISt17integral_constantIbLb0EES1A_EEDaS15_S16_EUlS15_E_NS1_11comp_targetILNS1_3genE4ELNS1_11target_archE910ELNS1_3gpuE8ELNS1_3repE0EEENS1_30default_config_static_selectorELNS0_4arch9wavefront6targetE1EEEvT1_: ; @_ZN7rocprim17ROCPRIM_400000_NS6detail17trampoline_kernelINS0_14default_configENS1_25partition_config_selectorILNS1_17partition_subalgoE9EllbEEZZNS1_14partition_implILS5_9ELb0ES3_jPlS8_PNS0_10empty_typeENS0_5tupleIJS8_S9_EEENSB_IJS8_SA_EEENS0_18inequality_wrapperIZN2at6native12_GLOBAL__N_124unique_dim_cuda_templateImEESt5tupleIJNSF_6TensorESK_SK_EERKSK_lbbbEUlllE0_EEPmJS9_EEE10hipError_tPvRmT3_T4_T5_T6_T7_T9_mT8_P12ihipStream_tbDpT10_ENKUlT_T0_E_clISt17integral_constantIbLb0EES1A_EEDaS15_S16_EUlS15_E_NS1_11comp_targetILNS1_3genE4ELNS1_11target_archE910ELNS1_3gpuE8ELNS1_3repE0EEENS1_30default_config_static_selectorELNS0_4arch9wavefront6targetE1EEEvT1_
; %bb.0:
	s_load_dwordx8 s[20:27], s[4:5], 0x40
	s_load_dwordx4 s[0:3], s[4:5], 0x8
	s_load_dwordx2 s[12:13], s[4:5], 0x18
	s_load_dword s9, s[4:5], 0x70
	v_lshrrev_b32_e32 v18, 2, v0
	s_waitcnt lgkmcnt(0)
	v_mov_b32_e32 v2, s24
	s_lshl_b64 s[14:15], s[2:3], 3
	s_add_u32 s18, s0, s14
	s_addc_u32 s19, s1, s15
	s_add_i32 s10, s9, -1
	s_lshl_b32 s0, s10, 9
	s_add_i32 s0, s2, s0
	s_lshl_b32 s8, s6, 9
	s_sub_i32 s7, s24, s0
	s_lshl_b32 s0, s9, 9
	s_add_u32 s0, s2, s0
	s_addc_u32 s1, s3, 0
	v_mov_b32_e32 v3, s25
	s_cmp_eq_u32 s6, s10
	s_load_dwordx2 s[22:23], s[22:23], 0x0
	v_cmp_ge_u64_e32 vcc, s[0:1], v[2:3]
	s_cselect_b64 s[24:25], -1, 0
	s_mov_b32 s9, 0
	s_and_b64 s[10:11], s[24:25], vcc
	s_xor_b64 s[34:35], s[10:11], -1
	s_lshl_b64 s[16:17], s[8:9], 3
	s_add_u32 s8, s18, s16
	s_mov_b64 s[0:1], -1
	s_addc_u32 s9, s19, s17
	s_and_b64 vcc, exec, s[34:35]
	s_cbranch_vccz .LBB1695_2
; %bb.1:
	v_lshlrev_b32_e32 v1, 3, v0
	global_load_dwordx2 v[2:3], v1, s[8:9]
	global_load_dwordx2 v[4:5], v1, s[8:9] offset:1024
	global_load_dwordx2 v[6:7], v1, s[8:9] offset:2048
	;; [unrolled: 1-line block ×3, first 2 shown]
	v_or_b32_e32 v11, 0x80, v0
	v_or_b32_e32 v12, 0x100, v0
	;; [unrolled: 1-line block ×3, first 2 shown]
	v_and_b32_e32 v10, 24, v18
	v_lshrrev_b32_e32 v11, 2, v11
	v_lshrrev_b32_e32 v12, 2, v12
	;; [unrolled: 1-line block ×3, first 2 shown]
	v_add_u32_e32 v10, v10, v1
	v_and_b32_e32 v11, 56, v11
	v_and_b32_e32 v12, 0x58, v12
	;; [unrolled: 1-line block ×3, first 2 shown]
	v_add_u32_e32 v11, v11, v1
	v_add_u32_e32 v12, v12, v1
	;; [unrolled: 1-line block ×3, first 2 shown]
	s_mov_b64 s[0:1], 0
	s_waitcnt vmcnt(3)
	ds_write_b64 v10, v[2:3]
	s_waitcnt vmcnt(2)
	ds_write_b64 v11, v[4:5] offset:1024
	s_waitcnt vmcnt(1)
	ds_write_b64 v12, v[6:7] offset:2048
	;; [unrolled: 2-line block ×3, first 2 shown]
	s_waitcnt lgkmcnt(0)
	s_barrier
.LBB1695_2:
	s_load_dwordx4 s[28:31], s[4:5], 0x60
	s_andn2_b64 vcc, exec, s[0:1]
	v_cmp_gt_u32_e64 s[0:1], s7, v0
	s_cbranch_vccnz .LBB1695_12
; %bb.3:
                                        ; implicit-def: $vgpr2_vgpr3_vgpr4_vgpr5_vgpr6_vgpr7_vgpr8_vgpr9
	s_and_saveexec_b64 s[18:19], s[0:1]
	s_cbranch_execz .LBB1695_5
; %bb.4:
	v_lshlrev_b32_e32 v1, 3, v0
	global_load_dwordx2 v[2:3], v1, s[8:9]
.LBB1695_5:
	s_or_b64 exec, exec, s[18:19]
	v_or_b32_e32 v1, 0x80, v0
	v_cmp_gt_u32_e32 vcc, s7, v1
	s_and_saveexec_b64 s[0:1], vcc
	s_cbranch_execz .LBB1695_7
; %bb.6:
	v_lshlrev_b32_e32 v4, 3, v0
	global_load_dwordx2 v[4:5], v4, s[8:9] offset:1024
.LBB1695_7:
	s_or_b64 exec, exec, s[0:1]
	v_or_b32_e32 v10, 0x100, v0
	v_cmp_gt_u32_e32 vcc, s7, v10
	s_and_saveexec_b64 s[0:1], vcc
	s_cbranch_execz .LBB1695_9
; %bb.8:
	v_lshlrev_b32_e32 v6, 3, v0
	global_load_dwordx2 v[6:7], v6, s[8:9] offset:2048
.LBB1695_9:
	;; [unrolled: 9-line block ×3, first 2 shown]
	s_or_b64 exec, exec, s[0:1]
	v_lshrrev_b32_e32 v1, 2, v1
	v_lshlrev_b32_e32 v13, 3, v0
	v_and_b32_e32 v1, 56, v1
	v_add_u32_e32 v1, v1, v13
	s_waitcnt vmcnt(0)
	ds_write_b64 v1, v[4:5] offset:1024
	v_lshrrev_b32_e32 v1, 2, v10
	v_and_b32_e32 v1, 0x78, v1
	v_add_u32_e32 v1, v1, v13
	ds_write_b64 v1, v[6:7] offset:2048
	v_lshrrev_b32_e32 v1, 2, v11
	v_and_b32_e32 v12, 24, v18
	v_and_b32_e32 v1, 0x78, v1
	v_add_u32_e32 v12, v12, v13
	v_add_u32_e32 v1, v1, v13
	ds_write_b64 v12, v[2:3]
	ds_write_b64 v1, v[8:9] offset:3072
	s_waitcnt lgkmcnt(0)
	s_barrier
.LBB1695_12:
	v_lshlrev_b32_e32 v1, 2, v0
	v_lshrrev_b32_e32 v2, 3, v0
	v_add_lshl_u32 v19, v2, v1, 3
	s_waitcnt lgkmcnt(0)
	ds_read2_b64 v[14:17], v19 offset1:1
	ds_read2_b64 v[10:13], v19 offset0:2 offset1:3
	s_add_u32 s0, s12, s14
	s_addc_u32 s1, s13, s15
	s_add_u32 s0, s0, s16
	s_addc_u32 s1, s1, s17
	s_mov_b64 s[12:13], -1
	s_and_b64 vcc, exec, s[34:35]
	s_waitcnt lgkmcnt(0)
	s_barrier
	s_cbranch_vccz .LBB1695_14
; %bb.13:
	v_lshlrev_b32_e32 v20, 3, v0
	global_load_dwordx2 v[2:3], v20, s[0:1]
	global_load_dwordx2 v[4:5], v20, s[0:1] offset:1024
	global_load_dwordx2 v[6:7], v20, s[0:1] offset:2048
	;; [unrolled: 1-line block ×3, first 2 shown]
	v_or_b32_e32 v22, 0x80, v0
	v_or_b32_e32 v23, 0x100, v0
	;; [unrolled: 1-line block ×3, first 2 shown]
	v_and_b32_e32 v21, 24, v18
	v_lshrrev_b32_e32 v22, 2, v22
	v_lshrrev_b32_e32 v23, 2, v23
	;; [unrolled: 1-line block ×3, first 2 shown]
	v_add_u32_e32 v21, v21, v20
	v_and_b32_e32 v22, 56, v22
	v_and_b32_e32 v23, 0x58, v23
	v_and_b32_e32 v24, 0x78, v24
	v_add_u32_e32 v22, v22, v20
	v_add_u32_e32 v23, v23, v20
	;; [unrolled: 1-line block ×3, first 2 shown]
	s_mov_b64 s[12:13], 0
	s_waitcnt vmcnt(3)
	ds_write_b64 v21, v[2:3]
	s_waitcnt vmcnt(2)
	ds_write_b64 v22, v[4:5] offset:1024
	s_waitcnt vmcnt(1)
	ds_write_b64 v23, v[6:7] offset:2048
	;; [unrolled: 2-line block ×3, first 2 shown]
	s_waitcnt lgkmcnt(0)
	s_barrier
.LBB1695_14:
	s_andn2_b64 vcc, exec, s[12:13]
	s_cbranch_vccnz .LBB1695_24
; %bb.15:
	v_cmp_gt_u32_e32 vcc, s7, v0
                                        ; implicit-def: $vgpr2_vgpr3
	s_and_saveexec_b64 s[12:13], vcc
	s_cbranch_execz .LBB1695_17
; %bb.16:
	v_lshlrev_b32_e32 v2, 3, v0
	global_load_dwordx2 v[2:3], v2, s[0:1]
.LBB1695_17:
	s_or_b64 exec, exec, s[12:13]
	v_or_b32_e32 v20, 0x80, v0
	v_cmp_gt_u32_e32 vcc, s7, v20
                                        ; implicit-def: $vgpr4_vgpr5
	s_and_saveexec_b64 s[12:13], vcc
	s_cbranch_execz .LBB1695_19
; %bb.18:
	v_lshlrev_b32_e32 v4, 3, v0
	global_load_dwordx2 v[4:5], v4, s[0:1] offset:1024
.LBB1695_19:
	s_or_b64 exec, exec, s[12:13]
	v_or_b32_e32 v21, 0x100, v0
	v_cmp_gt_u32_e32 vcc, s7, v21
                                        ; implicit-def: $vgpr6_vgpr7
	s_and_saveexec_b64 s[12:13], vcc
	s_cbranch_execz .LBB1695_21
; %bb.20:
	v_lshlrev_b32_e32 v6, 3, v0
	global_load_dwordx2 v[6:7], v6, s[0:1] offset:2048
.LBB1695_21:
	s_or_b64 exec, exec, s[12:13]
	v_or_b32_e32 v22, 0x180, v0
	v_cmp_gt_u32_e32 vcc, s7, v22
                                        ; implicit-def: $vgpr8_vgpr9
	s_and_saveexec_b64 s[12:13], vcc
	s_cbranch_execz .LBB1695_23
; %bb.22:
	v_lshlrev_b32_e32 v8, 3, v0
	global_load_dwordx2 v[8:9], v8, s[0:1] offset:3072
.LBB1695_23:
	s_or_b64 exec, exec, s[12:13]
	v_and_b32_e32 v18, 24, v18
	v_lshlrev_b32_e32 v23, 3, v0
	v_add_u32_e32 v18, v18, v23
	s_waitcnt vmcnt(0)
	ds_write_b64 v18, v[2:3]
	v_lshrrev_b32_e32 v2, 2, v20
	v_and_b32_e32 v2, 56, v2
	v_add_u32_e32 v2, v2, v23
	ds_write_b64 v2, v[4:5] offset:1024
	v_lshrrev_b32_e32 v2, 2, v21
	v_and_b32_e32 v2, 0x78, v2
	v_add_u32_e32 v2, v2, v23
	ds_write_b64 v2, v[6:7] offset:2048
	;; [unrolled: 4-line block ×3, first 2 shown]
	s_waitcnt lgkmcnt(0)
	s_barrier
.LBB1695_24:
	ds_read2_b64 v[6:9], v19 offset1:1
	ds_read2_b64 v[2:5], v19 offset0:2 offset1:3
	s_cmp_lg_u32 s6, 0
	s_cselect_b64 s[16:17], -1, 0
	s_cmp_lg_u64 s[2:3], 0
	s_cselect_b64 s[0:1], -1, 0
	s_or_b64 s[0:1], s[16:17], s[0:1]
	s_mov_b64 s[12:13], 0
	s_and_b64 vcc, exec, s[0:1]
	v_cmp_gt_i64_e64 s[0:1], s[26:27], 0
	s_waitcnt lgkmcnt(0)
	s_barrier
	s_cbranch_vccz .LBB1695_33
; %bb.25:
	s_add_u32 s2, s8, -8
	s_addc_u32 s3, s9, -1
	s_load_dwordx2 s[12:13], s[2:3], 0x0
	v_cndmask_b32_e64 v18, 0, 1, s[0:1]
	v_lshlrev_b32_e32 v26, 3, v0
	s_mov_b64 s[14:15], 0
	s_and_b64 vcc, exec, s[34:35]
	v_cmp_ne_u32_e64 s[0:1], 1, v18
	ds_write_b64 v26, v[12:13]
	s_cbranch_vccz .LBB1695_34
; %bb.26:
	v_mul_lo_u32 v20, v11, s26
	v_mul_lo_u32 v21, v10, s27
	v_mad_u64_u32 v[18:19], s[2:3], v10, s26, 0
	v_add3_u32 v19, v19, v21, v20
	s_and_b64 vcc, exec, s[0:1]
	v_lshlrev_b64 v[18:19], 3, v[18:19]
	s_cbranch_vccnz .LBB1695_37
; %bb.27:
	v_mul_lo_u32 v22, v13, s26
	v_mul_lo_u32 v23, v12, s27
	v_mad_u64_u32 v[20:21], s[2:3], v12, s26, 0
	v_add3_u32 v21, v21, v23, v22
	v_mov_b32_e32 v23, s29
	v_add_co_u32_e32 v22, vcc, s28, v18
	v_addc_co_u32_e64 v23, s[2:3], v23, v19, vcc
	v_lshlrev_b64 v[20:21], 3, v[20:21]
	v_mov_b32_e32 v25, s29
	v_add_co_u32_e64 v24, s[2:3], s28, v20
	v_addc_co_u32_e64 v25, s[8:9], v25, v21, s[2:3]
	global_load_dwordx2 v[28:29], v[22:23], off
	global_load_dwordx2 v[30:31], v[24:25], off
	s_mov_b64 s[14:15], -1
	s_waitcnt vmcnt(0)
	v_cmp_eq_u64_e64 s[8:9], v[28:29], v[30:31]
	s_and_saveexec_b64 s[18:19], s[8:9]
	s_cbranch_execz .LBB1695_36
; %bb.28:
	v_mov_b32_e32 v20, s29
	v_addc_co_u32_e64 v21, s[2:3], v21, v20, s[2:3]
	v_add_co_u32_e64 v20, s[2:3], 8, v24
	v_mov_b32_e32 v23, s29
	v_addc_co_u32_e64 v21, s[2:3], 0, v21, s[2:3]
	v_addc_co_u32_e32 v23, vcc, v19, v23, vcc
	v_add_co_u32_e32 v22, vcc, 8, v22
	s_add_u32 s2, s26, -1
	v_addc_co_u32_e32 v23, vcc, 0, v23, vcc
	s_addc_u32 s3, s27, -1
	s_mov_b64 s[8:9], 0
	s_mov_b64 s[36:37], 0
                                        ; implicit-def: $sgpr14_sgpr15
	s_branch .LBB1695_31
.LBB1695_29:                            ;   in Loop: Header=BB1695_31 Depth=1
	global_load_dwordx2 v[24:25], v[22:23], off
	global_load_dwordx2 v[28:29], v[20:21], off
	v_add_co_u32_e32 v20, vcc, 8, v20
	v_addc_co_u32_e32 v21, vcc, 0, v21, vcc
	v_add_co_u32_e32 v22, vcc, 8, v22
	v_addc_co_u32_e32 v23, vcc, 0, v23, vcc
	s_add_u32 s36, s36, 1
	s_addc_u32 s37, s37, 0
	s_andn2_b64 s[14:15], s[14:15], exec
	s_waitcnt vmcnt(0)
	v_cmp_ne_u64_e32 vcc, v[24:25], v[28:29]
	s_and_b64 s[38:39], vcc, exec
	s_or_b64 s[14:15], s[14:15], s[38:39]
.LBB1695_30:                            ;   in Loop: Header=BB1695_31 Depth=1
	s_and_b64 s[38:39], exec, s[14:15]
	s_or_b64 s[8:9], s[38:39], s[8:9]
	v_pk_mov_b32 v[24:25], s[36:37], s[36:37] op_sel:[0,1]
	s_andn2_b64 exec, exec, s[8:9]
	s_cbranch_execz .LBB1695_35
.LBB1695_31:                            ; =>This Inner Loop Header: Depth=1
	s_or_b64 s[14:15], s[14:15], exec
	s_cmp_eq_u64 s[2:3], s[36:37]
	s_cbranch_scc0 .LBB1695_29
; %bb.32:                               ;   in Loop: Header=BB1695_31 Depth=1
                                        ; implicit-def: $vgpr20_vgpr21
                                        ; implicit-def: $vgpr22_vgpr23
	s_mov_b64 s[36:37], s[26:27]
	s_branch .LBB1695_30
.LBB1695_33:
                                        ; implicit-def: $sgpr18_sgpr19
                                        ; implicit-def: $vgpr28
	s_branch .LBB1695_115
.LBB1695_34:
                                        ; implicit-def: $sgpr18_sgpr19
                                        ; implicit-def: $vgpr28
	s_cbranch_execnz .LBB1695_67
	s_branch .LBB1695_114
.LBB1695_35:
	s_or_b64 exec, exec, s[8:9]
	v_cmp_gt_i64_e32 vcc, s[26:27], v[24:25]
	s_orn2_b64 s[14:15], vcc, exec
.LBB1695_36:
	s_or_b64 exec, exec, s[18:19]
.LBB1695_37:
	v_mul_lo_u32 v22, v17, s26
	v_mul_lo_u32 v23, v16, s27
	v_mad_u64_u32 v[20:21], s[2:3], v16, s26, 0
	v_add3_u32 v21, v21, v23, v22
	s_mov_b64 s[18:19], 0
	s_and_b64 vcc, exec, s[0:1]
	v_lshlrev_b64 v[20:21], 3, v[20:21]
	s_mov_b64 s[36:37], 0
	s_cbranch_vccnz .LBB1695_46
; %bb.38:
	v_mov_b32_e32 v23, s29
	v_add_co_u32_e32 v22, vcc, s28, v20
	v_addc_co_u32_e64 v23, s[2:3], v23, v21, vcc
	v_mov_b32_e32 v25, s29
	v_add_co_u32_e64 v24, s[2:3], s28, v18
	v_addc_co_u32_e64 v25, s[8:9], v25, v19, s[2:3]
	global_load_dwordx2 v[28:29], v[22:23], off
	global_load_dwordx2 v[30:31], v[24:25], off
	s_mov_b64 s[36:37], -1
	s_waitcnt vmcnt(0)
	v_cmp_eq_u64_e64 s[8:9], v[28:29], v[30:31]
	s_and_saveexec_b64 s[38:39], s[8:9]
	s_cbranch_execz .LBB1695_45
; %bb.39:
	v_mov_b32_e32 v18, s29
	v_addc_co_u32_e64 v19, s[2:3], v19, v18, s[2:3]
	v_add_co_u32_e64 v18, s[2:3], 8, v24
	v_mov_b32_e32 v23, s29
	v_addc_co_u32_e64 v19, s[2:3], 0, v19, s[2:3]
	v_addc_co_u32_e32 v23, vcc, v21, v23, vcc
	v_add_co_u32_e32 v22, vcc, 8, v22
	s_add_u32 s2, s26, -1
	v_addc_co_u32_e32 v23, vcc, 0, v23, vcc
	s_addc_u32 s3, s27, -1
	s_mov_b64 s[8:9], 0
	s_mov_b64 s[40:41], 0
                                        ; implicit-def: $sgpr36_sgpr37
	s_branch .LBB1695_42
.LBB1695_40:                            ;   in Loop: Header=BB1695_42 Depth=1
	global_load_dwordx2 v[24:25], v[22:23], off
	global_load_dwordx2 v[28:29], v[18:19], off
	v_add_co_u32_e32 v18, vcc, 8, v18
	v_addc_co_u32_e32 v19, vcc, 0, v19, vcc
	v_add_co_u32_e32 v22, vcc, 8, v22
	v_addc_co_u32_e32 v23, vcc, 0, v23, vcc
	s_add_u32 s40, s40, 1
	s_addc_u32 s41, s41, 0
	s_andn2_b64 s[36:37], s[36:37], exec
	s_waitcnt vmcnt(0)
	v_cmp_ne_u64_e32 vcc, v[24:25], v[28:29]
	s_and_b64 s[42:43], vcc, exec
	s_or_b64 s[36:37], s[36:37], s[42:43]
.LBB1695_41:                            ;   in Loop: Header=BB1695_42 Depth=1
	s_and_b64 s[42:43], exec, s[36:37]
	s_or_b64 s[8:9], s[42:43], s[8:9]
	v_pk_mov_b32 v[24:25], s[40:41], s[40:41] op_sel:[0,1]
	s_andn2_b64 exec, exec, s[8:9]
	s_cbranch_execz .LBB1695_44
.LBB1695_42:                            ; =>This Inner Loop Header: Depth=1
	s_or_b64 s[36:37], s[36:37], exec
	s_cmp_eq_u64 s[2:3], s[40:41]
	s_cbranch_scc0 .LBB1695_40
; %bb.43:                               ;   in Loop: Header=BB1695_42 Depth=1
                                        ; implicit-def: $vgpr18_vgpr19
                                        ; implicit-def: $vgpr22_vgpr23
	s_mov_b64 s[40:41], s[26:27]
	s_branch .LBB1695_41
.LBB1695_44:
	s_or_b64 exec, exec, s[8:9]
	v_cmp_gt_i64_e32 vcc, s[26:27], v[24:25]
	s_orn2_b64 s[36:37], vcc, exec
.LBB1695_45:
	s_or_b64 exec, exec, s[38:39]
.LBB1695_46:
	v_mul_lo_u32 v22, v15, s26
	v_mul_lo_u32 v23, v14, s27
	v_mad_u64_u32 v[18:19], s[2:3], v14, s26, 0
	v_add3_u32 v19, v19, v23, v22
	s_and_b64 vcc, exec, s[0:1]
	v_lshlrev_b64 v[18:19], 3, v[18:19]
	s_cbranch_vccnz .LBB1695_55
; %bb.47:
	v_mov_b32_e32 v23, s29
	v_add_co_u32_e32 v22, vcc, s28, v18
	v_addc_co_u32_e64 v23, s[2:3], v23, v19, vcc
	v_mov_b32_e32 v25, s29
	v_add_co_u32_e64 v24, s[2:3], s28, v20
	v_addc_co_u32_e64 v25, s[8:9], v25, v21, s[2:3]
	global_load_dwordx2 v[28:29], v[22:23], off
	global_load_dwordx2 v[30:31], v[24:25], off
	s_mov_b64 s[18:19], -1
	s_waitcnt vmcnt(0)
	v_cmp_eq_u64_e64 s[8:9], v[28:29], v[30:31]
	s_and_saveexec_b64 s[38:39], s[8:9]
	s_cbranch_execz .LBB1695_54
; %bb.48:
	v_mov_b32_e32 v20, s29
	v_addc_co_u32_e64 v21, s[2:3], v21, v20, s[2:3]
	v_add_co_u32_e64 v20, s[2:3], 8, v24
	v_mov_b32_e32 v23, s29
	v_addc_co_u32_e64 v21, s[2:3], 0, v21, s[2:3]
	v_addc_co_u32_e32 v23, vcc, v19, v23, vcc
	v_add_co_u32_e32 v22, vcc, 8, v22
	s_add_u32 s2, s26, -1
	v_addc_co_u32_e32 v23, vcc, 0, v23, vcc
	s_addc_u32 s3, s27, -1
	s_mov_b64 s[8:9], 0
	s_mov_b64 s[40:41], 0
                                        ; implicit-def: $sgpr18_sgpr19
	s_branch .LBB1695_51
.LBB1695_49:                            ;   in Loop: Header=BB1695_51 Depth=1
	global_load_dwordx2 v[24:25], v[22:23], off
	global_load_dwordx2 v[28:29], v[20:21], off
	v_add_co_u32_e32 v20, vcc, 8, v20
	v_addc_co_u32_e32 v21, vcc, 0, v21, vcc
	v_add_co_u32_e32 v22, vcc, 8, v22
	v_addc_co_u32_e32 v23, vcc, 0, v23, vcc
	s_add_u32 s40, s40, 1
	s_addc_u32 s41, s41, 0
	s_andn2_b64 s[18:19], s[18:19], exec
	s_waitcnt vmcnt(0)
	v_cmp_ne_u64_e32 vcc, v[24:25], v[28:29]
	s_and_b64 s[42:43], vcc, exec
	s_or_b64 s[18:19], s[18:19], s[42:43]
.LBB1695_50:                            ;   in Loop: Header=BB1695_51 Depth=1
	s_and_b64 s[42:43], exec, s[18:19]
	s_or_b64 s[8:9], s[42:43], s[8:9]
	v_pk_mov_b32 v[24:25], s[40:41], s[40:41] op_sel:[0,1]
	s_andn2_b64 exec, exec, s[8:9]
	s_cbranch_execz .LBB1695_53
.LBB1695_51:                            ; =>This Inner Loop Header: Depth=1
	s_or_b64 s[18:19], s[18:19], exec
	s_cmp_eq_u64 s[2:3], s[40:41]
	s_cbranch_scc0 .LBB1695_49
; %bb.52:                               ;   in Loop: Header=BB1695_51 Depth=1
                                        ; implicit-def: $vgpr20_vgpr21
                                        ; implicit-def: $vgpr22_vgpr23
	s_mov_b64 s[40:41], s[26:27]
	s_branch .LBB1695_50
.LBB1695_53:
	s_or_b64 exec, exec, s[8:9]
	v_cmp_gt_i64_e32 vcc, s[26:27], v[24:25]
	s_orn2_b64 s[18:19], vcc, exec
.LBB1695_54:
	s_or_b64 exec, exec, s[38:39]
.LBB1695_55:
	v_cmp_ne_u32_e32 vcc, 0, v0
	s_waitcnt lgkmcnt(0)
	v_pk_mov_b32 v[20:21], s[12:13], s[12:13] op_sel:[0,1]
	s_barrier
	s_and_saveexec_b64 s[2:3], vcc
	s_cbranch_execz .LBB1695_57
; %bb.56:
	v_add_u32_e32 v20, -8, v26
	ds_read_b64 v[20:21], v20
.LBB1695_57:
	s_or_b64 exec, exec, s[2:3]
	v_cndmask_b32_e64 v23, 0, 1, s[14:15]
	v_cndmask_b32_e64 v22, 0, 1, s[36:37]
	;; [unrolled: 1-line block ×3, first 2 shown]
	v_lshlrev_b16_e32 v23, 8, v23
	v_lshlrev_b16_e32 v27, 8, v24
	v_or_b32_sdwa v28, v22, v23 dst_sel:WORD_1 dst_unused:UNUSED_PAD src0_sel:DWORD src1_sel:DWORD
	s_mov_b64 s[14:15], 0
	s_and_b64 vcc, exec, s[0:1]
	s_mov_b64 s[18:19], 0
	s_cbranch_vccnz .LBB1695_66
; %bb.58:
	s_waitcnt lgkmcnt(0)
	v_mul_lo_u32 v22, v21, s26
	v_mul_lo_u32 v23, v20, s27
	v_mad_u64_u32 v[20:21], s[2:3], v20, s26, 0
	v_add3_u32 v21, v21, v23, v22
	v_lshlrev_b64 v[20:21], 3, v[20:21]
	v_mov_b32_e32 v23, s29
	v_add_co_u32_e32 v22, vcc, s28, v20
	v_addc_co_u32_e64 v23, s[2:3], v23, v21, vcc
	v_mov_b32_e32 v20, s29
	v_add_co_u32_e64 v24, s[2:3], s28, v18
	v_addc_co_u32_e64 v25, s[8:9], v20, v19, s[2:3]
	global_load_dwordx2 v[30:31], v[22:23], off
	global_load_dwordx2 v[32:33], v[24:25], off
	s_mov_b64 s[18:19], -1
	s_waitcnt vmcnt(0)
	v_cmp_eq_u64_e64 s[8:9], v[30:31], v[32:33]
	s_and_saveexec_b64 s[36:37], s[8:9]
	s_cbranch_execz .LBB1695_65
; %bb.59:
	v_mov_b32_e32 v18, s29
	v_addc_co_u32_e64 v19, s[2:3], v19, v18, s[2:3]
	v_add_co_u32_e64 v18, s[2:3], 8, v24
	v_mov_b32_e32 v20, s29
	v_addc_co_u32_e64 v19, s[2:3], 0, v19, s[2:3]
	v_addc_co_u32_e32 v21, vcc, v21, v20, vcc
	v_add_co_u32_e32 v20, vcc, 8, v22
	s_add_u32 s2, s26, -1
	v_addc_co_u32_e32 v21, vcc, 0, v21, vcc
	s_addc_u32 s3, s27, -1
	s_mov_b64 s[8:9], 0
	s_mov_b64 s[38:39], 0
                                        ; implicit-def: $sgpr18_sgpr19
	s_branch .LBB1695_62
.LBB1695_60:                            ;   in Loop: Header=BB1695_62 Depth=1
	global_load_dwordx2 v[22:23], v[20:21], off
	global_load_dwordx2 v[24:25], v[18:19], off
	v_add_co_u32_e32 v18, vcc, 8, v18
	v_addc_co_u32_e32 v19, vcc, 0, v19, vcc
	v_add_co_u32_e32 v20, vcc, 8, v20
	v_addc_co_u32_e32 v21, vcc, 0, v21, vcc
	s_add_u32 s38, s38, 1
	s_addc_u32 s39, s39, 0
	s_andn2_b64 s[18:19], s[18:19], exec
	s_waitcnt vmcnt(0)
	v_cmp_ne_u64_e32 vcc, v[22:23], v[24:25]
	s_and_b64 s[40:41], vcc, exec
	s_or_b64 s[18:19], s[18:19], s[40:41]
.LBB1695_61:                            ;   in Loop: Header=BB1695_62 Depth=1
	s_and_b64 s[40:41], exec, s[18:19]
	s_or_b64 s[8:9], s[40:41], s[8:9]
	v_pk_mov_b32 v[22:23], s[38:39], s[38:39] op_sel:[0,1]
	s_andn2_b64 exec, exec, s[8:9]
	s_cbranch_execz .LBB1695_64
.LBB1695_62:                            ; =>This Inner Loop Header: Depth=1
	s_or_b64 s[18:19], s[18:19], exec
	s_cmp_eq_u64 s[2:3], s[38:39]
	s_cbranch_scc0 .LBB1695_60
; %bb.63:                               ;   in Loop: Header=BB1695_62 Depth=1
                                        ; implicit-def: $vgpr18_vgpr19
                                        ; implicit-def: $vgpr20_vgpr21
	s_mov_b64 s[38:39], s[26:27]
	s_branch .LBB1695_61
.LBB1695_64:
	s_or_b64 exec, exec, s[8:9]
	v_cmp_gt_i64_e32 vcc, s[26:27], v[22:23]
	s_orn2_b64 s[18:19], vcc, exec
.LBB1695_65:
	s_or_b64 exec, exec, s[36:37]
.LBB1695_66:
	v_or_b32_e32 v28, v27, v28
	s_and_b64 vcc, exec, s[14:15]
	s_cbranch_vccz .LBB1695_114
.LBB1695_67:
	v_or_b32_e32 v18, 3, v1
	v_cmp_gt_u32_e32 vcc, s7, v18
	s_mov_b64 s[18:19], 0
	s_mov_b64 s[14:15], 0
	s_and_saveexec_b64 s[36:37], vcc
	s_cbranch_execz .LBB1695_78
; %bb.68:
	s_and_b64 vcc, exec, s[0:1]
	s_mov_b64 s[38:39], 0
	s_cbranch_vccnz .LBB1695_77
; %bb.69:
	s_waitcnt lgkmcnt(0)
	v_mul_lo_u32 v20, v11, s26
	v_mul_lo_u32 v21, v10, s27
	v_mad_u64_u32 v[18:19], s[2:3], v10, s26, 0
	v_add3_u32 v19, v19, v21, v20
	v_mul_lo_u32 v20, v13, s26
	v_mul_lo_u32 v21, v12, s27
	v_mad_u64_u32 v[24:25], s[2:3], v12, s26, 0
	v_add3_u32 v25, v25, v21, v20
	v_lshlrev_b64 v[20:21], 3, v[18:19]
	v_mov_b32_e32 v18, s29
	v_add_co_u32_e32 v22, vcc, s28, v20
	v_addc_co_u32_e64 v23, s[2:3], v18, v21, vcc
	v_lshlrev_b64 v[18:19], 3, v[24:25]
	v_mov_b32_e32 v20, s29
	v_add_co_u32_e64 v24, s[2:3], s28, v18
	v_addc_co_u32_e64 v25, s[8:9], v20, v19, s[2:3]
	global_load_dwordx2 v[28:29], v[22:23], off
	global_load_dwordx2 v[30:31], v[24:25], off
	s_mov_b64 s[38:39], -1
	s_waitcnt vmcnt(0)
	v_cmp_eq_u64_e64 s[8:9], v[28:29], v[30:31]
	s_and_saveexec_b64 s[14:15], s[8:9]
	s_cbranch_execz .LBB1695_76
; %bb.70:
	v_mov_b32_e32 v18, s29
	v_addc_co_u32_e64 v19, s[2:3], v19, v18, s[2:3]
	v_add_co_u32_e64 v18, s[2:3], 8, v24
	v_mov_b32_e32 v20, s29
	v_addc_co_u32_e64 v19, s[2:3], 0, v19, s[2:3]
	v_addc_co_u32_e32 v21, vcc, v21, v20, vcc
	v_add_co_u32_e32 v20, vcc, 8, v22
	s_add_u32 s2, s26, -1
	v_addc_co_u32_e32 v21, vcc, 0, v21, vcc
	s_addc_u32 s3, s27, -1
	s_mov_b64 s[8:9], 0
	s_mov_b64 s[40:41], 0
                                        ; implicit-def: $sgpr38_sgpr39
	s_branch .LBB1695_73
.LBB1695_71:                            ;   in Loop: Header=BB1695_73 Depth=1
	global_load_dwordx2 v[22:23], v[20:21], off
	global_load_dwordx2 v[24:25], v[18:19], off
	v_add_co_u32_e32 v18, vcc, 8, v18
	v_addc_co_u32_e32 v19, vcc, 0, v19, vcc
	v_add_co_u32_e32 v20, vcc, 8, v20
	v_addc_co_u32_e32 v21, vcc, 0, v21, vcc
	s_add_u32 s40, s40, 1
	s_addc_u32 s41, s41, 0
	s_andn2_b64 s[38:39], s[38:39], exec
	s_waitcnt vmcnt(0)
	v_cmp_ne_u64_e32 vcc, v[22:23], v[24:25]
	s_and_b64 s[42:43], vcc, exec
	s_or_b64 s[38:39], s[38:39], s[42:43]
.LBB1695_72:                            ;   in Loop: Header=BB1695_73 Depth=1
	s_and_b64 s[42:43], exec, s[38:39]
	s_or_b64 s[8:9], s[42:43], s[8:9]
	v_pk_mov_b32 v[22:23], s[40:41], s[40:41] op_sel:[0,1]
	s_andn2_b64 exec, exec, s[8:9]
	s_cbranch_execz .LBB1695_75
.LBB1695_73:                            ; =>This Inner Loop Header: Depth=1
	s_or_b64 s[38:39], s[38:39], exec
	s_cmp_eq_u64 s[2:3], s[40:41]
	s_cbranch_scc0 .LBB1695_71
; %bb.74:                               ;   in Loop: Header=BB1695_73 Depth=1
                                        ; implicit-def: $vgpr18_vgpr19
                                        ; implicit-def: $vgpr20_vgpr21
	s_mov_b64 s[40:41], s[26:27]
	s_branch .LBB1695_72
.LBB1695_75:
	s_or_b64 exec, exec, s[8:9]
	v_cmp_gt_i64_e32 vcc, s[26:27], v[22:23]
	s_orn2_b64 s[38:39], vcc, exec
.LBB1695_76:
	s_or_b64 exec, exec, s[14:15]
.LBB1695_77:
	s_and_b64 s[14:15], s[38:39], exec
.LBB1695_78:
	s_or_b64 exec, exec, s[36:37]
	v_or_b32_e32 v18, 2, v1
	v_cmp_gt_u32_e32 vcc, s7, v18
	s_and_saveexec_b64 s[36:37], vcc
	s_cbranch_execz .LBB1695_89
; %bb.79:
	s_and_b64 vcc, exec, s[0:1]
	s_mov_b64 s[38:39], 0
	s_cbranch_vccnz .LBB1695_88
; %bb.80:
	s_waitcnt lgkmcnt(0)
	v_mul_lo_u32 v20, v17, s26
	v_mul_lo_u32 v21, v16, s27
	v_mad_u64_u32 v[18:19], s[2:3], v16, s26, 0
	v_add3_u32 v19, v19, v21, v20
	v_mul_lo_u32 v20, v11, s26
	v_mul_lo_u32 v21, v10, s27
	v_mad_u64_u32 v[24:25], s[2:3], v10, s26, 0
	v_add3_u32 v25, v25, v21, v20
	v_lshlrev_b64 v[20:21], 3, v[18:19]
	v_mov_b32_e32 v18, s29
	v_add_co_u32_e32 v22, vcc, s28, v20
	v_addc_co_u32_e64 v23, s[2:3], v18, v21, vcc
	v_lshlrev_b64 v[18:19], 3, v[24:25]
	v_mov_b32_e32 v20, s29
	v_add_co_u32_e64 v24, s[2:3], s28, v18
	v_addc_co_u32_e64 v25, s[8:9], v20, v19, s[2:3]
	global_load_dwordx2 v[28:29], v[22:23], off
	global_load_dwordx2 v[30:31], v[24:25], off
	s_mov_b64 s[38:39], -1
	s_waitcnt vmcnt(0)
	v_cmp_eq_u64_e64 s[8:9], v[28:29], v[30:31]
	s_and_saveexec_b64 s[18:19], s[8:9]
	s_cbranch_execz .LBB1695_87
; %bb.81:
	v_mov_b32_e32 v18, s29
	v_addc_co_u32_e64 v19, s[2:3], v19, v18, s[2:3]
	v_add_co_u32_e64 v18, s[2:3], 8, v24
	v_mov_b32_e32 v20, s29
	v_addc_co_u32_e64 v19, s[2:3], 0, v19, s[2:3]
	v_addc_co_u32_e32 v21, vcc, v21, v20, vcc
	v_add_co_u32_e32 v20, vcc, 8, v22
	s_add_u32 s2, s26, -1
	v_addc_co_u32_e32 v21, vcc, 0, v21, vcc
	s_addc_u32 s3, s27, -1
	s_mov_b64 s[8:9], 0
	s_mov_b64 s[40:41], 0
                                        ; implicit-def: $sgpr38_sgpr39
	s_branch .LBB1695_84
.LBB1695_82:                            ;   in Loop: Header=BB1695_84 Depth=1
	global_load_dwordx2 v[22:23], v[20:21], off
	global_load_dwordx2 v[24:25], v[18:19], off
	v_add_co_u32_e32 v18, vcc, 8, v18
	v_addc_co_u32_e32 v19, vcc, 0, v19, vcc
	v_add_co_u32_e32 v20, vcc, 8, v20
	v_addc_co_u32_e32 v21, vcc, 0, v21, vcc
	s_add_u32 s40, s40, 1
	s_addc_u32 s41, s41, 0
	s_andn2_b64 s[38:39], s[38:39], exec
	s_waitcnt vmcnt(0)
	v_cmp_ne_u64_e32 vcc, v[22:23], v[24:25]
	s_and_b64 s[42:43], vcc, exec
	s_or_b64 s[38:39], s[38:39], s[42:43]
.LBB1695_83:                            ;   in Loop: Header=BB1695_84 Depth=1
	s_and_b64 s[42:43], exec, s[38:39]
	s_or_b64 s[8:9], s[42:43], s[8:9]
	v_pk_mov_b32 v[22:23], s[40:41], s[40:41] op_sel:[0,1]
	s_andn2_b64 exec, exec, s[8:9]
	s_cbranch_execz .LBB1695_86
.LBB1695_84:                            ; =>This Inner Loop Header: Depth=1
	s_or_b64 s[38:39], s[38:39], exec
	s_cmp_eq_u64 s[2:3], s[40:41]
	s_cbranch_scc0 .LBB1695_82
; %bb.85:                               ;   in Loop: Header=BB1695_84 Depth=1
                                        ; implicit-def: $vgpr18_vgpr19
                                        ; implicit-def: $vgpr20_vgpr21
	s_mov_b64 s[40:41], s[26:27]
	s_branch .LBB1695_83
.LBB1695_86:
	s_or_b64 exec, exec, s[8:9]
	v_cmp_gt_i64_e32 vcc, s[26:27], v[22:23]
	s_orn2_b64 s[38:39], vcc, exec
.LBB1695_87:
	s_or_b64 exec, exec, s[18:19]
.LBB1695_88:
	s_and_b64 s[18:19], s[38:39], exec
.LBB1695_89:
	s_or_b64 exec, exec, s[36:37]
	v_or_b32_e32 v18, 1, v1
	v_cmp_gt_u32_e32 vcc, s7, v18
	s_mov_b64 s[2:3], 0
	s_and_saveexec_b64 s[36:37], vcc
	s_cbranch_execz .LBB1695_100
; %bb.90:
	s_and_b64 vcc, exec, s[0:1]
	s_mov_b64 s[40:41], 0
	s_cbranch_vccnz .LBB1695_99
; %bb.91:
	s_waitcnt lgkmcnt(0)
	v_mul_lo_u32 v20, v15, s26
	v_mul_lo_u32 v21, v14, s27
	v_mad_u64_u32 v[18:19], s[2:3], v14, s26, 0
	v_add3_u32 v19, v19, v21, v20
	v_mul_lo_u32 v20, v17, s26
	v_mul_lo_u32 v21, v16, s27
	v_mad_u64_u32 v[24:25], s[2:3], v16, s26, 0
	v_add3_u32 v25, v25, v21, v20
	v_lshlrev_b64 v[20:21], 3, v[18:19]
	v_mov_b32_e32 v18, s29
	v_add_co_u32_e32 v22, vcc, s28, v20
	v_addc_co_u32_e64 v23, s[2:3], v18, v21, vcc
	v_lshlrev_b64 v[18:19], 3, v[24:25]
	v_mov_b32_e32 v20, s29
	v_add_co_u32_e64 v24, s[2:3], s28, v18
	v_addc_co_u32_e64 v25, s[8:9], v20, v19, s[2:3]
	global_load_dwordx2 v[28:29], v[22:23], off
	global_load_dwordx2 v[30:31], v[24:25], off
	s_mov_b64 s[40:41], -1
	s_waitcnt vmcnt(0)
	v_cmp_eq_u64_e64 s[8:9], v[28:29], v[30:31]
	s_and_saveexec_b64 s[38:39], s[8:9]
	s_cbranch_execz .LBB1695_98
; %bb.92:
	v_mov_b32_e32 v18, s29
	v_addc_co_u32_e64 v19, s[2:3], v19, v18, s[2:3]
	v_add_co_u32_e64 v18, s[2:3], 8, v24
	v_mov_b32_e32 v20, s29
	v_addc_co_u32_e64 v19, s[2:3], 0, v19, s[2:3]
	v_addc_co_u32_e32 v21, vcc, v21, v20, vcc
	v_add_co_u32_e32 v20, vcc, 8, v22
	s_add_u32 s2, s26, -1
	v_addc_co_u32_e32 v21, vcc, 0, v21, vcc
	s_addc_u32 s3, s27, -1
	s_mov_b64 s[8:9], 0
	s_mov_b64 s[42:43], 0
                                        ; implicit-def: $sgpr40_sgpr41
	s_branch .LBB1695_95
.LBB1695_93:                            ;   in Loop: Header=BB1695_95 Depth=1
	global_load_dwordx2 v[22:23], v[20:21], off
	global_load_dwordx2 v[24:25], v[18:19], off
	v_add_co_u32_e32 v18, vcc, 8, v18
	v_addc_co_u32_e32 v19, vcc, 0, v19, vcc
	v_add_co_u32_e32 v20, vcc, 8, v20
	v_addc_co_u32_e32 v21, vcc, 0, v21, vcc
	s_add_u32 s42, s42, 1
	s_addc_u32 s43, s43, 0
	s_andn2_b64 s[40:41], s[40:41], exec
	s_waitcnt vmcnt(0)
	v_cmp_ne_u64_e32 vcc, v[22:23], v[24:25]
	s_and_b64 s[44:45], vcc, exec
	s_or_b64 s[40:41], s[40:41], s[44:45]
.LBB1695_94:                            ;   in Loop: Header=BB1695_95 Depth=1
	s_and_b64 s[44:45], exec, s[40:41]
	s_or_b64 s[8:9], s[44:45], s[8:9]
	v_pk_mov_b32 v[22:23], s[42:43], s[42:43] op_sel:[0,1]
	s_andn2_b64 exec, exec, s[8:9]
	s_cbranch_execz .LBB1695_97
.LBB1695_95:                            ; =>This Inner Loop Header: Depth=1
	s_or_b64 s[40:41], s[40:41], exec
	s_cmp_eq_u64 s[2:3], s[42:43]
	s_cbranch_scc0 .LBB1695_93
; %bb.96:                               ;   in Loop: Header=BB1695_95 Depth=1
                                        ; implicit-def: $vgpr18_vgpr19
                                        ; implicit-def: $vgpr20_vgpr21
	s_mov_b64 s[42:43], s[26:27]
	s_branch .LBB1695_94
.LBB1695_97:
	s_or_b64 exec, exec, s[8:9]
	v_cmp_gt_i64_e32 vcc, s[26:27], v[22:23]
	s_orn2_b64 s[40:41], vcc, exec
.LBB1695_98:
	s_or_b64 exec, exec, s[38:39]
.LBB1695_99:
	s_and_b64 s[2:3], s[40:41], exec
.LBB1695_100:
	s_or_b64 exec, exec, s[36:37]
	v_cmp_ne_u32_e32 vcc, 0, v0
	s_waitcnt lgkmcnt(0)
	v_pk_mov_b32 v[18:19], s[12:13], s[12:13] op_sel:[0,1]
	s_barrier
	s_and_saveexec_b64 s[8:9], vcc
	s_cbranch_execz .LBB1695_102
; %bb.101:
	v_add_u32_e32 v18, -8, v26
	ds_read_b64 v[18:19], v18
.LBB1695_102:
	s_or_b64 exec, exec, s[8:9]
	v_cndmask_b32_e64 v21, 0, 1, s[14:15]
	v_cndmask_b32_e64 v20, 0, 1, s[18:19]
	;; [unrolled: 1-line block ×3, first 2 shown]
	v_lshlrev_b16_e32 v21, 8, v21
	v_lshlrev_b16_e32 v26, 8, v22
	v_or_b32_sdwa v27, v20, v21 dst_sel:WORD_1 dst_unused:UNUSED_PAD src0_sel:DWORD src1_sel:DWORD
	v_cmp_gt_u32_e32 vcc, s7, v1
	s_mov_b64 s[18:19], 0
	s_and_saveexec_b64 s[8:9], vcc
	s_cbranch_execz .LBB1695_113
; %bb.103:
	s_and_b64 vcc, exec, s[0:1]
	s_mov_b64 s[14:15], 0
	s_cbranch_vccnz .LBB1695_112
; %bb.104:
	s_waitcnt lgkmcnt(0)
	v_mul_lo_u32 v20, v19, s26
	v_mul_lo_u32 v21, v18, s27
	v_mad_u64_u32 v[18:19], s[0:1], v18, s26, 0
	v_add3_u32 v19, v19, v21, v20
	v_mul_lo_u32 v20, v15, s26
	v_mul_lo_u32 v21, v14, s27
	v_mad_u64_u32 v[24:25], s[0:1], v14, s26, 0
	v_add3_u32 v25, v25, v21, v20
	v_lshlrev_b64 v[20:21], 3, v[18:19]
	v_mov_b32_e32 v18, s29
	v_add_co_u32_e32 v22, vcc, s28, v20
	v_addc_co_u32_e64 v23, s[0:1], v18, v21, vcc
	v_lshlrev_b64 v[18:19], 3, v[24:25]
	v_mov_b32_e32 v20, s29
	v_add_co_u32_e64 v24, s[0:1], s28, v18
	v_addc_co_u32_e64 v25, s[2:3], v20, v19, s[0:1]
	global_load_dwordx2 v[28:29], v[22:23], off
	global_load_dwordx2 v[30:31], v[24:25], off
	s_mov_b64 s[14:15], -1
	s_waitcnt vmcnt(0)
	v_cmp_eq_u64_e64 s[2:3], v[28:29], v[30:31]
	s_and_saveexec_b64 s[12:13], s[2:3]
	s_cbranch_execz .LBB1695_111
; %bb.105:
	v_mov_b32_e32 v18, s29
	v_addc_co_u32_e64 v19, s[0:1], v19, v18, s[0:1]
	v_add_co_u32_e64 v18, s[0:1], 8, v24
	v_mov_b32_e32 v20, s29
	v_addc_co_u32_e64 v19, s[0:1], 0, v19, s[0:1]
	v_addc_co_u32_e32 v21, vcc, v21, v20, vcc
	v_add_co_u32_e32 v20, vcc, 8, v22
	s_add_u32 s0, s26, -1
	v_addc_co_u32_e32 v21, vcc, 0, v21, vcc
	s_addc_u32 s1, s27, -1
	s_mov_b64 s[2:3], 0
                                        ; implicit-def: $sgpr14_sgpr15
	s_branch .LBB1695_108
.LBB1695_106:                           ;   in Loop: Header=BB1695_108 Depth=1
	global_load_dwordx2 v[22:23], v[20:21], off
	global_load_dwordx2 v[24:25], v[18:19], off
	v_add_co_u32_e32 v18, vcc, 8, v18
	v_addc_co_u32_e32 v19, vcc, 0, v19, vcc
	v_add_co_u32_e32 v20, vcc, 8, v20
	v_addc_co_u32_e32 v21, vcc, 0, v21, vcc
	s_add_u32 s18, s18, 1
	s_addc_u32 s19, s19, 0
	s_andn2_b64 s[14:15], s[14:15], exec
	s_waitcnt vmcnt(0)
	v_cmp_ne_u64_e32 vcc, v[22:23], v[24:25]
	s_and_b64 s[36:37], vcc, exec
	s_or_b64 s[14:15], s[14:15], s[36:37]
.LBB1695_107:                           ;   in Loop: Header=BB1695_108 Depth=1
	s_and_b64 s[36:37], exec, s[14:15]
	s_or_b64 s[2:3], s[36:37], s[2:3]
	v_pk_mov_b32 v[22:23], s[18:19], s[18:19] op_sel:[0,1]
	s_andn2_b64 exec, exec, s[2:3]
	s_cbranch_execz .LBB1695_110
.LBB1695_108:                           ; =>This Inner Loop Header: Depth=1
	s_or_b64 s[14:15], s[14:15], exec
	s_cmp_eq_u64 s[0:1], s[18:19]
	s_cbranch_scc0 .LBB1695_106
; %bb.109:                              ;   in Loop: Header=BB1695_108 Depth=1
                                        ; implicit-def: $vgpr18_vgpr19
                                        ; implicit-def: $vgpr20_vgpr21
	s_mov_b64 s[18:19], s[26:27]
	s_branch .LBB1695_107
.LBB1695_110:
	s_or_b64 exec, exec, s[2:3]
	v_cmp_gt_i64_e32 vcc, s[26:27], v[22:23]
	s_orn2_b64 s[14:15], vcc, exec
.LBB1695_111:
	s_or_b64 exec, exec, s[12:13]
.LBB1695_112:
	s_and_b64 s[18:19], s[14:15], exec
.LBB1695_113:
	s_or_b64 exec, exec, s[8:9]
	v_or_b32_e32 v28, v26, v27
.LBB1695_114:
	s_waitcnt lgkmcnt(0)
	s_mov_b64 s[12:13], -1
	s_cbranch_execnz .LBB1695_203
.LBB1695_115:
	v_lshlrev_b32_e32 v29, 3, v0
	s_mov_b64 s[18:19], 0
	v_cmp_gt_i64_e64 s[14:15], s[26:27], 0
	s_and_b64 vcc, exec, s[34:35]
	ds_write_b64 v29, v[12:13]
	s_cbranch_vccz .LBB1695_123
; %bb.116:
	v_mul_lo_u32 v20, v11, s26
	v_mul_lo_u32 v21, v10, s27
	v_mad_u64_u32 v[18:19], s[0:1], v10, s26, 0
	v_add3_u32 v19, v19, v21, v20
	v_cndmask_b32_e64 v20, 0, 1, s[14:15]
	v_cmp_ne_u32_e64 s[0:1], 1, v20
	s_andn2_b64 vcc, exec, s[14:15]
	v_lshlrev_b64 v[18:19], 3, v[18:19]
	s_cbranch_vccnz .LBB1695_126
; %bb.117:
	v_mul_lo_u32 v22, v13, s26
	v_mul_lo_u32 v23, v12, s27
	v_mad_u64_u32 v[20:21], s[2:3], v12, s26, 0
	v_add3_u32 v21, v21, v23, v22
	v_mov_b32_e32 v23, s29
	v_add_co_u32_e32 v22, vcc, s28, v18
	v_addc_co_u32_e64 v23, s[2:3], v23, v19, vcc
	v_lshlrev_b64 v[20:21], 3, v[20:21]
	v_mov_b32_e32 v25, s29
	v_add_co_u32_e64 v24, s[2:3], s28, v20
	v_addc_co_u32_e64 v25, s[8:9], v25, v21, s[2:3]
	global_load_dwordx2 v[26:27], v[22:23], off
	global_load_dwordx2 v[30:31], v[24:25], off
	s_mov_b64 s[18:19], -1
	s_waitcnt vmcnt(0)
	v_cmp_eq_u64_e64 s[8:9], v[26:27], v[30:31]
	s_and_saveexec_b64 s[36:37], s[8:9]
	s_cbranch_execz .LBB1695_125
; %bb.118:
	v_mov_b32_e32 v20, s29
	v_addc_co_u32_e64 v21, s[2:3], v21, v20, s[2:3]
	v_add_co_u32_e64 v20, s[2:3], 8, v24
	v_mov_b32_e32 v23, s29
	v_addc_co_u32_e64 v21, s[2:3], 0, v21, s[2:3]
	v_addc_co_u32_e32 v23, vcc, v19, v23, vcc
	v_add_co_u32_e32 v22, vcc, 8, v22
	s_add_u32 s2, s26, -1
	v_addc_co_u32_e32 v23, vcc, 0, v23, vcc
	s_addc_u32 s3, s27, -1
	s_mov_b64 s[8:9], 0
	s_mov_b64 s[38:39], 0
                                        ; implicit-def: $sgpr18_sgpr19
	s_branch .LBB1695_121
.LBB1695_119:                           ;   in Loop: Header=BB1695_121 Depth=1
	global_load_dwordx2 v[24:25], v[22:23], off
	global_load_dwordx2 v[26:27], v[20:21], off
	v_add_co_u32_e32 v20, vcc, 8, v20
	v_addc_co_u32_e32 v21, vcc, 0, v21, vcc
	v_add_co_u32_e32 v22, vcc, 8, v22
	v_addc_co_u32_e32 v23, vcc, 0, v23, vcc
	s_add_u32 s38, s38, 1
	s_addc_u32 s39, s39, 0
	s_andn2_b64 s[18:19], s[18:19], exec
	s_waitcnt vmcnt(0)
	v_cmp_ne_u64_e32 vcc, v[24:25], v[26:27]
	s_and_b64 s[40:41], vcc, exec
	s_or_b64 s[18:19], s[18:19], s[40:41]
.LBB1695_120:                           ;   in Loop: Header=BB1695_121 Depth=1
	s_and_b64 s[40:41], exec, s[18:19]
	s_or_b64 s[8:9], s[40:41], s[8:9]
	v_pk_mov_b32 v[24:25], s[38:39], s[38:39] op_sel:[0,1]
	s_andn2_b64 exec, exec, s[8:9]
	s_cbranch_execz .LBB1695_124
.LBB1695_121:                           ; =>This Inner Loop Header: Depth=1
	s_or_b64 s[18:19], s[18:19], exec
	s_cmp_eq_u64 s[2:3], s[38:39]
	s_cbranch_scc0 .LBB1695_119
; %bb.122:                              ;   in Loop: Header=BB1695_121 Depth=1
                                        ; implicit-def: $vgpr20_vgpr21
                                        ; implicit-def: $vgpr22_vgpr23
	s_mov_b64 s[38:39], s[26:27]
	s_branch .LBB1695_120
.LBB1695_123:
                                        ; implicit-def: $sgpr18_sgpr19
                                        ; implicit-def: $vgpr28
	s_cbranch_execnz .LBB1695_156
	s_branch .LBB1695_203
.LBB1695_124:
	s_or_b64 exec, exec, s[8:9]
	v_cmp_gt_i64_e32 vcc, s[26:27], v[24:25]
	s_orn2_b64 s[18:19], vcc, exec
.LBB1695_125:
	s_or_b64 exec, exec, s[36:37]
.LBB1695_126:
	v_mul_lo_u32 v22, v17, s26
	v_mul_lo_u32 v23, v16, s27
	v_mad_u64_u32 v[20:21], s[2:3], v16, s26, 0
	v_add3_u32 v21, v21, v23, v22
	s_mov_b64 s[36:37], 0
	s_and_b64 vcc, exec, s[0:1]
	v_lshlrev_b64 v[20:21], 3, v[20:21]
	s_mov_b64 s[38:39], 0
	s_cbranch_vccnz .LBB1695_135
; %bb.127:
	v_mov_b32_e32 v23, s29
	v_add_co_u32_e32 v22, vcc, s28, v20
	v_addc_co_u32_e64 v23, s[2:3], v23, v21, vcc
	v_mov_b32_e32 v25, s29
	v_add_co_u32_e64 v24, s[2:3], s28, v18
	v_addc_co_u32_e64 v25, s[8:9], v25, v19, s[2:3]
	global_load_dwordx2 v[26:27], v[22:23], off
	global_load_dwordx2 v[30:31], v[24:25], off
	s_mov_b64 s[38:39], -1
	s_waitcnt vmcnt(0)
	v_cmp_eq_u64_e64 s[8:9], v[26:27], v[30:31]
	s_and_saveexec_b64 s[40:41], s[8:9]
	s_cbranch_execz .LBB1695_134
; %bb.128:
	v_mov_b32_e32 v18, s29
	v_addc_co_u32_e64 v19, s[2:3], v19, v18, s[2:3]
	v_add_co_u32_e64 v18, s[2:3], 8, v24
	v_mov_b32_e32 v23, s29
	v_addc_co_u32_e64 v19, s[2:3], 0, v19, s[2:3]
	v_addc_co_u32_e32 v23, vcc, v21, v23, vcc
	v_add_co_u32_e32 v22, vcc, 8, v22
	s_add_u32 s2, s26, -1
	v_addc_co_u32_e32 v23, vcc, 0, v23, vcc
	s_addc_u32 s3, s27, -1
	s_mov_b64 s[8:9], 0
	s_mov_b64 s[42:43], 0
                                        ; implicit-def: $sgpr38_sgpr39
	s_branch .LBB1695_131
.LBB1695_129:                           ;   in Loop: Header=BB1695_131 Depth=1
	global_load_dwordx2 v[24:25], v[22:23], off
	global_load_dwordx2 v[26:27], v[18:19], off
	v_add_co_u32_e32 v18, vcc, 8, v18
	v_addc_co_u32_e32 v19, vcc, 0, v19, vcc
	v_add_co_u32_e32 v22, vcc, 8, v22
	v_addc_co_u32_e32 v23, vcc, 0, v23, vcc
	s_add_u32 s42, s42, 1
	s_addc_u32 s43, s43, 0
	s_andn2_b64 s[38:39], s[38:39], exec
	s_waitcnt vmcnt(0)
	v_cmp_ne_u64_e32 vcc, v[24:25], v[26:27]
	s_and_b64 s[44:45], vcc, exec
	s_or_b64 s[38:39], s[38:39], s[44:45]
.LBB1695_130:                           ;   in Loop: Header=BB1695_131 Depth=1
	s_and_b64 s[44:45], exec, s[38:39]
	s_or_b64 s[8:9], s[44:45], s[8:9]
	v_pk_mov_b32 v[24:25], s[42:43], s[42:43] op_sel:[0,1]
	s_andn2_b64 exec, exec, s[8:9]
	s_cbranch_execz .LBB1695_133
.LBB1695_131:                           ; =>This Inner Loop Header: Depth=1
	s_or_b64 s[38:39], s[38:39], exec
	s_cmp_eq_u64 s[2:3], s[42:43]
	s_cbranch_scc0 .LBB1695_129
; %bb.132:                              ;   in Loop: Header=BB1695_131 Depth=1
                                        ; implicit-def: $vgpr18_vgpr19
                                        ; implicit-def: $vgpr22_vgpr23
	s_mov_b64 s[42:43], s[26:27]
	s_branch .LBB1695_130
.LBB1695_133:
	s_or_b64 exec, exec, s[8:9]
	v_cmp_gt_i64_e32 vcc, s[26:27], v[24:25]
	s_orn2_b64 s[38:39], vcc, exec
.LBB1695_134:
	s_or_b64 exec, exec, s[40:41]
.LBB1695_135:
	v_mul_lo_u32 v22, v15, s26
	v_mul_lo_u32 v23, v14, s27
	v_mad_u64_u32 v[18:19], s[2:3], v14, s26, 0
	s_and_b64 vcc, exec, s[0:1]
	v_add3_u32 v19, v19, v23, v22
	s_cbranch_vccnz .LBB1695_144
; %bb.136:
	v_lshlrev_b64 v[22:23], 3, v[18:19]
	v_mov_b32_e32 v25, s29
	v_add_co_u32_e32 v24, vcc, s28, v22
	v_addc_co_u32_e64 v25, s[2:3], v25, v23, vcc
	v_mov_b32_e32 v22, s29
	v_add_co_u32_e64 v26, s[2:3], s28, v20
	v_addc_co_u32_e64 v27, s[8:9], v22, v21, s[2:3]
	global_load_dwordx2 v[30:31], v[24:25], off
	global_load_dwordx2 v[32:33], v[26:27], off
	s_mov_b64 s[36:37], -1
	s_waitcnt vmcnt(0)
	v_cmp_eq_u64_e64 s[8:9], v[30:31], v[32:33]
	s_and_saveexec_b64 s[40:41], s[8:9]
	s_cbranch_execz .LBB1695_143
; %bb.137:
	v_mov_b32_e32 v20, s29
	v_addc_co_u32_e64 v21, s[2:3], v21, v20, s[2:3]
	v_add_co_u32_e64 v20, s[2:3], 8, v26
	v_mov_b32_e32 v22, s29
	v_addc_co_u32_e64 v21, s[2:3], 0, v21, s[2:3]
	v_addc_co_u32_e32 v23, vcc, v23, v22, vcc
	v_add_co_u32_e32 v22, vcc, 8, v24
	s_add_u32 s2, s26, -1
	v_addc_co_u32_e32 v23, vcc, 0, v23, vcc
	s_addc_u32 s3, s27, -1
	s_mov_b64 s[8:9], 0
	s_mov_b64 s[42:43], 0
                                        ; implicit-def: $sgpr36_sgpr37
	s_branch .LBB1695_140
.LBB1695_138:                           ;   in Loop: Header=BB1695_140 Depth=1
	global_load_dwordx2 v[24:25], v[22:23], off
	global_load_dwordx2 v[26:27], v[20:21], off
	v_add_co_u32_e32 v20, vcc, 8, v20
	v_addc_co_u32_e32 v21, vcc, 0, v21, vcc
	v_add_co_u32_e32 v22, vcc, 8, v22
	v_addc_co_u32_e32 v23, vcc, 0, v23, vcc
	s_add_u32 s42, s42, 1
	s_addc_u32 s43, s43, 0
	s_andn2_b64 s[36:37], s[36:37], exec
	s_waitcnt vmcnt(0)
	v_cmp_ne_u64_e32 vcc, v[24:25], v[26:27]
	s_and_b64 s[44:45], vcc, exec
	s_or_b64 s[36:37], s[36:37], s[44:45]
.LBB1695_139:                           ;   in Loop: Header=BB1695_140 Depth=1
	s_and_b64 s[44:45], exec, s[36:37]
	s_or_b64 s[8:9], s[44:45], s[8:9]
	v_pk_mov_b32 v[24:25], s[42:43], s[42:43] op_sel:[0,1]
	s_andn2_b64 exec, exec, s[8:9]
	s_cbranch_execz .LBB1695_142
.LBB1695_140:                           ; =>This Inner Loop Header: Depth=1
	s_or_b64 s[36:37], s[36:37], exec
	s_cmp_eq_u64 s[2:3], s[42:43]
	s_cbranch_scc0 .LBB1695_138
; %bb.141:                              ;   in Loop: Header=BB1695_140 Depth=1
                                        ; implicit-def: $vgpr20_vgpr21
                                        ; implicit-def: $vgpr22_vgpr23
	s_mov_b64 s[42:43], s[26:27]
	s_branch .LBB1695_139
.LBB1695_142:
	s_or_b64 exec, exec, s[8:9]
	v_cmp_gt_i64_e32 vcc, s[26:27], v[24:25]
	s_orn2_b64 s[36:37], vcc, exec
.LBB1695_143:
	s_or_b64 exec, exec, s[40:41]
.LBB1695_144:
	v_cndmask_b32_e64 v21, 0, 1, s[18:19]
	v_cndmask_b32_e64 v22, 0, 1, s[36:37]
	;; [unrolled: 1-line block ×3, first 2 shown]
	v_lshlrev_b16_e32 v22, 8, v22
	v_lshlrev_b16_e32 v21, 8, v21
	v_or_b32_e32 v22, 1, v22
	v_or_b32_sdwa v20, v20, v21 dst_sel:WORD_1 dst_unused:UNUSED_PAD src0_sel:DWORD src1_sel:DWORD
	v_or_b32_sdwa v28, v22, v20 dst_sel:DWORD dst_unused:UNUSED_PAD src0_sel:WORD_0 src1_sel:DWORD
	v_cmp_ne_u32_e32 vcc, 0, v0
	s_waitcnt lgkmcnt(0)
	s_barrier
	s_waitcnt lgkmcnt(0)
                                        ; implicit-def: $sgpr18_sgpr19
	s_and_saveexec_b64 s[2:3], vcc
	s_xor_b64 s[8:9], exec, s[2:3]
	s_cbranch_execz .LBB1695_155
; %bb.145:
	s_and_b64 vcc, exec, s[0:1]
	s_mov_b64 s[36:37], 0
	s_cbranch_vccnz .LBB1695_154
; %bb.146:
	v_add_u32_e32 v20, -8, v29
	ds_read_b64 v[20:21], v20
	v_mov_b32_e32 v23, s29
	v_lshlrev_b64 v[18:19], 3, v[18:19]
	s_mov_b64 s[36:37], -1
	s_waitcnt lgkmcnt(0)
	v_mul_lo_u32 v22, v21, s26
	v_mul_lo_u32 v24, v20, s27
	v_mad_u64_u32 v[20:21], s[0:1], v20, s26, 0
	v_add3_u32 v21, v21, v24, v22
	v_lshlrev_b64 v[20:21], 3, v[20:21]
	v_add_co_u32_e32 v22, vcc, s28, v20
	v_addc_co_u32_e64 v23, s[0:1], v23, v21, vcc
	v_mov_b32_e32 v20, s29
	v_add_co_u32_e64 v24, s[0:1], s28, v18
	v_addc_co_u32_e64 v25, s[2:3], v20, v19, s[0:1]
	global_load_dwordx2 v[26:27], v[22:23], off
	global_load_dwordx2 v[30:31], v[24:25], off
	s_waitcnt vmcnt(0)
	v_cmp_eq_u64_e64 s[2:3], v[26:27], v[30:31]
	s_and_saveexec_b64 s[18:19], s[2:3]
	s_cbranch_execz .LBB1695_153
; %bb.147:
	v_mov_b32_e32 v18, s29
	v_addc_co_u32_e64 v19, s[0:1], v19, v18, s[0:1]
	v_add_co_u32_e64 v18, s[0:1], 8, v24
	v_mov_b32_e32 v20, s29
	v_addc_co_u32_e64 v19, s[0:1], 0, v19, s[0:1]
	v_addc_co_u32_e32 v21, vcc, v21, v20, vcc
	v_add_co_u32_e32 v20, vcc, 8, v22
	s_add_u32 s0, s26, -1
	v_addc_co_u32_e32 v21, vcc, 0, v21, vcc
	s_addc_u32 s1, s27, -1
	s_mov_b64 s[2:3], 0
	s_mov_b64 s[38:39], 0
                                        ; implicit-def: $sgpr36_sgpr37
	s_branch .LBB1695_150
.LBB1695_148:                           ;   in Loop: Header=BB1695_150 Depth=1
	global_load_dwordx2 v[22:23], v[20:21], off
	global_load_dwordx2 v[24:25], v[18:19], off
	v_add_co_u32_e32 v18, vcc, 8, v18
	v_addc_co_u32_e32 v19, vcc, 0, v19, vcc
	v_add_co_u32_e32 v20, vcc, 8, v20
	v_addc_co_u32_e32 v21, vcc, 0, v21, vcc
	s_add_u32 s38, s38, 1
	s_addc_u32 s39, s39, 0
	s_andn2_b64 s[36:37], s[36:37], exec
	s_waitcnt vmcnt(0)
	v_cmp_ne_u64_e32 vcc, v[22:23], v[24:25]
	s_and_b64 s[40:41], vcc, exec
	s_or_b64 s[36:37], s[36:37], s[40:41]
.LBB1695_149:                           ;   in Loop: Header=BB1695_150 Depth=1
	s_and_b64 s[40:41], exec, s[36:37]
	s_or_b64 s[2:3], s[40:41], s[2:3]
	v_pk_mov_b32 v[22:23], s[38:39], s[38:39] op_sel:[0,1]
	s_andn2_b64 exec, exec, s[2:3]
	s_cbranch_execz .LBB1695_152
.LBB1695_150:                           ; =>This Inner Loop Header: Depth=1
	s_or_b64 s[36:37], s[36:37], exec
	s_cmp_eq_u64 s[0:1], s[38:39]
	s_cbranch_scc0 .LBB1695_148
; %bb.151:                              ;   in Loop: Header=BB1695_150 Depth=1
                                        ; implicit-def: $vgpr18_vgpr19
                                        ; implicit-def: $vgpr20_vgpr21
	s_mov_b64 s[38:39], s[26:27]
	s_branch .LBB1695_149
.LBB1695_152:
	s_or_b64 exec, exec, s[2:3]
	v_cmp_gt_i64_e32 vcc, s[26:27], v[22:23]
	s_orn2_b64 s[36:37], vcc, exec
.LBB1695_153:
	s_or_b64 exec, exec, s[18:19]
.LBB1695_154:
	s_and_b64 s[18:19], s[36:37], exec
	s_or_b64 s[12:13], s[12:13], exec
.LBB1695_155:
	s_or_b64 exec, exec, s[8:9]
	s_branch .LBB1695_203
.LBB1695_156:
	v_or_b32_e32 v18, 3, v1
	v_cmp_gt_u32_e32 vcc, s7, v18
	s_mov_b64 s[18:19], 0
	s_mov_b64 s[8:9], 0
	s_and_saveexec_b64 s[36:37], vcc
	s_cbranch_execz .LBB1695_167
; %bb.157:
	s_andn2_b64 vcc, exec, s[14:15]
	s_mov_b64 s[38:39], 0
	s_cbranch_vccnz .LBB1695_166
; %bb.158:
	v_mul_lo_u32 v20, v11, s26
	v_mul_lo_u32 v21, v10, s27
	v_mad_u64_u32 v[18:19], s[0:1], v10, s26, 0
	v_add3_u32 v19, v19, v21, v20
	v_mul_lo_u32 v20, v13, s26
	v_mul_lo_u32 v21, v12, s27
	v_mad_u64_u32 v[24:25], s[0:1], v12, s26, 0
	v_add3_u32 v25, v25, v21, v20
	v_lshlrev_b64 v[20:21], 3, v[18:19]
	v_mov_b32_e32 v18, s29
	v_add_co_u32_e32 v22, vcc, s28, v20
	v_addc_co_u32_e64 v23, s[0:1], v18, v21, vcc
	v_lshlrev_b64 v[18:19], 3, v[24:25]
	v_mov_b32_e32 v20, s29
	v_add_co_u32_e64 v24, s[0:1], s28, v18
	v_addc_co_u32_e64 v25, s[2:3], v20, v19, s[0:1]
	global_load_dwordx2 v[26:27], v[22:23], off
	global_load_dwordx2 v[30:31], v[24:25], off
	s_mov_b64 s[38:39], -1
	s_waitcnt vmcnt(0)
	v_cmp_eq_u64_e64 s[2:3], v[26:27], v[30:31]
	s_and_saveexec_b64 s[8:9], s[2:3]
	s_cbranch_execz .LBB1695_165
; %bb.159:
	v_mov_b32_e32 v18, s29
	v_addc_co_u32_e64 v19, s[0:1], v19, v18, s[0:1]
	v_add_co_u32_e64 v18, s[0:1], 8, v24
	v_mov_b32_e32 v20, s29
	v_addc_co_u32_e64 v19, s[0:1], 0, v19, s[0:1]
	v_addc_co_u32_e32 v21, vcc, v21, v20, vcc
	v_add_co_u32_e32 v20, vcc, 8, v22
	s_add_u32 s0, s26, -1
	v_addc_co_u32_e32 v21, vcc, 0, v21, vcc
	s_addc_u32 s1, s27, -1
	s_mov_b64 s[2:3], 0
	s_mov_b64 s[40:41], 0
                                        ; implicit-def: $sgpr38_sgpr39
	s_branch .LBB1695_162
.LBB1695_160:                           ;   in Loop: Header=BB1695_162 Depth=1
	global_load_dwordx2 v[22:23], v[20:21], off
	global_load_dwordx2 v[24:25], v[18:19], off
	v_add_co_u32_e32 v18, vcc, 8, v18
	v_addc_co_u32_e32 v19, vcc, 0, v19, vcc
	v_add_co_u32_e32 v20, vcc, 8, v20
	v_addc_co_u32_e32 v21, vcc, 0, v21, vcc
	s_add_u32 s40, s40, 1
	s_addc_u32 s41, s41, 0
	s_andn2_b64 s[38:39], s[38:39], exec
	s_waitcnt vmcnt(0)
	v_cmp_ne_u64_e32 vcc, v[22:23], v[24:25]
	s_and_b64 s[42:43], vcc, exec
	s_or_b64 s[38:39], s[38:39], s[42:43]
.LBB1695_161:                           ;   in Loop: Header=BB1695_162 Depth=1
	s_and_b64 s[42:43], exec, s[38:39]
	s_or_b64 s[2:3], s[42:43], s[2:3]
	v_pk_mov_b32 v[22:23], s[40:41], s[40:41] op_sel:[0,1]
	s_andn2_b64 exec, exec, s[2:3]
	s_cbranch_execz .LBB1695_164
.LBB1695_162:                           ; =>This Inner Loop Header: Depth=1
	s_or_b64 s[38:39], s[38:39], exec
	s_cmp_eq_u64 s[0:1], s[40:41]
	s_cbranch_scc0 .LBB1695_160
; %bb.163:                              ;   in Loop: Header=BB1695_162 Depth=1
                                        ; implicit-def: $vgpr18_vgpr19
                                        ; implicit-def: $vgpr20_vgpr21
	s_mov_b64 s[40:41], s[26:27]
	s_branch .LBB1695_161
.LBB1695_164:
	s_or_b64 exec, exec, s[2:3]
	v_cmp_gt_i64_e32 vcc, s[26:27], v[22:23]
	s_orn2_b64 s[38:39], vcc, exec
.LBB1695_165:
	s_or_b64 exec, exec, s[8:9]
.LBB1695_166:
	s_and_b64 s[8:9], s[38:39], exec
.LBB1695_167:
	s_or_b64 exec, exec, s[36:37]
	v_or_b32_e32 v18, 2, v1
	v_cmp_gt_u32_e32 vcc, s7, v18
	s_and_saveexec_b64 s[36:37], vcc
	s_cbranch_execz .LBB1695_178
; %bb.168:
	s_andn2_b64 vcc, exec, s[14:15]
	s_mov_b64 s[38:39], 0
	s_cbranch_vccnz .LBB1695_177
; %bb.169:
	v_mul_lo_u32 v20, v17, s26
	v_mul_lo_u32 v21, v16, s27
	v_mad_u64_u32 v[18:19], s[0:1], v16, s26, 0
	v_add3_u32 v19, v19, v21, v20
	v_mul_lo_u32 v20, v11, s26
	v_mul_lo_u32 v21, v10, s27
	v_mad_u64_u32 v[24:25], s[0:1], v10, s26, 0
	v_add3_u32 v25, v25, v21, v20
	v_lshlrev_b64 v[20:21], 3, v[18:19]
	v_mov_b32_e32 v18, s29
	v_add_co_u32_e32 v22, vcc, s28, v20
	v_addc_co_u32_e64 v23, s[0:1], v18, v21, vcc
	v_lshlrev_b64 v[18:19], 3, v[24:25]
	v_mov_b32_e32 v20, s29
	v_add_co_u32_e64 v24, s[0:1], s28, v18
	v_addc_co_u32_e64 v25, s[2:3], v20, v19, s[0:1]
	global_load_dwordx2 v[26:27], v[22:23], off
	global_load_dwordx2 v[30:31], v[24:25], off
	s_mov_b64 s[38:39], -1
	s_waitcnt vmcnt(0)
	v_cmp_eq_u64_e64 s[2:3], v[26:27], v[30:31]
	s_and_saveexec_b64 s[18:19], s[2:3]
	s_cbranch_execz .LBB1695_176
; %bb.170:
	v_mov_b32_e32 v18, s29
	v_addc_co_u32_e64 v19, s[0:1], v19, v18, s[0:1]
	v_add_co_u32_e64 v18, s[0:1], 8, v24
	v_mov_b32_e32 v20, s29
	v_addc_co_u32_e64 v19, s[0:1], 0, v19, s[0:1]
	v_addc_co_u32_e32 v21, vcc, v21, v20, vcc
	v_add_co_u32_e32 v20, vcc, 8, v22
	s_add_u32 s0, s26, -1
	v_addc_co_u32_e32 v21, vcc, 0, v21, vcc
	s_addc_u32 s1, s27, -1
	s_mov_b64 s[2:3], 0
	s_mov_b64 s[40:41], 0
                                        ; implicit-def: $sgpr38_sgpr39
	s_branch .LBB1695_173
.LBB1695_171:                           ;   in Loop: Header=BB1695_173 Depth=1
	global_load_dwordx2 v[22:23], v[20:21], off
	global_load_dwordx2 v[24:25], v[18:19], off
	v_add_co_u32_e32 v18, vcc, 8, v18
	v_addc_co_u32_e32 v19, vcc, 0, v19, vcc
	v_add_co_u32_e32 v20, vcc, 8, v20
	v_addc_co_u32_e32 v21, vcc, 0, v21, vcc
	s_add_u32 s40, s40, 1
	s_addc_u32 s41, s41, 0
	s_andn2_b64 s[38:39], s[38:39], exec
	s_waitcnt vmcnt(0)
	v_cmp_ne_u64_e32 vcc, v[22:23], v[24:25]
	s_and_b64 s[42:43], vcc, exec
	s_or_b64 s[38:39], s[38:39], s[42:43]
.LBB1695_172:                           ;   in Loop: Header=BB1695_173 Depth=1
	s_and_b64 s[42:43], exec, s[38:39]
	s_or_b64 s[2:3], s[42:43], s[2:3]
	v_pk_mov_b32 v[22:23], s[40:41], s[40:41] op_sel:[0,1]
	s_andn2_b64 exec, exec, s[2:3]
	s_cbranch_execz .LBB1695_175
.LBB1695_173:                           ; =>This Inner Loop Header: Depth=1
	s_or_b64 s[38:39], s[38:39], exec
	s_cmp_eq_u64 s[0:1], s[40:41]
	s_cbranch_scc0 .LBB1695_171
; %bb.174:                              ;   in Loop: Header=BB1695_173 Depth=1
                                        ; implicit-def: $vgpr18_vgpr19
                                        ; implicit-def: $vgpr20_vgpr21
	s_mov_b64 s[40:41], s[26:27]
	s_branch .LBB1695_172
.LBB1695_175:
	s_or_b64 exec, exec, s[2:3]
	v_cmp_gt_i64_e32 vcc, s[26:27], v[22:23]
	s_orn2_b64 s[38:39], vcc, exec
.LBB1695_176:
	s_or_b64 exec, exec, s[18:19]
.LBB1695_177:
	s_and_b64 s[18:19], s[38:39], exec
.LBB1695_178:
	s_or_b64 exec, exec, s[36:37]
	v_or_b32_e32 v18, 1, v1
	v_cmp_gt_u32_e32 vcc, s7, v18
	s_mov_b64 s[0:1], 0
	s_and_saveexec_b64 s[36:37], vcc
	s_cbranch_execz .LBB1695_189
; %bb.179:
	s_andn2_b64 vcc, exec, s[14:15]
	s_mov_b64 s[40:41], 0
	s_cbranch_vccnz .LBB1695_188
; %bb.180:
	v_mul_lo_u32 v20, v15, s26
	v_mul_lo_u32 v21, v14, s27
	v_mad_u64_u32 v[18:19], s[0:1], v14, s26, 0
	v_add3_u32 v19, v19, v21, v20
	v_mul_lo_u32 v20, v17, s26
	v_mul_lo_u32 v21, v16, s27
	v_mad_u64_u32 v[24:25], s[0:1], v16, s26, 0
	v_add3_u32 v25, v25, v21, v20
	v_lshlrev_b64 v[20:21], 3, v[18:19]
	v_mov_b32_e32 v18, s29
	v_add_co_u32_e32 v22, vcc, s28, v20
	v_addc_co_u32_e64 v23, s[0:1], v18, v21, vcc
	v_lshlrev_b64 v[18:19], 3, v[24:25]
	v_mov_b32_e32 v20, s29
	v_add_co_u32_e64 v24, s[0:1], s28, v18
	v_addc_co_u32_e64 v25, s[2:3], v20, v19, s[0:1]
	global_load_dwordx2 v[26:27], v[22:23], off
	global_load_dwordx2 v[30:31], v[24:25], off
	s_mov_b64 s[40:41], -1
	s_waitcnt vmcnt(0)
	v_cmp_eq_u64_e64 s[2:3], v[26:27], v[30:31]
	s_and_saveexec_b64 s[38:39], s[2:3]
	s_cbranch_execz .LBB1695_187
; %bb.181:
	v_mov_b32_e32 v18, s29
	v_addc_co_u32_e64 v19, s[0:1], v19, v18, s[0:1]
	v_add_co_u32_e64 v18, s[0:1], 8, v24
	v_mov_b32_e32 v20, s29
	v_addc_co_u32_e64 v19, s[0:1], 0, v19, s[0:1]
	v_addc_co_u32_e32 v21, vcc, v21, v20, vcc
	v_add_co_u32_e32 v20, vcc, 8, v22
	s_add_u32 s0, s26, -1
	v_addc_co_u32_e32 v21, vcc, 0, v21, vcc
	s_addc_u32 s1, s27, -1
	s_mov_b64 s[2:3], 0
	s_mov_b64 s[42:43], 0
                                        ; implicit-def: $sgpr40_sgpr41
	s_branch .LBB1695_184
.LBB1695_182:                           ;   in Loop: Header=BB1695_184 Depth=1
	global_load_dwordx2 v[22:23], v[20:21], off
	global_load_dwordx2 v[24:25], v[18:19], off
	v_add_co_u32_e32 v18, vcc, 8, v18
	v_addc_co_u32_e32 v19, vcc, 0, v19, vcc
	v_add_co_u32_e32 v20, vcc, 8, v20
	v_addc_co_u32_e32 v21, vcc, 0, v21, vcc
	s_add_u32 s42, s42, 1
	s_addc_u32 s43, s43, 0
	s_andn2_b64 s[40:41], s[40:41], exec
	s_waitcnt vmcnt(0)
	v_cmp_ne_u64_e32 vcc, v[22:23], v[24:25]
	s_and_b64 s[44:45], vcc, exec
	s_or_b64 s[40:41], s[40:41], s[44:45]
.LBB1695_183:                           ;   in Loop: Header=BB1695_184 Depth=1
	s_and_b64 s[44:45], exec, s[40:41]
	s_or_b64 s[2:3], s[44:45], s[2:3]
	v_pk_mov_b32 v[22:23], s[42:43], s[42:43] op_sel:[0,1]
	s_andn2_b64 exec, exec, s[2:3]
	s_cbranch_execz .LBB1695_186
.LBB1695_184:                           ; =>This Inner Loop Header: Depth=1
	s_or_b64 s[40:41], s[40:41], exec
	s_cmp_eq_u64 s[0:1], s[42:43]
	s_cbranch_scc0 .LBB1695_182
; %bb.185:                              ;   in Loop: Header=BB1695_184 Depth=1
                                        ; implicit-def: $vgpr18_vgpr19
                                        ; implicit-def: $vgpr20_vgpr21
	s_mov_b64 s[42:43], s[26:27]
	s_branch .LBB1695_183
.LBB1695_186:
	s_or_b64 exec, exec, s[2:3]
	v_cmp_gt_i64_e32 vcc, s[26:27], v[22:23]
	s_orn2_b64 s[40:41], vcc, exec
.LBB1695_187:
	s_or_b64 exec, exec, s[38:39]
.LBB1695_188:
	s_and_b64 s[0:1], s[40:41], exec
.LBB1695_189:
	s_or_b64 exec, exec, s[36:37]
	v_cndmask_b32_e64 v19, 0, 1, s[8:9]
	v_cndmask_b32_e64 v20, 0, 1, s[0:1]
	;; [unrolled: 1-line block ×3, first 2 shown]
	v_lshlrev_b16_e32 v20, 8, v20
	v_lshlrev_b16_e32 v19, 8, v19
	v_or_b32_e32 v20, 1, v20
	v_or_b32_sdwa v18, v18, v19 dst_sel:WORD_1 dst_unused:UNUSED_PAD src0_sel:DWORD src1_sel:DWORD
	v_or_b32_sdwa v28, v20, v18 dst_sel:DWORD dst_unused:UNUSED_PAD src0_sel:WORD_0 src1_sel:DWORD
	v_cmp_ne_u32_e32 vcc, 0, v0
	s_waitcnt lgkmcnt(0)
	s_barrier
	s_waitcnt lgkmcnt(0)
                                        ; implicit-def: $sgpr18_sgpr19
	s_and_saveexec_b64 s[8:9], vcc
	s_cbranch_execz .LBB1695_202
; %bb.190:
	v_cmp_gt_u32_e32 vcc, s7, v1
	s_mov_b64 s[0:1], 0
	s_and_saveexec_b64 s[18:19], vcc
	s_cbranch_execz .LBB1695_201
; %bb.191:
	s_andn2_b64 vcc, exec, s[14:15]
	s_mov_b64 s[36:37], 0
	s_cbranch_vccnz .LBB1695_200
; %bb.192:
	v_add_u32_e32 v18, -8, v29
	ds_read_b64 v[18:19], v18
	v_mul_lo_u32 v20, v15, s26
	v_mad_u64_u32 v[24:25], s[0:1], v14, s26, 0
	s_mov_b64 s[36:37], -1
	s_waitcnt lgkmcnt(0)
	v_mul_lo_u32 v21, v19, s26
	v_mul_lo_u32 v22, v18, s27
	v_mad_u64_u32 v[18:19], s[0:1], v18, s26, 0
	v_add3_u32 v19, v19, v22, v21
	v_mul_lo_u32 v21, v14, s27
	v_add3_u32 v25, v25, v21, v20
	v_lshlrev_b64 v[20:21], 3, v[18:19]
	v_mov_b32_e32 v18, s29
	v_add_co_u32_e32 v22, vcc, s28, v20
	v_addc_co_u32_e64 v23, s[0:1], v18, v21, vcc
	v_lshlrev_b64 v[18:19], 3, v[24:25]
	v_mov_b32_e32 v20, s29
	v_add_co_u32_e64 v24, s[0:1], s28, v18
	v_addc_co_u32_e64 v25, s[2:3], v20, v19, s[0:1]
	global_load_dwordx2 v[26:27], v[22:23], off
	global_load_dwordx2 v[30:31], v[24:25], off
	s_waitcnt vmcnt(0)
	v_cmp_eq_u64_e64 s[2:3], v[26:27], v[30:31]
	s_and_saveexec_b64 s[14:15], s[2:3]
	s_cbranch_execz .LBB1695_199
; %bb.193:
	v_mov_b32_e32 v18, s29
	v_addc_co_u32_e64 v19, s[0:1], v19, v18, s[0:1]
	v_add_co_u32_e64 v18, s[0:1], 8, v24
	v_mov_b32_e32 v20, s29
	v_addc_co_u32_e64 v19, s[0:1], 0, v19, s[0:1]
	v_addc_co_u32_e32 v21, vcc, v21, v20, vcc
	v_add_co_u32_e32 v20, vcc, 8, v22
	s_add_u32 s0, s26, -1
	v_addc_co_u32_e32 v21, vcc, 0, v21, vcc
	s_addc_u32 s1, s27, -1
	s_mov_b64 s[2:3], 0
	s_mov_b64 s[36:37], 0
                                        ; implicit-def: $sgpr28_sgpr29
	s_branch .LBB1695_196
.LBB1695_194:                           ;   in Loop: Header=BB1695_196 Depth=1
	global_load_dwordx2 v[22:23], v[20:21], off
	global_load_dwordx2 v[24:25], v[18:19], off
	v_add_co_u32_e32 v18, vcc, 8, v18
	v_addc_co_u32_e32 v19, vcc, 0, v19, vcc
	v_add_co_u32_e32 v20, vcc, 8, v20
	v_addc_co_u32_e32 v21, vcc, 0, v21, vcc
	s_add_u32 s36, s36, 1
	s_addc_u32 s37, s37, 0
	s_andn2_b64 s[28:29], s[28:29], exec
	s_waitcnt vmcnt(0)
	v_cmp_ne_u64_e32 vcc, v[22:23], v[24:25]
	s_and_b64 s[38:39], vcc, exec
	s_or_b64 s[28:29], s[28:29], s[38:39]
.LBB1695_195:                           ;   in Loop: Header=BB1695_196 Depth=1
	s_and_b64 s[38:39], exec, s[28:29]
	s_or_b64 s[2:3], s[38:39], s[2:3]
	v_pk_mov_b32 v[22:23], s[36:37], s[36:37] op_sel:[0,1]
	s_andn2_b64 exec, exec, s[2:3]
	s_cbranch_execz .LBB1695_198
.LBB1695_196:                           ; =>This Inner Loop Header: Depth=1
	s_or_b64 s[28:29], s[28:29], exec
	s_cmp_eq_u64 s[0:1], s[36:37]
	s_cbranch_scc0 .LBB1695_194
; %bb.197:                              ;   in Loop: Header=BB1695_196 Depth=1
                                        ; implicit-def: $vgpr18_vgpr19
                                        ; implicit-def: $vgpr20_vgpr21
	s_mov_b64 s[36:37], s[26:27]
	s_branch .LBB1695_195
.LBB1695_198:
	s_or_b64 exec, exec, s[2:3]
	v_cmp_gt_i64_e32 vcc, s[26:27], v[22:23]
	s_orn2_b64 s[36:37], vcc, exec
.LBB1695_199:
	s_or_b64 exec, exec, s[14:15]
.LBB1695_200:
	s_and_b64 s[0:1], s[36:37], exec
.LBB1695_201:
	s_or_b64 exec, exec, s[18:19]
	s_and_b64 s[18:19], s[0:1], exec
	s_or_b64 s[12:13], s[12:13], exec
.LBB1695_202:
	s_or_b64 exec, exec, s[8:9]
.LBB1695_203:
	s_and_saveexec_b64 s[0:1], s[12:13]
; %bb.204:
	v_and_b32_e32 v18, 0xffffff00, v28
	v_cndmask_b32_e64 v19, 0, 1, s[18:19]
	v_or_b32_e32 v18, v19, v18
	v_and_b32_e32 v18, 0xffff, v18
	s_mov_b32 s2, 0xffff0000
	v_and_or_b32 v28, v28, s2, v18
; %bb.205:
	s_or_b64 exec, exec, s[0:1]
	s_andn2_b64 vcc, exec, s[10:11]
	s_cbranch_vccnz .LBB1695_207
; %bb.206:
	v_cmp_gt_u32_e32 vcc, s7, v1
	v_cndmask_b32_e32 v18, 0, v28, vcc
	v_or_b32_e32 v19, 1, v1
	v_and_b32_e32 v18, 0xff, v18
	v_cmp_gt_u32_e32 vcc, s7, v19
	v_cndmask_b32_e32 v18, v18, v28, vcc
	v_or_b32_e32 v19, 2, v1
	v_and_b32_e32 v18, 0xffff, v18
	;; [unrolled: 4-line block ×3, first 2 shown]
	v_cmp_gt_u32_e32 vcc, s7, v19
	v_cndmask_b32_e32 v28, v18, v28, vcc
.LBB1695_207:
	v_bfe_u32 v30, v28, 16, 8
	v_lshrrev_b32_e32 v29, 24, v28
	v_add_u32_sdwa v18, v28, v28 dst_sel:DWORD dst_unused:UNUSED_PAD src0_sel:BYTE_1 src1_sel:BYTE_0
	v_add3_u32 v33, v18, v30, v29
	v_mbcnt_lo_u32_b32 v18, -1, 0
	v_mbcnt_hi_u32_b32 v31, -1, v18
	v_and_b32_e32 v18, 15, v31
	v_cmp_eq_u32_e64 s[14:15], 0, v18
	v_cmp_lt_u32_e64 s[12:13], 1, v18
	v_cmp_lt_u32_e64 s[10:11], 3, v18
	;; [unrolled: 1-line block ×3, first 2 shown]
	v_and_b32_e32 v18, 16, v31
	v_cmp_eq_u32_e64 s[18:19], 0, v18
	v_or_b32_e32 v18, 63, v0
	v_cmp_lt_u32_e64 s[0:1], 31, v31
	v_lshrrev_b32_e32 v32, 6, v0
	v_cmp_eq_u32_e64 s[2:3], v18, v0
	s_and_b64 vcc, exec, s[16:17]
	s_waitcnt lgkmcnt(0)
	s_barrier
	s_cbranch_vccz .LBB1695_234
; %bb.208:
	v_mov_b32_dpp v18, v33 row_shr:1 row_mask:0xf bank_mask:0xf
	v_cndmask_b32_e64 v18, v18, 0, s[14:15]
	v_add_u32_e32 v18, v18, v33
	s_nop 1
	v_mov_b32_dpp v19, v18 row_shr:2 row_mask:0xf bank_mask:0xf
	v_cndmask_b32_e64 v19, 0, v19, s[12:13]
	v_add_u32_e32 v18, v18, v19
	s_nop 1
	;; [unrolled: 4-line block ×4, first 2 shown]
	v_mov_b32_dpp v19, v18 row_bcast:15 row_mask:0xf bank_mask:0xf
	v_cndmask_b32_e64 v19, v19, 0, s[18:19]
	v_add_u32_e32 v18, v18, v19
	s_nop 1
	v_mov_b32_dpp v19, v18 row_bcast:31 row_mask:0xf bank_mask:0xf
	v_cndmask_b32_e64 v19, 0, v19, s[0:1]
	v_add_u32_e32 v18, v18, v19
	s_and_saveexec_b64 s[16:17], s[2:3]
	s_cbranch_execz .LBB1695_210
; %bb.209:
	v_lshlrev_b32_e32 v19, 2, v32
	ds_write_b32 v19, v18
.LBB1695_210:
	s_or_b64 exec, exec, s[16:17]
	v_cmp_gt_u32_e32 vcc, 2, v0
	s_waitcnt lgkmcnt(0)
	s_barrier
	s_and_saveexec_b64 s[16:17], vcc
	s_cbranch_execz .LBB1695_212
; %bb.211:
	ds_read_b32 v19, v1
	v_bfe_i32 v20, v31, 0, 1
	s_waitcnt lgkmcnt(0)
	v_mov_b32_dpp v21, v19 row_shr:1 row_mask:0xf bank_mask:0xf
	v_and_b32_e32 v20, v20, v21
	v_add_u32_e32 v19, v20, v19
	ds_write_b32 v1, v19
.LBB1695_212:
	s_or_b64 exec, exec, s[16:17]
	v_cmp_gt_u32_e32 vcc, 64, v0
	v_cmp_lt_u32_e64 s[16:17], 63, v0
	s_waitcnt lgkmcnt(0)
	s_barrier
	s_waitcnt lgkmcnt(0)
                                        ; implicit-def: $vgpr34
	s_and_saveexec_b64 s[26:27], s[16:17]
	s_cbranch_execz .LBB1695_214
; %bb.213:
	v_lshl_add_u32 v19, v32, 2, -4
	ds_read_b32 v34, v19
	s_waitcnt lgkmcnt(0)
	v_add_u32_e32 v18, v34, v18
.LBB1695_214:
	s_or_b64 exec, exec, s[26:27]
	v_add_u32_e32 v19, -1, v31
	v_and_b32_e32 v20, 64, v31
	v_cmp_lt_i32_e64 s[16:17], v19, v20
	v_cndmask_b32_e64 v19, v19, v31, s[16:17]
	v_lshlrev_b32_e32 v19, 2, v19
	ds_bpermute_b32 v35, v19, v18
	v_cmp_eq_u32_e64 s[16:17], 0, v31
	s_and_saveexec_b64 s[26:27], vcc
	s_cbranch_execz .LBB1695_233
; %bb.215:
	v_mov_b32_e32 v25, 0
	ds_read_b32 v18, v25 offset:4
	s_and_saveexec_b64 s[28:29], s[16:17]
	s_cbranch_execz .LBB1695_217
; %bb.216:
	s_add_i32 s36, s6, 64
	s_mov_b32 s37, 0
	s_lshl_b64 s[36:37], s[36:37], 3
	s_add_u32 s36, s30, s36
	v_mov_b32_e32 v19, 1
	s_addc_u32 s37, s31, s37
	s_waitcnt lgkmcnt(0)
	global_store_dwordx2 v25, v[18:19], s[36:37]
.LBB1695_217:
	s_or_b64 exec, exec, s[28:29]
	v_xad_u32 v20, v31, -1, s6
	v_add_u32_e32 v24, 64, v20
	v_lshlrev_b64 v[22:23], 3, v[24:25]
	v_mov_b32_e32 v19, s31
	v_add_co_u32_e32 v26, vcc, s30, v22
	v_addc_co_u32_e32 v27, vcc, v19, v23, vcc
	global_load_dwordx2 v[22:23], v[26:27], off glc
	s_waitcnt vmcnt(0)
	v_cmp_eq_u16_sdwa s[36:37], v23, v25 src0_sel:BYTE_0 src1_sel:DWORD
	s_and_saveexec_b64 s[28:29], s[36:37]
	s_cbranch_execz .LBB1695_221
; %bb.218:
	s_mov_b64 s[36:37], 0
	v_mov_b32_e32 v19, 0
.LBB1695_219:                           ; =>This Inner Loop Header: Depth=1
	global_load_dwordx2 v[22:23], v[26:27], off glc
	s_waitcnt vmcnt(0)
	v_cmp_ne_u16_sdwa s[38:39], v23, v19 src0_sel:BYTE_0 src1_sel:DWORD
	s_or_b64 s[36:37], s[38:39], s[36:37]
	s_andn2_b64 exec, exec, s[36:37]
	s_cbranch_execnz .LBB1695_219
; %bb.220:
	s_or_b64 exec, exec, s[36:37]
.LBB1695_221:
	s_or_b64 exec, exec, s[28:29]
	v_and_b32_e32 v36, 63, v31
	v_mov_b32_e32 v19, 2
	v_cmp_ne_u32_e32 vcc, 63, v36
	v_cmp_eq_u16_sdwa s[28:29], v23, v19 src0_sel:BYTE_0 src1_sel:DWORD
	v_lshlrev_b64 v[24:25], v31, -1
	v_addc_co_u32_e32 v27, vcc, 0, v31, vcc
	v_and_b32_e32 v21, s29, v25
	v_lshlrev_b32_e32 v37, 2, v27
	v_or_b32_e32 v21, 0x80000000, v21
	ds_bpermute_b32 v27, v37, v22
	v_and_b32_e32 v26, s28, v24
	v_ffbl_b32_e32 v21, v21
	v_add_u32_e32 v21, 32, v21
	v_ffbl_b32_e32 v26, v26
	v_min_u32_e32 v21, v26, v21
	v_cmp_lt_u32_e32 vcc, v36, v21
	s_waitcnt lgkmcnt(0)
	v_cndmask_b32_e32 v26, 0, v27, vcc
	v_cmp_gt_u32_e32 vcc, 62, v36
	v_add_u32_e32 v22, v26, v22
	v_cndmask_b32_e64 v26, 0, 1, vcc
	v_lshlrev_b32_e32 v26, 1, v26
	v_add_lshl_u32 v38, v26, v31, 2
	ds_bpermute_b32 v26, v38, v22
	v_add_u32_e32 v39, 2, v36
	v_cmp_le_u32_e32 vcc, v39, v21
	v_add_u32_e32 v41, 4, v36
	v_add_u32_e32 v43, 8, v36
	s_waitcnt lgkmcnt(0)
	v_cndmask_b32_e32 v26, 0, v26, vcc
	v_cmp_gt_u32_e32 vcc, 60, v36
	v_add_u32_e32 v22, v22, v26
	v_cndmask_b32_e64 v26, 0, 1, vcc
	v_lshlrev_b32_e32 v26, 2, v26
	v_add_lshl_u32 v40, v26, v31, 2
	ds_bpermute_b32 v26, v40, v22
	v_cmp_le_u32_e32 vcc, v41, v21
	v_add_u32_e32 v46, 16, v36
	v_add_u32_e32 v48, 32, v36
	s_waitcnt lgkmcnt(0)
	v_cndmask_b32_e32 v26, 0, v26, vcc
	v_cmp_gt_u32_e32 vcc, 56, v36
	v_add_u32_e32 v22, v22, v26
	v_cndmask_b32_e64 v26, 0, 1, vcc
	v_lshlrev_b32_e32 v26, 3, v26
	v_add_lshl_u32 v42, v26, v31, 2
	ds_bpermute_b32 v26, v42, v22
	v_cmp_le_u32_e32 vcc, v43, v21
	s_waitcnt lgkmcnt(0)
	v_cndmask_b32_e32 v26, 0, v26, vcc
	v_cmp_gt_u32_e32 vcc, 48, v36
	v_add_u32_e32 v22, v22, v26
	v_cndmask_b32_e64 v26, 0, 1, vcc
	v_lshlrev_b32_e32 v26, 4, v26
	v_add_lshl_u32 v45, v26, v31, 2
	ds_bpermute_b32 v26, v45, v22
	v_cmp_le_u32_e32 vcc, v46, v21
	;; [unrolled: 9-line block ×3, first 2 shown]
	s_waitcnt lgkmcnt(0)
	v_cndmask_b32_e32 v21, 0, v26, vcc
	v_add_u32_e32 v22, v22, v21
	v_mov_b32_e32 v21, 0
	s_branch .LBB1695_223
.LBB1695_222:                           ;   in Loop: Header=BB1695_223 Depth=1
	s_or_b64 exec, exec, s[28:29]
	v_cmp_eq_u16_sdwa s[28:29], v23, v19 src0_sel:BYTE_0 src1_sel:DWORD
	v_and_b32_e32 v26, s29, v25
	v_or_b32_e32 v26, 0x80000000, v26
	ds_bpermute_b32 v49, v37, v22
	v_and_b32_e32 v27, s28, v24
	v_ffbl_b32_e32 v26, v26
	v_add_u32_e32 v26, 32, v26
	v_ffbl_b32_e32 v27, v27
	v_min_u32_e32 v26, v27, v26
	v_cmp_lt_u32_e32 vcc, v36, v26
	s_waitcnt lgkmcnt(0)
	v_cndmask_b32_e32 v27, 0, v49, vcc
	v_add_u32_e32 v22, v27, v22
	ds_bpermute_b32 v27, v38, v22
	v_cmp_le_u32_e32 vcc, v39, v26
	v_subrev_u32_e32 v20, 64, v20
	s_waitcnt lgkmcnt(0)
	v_cndmask_b32_e32 v27, 0, v27, vcc
	v_add_u32_e32 v22, v22, v27
	ds_bpermute_b32 v27, v40, v22
	v_cmp_le_u32_e32 vcc, v41, v26
	s_waitcnt lgkmcnt(0)
	v_cndmask_b32_e32 v27, 0, v27, vcc
	v_add_u32_e32 v22, v22, v27
	ds_bpermute_b32 v27, v42, v22
	v_cmp_le_u32_e32 vcc, v43, v26
	s_waitcnt lgkmcnt(0)
	v_cndmask_b32_e32 v27, 0, v27, vcc
	v_add_u32_e32 v22, v22, v27
	ds_bpermute_b32 v27, v45, v22
	v_cmp_le_u32_e32 vcc, v46, v26
	s_waitcnt lgkmcnt(0)
	v_cndmask_b32_e32 v27, 0, v27, vcc
	v_add_u32_e32 v22, v22, v27
	ds_bpermute_b32 v27, v47, v22
	v_cmp_le_u32_e32 vcc, v48, v26
	s_waitcnt lgkmcnt(0)
	v_cndmask_b32_e32 v26, 0, v27, vcc
	v_add3_u32 v22, v26, v44, v22
.LBB1695_223:                           ; =>This Loop Header: Depth=1
                                        ;     Child Loop BB1695_226 Depth 2
	v_cmp_ne_u16_sdwa s[28:29], v23, v19 src0_sel:BYTE_0 src1_sel:DWORD
	v_cndmask_b32_e64 v23, 0, 1, s[28:29]
	;;#ASMSTART
	;;#ASMEND
	v_cmp_ne_u32_e32 vcc, 0, v23
	s_cmp_lg_u64 vcc, exec
	v_mov_b32_e32 v44, v22
	s_cbranch_scc1 .LBB1695_228
; %bb.224:                              ;   in Loop: Header=BB1695_223 Depth=1
	v_lshlrev_b64 v[22:23], 3, v[20:21]
	v_mov_b32_e32 v27, s31
	v_add_co_u32_e32 v26, vcc, s30, v22
	v_addc_co_u32_e32 v27, vcc, v27, v23, vcc
	global_load_dwordx2 v[22:23], v[26:27], off glc
	s_waitcnt vmcnt(0)
	v_cmp_eq_u16_sdwa s[36:37], v23, v21 src0_sel:BYTE_0 src1_sel:DWORD
	s_and_saveexec_b64 s[28:29], s[36:37]
	s_cbranch_execz .LBB1695_222
; %bb.225:                              ;   in Loop: Header=BB1695_223 Depth=1
	s_mov_b64 s[36:37], 0
.LBB1695_226:                           ;   Parent Loop BB1695_223 Depth=1
                                        ; =>  This Inner Loop Header: Depth=2
	global_load_dwordx2 v[22:23], v[26:27], off glc
	s_waitcnt vmcnt(0)
	v_cmp_ne_u16_sdwa s[38:39], v23, v21 src0_sel:BYTE_0 src1_sel:DWORD
	s_or_b64 s[36:37], s[38:39], s[36:37]
	s_andn2_b64 exec, exec, s[36:37]
	s_cbranch_execnz .LBB1695_226
; %bb.227:                              ;   in Loop: Header=BB1695_223 Depth=1
	s_or_b64 exec, exec, s[36:37]
	s_branch .LBB1695_222
.LBB1695_228:                           ;   in Loop: Header=BB1695_223 Depth=1
                                        ; implicit-def: $vgpr22
                                        ; implicit-def: $vgpr23
	s_cbranch_execz .LBB1695_223
; %bb.229:
	s_and_saveexec_b64 s[28:29], s[16:17]
	s_cbranch_execz .LBB1695_231
; %bb.230:
	s_add_i32 s6, s6, 64
	s_mov_b32 s7, 0
	s_lshl_b64 s[6:7], s[6:7], 3
	s_add_u32 s6, s30, s6
	v_add_u32_e32 v20, v44, v18
	v_mov_b32_e32 v21, 2
	s_addc_u32 s7, s31, s7
	v_mov_b32_e32 v19, 0
	global_store_dwordx2 v19, v[20:21], s[6:7]
	s_movk_i32 s6, 0x1000
	v_add_u32_e64 v19, s6, 0
	ds_write2_b32 v19, v18, v44 offset0:32 offset1:34
.LBB1695_231:
	s_or_b64 exec, exec, s[28:29]
	v_cmp_eq_u32_e32 vcc, 0, v0
	s_and_b64 exec, exec, vcc
	s_cbranch_execz .LBB1695_233
; %bb.232:
	v_mov_b32_e32 v18, 0
	ds_write_b32 v18, v44 offset:4
.LBB1695_233:
	s_or_b64 exec, exec, s[26:27]
	v_mov_b32_e32 v19, 0
	s_waitcnt lgkmcnt(0)
	s_barrier
	ds_read_b32 v19, v19 offset:4
	s_movk_i32 s6, 0x1000
	v_add_u32_e64 v20, s6, 0
	v_cndmask_b32_e64 v18, v35, v34, s[16:17]
	v_cmp_ne_u32_e32 vcc, 0, v0
	s_waitcnt lgkmcnt(0)
	s_barrier
	ds_read2_b32 v[26:27], v20 offset0:32 offset1:34
	v_cndmask_b32_e32 v18, 0, v18, vcc
	v_add_u32_e32 v24, v19, v18
	v_add_u32_sdwa v22, v24, v28 dst_sel:DWORD dst_unused:UNUSED_PAD src0_sel:DWORD src1_sel:BYTE_0
	v_add_u32_sdwa v20, v22, v28 dst_sel:DWORD dst_unused:UNUSED_PAD src0_sel:DWORD src1_sel:BYTE_1
	v_add_u32_e32 v18, v20, v30
	s_waitcnt lgkmcnt(0)
	v_readfirstlane_b32 s26, v26
	v_readfirstlane_b32 s16, v27
	s_branch .LBB1695_244
.LBB1695_234:
                                        ; implicit-def: $vgpr18
                                        ; implicit-def: $vgpr20
                                        ; implicit-def: $vgpr22
                                        ; implicit-def: $vgpr24
                                        ; implicit-def: $sgpr16
                                        ; implicit-def: $sgpr26
	s_cbranch_execz .LBB1695_244
; %bb.235:
	s_nop 0
	v_mov_b32_dpp v18, v33 row_shr:1 row_mask:0xf bank_mask:0xf
	v_cndmask_b32_e64 v18, v18, 0, s[14:15]
	v_add_u32_e32 v18, v18, v33
	s_nop 1
	v_mov_b32_dpp v19, v18 row_shr:2 row_mask:0xf bank_mask:0xf
	v_cndmask_b32_e64 v19, 0, v19, s[12:13]
	v_add_u32_e32 v18, v18, v19
	;; [unrolled: 4-line block ×4, first 2 shown]
	s_nop 1
	v_mov_b32_dpp v19, v18 row_bcast:15 row_mask:0xf bank_mask:0xf
	v_cndmask_b32_e64 v19, v19, 0, s[18:19]
	v_add_u32_e32 v18, v18, v19
	s_nop 1
	v_mov_b32_dpp v19, v18 row_bcast:31 row_mask:0xf bank_mask:0xf
	v_cndmask_b32_e64 v19, 0, v19, s[0:1]
	v_add_u32_e32 v18, v18, v19
	s_and_saveexec_b64 s[0:1], s[2:3]
	s_cbranch_execz .LBB1695_237
; %bb.236:
	v_lshlrev_b32_e32 v19, 2, v32
	ds_write_b32 v19, v18
.LBB1695_237:
	s_or_b64 exec, exec, s[0:1]
	v_cmp_gt_u32_e32 vcc, 2, v0
	s_waitcnt lgkmcnt(0)
	s_barrier
	s_and_saveexec_b64 s[0:1], vcc
	s_cbranch_execz .LBB1695_239
; %bb.238:
	ds_read_b32 v19, v1
	v_bfe_i32 v20, v31, 0, 1
	s_waitcnt lgkmcnt(0)
	v_mov_b32_dpp v21, v19 row_shr:1 row_mask:0xf bank_mask:0xf
	v_and_b32_e32 v20, v20, v21
	v_add_u32_e32 v19, v20, v19
	ds_write_b32 v1, v19
.LBB1695_239:
	s_or_b64 exec, exec, s[0:1]
	v_cmp_lt_u32_e32 vcc, 63, v0
	v_mov_b32_e32 v19, 0
	v_mov_b32_e32 v1, 0
	s_waitcnt lgkmcnt(0)
	s_barrier
	s_and_saveexec_b64 s[0:1], vcc
	s_cbranch_execz .LBB1695_241
; %bb.240:
	v_lshl_add_u32 v1, v32, 2, -4
	ds_read_b32 v1, v1
.LBB1695_241:
	s_or_b64 exec, exec, s[0:1]
	v_add_u32_e32 v20, -1, v31
	v_and_b32_e32 v21, 64, v31
	v_cmp_lt_i32_e32 vcc, v20, v21
	v_cndmask_b32_e32 v20, v20, v31, vcc
	s_waitcnt lgkmcnt(0)
	v_add_u32_e32 v18, v1, v18
	v_lshlrev_b32_e32 v20, 2, v20
	ds_read_b32 v19, v19 offset:4
	ds_bpermute_b32 v18, v20, v18
	s_mov_b32 s16, 0
	v_cmp_eq_u32_e32 vcc, 0, v0
	s_waitcnt lgkmcnt(1)
	v_readfirstlane_b32 s26, v19
	s_and_saveexec_b64 s[0:1], vcc
	s_cbranch_execz .LBB1695_243
; %bb.242:
	v_mov_b32_e32 v19, 0
	v_mov_b32_e32 v20, s26
	;; [unrolled: 1-line block ×3, first 2 shown]
	global_store_dwordx2 v19, v[20:21], s[30:31] offset:512
.LBB1695_243:
	s_or_b64 exec, exec, s[0:1]
	v_cmp_eq_u32_e64 s[0:1], 0, v31
	s_waitcnt lgkmcnt(0)
	v_cndmask_b32_e64 v1, v18, v1, s[0:1]
	v_cndmask_b32_e64 v24, v1, 0, vcc
	v_add_u32_sdwa v22, v24, v28 dst_sel:DWORD dst_unused:UNUSED_PAD src0_sel:DWORD src1_sel:BYTE_0
	v_add_u32_sdwa v20, v22, v28 dst_sel:DWORD dst_unused:UNUSED_PAD src0_sel:DWORD src1_sel:BYTE_1
	v_add_u32_e32 v18, v20, v30
	s_barrier
.LBB1695_244:
	s_load_dwordx4 s[4:7], s[4:5], 0x28
	s_cmpk_lt_u32 s26, 0x81
	s_cselect_b64 s[2:3], -1, 0
	v_lshrrev_b32_e32 v1, 8, v28
	s_mov_b64 s[0:1], -1
	s_and_b64 vcc, exec, s[2:3]
	s_cbranch_vccz .LBB1695_258
; %bb.245:
	s_add_i32 s8, s16, s26
	v_cmp_gt_u32_e32 vcc, s8, v24
	s_or_b64 s[10:11], s[34:35], vcc
	s_and_saveexec_b64 s[0:1], s[10:11]
	s_cbranch_execz .LBB1695_248
; %bb.246:
	v_and_b32_e32 v19, 1, v28
	v_cmp_eq_u32_e32 vcc, 1, v19
	s_and_b64 exec, exec, vcc
	s_cbranch_execz .LBB1695_248
; %bb.247:
	s_lshl_b64 s[10:11], s[22:23], 3
	s_waitcnt lgkmcnt(0)
	s_add_u32 s9, s4, s10
	v_mov_b32_e32 v25, 0
	s_addc_u32 s10, s5, s11
	v_lshlrev_b64 v[26:27], 3, v[24:25]
	v_mov_b32_e32 v19, s10
	v_add_co_u32_e32 v26, vcc, s9, v26
	v_addc_co_u32_e32 v27, vcc, v19, v27, vcc
	global_store_dwordx2 v[26:27], v[14:15], off
.LBB1695_248:
	s_or_b64 exec, exec, s[0:1]
	v_cmp_gt_u32_e32 vcc, s8, v22
	s_or_b64 s[10:11], s[34:35], vcc
	s_and_saveexec_b64 s[0:1], s[10:11]
	s_cbranch_execz .LBB1695_251
; %bb.249:
	v_and_b32_e32 v19, 1, v1
	v_cmp_eq_u32_e32 vcc, 1, v19
	s_and_b64 exec, exec, vcc
	s_cbranch_execz .LBB1695_251
; %bb.250:
	s_lshl_b64 s[10:11], s[22:23], 3
	s_waitcnt lgkmcnt(0)
	s_add_u32 s9, s4, s10
	v_mov_b32_e32 v23, 0
	s_addc_u32 s10, s5, s11
	v_lshlrev_b64 v[26:27], 3, v[22:23]
	v_mov_b32_e32 v19, s10
	v_add_co_u32_e32 v26, vcc, s9, v26
	v_addc_co_u32_e32 v27, vcc, v19, v27, vcc
	global_store_dwordx2 v[26:27], v[16:17], off
.LBB1695_251:
	s_or_b64 exec, exec, s[0:1]
	v_cmp_gt_u32_e32 vcc, s8, v20
	s_or_b64 s[10:11], s[34:35], vcc
	s_and_saveexec_b64 s[0:1], s[10:11]
	s_cbranch_execz .LBB1695_254
; %bb.252:
	v_mov_b32_e32 v19, 1
	v_and_b32_sdwa v19, v19, v28 dst_sel:DWORD dst_unused:UNUSED_PAD src0_sel:DWORD src1_sel:WORD_1
	v_cmp_eq_u32_e32 vcc, 1, v19
	s_and_b64 exec, exec, vcc
	s_cbranch_execz .LBB1695_254
; %bb.253:
	s_lshl_b64 s[10:11], s[22:23], 3
	s_waitcnt lgkmcnt(0)
	s_add_u32 s9, s4, s10
	v_mov_b32_e32 v21, 0
	s_addc_u32 s10, s5, s11
	v_lshlrev_b64 v[26:27], 3, v[20:21]
	v_mov_b32_e32 v19, s10
	v_add_co_u32_e32 v26, vcc, s9, v26
	v_addc_co_u32_e32 v27, vcc, v19, v27, vcc
	global_store_dwordx2 v[26:27], v[10:11], off
.LBB1695_254:
	s_or_b64 exec, exec, s[0:1]
	v_cmp_gt_u32_e32 vcc, s8, v18
	s_or_b64 s[8:9], s[34:35], vcc
	s_and_saveexec_b64 s[0:1], s[8:9]
	s_cbranch_execz .LBB1695_257
; %bb.255:
	v_and_b32_e32 v19, 1, v29
	v_cmp_eq_u32_e32 vcc, 1, v19
	s_and_b64 exec, exec, vcc
	s_cbranch_execz .LBB1695_257
; %bb.256:
	s_lshl_b64 s[8:9], s[22:23], 3
	s_waitcnt lgkmcnt(0)
	s_add_u32 s8, s4, s8
	v_mov_b32_e32 v19, 0
	s_addc_u32 s9, s5, s9
	v_lshlrev_b64 v[26:27], 3, v[18:19]
	v_mov_b32_e32 v19, s9
	v_add_co_u32_e32 v26, vcc, s8, v26
	v_addc_co_u32_e32 v27, vcc, v19, v27, vcc
	global_store_dwordx2 v[26:27], v[12:13], off
.LBB1695_257:
	s_or_b64 exec, exec, s[0:1]
	s_mov_b64 s[0:1], 0
.LBB1695_258:
	v_and_b32_e32 v26, 1, v28
	s_and_b64 vcc, exec, s[0:1]
	v_cmp_eq_u32_e64 s[0:1], 1, v26
	s_cbranch_vccz .LBB1695_271
; %bb.259:
	s_and_saveexec_b64 s[8:9], s[0:1]
	s_cbranch_execz .LBB1695_261
; %bb.260:
	v_subrev_u32_e32 v19, s16, v24
	v_lshlrev_b32_e32 v19, 3, v19
	ds_write_b64 v19, v[14:15]
.LBB1695_261:
	s_or_b64 exec, exec, s[8:9]
	v_and_b32_e32 v14, 1, v1
	v_cmp_eq_u32_e32 vcc, 1, v14
	s_and_saveexec_b64 s[0:1], vcc
	s_cbranch_execz .LBB1695_263
; %bb.262:
	v_subrev_u32_e32 v14, s16, v22
	v_lshlrev_b32_e32 v14, 3, v14
	ds_write_b64 v14, v[16:17]
.LBB1695_263:
	s_or_b64 exec, exec, s[0:1]
	v_mov_b32_e32 v14, 1
	v_and_b32_sdwa v14, v14, v28 dst_sel:DWORD dst_unused:UNUSED_PAD src0_sel:DWORD src1_sel:WORD_1
	v_cmp_eq_u32_e32 vcc, 1, v14
	s_and_saveexec_b64 s[0:1], vcc
	s_cbranch_execz .LBB1695_265
; %bb.264:
	v_subrev_u32_e32 v14, s16, v20
	v_lshlrev_b32_e32 v14, 3, v14
	ds_write_b64 v14, v[10:11]
.LBB1695_265:
	s_or_b64 exec, exec, s[0:1]
	v_and_b32_e32 v10, 1, v29
	v_cmp_eq_u32_e32 vcc, 1, v10
	s_and_saveexec_b64 s[0:1], vcc
	s_cbranch_execz .LBB1695_267
; %bb.266:
	v_subrev_u32_e32 v10, s16, v18
	v_lshlrev_b32_e32 v10, 3, v10
	ds_write_b64 v10, v[12:13]
.LBB1695_267:
	s_or_b64 exec, exec, s[0:1]
	v_cmp_gt_u32_e32 vcc, s26, v0
	s_waitcnt lgkmcnt(0)
	s_barrier
	s_and_saveexec_b64 s[0:1], vcc
	s_cbranch_execz .LBB1695_270
; %bb.268:
	s_mov_b32 s17, 0
	s_lshl_b64 s[8:9], s[16:17], 3
	s_add_u32 s8, s4, s8
	s_addc_u32 s9, s5, s9
	s_lshl_b64 s[4:5], s[22:23], 3
	s_add_u32 s8, s8, s4
	s_addc_u32 s9, s9, s5
	v_lshlrev_b32_e32 v12, 3, v0
	s_mov_b64 s[4:5], 0
	v_mov_b32_e32 v11, 0
	v_mov_b32_e32 v13, s9
	;; [unrolled: 1-line block ×3, first 2 shown]
.LBB1695_269:                           ; =>This Inner Loop Header: Depth=1
	ds_read_b64 v[14:15], v12
	v_lshlrev_b64 v[16:17], 3, v[10:11]
	v_add_co_u32_e32 v16, vcc, s8, v16
	v_add_u32_e32 v10, 0x80, v10
	v_addc_co_u32_e32 v17, vcc, v13, v17, vcc
	v_cmp_le_u32_e32 vcc, s26, v10
	v_add_u32_e32 v12, 0x400, v12
	s_or_b64 s[4:5], vcc, s[4:5]
	s_waitcnt lgkmcnt(0)
	global_store_dwordx2 v[16:17], v[14:15], off
	s_andn2_b64 exec, exec, s[4:5]
	s_cbranch_execnz .LBB1695_269
.LBB1695_270:
	s_or_b64 exec, exec, s[0:1]
.LBB1695_271:
	s_mov_b64 s[0:1], -1
	s_and_b64 vcc, exec, s[2:3]
	s_waitcnt lgkmcnt(0)
	s_barrier
	s_cbranch_vccnz .LBB1695_275
; %bb.272:
	s_and_b64 vcc, exec, s[0:1]
	s_cbranch_vccnz .LBB1695_288
.LBB1695_273:
	v_cmp_eq_u32_e32 vcc, 0, v0
	s_and_b64 s[0:1], vcc, s[24:25]
	s_and_saveexec_b64 s[2:3], s[0:1]
	s_cbranch_execnz .LBB1695_300
.LBB1695_274:
	s_endpgm
.LBB1695_275:
	s_add_i32 s2, s16, s26
	v_cmp_gt_u32_e32 vcc, s2, v24
	s_or_b64 s[4:5], s[34:35], vcc
	s_and_saveexec_b64 s[0:1], s[4:5]
	s_cbranch_execz .LBB1695_278
; %bb.276:
	v_cmp_eq_u32_e32 vcc, 1, v26
	s_and_b64 exec, exec, vcc
	s_cbranch_execz .LBB1695_278
; %bb.277:
	s_lshl_b64 s[4:5], s[22:23], 3
	s_add_u32 s3, s6, s4
	v_mov_b32_e32 v25, 0
	s_addc_u32 s4, s7, s5
	v_lshlrev_b64 v[10:11], 3, v[24:25]
	v_mov_b32_e32 v12, s4
	v_add_co_u32_e32 v10, vcc, s3, v10
	v_addc_co_u32_e32 v11, vcc, v12, v11, vcc
	global_store_dwordx2 v[10:11], v[6:7], off
.LBB1695_278:
	s_or_b64 exec, exec, s[0:1]
	v_cmp_gt_u32_e32 vcc, s2, v22
	s_or_b64 s[4:5], s[34:35], vcc
	s_and_saveexec_b64 s[0:1], s[4:5]
	s_cbranch_execz .LBB1695_281
; %bb.279:
	v_and_b32_e32 v10, 1, v1
	v_cmp_eq_u32_e32 vcc, 1, v10
	s_and_b64 exec, exec, vcc
	s_cbranch_execz .LBB1695_281
; %bb.280:
	s_lshl_b64 s[4:5], s[22:23], 3
	s_add_u32 s3, s6, s4
	v_mov_b32_e32 v23, 0
	s_addc_u32 s4, s7, s5
	v_lshlrev_b64 v[10:11], 3, v[22:23]
	v_mov_b32_e32 v12, s4
	v_add_co_u32_e32 v10, vcc, s3, v10
	v_addc_co_u32_e32 v11, vcc, v12, v11, vcc
	global_store_dwordx2 v[10:11], v[8:9], off
.LBB1695_281:
	s_or_b64 exec, exec, s[0:1]
	v_cmp_gt_u32_e32 vcc, s2, v20
	s_or_b64 s[4:5], s[34:35], vcc
	s_and_saveexec_b64 s[0:1], s[4:5]
	s_cbranch_execz .LBB1695_284
; %bb.282:
	v_mov_b32_e32 v10, 1
	v_and_b32_sdwa v10, v10, v28 dst_sel:DWORD dst_unused:UNUSED_PAD src0_sel:DWORD src1_sel:WORD_1
	v_cmp_eq_u32_e32 vcc, 1, v10
	s_and_b64 exec, exec, vcc
	s_cbranch_execz .LBB1695_284
; %bb.283:
	s_lshl_b64 s[4:5], s[22:23], 3
	s_add_u32 s3, s6, s4
	v_mov_b32_e32 v21, 0
	s_addc_u32 s4, s7, s5
	v_lshlrev_b64 v[10:11], 3, v[20:21]
	v_mov_b32_e32 v12, s4
	v_add_co_u32_e32 v10, vcc, s3, v10
	v_addc_co_u32_e32 v11, vcc, v12, v11, vcc
	global_store_dwordx2 v[10:11], v[2:3], off
.LBB1695_284:
	s_or_b64 exec, exec, s[0:1]
	v_cmp_gt_u32_e32 vcc, s2, v18
	s_or_b64 s[2:3], s[34:35], vcc
	s_and_saveexec_b64 s[0:1], s[2:3]
	s_cbranch_execz .LBB1695_287
; %bb.285:
	v_and_b32_e32 v10, 1, v29
	v_cmp_eq_u32_e32 vcc, 1, v10
	s_and_b64 exec, exec, vcc
	s_cbranch_execz .LBB1695_287
; %bb.286:
	s_lshl_b64 s[2:3], s[22:23], 3
	s_add_u32 s2, s6, s2
	v_mov_b32_e32 v19, 0
	s_addc_u32 s3, s7, s3
	v_lshlrev_b64 v[10:11], 3, v[18:19]
	v_mov_b32_e32 v12, s3
	v_add_co_u32_e32 v10, vcc, s2, v10
	v_addc_co_u32_e32 v11, vcc, v12, v11, vcc
	global_store_dwordx2 v[10:11], v[4:5], off
.LBB1695_287:
	s_or_b64 exec, exec, s[0:1]
	s_branch .LBB1695_273
.LBB1695_288:
	v_cmp_eq_u32_e32 vcc, 1, v26
	s_and_saveexec_b64 s[0:1], vcc
	s_cbranch_execz .LBB1695_290
; %bb.289:
	v_subrev_u32_e32 v10, s16, v24
	v_lshlrev_b32_e32 v10, 3, v10
	ds_write_b64 v10, v[6:7]
.LBB1695_290:
	s_or_b64 exec, exec, s[0:1]
	v_and_b32_e32 v1, 1, v1
	v_cmp_eq_u32_e32 vcc, 1, v1
	s_and_saveexec_b64 s[0:1], vcc
	s_cbranch_execz .LBB1695_292
; %bb.291:
	v_subrev_u32_e32 v1, s16, v22
	v_lshlrev_b32_e32 v1, 3, v1
	ds_write_b64 v1, v[8:9]
.LBB1695_292:
	s_or_b64 exec, exec, s[0:1]
	v_mov_b32_e32 v1, 1
	v_and_b32_sdwa v1, v1, v28 dst_sel:DWORD dst_unused:UNUSED_PAD src0_sel:DWORD src1_sel:WORD_1
	v_cmp_eq_u32_e32 vcc, 1, v1
	s_and_saveexec_b64 s[0:1], vcc
	s_cbranch_execz .LBB1695_294
; %bb.293:
	v_subrev_u32_e32 v1, s16, v20
	v_lshlrev_b32_e32 v1, 3, v1
	ds_write_b64 v1, v[2:3]
.LBB1695_294:
	s_or_b64 exec, exec, s[0:1]
	v_and_b32_e32 v1, 1, v29
	v_cmp_eq_u32_e32 vcc, 1, v1
	s_and_saveexec_b64 s[0:1], vcc
	s_cbranch_execz .LBB1695_296
; %bb.295:
	v_subrev_u32_e32 v1, s16, v18
	v_lshlrev_b32_e32 v1, 3, v1
	ds_write_b64 v1, v[4:5]
.LBB1695_296:
	s_or_b64 exec, exec, s[0:1]
	v_cmp_gt_u32_e32 vcc, s26, v0
	s_waitcnt lgkmcnt(0)
	s_barrier
	s_and_saveexec_b64 s[0:1], vcc
	s_cbranch_execz .LBB1695_299
; %bb.297:
	s_mov_b32 s17, 0
	s_lshl_b64 s[2:3], s[16:17], 3
	s_add_u32 s4, s6, s2
	s_addc_u32 s5, s7, s3
	s_lshl_b64 s[2:3], s[22:23], 3
	s_add_u32 s4, s4, s2
	s_addc_u32 s5, s5, s3
	v_lshlrev_b32_e32 v1, 3, v0
	s_mov_b64 s[2:3], 0
	v_mov_b32_e32 v3, 0
	v_mov_b32_e32 v4, s5
	;; [unrolled: 1-line block ×3, first 2 shown]
.LBB1695_298:                           ; =>This Inner Loop Header: Depth=1
	ds_read_b64 v[6:7], v1
	v_lshlrev_b64 v[8:9], 3, v[2:3]
	v_add_co_u32_e32 v8, vcc, s4, v8
	v_add_u32_e32 v2, 0x80, v2
	v_addc_co_u32_e32 v9, vcc, v4, v9, vcc
	v_cmp_le_u32_e32 vcc, s26, v2
	v_add_u32_e32 v1, 0x400, v1
	s_or_b64 s[2:3], vcc, s[2:3]
	s_waitcnt lgkmcnt(0)
	global_store_dwordx2 v[8:9], v[6:7], off
	s_andn2_b64 exec, exec, s[2:3]
	s_cbranch_execnz .LBB1695_298
.LBB1695_299:
	s_or_b64 exec, exec, s[0:1]
	v_cmp_eq_u32_e32 vcc, 0, v0
	s_and_b64 s[0:1], vcc, s[24:25]
	s_and_saveexec_b64 s[2:3], s[0:1]
	s_cbranch_execz .LBB1695_274
.LBB1695_300:
	s_add_u32 s0, s22, s26
	s_addc_u32 s1, s23, 0
	s_add_u32 s0, s0, s16
	s_addc_u32 s1, s1, 0
	v_mov_b32_e32 v2, 0
	v_pk_mov_b32 v[0:1], s[0:1], s[0:1] op_sel:[0,1]
	global_store_dwordx2 v2, v[0:1], s[20:21]
	s_endpgm
	.section	.rodata,"a",@progbits
	.p2align	6, 0x0
	.amdhsa_kernel _ZN7rocprim17ROCPRIM_400000_NS6detail17trampoline_kernelINS0_14default_configENS1_25partition_config_selectorILNS1_17partition_subalgoE9EllbEEZZNS1_14partition_implILS5_9ELb0ES3_jPlS8_PNS0_10empty_typeENS0_5tupleIJS8_S9_EEENSB_IJS8_SA_EEENS0_18inequality_wrapperIZN2at6native12_GLOBAL__N_124unique_dim_cuda_templateImEESt5tupleIJNSF_6TensorESK_SK_EERKSK_lbbbEUlllE0_EEPmJS9_EEE10hipError_tPvRmT3_T4_T5_T6_T7_T9_mT8_P12ihipStream_tbDpT10_ENKUlT_T0_E_clISt17integral_constantIbLb0EES1A_EEDaS15_S16_EUlS15_E_NS1_11comp_targetILNS1_3genE4ELNS1_11target_archE910ELNS1_3gpuE8ELNS1_3repE0EEENS1_30default_config_static_selectorELNS0_4arch9wavefront6targetE1EEEvT1_
		.amdhsa_group_segment_fixed_size 4236
		.amdhsa_private_segment_fixed_size 0
		.amdhsa_kernarg_size 120
		.amdhsa_user_sgpr_count 6
		.amdhsa_user_sgpr_private_segment_buffer 1
		.amdhsa_user_sgpr_dispatch_ptr 0
		.amdhsa_user_sgpr_queue_ptr 0
		.amdhsa_user_sgpr_kernarg_segment_ptr 1
		.amdhsa_user_sgpr_dispatch_id 0
		.amdhsa_user_sgpr_flat_scratch_init 0
		.amdhsa_user_sgpr_kernarg_preload_length 0
		.amdhsa_user_sgpr_kernarg_preload_offset 0
		.amdhsa_user_sgpr_private_segment_size 0
		.amdhsa_uses_dynamic_stack 0
		.amdhsa_system_sgpr_private_segment_wavefront_offset 0
		.amdhsa_system_sgpr_workgroup_id_x 1
		.amdhsa_system_sgpr_workgroup_id_y 0
		.amdhsa_system_sgpr_workgroup_id_z 0
		.amdhsa_system_sgpr_workgroup_info 0
		.amdhsa_system_vgpr_workitem_id 0
		.amdhsa_next_free_vgpr 50
		.amdhsa_next_free_sgpr 46
		.amdhsa_accum_offset 52
		.amdhsa_reserve_vcc 1
		.amdhsa_reserve_flat_scratch 0
		.amdhsa_float_round_mode_32 0
		.amdhsa_float_round_mode_16_64 0
		.amdhsa_float_denorm_mode_32 3
		.amdhsa_float_denorm_mode_16_64 3
		.amdhsa_dx10_clamp 1
		.amdhsa_ieee_mode 1
		.amdhsa_fp16_overflow 0
		.amdhsa_tg_split 0
		.amdhsa_exception_fp_ieee_invalid_op 0
		.amdhsa_exception_fp_denorm_src 0
		.amdhsa_exception_fp_ieee_div_zero 0
		.amdhsa_exception_fp_ieee_overflow 0
		.amdhsa_exception_fp_ieee_underflow 0
		.amdhsa_exception_fp_ieee_inexact 0
		.amdhsa_exception_int_div_zero 0
	.end_amdhsa_kernel
	.section	.text._ZN7rocprim17ROCPRIM_400000_NS6detail17trampoline_kernelINS0_14default_configENS1_25partition_config_selectorILNS1_17partition_subalgoE9EllbEEZZNS1_14partition_implILS5_9ELb0ES3_jPlS8_PNS0_10empty_typeENS0_5tupleIJS8_S9_EEENSB_IJS8_SA_EEENS0_18inequality_wrapperIZN2at6native12_GLOBAL__N_124unique_dim_cuda_templateImEESt5tupleIJNSF_6TensorESK_SK_EERKSK_lbbbEUlllE0_EEPmJS9_EEE10hipError_tPvRmT3_T4_T5_T6_T7_T9_mT8_P12ihipStream_tbDpT10_ENKUlT_T0_E_clISt17integral_constantIbLb0EES1A_EEDaS15_S16_EUlS15_E_NS1_11comp_targetILNS1_3genE4ELNS1_11target_archE910ELNS1_3gpuE8ELNS1_3repE0EEENS1_30default_config_static_selectorELNS0_4arch9wavefront6targetE1EEEvT1_,"axG",@progbits,_ZN7rocprim17ROCPRIM_400000_NS6detail17trampoline_kernelINS0_14default_configENS1_25partition_config_selectorILNS1_17partition_subalgoE9EllbEEZZNS1_14partition_implILS5_9ELb0ES3_jPlS8_PNS0_10empty_typeENS0_5tupleIJS8_S9_EEENSB_IJS8_SA_EEENS0_18inequality_wrapperIZN2at6native12_GLOBAL__N_124unique_dim_cuda_templateImEESt5tupleIJNSF_6TensorESK_SK_EERKSK_lbbbEUlllE0_EEPmJS9_EEE10hipError_tPvRmT3_T4_T5_T6_T7_T9_mT8_P12ihipStream_tbDpT10_ENKUlT_T0_E_clISt17integral_constantIbLb0EES1A_EEDaS15_S16_EUlS15_E_NS1_11comp_targetILNS1_3genE4ELNS1_11target_archE910ELNS1_3gpuE8ELNS1_3repE0EEENS1_30default_config_static_selectorELNS0_4arch9wavefront6targetE1EEEvT1_,comdat
.Lfunc_end1695:
	.size	_ZN7rocprim17ROCPRIM_400000_NS6detail17trampoline_kernelINS0_14default_configENS1_25partition_config_selectorILNS1_17partition_subalgoE9EllbEEZZNS1_14partition_implILS5_9ELb0ES3_jPlS8_PNS0_10empty_typeENS0_5tupleIJS8_S9_EEENSB_IJS8_SA_EEENS0_18inequality_wrapperIZN2at6native12_GLOBAL__N_124unique_dim_cuda_templateImEESt5tupleIJNSF_6TensorESK_SK_EERKSK_lbbbEUlllE0_EEPmJS9_EEE10hipError_tPvRmT3_T4_T5_T6_T7_T9_mT8_P12ihipStream_tbDpT10_ENKUlT_T0_E_clISt17integral_constantIbLb0EES1A_EEDaS15_S16_EUlS15_E_NS1_11comp_targetILNS1_3genE4ELNS1_11target_archE910ELNS1_3gpuE8ELNS1_3repE0EEENS1_30default_config_static_selectorELNS0_4arch9wavefront6targetE1EEEvT1_, .Lfunc_end1695-_ZN7rocprim17ROCPRIM_400000_NS6detail17trampoline_kernelINS0_14default_configENS1_25partition_config_selectorILNS1_17partition_subalgoE9EllbEEZZNS1_14partition_implILS5_9ELb0ES3_jPlS8_PNS0_10empty_typeENS0_5tupleIJS8_S9_EEENSB_IJS8_SA_EEENS0_18inequality_wrapperIZN2at6native12_GLOBAL__N_124unique_dim_cuda_templateImEESt5tupleIJNSF_6TensorESK_SK_EERKSK_lbbbEUlllE0_EEPmJS9_EEE10hipError_tPvRmT3_T4_T5_T6_T7_T9_mT8_P12ihipStream_tbDpT10_ENKUlT_T0_E_clISt17integral_constantIbLb0EES1A_EEDaS15_S16_EUlS15_E_NS1_11comp_targetILNS1_3genE4ELNS1_11target_archE910ELNS1_3gpuE8ELNS1_3repE0EEENS1_30default_config_static_selectorELNS0_4arch9wavefront6targetE1EEEvT1_
                                        ; -- End function
	.section	.AMDGPU.csdata,"",@progbits
; Kernel info:
; codeLenInByte = 10796
; NumSgprs: 50
; NumVgprs: 50
; NumAgprs: 0
; TotalNumVgprs: 50
; ScratchSize: 0
; MemoryBound: 1
; FloatMode: 240
; IeeeMode: 1
; LDSByteSize: 4236 bytes/workgroup (compile time only)
; SGPRBlocks: 6
; VGPRBlocks: 6
; NumSGPRsForWavesPerEU: 50
; NumVGPRsForWavesPerEU: 50
; AccumOffset: 52
; Occupancy: 8
; WaveLimiterHint : 1
; COMPUTE_PGM_RSRC2:SCRATCH_EN: 0
; COMPUTE_PGM_RSRC2:USER_SGPR: 6
; COMPUTE_PGM_RSRC2:TRAP_HANDLER: 0
; COMPUTE_PGM_RSRC2:TGID_X_EN: 1
; COMPUTE_PGM_RSRC2:TGID_Y_EN: 0
; COMPUTE_PGM_RSRC2:TGID_Z_EN: 0
; COMPUTE_PGM_RSRC2:TIDIG_COMP_CNT: 0
; COMPUTE_PGM_RSRC3_GFX90A:ACCUM_OFFSET: 12
; COMPUTE_PGM_RSRC3_GFX90A:TG_SPLIT: 0
	.section	.text._ZN7rocprim17ROCPRIM_400000_NS6detail17trampoline_kernelINS0_14default_configENS1_25partition_config_selectorILNS1_17partition_subalgoE9EllbEEZZNS1_14partition_implILS5_9ELb0ES3_jPlS8_PNS0_10empty_typeENS0_5tupleIJS8_S9_EEENSB_IJS8_SA_EEENS0_18inequality_wrapperIZN2at6native12_GLOBAL__N_124unique_dim_cuda_templateImEESt5tupleIJNSF_6TensorESK_SK_EERKSK_lbbbEUlllE0_EEPmJS9_EEE10hipError_tPvRmT3_T4_T5_T6_T7_T9_mT8_P12ihipStream_tbDpT10_ENKUlT_T0_E_clISt17integral_constantIbLb0EES1A_EEDaS15_S16_EUlS15_E_NS1_11comp_targetILNS1_3genE3ELNS1_11target_archE908ELNS1_3gpuE7ELNS1_3repE0EEENS1_30default_config_static_selectorELNS0_4arch9wavefront6targetE1EEEvT1_,"axG",@progbits,_ZN7rocprim17ROCPRIM_400000_NS6detail17trampoline_kernelINS0_14default_configENS1_25partition_config_selectorILNS1_17partition_subalgoE9EllbEEZZNS1_14partition_implILS5_9ELb0ES3_jPlS8_PNS0_10empty_typeENS0_5tupleIJS8_S9_EEENSB_IJS8_SA_EEENS0_18inequality_wrapperIZN2at6native12_GLOBAL__N_124unique_dim_cuda_templateImEESt5tupleIJNSF_6TensorESK_SK_EERKSK_lbbbEUlllE0_EEPmJS9_EEE10hipError_tPvRmT3_T4_T5_T6_T7_T9_mT8_P12ihipStream_tbDpT10_ENKUlT_T0_E_clISt17integral_constantIbLb0EES1A_EEDaS15_S16_EUlS15_E_NS1_11comp_targetILNS1_3genE3ELNS1_11target_archE908ELNS1_3gpuE7ELNS1_3repE0EEENS1_30default_config_static_selectorELNS0_4arch9wavefront6targetE1EEEvT1_,comdat
	.globl	_ZN7rocprim17ROCPRIM_400000_NS6detail17trampoline_kernelINS0_14default_configENS1_25partition_config_selectorILNS1_17partition_subalgoE9EllbEEZZNS1_14partition_implILS5_9ELb0ES3_jPlS8_PNS0_10empty_typeENS0_5tupleIJS8_S9_EEENSB_IJS8_SA_EEENS0_18inequality_wrapperIZN2at6native12_GLOBAL__N_124unique_dim_cuda_templateImEESt5tupleIJNSF_6TensorESK_SK_EERKSK_lbbbEUlllE0_EEPmJS9_EEE10hipError_tPvRmT3_T4_T5_T6_T7_T9_mT8_P12ihipStream_tbDpT10_ENKUlT_T0_E_clISt17integral_constantIbLb0EES1A_EEDaS15_S16_EUlS15_E_NS1_11comp_targetILNS1_3genE3ELNS1_11target_archE908ELNS1_3gpuE7ELNS1_3repE0EEENS1_30default_config_static_selectorELNS0_4arch9wavefront6targetE1EEEvT1_ ; -- Begin function _ZN7rocprim17ROCPRIM_400000_NS6detail17trampoline_kernelINS0_14default_configENS1_25partition_config_selectorILNS1_17partition_subalgoE9EllbEEZZNS1_14partition_implILS5_9ELb0ES3_jPlS8_PNS0_10empty_typeENS0_5tupleIJS8_S9_EEENSB_IJS8_SA_EEENS0_18inequality_wrapperIZN2at6native12_GLOBAL__N_124unique_dim_cuda_templateImEESt5tupleIJNSF_6TensorESK_SK_EERKSK_lbbbEUlllE0_EEPmJS9_EEE10hipError_tPvRmT3_T4_T5_T6_T7_T9_mT8_P12ihipStream_tbDpT10_ENKUlT_T0_E_clISt17integral_constantIbLb0EES1A_EEDaS15_S16_EUlS15_E_NS1_11comp_targetILNS1_3genE3ELNS1_11target_archE908ELNS1_3gpuE7ELNS1_3repE0EEENS1_30default_config_static_selectorELNS0_4arch9wavefront6targetE1EEEvT1_
	.p2align	8
	.type	_ZN7rocprim17ROCPRIM_400000_NS6detail17trampoline_kernelINS0_14default_configENS1_25partition_config_selectorILNS1_17partition_subalgoE9EllbEEZZNS1_14partition_implILS5_9ELb0ES3_jPlS8_PNS0_10empty_typeENS0_5tupleIJS8_S9_EEENSB_IJS8_SA_EEENS0_18inequality_wrapperIZN2at6native12_GLOBAL__N_124unique_dim_cuda_templateImEESt5tupleIJNSF_6TensorESK_SK_EERKSK_lbbbEUlllE0_EEPmJS9_EEE10hipError_tPvRmT3_T4_T5_T6_T7_T9_mT8_P12ihipStream_tbDpT10_ENKUlT_T0_E_clISt17integral_constantIbLb0EES1A_EEDaS15_S16_EUlS15_E_NS1_11comp_targetILNS1_3genE3ELNS1_11target_archE908ELNS1_3gpuE7ELNS1_3repE0EEENS1_30default_config_static_selectorELNS0_4arch9wavefront6targetE1EEEvT1_,@function
_ZN7rocprim17ROCPRIM_400000_NS6detail17trampoline_kernelINS0_14default_configENS1_25partition_config_selectorILNS1_17partition_subalgoE9EllbEEZZNS1_14partition_implILS5_9ELb0ES3_jPlS8_PNS0_10empty_typeENS0_5tupleIJS8_S9_EEENSB_IJS8_SA_EEENS0_18inequality_wrapperIZN2at6native12_GLOBAL__N_124unique_dim_cuda_templateImEESt5tupleIJNSF_6TensorESK_SK_EERKSK_lbbbEUlllE0_EEPmJS9_EEE10hipError_tPvRmT3_T4_T5_T6_T7_T9_mT8_P12ihipStream_tbDpT10_ENKUlT_T0_E_clISt17integral_constantIbLb0EES1A_EEDaS15_S16_EUlS15_E_NS1_11comp_targetILNS1_3genE3ELNS1_11target_archE908ELNS1_3gpuE7ELNS1_3repE0EEENS1_30default_config_static_selectorELNS0_4arch9wavefront6targetE1EEEvT1_: ; @_ZN7rocprim17ROCPRIM_400000_NS6detail17trampoline_kernelINS0_14default_configENS1_25partition_config_selectorILNS1_17partition_subalgoE9EllbEEZZNS1_14partition_implILS5_9ELb0ES3_jPlS8_PNS0_10empty_typeENS0_5tupleIJS8_S9_EEENSB_IJS8_SA_EEENS0_18inequality_wrapperIZN2at6native12_GLOBAL__N_124unique_dim_cuda_templateImEESt5tupleIJNSF_6TensorESK_SK_EERKSK_lbbbEUlllE0_EEPmJS9_EEE10hipError_tPvRmT3_T4_T5_T6_T7_T9_mT8_P12ihipStream_tbDpT10_ENKUlT_T0_E_clISt17integral_constantIbLb0EES1A_EEDaS15_S16_EUlS15_E_NS1_11comp_targetILNS1_3genE3ELNS1_11target_archE908ELNS1_3gpuE7ELNS1_3repE0EEENS1_30default_config_static_selectorELNS0_4arch9wavefront6targetE1EEEvT1_
; %bb.0:
	.section	.rodata,"a",@progbits
	.p2align	6, 0x0
	.amdhsa_kernel _ZN7rocprim17ROCPRIM_400000_NS6detail17trampoline_kernelINS0_14default_configENS1_25partition_config_selectorILNS1_17partition_subalgoE9EllbEEZZNS1_14partition_implILS5_9ELb0ES3_jPlS8_PNS0_10empty_typeENS0_5tupleIJS8_S9_EEENSB_IJS8_SA_EEENS0_18inequality_wrapperIZN2at6native12_GLOBAL__N_124unique_dim_cuda_templateImEESt5tupleIJNSF_6TensorESK_SK_EERKSK_lbbbEUlllE0_EEPmJS9_EEE10hipError_tPvRmT3_T4_T5_T6_T7_T9_mT8_P12ihipStream_tbDpT10_ENKUlT_T0_E_clISt17integral_constantIbLb0EES1A_EEDaS15_S16_EUlS15_E_NS1_11comp_targetILNS1_3genE3ELNS1_11target_archE908ELNS1_3gpuE7ELNS1_3repE0EEENS1_30default_config_static_selectorELNS0_4arch9wavefront6targetE1EEEvT1_
		.amdhsa_group_segment_fixed_size 0
		.amdhsa_private_segment_fixed_size 0
		.amdhsa_kernarg_size 120
		.amdhsa_user_sgpr_count 6
		.amdhsa_user_sgpr_private_segment_buffer 1
		.amdhsa_user_sgpr_dispatch_ptr 0
		.amdhsa_user_sgpr_queue_ptr 0
		.amdhsa_user_sgpr_kernarg_segment_ptr 1
		.amdhsa_user_sgpr_dispatch_id 0
		.amdhsa_user_sgpr_flat_scratch_init 0
		.amdhsa_user_sgpr_kernarg_preload_length 0
		.amdhsa_user_sgpr_kernarg_preload_offset 0
		.amdhsa_user_sgpr_private_segment_size 0
		.amdhsa_uses_dynamic_stack 0
		.amdhsa_system_sgpr_private_segment_wavefront_offset 0
		.amdhsa_system_sgpr_workgroup_id_x 1
		.amdhsa_system_sgpr_workgroup_id_y 0
		.amdhsa_system_sgpr_workgroup_id_z 0
		.amdhsa_system_sgpr_workgroup_info 0
		.amdhsa_system_vgpr_workitem_id 0
		.amdhsa_next_free_vgpr 1
		.amdhsa_next_free_sgpr 0
		.amdhsa_accum_offset 4
		.amdhsa_reserve_vcc 0
		.amdhsa_reserve_flat_scratch 0
		.amdhsa_float_round_mode_32 0
		.amdhsa_float_round_mode_16_64 0
		.amdhsa_float_denorm_mode_32 3
		.amdhsa_float_denorm_mode_16_64 3
		.amdhsa_dx10_clamp 1
		.amdhsa_ieee_mode 1
		.amdhsa_fp16_overflow 0
		.amdhsa_tg_split 0
		.amdhsa_exception_fp_ieee_invalid_op 0
		.amdhsa_exception_fp_denorm_src 0
		.amdhsa_exception_fp_ieee_div_zero 0
		.amdhsa_exception_fp_ieee_overflow 0
		.amdhsa_exception_fp_ieee_underflow 0
		.amdhsa_exception_fp_ieee_inexact 0
		.amdhsa_exception_int_div_zero 0
	.end_amdhsa_kernel
	.section	.text._ZN7rocprim17ROCPRIM_400000_NS6detail17trampoline_kernelINS0_14default_configENS1_25partition_config_selectorILNS1_17partition_subalgoE9EllbEEZZNS1_14partition_implILS5_9ELb0ES3_jPlS8_PNS0_10empty_typeENS0_5tupleIJS8_S9_EEENSB_IJS8_SA_EEENS0_18inequality_wrapperIZN2at6native12_GLOBAL__N_124unique_dim_cuda_templateImEESt5tupleIJNSF_6TensorESK_SK_EERKSK_lbbbEUlllE0_EEPmJS9_EEE10hipError_tPvRmT3_T4_T5_T6_T7_T9_mT8_P12ihipStream_tbDpT10_ENKUlT_T0_E_clISt17integral_constantIbLb0EES1A_EEDaS15_S16_EUlS15_E_NS1_11comp_targetILNS1_3genE3ELNS1_11target_archE908ELNS1_3gpuE7ELNS1_3repE0EEENS1_30default_config_static_selectorELNS0_4arch9wavefront6targetE1EEEvT1_,"axG",@progbits,_ZN7rocprim17ROCPRIM_400000_NS6detail17trampoline_kernelINS0_14default_configENS1_25partition_config_selectorILNS1_17partition_subalgoE9EllbEEZZNS1_14partition_implILS5_9ELb0ES3_jPlS8_PNS0_10empty_typeENS0_5tupleIJS8_S9_EEENSB_IJS8_SA_EEENS0_18inequality_wrapperIZN2at6native12_GLOBAL__N_124unique_dim_cuda_templateImEESt5tupleIJNSF_6TensorESK_SK_EERKSK_lbbbEUlllE0_EEPmJS9_EEE10hipError_tPvRmT3_T4_T5_T6_T7_T9_mT8_P12ihipStream_tbDpT10_ENKUlT_T0_E_clISt17integral_constantIbLb0EES1A_EEDaS15_S16_EUlS15_E_NS1_11comp_targetILNS1_3genE3ELNS1_11target_archE908ELNS1_3gpuE7ELNS1_3repE0EEENS1_30default_config_static_selectorELNS0_4arch9wavefront6targetE1EEEvT1_,comdat
.Lfunc_end1696:
	.size	_ZN7rocprim17ROCPRIM_400000_NS6detail17trampoline_kernelINS0_14default_configENS1_25partition_config_selectorILNS1_17partition_subalgoE9EllbEEZZNS1_14partition_implILS5_9ELb0ES3_jPlS8_PNS0_10empty_typeENS0_5tupleIJS8_S9_EEENSB_IJS8_SA_EEENS0_18inequality_wrapperIZN2at6native12_GLOBAL__N_124unique_dim_cuda_templateImEESt5tupleIJNSF_6TensorESK_SK_EERKSK_lbbbEUlllE0_EEPmJS9_EEE10hipError_tPvRmT3_T4_T5_T6_T7_T9_mT8_P12ihipStream_tbDpT10_ENKUlT_T0_E_clISt17integral_constantIbLb0EES1A_EEDaS15_S16_EUlS15_E_NS1_11comp_targetILNS1_3genE3ELNS1_11target_archE908ELNS1_3gpuE7ELNS1_3repE0EEENS1_30default_config_static_selectorELNS0_4arch9wavefront6targetE1EEEvT1_, .Lfunc_end1696-_ZN7rocprim17ROCPRIM_400000_NS6detail17trampoline_kernelINS0_14default_configENS1_25partition_config_selectorILNS1_17partition_subalgoE9EllbEEZZNS1_14partition_implILS5_9ELb0ES3_jPlS8_PNS0_10empty_typeENS0_5tupleIJS8_S9_EEENSB_IJS8_SA_EEENS0_18inequality_wrapperIZN2at6native12_GLOBAL__N_124unique_dim_cuda_templateImEESt5tupleIJNSF_6TensorESK_SK_EERKSK_lbbbEUlllE0_EEPmJS9_EEE10hipError_tPvRmT3_T4_T5_T6_T7_T9_mT8_P12ihipStream_tbDpT10_ENKUlT_T0_E_clISt17integral_constantIbLb0EES1A_EEDaS15_S16_EUlS15_E_NS1_11comp_targetILNS1_3genE3ELNS1_11target_archE908ELNS1_3gpuE7ELNS1_3repE0EEENS1_30default_config_static_selectorELNS0_4arch9wavefront6targetE1EEEvT1_
                                        ; -- End function
	.section	.AMDGPU.csdata,"",@progbits
; Kernel info:
; codeLenInByte = 0
; NumSgprs: 4
; NumVgprs: 0
; NumAgprs: 0
; TotalNumVgprs: 0
; ScratchSize: 0
; MemoryBound: 0
; FloatMode: 240
; IeeeMode: 1
; LDSByteSize: 0 bytes/workgroup (compile time only)
; SGPRBlocks: 0
; VGPRBlocks: 0
; NumSGPRsForWavesPerEU: 4
; NumVGPRsForWavesPerEU: 1
; AccumOffset: 4
; Occupancy: 8
; WaveLimiterHint : 0
; COMPUTE_PGM_RSRC2:SCRATCH_EN: 0
; COMPUTE_PGM_RSRC2:USER_SGPR: 6
; COMPUTE_PGM_RSRC2:TRAP_HANDLER: 0
; COMPUTE_PGM_RSRC2:TGID_X_EN: 1
; COMPUTE_PGM_RSRC2:TGID_Y_EN: 0
; COMPUTE_PGM_RSRC2:TGID_Z_EN: 0
; COMPUTE_PGM_RSRC2:TIDIG_COMP_CNT: 0
; COMPUTE_PGM_RSRC3_GFX90A:ACCUM_OFFSET: 0
; COMPUTE_PGM_RSRC3_GFX90A:TG_SPLIT: 0
	.section	.text._ZN7rocprim17ROCPRIM_400000_NS6detail17trampoline_kernelINS0_14default_configENS1_25partition_config_selectorILNS1_17partition_subalgoE9EllbEEZZNS1_14partition_implILS5_9ELb0ES3_jPlS8_PNS0_10empty_typeENS0_5tupleIJS8_S9_EEENSB_IJS8_SA_EEENS0_18inequality_wrapperIZN2at6native12_GLOBAL__N_124unique_dim_cuda_templateImEESt5tupleIJNSF_6TensorESK_SK_EERKSK_lbbbEUlllE0_EEPmJS9_EEE10hipError_tPvRmT3_T4_T5_T6_T7_T9_mT8_P12ihipStream_tbDpT10_ENKUlT_T0_E_clISt17integral_constantIbLb0EES1A_EEDaS15_S16_EUlS15_E_NS1_11comp_targetILNS1_3genE2ELNS1_11target_archE906ELNS1_3gpuE6ELNS1_3repE0EEENS1_30default_config_static_selectorELNS0_4arch9wavefront6targetE1EEEvT1_,"axG",@progbits,_ZN7rocprim17ROCPRIM_400000_NS6detail17trampoline_kernelINS0_14default_configENS1_25partition_config_selectorILNS1_17partition_subalgoE9EllbEEZZNS1_14partition_implILS5_9ELb0ES3_jPlS8_PNS0_10empty_typeENS0_5tupleIJS8_S9_EEENSB_IJS8_SA_EEENS0_18inequality_wrapperIZN2at6native12_GLOBAL__N_124unique_dim_cuda_templateImEESt5tupleIJNSF_6TensorESK_SK_EERKSK_lbbbEUlllE0_EEPmJS9_EEE10hipError_tPvRmT3_T4_T5_T6_T7_T9_mT8_P12ihipStream_tbDpT10_ENKUlT_T0_E_clISt17integral_constantIbLb0EES1A_EEDaS15_S16_EUlS15_E_NS1_11comp_targetILNS1_3genE2ELNS1_11target_archE906ELNS1_3gpuE6ELNS1_3repE0EEENS1_30default_config_static_selectorELNS0_4arch9wavefront6targetE1EEEvT1_,comdat
	.globl	_ZN7rocprim17ROCPRIM_400000_NS6detail17trampoline_kernelINS0_14default_configENS1_25partition_config_selectorILNS1_17partition_subalgoE9EllbEEZZNS1_14partition_implILS5_9ELb0ES3_jPlS8_PNS0_10empty_typeENS0_5tupleIJS8_S9_EEENSB_IJS8_SA_EEENS0_18inequality_wrapperIZN2at6native12_GLOBAL__N_124unique_dim_cuda_templateImEESt5tupleIJNSF_6TensorESK_SK_EERKSK_lbbbEUlllE0_EEPmJS9_EEE10hipError_tPvRmT3_T4_T5_T6_T7_T9_mT8_P12ihipStream_tbDpT10_ENKUlT_T0_E_clISt17integral_constantIbLb0EES1A_EEDaS15_S16_EUlS15_E_NS1_11comp_targetILNS1_3genE2ELNS1_11target_archE906ELNS1_3gpuE6ELNS1_3repE0EEENS1_30default_config_static_selectorELNS0_4arch9wavefront6targetE1EEEvT1_ ; -- Begin function _ZN7rocprim17ROCPRIM_400000_NS6detail17trampoline_kernelINS0_14default_configENS1_25partition_config_selectorILNS1_17partition_subalgoE9EllbEEZZNS1_14partition_implILS5_9ELb0ES3_jPlS8_PNS0_10empty_typeENS0_5tupleIJS8_S9_EEENSB_IJS8_SA_EEENS0_18inequality_wrapperIZN2at6native12_GLOBAL__N_124unique_dim_cuda_templateImEESt5tupleIJNSF_6TensorESK_SK_EERKSK_lbbbEUlllE0_EEPmJS9_EEE10hipError_tPvRmT3_T4_T5_T6_T7_T9_mT8_P12ihipStream_tbDpT10_ENKUlT_T0_E_clISt17integral_constantIbLb0EES1A_EEDaS15_S16_EUlS15_E_NS1_11comp_targetILNS1_3genE2ELNS1_11target_archE906ELNS1_3gpuE6ELNS1_3repE0EEENS1_30default_config_static_selectorELNS0_4arch9wavefront6targetE1EEEvT1_
	.p2align	8
	.type	_ZN7rocprim17ROCPRIM_400000_NS6detail17trampoline_kernelINS0_14default_configENS1_25partition_config_selectorILNS1_17partition_subalgoE9EllbEEZZNS1_14partition_implILS5_9ELb0ES3_jPlS8_PNS0_10empty_typeENS0_5tupleIJS8_S9_EEENSB_IJS8_SA_EEENS0_18inequality_wrapperIZN2at6native12_GLOBAL__N_124unique_dim_cuda_templateImEESt5tupleIJNSF_6TensorESK_SK_EERKSK_lbbbEUlllE0_EEPmJS9_EEE10hipError_tPvRmT3_T4_T5_T6_T7_T9_mT8_P12ihipStream_tbDpT10_ENKUlT_T0_E_clISt17integral_constantIbLb0EES1A_EEDaS15_S16_EUlS15_E_NS1_11comp_targetILNS1_3genE2ELNS1_11target_archE906ELNS1_3gpuE6ELNS1_3repE0EEENS1_30default_config_static_selectorELNS0_4arch9wavefront6targetE1EEEvT1_,@function
_ZN7rocprim17ROCPRIM_400000_NS6detail17trampoline_kernelINS0_14default_configENS1_25partition_config_selectorILNS1_17partition_subalgoE9EllbEEZZNS1_14partition_implILS5_9ELb0ES3_jPlS8_PNS0_10empty_typeENS0_5tupleIJS8_S9_EEENSB_IJS8_SA_EEENS0_18inequality_wrapperIZN2at6native12_GLOBAL__N_124unique_dim_cuda_templateImEESt5tupleIJNSF_6TensorESK_SK_EERKSK_lbbbEUlllE0_EEPmJS9_EEE10hipError_tPvRmT3_T4_T5_T6_T7_T9_mT8_P12ihipStream_tbDpT10_ENKUlT_T0_E_clISt17integral_constantIbLb0EES1A_EEDaS15_S16_EUlS15_E_NS1_11comp_targetILNS1_3genE2ELNS1_11target_archE906ELNS1_3gpuE6ELNS1_3repE0EEENS1_30default_config_static_selectorELNS0_4arch9wavefront6targetE1EEEvT1_: ; @_ZN7rocprim17ROCPRIM_400000_NS6detail17trampoline_kernelINS0_14default_configENS1_25partition_config_selectorILNS1_17partition_subalgoE9EllbEEZZNS1_14partition_implILS5_9ELb0ES3_jPlS8_PNS0_10empty_typeENS0_5tupleIJS8_S9_EEENSB_IJS8_SA_EEENS0_18inequality_wrapperIZN2at6native12_GLOBAL__N_124unique_dim_cuda_templateImEESt5tupleIJNSF_6TensorESK_SK_EERKSK_lbbbEUlllE0_EEPmJS9_EEE10hipError_tPvRmT3_T4_T5_T6_T7_T9_mT8_P12ihipStream_tbDpT10_ENKUlT_T0_E_clISt17integral_constantIbLb0EES1A_EEDaS15_S16_EUlS15_E_NS1_11comp_targetILNS1_3genE2ELNS1_11target_archE906ELNS1_3gpuE6ELNS1_3repE0EEENS1_30default_config_static_selectorELNS0_4arch9wavefront6targetE1EEEvT1_
; %bb.0:
	.section	.rodata,"a",@progbits
	.p2align	6, 0x0
	.amdhsa_kernel _ZN7rocprim17ROCPRIM_400000_NS6detail17trampoline_kernelINS0_14default_configENS1_25partition_config_selectorILNS1_17partition_subalgoE9EllbEEZZNS1_14partition_implILS5_9ELb0ES3_jPlS8_PNS0_10empty_typeENS0_5tupleIJS8_S9_EEENSB_IJS8_SA_EEENS0_18inequality_wrapperIZN2at6native12_GLOBAL__N_124unique_dim_cuda_templateImEESt5tupleIJNSF_6TensorESK_SK_EERKSK_lbbbEUlllE0_EEPmJS9_EEE10hipError_tPvRmT3_T4_T5_T6_T7_T9_mT8_P12ihipStream_tbDpT10_ENKUlT_T0_E_clISt17integral_constantIbLb0EES1A_EEDaS15_S16_EUlS15_E_NS1_11comp_targetILNS1_3genE2ELNS1_11target_archE906ELNS1_3gpuE6ELNS1_3repE0EEENS1_30default_config_static_selectorELNS0_4arch9wavefront6targetE1EEEvT1_
		.amdhsa_group_segment_fixed_size 0
		.amdhsa_private_segment_fixed_size 0
		.amdhsa_kernarg_size 120
		.amdhsa_user_sgpr_count 6
		.amdhsa_user_sgpr_private_segment_buffer 1
		.amdhsa_user_sgpr_dispatch_ptr 0
		.amdhsa_user_sgpr_queue_ptr 0
		.amdhsa_user_sgpr_kernarg_segment_ptr 1
		.amdhsa_user_sgpr_dispatch_id 0
		.amdhsa_user_sgpr_flat_scratch_init 0
		.amdhsa_user_sgpr_kernarg_preload_length 0
		.amdhsa_user_sgpr_kernarg_preload_offset 0
		.amdhsa_user_sgpr_private_segment_size 0
		.amdhsa_uses_dynamic_stack 0
		.amdhsa_system_sgpr_private_segment_wavefront_offset 0
		.amdhsa_system_sgpr_workgroup_id_x 1
		.amdhsa_system_sgpr_workgroup_id_y 0
		.amdhsa_system_sgpr_workgroup_id_z 0
		.amdhsa_system_sgpr_workgroup_info 0
		.amdhsa_system_vgpr_workitem_id 0
		.amdhsa_next_free_vgpr 1
		.amdhsa_next_free_sgpr 0
		.amdhsa_accum_offset 4
		.amdhsa_reserve_vcc 0
		.amdhsa_reserve_flat_scratch 0
		.amdhsa_float_round_mode_32 0
		.amdhsa_float_round_mode_16_64 0
		.amdhsa_float_denorm_mode_32 3
		.amdhsa_float_denorm_mode_16_64 3
		.amdhsa_dx10_clamp 1
		.amdhsa_ieee_mode 1
		.amdhsa_fp16_overflow 0
		.amdhsa_tg_split 0
		.amdhsa_exception_fp_ieee_invalid_op 0
		.amdhsa_exception_fp_denorm_src 0
		.amdhsa_exception_fp_ieee_div_zero 0
		.amdhsa_exception_fp_ieee_overflow 0
		.amdhsa_exception_fp_ieee_underflow 0
		.amdhsa_exception_fp_ieee_inexact 0
		.amdhsa_exception_int_div_zero 0
	.end_amdhsa_kernel
	.section	.text._ZN7rocprim17ROCPRIM_400000_NS6detail17trampoline_kernelINS0_14default_configENS1_25partition_config_selectorILNS1_17partition_subalgoE9EllbEEZZNS1_14partition_implILS5_9ELb0ES3_jPlS8_PNS0_10empty_typeENS0_5tupleIJS8_S9_EEENSB_IJS8_SA_EEENS0_18inequality_wrapperIZN2at6native12_GLOBAL__N_124unique_dim_cuda_templateImEESt5tupleIJNSF_6TensorESK_SK_EERKSK_lbbbEUlllE0_EEPmJS9_EEE10hipError_tPvRmT3_T4_T5_T6_T7_T9_mT8_P12ihipStream_tbDpT10_ENKUlT_T0_E_clISt17integral_constantIbLb0EES1A_EEDaS15_S16_EUlS15_E_NS1_11comp_targetILNS1_3genE2ELNS1_11target_archE906ELNS1_3gpuE6ELNS1_3repE0EEENS1_30default_config_static_selectorELNS0_4arch9wavefront6targetE1EEEvT1_,"axG",@progbits,_ZN7rocprim17ROCPRIM_400000_NS6detail17trampoline_kernelINS0_14default_configENS1_25partition_config_selectorILNS1_17partition_subalgoE9EllbEEZZNS1_14partition_implILS5_9ELb0ES3_jPlS8_PNS0_10empty_typeENS0_5tupleIJS8_S9_EEENSB_IJS8_SA_EEENS0_18inequality_wrapperIZN2at6native12_GLOBAL__N_124unique_dim_cuda_templateImEESt5tupleIJNSF_6TensorESK_SK_EERKSK_lbbbEUlllE0_EEPmJS9_EEE10hipError_tPvRmT3_T4_T5_T6_T7_T9_mT8_P12ihipStream_tbDpT10_ENKUlT_T0_E_clISt17integral_constantIbLb0EES1A_EEDaS15_S16_EUlS15_E_NS1_11comp_targetILNS1_3genE2ELNS1_11target_archE906ELNS1_3gpuE6ELNS1_3repE0EEENS1_30default_config_static_selectorELNS0_4arch9wavefront6targetE1EEEvT1_,comdat
.Lfunc_end1697:
	.size	_ZN7rocprim17ROCPRIM_400000_NS6detail17trampoline_kernelINS0_14default_configENS1_25partition_config_selectorILNS1_17partition_subalgoE9EllbEEZZNS1_14partition_implILS5_9ELb0ES3_jPlS8_PNS0_10empty_typeENS0_5tupleIJS8_S9_EEENSB_IJS8_SA_EEENS0_18inequality_wrapperIZN2at6native12_GLOBAL__N_124unique_dim_cuda_templateImEESt5tupleIJNSF_6TensorESK_SK_EERKSK_lbbbEUlllE0_EEPmJS9_EEE10hipError_tPvRmT3_T4_T5_T6_T7_T9_mT8_P12ihipStream_tbDpT10_ENKUlT_T0_E_clISt17integral_constantIbLb0EES1A_EEDaS15_S16_EUlS15_E_NS1_11comp_targetILNS1_3genE2ELNS1_11target_archE906ELNS1_3gpuE6ELNS1_3repE0EEENS1_30default_config_static_selectorELNS0_4arch9wavefront6targetE1EEEvT1_, .Lfunc_end1697-_ZN7rocprim17ROCPRIM_400000_NS6detail17trampoline_kernelINS0_14default_configENS1_25partition_config_selectorILNS1_17partition_subalgoE9EllbEEZZNS1_14partition_implILS5_9ELb0ES3_jPlS8_PNS0_10empty_typeENS0_5tupleIJS8_S9_EEENSB_IJS8_SA_EEENS0_18inequality_wrapperIZN2at6native12_GLOBAL__N_124unique_dim_cuda_templateImEESt5tupleIJNSF_6TensorESK_SK_EERKSK_lbbbEUlllE0_EEPmJS9_EEE10hipError_tPvRmT3_T4_T5_T6_T7_T9_mT8_P12ihipStream_tbDpT10_ENKUlT_T0_E_clISt17integral_constantIbLb0EES1A_EEDaS15_S16_EUlS15_E_NS1_11comp_targetILNS1_3genE2ELNS1_11target_archE906ELNS1_3gpuE6ELNS1_3repE0EEENS1_30default_config_static_selectorELNS0_4arch9wavefront6targetE1EEEvT1_
                                        ; -- End function
	.section	.AMDGPU.csdata,"",@progbits
; Kernel info:
; codeLenInByte = 0
; NumSgprs: 4
; NumVgprs: 0
; NumAgprs: 0
; TotalNumVgprs: 0
; ScratchSize: 0
; MemoryBound: 0
; FloatMode: 240
; IeeeMode: 1
; LDSByteSize: 0 bytes/workgroup (compile time only)
; SGPRBlocks: 0
; VGPRBlocks: 0
; NumSGPRsForWavesPerEU: 4
; NumVGPRsForWavesPerEU: 1
; AccumOffset: 4
; Occupancy: 8
; WaveLimiterHint : 0
; COMPUTE_PGM_RSRC2:SCRATCH_EN: 0
; COMPUTE_PGM_RSRC2:USER_SGPR: 6
; COMPUTE_PGM_RSRC2:TRAP_HANDLER: 0
; COMPUTE_PGM_RSRC2:TGID_X_EN: 1
; COMPUTE_PGM_RSRC2:TGID_Y_EN: 0
; COMPUTE_PGM_RSRC2:TGID_Z_EN: 0
; COMPUTE_PGM_RSRC2:TIDIG_COMP_CNT: 0
; COMPUTE_PGM_RSRC3_GFX90A:ACCUM_OFFSET: 0
; COMPUTE_PGM_RSRC3_GFX90A:TG_SPLIT: 0
	.section	.text._ZN7rocprim17ROCPRIM_400000_NS6detail17trampoline_kernelINS0_14default_configENS1_25partition_config_selectorILNS1_17partition_subalgoE9EllbEEZZNS1_14partition_implILS5_9ELb0ES3_jPlS8_PNS0_10empty_typeENS0_5tupleIJS8_S9_EEENSB_IJS8_SA_EEENS0_18inequality_wrapperIZN2at6native12_GLOBAL__N_124unique_dim_cuda_templateImEESt5tupleIJNSF_6TensorESK_SK_EERKSK_lbbbEUlllE0_EEPmJS9_EEE10hipError_tPvRmT3_T4_T5_T6_T7_T9_mT8_P12ihipStream_tbDpT10_ENKUlT_T0_E_clISt17integral_constantIbLb0EES1A_EEDaS15_S16_EUlS15_E_NS1_11comp_targetILNS1_3genE10ELNS1_11target_archE1200ELNS1_3gpuE4ELNS1_3repE0EEENS1_30default_config_static_selectorELNS0_4arch9wavefront6targetE1EEEvT1_,"axG",@progbits,_ZN7rocprim17ROCPRIM_400000_NS6detail17trampoline_kernelINS0_14default_configENS1_25partition_config_selectorILNS1_17partition_subalgoE9EllbEEZZNS1_14partition_implILS5_9ELb0ES3_jPlS8_PNS0_10empty_typeENS0_5tupleIJS8_S9_EEENSB_IJS8_SA_EEENS0_18inequality_wrapperIZN2at6native12_GLOBAL__N_124unique_dim_cuda_templateImEESt5tupleIJNSF_6TensorESK_SK_EERKSK_lbbbEUlllE0_EEPmJS9_EEE10hipError_tPvRmT3_T4_T5_T6_T7_T9_mT8_P12ihipStream_tbDpT10_ENKUlT_T0_E_clISt17integral_constantIbLb0EES1A_EEDaS15_S16_EUlS15_E_NS1_11comp_targetILNS1_3genE10ELNS1_11target_archE1200ELNS1_3gpuE4ELNS1_3repE0EEENS1_30default_config_static_selectorELNS0_4arch9wavefront6targetE1EEEvT1_,comdat
	.globl	_ZN7rocprim17ROCPRIM_400000_NS6detail17trampoline_kernelINS0_14default_configENS1_25partition_config_selectorILNS1_17partition_subalgoE9EllbEEZZNS1_14partition_implILS5_9ELb0ES3_jPlS8_PNS0_10empty_typeENS0_5tupleIJS8_S9_EEENSB_IJS8_SA_EEENS0_18inequality_wrapperIZN2at6native12_GLOBAL__N_124unique_dim_cuda_templateImEESt5tupleIJNSF_6TensorESK_SK_EERKSK_lbbbEUlllE0_EEPmJS9_EEE10hipError_tPvRmT3_T4_T5_T6_T7_T9_mT8_P12ihipStream_tbDpT10_ENKUlT_T0_E_clISt17integral_constantIbLb0EES1A_EEDaS15_S16_EUlS15_E_NS1_11comp_targetILNS1_3genE10ELNS1_11target_archE1200ELNS1_3gpuE4ELNS1_3repE0EEENS1_30default_config_static_selectorELNS0_4arch9wavefront6targetE1EEEvT1_ ; -- Begin function _ZN7rocprim17ROCPRIM_400000_NS6detail17trampoline_kernelINS0_14default_configENS1_25partition_config_selectorILNS1_17partition_subalgoE9EllbEEZZNS1_14partition_implILS5_9ELb0ES3_jPlS8_PNS0_10empty_typeENS0_5tupleIJS8_S9_EEENSB_IJS8_SA_EEENS0_18inequality_wrapperIZN2at6native12_GLOBAL__N_124unique_dim_cuda_templateImEESt5tupleIJNSF_6TensorESK_SK_EERKSK_lbbbEUlllE0_EEPmJS9_EEE10hipError_tPvRmT3_T4_T5_T6_T7_T9_mT8_P12ihipStream_tbDpT10_ENKUlT_T0_E_clISt17integral_constantIbLb0EES1A_EEDaS15_S16_EUlS15_E_NS1_11comp_targetILNS1_3genE10ELNS1_11target_archE1200ELNS1_3gpuE4ELNS1_3repE0EEENS1_30default_config_static_selectorELNS0_4arch9wavefront6targetE1EEEvT1_
	.p2align	8
	.type	_ZN7rocprim17ROCPRIM_400000_NS6detail17trampoline_kernelINS0_14default_configENS1_25partition_config_selectorILNS1_17partition_subalgoE9EllbEEZZNS1_14partition_implILS5_9ELb0ES3_jPlS8_PNS0_10empty_typeENS0_5tupleIJS8_S9_EEENSB_IJS8_SA_EEENS0_18inequality_wrapperIZN2at6native12_GLOBAL__N_124unique_dim_cuda_templateImEESt5tupleIJNSF_6TensorESK_SK_EERKSK_lbbbEUlllE0_EEPmJS9_EEE10hipError_tPvRmT3_T4_T5_T6_T7_T9_mT8_P12ihipStream_tbDpT10_ENKUlT_T0_E_clISt17integral_constantIbLb0EES1A_EEDaS15_S16_EUlS15_E_NS1_11comp_targetILNS1_3genE10ELNS1_11target_archE1200ELNS1_3gpuE4ELNS1_3repE0EEENS1_30default_config_static_selectorELNS0_4arch9wavefront6targetE1EEEvT1_,@function
_ZN7rocprim17ROCPRIM_400000_NS6detail17trampoline_kernelINS0_14default_configENS1_25partition_config_selectorILNS1_17partition_subalgoE9EllbEEZZNS1_14partition_implILS5_9ELb0ES3_jPlS8_PNS0_10empty_typeENS0_5tupleIJS8_S9_EEENSB_IJS8_SA_EEENS0_18inequality_wrapperIZN2at6native12_GLOBAL__N_124unique_dim_cuda_templateImEESt5tupleIJNSF_6TensorESK_SK_EERKSK_lbbbEUlllE0_EEPmJS9_EEE10hipError_tPvRmT3_T4_T5_T6_T7_T9_mT8_P12ihipStream_tbDpT10_ENKUlT_T0_E_clISt17integral_constantIbLb0EES1A_EEDaS15_S16_EUlS15_E_NS1_11comp_targetILNS1_3genE10ELNS1_11target_archE1200ELNS1_3gpuE4ELNS1_3repE0EEENS1_30default_config_static_selectorELNS0_4arch9wavefront6targetE1EEEvT1_: ; @_ZN7rocprim17ROCPRIM_400000_NS6detail17trampoline_kernelINS0_14default_configENS1_25partition_config_selectorILNS1_17partition_subalgoE9EllbEEZZNS1_14partition_implILS5_9ELb0ES3_jPlS8_PNS0_10empty_typeENS0_5tupleIJS8_S9_EEENSB_IJS8_SA_EEENS0_18inequality_wrapperIZN2at6native12_GLOBAL__N_124unique_dim_cuda_templateImEESt5tupleIJNSF_6TensorESK_SK_EERKSK_lbbbEUlllE0_EEPmJS9_EEE10hipError_tPvRmT3_T4_T5_T6_T7_T9_mT8_P12ihipStream_tbDpT10_ENKUlT_T0_E_clISt17integral_constantIbLb0EES1A_EEDaS15_S16_EUlS15_E_NS1_11comp_targetILNS1_3genE10ELNS1_11target_archE1200ELNS1_3gpuE4ELNS1_3repE0EEENS1_30default_config_static_selectorELNS0_4arch9wavefront6targetE1EEEvT1_
; %bb.0:
	.section	.rodata,"a",@progbits
	.p2align	6, 0x0
	.amdhsa_kernel _ZN7rocprim17ROCPRIM_400000_NS6detail17trampoline_kernelINS0_14default_configENS1_25partition_config_selectorILNS1_17partition_subalgoE9EllbEEZZNS1_14partition_implILS5_9ELb0ES3_jPlS8_PNS0_10empty_typeENS0_5tupleIJS8_S9_EEENSB_IJS8_SA_EEENS0_18inequality_wrapperIZN2at6native12_GLOBAL__N_124unique_dim_cuda_templateImEESt5tupleIJNSF_6TensorESK_SK_EERKSK_lbbbEUlllE0_EEPmJS9_EEE10hipError_tPvRmT3_T4_T5_T6_T7_T9_mT8_P12ihipStream_tbDpT10_ENKUlT_T0_E_clISt17integral_constantIbLb0EES1A_EEDaS15_S16_EUlS15_E_NS1_11comp_targetILNS1_3genE10ELNS1_11target_archE1200ELNS1_3gpuE4ELNS1_3repE0EEENS1_30default_config_static_selectorELNS0_4arch9wavefront6targetE1EEEvT1_
		.amdhsa_group_segment_fixed_size 0
		.amdhsa_private_segment_fixed_size 0
		.amdhsa_kernarg_size 120
		.amdhsa_user_sgpr_count 6
		.amdhsa_user_sgpr_private_segment_buffer 1
		.amdhsa_user_sgpr_dispatch_ptr 0
		.amdhsa_user_sgpr_queue_ptr 0
		.amdhsa_user_sgpr_kernarg_segment_ptr 1
		.amdhsa_user_sgpr_dispatch_id 0
		.amdhsa_user_sgpr_flat_scratch_init 0
		.amdhsa_user_sgpr_kernarg_preload_length 0
		.amdhsa_user_sgpr_kernarg_preload_offset 0
		.amdhsa_user_sgpr_private_segment_size 0
		.amdhsa_uses_dynamic_stack 0
		.amdhsa_system_sgpr_private_segment_wavefront_offset 0
		.amdhsa_system_sgpr_workgroup_id_x 1
		.amdhsa_system_sgpr_workgroup_id_y 0
		.amdhsa_system_sgpr_workgroup_id_z 0
		.amdhsa_system_sgpr_workgroup_info 0
		.amdhsa_system_vgpr_workitem_id 0
		.amdhsa_next_free_vgpr 1
		.amdhsa_next_free_sgpr 0
		.amdhsa_accum_offset 4
		.amdhsa_reserve_vcc 0
		.amdhsa_reserve_flat_scratch 0
		.amdhsa_float_round_mode_32 0
		.amdhsa_float_round_mode_16_64 0
		.amdhsa_float_denorm_mode_32 3
		.amdhsa_float_denorm_mode_16_64 3
		.amdhsa_dx10_clamp 1
		.amdhsa_ieee_mode 1
		.amdhsa_fp16_overflow 0
		.amdhsa_tg_split 0
		.amdhsa_exception_fp_ieee_invalid_op 0
		.amdhsa_exception_fp_denorm_src 0
		.amdhsa_exception_fp_ieee_div_zero 0
		.amdhsa_exception_fp_ieee_overflow 0
		.amdhsa_exception_fp_ieee_underflow 0
		.amdhsa_exception_fp_ieee_inexact 0
		.amdhsa_exception_int_div_zero 0
	.end_amdhsa_kernel
	.section	.text._ZN7rocprim17ROCPRIM_400000_NS6detail17trampoline_kernelINS0_14default_configENS1_25partition_config_selectorILNS1_17partition_subalgoE9EllbEEZZNS1_14partition_implILS5_9ELb0ES3_jPlS8_PNS0_10empty_typeENS0_5tupleIJS8_S9_EEENSB_IJS8_SA_EEENS0_18inequality_wrapperIZN2at6native12_GLOBAL__N_124unique_dim_cuda_templateImEESt5tupleIJNSF_6TensorESK_SK_EERKSK_lbbbEUlllE0_EEPmJS9_EEE10hipError_tPvRmT3_T4_T5_T6_T7_T9_mT8_P12ihipStream_tbDpT10_ENKUlT_T0_E_clISt17integral_constantIbLb0EES1A_EEDaS15_S16_EUlS15_E_NS1_11comp_targetILNS1_3genE10ELNS1_11target_archE1200ELNS1_3gpuE4ELNS1_3repE0EEENS1_30default_config_static_selectorELNS0_4arch9wavefront6targetE1EEEvT1_,"axG",@progbits,_ZN7rocprim17ROCPRIM_400000_NS6detail17trampoline_kernelINS0_14default_configENS1_25partition_config_selectorILNS1_17partition_subalgoE9EllbEEZZNS1_14partition_implILS5_9ELb0ES3_jPlS8_PNS0_10empty_typeENS0_5tupleIJS8_S9_EEENSB_IJS8_SA_EEENS0_18inequality_wrapperIZN2at6native12_GLOBAL__N_124unique_dim_cuda_templateImEESt5tupleIJNSF_6TensorESK_SK_EERKSK_lbbbEUlllE0_EEPmJS9_EEE10hipError_tPvRmT3_T4_T5_T6_T7_T9_mT8_P12ihipStream_tbDpT10_ENKUlT_T0_E_clISt17integral_constantIbLb0EES1A_EEDaS15_S16_EUlS15_E_NS1_11comp_targetILNS1_3genE10ELNS1_11target_archE1200ELNS1_3gpuE4ELNS1_3repE0EEENS1_30default_config_static_selectorELNS0_4arch9wavefront6targetE1EEEvT1_,comdat
.Lfunc_end1698:
	.size	_ZN7rocprim17ROCPRIM_400000_NS6detail17trampoline_kernelINS0_14default_configENS1_25partition_config_selectorILNS1_17partition_subalgoE9EllbEEZZNS1_14partition_implILS5_9ELb0ES3_jPlS8_PNS0_10empty_typeENS0_5tupleIJS8_S9_EEENSB_IJS8_SA_EEENS0_18inequality_wrapperIZN2at6native12_GLOBAL__N_124unique_dim_cuda_templateImEESt5tupleIJNSF_6TensorESK_SK_EERKSK_lbbbEUlllE0_EEPmJS9_EEE10hipError_tPvRmT3_T4_T5_T6_T7_T9_mT8_P12ihipStream_tbDpT10_ENKUlT_T0_E_clISt17integral_constantIbLb0EES1A_EEDaS15_S16_EUlS15_E_NS1_11comp_targetILNS1_3genE10ELNS1_11target_archE1200ELNS1_3gpuE4ELNS1_3repE0EEENS1_30default_config_static_selectorELNS0_4arch9wavefront6targetE1EEEvT1_, .Lfunc_end1698-_ZN7rocprim17ROCPRIM_400000_NS6detail17trampoline_kernelINS0_14default_configENS1_25partition_config_selectorILNS1_17partition_subalgoE9EllbEEZZNS1_14partition_implILS5_9ELb0ES3_jPlS8_PNS0_10empty_typeENS0_5tupleIJS8_S9_EEENSB_IJS8_SA_EEENS0_18inequality_wrapperIZN2at6native12_GLOBAL__N_124unique_dim_cuda_templateImEESt5tupleIJNSF_6TensorESK_SK_EERKSK_lbbbEUlllE0_EEPmJS9_EEE10hipError_tPvRmT3_T4_T5_T6_T7_T9_mT8_P12ihipStream_tbDpT10_ENKUlT_T0_E_clISt17integral_constantIbLb0EES1A_EEDaS15_S16_EUlS15_E_NS1_11comp_targetILNS1_3genE10ELNS1_11target_archE1200ELNS1_3gpuE4ELNS1_3repE0EEENS1_30default_config_static_selectorELNS0_4arch9wavefront6targetE1EEEvT1_
                                        ; -- End function
	.section	.AMDGPU.csdata,"",@progbits
; Kernel info:
; codeLenInByte = 0
; NumSgprs: 4
; NumVgprs: 0
; NumAgprs: 0
; TotalNumVgprs: 0
; ScratchSize: 0
; MemoryBound: 0
; FloatMode: 240
; IeeeMode: 1
; LDSByteSize: 0 bytes/workgroup (compile time only)
; SGPRBlocks: 0
; VGPRBlocks: 0
; NumSGPRsForWavesPerEU: 4
; NumVGPRsForWavesPerEU: 1
; AccumOffset: 4
; Occupancy: 8
; WaveLimiterHint : 0
; COMPUTE_PGM_RSRC2:SCRATCH_EN: 0
; COMPUTE_PGM_RSRC2:USER_SGPR: 6
; COMPUTE_PGM_RSRC2:TRAP_HANDLER: 0
; COMPUTE_PGM_RSRC2:TGID_X_EN: 1
; COMPUTE_PGM_RSRC2:TGID_Y_EN: 0
; COMPUTE_PGM_RSRC2:TGID_Z_EN: 0
; COMPUTE_PGM_RSRC2:TIDIG_COMP_CNT: 0
; COMPUTE_PGM_RSRC3_GFX90A:ACCUM_OFFSET: 0
; COMPUTE_PGM_RSRC3_GFX90A:TG_SPLIT: 0
	.section	.text._ZN7rocprim17ROCPRIM_400000_NS6detail17trampoline_kernelINS0_14default_configENS1_25partition_config_selectorILNS1_17partition_subalgoE9EllbEEZZNS1_14partition_implILS5_9ELb0ES3_jPlS8_PNS0_10empty_typeENS0_5tupleIJS8_S9_EEENSB_IJS8_SA_EEENS0_18inequality_wrapperIZN2at6native12_GLOBAL__N_124unique_dim_cuda_templateImEESt5tupleIJNSF_6TensorESK_SK_EERKSK_lbbbEUlllE0_EEPmJS9_EEE10hipError_tPvRmT3_T4_T5_T6_T7_T9_mT8_P12ihipStream_tbDpT10_ENKUlT_T0_E_clISt17integral_constantIbLb0EES1A_EEDaS15_S16_EUlS15_E_NS1_11comp_targetILNS1_3genE9ELNS1_11target_archE1100ELNS1_3gpuE3ELNS1_3repE0EEENS1_30default_config_static_selectorELNS0_4arch9wavefront6targetE1EEEvT1_,"axG",@progbits,_ZN7rocprim17ROCPRIM_400000_NS6detail17trampoline_kernelINS0_14default_configENS1_25partition_config_selectorILNS1_17partition_subalgoE9EllbEEZZNS1_14partition_implILS5_9ELb0ES3_jPlS8_PNS0_10empty_typeENS0_5tupleIJS8_S9_EEENSB_IJS8_SA_EEENS0_18inequality_wrapperIZN2at6native12_GLOBAL__N_124unique_dim_cuda_templateImEESt5tupleIJNSF_6TensorESK_SK_EERKSK_lbbbEUlllE0_EEPmJS9_EEE10hipError_tPvRmT3_T4_T5_T6_T7_T9_mT8_P12ihipStream_tbDpT10_ENKUlT_T0_E_clISt17integral_constantIbLb0EES1A_EEDaS15_S16_EUlS15_E_NS1_11comp_targetILNS1_3genE9ELNS1_11target_archE1100ELNS1_3gpuE3ELNS1_3repE0EEENS1_30default_config_static_selectorELNS0_4arch9wavefront6targetE1EEEvT1_,comdat
	.globl	_ZN7rocprim17ROCPRIM_400000_NS6detail17trampoline_kernelINS0_14default_configENS1_25partition_config_selectorILNS1_17partition_subalgoE9EllbEEZZNS1_14partition_implILS5_9ELb0ES3_jPlS8_PNS0_10empty_typeENS0_5tupleIJS8_S9_EEENSB_IJS8_SA_EEENS0_18inequality_wrapperIZN2at6native12_GLOBAL__N_124unique_dim_cuda_templateImEESt5tupleIJNSF_6TensorESK_SK_EERKSK_lbbbEUlllE0_EEPmJS9_EEE10hipError_tPvRmT3_T4_T5_T6_T7_T9_mT8_P12ihipStream_tbDpT10_ENKUlT_T0_E_clISt17integral_constantIbLb0EES1A_EEDaS15_S16_EUlS15_E_NS1_11comp_targetILNS1_3genE9ELNS1_11target_archE1100ELNS1_3gpuE3ELNS1_3repE0EEENS1_30default_config_static_selectorELNS0_4arch9wavefront6targetE1EEEvT1_ ; -- Begin function _ZN7rocprim17ROCPRIM_400000_NS6detail17trampoline_kernelINS0_14default_configENS1_25partition_config_selectorILNS1_17partition_subalgoE9EllbEEZZNS1_14partition_implILS5_9ELb0ES3_jPlS8_PNS0_10empty_typeENS0_5tupleIJS8_S9_EEENSB_IJS8_SA_EEENS0_18inequality_wrapperIZN2at6native12_GLOBAL__N_124unique_dim_cuda_templateImEESt5tupleIJNSF_6TensorESK_SK_EERKSK_lbbbEUlllE0_EEPmJS9_EEE10hipError_tPvRmT3_T4_T5_T6_T7_T9_mT8_P12ihipStream_tbDpT10_ENKUlT_T0_E_clISt17integral_constantIbLb0EES1A_EEDaS15_S16_EUlS15_E_NS1_11comp_targetILNS1_3genE9ELNS1_11target_archE1100ELNS1_3gpuE3ELNS1_3repE0EEENS1_30default_config_static_selectorELNS0_4arch9wavefront6targetE1EEEvT1_
	.p2align	8
	.type	_ZN7rocprim17ROCPRIM_400000_NS6detail17trampoline_kernelINS0_14default_configENS1_25partition_config_selectorILNS1_17partition_subalgoE9EllbEEZZNS1_14partition_implILS5_9ELb0ES3_jPlS8_PNS0_10empty_typeENS0_5tupleIJS8_S9_EEENSB_IJS8_SA_EEENS0_18inequality_wrapperIZN2at6native12_GLOBAL__N_124unique_dim_cuda_templateImEESt5tupleIJNSF_6TensorESK_SK_EERKSK_lbbbEUlllE0_EEPmJS9_EEE10hipError_tPvRmT3_T4_T5_T6_T7_T9_mT8_P12ihipStream_tbDpT10_ENKUlT_T0_E_clISt17integral_constantIbLb0EES1A_EEDaS15_S16_EUlS15_E_NS1_11comp_targetILNS1_3genE9ELNS1_11target_archE1100ELNS1_3gpuE3ELNS1_3repE0EEENS1_30default_config_static_selectorELNS0_4arch9wavefront6targetE1EEEvT1_,@function
_ZN7rocprim17ROCPRIM_400000_NS6detail17trampoline_kernelINS0_14default_configENS1_25partition_config_selectorILNS1_17partition_subalgoE9EllbEEZZNS1_14partition_implILS5_9ELb0ES3_jPlS8_PNS0_10empty_typeENS0_5tupleIJS8_S9_EEENSB_IJS8_SA_EEENS0_18inequality_wrapperIZN2at6native12_GLOBAL__N_124unique_dim_cuda_templateImEESt5tupleIJNSF_6TensorESK_SK_EERKSK_lbbbEUlllE0_EEPmJS9_EEE10hipError_tPvRmT3_T4_T5_T6_T7_T9_mT8_P12ihipStream_tbDpT10_ENKUlT_T0_E_clISt17integral_constantIbLb0EES1A_EEDaS15_S16_EUlS15_E_NS1_11comp_targetILNS1_3genE9ELNS1_11target_archE1100ELNS1_3gpuE3ELNS1_3repE0EEENS1_30default_config_static_selectorELNS0_4arch9wavefront6targetE1EEEvT1_: ; @_ZN7rocprim17ROCPRIM_400000_NS6detail17trampoline_kernelINS0_14default_configENS1_25partition_config_selectorILNS1_17partition_subalgoE9EllbEEZZNS1_14partition_implILS5_9ELb0ES3_jPlS8_PNS0_10empty_typeENS0_5tupleIJS8_S9_EEENSB_IJS8_SA_EEENS0_18inequality_wrapperIZN2at6native12_GLOBAL__N_124unique_dim_cuda_templateImEESt5tupleIJNSF_6TensorESK_SK_EERKSK_lbbbEUlllE0_EEPmJS9_EEE10hipError_tPvRmT3_T4_T5_T6_T7_T9_mT8_P12ihipStream_tbDpT10_ENKUlT_T0_E_clISt17integral_constantIbLb0EES1A_EEDaS15_S16_EUlS15_E_NS1_11comp_targetILNS1_3genE9ELNS1_11target_archE1100ELNS1_3gpuE3ELNS1_3repE0EEENS1_30default_config_static_selectorELNS0_4arch9wavefront6targetE1EEEvT1_
; %bb.0:
	.section	.rodata,"a",@progbits
	.p2align	6, 0x0
	.amdhsa_kernel _ZN7rocprim17ROCPRIM_400000_NS6detail17trampoline_kernelINS0_14default_configENS1_25partition_config_selectorILNS1_17partition_subalgoE9EllbEEZZNS1_14partition_implILS5_9ELb0ES3_jPlS8_PNS0_10empty_typeENS0_5tupleIJS8_S9_EEENSB_IJS8_SA_EEENS0_18inequality_wrapperIZN2at6native12_GLOBAL__N_124unique_dim_cuda_templateImEESt5tupleIJNSF_6TensorESK_SK_EERKSK_lbbbEUlllE0_EEPmJS9_EEE10hipError_tPvRmT3_T4_T5_T6_T7_T9_mT8_P12ihipStream_tbDpT10_ENKUlT_T0_E_clISt17integral_constantIbLb0EES1A_EEDaS15_S16_EUlS15_E_NS1_11comp_targetILNS1_3genE9ELNS1_11target_archE1100ELNS1_3gpuE3ELNS1_3repE0EEENS1_30default_config_static_selectorELNS0_4arch9wavefront6targetE1EEEvT1_
		.amdhsa_group_segment_fixed_size 0
		.amdhsa_private_segment_fixed_size 0
		.amdhsa_kernarg_size 120
		.amdhsa_user_sgpr_count 6
		.amdhsa_user_sgpr_private_segment_buffer 1
		.amdhsa_user_sgpr_dispatch_ptr 0
		.amdhsa_user_sgpr_queue_ptr 0
		.amdhsa_user_sgpr_kernarg_segment_ptr 1
		.amdhsa_user_sgpr_dispatch_id 0
		.amdhsa_user_sgpr_flat_scratch_init 0
		.amdhsa_user_sgpr_kernarg_preload_length 0
		.amdhsa_user_sgpr_kernarg_preload_offset 0
		.amdhsa_user_sgpr_private_segment_size 0
		.amdhsa_uses_dynamic_stack 0
		.amdhsa_system_sgpr_private_segment_wavefront_offset 0
		.amdhsa_system_sgpr_workgroup_id_x 1
		.amdhsa_system_sgpr_workgroup_id_y 0
		.amdhsa_system_sgpr_workgroup_id_z 0
		.amdhsa_system_sgpr_workgroup_info 0
		.amdhsa_system_vgpr_workitem_id 0
		.amdhsa_next_free_vgpr 1
		.amdhsa_next_free_sgpr 0
		.amdhsa_accum_offset 4
		.amdhsa_reserve_vcc 0
		.amdhsa_reserve_flat_scratch 0
		.amdhsa_float_round_mode_32 0
		.amdhsa_float_round_mode_16_64 0
		.amdhsa_float_denorm_mode_32 3
		.amdhsa_float_denorm_mode_16_64 3
		.amdhsa_dx10_clamp 1
		.amdhsa_ieee_mode 1
		.amdhsa_fp16_overflow 0
		.amdhsa_tg_split 0
		.amdhsa_exception_fp_ieee_invalid_op 0
		.amdhsa_exception_fp_denorm_src 0
		.amdhsa_exception_fp_ieee_div_zero 0
		.amdhsa_exception_fp_ieee_overflow 0
		.amdhsa_exception_fp_ieee_underflow 0
		.amdhsa_exception_fp_ieee_inexact 0
		.amdhsa_exception_int_div_zero 0
	.end_amdhsa_kernel
	.section	.text._ZN7rocprim17ROCPRIM_400000_NS6detail17trampoline_kernelINS0_14default_configENS1_25partition_config_selectorILNS1_17partition_subalgoE9EllbEEZZNS1_14partition_implILS5_9ELb0ES3_jPlS8_PNS0_10empty_typeENS0_5tupleIJS8_S9_EEENSB_IJS8_SA_EEENS0_18inequality_wrapperIZN2at6native12_GLOBAL__N_124unique_dim_cuda_templateImEESt5tupleIJNSF_6TensorESK_SK_EERKSK_lbbbEUlllE0_EEPmJS9_EEE10hipError_tPvRmT3_T4_T5_T6_T7_T9_mT8_P12ihipStream_tbDpT10_ENKUlT_T0_E_clISt17integral_constantIbLb0EES1A_EEDaS15_S16_EUlS15_E_NS1_11comp_targetILNS1_3genE9ELNS1_11target_archE1100ELNS1_3gpuE3ELNS1_3repE0EEENS1_30default_config_static_selectorELNS0_4arch9wavefront6targetE1EEEvT1_,"axG",@progbits,_ZN7rocprim17ROCPRIM_400000_NS6detail17trampoline_kernelINS0_14default_configENS1_25partition_config_selectorILNS1_17partition_subalgoE9EllbEEZZNS1_14partition_implILS5_9ELb0ES3_jPlS8_PNS0_10empty_typeENS0_5tupleIJS8_S9_EEENSB_IJS8_SA_EEENS0_18inequality_wrapperIZN2at6native12_GLOBAL__N_124unique_dim_cuda_templateImEESt5tupleIJNSF_6TensorESK_SK_EERKSK_lbbbEUlllE0_EEPmJS9_EEE10hipError_tPvRmT3_T4_T5_T6_T7_T9_mT8_P12ihipStream_tbDpT10_ENKUlT_T0_E_clISt17integral_constantIbLb0EES1A_EEDaS15_S16_EUlS15_E_NS1_11comp_targetILNS1_3genE9ELNS1_11target_archE1100ELNS1_3gpuE3ELNS1_3repE0EEENS1_30default_config_static_selectorELNS0_4arch9wavefront6targetE1EEEvT1_,comdat
.Lfunc_end1699:
	.size	_ZN7rocprim17ROCPRIM_400000_NS6detail17trampoline_kernelINS0_14default_configENS1_25partition_config_selectorILNS1_17partition_subalgoE9EllbEEZZNS1_14partition_implILS5_9ELb0ES3_jPlS8_PNS0_10empty_typeENS0_5tupleIJS8_S9_EEENSB_IJS8_SA_EEENS0_18inequality_wrapperIZN2at6native12_GLOBAL__N_124unique_dim_cuda_templateImEESt5tupleIJNSF_6TensorESK_SK_EERKSK_lbbbEUlllE0_EEPmJS9_EEE10hipError_tPvRmT3_T4_T5_T6_T7_T9_mT8_P12ihipStream_tbDpT10_ENKUlT_T0_E_clISt17integral_constantIbLb0EES1A_EEDaS15_S16_EUlS15_E_NS1_11comp_targetILNS1_3genE9ELNS1_11target_archE1100ELNS1_3gpuE3ELNS1_3repE0EEENS1_30default_config_static_selectorELNS0_4arch9wavefront6targetE1EEEvT1_, .Lfunc_end1699-_ZN7rocprim17ROCPRIM_400000_NS6detail17trampoline_kernelINS0_14default_configENS1_25partition_config_selectorILNS1_17partition_subalgoE9EllbEEZZNS1_14partition_implILS5_9ELb0ES3_jPlS8_PNS0_10empty_typeENS0_5tupleIJS8_S9_EEENSB_IJS8_SA_EEENS0_18inequality_wrapperIZN2at6native12_GLOBAL__N_124unique_dim_cuda_templateImEESt5tupleIJNSF_6TensorESK_SK_EERKSK_lbbbEUlllE0_EEPmJS9_EEE10hipError_tPvRmT3_T4_T5_T6_T7_T9_mT8_P12ihipStream_tbDpT10_ENKUlT_T0_E_clISt17integral_constantIbLb0EES1A_EEDaS15_S16_EUlS15_E_NS1_11comp_targetILNS1_3genE9ELNS1_11target_archE1100ELNS1_3gpuE3ELNS1_3repE0EEENS1_30default_config_static_selectorELNS0_4arch9wavefront6targetE1EEEvT1_
                                        ; -- End function
	.section	.AMDGPU.csdata,"",@progbits
; Kernel info:
; codeLenInByte = 0
; NumSgprs: 4
; NumVgprs: 0
; NumAgprs: 0
; TotalNumVgprs: 0
; ScratchSize: 0
; MemoryBound: 0
; FloatMode: 240
; IeeeMode: 1
; LDSByteSize: 0 bytes/workgroup (compile time only)
; SGPRBlocks: 0
; VGPRBlocks: 0
; NumSGPRsForWavesPerEU: 4
; NumVGPRsForWavesPerEU: 1
; AccumOffset: 4
; Occupancy: 8
; WaveLimiterHint : 0
; COMPUTE_PGM_RSRC2:SCRATCH_EN: 0
; COMPUTE_PGM_RSRC2:USER_SGPR: 6
; COMPUTE_PGM_RSRC2:TRAP_HANDLER: 0
; COMPUTE_PGM_RSRC2:TGID_X_EN: 1
; COMPUTE_PGM_RSRC2:TGID_Y_EN: 0
; COMPUTE_PGM_RSRC2:TGID_Z_EN: 0
; COMPUTE_PGM_RSRC2:TIDIG_COMP_CNT: 0
; COMPUTE_PGM_RSRC3_GFX90A:ACCUM_OFFSET: 0
; COMPUTE_PGM_RSRC3_GFX90A:TG_SPLIT: 0
	.section	.text._ZN7rocprim17ROCPRIM_400000_NS6detail17trampoline_kernelINS0_14default_configENS1_25partition_config_selectorILNS1_17partition_subalgoE9EllbEEZZNS1_14partition_implILS5_9ELb0ES3_jPlS8_PNS0_10empty_typeENS0_5tupleIJS8_S9_EEENSB_IJS8_SA_EEENS0_18inequality_wrapperIZN2at6native12_GLOBAL__N_124unique_dim_cuda_templateImEESt5tupleIJNSF_6TensorESK_SK_EERKSK_lbbbEUlllE0_EEPmJS9_EEE10hipError_tPvRmT3_T4_T5_T6_T7_T9_mT8_P12ihipStream_tbDpT10_ENKUlT_T0_E_clISt17integral_constantIbLb0EES1A_EEDaS15_S16_EUlS15_E_NS1_11comp_targetILNS1_3genE8ELNS1_11target_archE1030ELNS1_3gpuE2ELNS1_3repE0EEENS1_30default_config_static_selectorELNS0_4arch9wavefront6targetE1EEEvT1_,"axG",@progbits,_ZN7rocprim17ROCPRIM_400000_NS6detail17trampoline_kernelINS0_14default_configENS1_25partition_config_selectorILNS1_17partition_subalgoE9EllbEEZZNS1_14partition_implILS5_9ELb0ES3_jPlS8_PNS0_10empty_typeENS0_5tupleIJS8_S9_EEENSB_IJS8_SA_EEENS0_18inequality_wrapperIZN2at6native12_GLOBAL__N_124unique_dim_cuda_templateImEESt5tupleIJNSF_6TensorESK_SK_EERKSK_lbbbEUlllE0_EEPmJS9_EEE10hipError_tPvRmT3_T4_T5_T6_T7_T9_mT8_P12ihipStream_tbDpT10_ENKUlT_T0_E_clISt17integral_constantIbLb0EES1A_EEDaS15_S16_EUlS15_E_NS1_11comp_targetILNS1_3genE8ELNS1_11target_archE1030ELNS1_3gpuE2ELNS1_3repE0EEENS1_30default_config_static_selectorELNS0_4arch9wavefront6targetE1EEEvT1_,comdat
	.globl	_ZN7rocprim17ROCPRIM_400000_NS6detail17trampoline_kernelINS0_14default_configENS1_25partition_config_selectorILNS1_17partition_subalgoE9EllbEEZZNS1_14partition_implILS5_9ELb0ES3_jPlS8_PNS0_10empty_typeENS0_5tupleIJS8_S9_EEENSB_IJS8_SA_EEENS0_18inequality_wrapperIZN2at6native12_GLOBAL__N_124unique_dim_cuda_templateImEESt5tupleIJNSF_6TensorESK_SK_EERKSK_lbbbEUlllE0_EEPmJS9_EEE10hipError_tPvRmT3_T4_T5_T6_T7_T9_mT8_P12ihipStream_tbDpT10_ENKUlT_T0_E_clISt17integral_constantIbLb0EES1A_EEDaS15_S16_EUlS15_E_NS1_11comp_targetILNS1_3genE8ELNS1_11target_archE1030ELNS1_3gpuE2ELNS1_3repE0EEENS1_30default_config_static_selectorELNS0_4arch9wavefront6targetE1EEEvT1_ ; -- Begin function _ZN7rocprim17ROCPRIM_400000_NS6detail17trampoline_kernelINS0_14default_configENS1_25partition_config_selectorILNS1_17partition_subalgoE9EllbEEZZNS1_14partition_implILS5_9ELb0ES3_jPlS8_PNS0_10empty_typeENS0_5tupleIJS8_S9_EEENSB_IJS8_SA_EEENS0_18inequality_wrapperIZN2at6native12_GLOBAL__N_124unique_dim_cuda_templateImEESt5tupleIJNSF_6TensorESK_SK_EERKSK_lbbbEUlllE0_EEPmJS9_EEE10hipError_tPvRmT3_T4_T5_T6_T7_T9_mT8_P12ihipStream_tbDpT10_ENKUlT_T0_E_clISt17integral_constantIbLb0EES1A_EEDaS15_S16_EUlS15_E_NS1_11comp_targetILNS1_3genE8ELNS1_11target_archE1030ELNS1_3gpuE2ELNS1_3repE0EEENS1_30default_config_static_selectorELNS0_4arch9wavefront6targetE1EEEvT1_
	.p2align	8
	.type	_ZN7rocprim17ROCPRIM_400000_NS6detail17trampoline_kernelINS0_14default_configENS1_25partition_config_selectorILNS1_17partition_subalgoE9EllbEEZZNS1_14partition_implILS5_9ELb0ES3_jPlS8_PNS0_10empty_typeENS0_5tupleIJS8_S9_EEENSB_IJS8_SA_EEENS0_18inequality_wrapperIZN2at6native12_GLOBAL__N_124unique_dim_cuda_templateImEESt5tupleIJNSF_6TensorESK_SK_EERKSK_lbbbEUlllE0_EEPmJS9_EEE10hipError_tPvRmT3_T4_T5_T6_T7_T9_mT8_P12ihipStream_tbDpT10_ENKUlT_T0_E_clISt17integral_constantIbLb0EES1A_EEDaS15_S16_EUlS15_E_NS1_11comp_targetILNS1_3genE8ELNS1_11target_archE1030ELNS1_3gpuE2ELNS1_3repE0EEENS1_30default_config_static_selectorELNS0_4arch9wavefront6targetE1EEEvT1_,@function
_ZN7rocprim17ROCPRIM_400000_NS6detail17trampoline_kernelINS0_14default_configENS1_25partition_config_selectorILNS1_17partition_subalgoE9EllbEEZZNS1_14partition_implILS5_9ELb0ES3_jPlS8_PNS0_10empty_typeENS0_5tupleIJS8_S9_EEENSB_IJS8_SA_EEENS0_18inequality_wrapperIZN2at6native12_GLOBAL__N_124unique_dim_cuda_templateImEESt5tupleIJNSF_6TensorESK_SK_EERKSK_lbbbEUlllE0_EEPmJS9_EEE10hipError_tPvRmT3_T4_T5_T6_T7_T9_mT8_P12ihipStream_tbDpT10_ENKUlT_T0_E_clISt17integral_constantIbLb0EES1A_EEDaS15_S16_EUlS15_E_NS1_11comp_targetILNS1_3genE8ELNS1_11target_archE1030ELNS1_3gpuE2ELNS1_3repE0EEENS1_30default_config_static_selectorELNS0_4arch9wavefront6targetE1EEEvT1_: ; @_ZN7rocprim17ROCPRIM_400000_NS6detail17trampoline_kernelINS0_14default_configENS1_25partition_config_selectorILNS1_17partition_subalgoE9EllbEEZZNS1_14partition_implILS5_9ELb0ES3_jPlS8_PNS0_10empty_typeENS0_5tupleIJS8_S9_EEENSB_IJS8_SA_EEENS0_18inequality_wrapperIZN2at6native12_GLOBAL__N_124unique_dim_cuda_templateImEESt5tupleIJNSF_6TensorESK_SK_EERKSK_lbbbEUlllE0_EEPmJS9_EEE10hipError_tPvRmT3_T4_T5_T6_T7_T9_mT8_P12ihipStream_tbDpT10_ENKUlT_T0_E_clISt17integral_constantIbLb0EES1A_EEDaS15_S16_EUlS15_E_NS1_11comp_targetILNS1_3genE8ELNS1_11target_archE1030ELNS1_3gpuE2ELNS1_3repE0EEENS1_30default_config_static_selectorELNS0_4arch9wavefront6targetE1EEEvT1_
; %bb.0:
	.section	.rodata,"a",@progbits
	.p2align	6, 0x0
	.amdhsa_kernel _ZN7rocprim17ROCPRIM_400000_NS6detail17trampoline_kernelINS0_14default_configENS1_25partition_config_selectorILNS1_17partition_subalgoE9EllbEEZZNS1_14partition_implILS5_9ELb0ES3_jPlS8_PNS0_10empty_typeENS0_5tupleIJS8_S9_EEENSB_IJS8_SA_EEENS0_18inequality_wrapperIZN2at6native12_GLOBAL__N_124unique_dim_cuda_templateImEESt5tupleIJNSF_6TensorESK_SK_EERKSK_lbbbEUlllE0_EEPmJS9_EEE10hipError_tPvRmT3_T4_T5_T6_T7_T9_mT8_P12ihipStream_tbDpT10_ENKUlT_T0_E_clISt17integral_constantIbLb0EES1A_EEDaS15_S16_EUlS15_E_NS1_11comp_targetILNS1_3genE8ELNS1_11target_archE1030ELNS1_3gpuE2ELNS1_3repE0EEENS1_30default_config_static_selectorELNS0_4arch9wavefront6targetE1EEEvT1_
		.amdhsa_group_segment_fixed_size 0
		.amdhsa_private_segment_fixed_size 0
		.amdhsa_kernarg_size 120
		.amdhsa_user_sgpr_count 6
		.amdhsa_user_sgpr_private_segment_buffer 1
		.amdhsa_user_sgpr_dispatch_ptr 0
		.amdhsa_user_sgpr_queue_ptr 0
		.amdhsa_user_sgpr_kernarg_segment_ptr 1
		.amdhsa_user_sgpr_dispatch_id 0
		.amdhsa_user_sgpr_flat_scratch_init 0
		.amdhsa_user_sgpr_kernarg_preload_length 0
		.amdhsa_user_sgpr_kernarg_preload_offset 0
		.amdhsa_user_sgpr_private_segment_size 0
		.amdhsa_uses_dynamic_stack 0
		.amdhsa_system_sgpr_private_segment_wavefront_offset 0
		.amdhsa_system_sgpr_workgroup_id_x 1
		.amdhsa_system_sgpr_workgroup_id_y 0
		.amdhsa_system_sgpr_workgroup_id_z 0
		.amdhsa_system_sgpr_workgroup_info 0
		.amdhsa_system_vgpr_workitem_id 0
		.amdhsa_next_free_vgpr 1
		.amdhsa_next_free_sgpr 0
		.amdhsa_accum_offset 4
		.amdhsa_reserve_vcc 0
		.amdhsa_reserve_flat_scratch 0
		.amdhsa_float_round_mode_32 0
		.amdhsa_float_round_mode_16_64 0
		.amdhsa_float_denorm_mode_32 3
		.amdhsa_float_denorm_mode_16_64 3
		.amdhsa_dx10_clamp 1
		.amdhsa_ieee_mode 1
		.amdhsa_fp16_overflow 0
		.amdhsa_tg_split 0
		.amdhsa_exception_fp_ieee_invalid_op 0
		.amdhsa_exception_fp_denorm_src 0
		.amdhsa_exception_fp_ieee_div_zero 0
		.amdhsa_exception_fp_ieee_overflow 0
		.amdhsa_exception_fp_ieee_underflow 0
		.amdhsa_exception_fp_ieee_inexact 0
		.amdhsa_exception_int_div_zero 0
	.end_amdhsa_kernel
	.section	.text._ZN7rocprim17ROCPRIM_400000_NS6detail17trampoline_kernelINS0_14default_configENS1_25partition_config_selectorILNS1_17partition_subalgoE9EllbEEZZNS1_14partition_implILS5_9ELb0ES3_jPlS8_PNS0_10empty_typeENS0_5tupleIJS8_S9_EEENSB_IJS8_SA_EEENS0_18inequality_wrapperIZN2at6native12_GLOBAL__N_124unique_dim_cuda_templateImEESt5tupleIJNSF_6TensorESK_SK_EERKSK_lbbbEUlllE0_EEPmJS9_EEE10hipError_tPvRmT3_T4_T5_T6_T7_T9_mT8_P12ihipStream_tbDpT10_ENKUlT_T0_E_clISt17integral_constantIbLb0EES1A_EEDaS15_S16_EUlS15_E_NS1_11comp_targetILNS1_3genE8ELNS1_11target_archE1030ELNS1_3gpuE2ELNS1_3repE0EEENS1_30default_config_static_selectorELNS0_4arch9wavefront6targetE1EEEvT1_,"axG",@progbits,_ZN7rocprim17ROCPRIM_400000_NS6detail17trampoline_kernelINS0_14default_configENS1_25partition_config_selectorILNS1_17partition_subalgoE9EllbEEZZNS1_14partition_implILS5_9ELb0ES3_jPlS8_PNS0_10empty_typeENS0_5tupleIJS8_S9_EEENSB_IJS8_SA_EEENS0_18inequality_wrapperIZN2at6native12_GLOBAL__N_124unique_dim_cuda_templateImEESt5tupleIJNSF_6TensorESK_SK_EERKSK_lbbbEUlllE0_EEPmJS9_EEE10hipError_tPvRmT3_T4_T5_T6_T7_T9_mT8_P12ihipStream_tbDpT10_ENKUlT_T0_E_clISt17integral_constantIbLb0EES1A_EEDaS15_S16_EUlS15_E_NS1_11comp_targetILNS1_3genE8ELNS1_11target_archE1030ELNS1_3gpuE2ELNS1_3repE0EEENS1_30default_config_static_selectorELNS0_4arch9wavefront6targetE1EEEvT1_,comdat
.Lfunc_end1700:
	.size	_ZN7rocprim17ROCPRIM_400000_NS6detail17trampoline_kernelINS0_14default_configENS1_25partition_config_selectorILNS1_17partition_subalgoE9EllbEEZZNS1_14partition_implILS5_9ELb0ES3_jPlS8_PNS0_10empty_typeENS0_5tupleIJS8_S9_EEENSB_IJS8_SA_EEENS0_18inequality_wrapperIZN2at6native12_GLOBAL__N_124unique_dim_cuda_templateImEESt5tupleIJNSF_6TensorESK_SK_EERKSK_lbbbEUlllE0_EEPmJS9_EEE10hipError_tPvRmT3_T4_T5_T6_T7_T9_mT8_P12ihipStream_tbDpT10_ENKUlT_T0_E_clISt17integral_constantIbLb0EES1A_EEDaS15_S16_EUlS15_E_NS1_11comp_targetILNS1_3genE8ELNS1_11target_archE1030ELNS1_3gpuE2ELNS1_3repE0EEENS1_30default_config_static_selectorELNS0_4arch9wavefront6targetE1EEEvT1_, .Lfunc_end1700-_ZN7rocprim17ROCPRIM_400000_NS6detail17trampoline_kernelINS0_14default_configENS1_25partition_config_selectorILNS1_17partition_subalgoE9EllbEEZZNS1_14partition_implILS5_9ELb0ES3_jPlS8_PNS0_10empty_typeENS0_5tupleIJS8_S9_EEENSB_IJS8_SA_EEENS0_18inequality_wrapperIZN2at6native12_GLOBAL__N_124unique_dim_cuda_templateImEESt5tupleIJNSF_6TensorESK_SK_EERKSK_lbbbEUlllE0_EEPmJS9_EEE10hipError_tPvRmT3_T4_T5_T6_T7_T9_mT8_P12ihipStream_tbDpT10_ENKUlT_T0_E_clISt17integral_constantIbLb0EES1A_EEDaS15_S16_EUlS15_E_NS1_11comp_targetILNS1_3genE8ELNS1_11target_archE1030ELNS1_3gpuE2ELNS1_3repE0EEENS1_30default_config_static_selectorELNS0_4arch9wavefront6targetE1EEEvT1_
                                        ; -- End function
	.section	.AMDGPU.csdata,"",@progbits
; Kernel info:
; codeLenInByte = 0
; NumSgprs: 4
; NumVgprs: 0
; NumAgprs: 0
; TotalNumVgprs: 0
; ScratchSize: 0
; MemoryBound: 0
; FloatMode: 240
; IeeeMode: 1
; LDSByteSize: 0 bytes/workgroup (compile time only)
; SGPRBlocks: 0
; VGPRBlocks: 0
; NumSGPRsForWavesPerEU: 4
; NumVGPRsForWavesPerEU: 1
; AccumOffset: 4
; Occupancy: 8
; WaveLimiterHint : 0
; COMPUTE_PGM_RSRC2:SCRATCH_EN: 0
; COMPUTE_PGM_RSRC2:USER_SGPR: 6
; COMPUTE_PGM_RSRC2:TRAP_HANDLER: 0
; COMPUTE_PGM_RSRC2:TGID_X_EN: 1
; COMPUTE_PGM_RSRC2:TGID_Y_EN: 0
; COMPUTE_PGM_RSRC2:TGID_Z_EN: 0
; COMPUTE_PGM_RSRC2:TIDIG_COMP_CNT: 0
; COMPUTE_PGM_RSRC3_GFX90A:ACCUM_OFFSET: 0
; COMPUTE_PGM_RSRC3_GFX90A:TG_SPLIT: 0
	.section	.text._ZN7rocprim17ROCPRIM_400000_NS6detail17trampoline_kernelINS0_14default_configENS1_25partition_config_selectorILNS1_17partition_subalgoE9EllbEEZZNS1_14partition_implILS5_9ELb0ES3_jPlS8_PNS0_10empty_typeENS0_5tupleIJS8_S9_EEENSB_IJS8_SA_EEENS0_18inequality_wrapperIZN2at6native12_GLOBAL__N_124unique_dim_cuda_templateImEESt5tupleIJNSF_6TensorESK_SK_EERKSK_lbbbEUlllE0_EEPmJS9_EEE10hipError_tPvRmT3_T4_T5_T6_T7_T9_mT8_P12ihipStream_tbDpT10_ENKUlT_T0_E_clISt17integral_constantIbLb1EES1A_EEDaS15_S16_EUlS15_E_NS1_11comp_targetILNS1_3genE0ELNS1_11target_archE4294967295ELNS1_3gpuE0ELNS1_3repE0EEENS1_30default_config_static_selectorELNS0_4arch9wavefront6targetE1EEEvT1_,"axG",@progbits,_ZN7rocprim17ROCPRIM_400000_NS6detail17trampoline_kernelINS0_14default_configENS1_25partition_config_selectorILNS1_17partition_subalgoE9EllbEEZZNS1_14partition_implILS5_9ELb0ES3_jPlS8_PNS0_10empty_typeENS0_5tupleIJS8_S9_EEENSB_IJS8_SA_EEENS0_18inequality_wrapperIZN2at6native12_GLOBAL__N_124unique_dim_cuda_templateImEESt5tupleIJNSF_6TensorESK_SK_EERKSK_lbbbEUlllE0_EEPmJS9_EEE10hipError_tPvRmT3_T4_T5_T6_T7_T9_mT8_P12ihipStream_tbDpT10_ENKUlT_T0_E_clISt17integral_constantIbLb1EES1A_EEDaS15_S16_EUlS15_E_NS1_11comp_targetILNS1_3genE0ELNS1_11target_archE4294967295ELNS1_3gpuE0ELNS1_3repE0EEENS1_30default_config_static_selectorELNS0_4arch9wavefront6targetE1EEEvT1_,comdat
	.globl	_ZN7rocprim17ROCPRIM_400000_NS6detail17trampoline_kernelINS0_14default_configENS1_25partition_config_selectorILNS1_17partition_subalgoE9EllbEEZZNS1_14partition_implILS5_9ELb0ES3_jPlS8_PNS0_10empty_typeENS0_5tupleIJS8_S9_EEENSB_IJS8_SA_EEENS0_18inequality_wrapperIZN2at6native12_GLOBAL__N_124unique_dim_cuda_templateImEESt5tupleIJNSF_6TensorESK_SK_EERKSK_lbbbEUlllE0_EEPmJS9_EEE10hipError_tPvRmT3_T4_T5_T6_T7_T9_mT8_P12ihipStream_tbDpT10_ENKUlT_T0_E_clISt17integral_constantIbLb1EES1A_EEDaS15_S16_EUlS15_E_NS1_11comp_targetILNS1_3genE0ELNS1_11target_archE4294967295ELNS1_3gpuE0ELNS1_3repE0EEENS1_30default_config_static_selectorELNS0_4arch9wavefront6targetE1EEEvT1_ ; -- Begin function _ZN7rocprim17ROCPRIM_400000_NS6detail17trampoline_kernelINS0_14default_configENS1_25partition_config_selectorILNS1_17partition_subalgoE9EllbEEZZNS1_14partition_implILS5_9ELb0ES3_jPlS8_PNS0_10empty_typeENS0_5tupleIJS8_S9_EEENSB_IJS8_SA_EEENS0_18inequality_wrapperIZN2at6native12_GLOBAL__N_124unique_dim_cuda_templateImEESt5tupleIJNSF_6TensorESK_SK_EERKSK_lbbbEUlllE0_EEPmJS9_EEE10hipError_tPvRmT3_T4_T5_T6_T7_T9_mT8_P12ihipStream_tbDpT10_ENKUlT_T0_E_clISt17integral_constantIbLb1EES1A_EEDaS15_S16_EUlS15_E_NS1_11comp_targetILNS1_3genE0ELNS1_11target_archE4294967295ELNS1_3gpuE0ELNS1_3repE0EEENS1_30default_config_static_selectorELNS0_4arch9wavefront6targetE1EEEvT1_
	.p2align	8
	.type	_ZN7rocprim17ROCPRIM_400000_NS6detail17trampoline_kernelINS0_14default_configENS1_25partition_config_selectorILNS1_17partition_subalgoE9EllbEEZZNS1_14partition_implILS5_9ELb0ES3_jPlS8_PNS0_10empty_typeENS0_5tupleIJS8_S9_EEENSB_IJS8_SA_EEENS0_18inequality_wrapperIZN2at6native12_GLOBAL__N_124unique_dim_cuda_templateImEESt5tupleIJNSF_6TensorESK_SK_EERKSK_lbbbEUlllE0_EEPmJS9_EEE10hipError_tPvRmT3_T4_T5_T6_T7_T9_mT8_P12ihipStream_tbDpT10_ENKUlT_T0_E_clISt17integral_constantIbLb1EES1A_EEDaS15_S16_EUlS15_E_NS1_11comp_targetILNS1_3genE0ELNS1_11target_archE4294967295ELNS1_3gpuE0ELNS1_3repE0EEENS1_30default_config_static_selectorELNS0_4arch9wavefront6targetE1EEEvT1_,@function
_ZN7rocprim17ROCPRIM_400000_NS6detail17trampoline_kernelINS0_14default_configENS1_25partition_config_selectorILNS1_17partition_subalgoE9EllbEEZZNS1_14partition_implILS5_9ELb0ES3_jPlS8_PNS0_10empty_typeENS0_5tupleIJS8_S9_EEENSB_IJS8_SA_EEENS0_18inequality_wrapperIZN2at6native12_GLOBAL__N_124unique_dim_cuda_templateImEESt5tupleIJNSF_6TensorESK_SK_EERKSK_lbbbEUlllE0_EEPmJS9_EEE10hipError_tPvRmT3_T4_T5_T6_T7_T9_mT8_P12ihipStream_tbDpT10_ENKUlT_T0_E_clISt17integral_constantIbLb1EES1A_EEDaS15_S16_EUlS15_E_NS1_11comp_targetILNS1_3genE0ELNS1_11target_archE4294967295ELNS1_3gpuE0ELNS1_3repE0EEENS1_30default_config_static_selectorELNS0_4arch9wavefront6targetE1EEEvT1_: ; @_ZN7rocprim17ROCPRIM_400000_NS6detail17trampoline_kernelINS0_14default_configENS1_25partition_config_selectorILNS1_17partition_subalgoE9EllbEEZZNS1_14partition_implILS5_9ELb0ES3_jPlS8_PNS0_10empty_typeENS0_5tupleIJS8_S9_EEENSB_IJS8_SA_EEENS0_18inequality_wrapperIZN2at6native12_GLOBAL__N_124unique_dim_cuda_templateImEESt5tupleIJNSF_6TensorESK_SK_EERKSK_lbbbEUlllE0_EEPmJS9_EEE10hipError_tPvRmT3_T4_T5_T6_T7_T9_mT8_P12ihipStream_tbDpT10_ENKUlT_T0_E_clISt17integral_constantIbLb1EES1A_EEDaS15_S16_EUlS15_E_NS1_11comp_targetILNS1_3genE0ELNS1_11target_archE4294967295ELNS1_3gpuE0ELNS1_3repE0EEENS1_30default_config_static_selectorELNS0_4arch9wavefront6targetE1EEEvT1_
; %bb.0:
	.section	.rodata,"a",@progbits
	.p2align	6, 0x0
	.amdhsa_kernel _ZN7rocprim17ROCPRIM_400000_NS6detail17trampoline_kernelINS0_14default_configENS1_25partition_config_selectorILNS1_17partition_subalgoE9EllbEEZZNS1_14partition_implILS5_9ELb0ES3_jPlS8_PNS0_10empty_typeENS0_5tupleIJS8_S9_EEENSB_IJS8_SA_EEENS0_18inequality_wrapperIZN2at6native12_GLOBAL__N_124unique_dim_cuda_templateImEESt5tupleIJNSF_6TensorESK_SK_EERKSK_lbbbEUlllE0_EEPmJS9_EEE10hipError_tPvRmT3_T4_T5_T6_T7_T9_mT8_P12ihipStream_tbDpT10_ENKUlT_T0_E_clISt17integral_constantIbLb1EES1A_EEDaS15_S16_EUlS15_E_NS1_11comp_targetILNS1_3genE0ELNS1_11target_archE4294967295ELNS1_3gpuE0ELNS1_3repE0EEENS1_30default_config_static_selectorELNS0_4arch9wavefront6targetE1EEEvT1_
		.amdhsa_group_segment_fixed_size 0
		.amdhsa_private_segment_fixed_size 0
		.amdhsa_kernarg_size 136
		.amdhsa_user_sgpr_count 6
		.amdhsa_user_sgpr_private_segment_buffer 1
		.amdhsa_user_sgpr_dispatch_ptr 0
		.amdhsa_user_sgpr_queue_ptr 0
		.amdhsa_user_sgpr_kernarg_segment_ptr 1
		.amdhsa_user_sgpr_dispatch_id 0
		.amdhsa_user_sgpr_flat_scratch_init 0
		.amdhsa_user_sgpr_kernarg_preload_length 0
		.amdhsa_user_sgpr_kernarg_preload_offset 0
		.amdhsa_user_sgpr_private_segment_size 0
		.amdhsa_uses_dynamic_stack 0
		.amdhsa_system_sgpr_private_segment_wavefront_offset 0
		.amdhsa_system_sgpr_workgroup_id_x 1
		.amdhsa_system_sgpr_workgroup_id_y 0
		.amdhsa_system_sgpr_workgroup_id_z 0
		.amdhsa_system_sgpr_workgroup_info 0
		.amdhsa_system_vgpr_workitem_id 0
		.amdhsa_next_free_vgpr 1
		.amdhsa_next_free_sgpr 0
		.amdhsa_accum_offset 4
		.amdhsa_reserve_vcc 0
		.amdhsa_reserve_flat_scratch 0
		.amdhsa_float_round_mode_32 0
		.amdhsa_float_round_mode_16_64 0
		.amdhsa_float_denorm_mode_32 3
		.amdhsa_float_denorm_mode_16_64 3
		.amdhsa_dx10_clamp 1
		.amdhsa_ieee_mode 1
		.amdhsa_fp16_overflow 0
		.amdhsa_tg_split 0
		.amdhsa_exception_fp_ieee_invalid_op 0
		.amdhsa_exception_fp_denorm_src 0
		.amdhsa_exception_fp_ieee_div_zero 0
		.amdhsa_exception_fp_ieee_overflow 0
		.amdhsa_exception_fp_ieee_underflow 0
		.amdhsa_exception_fp_ieee_inexact 0
		.amdhsa_exception_int_div_zero 0
	.end_amdhsa_kernel
	.section	.text._ZN7rocprim17ROCPRIM_400000_NS6detail17trampoline_kernelINS0_14default_configENS1_25partition_config_selectorILNS1_17partition_subalgoE9EllbEEZZNS1_14partition_implILS5_9ELb0ES3_jPlS8_PNS0_10empty_typeENS0_5tupleIJS8_S9_EEENSB_IJS8_SA_EEENS0_18inequality_wrapperIZN2at6native12_GLOBAL__N_124unique_dim_cuda_templateImEESt5tupleIJNSF_6TensorESK_SK_EERKSK_lbbbEUlllE0_EEPmJS9_EEE10hipError_tPvRmT3_T4_T5_T6_T7_T9_mT8_P12ihipStream_tbDpT10_ENKUlT_T0_E_clISt17integral_constantIbLb1EES1A_EEDaS15_S16_EUlS15_E_NS1_11comp_targetILNS1_3genE0ELNS1_11target_archE4294967295ELNS1_3gpuE0ELNS1_3repE0EEENS1_30default_config_static_selectorELNS0_4arch9wavefront6targetE1EEEvT1_,"axG",@progbits,_ZN7rocprim17ROCPRIM_400000_NS6detail17trampoline_kernelINS0_14default_configENS1_25partition_config_selectorILNS1_17partition_subalgoE9EllbEEZZNS1_14partition_implILS5_9ELb0ES3_jPlS8_PNS0_10empty_typeENS0_5tupleIJS8_S9_EEENSB_IJS8_SA_EEENS0_18inequality_wrapperIZN2at6native12_GLOBAL__N_124unique_dim_cuda_templateImEESt5tupleIJNSF_6TensorESK_SK_EERKSK_lbbbEUlllE0_EEPmJS9_EEE10hipError_tPvRmT3_T4_T5_T6_T7_T9_mT8_P12ihipStream_tbDpT10_ENKUlT_T0_E_clISt17integral_constantIbLb1EES1A_EEDaS15_S16_EUlS15_E_NS1_11comp_targetILNS1_3genE0ELNS1_11target_archE4294967295ELNS1_3gpuE0ELNS1_3repE0EEENS1_30default_config_static_selectorELNS0_4arch9wavefront6targetE1EEEvT1_,comdat
.Lfunc_end1701:
	.size	_ZN7rocprim17ROCPRIM_400000_NS6detail17trampoline_kernelINS0_14default_configENS1_25partition_config_selectorILNS1_17partition_subalgoE9EllbEEZZNS1_14partition_implILS5_9ELb0ES3_jPlS8_PNS0_10empty_typeENS0_5tupleIJS8_S9_EEENSB_IJS8_SA_EEENS0_18inequality_wrapperIZN2at6native12_GLOBAL__N_124unique_dim_cuda_templateImEESt5tupleIJNSF_6TensorESK_SK_EERKSK_lbbbEUlllE0_EEPmJS9_EEE10hipError_tPvRmT3_T4_T5_T6_T7_T9_mT8_P12ihipStream_tbDpT10_ENKUlT_T0_E_clISt17integral_constantIbLb1EES1A_EEDaS15_S16_EUlS15_E_NS1_11comp_targetILNS1_3genE0ELNS1_11target_archE4294967295ELNS1_3gpuE0ELNS1_3repE0EEENS1_30default_config_static_selectorELNS0_4arch9wavefront6targetE1EEEvT1_, .Lfunc_end1701-_ZN7rocprim17ROCPRIM_400000_NS6detail17trampoline_kernelINS0_14default_configENS1_25partition_config_selectorILNS1_17partition_subalgoE9EllbEEZZNS1_14partition_implILS5_9ELb0ES3_jPlS8_PNS0_10empty_typeENS0_5tupleIJS8_S9_EEENSB_IJS8_SA_EEENS0_18inequality_wrapperIZN2at6native12_GLOBAL__N_124unique_dim_cuda_templateImEESt5tupleIJNSF_6TensorESK_SK_EERKSK_lbbbEUlllE0_EEPmJS9_EEE10hipError_tPvRmT3_T4_T5_T6_T7_T9_mT8_P12ihipStream_tbDpT10_ENKUlT_T0_E_clISt17integral_constantIbLb1EES1A_EEDaS15_S16_EUlS15_E_NS1_11comp_targetILNS1_3genE0ELNS1_11target_archE4294967295ELNS1_3gpuE0ELNS1_3repE0EEENS1_30default_config_static_selectorELNS0_4arch9wavefront6targetE1EEEvT1_
                                        ; -- End function
	.section	.AMDGPU.csdata,"",@progbits
; Kernel info:
; codeLenInByte = 0
; NumSgprs: 4
; NumVgprs: 0
; NumAgprs: 0
; TotalNumVgprs: 0
; ScratchSize: 0
; MemoryBound: 0
; FloatMode: 240
; IeeeMode: 1
; LDSByteSize: 0 bytes/workgroup (compile time only)
; SGPRBlocks: 0
; VGPRBlocks: 0
; NumSGPRsForWavesPerEU: 4
; NumVGPRsForWavesPerEU: 1
; AccumOffset: 4
; Occupancy: 8
; WaveLimiterHint : 0
; COMPUTE_PGM_RSRC2:SCRATCH_EN: 0
; COMPUTE_PGM_RSRC2:USER_SGPR: 6
; COMPUTE_PGM_RSRC2:TRAP_HANDLER: 0
; COMPUTE_PGM_RSRC2:TGID_X_EN: 1
; COMPUTE_PGM_RSRC2:TGID_Y_EN: 0
; COMPUTE_PGM_RSRC2:TGID_Z_EN: 0
; COMPUTE_PGM_RSRC2:TIDIG_COMP_CNT: 0
; COMPUTE_PGM_RSRC3_GFX90A:ACCUM_OFFSET: 0
; COMPUTE_PGM_RSRC3_GFX90A:TG_SPLIT: 0
	.section	.text._ZN7rocprim17ROCPRIM_400000_NS6detail17trampoline_kernelINS0_14default_configENS1_25partition_config_selectorILNS1_17partition_subalgoE9EllbEEZZNS1_14partition_implILS5_9ELb0ES3_jPlS8_PNS0_10empty_typeENS0_5tupleIJS8_S9_EEENSB_IJS8_SA_EEENS0_18inequality_wrapperIZN2at6native12_GLOBAL__N_124unique_dim_cuda_templateImEESt5tupleIJNSF_6TensorESK_SK_EERKSK_lbbbEUlllE0_EEPmJS9_EEE10hipError_tPvRmT3_T4_T5_T6_T7_T9_mT8_P12ihipStream_tbDpT10_ENKUlT_T0_E_clISt17integral_constantIbLb1EES1A_EEDaS15_S16_EUlS15_E_NS1_11comp_targetILNS1_3genE5ELNS1_11target_archE942ELNS1_3gpuE9ELNS1_3repE0EEENS1_30default_config_static_selectorELNS0_4arch9wavefront6targetE1EEEvT1_,"axG",@progbits,_ZN7rocprim17ROCPRIM_400000_NS6detail17trampoline_kernelINS0_14default_configENS1_25partition_config_selectorILNS1_17partition_subalgoE9EllbEEZZNS1_14partition_implILS5_9ELb0ES3_jPlS8_PNS0_10empty_typeENS0_5tupleIJS8_S9_EEENSB_IJS8_SA_EEENS0_18inequality_wrapperIZN2at6native12_GLOBAL__N_124unique_dim_cuda_templateImEESt5tupleIJNSF_6TensorESK_SK_EERKSK_lbbbEUlllE0_EEPmJS9_EEE10hipError_tPvRmT3_T4_T5_T6_T7_T9_mT8_P12ihipStream_tbDpT10_ENKUlT_T0_E_clISt17integral_constantIbLb1EES1A_EEDaS15_S16_EUlS15_E_NS1_11comp_targetILNS1_3genE5ELNS1_11target_archE942ELNS1_3gpuE9ELNS1_3repE0EEENS1_30default_config_static_selectorELNS0_4arch9wavefront6targetE1EEEvT1_,comdat
	.globl	_ZN7rocprim17ROCPRIM_400000_NS6detail17trampoline_kernelINS0_14default_configENS1_25partition_config_selectorILNS1_17partition_subalgoE9EllbEEZZNS1_14partition_implILS5_9ELb0ES3_jPlS8_PNS0_10empty_typeENS0_5tupleIJS8_S9_EEENSB_IJS8_SA_EEENS0_18inequality_wrapperIZN2at6native12_GLOBAL__N_124unique_dim_cuda_templateImEESt5tupleIJNSF_6TensorESK_SK_EERKSK_lbbbEUlllE0_EEPmJS9_EEE10hipError_tPvRmT3_T4_T5_T6_T7_T9_mT8_P12ihipStream_tbDpT10_ENKUlT_T0_E_clISt17integral_constantIbLb1EES1A_EEDaS15_S16_EUlS15_E_NS1_11comp_targetILNS1_3genE5ELNS1_11target_archE942ELNS1_3gpuE9ELNS1_3repE0EEENS1_30default_config_static_selectorELNS0_4arch9wavefront6targetE1EEEvT1_ ; -- Begin function _ZN7rocprim17ROCPRIM_400000_NS6detail17trampoline_kernelINS0_14default_configENS1_25partition_config_selectorILNS1_17partition_subalgoE9EllbEEZZNS1_14partition_implILS5_9ELb0ES3_jPlS8_PNS0_10empty_typeENS0_5tupleIJS8_S9_EEENSB_IJS8_SA_EEENS0_18inequality_wrapperIZN2at6native12_GLOBAL__N_124unique_dim_cuda_templateImEESt5tupleIJNSF_6TensorESK_SK_EERKSK_lbbbEUlllE0_EEPmJS9_EEE10hipError_tPvRmT3_T4_T5_T6_T7_T9_mT8_P12ihipStream_tbDpT10_ENKUlT_T0_E_clISt17integral_constantIbLb1EES1A_EEDaS15_S16_EUlS15_E_NS1_11comp_targetILNS1_3genE5ELNS1_11target_archE942ELNS1_3gpuE9ELNS1_3repE0EEENS1_30default_config_static_selectorELNS0_4arch9wavefront6targetE1EEEvT1_
	.p2align	8
	.type	_ZN7rocprim17ROCPRIM_400000_NS6detail17trampoline_kernelINS0_14default_configENS1_25partition_config_selectorILNS1_17partition_subalgoE9EllbEEZZNS1_14partition_implILS5_9ELb0ES3_jPlS8_PNS0_10empty_typeENS0_5tupleIJS8_S9_EEENSB_IJS8_SA_EEENS0_18inequality_wrapperIZN2at6native12_GLOBAL__N_124unique_dim_cuda_templateImEESt5tupleIJNSF_6TensorESK_SK_EERKSK_lbbbEUlllE0_EEPmJS9_EEE10hipError_tPvRmT3_T4_T5_T6_T7_T9_mT8_P12ihipStream_tbDpT10_ENKUlT_T0_E_clISt17integral_constantIbLb1EES1A_EEDaS15_S16_EUlS15_E_NS1_11comp_targetILNS1_3genE5ELNS1_11target_archE942ELNS1_3gpuE9ELNS1_3repE0EEENS1_30default_config_static_selectorELNS0_4arch9wavefront6targetE1EEEvT1_,@function
_ZN7rocprim17ROCPRIM_400000_NS6detail17trampoline_kernelINS0_14default_configENS1_25partition_config_selectorILNS1_17partition_subalgoE9EllbEEZZNS1_14partition_implILS5_9ELb0ES3_jPlS8_PNS0_10empty_typeENS0_5tupleIJS8_S9_EEENSB_IJS8_SA_EEENS0_18inequality_wrapperIZN2at6native12_GLOBAL__N_124unique_dim_cuda_templateImEESt5tupleIJNSF_6TensorESK_SK_EERKSK_lbbbEUlllE0_EEPmJS9_EEE10hipError_tPvRmT3_T4_T5_T6_T7_T9_mT8_P12ihipStream_tbDpT10_ENKUlT_T0_E_clISt17integral_constantIbLb1EES1A_EEDaS15_S16_EUlS15_E_NS1_11comp_targetILNS1_3genE5ELNS1_11target_archE942ELNS1_3gpuE9ELNS1_3repE0EEENS1_30default_config_static_selectorELNS0_4arch9wavefront6targetE1EEEvT1_: ; @_ZN7rocprim17ROCPRIM_400000_NS6detail17trampoline_kernelINS0_14default_configENS1_25partition_config_selectorILNS1_17partition_subalgoE9EllbEEZZNS1_14partition_implILS5_9ELb0ES3_jPlS8_PNS0_10empty_typeENS0_5tupleIJS8_S9_EEENSB_IJS8_SA_EEENS0_18inequality_wrapperIZN2at6native12_GLOBAL__N_124unique_dim_cuda_templateImEESt5tupleIJNSF_6TensorESK_SK_EERKSK_lbbbEUlllE0_EEPmJS9_EEE10hipError_tPvRmT3_T4_T5_T6_T7_T9_mT8_P12ihipStream_tbDpT10_ENKUlT_T0_E_clISt17integral_constantIbLb1EES1A_EEDaS15_S16_EUlS15_E_NS1_11comp_targetILNS1_3genE5ELNS1_11target_archE942ELNS1_3gpuE9ELNS1_3repE0EEENS1_30default_config_static_selectorELNS0_4arch9wavefront6targetE1EEEvT1_
; %bb.0:
	.section	.rodata,"a",@progbits
	.p2align	6, 0x0
	.amdhsa_kernel _ZN7rocprim17ROCPRIM_400000_NS6detail17trampoline_kernelINS0_14default_configENS1_25partition_config_selectorILNS1_17partition_subalgoE9EllbEEZZNS1_14partition_implILS5_9ELb0ES3_jPlS8_PNS0_10empty_typeENS0_5tupleIJS8_S9_EEENSB_IJS8_SA_EEENS0_18inequality_wrapperIZN2at6native12_GLOBAL__N_124unique_dim_cuda_templateImEESt5tupleIJNSF_6TensorESK_SK_EERKSK_lbbbEUlllE0_EEPmJS9_EEE10hipError_tPvRmT3_T4_T5_T6_T7_T9_mT8_P12ihipStream_tbDpT10_ENKUlT_T0_E_clISt17integral_constantIbLb1EES1A_EEDaS15_S16_EUlS15_E_NS1_11comp_targetILNS1_3genE5ELNS1_11target_archE942ELNS1_3gpuE9ELNS1_3repE0EEENS1_30default_config_static_selectorELNS0_4arch9wavefront6targetE1EEEvT1_
		.amdhsa_group_segment_fixed_size 0
		.amdhsa_private_segment_fixed_size 0
		.amdhsa_kernarg_size 136
		.amdhsa_user_sgpr_count 6
		.amdhsa_user_sgpr_private_segment_buffer 1
		.amdhsa_user_sgpr_dispatch_ptr 0
		.amdhsa_user_sgpr_queue_ptr 0
		.amdhsa_user_sgpr_kernarg_segment_ptr 1
		.amdhsa_user_sgpr_dispatch_id 0
		.amdhsa_user_sgpr_flat_scratch_init 0
		.amdhsa_user_sgpr_kernarg_preload_length 0
		.amdhsa_user_sgpr_kernarg_preload_offset 0
		.amdhsa_user_sgpr_private_segment_size 0
		.amdhsa_uses_dynamic_stack 0
		.amdhsa_system_sgpr_private_segment_wavefront_offset 0
		.amdhsa_system_sgpr_workgroup_id_x 1
		.amdhsa_system_sgpr_workgroup_id_y 0
		.amdhsa_system_sgpr_workgroup_id_z 0
		.amdhsa_system_sgpr_workgroup_info 0
		.amdhsa_system_vgpr_workitem_id 0
		.amdhsa_next_free_vgpr 1
		.amdhsa_next_free_sgpr 0
		.amdhsa_accum_offset 4
		.amdhsa_reserve_vcc 0
		.amdhsa_reserve_flat_scratch 0
		.amdhsa_float_round_mode_32 0
		.amdhsa_float_round_mode_16_64 0
		.amdhsa_float_denorm_mode_32 3
		.amdhsa_float_denorm_mode_16_64 3
		.amdhsa_dx10_clamp 1
		.amdhsa_ieee_mode 1
		.amdhsa_fp16_overflow 0
		.amdhsa_tg_split 0
		.amdhsa_exception_fp_ieee_invalid_op 0
		.amdhsa_exception_fp_denorm_src 0
		.amdhsa_exception_fp_ieee_div_zero 0
		.amdhsa_exception_fp_ieee_overflow 0
		.amdhsa_exception_fp_ieee_underflow 0
		.amdhsa_exception_fp_ieee_inexact 0
		.amdhsa_exception_int_div_zero 0
	.end_amdhsa_kernel
	.section	.text._ZN7rocprim17ROCPRIM_400000_NS6detail17trampoline_kernelINS0_14default_configENS1_25partition_config_selectorILNS1_17partition_subalgoE9EllbEEZZNS1_14partition_implILS5_9ELb0ES3_jPlS8_PNS0_10empty_typeENS0_5tupleIJS8_S9_EEENSB_IJS8_SA_EEENS0_18inequality_wrapperIZN2at6native12_GLOBAL__N_124unique_dim_cuda_templateImEESt5tupleIJNSF_6TensorESK_SK_EERKSK_lbbbEUlllE0_EEPmJS9_EEE10hipError_tPvRmT3_T4_T5_T6_T7_T9_mT8_P12ihipStream_tbDpT10_ENKUlT_T0_E_clISt17integral_constantIbLb1EES1A_EEDaS15_S16_EUlS15_E_NS1_11comp_targetILNS1_3genE5ELNS1_11target_archE942ELNS1_3gpuE9ELNS1_3repE0EEENS1_30default_config_static_selectorELNS0_4arch9wavefront6targetE1EEEvT1_,"axG",@progbits,_ZN7rocprim17ROCPRIM_400000_NS6detail17trampoline_kernelINS0_14default_configENS1_25partition_config_selectorILNS1_17partition_subalgoE9EllbEEZZNS1_14partition_implILS5_9ELb0ES3_jPlS8_PNS0_10empty_typeENS0_5tupleIJS8_S9_EEENSB_IJS8_SA_EEENS0_18inequality_wrapperIZN2at6native12_GLOBAL__N_124unique_dim_cuda_templateImEESt5tupleIJNSF_6TensorESK_SK_EERKSK_lbbbEUlllE0_EEPmJS9_EEE10hipError_tPvRmT3_T4_T5_T6_T7_T9_mT8_P12ihipStream_tbDpT10_ENKUlT_T0_E_clISt17integral_constantIbLb1EES1A_EEDaS15_S16_EUlS15_E_NS1_11comp_targetILNS1_3genE5ELNS1_11target_archE942ELNS1_3gpuE9ELNS1_3repE0EEENS1_30default_config_static_selectorELNS0_4arch9wavefront6targetE1EEEvT1_,comdat
.Lfunc_end1702:
	.size	_ZN7rocprim17ROCPRIM_400000_NS6detail17trampoline_kernelINS0_14default_configENS1_25partition_config_selectorILNS1_17partition_subalgoE9EllbEEZZNS1_14partition_implILS5_9ELb0ES3_jPlS8_PNS0_10empty_typeENS0_5tupleIJS8_S9_EEENSB_IJS8_SA_EEENS0_18inequality_wrapperIZN2at6native12_GLOBAL__N_124unique_dim_cuda_templateImEESt5tupleIJNSF_6TensorESK_SK_EERKSK_lbbbEUlllE0_EEPmJS9_EEE10hipError_tPvRmT3_T4_T5_T6_T7_T9_mT8_P12ihipStream_tbDpT10_ENKUlT_T0_E_clISt17integral_constantIbLb1EES1A_EEDaS15_S16_EUlS15_E_NS1_11comp_targetILNS1_3genE5ELNS1_11target_archE942ELNS1_3gpuE9ELNS1_3repE0EEENS1_30default_config_static_selectorELNS0_4arch9wavefront6targetE1EEEvT1_, .Lfunc_end1702-_ZN7rocprim17ROCPRIM_400000_NS6detail17trampoline_kernelINS0_14default_configENS1_25partition_config_selectorILNS1_17partition_subalgoE9EllbEEZZNS1_14partition_implILS5_9ELb0ES3_jPlS8_PNS0_10empty_typeENS0_5tupleIJS8_S9_EEENSB_IJS8_SA_EEENS0_18inequality_wrapperIZN2at6native12_GLOBAL__N_124unique_dim_cuda_templateImEESt5tupleIJNSF_6TensorESK_SK_EERKSK_lbbbEUlllE0_EEPmJS9_EEE10hipError_tPvRmT3_T4_T5_T6_T7_T9_mT8_P12ihipStream_tbDpT10_ENKUlT_T0_E_clISt17integral_constantIbLb1EES1A_EEDaS15_S16_EUlS15_E_NS1_11comp_targetILNS1_3genE5ELNS1_11target_archE942ELNS1_3gpuE9ELNS1_3repE0EEENS1_30default_config_static_selectorELNS0_4arch9wavefront6targetE1EEEvT1_
                                        ; -- End function
	.section	.AMDGPU.csdata,"",@progbits
; Kernel info:
; codeLenInByte = 0
; NumSgprs: 4
; NumVgprs: 0
; NumAgprs: 0
; TotalNumVgprs: 0
; ScratchSize: 0
; MemoryBound: 0
; FloatMode: 240
; IeeeMode: 1
; LDSByteSize: 0 bytes/workgroup (compile time only)
; SGPRBlocks: 0
; VGPRBlocks: 0
; NumSGPRsForWavesPerEU: 4
; NumVGPRsForWavesPerEU: 1
; AccumOffset: 4
; Occupancy: 8
; WaveLimiterHint : 0
; COMPUTE_PGM_RSRC2:SCRATCH_EN: 0
; COMPUTE_PGM_RSRC2:USER_SGPR: 6
; COMPUTE_PGM_RSRC2:TRAP_HANDLER: 0
; COMPUTE_PGM_RSRC2:TGID_X_EN: 1
; COMPUTE_PGM_RSRC2:TGID_Y_EN: 0
; COMPUTE_PGM_RSRC2:TGID_Z_EN: 0
; COMPUTE_PGM_RSRC2:TIDIG_COMP_CNT: 0
; COMPUTE_PGM_RSRC3_GFX90A:ACCUM_OFFSET: 0
; COMPUTE_PGM_RSRC3_GFX90A:TG_SPLIT: 0
	.section	.text._ZN7rocprim17ROCPRIM_400000_NS6detail17trampoline_kernelINS0_14default_configENS1_25partition_config_selectorILNS1_17partition_subalgoE9EllbEEZZNS1_14partition_implILS5_9ELb0ES3_jPlS8_PNS0_10empty_typeENS0_5tupleIJS8_S9_EEENSB_IJS8_SA_EEENS0_18inequality_wrapperIZN2at6native12_GLOBAL__N_124unique_dim_cuda_templateImEESt5tupleIJNSF_6TensorESK_SK_EERKSK_lbbbEUlllE0_EEPmJS9_EEE10hipError_tPvRmT3_T4_T5_T6_T7_T9_mT8_P12ihipStream_tbDpT10_ENKUlT_T0_E_clISt17integral_constantIbLb1EES1A_EEDaS15_S16_EUlS15_E_NS1_11comp_targetILNS1_3genE4ELNS1_11target_archE910ELNS1_3gpuE8ELNS1_3repE0EEENS1_30default_config_static_selectorELNS0_4arch9wavefront6targetE1EEEvT1_,"axG",@progbits,_ZN7rocprim17ROCPRIM_400000_NS6detail17trampoline_kernelINS0_14default_configENS1_25partition_config_selectorILNS1_17partition_subalgoE9EllbEEZZNS1_14partition_implILS5_9ELb0ES3_jPlS8_PNS0_10empty_typeENS0_5tupleIJS8_S9_EEENSB_IJS8_SA_EEENS0_18inequality_wrapperIZN2at6native12_GLOBAL__N_124unique_dim_cuda_templateImEESt5tupleIJNSF_6TensorESK_SK_EERKSK_lbbbEUlllE0_EEPmJS9_EEE10hipError_tPvRmT3_T4_T5_T6_T7_T9_mT8_P12ihipStream_tbDpT10_ENKUlT_T0_E_clISt17integral_constantIbLb1EES1A_EEDaS15_S16_EUlS15_E_NS1_11comp_targetILNS1_3genE4ELNS1_11target_archE910ELNS1_3gpuE8ELNS1_3repE0EEENS1_30default_config_static_selectorELNS0_4arch9wavefront6targetE1EEEvT1_,comdat
	.globl	_ZN7rocprim17ROCPRIM_400000_NS6detail17trampoline_kernelINS0_14default_configENS1_25partition_config_selectorILNS1_17partition_subalgoE9EllbEEZZNS1_14partition_implILS5_9ELb0ES3_jPlS8_PNS0_10empty_typeENS0_5tupleIJS8_S9_EEENSB_IJS8_SA_EEENS0_18inequality_wrapperIZN2at6native12_GLOBAL__N_124unique_dim_cuda_templateImEESt5tupleIJNSF_6TensorESK_SK_EERKSK_lbbbEUlllE0_EEPmJS9_EEE10hipError_tPvRmT3_T4_T5_T6_T7_T9_mT8_P12ihipStream_tbDpT10_ENKUlT_T0_E_clISt17integral_constantIbLb1EES1A_EEDaS15_S16_EUlS15_E_NS1_11comp_targetILNS1_3genE4ELNS1_11target_archE910ELNS1_3gpuE8ELNS1_3repE0EEENS1_30default_config_static_selectorELNS0_4arch9wavefront6targetE1EEEvT1_ ; -- Begin function _ZN7rocprim17ROCPRIM_400000_NS6detail17trampoline_kernelINS0_14default_configENS1_25partition_config_selectorILNS1_17partition_subalgoE9EllbEEZZNS1_14partition_implILS5_9ELb0ES3_jPlS8_PNS0_10empty_typeENS0_5tupleIJS8_S9_EEENSB_IJS8_SA_EEENS0_18inequality_wrapperIZN2at6native12_GLOBAL__N_124unique_dim_cuda_templateImEESt5tupleIJNSF_6TensorESK_SK_EERKSK_lbbbEUlllE0_EEPmJS9_EEE10hipError_tPvRmT3_T4_T5_T6_T7_T9_mT8_P12ihipStream_tbDpT10_ENKUlT_T0_E_clISt17integral_constantIbLb1EES1A_EEDaS15_S16_EUlS15_E_NS1_11comp_targetILNS1_3genE4ELNS1_11target_archE910ELNS1_3gpuE8ELNS1_3repE0EEENS1_30default_config_static_selectorELNS0_4arch9wavefront6targetE1EEEvT1_
	.p2align	8
	.type	_ZN7rocprim17ROCPRIM_400000_NS6detail17trampoline_kernelINS0_14default_configENS1_25partition_config_selectorILNS1_17partition_subalgoE9EllbEEZZNS1_14partition_implILS5_9ELb0ES3_jPlS8_PNS0_10empty_typeENS0_5tupleIJS8_S9_EEENSB_IJS8_SA_EEENS0_18inequality_wrapperIZN2at6native12_GLOBAL__N_124unique_dim_cuda_templateImEESt5tupleIJNSF_6TensorESK_SK_EERKSK_lbbbEUlllE0_EEPmJS9_EEE10hipError_tPvRmT3_T4_T5_T6_T7_T9_mT8_P12ihipStream_tbDpT10_ENKUlT_T0_E_clISt17integral_constantIbLb1EES1A_EEDaS15_S16_EUlS15_E_NS1_11comp_targetILNS1_3genE4ELNS1_11target_archE910ELNS1_3gpuE8ELNS1_3repE0EEENS1_30default_config_static_selectorELNS0_4arch9wavefront6targetE1EEEvT1_,@function
_ZN7rocprim17ROCPRIM_400000_NS6detail17trampoline_kernelINS0_14default_configENS1_25partition_config_selectorILNS1_17partition_subalgoE9EllbEEZZNS1_14partition_implILS5_9ELb0ES3_jPlS8_PNS0_10empty_typeENS0_5tupleIJS8_S9_EEENSB_IJS8_SA_EEENS0_18inequality_wrapperIZN2at6native12_GLOBAL__N_124unique_dim_cuda_templateImEESt5tupleIJNSF_6TensorESK_SK_EERKSK_lbbbEUlllE0_EEPmJS9_EEE10hipError_tPvRmT3_T4_T5_T6_T7_T9_mT8_P12ihipStream_tbDpT10_ENKUlT_T0_E_clISt17integral_constantIbLb1EES1A_EEDaS15_S16_EUlS15_E_NS1_11comp_targetILNS1_3genE4ELNS1_11target_archE910ELNS1_3gpuE8ELNS1_3repE0EEENS1_30default_config_static_selectorELNS0_4arch9wavefront6targetE1EEEvT1_: ; @_ZN7rocprim17ROCPRIM_400000_NS6detail17trampoline_kernelINS0_14default_configENS1_25partition_config_selectorILNS1_17partition_subalgoE9EllbEEZZNS1_14partition_implILS5_9ELb0ES3_jPlS8_PNS0_10empty_typeENS0_5tupleIJS8_S9_EEENSB_IJS8_SA_EEENS0_18inequality_wrapperIZN2at6native12_GLOBAL__N_124unique_dim_cuda_templateImEESt5tupleIJNSF_6TensorESK_SK_EERKSK_lbbbEUlllE0_EEPmJS9_EEE10hipError_tPvRmT3_T4_T5_T6_T7_T9_mT8_P12ihipStream_tbDpT10_ENKUlT_T0_E_clISt17integral_constantIbLb1EES1A_EEDaS15_S16_EUlS15_E_NS1_11comp_targetILNS1_3genE4ELNS1_11target_archE910ELNS1_3gpuE8ELNS1_3repE0EEENS1_30default_config_static_selectorELNS0_4arch9wavefront6targetE1EEEvT1_
; %bb.0:
	s_load_dwordx4 s[8:11], s[4:5], 0x8
	s_load_dwordx2 s[14:15], s[4:5], 0x18
	s_load_dwordx8 s[20:27], s[4:5], 0x40
	s_load_dwordx4 s[16:19], s[4:5], 0x60
	v_cmp_ne_u32_e64 s[2:3], 0, v0
	v_cmp_eq_u32_e64 s[0:1], 0, v0
	s_and_saveexec_b64 s[6:7], s[0:1]
	s_cbranch_execz .LBB1703_4
; %bb.1:
	s_mov_b64 s[28:29], exec
	v_mbcnt_lo_u32_b32 v1, s28, 0
	v_mbcnt_hi_u32_b32 v1, s29, v1
	v_cmp_eq_u32_e32 vcc, 0, v1
                                        ; implicit-def: $vgpr2
	s_and_saveexec_b64 s[12:13], vcc
	s_cbranch_execz .LBB1703_3
; %bb.2:
	s_load_dwordx2 s[30:31], s[4:5], 0x78
	s_bcnt1_i32_b64 s28, s[28:29]
	v_mov_b32_e32 v2, 0
	v_mov_b32_e32 v3, s28
	s_waitcnt lgkmcnt(0)
	global_atomic_add v2, v2, v3, s[30:31] glc
.LBB1703_3:
	s_or_b64 exec, exec, s[12:13]
	s_waitcnt vmcnt(0)
	v_readfirstlane_b32 s12, v2
	v_add_u32_e32 v1, s12, v1
	v_mov_b32_e32 v2, 0
	ds_write_b32 v2, v1
.LBB1703_4:
	s_or_b64 exec, exec, s[6:7]
	v_mov_b32_e32 v1, 0
	s_load_dwordx4 s[28:31], s[4:5], 0x28
	s_load_dword s6, s[4:5], 0x70
	s_waitcnt lgkmcnt(0)
	s_barrier
	ds_read_b32 v6, v1
	s_waitcnt lgkmcnt(0)
	s_barrier
	global_load_dwordx2 v[2:3], v1, s[22:23]
	s_lshl_b64 s[36:37], s[10:11], 3
	s_add_u32 s22, s8, s36
	s_addc_u32 s23, s9, s37
	s_add_i32 s12, s6, -1
	s_lshl_b32 s8, s6, 9
	s_lshl_b32 s6, s12, 9
	s_add_i32 s6, s10, s6
	v_readfirstlane_b32 s33, v6
	s_sub_i32 s48, s24, s6
	s_lshl_b32 s6, s33, 9
	s_add_u32 s8, s10, s8
	s_addc_u32 s9, s11, 0
	v_mov_b32_e32 v4, s24
	v_mov_b32_e32 v5, s25
	s_cmp_eq_u32 s33, s12
	v_cmp_ge_u64_e32 vcc, s[8:9], v[4:5]
	s_cselect_b64 s[24:25], -1, 0
	s_mov_b32 s7, 0
	s_and_b64 s[12:13], vcc, s[24:25]
	s_lshl_b64 s[8:9], s[6:7], 3
	s_xor_b64 s[34:35], s[12:13], -1
	s_add_u32 s6, s22, s8
	s_mov_b64 s[4:5], -1
	v_lshrrev_b32_e32 v18, 2, v0
	s_addc_u32 s7, s23, s9
	s_and_b64 vcc, exec, s[34:35]
	s_waitcnt vmcnt(0)
	v_readfirstlane_b32 s22, v2
	v_readfirstlane_b32 s23, v3
	s_cbranch_vccz .LBB1703_6
; %bb.5:
	v_lshlrev_b32_e32 v1, 3, v0
	global_load_dwordx2 v[2:3], v1, s[6:7]
	global_load_dwordx2 v[4:5], v1, s[6:7] offset:1024
	global_load_dwordx2 v[6:7], v1, s[6:7] offset:2048
	global_load_dwordx2 v[8:9], v1, s[6:7] offset:3072
	v_or_b32_e32 v11, 0x80, v0
	v_or_b32_e32 v12, 0x100, v0
	;; [unrolled: 1-line block ×3, first 2 shown]
	v_and_b32_e32 v10, 24, v18
	v_lshrrev_b32_e32 v11, 2, v11
	v_lshrrev_b32_e32 v12, 2, v12
	;; [unrolled: 1-line block ×3, first 2 shown]
	v_add_u32_e32 v10, v10, v1
	v_and_b32_e32 v11, 56, v11
	v_and_b32_e32 v12, 0x58, v12
	;; [unrolled: 1-line block ×3, first 2 shown]
	v_add_u32_e32 v11, v11, v1
	v_add_u32_e32 v12, v12, v1
	v_add_u32_e32 v1, v13, v1
	s_mov_b64 s[4:5], 0
	s_waitcnt vmcnt(3)
	ds_write_b64 v10, v[2:3]
	s_waitcnt vmcnt(2)
	ds_write_b64 v11, v[4:5] offset:1024
	s_waitcnt vmcnt(1)
	ds_write_b64 v12, v[6:7] offset:2048
	;; [unrolled: 2-line block ×3, first 2 shown]
	s_waitcnt lgkmcnt(0)
	s_barrier
.LBB1703_6:
	s_andn2_b64 vcc, exec, s[4:5]
	v_cmp_gt_u32_e64 s[4:5], s48, v0
	s_cbranch_vccnz .LBB1703_16
; %bb.7:
                                        ; implicit-def: $vgpr2_vgpr3_vgpr4_vgpr5_vgpr6_vgpr7_vgpr8_vgpr9
	s_and_saveexec_b64 s[38:39], s[4:5]
	s_cbranch_execz .LBB1703_9
; %bb.8:
	v_lshlrev_b32_e32 v1, 3, v0
	global_load_dwordx2 v[2:3], v1, s[6:7]
.LBB1703_9:
	s_or_b64 exec, exec, s[38:39]
	v_or_b32_e32 v1, 0x80, v0
	v_cmp_gt_u32_e32 vcc, s48, v1
	s_and_saveexec_b64 s[4:5], vcc
	s_cbranch_execz .LBB1703_11
; %bb.10:
	v_lshlrev_b32_e32 v4, 3, v0
	global_load_dwordx2 v[4:5], v4, s[6:7] offset:1024
.LBB1703_11:
	s_or_b64 exec, exec, s[4:5]
	v_or_b32_e32 v10, 0x100, v0
	v_cmp_gt_u32_e32 vcc, s48, v10
	s_and_saveexec_b64 s[4:5], vcc
	s_cbranch_execz .LBB1703_13
; %bb.12:
	v_lshlrev_b32_e32 v6, 3, v0
	global_load_dwordx2 v[6:7], v6, s[6:7] offset:2048
.LBB1703_13:
	;; [unrolled: 9-line block ×3, first 2 shown]
	s_or_b64 exec, exec, s[4:5]
	v_lshrrev_b32_e32 v1, 2, v1
	v_lshlrev_b32_e32 v13, 3, v0
	v_and_b32_e32 v1, 56, v1
	v_add_u32_e32 v1, v1, v13
	s_waitcnt vmcnt(0)
	ds_write_b64 v1, v[4:5] offset:1024
	v_lshrrev_b32_e32 v1, 2, v10
	v_and_b32_e32 v1, 0x78, v1
	v_add_u32_e32 v1, v1, v13
	ds_write_b64 v1, v[6:7] offset:2048
	v_lshrrev_b32_e32 v1, 2, v11
	v_and_b32_e32 v12, 24, v18
	v_and_b32_e32 v1, 0x78, v1
	v_add_u32_e32 v12, v12, v13
	v_add_u32_e32 v1, v1, v13
	ds_write_b64 v12, v[2:3]
	ds_write_b64 v1, v[8:9] offset:3072
	s_waitcnt lgkmcnt(0)
	s_barrier
.LBB1703_16:
	v_lshlrev_b32_e32 v1, 2, v0
	v_lshrrev_b32_e32 v2, 3, v0
	v_add_lshl_u32 v19, v2, v1, 3
	ds_read2_b64 v[14:17], v19 offset1:1
	ds_read2_b64 v[10:13], v19 offset0:2 offset1:3
	s_add_u32 s4, s14, s36
	s_addc_u32 s5, s15, s37
	s_add_u32 s4, s4, s8
	s_addc_u32 s5, s5, s9
	s_mov_b64 s[8:9], -1
	s_and_b64 vcc, exec, s[34:35]
	s_waitcnt lgkmcnt(0)
	s_barrier
	s_cbranch_vccz .LBB1703_18
; %bb.17:
	v_lshlrev_b32_e32 v20, 3, v0
	global_load_dwordx2 v[2:3], v20, s[4:5]
	global_load_dwordx2 v[4:5], v20, s[4:5] offset:1024
	global_load_dwordx2 v[6:7], v20, s[4:5] offset:2048
	;; [unrolled: 1-line block ×3, first 2 shown]
	v_or_b32_e32 v22, 0x80, v0
	v_or_b32_e32 v23, 0x100, v0
	;; [unrolled: 1-line block ×3, first 2 shown]
	v_and_b32_e32 v21, 24, v18
	v_lshrrev_b32_e32 v22, 2, v22
	v_lshrrev_b32_e32 v23, 2, v23
	;; [unrolled: 1-line block ×3, first 2 shown]
	v_add_u32_e32 v21, v21, v20
	v_and_b32_e32 v22, 56, v22
	v_and_b32_e32 v23, 0x58, v23
	v_and_b32_e32 v24, 0x78, v24
	v_add_u32_e32 v22, v22, v20
	v_add_u32_e32 v23, v23, v20
	;; [unrolled: 1-line block ×3, first 2 shown]
	s_mov_b64 s[8:9], 0
	s_waitcnt vmcnt(3)
	ds_write_b64 v21, v[2:3]
	s_waitcnt vmcnt(2)
	ds_write_b64 v22, v[4:5] offset:1024
	s_waitcnt vmcnt(1)
	ds_write_b64 v23, v[6:7] offset:2048
	;; [unrolled: 2-line block ×3, first 2 shown]
	s_waitcnt lgkmcnt(0)
	s_barrier
.LBB1703_18:
	s_andn2_b64 vcc, exec, s[8:9]
	s_cbranch_vccnz .LBB1703_28
; %bb.19:
	v_cmp_gt_u32_e32 vcc, s48, v0
                                        ; implicit-def: $vgpr2_vgpr3
	s_and_saveexec_b64 s[8:9], vcc
	s_cbranch_execz .LBB1703_21
; %bb.20:
	v_lshlrev_b32_e32 v2, 3, v0
	global_load_dwordx2 v[2:3], v2, s[4:5]
.LBB1703_21:
	s_or_b64 exec, exec, s[8:9]
	v_or_b32_e32 v20, 0x80, v0
	v_cmp_gt_u32_e32 vcc, s48, v20
                                        ; implicit-def: $vgpr4_vgpr5
	s_and_saveexec_b64 s[8:9], vcc
	s_cbranch_execz .LBB1703_23
; %bb.22:
	v_lshlrev_b32_e32 v4, 3, v0
	global_load_dwordx2 v[4:5], v4, s[4:5] offset:1024
.LBB1703_23:
	s_or_b64 exec, exec, s[8:9]
	v_or_b32_e32 v21, 0x100, v0
	v_cmp_gt_u32_e32 vcc, s48, v21
                                        ; implicit-def: $vgpr6_vgpr7
	s_and_saveexec_b64 s[8:9], vcc
	s_cbranch_execz .LBB1703_25
; %bb.24:
	v_lshlrev_b32_e32 v6, 3, v0
	global_load_dwordx2 v[6:7], v6, s[4:5] offset:2048
.LBB1703_25:
	s_or_b64 exec, exec, s[8:9]
	v_or_b32_e32 v22, 0x180, v0
	v_cmp_gt_u32_e32 vcc, s48, v22
                                        ; implicit-def: $vgpr8_vgpr9
	s_and_saveexec_b64 s[8:9], vcc
	s_cbranch_execz .LBB1703_27
; %bb.26:
	v_lshlrev_b32_e32 v8, 3, v0
	global_load_dwordx2 v[8:9], v8, s[4:5] offset:3072
.LBB1703_27:
	s_or_b64 exec, exec, s[8:9]
	v_and_b32_e32 v18, 24, v18
	v_lshlrev_b32_e32 v23, 3, v0
	v_add_u32_e32 v18, v18, v23
	s_waitcnt vmcnt(0)
	ds_write_b64 v18, v[2:3]
	v_lshrrev_b32_e32 v2, 2, v20
	v_and_b32_e32 v2, 56, v2
	v_add_u32_e32 v2, v2, v23
	ds_write_b64 v2, v[4:5] offset:1024
	v_lshrrev_b32_e32 v2, 2, v21
	v_and_b32_e32 v2, 0x78, v2
	v_add_u32_e32 v2, v2, v23
	ds_write_b64 v2, v[6:7] offset:2048
	;; [unrolled: 4-line block ×3, first 2 shown]
	s_waitcnt lgkmcnt(0)
	s_barrier
.LBB1703_28:
	ds_read2_b64 v[6:9], v19 offset1:1
	ds_read2_b64 v[2:5], v19 offset0:2 offset1:3
	s_cmp_lg_u32 s33, 0
	s_cselect_b64 s[36:37], -1, 0
	s_cmp_lg_u64 s[10:11], 0
	s_cselect_b64 s[4:5], -1, 0
	s_or_b64 s[4:5], s[4:5], s[36:37]
	s_mov_b64 s[14:15], 0
	s_and_b64 vcc, exec, s[4:5]
	v_cmp_gt_i64_e64 s[4:5], s[26:27], 0
	s_waitcnt lgkmcnt(0)
	s_barrier
	s_cbranch_vccz .LBB1703_37
; %bb.29:
	v_mov_b32_e32 v18, 0
	global_load_dwordx2 v[18:19], v18, s[6:7] offset:-8
	v_cndmask_b32_e64 v20, 0, 1, s[4:5]
	v_lshlrev_b32_e32 v29, 3, v0
	s_mov_b64 s[10:11], 0
	s_and_b64 vcc, exec, s[34:35]
	v_cmp_ne_u32_e64 s[4:5], 1, v20
	ds_write_b64 v29, v[12:13]
	s_cbranch_vccz .LBB1703_38
; %bb.30:
	v_mul_lo_u32 v22, v11, s26
	v_mul_lo_u32 v23, v10, s27
	v_mad_u64_u32 v[20:21], s[6:7], v10, s26, 0
	v_add3_u32 v21, v21, v23, v22
	s_and_b64 vcc, exec, s[4:5]
	v_lshlrev_b64 v[20:21], 3, v[20:21]
	s_cbranch_vccnz .LBB1703_41
; %bb.31:
	v_mul_lo_u32 v24, v13, s26
	v_mul_lo_u32 v25, v12, s27
	v_mad_u64_u32 v[22:23], s[6:7], v12, s26, 0
	v_add3_u32 v23, v23, v25, v24
	v_mov_b32_e32 v25, s17
	v_add_co_u32_e32 v24, vcc, s16, v20
	v_addc_co_u32_e64 v25, s[6:7], v25, v21, vcc
	v_lshlrev_b64 v[22:23], 3, v[22:23]
	v_mov_b32_e32 v27, s17
	v_add_co_u32_e64 v26, s[6:7], s16, v22
	v_addc_co_u32_e64 v27, s[8:9], v27, v23, s[6:7]
	global_load_dwordx2 v[30:31], v[24:25], off
	global_load_dwordx2 v[32:33], v[26:27], off
	s_mov_b64 s[10:11], -1
	s_waitcnt vmcnt(0)
	v_cmp_eq_u64_e64 s[8:9], v[30:31], v[32:33]
	s_and_saveexec_b64 s[14:15], s[8:9]
	s_cbranch_execz .LBB1703_40
; %bb.32:
	v_mov_b32_e32 v22, s17
	v_addc_co_u32_e64 v23, s[6:7], v23, v22, s[6:7]
	v_add_co_u32_e64 v22, s[6:7], 8, v26
	v_mov_b32_e32 v25, s17
	v_addc_co_u32_e64 v23, s[6:7], 0, v23, s[6:7]
	v_addc_co_u32_e32 v25, vcc, v21, v25, vcc
	v_add_co_u32_e32 v24, vcc, 8, v24
	s_add_u32 s6, s26, -1
	v_addc_co_u32_e32 v25, vcc, 0, v25, vcc
	s_addc_u32 s7, s27, -1
	s_mov_b64 s[8:9], 0
	s_mov_b64 s[38:39], 0
                                        ; implicit-def: $sgpr10_sgpr11
	s_branch .LBB1703_35
.LBB1703_33:                            ;   in Loop: Header=BB1703_35 Depth=1
	global_load_dwordx2 v[26:27], v[24:25], off
	global_load_dwordx2 v[30:31], v[22:23], off
	v_add_co_u32_e32 v22, vcc, 8, v22
	v_addc_co_u32_e32 v23, vcc, 0, v23, vcc
	v_add_co_u32_e32 v24, vcc, 8, v24
	v_addc_co_u32_e32 v25, vcc, 0, v25, vcc
	s_add_u32 s38, s38, 1
	s_addc_u32 s39, s39, 0
	s_andn2_b64 s[10:11], s[10:11], exec
	s_waitcnt vmcnt(0)
	v_cmp_ne_u64_e32 vcc, v[26:27], v[30:31]
	s_and_b64 s[40:41], vcc, exec
	s_or_b64 s[10:11], s[10:11], s[40:41]
.LBB1703_34:                            ;   in Loop: Header=BB1703_35 Depth=1
	s_and_b64 s[40:41], exec, s[10:11]
	s_or_b64 s[8:9], s[40:41], s[8:9]
	v_pk_mov_b32 v[26:27], s[38:39], s[38:39] op_sel:[0,1]
	s_andn2_b64 exec, exec, s[8:9]
	s_cbranch_execz .LBB1703_39
.LBB1703_35:                            ; =>This Inner Loop Header: Depth=1
	s_or_b64 s[10:11], s[10:11], exec
	s_cmp_eq_u64 s[6:7], s[38:39]
	s_cbranch_scc0 .LBB1703_33
; %bb.36:                               ;   in Loop: Header=BB1703_35 Depth=1
                                        ; implicit-def: $vgpr22_vgpr23
                                        ; implicit-def: $vgpr24_vgpr25
	s_mov_b64 s[38:39], s[26:27]
	s_branch .LBB1703_34
.LBB1703_37:
                                        ; implicit-def: $sgpr38_sgpr39
                                        ; implicit-def: $vgpr28
	s_branch .LBB1703_119
.LBB1703_38:
                                        ; implicit-def: $sgpr38_sgpr39
                                        ; implicit-def: $vgpr28
	s_cbranch_execnz .LBB1703_71
	s_branch .LBB1703_118
.LBB1703_39:
	s_or_b64 exec, exec, s[8:9]
	v_cmp_gt_i64_e32 vcc, s[26:27], v[26:27]
	s_orn2_b64 s[10:11], vcc, exec
.LBB1703_40:
	s_or_b64 exec, exec, s[14:15]
.LBB1703_41:
	v_mul_lo_u32 v24, v17, s26
	v_mul_lo_u32 v25, v16, s27
	v_mad_u64_u32 v[22:23], s[6:7], v16, s26, 0
	v_add3_u32 v23, v23, v25, v24
	s_mov_b64 s[14:15], 0
	s_and_b64 vcc, exec, s[4:5]
	v_lshlrev_b64 v[22:23], 3, v[22:23]
	s_mov_b64 s[38:39], 0
	s_cbranch_vccnz .LBB1703_50
; %bb.42:
	v_mov_b32_e32 v25, s17
	v_add_co_u32_e32 v24, vcc, s16, v22
	v_addc_co_u32_e64 v25, s[6:7], v25, v23, vcc
	v_mov_b32_e32 v27, s17
	v_add_co_u32_e64 v26, s[6:7], s16, v20
	v_addc_co_u32_e64 v27, s[8:9], v27, v21, s[6:7]
	global_load_dwordx2 v[30:31], v[24:25], off
	global_load_dwordx2 v[32:33], v[26:27], off
	s_mov_b64 s[38:39], -1
	s_waitcnt vmcnt(0)
	v_cmp_eq_u64_e64 s[8:9], v[30:31], v[32:33]
	s_and_saveexec_b64 s[40:41], s[8:9]
	s_cbranch_execz .LBB1703_49
; %bb.43:
	v_mov_b32_e32 v20, s17
	v_addc_co_u32_e64 v21, s[6:7], v21, v20, s[6:7]
	v_add_co_u32_e64 v20, s[6:7], 8, v26
	v_mov_b32_e32 v25, s17
	v_addc_co_u32_e64 v21, s[6:7], 0, v21, s[6:7]
	v_addc_co_u32_e32 v25, vcc, v23, v25, vcc
	v_add_co_u32_e32 v24, vcc, 8, v24
	s_add_u32 s6, s26, -1
	v_addc_co_u32_e32 v25, vcc, 0, v25, vcc
	s_addc_u32 s7, s27, -1
	s_mov_b64 s[8:9], 0
	s_mov_b64 s[42:43], 0
                                        ; implicit-def: $sgpr38_sgpr39
	s_branch .LBB1703_46
.LBB1703_44:                            ;   in Loop: Header=BB1703_46 Depth=1
	global_load_dwordx2 v[26:27], v[24:25], off
	global_load_dwordx2 v[30:31], v[20:21], off
	v_add_co_u32_e32 v20, vcc, 8, v20
	v_addc_co_u32_e32 v21, vcc, 0, v21, vcc
	v_add_co_u32_e32 v24, vcc, 8, v24
	v_addc_co_u32_e32 v25, vcc, 0, v25, vcc
	s_add_u32 s42, s42, 1
	s_addc_u32 s43, s43, 0
	s_andn2_b64 s[38:39], s[38:39], exec
	s_waitcnt vmcnt(0)
	v_cmp_ne_u64_e32 vcc, v[26:27], v[30:31]
	s_and_b64 s[44:45], vcc, exec
	s_or_b64 s[38:39], s[38:39], s[44:45]
.LBB1703_45:                            ;   in Loop: Header=BB1703_46 Depth=1
	s_and_b64 s[44:45], exec, s[38:39]
	s_or_b64 s[8:9], s[44:45], s[8:9]
	v_pk_mov_b32 v[26:27], s[42:43], s[42:43] op_sel:[0,1]
	s_andn2_b64 exec, exec, s[8:9]
	s_cbranch_execz .LBB1703_48
.LBB1703_46:                            ; =>This Inner Loop Header: Depth=1
	s_or_b64 s[38:39], s[38:39], exec
	s_cmp_eq_u64 s[6:7], s[42:43]
	s_cbranch_scc0 .LBB1703_44
; %bb.47:                               ;   in Loop: Header=BB1703_46 Depth=1
                                        ; implicit-def: $vgpr20_vgpr21
                                        ; implicit-def: $vgpr24_vgpr25
	s_mov_b64 s[42:43], s[26:27]
	s_branch .LBB1703_45
.LBB1703_48:
	s_or_b64 exec, exec, s[8:9]
	v_cmp_gt_i64_e32 vcc, s[26:27], v[26:27]
	s_orn2_b64 s[38:39], vcc, exec
.LBB1703_49:
	s_or_b64 exec, exec, s[40:41]
.LBB1703_50:
	v_mul_lo_u32 v24, v15, s26
	v_mul_lo_u32 v25, v14, s27
	v_mad_u64_u32 v[20:21], s[6:7], v14, s26, 0
	v_add3_u32 v21, v21, v25, v24
	s_and_b64 vcc, exec, s[4:5]
	v_lshlrev_b64 v[20:21], 3, v[20:21]
	s_cbranch_vccnz .LBB1703_59
; %bb.51:
	v_mov_b32_e32 v25, s17
	v_add_co_u32_e32 v24, vcc, s16, v20
	v_addc_co_u32_e64 v25, s[6:7], v25, v21, vcc
	v_mov_b32_e32 v27, s17
	v_add_co_u32_e64 v26, s[6:7], s16, v22
	v_addc_co_u32_e64 v27, s[8:9], v27, v23, s[6:7]
	global_load_dwordx2 v[30:31], v[24:25], off
	global_load_dwordx2 v[32:33], v[26:27], off
	s_mov_b64 s[14:15], -1
	s_waitcnt vmcnt(0)
	v_cmp_eq_u64_e64 s[8:9], v[30:31], v[32:33]
	s_and_saveexec_b64 s[40:41], s[8:9]
	s_cbranch_execz .LBB1703_58
; %bb.52:
	v_mov_b32_e32 v22, s17
	v_addc_co_u32_e64 v23, s[6:7], v23, v22, s[6:7]
	v_add_co_u32_e64 v22, s[6:7], 8, v26
	v_mov_b32_e32 v25, s17
	v_addc_co_u32_e64 v23, s[6:7], 0, v23, s[6:7]
	v_addc_co_u32_e32 v25, vcc, v21, v25, vcc
	v_add_co_u32_e32 v24, vcc, 8, v24
	s_add_u32 s6, s26, -1
	v_addc_co_u32_e32 v25, vcc, 0, v25, vcc
	s_addc_u32 s7, s27, -1
	s_mov_b64 s[8:9], 0
	s_mov_b64 s[42:43], 0
                                        ; implicit-def: $sgpr14_sgpr15
	s_branch .LBB1703_55
.LBB1703_53:                            ;   in Loop: Header=BB1703_55 Depth=1
	global_load_dwordx2 v[26:27], v[24:25], off
	global_load_dwordx2 v[30:31], v[22:23], off
	v_add_co_u32_e32 v22, vcc, 8, v22
	v_addc_co_u32_e32 v23, vcc, 0, v23, vcc
	v_add_co_u32_e32 v24, vcc, 8, v24
	v_addc_co_u32_e32 v25, vcc, 0, v25, vcc
	s_add_u32 s42, s42, 1
	s_addc_u32 s43, s43, 0
	s_andn2_b64 s[14:15], s[14:15], exec
	s_waitcnt vmcnt(0)
	v_cmp_ne_u64_e32 vcc, v[26:27], v[30:31]
	s_and_b64 s[44:45], vcc, exec
	s_or_b64 s[14:15], s[14:15], s[44:45]
.LBB1703_54:                            ;   in Loop: Header=BB1703_55 Depth=1
	s_and_b64 s[44:45], exec, s[14:15]
	s_or_b64 s[8:9], s[44:45], s[8:9]
	v_pk_mov_b32 v[26:27], s[42:43], s[42:43] op_sel:[0,1]
	s_andn2_b64 exec, exec, s[8:9]
	s_cbranch_execz .LBB1703_57
.LBB1703_55:                            ; =>This Inner Loop Header: Depth=1
	s_or_b64 s[14:15], s[14:15], exec
	s_cmp_eq_u64 s[6:7], s[42:43]
	s_cbranch_scc0 .LBB1703_53
; %bb.56:                               ;   in Loop: Header=BB1703_55 Depth=1
                                        ; implicit-def: $vgpr22_vgpr23
                                        ; implicit-def: $vgpr24_vgpr25
	s_mov_b64 s[42:43], s[26:27]
	s_branch .LBB1703_54
.LBB1703_57:
	s_or_b64 exec, exec, s[8:9]
	v_cmp_gt_i64_e32 vcc, s[26:27], v[26:27]
	s_orn2_b64 s[14:15], vcc, exec
.LBB1703_58:
	s_or_b64 exec, exec, s[40:41]
.LBB1703_59:
	s_waitcnt vmcnt(0)
	v_pk_mov_b32 v[22:23], v[18:19], v[18:19] op_sel:[0,1]
	s_waitcnt lgkmcnt(0)
	s_barrier
	s_and_saveexec_b64 s[6:7], s[2:3]
	s_cbranch_execz .LBB1703_61
; %bb.60:
	v_add_u32_e32 v22, -8, v29
	ds_read_b64 v[22:23], v22
.LBB1703_61:
	s_or_b64 exec, exec, s[6:7]
	v_cndmask_b32_e64 v25, 0, 1, s[10:11]
	v_cndmask_b32_e64 v24, 0, 1, s[38:39]
	;; [unrolled: 1-line block ×3, first 2 shown]
	v_lshlrev_b16_e32 v25, 8, v25
	v_lshlrev_b16_e32 v28, 8, v26
	v_or_b32_sdwa v30, v24, v25 dst_sel:WORD_1 dst_unused:UNUSED_PAD src0_sel:DWORD src1_sel:DWORD
	s_mov_b64 s[10:11], 0
	s_and_b64 vcc, exec, s[4:5]
	s_mov_b64 s[38:39], 0
	s_cbranch_vccnz .LBB1703_70
; %bb.62:
	s_waitcnt lgkmcnt(0)
	v_mul_lo_u32 v24, v23, s26
	v_mul_lo_u32 v25, v22, s27
	v_mad_u64_u32 v[22:23], s[6:7], v22, s26, 0
	v_add3_u32 v23, v23, v25, v24
	v_lshlrev_b64 v[22:23], 3, v[22:23]
	v_mov_b32_e32 v25, s17
	v_add_co_u32_e32 v24, vcc, s16, v22
	v_addc_co_u32_e64 v25, s[6:7], v25, v23, vcc
	v_mov_b32_e32 v22, s17
	v_add_co_u32_e64 v26, s[6:7], s16, v20
	v_addc_co_u32_e64 v27, s[8:9], v22, v21, s[6:7]
	global_load_dwordx2 v[32:33], v[24:25], off
	global_load_dwordx2 v[34:35], v[26:27], off
	s_mov_b64 s[38:39], -1
	s_waitcnt vmcnt(0)
	v_cmp_eq_u64_e64 s[8:9], v[32:33], v[34:35]
	s_and_saveexec_b64 s[14:15], s[8:9]
	s_cbranch_execz .LBB1703_69
; %bb.63:
	v_mov_b32_e32 v20, s17
	v_addc_co_u32_e64 v21, s[6:7], v21, v20, s[6:7]
	v_add_co_u32_e64 v20, s[6:7], 8, v26
	v_mov_b32_e32 v22, s17
	v_addc_co_u32_e64 v21, s[6:7], 0, v21, s[6:7]
	v_addc_co_u32_e32 v23, vcc, v23, v22, vcc
	v_add_co_u32_e32 v22, vcc, 8, v24
	s_add_u32 s6, s26, -1
	v_addc_co_u32_e32 v23, vcc, 0, v23, vcc
	s_addc_u32 s7, s27, -1
	s_mov_b64 s[8:9], 0
	s_mov_b64 s[40:41], 0
                                        ; implicit-def: $sgpr38_sgpr39
	s_branch .LBB1703_66
.LBB1703_64:                            ;   in Loop: Header=BB1703_66 Depth=1
	global_load_dwordx2 v[24:25], v[22:23], off
	global_load_dwordx2 v[26:27], v[20:21], off
	v_add_co_u32_e32 v20, vcc, 8, v20
	v_addc_co_u32_e32 v21, vcc, 0, v21, vcc
	v_add_co_u32_e32 v22, vcc, 8, v22
	v_addc_co_u32_e32 v23, vcc, 0, v23, vcc
	s_add_u32 s40, s40, 1
	s_addc_u32 s41, s41, 0
	s_andn2_b64 s[38:39], s[38:39], exec
	s_waitcnt vmcnt(0)
	v_cmp_ne_u64_e32 vcc, v[24:25], v[26:27]
	s_and_b64 s[42:43], vcc, exec
	s_or_b64 s[38:39], s[38:39], s[42:43]
.LBB1703_65:                            ;   in Loop: Header=BB1703_66 Depth=1
	s_and_b64 s[42:43], exec, s[38:39]
	s_or_b64 s[8:9], s[42:43], s[8:9]
	v_pk_mov_b32 v[24:25], s[40:41], s[40:41] op_sel:[0,1]
	s_andn2_b64 exec, exec, s[8:9]
	s_cbranch_execz .LBB1703_68
.LBB1703_66:                            ; =>This Inner Loop Header: Depth=1
	s_or_b64 s[38:39], s[38:39], exec
	s_cmp_eq_u64 s[6:7], s[40:41]
	s_cbranch_scc0 .LBB1703_64
; %bb.67:                               ;   in Loop: Header=BB1703_66 Depth=1
                                        ; implicit-def: $vgpr20_vgpr21
                                        ; implicit-def: $vgpr22_vgpr23
	s_mov_b64 s[40:41], s[26:27]
	s_branch .LBB1703_65
.LBB1703_68:
	s_or_b64 exec, exec, s[8:9]
	v_cmp_gt_i64_e32 vcc, s[26:27], v[24:25]
	s_orn2_b64 s[38:39], vcc, exec
.LBB1703_69:
	s_or_b64 exec, exec, s[14:15]
.LBB1703_70:
	v_or_b32_e32 v28, v28, v30
	s_and_b64 vcc, exec, s[10:11]
	s_cbranch_vccz .LBB1703_118
.LBB1703_71:
	v_or_b32_e32 v20, 3, v1
	v_cmp_gt_u32_e32 vcc, s48, v20
	s_mov_b64 s[14:15], 0
	s_mov_b64 s[10:11], 0
	s_and_saveexec_b64 s[38:39], vcc
	s_cbranch_execz .LBB1703_82
; %bb.72:
	s_and_b64 vcc, exec, s[4:5]
	s_mov_b64 s[40:41], 0
	s_cbranch_vccnz .LBB1703_81
; %bb.73:
	s_waitcnt lgkmcnt(0)
	v_mul_lo_u32 v22, v11, s26
	v_mul_lo_u32 v23, v10, s27
	v_mad_u64_u32 v[20:21], s[6:7], v10, s26, 0
	v_add3_u32 v21, v21, v23, v22
	v_mul_lo_u32 v22, v13, s26
	v_mul_lo_u32 v23, v12, s27
	v_mad_u64_u32 v[26:27], s[6:7], v12, s26, 0
	v_add3_u32 v27, v27, v23, v22
	v_lshlrev_b64 v[22:23], 3, v[20:21]
	v_mov_b32_e32 v20, s17
	v_add_co_u32_e32 v24, vcc, s16, v22
	v_addc_co_u32_e64 v25, s[6:7], v20, v23, vcc
	v_lshlrev_b64 v[20:21], 3, v[26:27]
	v_mov_b32_e32 v22, s17
	v_add_co_u32_e64 v26, s[6:7], s16, v20
	v_addc_co_u32_e64 v27, s[8:9], v22, v21, s[6:7]
	global_load_dwordx2 v[30:31], v[24:25], off
	global_load_dwordx2 v[32:33], v[26:27], off
	s_mov_b64 s[40:41], -1
	s_waitcnt vmcnt(0)
	v_cmp_eq_u64_e64 s[8:9], v[30:31], v[32:33]
	s_and_saveexec_b64 s[10:11], s[8:9]
	s_cbranch_execz .LBB1703_80
; %bb.74:
	v_mov_b32_e32 v20, s17
	v_addc_co_u32_e64 v21, s[6:7], v21, v20, s[6:7]
	v_add_co_u32_e64 v20, s[6:7], 8, v26
	v_mov_b32_e32 v22, s17
	v_addc_co_u32_e64 v21, s[6:7], 0, v21, s[6:7]
	v_addc_co_u32_e32 v23, vcc, v23, v22, vcc
	v_add_co_u32_e32 v22, vcc, 8, v24
	s_add_u32 s6, s26, -1
	v_addc_co_u32_e32 v23, vcc, 0, v23, vcc
	s_addc_u32 s7, s27, -1
	s_mov_b64 s[8:9], 0
	s_mov_b64 s[42:43], 0
                                        ; implicit-def: $sgpr40_sgpr41
	s_branch .LBB1703_77
.LBB1703_75:                            ;   in Loop: Header=BB1703_77 Depth=1
	global_load_dwordx2 v[24:25], v[22:23], off
	global_load_dwordx2 v[26:27], v[20:21], off
	v_add_co_u32_e32 v20, vcc, 8, v20
	v_addc_co_u32_e32 v21, vcc, 0, v21, vcc
	v_add_co_u32_e32 v22, vcc, 8, v22
	v_addc_co_u32_e32 v23, vcc, 0, v23, vcc
	s_add_u32 s42, s42, 1
	s_addc_u32 s43, s43, 0
	s_andn2_b64 s[40:41], s[40:41], exec
	s_waitcnt vmcnt(0)
	v_cmp_ne_u64_e32 vcc, v[24:25], v[26:27]
	s_and_b64 s[44:45], vcc, exec
	s_or_b64 s[40:41], s[40:41], s[44:45]
.LBB1703_76:                            ;   in Loop: Header=BB1703_77 Depth=1
	s_and_b64 s[44:45], exec, s[40:41]
	s_or_b64 s[8:9], s[44:45], s[8:9]
	v_pk_mov_b32 v[24:25], s[42:43], s[42:43] op_sel:[0,1]
	s_andn2_b64 exec, exec, s[8:9]
	s_cbranch_execz .LBB1703_79
.LBB1703_77:                            ; =>This Inner Loop Header: Depth=1
	s_or_b64 s[40:41], s[40:41], exec
	s_cmp_eq_u64 s[6:7], s[42:43]
	s_cbranch_scc0 .LBB1703_75
; %bb.78:                               ;   in Loop: Header=BB1703_77 Depth=1
                                        ; implicit-def: $vgpr20_vgpr21
                                        ; implicit-def: $vgpr22_vgpr23
	s_mov_b64 s[42:43], s[26:27]
	s_branch .LBB1703_76
.LBB1703_79:
	s_or_b64 exec, exec, s[8:9]
	v_cmp_gt_i64_e32 vcc, s[26:27], v[24:25]
	s_orn2_b64 s[40:41], vcc, exec
.LBB1703_80:
	s_or_b64 exec, exec, s[10:11]
.LBB1703_81:
	s_and_b64 s[10:11], s[40:41], exec
.LBB1703_82:
	s_or_b64 exec, exec, s[38:39]
	v_or_b32_e32 v20, 2, v1
	v_cmp_gt_u32_e32 vcc, s48, v20
	s_and_saveexec_b64 s[38:39], vcc
	s_cbranch_execz .LBB1703_93
; %bb.83:
	s_and_b64 vcc, exec, s[4:5]
	s_mov_b64 s[40:41], 0
	s_cbranch_vccnz .LBB1703_92
; %bb.84:
	s_waitcnt lgkmcnt(0)
	v_mul_lo_u32 v22, v17, s26
	v_mul_lo_u32 v23, v16, s27
	v_mad_u64_u32 v[20:21], s[6:7], v16, s26, 0
	v_add3_u32 v21, v21, v23, v22
	v_mul_lo_u32 v22, v11, s26
	v_mul_lo_u32 v23, v10, s27
	v_mad_u64_u32 v[26:27], s[6:7], v10, s26, 0
	v_add3_u32 v27, v27, v23, v22
	v_lshlrev_b64 v[22:23], 3, v[20:21]
	v_mov_b32_e32 v20, s17
	v_add_co_u32_e32 v24, vcc, s16, v22
	v_addc_co_u32_e64 v25, s[6:7], v20, v23, vcc
	v_lshlrev_b64 v[20:21], 3, v[26:27]
	v_mov_b32_e32 v22, s17
	v_add_co_u32_e64 v26, s[6:7], s16, v20
	v_addc_co_u32_e64 v27, s[8:9], v22, v21, s[6:7]
	global_load_dwordx2 v[30:31], v[24:25], off
	global_load_dwordx2 v[32:33], v[26:27], off
	s_mov_b64 s[40:41], -1
	s_waitcnt vmcnt(0)
	v_cmp_eq_u64_e64 s[8:9], v[30:31], v[32:33]
	s_and_saveexec_b64 s[14:15], s[8:9]
	s_cbranch_execz .LBB1703_91
; %bb.85:
	v_mov_b32_e32 v20, s17
	v_addc_co_u32_e64 v21, s[6:7], v21, v20, s[6:7]
	v_add_co_u32_e64 v20, s[6:7], 8, v26
	v_mov_b32_e32 v22, s17
	v_addc_co_u32_e64 v21, s[6:7], 0, v21, s[6:7]
	v_addc_co_u32_e32 v23, vcc, v23, v22, vcc
	v_add_co_u32_e32 v22, vcc, 8, v24
	s_add_u32 s6, s26, -1
	v_addc_co_u32_e32 v23, vcc, 0, v23, vcc
	s_addc_u32 s7, s27, -1
	s_mov_b64 s[8:9], 0
	s_mov_b64 s[42:43], 0
                                        ; implicit-def: $sgpr40_sgpr41
	s_branch .LBB1703_88
.LBB1703_86:                            ;   in Loop: Header=BB1703_88 Depth=1
	global_load_dwordx2 v[24:25], v[22:23], off
	global_load_dwordx2 v[26:27], v[20:21], off
	v_add_co_u32_e32 v20, vcc, 8, v20
	v_addc_co_u32_e32 v21, vcc, 0, v21, vcc
	v_add_co_u32_e32 v22, vcc, 8, v22
	v_addc_co_u32_e32 v23, vcc, 0, v23, vcc
	s_add_u32 s42, s42, 1
	s_addc_u32 s43, s43, 0
	s_andn2_b64 s[40:41], s[40:41], exec
	s_waitcnt vmcnt(0)
	v_cmp_ne_u64_e32 vcc, v[24:25], v[26:27]
	s_and_b64 s[44:45], vcc, exec
	s_or_b64 s[40:41], s[40:41], s[44:45]
.LBB1703_87:                            ;   in Loop: Header=BB1703_88 Depth=1
	s_and_b64 s[44:45], exec, s[40:41]
	s_or_b64 s[8:9], s[44:45], s[8:9]
	v_pk_mov_b32 v[24:25], s[42:43], s[42:43] op_sel:[0,1]
	s_andn2_b64 exec, exec, s[8:9]
	s_cbranch_execz .LBB1703_90
.LBB1703_88:                            ; =>This Inner Loop Header: Depth=1
	s_or_b64 s[40:41], s[40:41], exec
	s_cmp_eq_u64 s[6:7], s[42:43]
	s_cbranch_scc0 .LBB1703_86
; %bb.89:                               ;   in Loop: Header=BB1703_88 Depth=1
                                        ; implicit-def: $vgpr20_vgpr21
                                        ; implicit-def: $vgpr22_vgpr23
	s_mov_b64 s[42:43], s[26:27]
	s_branch .LBB1703_87
.LBB1703_90:
	s_or_b64 exec, exec, s[8:9]
	v_cmp_gt_i64_e32 vcc, s[26:27], v[24:25]
	s_orn2_b64 s[40:41], vcc, exec
.LBB1703_91:
	s_or_b64 exec, exec, s[14:15]
.LBB1703_92:
	s_and_b64 s[14:15], s[40:41], exec
.LBB1703_93:
	s_or_b64 exec, exec, s[38:39]
	v_or_b32_e32 v20, 1, v1
	v_cmp_gt_u32_e32 vcc, s48, v20
	s_mov_b64 s[6:7], 0
	s_and_saveexec_b64 s[38:39], vcc
	s_cbranch_execz .LBB1703_104
; %bb.94:
	s_and_b64 vcc, exec, s[4:5]
	s_mov_b64 s[42:43], 0
	s_cbranch_vccnz .LBB1703_103
; %bb.95:
	s_waitcnt lgkmcnt(0)
	v_mul_lo_u32 v22, v15, s26
	v_mul_lo_u32 v23, v14, s27
	v_mad_u64_u32 v[20:21], s[6:7], v14, s26, 0
	v_add3_u32 v21, v21, v23, v22
	v_mul_lo_u32 v22, v17, s26
	v_mul_lo_u32 v23, v16, s27
	v_mad_u64_u32 v[26:27], s[6:7], v16, s26, 0
	v_add3_u32 v27, v27, v23, v22
	v_lshlrev_b64 v[22:23], 3, v[20:21]
	v_mov_b32_e32 v20, s17
	v_add_co_u32_e32 v24, vcc, s16, v22
	v_addc_co_u32_e64 v25, s[6:7], v20, v23, vcc
	v_lshlrev_b64 v[20:21], 3, v[26:27]
	v_mov_b32_e32 v22, s17
	v_add_co_u32_e64 v26, s[6:7], s16, v20
	v_addc_co_u32_e64 v27, s[8:9], v22, v21, s[6:7]
	global_load_dwordx2 v[30:31], v[24:25], off
	global_load_dwordx2 v[32:33], v[26:27], off
	s_mov_b64 s[42:43], -1
	s_waitcnt vmcnt(0)
	v_cmp_eq_u64_e64 s[8:9], v[30:31], v[32:33]
	s_and_saveexec_b64 s[40:41], s[8:9]
	s_cbranch_execz .LBB1703_102
; %bb.96:
	v_mov_b32_e32 v20, s17
	v_addc_co_u32_e64 v21, s[6:7], v21, v20, s[6:7]
	v_add_co_u32_e64 v20, s[6:7], 8, v26
	v_mov_b32_e32 v22, s17
	v_addc_co_u32_e64 v21, s[6:7], 0, v21, s[6:7]
	v_addc_co_u32_e32 v23, vcc, v23, v22, vcc
	v_add_co_u32_e32 v22, vcc, 8, v24
	s_add_u32 s6, s26, -1
	v_addc_co_u32_e32 v23, vcc, 0, v23, vcc
	s_addc_u32 s7, s27, -1
	s_mov_b64 s[8:9], 0
	s_mov_b64 s[44:45], 0
                                        ; implicit-def: $sgpr42_sgpr43
	s_branch .LBB1703_99
.LBB1703_97:                            ;   in Loop: Header=BB1703_99 Depth=1
	global_load_dwordx2 v[24:25], v[22:23], off
	global_load_dwordx2 v[26:27], v[20:21], off
	v_add_co_u32_e32 v20, vcc, 8, v20
	v_addc_co_u32_e32 v21, vcc, 0, v21, vcc
	v_add_co_u32_e32 v22, vcc, 8, v22
	v_addc_co_u32_e32 v23, vcc, 0, v23, vcc
	s_add_u32 s44, s44, 1
	s_addc_u32 s45, s45, 0
	s_andn2_b64 s[42:43], s[42:43], exec
	s_waitcnt vmcnt(0)
	v_cmp_ne_u64_e32 vcc, v[24:25], v[26:27]
	s_and_b64 s[46:47], vcc, exec
	s_or_b64 s[42:43], s[42:43], s[46:47]
.LBB1703_98:                            ;   in Loop: Header=BB1703_99 Depth=1
	s_and_b64 s[46:47], exec, s[42:43]
	s_or_b64 s[8:9], s[46:47], s[8:9]
	v_pk_mov_b32 v[24:25], s[44:45], s[44:45] op_sel:[0,1]
	s_andn2_b64 exec, exec, s[8:9]
	s_cbranch_execz .LBB1703_101
.LBB1703_99:                            ; =>This Inner Loop Header: Depth=1
	s_or_b64 s[42:43], s[42:43], exec
	s_cmp_eq_u64 s[6:7], s[44:45]
	s_cbranch_scc0 .LBB1703_97
; %bb.100:                              ;   in Loop: Header=BB1703_99 Depth=1
                                        ; implicit-def: $vgpr20_vgpr21
                                        ; implicit-def: $vgpr22_vgpr23
	s_mov_b64 s[44:45], s[26:27]
	s_branch .LBB1703_98
.LBB1703_101:
	s_or_b64 exec, exec, s[8:9]
	v_cmp_gt_i64_e32 vcc, s[26:27], v[24:25]
	s_orn2_b64 s[42:43], vcc, exec
.LBB1703_102:
	s_or_b64 exec, exec, s[40:41]
.LBB1703_103:
	s_and_b64 s[6:7], s[42:43], exec
.LBB1703_104:
	s_or_b64 exec, exec, s[38:39]
	s_waitcnt lgkmcnt(0)
	s_barrier
	s_and_saveexec_b64 s[8:9], s[2:3]
	s_cbranch_execz .LBB1703_106
; %bb.105:
	s_waitcnt vmcnt(0)
	v_add_u32_e32 v18, -8, v29
	ds_read_b64 v[18:19], v18
.LBB1703_106:
	s_or_b64 exec, exec, s[8:9]
	v_cndmask_b32_e64 v21, 0, 1, s[10:11]
	v_cndmask_b32_e64 v20, 0, 1, s[14:15]
	;; [unrolled: 1-line block ×3, first 2 shown]
	v_lshlrev_b16_e32 v21, 8, v21
	v_lshlrev_b16_e32 v26, 8, v22
	v_or_b32_sdwa v27, v20, v21 dst_sel:WORD_1 dst_unused:UNUSED_PAD src0_sel:DWORD src1_sel:DWORD
	v_cmp_gt_u32_e32 vcc, s48, v1
	s_mov_b64 s[38:39], 0
	s_and_saveexec_b64 s[8:9], vcc
	s_cbranch_execz .LBB1703_117
; %bb.107:
	s_and_b64 vcc, exec, s[4:5]
	s_mov_b64 s[14:15], 0
	s_cbranch_vccnz .LBB1703_116
; %bb.108:
	s_waitcnt vmcnt(0) lgkmcnt(0)
	v_mul_lo_u32 v20, v19, s26
	v_mul_lo_u32 v21, v18, s27
	v_mad_u64_u32 v[18:19], s[4:5], v18, s26, 0
	v_add3_u32 v19, v19, v21, v20
	v_mul_lo_u32 v20, v15, s26
	v_mul_lo_u32 v21, v14, s27
	v_mad_u64_u32 v[24:25], s[4:5], v14, s26, 0
	v_add3_u32 v25, v25, v21, v20
	v_lshlrev_b64 v[20:21], 3, v[18:19]
	v_mov_b32_e32 v18, s17
	v_add_co_u32_e32 v22, vcc, s16, v20
	v_addc_co_u32_e64 v23, s[4:5], v18, v21, vcc
	v_lshlrev_b64 v[18:19], 3, v[24:25]
	v_mov_b32_e32 v20, s17
	v_add_co_u32_e64 v24, s[4:5], s16, v18
	v_addc_co_u32_e64 v25, s[6:7], v20, v19, s[4:5]
	global_load_dwordx2 v[28:29], v[22:23], off
	global_load_dwordx2 v[30:31], v[24:25], off
	s_mov_b64 s[14:15], -1
	s_waitcnt vmcnt(0)
	v_cmp_eq_u64_e64 s[6:7], v[28:29], v[30:31]
	s_and_saveexec_b64 s[10:11], s[6:7]
	s_cbranch_execz .LBB1703_115
; %bb.109:
	v_mov_b32_e32 v18, s17
	v_addc_co_u32_e64 v19, s[4:5], v19, v18, s[4:5]
	v_add_co_u32_e64 v18, s[4:5], 8, v24
	v_mov_b32_e32 v20, s17
	v_addc_co_u32_e64 v19, s[4:5], 0, v19, s[4:5]
	v_addc_co_u32_e32 v21, vcc, v21, v20, vcc
	v_add_co_u32_e32 v20, vcc, 8, v22
	s_add_u32 s4, s26, -1
	v_addc_co_u32_e32 v21, vcc, 0, v21, vcc
	s_addc_u32 s5, s27, -1
	s_mov_b64 s[6:7], 0
                                        ; implicit-def: $sgpr14_sgpr15
	s_branch .LBB1703_112
.LBB1703_110:                           ;   in Loop: Header=BB1703_112 Depth=1
	global_load_dwordx2 v[22:23], v[20:21], off
	global_load_dwordx2 v[24:25], v[18:19], off
	v_add_co_u32_e32 v18, vcc, 8, v18
	v_addc_co_u32_e32 v19, vcc, 0, v19, vcc
	v_add_co_u32_e32 v20, vcc, 8, v20
	v_addc_co_u32_e32 v21, vcc, 0, v21, vcc
	s_add_u32 s38, s38, 1
	s_addc_u32 s39, s39, 0
	s_andn2_b64 s[14:15], s[14:15], exec
	s_waitcnt vmcnt(0)
	v_cmp_ne_u64_e32 vcc, v[22:23], v[24:25]
	s_and_b64 s[40:41], vcc, exec
	s_or_b64 s[14:15], s[14:15], s[40:41]
.LBB1703_111:                           ;   in Loop: Header=BB1703_112 Depth=1
	s_and_b64 s[40:41], exec, s[14:15]
	s_or_b64 s[6:7], s[40:41], s[6:7]
	v_pk_mov_b32 v[22:23], s[38:39], s[38:39] op_sel:[0,1]
	s_andn2_b64 exec, exec, s[6:7]
	s_cbranch_execz .LBB1703_114
.LBB1703_112:                           ; =>This Inner Loop Header: Depth=1
	s_or_b64 s[14:15], s[14:15], exec
	s_cmp_eq_u64 s[4:5], s[38:39]
	s_cbranch_scc0 .LBB1703_110
; %bb.113:                              ;   in Loop: Header=BB1703_112 Depth=1
                                        ; implicit-def: $vgpr18_vgpr19
                                        ; implicit-def: $vgpr20_vgpr21
	s_mov_b64 s[38:39], s[26:27]
	s_branch .LBB1703_111
.LBB1703_114:
	s_or_b64 exec, exec, s[6:7]
	v_cmp_gt_i64_e32 vcc, s[26:27], v[22:23]
	s_orn2_b64 s[14:15], vcc, exec
.LBB1703_115:
	s_or_b64 exec, exec, s[10:11]
.LBB1703_116:
	s_and_b64 s[38:39], s[14:15], exec
.LBB1703_117:
	s_or_b64 exec, exec, s[8:9]
	v_or_b32_e32 v28, v26, v27
.LBB1703_118:
	s_mov_b64 s[14:15], -1
	s_cbranch_execnz .LBB1703_207
.LBB1703_119:
	v_lshlrev_b32_e32 v29, 3, v0
	s_mov_b64 s[38:39], 0
	v_cmp_gt_i64_e64 s[10:11], s[26:27], 0
	s_and_b64 vcc, exec, s[34:35]
	ds_write_b64 v29, v[12:13]
	s_cbranch_vccz .LBB1703_127
; %bb.120:
	v_mul_lo_u32 v20, v11, s26
	v_mul_lo_u32 v21, v10, s27
	s_waitcnt vmcnt(0) lgkmcnt(1)
	v_mad_u64_u32 v[18:19], s[4:5], v10, s26, 0
	v_add3_u32 v19, v19, v21, v20
	v_cndmask_b32_e64 v20, 0, 1, s[10:11]
	v_cmp_ne_u32_e64 s[4:5], 1, v20
	s_andn2_b64 vcc, exec, s[10:11]
	v_lshlrev_b64 v[18:19], 3, v[18:19]
	s_cbranch_vccnz .LBB1703_130
; %bb.121:
	v_mul_lo_u32 v22, v13, s26
	v_mul_lo_u32 v23, v12, s27
	v_mad_u64_u32 v[20:21], s[6:7], v12, s26, 0
	v_add3_u32 v21, v21, v23, v22
	v_mov_b32_e32 v23, s17
	v_add_co_u32_e32 v22, vcc, s16, v18
	v_addc_co_u32_e64 v23, s[6:7], v23, v19, vcc
	v_lshlrev_b64 v[20:21], 3, v[20:21]
	v_mov_b32_e32 v25, s17
	v_add_co_u32_e64 v24, s[6:7], s16, v20
	v_addc_co_u32_e64 v25, s[8:9], v25, v21, s[6:7]
	global_load_dwordx2 v[26:27], v[22:23], off
	global_load_dwordx2 v[30:31], v[24:25], off
	s_mov_b64 s[38:39], -1
	s_waitcnt vmcnt(0)
	v_cmp_eq_u64_e64 s[8:9], v[26:27], v[30:31]
	s_and_saveexec_b64 s[40:41], s[8:9]
	s_cbranch_execz .LBB1703_129
; %bb.122:
	v_mov_b32_e32 v20, s17
	v_addc_co_u32_e64 v21, s[6:7], v21, v20, s[6:7]
	v_add_co_u32_e64 v20, s[6:7], 8, v24
	v_mov_b32_e32 v23, s17
	v_addc_co_u32_e64 v21, s[6:7], 0, v21, s[6:7]
	v_addc_co_u32_e32 v23, vcc, v19, v23, vcc
	v_add_co_u32_e32 v22, vcc, 8, v22
	s_add_u32 s6, s26, -1
	v_addc_co_u32_e32 v23, vcc, 0, v23, vcc
	s_addc_u32 s7, s27, -1
	s_mov_b64 s[8:9], 0
	s_mov_b64 s[42:43], 0
                                        ; implicit-def: $sgpr38_sgpr39
	s_branch .LBB1703_125
.LBB1703_123:                           ;   in Loop: Header=BB1703_125 Depth=1
	global_load_dwordx2 v[24:25], v[22:23], off
	global_load_dwordx2 v[26:27], v[20:21], off
	v_add_co_u32_e32 v20, vcc, 8, v20
	v_addc_co_u32_e32 v21, vcc, 0, v21, vcc
	v_add_co_u32_e32 v22, vcc, 8, v22
	v_addc_co_u32_e32 v23, vcc, 0, v23, vcc
	s_add_u32 s42, s42, 1
	s_addc_u32 s43, s43, 0
	s_andn2_b64 s[38:39], s[38:39], exec
	s_waitcnt vmcnt(0)
	v_cmp_ne_u64_e32 vcc, v[24:25], v[26:27]
	s_and_b64 s[44:45], vcc, exec
	s_or_b64 s[38:39], s[38:39], s[44:45]
.LBB1703_124:                           ;   in Loop: Header=BB1703_125 Depth=1
	s_and_b64 s[44:45], exec, s[38:39]
	s_or_b64 s[8:9], s[44:45], s[8:9]
	v_pk_mov_b32 v[24:25], s[42:43], s[42:43] op_sel:[0,1]
	s_andn2_b64 exec, exec, s[8:9]
	s_cbranch_execz .LBB1703_128
.LBB1703_125:                           ; =>This Inner Loop Header: Depth=1
	s_or_b64 s[38:39], s[38:39], exec
	s_cmp_eq_u64 s[6:7], s[42:43]
	s_cbranch_scc0 .LBB1703_123
; %bb.126:                              ;   in Loop: Header=BB1703_125 Depth=1
                                        ; implicit-def: $vgpr20_vgpr21
                                        ; implicit-def: $vgpr22_vgpr23
	s_mov_b64 s[42:43], s[26:27]
	s_branch .LBB1703_124
.LBB1703_127:
                                        ; implicit-def: $sgpr38_sgpr39
                                        ; implicit-def: $vgpr28
	s_cbranch_execnz .LBB1703_160
	s_branch .LBB1703_207
.LBB1703_128:
	s_or_b64 exec, exec, s[8:9]
	v_cmp_gt_i64_e32 vcc, s[26:27], v[24:25]
	s_orn2_b64 s[38:39], vcc, exec
.LBB1703_129:
	s_or_b64 exec, exec, s[40:41]
.LBB1703_130:
	v_mul_lo_u32 v22, v17, s26
	v_mul_lo_u32 v23, v16, s27
	v_mad_u64_u32 v[20:21], s[6:7], v16, s26, 0
	v_add3_u32 v21, v21, v23, v22
	s_mov_b64 s[40:41], 0
	s_and_b64 vcc, exec, s[4:5]
	v_lshlrev_b64 v[20:21], 3, v[20:21]
	s_mov_b64 s[42:43], 0
	s_cbranch_vccnz .LBB1703_139
; %bb.131:
	v_mov_b32_e32 v23, s17
	v_add_co_u32_e32 v22, vcc, s16, v20
	v_addc_co_u32_e64 v23, s[6:7], v23, v21, vcc
	v_mov_b32_e32 v25, s17
	v_add_co_u32_e64 v24, s[6:7], s16, v18
	v_addc_co_u32_e64 v25, s[8:9], v25, v19, s[6:7]
	global_load_dwordx2 v[26:27], v[22:23], off
	global_load_dwordx2 v[30:31], v[24:25], off
	s_mov_b64 s[42:43], -1
	s_waitcnt vmcnt(0)
	v_cmp_eq_u64_e64 s[8:9], v[26:27], v[30:31]
	s_and_saveexec_b64 s[44:45], s[8:9]
	s_cbranch_execz .LBB1703_138
; %bb.132:
	v_mov_b32_e32 v18, s17
	v_addc_co_u32_e64 v19, s[6:7], v19, v18, s[6:7]
	v_add_co_u32_e64 v18, s[6:7], 8, v24
	v_mov_b32_e32 v23, s17
	v_addc_co_u32_e64 v19, s[6:7], 0, v19, s[6:7]
	v_addc_co_u32_e32 v23, vcc, v21, v23, vcc
	v_add_co_u32_e32 v22, vcc, 8, v22
	s_add_u32 s6, s26, -1
	v_addc_co_u32_e32 v23, vcc, 0, v23, vcc
	s_addc_u32 s7, s27, -1
	s_mov_b64 s[8:9], 0
	s_mov_b64 s[46:47], 0
                                        ; implicit-def: $sgpr42_sgpr43
	s_branch .LBB1703_135
.LBB1703_133:                           ;   in Loop: Header=BB1703_135 Depth=1
	global_load_dwordx2 v[24:25], v[22:23], off
	global_load_dwordx2 v[26:27], v[18:19], off
	v_add_co_u32_e32 v18, vcc, 8, v18
	v_addc_co_u32_e32 v19, vcc, 0, v19, vcc
	v_add_co_u32_e32 v22, vcc, 8, v22
	v_addc_co_u32_e32 v23, vcc, 0, v23, vcc
	s_add_u32 s46, s46, 1
	s_addc_u32 s47, s47, 0
	s_andn2_b64 s[42:43], s[42:43], exec
	s_waitcnt vmcnt(0)
	v_cmp_ne_u64_e32 vcc, v[24:25], v[26:27]
	s_and_b64 s[50:51], vcc, exec
	s_or_b64 s[42:43], s[42:43], s[50:51]
.LBB1703_134:                           ;   in Loop: Header=BB1703_135 Depth=1
	s_and_b64 s[50:51], exec, s[42:43]
	s_or_b64 s[8:9], s[50:51], s[8:9]
	v_pk_mov_b32 v[24:25], s[46:47], s[46:47] op_sel:[0,1]
	s_andn2_b64 exec, exec, s[8:9]
	s_cbranch_execz .LBB1703_137
.LBB1703_135:                           ; =>This Inner Loop Header: Depth=1
	s_or_b64 s[42:43], s[42:43], exec
	s_cmp_eq_u64 s[6:7], s[46:47]
	s_cbranch_scc0 .LBB1703_133
; %bb.136:                              ;   in Loop: Header=BB1703_135 Depth=1
                                        ; implicit-def: $vgpr18_vgpr19
                                        ; implicit-def: $vgpr22_vgpr23
	s_mov_b64 s[46:47], s[26:27]
	s_branch .LBB1703_134
.LBB1703_137:
	s_or_b64 exec, exec, s[8:9]
	v_cmp_gt_i64_e32 vcc, s[26:27], v[24:25]
	s_orn2_b64 s[42:43], vcc, exec
.LBB1703_138:
	s_or_b64 exec, exec, s[44:45]
.LBB1703_139:
	v_mul_lo_u32 v22, v15, s26
	v_mul_lo_u32 v23, v14, s27
	v_mad_u64_u32 v[18:19], s[6:7], v14, s26, 0
	s_and_b64 vcc, exec, s[4:5]
	v_add3_u32 v19, v19, v23, v22
	s_cbranch_vccnz .LBB1703_148
; %bb.140:
	v_lshlrev_b64 v[22:23], 3, v[18:19]
	v_mov_b32_e32 v25, s17
	v_add_co_u32_e32 v24, vcc, s16, v22
	v_addc_co_u32_e64 v25, s[6:7], v25, v23, vcc
	v_mov_b32_e32 v22, s17
	v_add_co_u32_e64 v26, s[6:7], s16, v20
	v_addc_co_u32_e64 v27, s[8:9], v22, v21, s[6:7]
	global_load_dwordx2 v[30:31], v[24:25], off
	global_load_dwordx2 v[32:33], v[26:27], off
	s_mov_b64 s[40:41], -1
	s_waitcnt vmcnt(0)
	v_cmp_eq_u64_e64 s[8:9], v[30:31], v[32:33]
	s_and_saveexec_b64 s[44:45], s[8:9]
	s_cbranch_execz .LBB1703_147
; %bb.141:
	v_mov_b32_e32 v20, s17
	v_addc_co_u32_e64 v21, s[6:7], v21, v20, s[6:7]
	v_add_co_u32_e64 v20, s[6:7], 8, v26
	v_mov_b32_e32 v22, s17
	v_addc_co_u32_e64 v21, s[6:7], 0, v21, s[6:7]
	v_addc_co_u32_e32 v23, vcc, v23, v22, vcc
	v_add_co_u32_e32 v22, vcc, 8, v24
	s_add_u32 s6, s26, -1
	v_addc_co_u32_e32 v23, vcc, 0, v23, vcc
	s_addc_u32 s7, s27, -1
	s_mov_b64 s[8:9], 0
	s_mov_b64 s[46:47], 0
                                        ; implicit-def: $sgpr40_sgpr41
	s_branch .LBB1703_144
.LBB1703_142:                           ;   in Loop: Header=BB1703_144 Depth=1
	global_load_dwordx2 v[24:25], v[22:23], off
	global_load_dwordx2 v[26:27], v[20:21], off
	v_add_co_u32_e32 v20, vcc, 8, v20
	v_addc_co_u32_e32 v21, vcc, 0, v21, vcc
	v_add_co_u32_e32 v22, vcc, 8, v22
	v_addc_co_u32_e32 v23, vcc, 0, v23, vcc
	s_add_u32 s46, s46, 1
	s_addc_u32 s47, s47, 0
	s_andn2_b64 s[40:41], s[40:41], exec
	s_waitcnt vmcnt(0)
	v_cmp_ne_u64_e32 vcc, v[24:25], v[26:27]
	s_and_b64 s[50:51], vcc, exec
	s_or_b64 s[40:41], s[40:41], s[50:51]
.LBB1703_143:                           ;   in Loop: Header=BB1703_144 Depth=1
	s_and_b64 s[50:51], exec, s[40:41]
	s_or_b64 s[8:9], s[50:51], s[8:9]
	v_pk_mov_b32 v[24:25], s[46:47], s[46:47] op_sel:[0,1]
	s_andn2_b64 exec, exec, s[8:9]
	s_cbranch_execz .LBB1703_146
.LBB1703_144:                           ; =>This Inner Loop Header: Depth=1
	s_or_b64 s[40:41], s[40:41], exec
	s_cmp_eq_u64 s[6:7], s[46:47]
	s_cbranch_scc0 .LBB1703_142
; %bb.145:                              ;   in Loop: Header=BB1703_144 Depth=1
                                        ; implicit-def: $vgpr20_vgpr21
                                        ; implicit-def: $vgpr22_vgpr23
	s_mov_b64 s[46:47], s[26:27]
	s_branch .LBB1703_143
.LBB1703_146:
	s_or_b64 exec, exec, s[8:9]
	v_cmp_gt_i64_e32 vcc, s[26:27], v[24:25]
	s_orn2_b64 s[40:41], vcc, exec
.LBB1703_147:
	s_or_b64 exec, exec, s[44:45]
.LBB1703_148:
	v_cndmask_b32_e64 v21, 0, 1, s[38:39]
	v_cndmask_b32_e64 v22, 0, 1, s[40:41]
	;; [unrolled: 1-line block ×3, first 2 shown]
	v_lshlrev_b16_e32 v22, 8, v22
	v_lshlrev_b16_e32 v21, 8, v21
	v_or_b32_e32 v22, 1, v22
	v_or_b32_sdwa v20, v20, v21 dst_sel:WORD_1 dst_unused:UNUSED_PAD src0_sel:DWORD src1_sel:DWORD
	v_or_b32_sdwa v28, v22, v20 dst_sel:DWORD dst_unused:UNUSED_PAD src0_sel:WORD_0 src1_sel:DWORD
	s_waitcnt lgkmcnt(0)
	s_barrier
	s_waitcnt lgkmcnt(0)
                                        ; implicit-def: $sgpr38_sgpr39
	s_and_saveexec_b64 s[6:7], s[2:3]
	s_xor_b64 s[8:9], exec, s[6:7]
	s_cbranch_execz .LBB1703_159
; %bb.149:
	s_and_b64 vcc, exec, s[4:5]
	s_mov_b64 s[40:41], 0
	s_cbranch_vccnz .LBB1703_158
; %bb.150:
	v_add_u32_e32 v20, -8, v29
	ds_read_b64 v[20:21], v20
	v_mov_b32_e32 v23, s17
	v_lshlrev_b64 v[18:19], 3, v[18:19]
	s_mov_b64 s[40:41], -1
	s_waitcnt lgkmcnt(0)
	v_mul_lo_u32 v22, v21, s26
	v_mul_lo_u32 v24, v20, s27
	v_mad_u64_u32 v[20:21], s[4:5], v20, s26, 0
	v_add3_u32 v21, v21, v24, v22
	v_lshlrev_b64 v[20:21], 3, v[20:21]
	v_add_co_u32_e32 v22, vcc, s16, v20
	v_addc_co_u32_e64 v23, s[4:5], v23, v21, vcc
	v_mov_b32_e32 v20, s17
	v_add_co_u32_e64 v24, s[4:5], s16, v18
	v_addc_co_u32_e64 v25, s[6:7], v20, v19, s[4:5]
	global_load_dwordx2 v[26:27], v[22:23], off
	global_load_dwordx2 v[30:31], v[24:25], off
	s_waitcnt vmcnt(0)
	v_cmp_eq_u64_e64 s[6:7], v[26:27], v[30:31]
	s_and_saveexec_b64 s[38:39], s[6:7]
	s_cbranch_execz .LBB1703_157
; %bb.151:
	v_mov_b32_e32 v18, s17
	v_addc_co_u32_e64 v19, s[4:5], v19, v18, s[4:5]
	v_add_co_u32_e64 v18, s[4:5], 8, v24
	v_mov_b32_e32 v20, s17
	v_addc_co_u32_e64 v19, s[4:5], 0, v19, s[4:5]
	v_addc_co_u32_e32 v21, vcc, v21, v20, vcc
	v_add_co_u32_e32 v20, vcc, 8, v22
	s_add_u32 s4, s26, -1
	v_addc_co_u32_e32 v21, vcc, 0, v21, vcc
	s_addc_u32 s5, s27, -1
	s_mov_b64 s[6:7], 0
	s_mov_b64 s[42:43], 0
                                        ; implicit-def: $sgpr40_sgpr41
	s_branch .LBB1703_154
.LBB1703_152:                           ;   in Loop: Header=BB1703_154 Depth=1
	global_load_dwordx2 v[22:23], v[20:21], off
	global_load_dwordx2 v[24:25], v[18:19], off
	v_add_co_u32_e32 v18, vcc, 8, v18
	v_addc_co_u32_e32 v19, vcc, 0, v19, vcc
	v_add_co_u32_e32 v20, vcc, 8, v20
	v_addc_co_u32_e32 v21, vcc, 0, v21, vcc
	s_add_u32 s42, s42, 1
	s_addc_u32 s43, s43, 0
	s_andn2_b64 s[40:41], s[40:41], exec
	s_waitcnt vmcnt(0)
	v_cmp_ne_u64_e32 vcc, v[22:23], v[24:25]
	s_and_b64 s[44:45], vcc, exec
	s_or_b64 s[40:41], s[40:41], s[44:45]
.LBB1703_153:                           ;   in Loop: Header=BB1703_154 Depth=1
	s_and_b64 s[44:45], exec, s[40:41]
	s_or_b64 s[6:7], s[44:45], s[6:7]
	v_pk_mov_b32 v[22:23], s[42:43], s[42:43] op_sel:[0,1]
	s_andn2_b64 exec, exec, s[6:7]
	s_cbranch_execz .LBB1703_156
.LBB1703_154:                           ; =>This Inner Loop Header: Depth=1
	s_or_b64 s[40:41], s[40:41], exec
	s_cmp_eq_u64 s[4:5], s[42:43]
	s_cbranch_scc0 .LBB1703_152
; %bb.155:                              ;   in Loop: Header=BB1703_154 Depth=1
                                        ; implicit-def: $vgpr18_vgpr19
                                        ; implicit-def: $vgpr20_vgpr21
	s_mov_b64 s[42:43], s[26:27]
	s_branch .LBB1703_153
.LBB1703_156:
	s_or_b64 exec, exec, s[6:7]
	v_cmp_gt_i64_e32 vcc, s[26:27], v[22:23]
	s_orn2_b64 s[40:41], vcc, exec
.LBB1703_157:
	s_or_b64 exec, exec, s[38:39]
.LBB1703_158:
	s_and_b64 s[38:39], s[40:41], exec
	s_or_b64 s[14:15], s[14:15], exec
.LBB1703_159:
	s_or_b64 exec, exec, s[8:9]
	s_branch .LBB1703_207
.LBB1703_160:
	s_waitcnt vmcnt(0) lgkmcnt(1)
	v_or_b32_e32 v18, 3, v1
	v_cmp_gt_u32_e32 vcc, s48, v18
	s_mov_b64 s[38:39], 0
	s_mov_b64 s[8:9], 0
	s_and_saveexec_b64 s[40:41], vcc
	s_cbranch_execz .LBB1703_171
; %bb.161:
	s_andn2_b64 vcc, exec, s[10:11]
	s_mov_b64 s[42:43], 0
	s_cbranch_vccnz .LBB1703_170
; %bb.162:
	v_mul_lo_u32 v20, v11, s26
	v_mul_lo_u32 v21, v10, s27
	v_mad_u64_u32 v[18:19], s[4:5], v10, s26, 0
	v_add3_u32 v19, v19, v21, v20
	v_mul_lo_u32 v20, v13, s26
	v_mul_lo_u32 v21, v12, s27
	v_mad_u64_u32 v[24:25], s[4:5], v12, s26, 0
	v_add3_u32 v25, v25, v21, v20
	v_lshlrev_b64 v[20:21], 3, v[18:19]
	v_mov_b32_e32 v18, s17
	v_add_co_u32_e32 v22, vcc, s16, v20
	v_addc_co_u32_e64 v23, s[4:5], v18, v21, vcc
	v_lshlrev_b64 v[18:19], 3, v[24:25]
	v_mov_b32_e32 v20, s17
	v_add_co_u32_e64 v24, s[4:5], s16, v18
	v_addc_co_u32_e64 v25, s[6:7], v20, v19, s[4:5]
	global_load_dwordx2 v[26:27], v[22:23], off
	global_load_dwordx2 v[30:31], v[24:25], off
	s_mov_b64 s[42:43], -1
	s_waitcnt vmcnt(0)
	v_cmp_eq_u64_e64 s[6:7], v[26:27], v[30:31]
	s_and_saveexec_b64 s[8:9], s[6:7]
	s_cbranch_execz .LBB1703_169
; %bb.163:
	v_mov_b32_e32 v18, s17
	v_addc_co_u32_e64 v19, s[4:5], v19, v18, s[4:5]
	v_add_co_u32_e64 v18, s[4:5], 8, v24
	v_mov_b32_e32 v20, s17
	v_addc_co_u32_e64 v19, s[4:5], 0, v19, s[4:5]
	v_addc_co_u32_e32 v21, vcc, v21, v20, vcc
	v_add_co_u32_e32 v20, vcc, 8, v22
	s_add_u32 s4, s26, -1
	v_addc_co_u32_e32 v21, vcc, 0, v21, vcc
	s_addc_u32 s5, s27, -1
	s_mov_b64 s[6:7], 0
	s_mov_b64 s[44:45], 0
                                        ; implicit-def: $sgpr42_sgpr43
	s_branch .LBB1703_166
.LBB1703_164:                           ;   in Loop: Header=BB1703_166 Depth=1
	global_load_dwordx2 v[22:23], v[20:21], off
	global_load_dwordx2 v[24:25], v[18:19], off
	v_add_co_u32_e32 v18, vcc, 8, v18
	v_addc_co_u32_e32 v19, vcc, 0, v19, vcc
	v_add_co_u32_e32 v20, vcc, 8, v20
	v_addc_co_u32_e32 v21, vcc, 0, v21, vcc
	s_add_u32 s44, s44, 1
	s_addc_u32 s45, s45, 0
	s_andn2_b64 s[42:43], s[42:43], exec
	s_waitcnt vmcnt(0)
	v_cmp_ne_u64_e32 vcc, v[22:23], v[24:25]
	s_and_b64 s[46:47], vcc, exec
	s_or_b64 s[42:43], s[42:43], s[46:47]
.LBB1703_165:                           ;   in Loop: Header=BB1703_166 Depth=1
	s_and_b64 s[46:47], exec, s[42:43]
	s_or_b64 s[6:7], s[46:47], s[6:7]
	v_pk_mov_b32 v[22:23], s[44:45], s[44:45] op_sel:[0,1]
	s_andn2_b64 exec, exec, s[6:7]
	s_cbranch_execz .LBB1703_168
.LBB1703_166:                           ; =>This Inner Loop Header: Depth=1
	s_or_b64 s[42:43], s[42:43], exec
	s_cmp_eq_u64 s[4:5], s[44:45]
	s_cbranch_scc0 .LBB1703_164
; %bb.167:                              ;   in Loop: Header=BB1703_166 Depth=1
                                        ; implicit-def: $vgpr18_vgpr19
                                        ; implicit-def: $vgpr20_vgpr21
	s_mov_b64 s[44:45], s[26:27]
	s_branch .LBB1703_165
.LBB1703_168:
	s_or_b64 exec, exec, s[6:7]
	v_cmp_gt_i64_e32 vcc, s[26:27], v[22:23]
	s_orn2_b64 s[42:43], vcc, exec
.LBB1703_169:
	s_or_b64 exec, exec, s[8:9]
.LBB1703_170:
	s_and_b64 s[8:9], s[42:43], exec
.LBB1703_171:
	s_or_b64 exec, exec, s[40:41]
	v_or_b32_e32 v18, 2, v1
	v_cmp_gt_u32_e32 vcc, s48, v18
	s_and_saveexec_b64 s[40:41], vcc
	s_cbranch_execz .LBB1703_182
; %bb.172:
	s_andn2_b64 vcc, exec, s[10:11]
	s_mov_b64 s[42:43], 0
	s_cbranch_vccnz .LBB1703_181
; %bb.173:
	v_mul_lo_u32 v20, v17, s26
	v_mul_lo_u32 v21, v16, s27
	v_mad_u64_u32 v[18:19], s[4:5], v16, s26, 0
	v_add3_u32 v19, v19, v21, v20
	v_mul_lo_u32 v20, v11, s26
	v_mul_lo_u32 v21, v10, s27
	v_mad_u64_u32 v[24:25], s[4:5], v10, s26, 0
	v_add3_u32 v25, v25, v21, v20
	v_lshlrev_b64 v[20:21], 3, v[18:19]
	v_mov_b32_e32 v18, s17
	v_add_co_u32_e32 v22, vcc, s16, v20
	v_addc_co_u32_e64 v23, s[4:5], v18, v21, vcc
	v_lshlrev_b64 v[18:19], 3, v[24:25]
	v_mov_b32_e32 v20, s17
	v_add_co_u32_e64 v24, s[4:5], s16, v18
	v_addc_co_u32_e64 v25, s[6:7], v20, v19, s[4:5]
	global_load_dwordx2 v[26:27], v[22:23], off
	global_load_dwordx2 v[30:31], v[24:25], off
	s_mov_b64 s[42:43], -1
	s_waitcnt vmcnt(0)
	v_cmp_eq_u64_e64 s[6:7], v[26:27], v[30:31]
	s_and_saveexec_b64 s[38:39], s[6:7]
	s_cbranch_execz .LBB1703_180
; %bb.174:
	v_mov_b32_e32 v18, s17
	v_addc_co_u32_e64 v19, s[4:5], v19, v18, s[4:5]
	v_add_co_u32_e64 v18, s[4:5], 8, v24
	v_mov_b32_e32 v20, s17
	v_addc_co_u32_e64 v19, s[4:5], 0, v19, s[4:5]
	v_addc_co_u32_e32 v21, vcc, v21, v20, vcc
	v_add_co_u32_e32 v20, vcc, 8, v22
	s_add_u32 s4, s26, -1
	v_addc_co_u32_e32 v21, vcc, 0, v21, vcc
	s_addc_u32 s5, s27, -1
	s_mov_b64 s[6:7], 0
	s_mov_b64 s[44:45], 0
                                        ; implicit-def: $sgpr42_sgpr43
	s_branch .LBB1703_177
.LBB1703_175:                           ;   in Loop: Header=BB1703_177 Depth=1
	global_load_dwordx2 v[22:23], v[20:21], off
	global_load_dwordx2 v[24:25], v[18:19], off
	v_add_co_u32_e32 v18, vcc, 8, v18
	v_addc_co_u32_e32 v19, vcc, 0, v19, vcc
	v_add_co_u32_e32 v20, vcc, 8, v20
	v_addc_co_u32_e32 v21, vcc, 0, v21, vcc
	s_add_u32 s44, s44, 1
	s_addc_u32 s45, s45, 0
	s_andn2_b64 s[42:43], s[42:43], exec
	s_waitcnt vmcnt(0)
	v_cmp_ne_u64_e32 vcc, v[22:23], v[24:25]
	s_and_b64 s[46:47], vcc, exec
	s_or_b64 s[42:43], s[42:43], s[46:47]
.LBB1703_176:                           ;   in Loop: Header=BB1703_177 Depth=1
	s_and_b64 s[46:47], exec, s[42:43]
	s_or_b64 s[6:7], s[46:47], s[6:7]
	v_pk_mov_b32 v[22:23], s[44:45], s[44:45] op_sel:[0,1]
	s_andn2_b64 exec, exec, s[6:7]
	s_cbranch_execz .LBB1703_179
.LBB1703_177:                           ; =>This Inner Loop Header: Depth=1
	s_or_b64 s[42:43], s[42:43], exec
	s_cmp_eq_u64 s[4:5], s[44:45]
	s_cbranch_scc0 .LBB1703_175
; %bb.178:                              ;   in Loop: Header=BB1703_177 Depth=1
                                        ; implicit-def: $vgpr18_vgpr19
                                        ; implicit-def: $vgpr20_vgpr21
	s_mov_b64 s[44:45], s[26:27]
	s_branch .LBB1703_176
.LBB1703_179:
	s_or_b64 exec, exec, s[6:7]
	v_cmp_gt_i64_e32 vcc, s[26:27], v[22:23]
	s_orn2_b64 s[42:43], vcc, exec
.LBB1703_180:
	s_or_b64 exec, exec, s[38:39]
.LBB1703_181:
	s_and_b64 s[38:39], s[42:43], exec
.LBB1703_182:
	s_or_b64 exec, exec, s[40:41]
	v_or_b32_e32 v18, 1, v1
	v_cmp_gt_u32_e32 vcc, s48, v18
	s_mov_b64 s[4:5], 0
	s_and_saveexec_b64 s[40:41], vcc
	s_cbranch_execz .LBB1703_193
; %bb.183:
	s_andn2_b64 vcc, exec, s[10:11]
	s_mov_b64 s[44:45], 0
	s_cbranch_vccnz .LBB1703_192
; %bb.184:
	v_mul_lo_u32 v20, v15, s26
	v_mul_lo_u32 v21, v14, s27
	v_mad_u64_u32 v[18:19], s[4:5], v14, s26, 0
	v_add3_u32 v19, v19, v21, v20
	v_mul_lo_u32 v20, v17, s26
	v_mul_lo_u32 v21, v16, s27
	v_mad_u64_u32 v[24:25], s[4:5], v16, s26, 0
	v_add3_u32 v25, v25, v21, v20
	v_lshlrev_b64 v[20:21], 3, v[18:19]
	v_mov_b32_e32 v18, s17
	v_add_co_u32_e32 v22, vcc, s16, v20
	v_addc_co_u32_e64 v23, s[4:5], v18, v21, vcc
	v_lshlrev_b64 v[18:19], 3, v[24:25]
	v_mov_b32_e32 v20, s17
	v_add_co_u32_e64 v24, s[4:5], s16, v18
	v_addc_co_u32_e64 v25, s[6:7], v20, v19, s[4:5]
	global_load_dwordx2 v[26:27], v[22:23], off
	global_load_dwordx2 v[30:31], v[24:25], off
	s_mov_b64 s[44:45], -1
	s_waitcnt vmcnt(0)
	v_cmp_eq_u64_e64 s[6:7], v[26:27], v[30:31]
	s_and_saveexec_b64 s[42:43], s[6:7]
	s_cbranch_execz .LBB1703_191
; %bb.185:
	v_mov_b32_e32 v18, s17
	v_addc_co_u32_e64 v19, s[4:5], v19, v18, s[4:5]
	v_add_co_u32_e64 v18, s[4:5], 8, v24
	v_mov_b32_e32 v20, s17
	v_addc_co_u32_e64 v19, s[4:5], 0, v19, s[4:5]
	v_addc_co_u32_e32 v21, vcc, v21, v20, vcc
	v_add_co_u32_e32 v20, vcc, 8, v22
	s_add_u32 s4, s26, -1
	v_addc_co_u32_e32 v21, vcc, 0, v21, vcc
	s_addc_u32 s5, s27, -1
	s_mov_b64 s[6:7], 0
	s_mov_b64 s[46:47], 0
                                        ; implicit-def: $sgpr44_sgpr45
	s_branch .LBB1703_188
.LBB1703_186:                           ;   in Loop: Header=BB1703_188 Depth=1
	global_load_dwordx2 v[22:23], v[20:21], off
	global_load_dwordx2 v[24:25], v[18:19], off
	v_add_co_u32_e32 v18, vcc, 8, v18
	v_addc_co_u32_e32 v19, vcc, 0, v19, vcc
	v_add_co_u32_e32 v20, vcc, 8, v20
	v_addc_co_u32_e32 v21, vcc, 0, v21, vcc
	s_add_u32 s46, s46, 1
	s_addc_u32 s47, s47, 0
	s_andn2_b64 s[44:45], s[44:45], exec
	s_waitcnt vmcnt(0)
	v_cmp_ne_u64_e32 vcc, v[22:23], v[24:25]
	s_and_b64 s[50:51], vcc, exec
	s_or_b64 s[44:45], s[44:45], s[50:51]
.LBB1703_187:                           ;   in Loop: Header=BB1703_188 Depth=1
	s_and_b64 s[50:51], exec, s[44:45]
	s_or_b64 s[6:7], s[50:51], s[6:7]
	v_pk_mov_b32 v[22:23], s[46:47], s[46:47] op_sel:[0,1]
	s_andn2_b64 exec, exec, s[6:7]
	s_cbranch_execz .LBB1703_190
.LBB1703_188:                           ; =>This Inner Loop Header: Depth=1
	s_or_b64 s[44:45], s[44:45], exec
	s_cmp_eq_u64 s[4:5], s[46:47]
	s_cbranch_scc0 .LBB1703_186
; %bb.189:                              ;   in Loop: Header=BB1703_188 Depth=1
                                        ; implicit-def: $vgpr18_vgpr19
                                        ; implicit-def: $vgpr20_vgpr21
	s_mov_b64 s[46:47], s[26:27]
	s_branch .LBB1703_187
.LBB1703_190:
	s_or_b64 exec, exec, s[6:7]
	v_cmp_gt_i64_e32 vcc, s[26:27], v[22:23]
	s_orn2_b64 s[44:45], vcc, exec
.LBB1703_191:
	s_or_b64 exec, exec, s[42:43]
.LBB1703_192:
	s_and_b64 s[4:5], s[44:45], exec
.LBB1703_193:
	s_or_b64 exec, exec, s[40:41]
	v_cndmask_b32_e64 v19, 0, 1, s[8:9]
	v_cndmask_b32_e64 v20, 0, 1, s[4:5]
	;; [unrolled: 1-line block ×3, first 2 shown]
	v_lshlrev_b16_e32 v20, 8, v20
	v_lshlrev_b16_e32 v19, 8, v19
	v_or_b32_e32 v20, 1, v20
	v_or_b32_sdwa v18, v18, v19 dst_sel:WORD_1 dst_unused:UNUSED_PAD src0_sel:DWORD src1_sel:DWORD
	v_or_b32_sdwa v28, v20, v18 dst_sel:DWORD dst_unused:UNUSED_PAD src0_sel:WORD_0 src1_sel:DWORD
	s_waitcnt lgkmcnt(0)
	s_barrier
	s_waitcnt lgkmcnt(0)
                                        ; implicit-def: $sgpr38_sgpr39
	s_and_saveexec_b64 s[6:7], s[2:3]
	s_cbranch_execz .LBB1703_206
; %bb.194:
	v_cmp_gt_u32_e32 vcc, s48, v1
	s_mov_b64 s[2:3], 0
	s_and_saveexec_b64 s[8:9], vcc
	s_cbranch_execz .LBB1703_205
; %bb.195:
	s_andn2_b64 vcc, exec, s[10:11]
	s_mov_b64 s[38:39], 0
	s_cbranch_vccnz .LBB1703_204
; %bb.196:
	v_add_u32_e32 v18, -8, v29
	ds_read_b64 v[18:19], v18
	v_mul_lo_u32 v20, v15, s26
	v_mad_u64_u32 v[24:25], s[2:3], v14, s26, 0
	s_mov_b64 s[38:39], -1
	s_waitcnt lgkmcnt(0)
	v_mul_lo_u32 v21, v19, s26
	v_mul_lo_u32 v22, v18, s27
	v_mad_u64_u32 v[18:19], s[2:3], v18, s26, 0
	v_add3_u32 v19, v19, v22, v21
	v_mul_lo_u32 v21, v14, s27
	v_add3_u32 v25, v25, v21, v20
	v_lshlrev_b64 v[20:21], 3, v[18:19]
	v_mov_b32_e32 v18, s17
	v_add_co_u32_e32 v22, vcc, s16, v20
	v_addc_co_u32_e64 v23, s[2:3], v18, v21, vcc
	v_lshlrev_b64 v[18:19], 3, v[24:25]
	v_mov_b32_e32 v20, s17
	v_add_co_u32_e64 v24, s[2:3], s16, v18
	v_addc_co_u32_e64 v25, s[4:5], v20, v19, s[2:3]
	global_load_dwordx2 v[26:27], v[22:23], off
	global_load_dwordx2 v[30:31], v[24:25], off
	s_waitcnt vmcnt(0)
	v_cmp_eq_u64_e64 s[4:5], v[26:27], v[30:31]
	s_and_saveexec_b64 s[10:11], s[4:5]
	s_cbranch_execz .LBB1703_203
; %bb.197:
	v_mov_b32_e32 v18, s17
	v_addc_co_u32_e64 v19, s[2:3], v19, v18, s[2:3]
	v_add_co_u32_e64 v18, s[2:3], 8, v24
	v_mov_b32_e32 v20, s17
	v_addc_co_u32_e64 v19, s[2:3], 0, v19, s[2:3]
	v_addc_co_u32_e32 v21, vcc, v21, v20, vcc
	v_add_co_u32_e32 v20, vcc, 8, v22
	s_add_u32 s2, s26, -1
	v_addc_co_u32_e32 v21, vcc, 0, v21, vcc
	s_addc_u32 s3, s27, -1
	s_mov_b64 s[4:5], 0
	s_mov_b64 s[38:39], 0
                                        ; implicit-def: $sgpr16_sgpr17
	s_branch .LBB1703_200
.LBB1703_198:                           ;   in Loop: Header=BB1703_200 Depth=1
	global_load_dwordx2 v[22:23], v[20:21], off
	global_load_dwordx2 v[24:25], v[18:19], off
	v_add_co_u32_e32 v18, vcc, 8, v18
	v_addc_co_u32_e32 v19, vcc, 0, v19, vcc
	v_add_co_u32_e32 v20, vcc, 8, v20
	v_addc_co_u32_e32 v21, vcc, 0, v21, vcc
	s_add_u32 s38, s38, 1
	s_addc_u32 s39, s39, 0
	s_andn2_b64 s[16:17], s[16:17], exec
	s_waitcnt vmcnt(0)
	v_cmp_ne_u64_e32 vcc, v[22:23], v[24:25]
	s_and_b64 s[40:41], vcc, exec
	s_or_b64 s[16:17], s[16:17], s[40:41]
.LBB1703_199:                           ;   in Loop: Header=BB1703_200 Depth=1
	s_and_b64 s[40:41], exec, s[16:17]
	s_or_b64 s[4:5], s[40:41], s[4:5]
	v_pk_mov_b32 v[22:23], s[38:39], s[38:39] op_sel:[0,1]
	s_andn2_b64 exec, exec, s[4:5]
	s_cbranch_execz .LBB1703_202
.LBB1703_200:                           ; =>This Inner Loop Header: Depth=1
	s_or_b64 s[16:17], s[16:17], exec
	s_cmp_eq_u64 s[2:3], s[38:39]
	s_cbranch_scc0 .LBB1703_198
; %bb.201:                              ;   in Loop: Header=BB1703_200 Depth=1
                                        ; implicit-def: $vgpr18_vgpr19
                                        ; implicit-def: $vgpr20_vgpr21
	s_mov_b64 s[38:39], s[26:27]
	s_branch .LBB1703_199
.LBB1703_202:
	s_or_b64 exec, exec, s[4:5]
	v_cmp_gt_i64_e32 vcc, s[26:27], v[22:23]
	s_orn2_b64 s[38:39], vcc, exec
.LBB1703_203:
	s_or_b64 exec, exec, s[10:11]
.LBB1703_204:
	s_and_b64 s[2:3], s[38:39], exec
.LBB1703_205:
	s_or_b64 exec, exec, s[8:9]
	s_and_b64 s[38:39], s[2:3], exec
	s_or_b64 s[14:15], s[14:15], exec
.LBB1703_206:
	s_or_b64 exec, exec, s[6:7]
.LBB1703_207:
	s_and_saveexec_b64 s[2:3], s[14:15]
	s_cbranch_execz .LBB1703_209
; %bb.208:
	s_waitcnt vmcnt(0) lgkmcnt(0)
	v_and_b32_e32 v18, 0xffffff00, v28
	v_cndmask_b32_e64 v19, 0, 1, s[38:39]
	v_or_b32_e32 v18, v19, v18
	v_and_b32_e32 v18, 0xffff, v18
	s_mov_b32 s4, 0xffff0000
	v_and_or_b32 v28, v28, s4, v18
.LBB1703_209:
	s_or_b64 exec, exec, s[2:3]
	s_andn2_b64 vcc, exec, s[12:13]
	s_cbranch_vccnz .LBB1703_211
; %bb.210:
	v_cmp_gt_u32_e32 vcc, s48, v1
	s_waitcnt vmcnt(0) lgkmcnt(0)
	v_cndmask_b32_e32 v18, 0, v28, vcc
	v_or_b32_e32 v19, 1, v1
	v_and_b32_e32 v18, 0xff, v18
	v_cmp_gt_u32_e32 vcc, s48, v19
	v_cndmask_b32_e32 v18, v18, v28, vcc
	v_or_b32_e32 v19, 2, v1
	v_and_b32_e32 v18, 0xffff, v18
	v_cmp_gt_u32_e32 vcc, s48, v19
	v_cndmask_b32_e32 v18, v18, v28, vcc
	v_or_b32_e32 v19, 3, v1
	v_and_b32_e32 v18, 0xffffff, v18
	v_cmp_gt_u32_e32 vcc, s48, v19
	v_cndmask_b32_e32 v28, v18, v28, vcc
.LBB1703_211:
	v_bfe_u32 v30, v28, 16, 8
	v_lshrrev_b32_e32 v29, 24, v28
	s_waitcnt vmcnt(0) lgkmcnt(0)
	v_add_u32_sdwa v18, v28, v28 dst_sel:DWORD dst_unused:UNUSED_PAD src0_sel:BYTE_1 src1_sel:BYTE_0
	v_add3_u32 v33, v18, v30, v29
	v_mbcnt_lo_u32_b32 v18, -1, 0
	v_mbcnt_hi_u32_b32 v31, -1, v18
	v_and_b32_e32 v18, 15, v31
	v_cmp_eq_u32_e64 s[14:15], 0, v18
	v_cmp_lt_u32_e64 s[12:13], 1, v18
	v_cmp_lt_u32_e64 s[10:11], 3, v18
	;; [unrolled: 1-line block ×3, first 2 shown]
	v_and_b32_e32 v18, 16, v31
	v_cmp_eq_u32_e64 s[6:7], 0, v18
	v_or_b32_e32 v18, 63, v0
	v_cmp_lt_u32_e64 s[2:3], 31, v31
	v_lshrrev_b32_e32 v32, 6, v0
	v_cmp_eq_u32_e64 s[4:5], v18, v0
	s_and_b64 vcc, exec, s[36:37]
	s_barrier
	s_cbranch_vccz .LBB1703_242
; %bb.212:
	v_mov_b32_dpp v18, v33 row_shr:1 row_mask:0xf bank_mask:0xf
	v_cndmask_b32_e64 v18, v18, 0, s[14:15]
	v_add_u32_e32 v18, v18, v33
	s_nop 1
	v_mov_b32_dpp v19, v18 row_shr:2 row_mask:0xf bank_mask:0xf
	v_cndmask_b32_e64 v19, 0, v19, s[12:13]
	v_add_u32_e32 v18, v18, v19
	s_nop 1
	;; [unrolled: 4-line block ×4, first 2 shown]
	v_mov_b32_dpp v19, v18 row_bcast:15 row_mask:0xf bank_mask:0xf
	v_cndmask_b32_e64 v19, v19, 0, s[6:7]
	v_add_u32_e32 v18, v18, v19
	s_nop 1
	v_mov_b32_dpp v19, v18 row_bcast:31 row_mask:0xf bank_mask:0xf
	v_cndmask_b32_e64 v19, 0, v19, s[2:3]
	v_add_u32_e32 v18, v18, v19
	s_and_saveexec_b64 s[16:17], s[4:5]
	s_cbranch_execz .LBB1703_214
; %bb.213:
	v_lshlrev_b32_e32 v19, 2, v32
	ds_write_b32 v19, v18
.LBB1703_214:
	s_or_b64 exec, exec, s[16:17]
	v_cmp_gt_u32_e32 vcc, 2, v0
	s_waitcnt lgkmcnt(0)
	s_barrier
	s_and_saveexec_b64 s[16:17], vcc
	s_cbranch_execz .LBB1703_216
; %bb.215:
	ds_read_b32 v19, v1
	v_bfe_i32 v20, v31, 0, 1
	s_waitcnt lgkmcnt(0)
	v_mov_b32_dpp v21, v19 row_shr:1 row_mask:0xf bank_mask:0xf
	v_and_b32_e32 v20, v20, v21
	v_add_u32_e32 v19, v20, v19
	ds_write_b32 v1, v19
.LBB1703_216:
	s_or_b64 exec, exec, s[16:17]
	v_cmp_gt_u32_e32 vcc, 64, v0
	v_cmp_lt_u32_e64 s[16:17], 63, v0
	s_waitcnt lgkmcnt(0)
	s_barrier
	s_waitcnt lgkmcnt(0)
                                        ; implicit-def: $vgpr34
	s_and_saveexec_b64 s[26:27], s[16:17]
	s_cbranch_execz .LBB1703_218
; %bb.217:
	v_lshl_add_u32 v19, v32, 2, -4
	ds_read_b32 v34, v19
	s_waitcnt lgkmcnt(0)
	v_add_u32_e32 v18, v34, v18
.LBB1703_218:
	s_or_b64 exec, exec, s[26:27]
	v_add_u32_e32 v19, -1, v31
	v_and_b32_e32 v20, 64, v31
	v_cmp_lt_i32_e64 s[16:17], v19, v20
	v_cndmask_b32_e64 v19, v19, v31, s[16:17]
	v_lshlrev_b32_e32 v19, 2, v19
	ds_bpermute_b32 v35, v19, v18
	v_cmp_eq_u32_e64 s[16:17], 0, v31
	s_and_saveexec_b64 s[26:27], vcc
	s_cbranch_execz .LBB1703_241
; %bb.219:
	v_mov_b32_e32 v27, 0
	ds_read_b32 v18, v27 offset:4
	s_and_saveexec_b64 s[36:37], s[16:17]
	s_cbranch_execz .LBB1703_221
; %bb.220:
	s_add_i32 s38, s33, 64
	s_mov_b32 s39, 0
	s_lshl_b64 s[38:39], s[38:39], 3
	s_add_u32 s38, s18, s38
	v_mov_b32_e32 v19, 1
	s_addc_u32 s39, s19, s39
	s_waitcnt lgkmcnt(0)
	global_store_dwordx2 v27, v[18:19], s[38:39]
.LBB1703_221:
	s_or_b64 exec, exec, s[36:37]
	v_xad_u32 v20, v31, -1, s33
	v_add_u32_e32 v26, 64, v20
	v_lshlrev_b64 v[22:23], 3, v[26:27]
	v_mov_b32_e32 v19, s19
	v_add_co_u32_e32 v22, vcc, s18, v22
	v_addc_co_u32_e32 v23, vcc, v19, v23, vcc
	global_load_dwordx2 v[24:25], v[22:23], off glc
	s_waitcnt vmcnt(0)
	v_cmp_eq_u16_sdwa s[38:39], v25, v27 src0_sel:BYTE_0 src1_sel:DWORD
	s_and_saveexec_b64 s[36:37], s[38:39]
	s_cbranch_execz .LBB1703_227
; %bb.222:
	s_mov_b32 s40, 1
	s_mov_b64 s[38:39], 0
	v_mov_b32_e32 v19, 0
.LBB1703_223:                           ; =>This Loop Header: Depth=1
                                        ;     Child Loop BB1703_224 Depth 2
	s_max_u32 s41, s40, 1
.LBB1703_224:                           ;   Parent Loop BB1703_223 Depth=1
                                        ; =>  This Inner Loop Header: Depth=2
	s_add_i32 s41, s41, -1
	s_cmp_eq_u32 s41, 0
	s_sleep 1
	s_cbranch_scc0 .LBB1703_224
; %bb.225:                              ;   in Loop: Header=BB1703_223 Depth=1
	global_load_dwordx2 v[24:25], v[22:23], off glc
	s_cmp_lt_u32 s40, 32
	s_cselect_b64 s[42:43], -1, 0
	s_cmp_lg_u64 s[42:43], 0
	s_addc_u32 s40, s40, 0
	s_waitcnt vmcnt(0)
	v_cmp_ne_u16_sdwa s[42:43], v25, v19 src0_sel:BYTE_0 src1_sel:DWORD
	s_or_b64 s[38:39], s[42:43], s[38:39]
	s_andn2_b64 exec, exec, s[38:39]
	s_cbranch_execnz .LBB1703_223
; %bb.226:
	s_or_b64 exec, exec, s[38:39]
.LBB1703_227:
	s_or_b64 exec, exec, s[36:37]
	v_and_b32_e32 v36, 63, v31
	v_mov_b32_e32 v19, 2
	v_cmp_ne_u32_e32 vcc, 63, v36
	v_cmp_eq_u16_sdwa s[36:37], v25, v19 src0_sel:BYTE_0 src1_sel:DWORD
	v_lshlrev_b64 v[22:23], v31, -1
	v_addc_co_u32_e32 v27, vcc, 0, v31, vcc
	v_and_b32_e32 v21, s37, v23
	v_lshlrev_b32_e32 v37, 2, v27
	v_or_b32_e32 v21, 0x80000000, v21
	ds_bpermute_b32 v27, v37, v24
	v_and_b32_e32 v26, s36, v22
	v_ffbl_b32_e32 v21, v21
	v_add_u32_e32 v21, 32, v21
	v_ffbl_b32_e32 v26, v26
	v_min_u32_e32 v21, v26, v21
	v_cmp_lt_u32_e32 vcc, v36, v21
	s_waitcnt lgkmcnt(0)
	v_cndmask_b32_e32 v26, 0, v27, vcc
	v_cmp_gt_u32_e32 vcc, 62, v36
	v_add_u32_e32 v24, v26, v24
	v_cndmask_b32_e64 v26, 0, 1, vcc
	v_lshlrev_b32_e32 v26, 1, v26
	v_add_lshl_u32 v38, v26, v31, 2
	ds_bpermute_b32 v26, v38, v24
	v_add_u32_e32 v39, 2, v36
	v_cmp_le_u32_e32 vcc, v39, v21
	v_add_u32_e32 v41, 4, v36
	v_add_u32_e32 v43, 8, v36
	s_waitcnt lgkmcnt(0)
	v_cndmask_b32_e32 v26, 0, v26, vcc
	v_cmp_gt_u32_e32 vcc, 60, v36
	v_add_u32_e32 v24, v24, v26
	v_cndmask_b32_e64 v26, 0, 1, vcc
	v_lshlrev_b32_e32 v26, 2, v26
	v_add_lshl_u32 v40, v26, v31, 2
	ds_bpermute_b32 v26, v40, v24
	v_cmp_le_u32_e32 vcc, v41, v21
	v_add_u32_e32 v46, 16, v36
	v_add_u32_e32 v48, 32, v36
	s_waitcnt lgkmcnt(0)
	v_cndmask_b32_e32 v26, 0, v26, vcc
	v_cmp_gt_u32_e32 vcc, 56, v36
	v_add_u32_e32 v24, v24, v26
	v_cndmask_b32_e64 v26, 0, 1, vcc
	v_lshlrev_b32_e32 v26, 3, v26
	v_add_lshl_u32 v42, v26, v31, 2
	ds_bpermute_b32 v26, v42, v24
	v_cmp_le_u32_e32 vcc, v43, v21
	s_waitcnt lgkmcnt(0)
	v_cndmask_b32_e32 v26, 0, v26, vcc
	v_cmp_gt_u32_e32 vcc, 48, v36
	v_add_u32_e32 v24, v24, v26
	v_cndmask_b32_e64 v26, 0, 1, vcc
	v_lshlrev_b32_e32 v26, 4, v26
	v_add_lshl_u32 v45, v26, v31, 2
	ds_bpermute_b32 v26, v45, v24
	v_cmp_le_u32_e32 vcc, v46, v21
	;; [unrolled: 9-line block ×3, first 2 shown]
	s_waitcnt lgkmcnt(0)
	v_cndmask_b32_e32 v21, 0, v26, vcc
	v_add_u32_e32 v24, v24, v21
	v_mov_b32_e32 v21, 0
	s_branch .LBB1703_229
.LBB1703_228:                           ;   in Loop: Header=BB1703_229 Depth=1
	s_or_b64 exec, exec, s[36:37]
	v_cmp_eq_u16_sdwa s[36:37], v25, v19 src0_sel:BYTE_0 src1_sel:DWORD
	v_and_b32_e32 v26, s37, v23
	v_or_b32_e32 v26, 0x80000000, v26
	ds_bpermute_b32 v49, v37, v24
	v_and_b32_e32 v27, s36, v22
	v_ffbl_b32_e32 v26, v26
	v_add_u32_e32 v26, 32, v26
	v_ffbl_b32_e32 v27, v27
	v_min_u32_e32 v26, v27, v26
	v_cmp_lt_u32_e32 vcc, v36, v26
	s_waitcnt lgkmcnt(0)
	v_cndmask_b32_e32 v27, 0, v49, vcc
	v_add_u32_e32 v24, v27, v24
	ds_bpermute_b32 v27, v38, v24
	v_cmp_le_u32_e32 vcc, v39, v26
	v_subrev_u32_e32 v20, 64, v20
	s_waitcnt lgkmcnt(0)
	v_cndmask_b32_e32 v27, 0, v27, vcc
	v_add_u32_e32 v24, v24, v27
	ds_bpermute_b32 v27, v40, v24
	v_cmp_le_u32_e32 vcc, v41, v26
	s_waitcnt lgkmcnt(0)
	v_cndmask_b32_e32 v27, 0, v27, vcc
	v_add_u32_e32 v24, v24, v27
	ds_bpermute_b32 v27, v42, v24
	v_cmp_le_u32_e32 vcc, v43, v26
	;; [unrolled: 5-line block ×4, first 2 shown]
	s_waitcnt lgkmcnt(0)
	v_cndmask_b32_e32 v26, 0, v27, vcc
	v_add3_u32 v24, v26, v44, v24
.LBB1703_229:                           ; =>This Loop Header: Depth=1
                                        ;     Child Loop BB1703_232 Depth 2
                                        ;       Child Loop BB1703_233 Depth 3
	v_cmp_ne_u16_sdwa s[36:37], v25, v19 src0_sel:BYTE_0 src1_sel:DWORD
	v_cndmask_b32_e64 v25, 0, 1, s[36:37]
	;;#ASMSTART
	;;#ASMEND
	v_cmp_ne_u32_e32 vcc, 0, v25
	s_cmp_lg_u64 vcc, exec
	v_mov_b32_e32 v44, v24
	s_cbranch_scc1 .LBB1703_236
; %bb.230:                              ;   in Loop: Header=BB1703_229 Depth=1
	v_lshlrev_b64 v[24:25], 3, v[20:21]
	v_mov_b32_e32 v27, s19
	v_add_co_u32_e32 v26, vcc, s18, v24
	v_addc_co_u32_e32 v27, vcc, v27, v25, vcc
	global_load_dwordx2 v[24:25], v[26:27], off glc
	s_waitcnt vmcnt(0)
	v_cmp_eq_u16_sdwa s[38:39], v25, v21 src0_sel:BYTE_0 src1_sel:DWORD
	s_and_saveexec_b64 s[36:37], s[38:39]
	s_cbranch_execz .LBB1703_228
; %bb.231:                              ;   in Loop: Header=BB1703_229 Depth=1
	s_mov_b32 s40, 1
	s_mov_b64 s[38:39], 0
.LBB1703_232:                           ;   Parent Loop BB1703_229 Depth=1
                                        ; =>  This Loop Header: Depth=2
                                        ;       Child Loop BB1703_233 Depth 3
	s_max_u32 s41, s40, 1
.LBB1703_233:                           ;   Parent Loop BB1703_229 Depth=1
                                        ;     Parent Loop BB1703_232 Depth=2
                                        ; =>    This Inner Loop Header: Depth=3
	s_add_i32 s41, s41, -1
	s_cmp_eq_u32 s41, 0
	s_sleep 1
	s_cbranch_scc0 .LBB1703_233
; %bb.234:                              ;   in Loop: Header=BB1703_232 Depth=2
	global_load_dwordx2 v[24:25], v[26:27], off glc
	s_cmp_lt_u32 s40, 32
	s_cselect_b64 s[42:43], -1, 0
	s_cmp_lg_u64 s[42:43], 0
	s_addc_u32 s40, s40, 0
	s_waitcnt vmcnt(0)
	v_cmp_ne_u16_sdwa s[42:43], v25, v21 src0_sel:BYTE_0 src1_sel:DWORD
	s_or_b64 s[38:39], s[42:43], s[38:39]
	s_andn2_b64 exec, exec, s[38:39]
	s_cbranch_execnz .LBB1703_232
; %bb.235:                              ;   in Loop: Header=BB1703_229 Depth=1
	s_or_b64 exec, exec, s[38:39]
	s_branch .LBB1703_228
.LBB1703_236:                           ;   in Loop: Header=BB1703_229 Depth=1
                                        ; implicit-def: $vgpr24
                                        ; implicit-def: $vgpr25
	s_cbranch_execz .LBB1703_229
; %bb.237:
	s_and_saveexec_b64 s[36:37], s[16:17]
	s_cbranch_execz .LBB1703_239
; %bb.238:
	s_add_i32 s38, s33, 64
	s_mov_b32 s39, 0
	s_lshl_b64 s[38:39], s[38:39], 3
	s_add_u32 s38, s18, s38
	v_add_u32_e32 v20, v44, v18
	v_mov_b32_e32 v21, 2
	s_addc_u32 s39, s19, s39
	v_mov_b32_e32 v19, 0
	s_movk_i32 s33, 0x1000
	global_store_dwordx2 v19, v[20:21], s[38:39]
	v_add_u32_e64 v19, s33, 0
	ds_write2_b32 v19, v18, v44 offset0:32 offset1:34
.LBB1703_239:
	s_or_b64 exec, exec, s[36:37]
	s_and_b64 exec, exec, s[0:1]
	s_cbranch_execz .LBB1703_241
; %bb.240:
	v_mov_b32_e32 v18, 0
	ds_write_b32 v18, v44 offset:4
.LBB1703_241:
	s_or_b64 exec, exec, s[26:27]
	v_mov_b32_e32 v19, 0
	s_waitcnt lgkmcnt(0)
	s_barrier
	ds_read_b32 v19, v19 offset:4
	v_cndmask_b32_e64 v18, v35, v34, s[16:17]
	s_movk_i32 s16, 0x1000
	v_add_u32_e64 v20, s16, 0
	s_waitcnt lgkmcnt(0)
	s_barrier
	ds_read2_b32 v[26:27], v20 offset0:32 offset1:34
	v_cndmask_b32_e64 v18, v18, 0, s[0:1]
	v_add_u32_e32 v24, v19, v18
	v_add_u32_sdwa v22, v24, v28 dst_sel:DWORD dst_unused:UNUSED_PAD src0_sel:DWORD src1_sel:BYTE_0
	v_add_u32_sdwa v20, v22, v28 dst_sel:DWORD dst_unused:UNUSED_PAD src0_sel:DWORD src1_sel:BYTE_1
	v_add_u32_e32 v18, v20, v30
	s_waitcnt lgkmcnt(0)
	v_readfirstlane_b32 s33, v26
	v_readfirstlane_b32 s16, v27
	s_branch .LBB1703_252
.LBB1703_242:
                                        ; implicit-def: $vgpr18
                                        ; implicit-def: $vgpr20
                                        ; implicit-def: $vgpr22
                                        ; implicit-def: $vgpr24
                                        ; implicit-def: $sgpr16
                                        ; implicit-def: $sgpr33
	s_cbranch_execz .LBB1703_252
; %bb.243:
	s_nop 0
	v_mov_b32_dpp v18, v33 row_shr:1 row_mask:0xf bank_mask:0xf
	v_cndmask_b32_e64 v18, v18, 0, s[14:15]
	v_add_u32_e32 v18, v18, v33
	s_nop 1
	v_mov_b32_dpp v19, v18 row_shr:2 row_mask:0xf bank_mask:0xf
	v_cndmask_b32_e64 v19, 0, v19, s[12:13]
	v_add_u32_e32 v18, v18, v19
	;; [unrolled: 4-line block ×4, first 2 shown]
	s_nop 1
	v_mov_b32_dpp v19, v18 row_bcast:15 row_mask:0xf bank_mask:0xf
	v_cndmask_b32_e64 v19, v19, 0, s[6:7]
	v_add_u32_e32 v18, v18, v19
	s_nop 1
	v_mov_b32_dpp v19, v18 row_bcast:31 row_mask:0xf bank_mask:0xf
	v_cndmask_b32_e64 v19, 0, v19, s[2:3]
	v_add_u32_e32 v18, v18, v19
	s_and_saveexec_b64 s[2:3], s[4:5]
	s_cbranch_execz .LBB1703_245
; %bb.244:
	v_lshlrev_b32_e32 v19, 2, v32
	ds_write_b32 v19, v18
.LBB1703_245:
	s_or_b64 exec, exec, s[2:3]
	v_cmp_gt_u32_e32 vcc, 2, v0
	s_waitcnt lgkmcnt(0)
	s_barrier
	s_and_saveexec_b64 s[2:3], vcc
	s_cbranch_execz .LBB1703_247
; %bb.246:
	ds_read_b32 v19, v1
	v_bfe_i32 v20, v31, 0, 1
	s_waitcnt lgkmcnt(0)
	v_mov_b32_dpp v21, v19 row_shr:1 row_mask:0xf bank_mask:0xf
	v_and_b32_e32 v20, v20, v21
	v_add_u32_e32 v19, v20, v19
	ds_write_b32 v1, v19
.LBB1703_247:
	s_or_b64 exec, exec, s[2:3]
	v_cmp_lt_u32_e32 vcc, 63, v0
	v_mov_b32_e32 v19, 0
	v_mov_b32_e32 v1, 0
	s_waitcnt lgkmcnt(0)
	s_barrier
	s_and_saveexec_b64 s[2:3], vcc
	s_cbranch_execz .LBB1703_249
; %bb.248:
	v_lshl_add_u32 v1, v32, 2, -4
	ds_read_b32 v1, v1
.LBB1703_249:
	s_or_b64 exec, exec, s[2:3]
	v_add_u32_e32 v20, -1, v31
	v_and_b32_e32 v21, 64, v31
	v_cmp_lt_i32_e32 vcc, v20, v21
	v_cndmask_b32_e32 v20, v20, v31, vcc
	s_waitcnt lgkmcnt(0)
	v_add_u32_e32 v18, v1, v18
	v_lshlrev_b32_e32 v20, 2, v20
	ds_read_b32 v19, v19 offset:4
	ds_bpermute_b32 v18, v20, v18
	s_waitcnt lgkmcnt(1)
	v_readfirstlane_b32 s33, v19
	s_and_saveexec_b64 s[2:3], s[0:1]
	s_cbranch_execz .LBB1703_251
; %bb.250:
	v_mov_b32_e32 v19, 0
	v_mov_b32_e32 v20, s33
	v_mov_b32_e32 v21, 2
	global_store_dwordx2 v19, v[20:21], s[18:19] offset:512
.LBB1703_251:
	s_or_b64 exec, exec, s[2:3]
	v_cmp_eq_u32_e32 vcc, 0, v31
	s_waitcnt lgkmcnt(0)
	v_cndmask_b32_e32 v1, v18, v1, vcc
	v_cndmask_b32_e64 v24, v1, 0, s[0:1]
	v_add_u32_sdwa v22, v24, v28 dst_sel:DWORD dst_unused:UNUSED_PAD src0_sel:DWORD src1_sel:BYTE_0
	v_add_u32_sdwa v20, v22, v28 dst_sel:DWORD dst_unused:UNUSED_PAD src0_sel:DWORD src1_sel:BYTE_1
	s_mov_b32 s16, 0
	v_add_u32_e32 v18, v20, v30
	s_barrier
.LBB1703_252:
	s_cmpk_lt_u32 s33, 0x81
	s_cselect_b64 s[4:5], -1, 0
	v_lshrrev_b32_e32 v1, 8, v28
	s_mov_b64 s[2:3], -1
	s_and_b64 vcc, exec, s[4:5]
	s_cbranch_vccz .LBB1703_266
; %bb.253:
	s_add_i32 s6, s16, s33
	v_cmp_gt_u32_e32 vcc, s6, v24
	s_or_b64 s[8:9], s[34:35], vcc
	s_and_saveexec_b64 s[2:3], s[8:9]
	s_cbranch_execz .LBB1703_256
; %bb.254:
	v_and_b32_e32 v19, 1, v28
	v_cmp_eq_u32_e32 vcc, 1, v19
	s_and_b64 exec, exec, vcc
	s_cbranch_execz .LBB1703_256
; %bb.255:
	s_lshl_b64 s[8:9], s[22:23], 3
	s_add_u32 s7, s28, s8
	v_mov_b32_e32 v25, 0
	s_addc_u32 s8, s29, s9
	v_lshlrev_b64 v[26:27], 3, v[24:25]
	v_mov_b32_e32 v19, s8
	v_add_co_u32_e32 v26, vcc, s7, v26
	v_addc_co_u32_e32 v27, vcc, v19, v27, vcc
	global_store_dwordx2 v[26:27], v[14:15], off
.LBB1703_256:
	s_or_b64 exec, exec, s[2:3]
	v_cmp_gt_u32_e32 vcc, s6, v22
	s_or_b64 s[8:9], s[34:35], vcc
	s_and_saveexec_b64 s[2:3], s[8:9]
	s_cbranch_execz .LBB1703_259
; %bb.257:
	v_and_b32_e32 v19, 1, v1
	v_cmp_eq_u32_e32 vcc, 1, v19
	s_and_b64 exec, exec, vcc
	s_cbranch_execz .LBB1703_259
; %bb.258:
	s_lshl_b64 s[8:9], s[22:23], 3
	s_add_u32 s7, s28, s8
	v_mov_b32_e32 v23, 0
	s_addc_u32 s8, s29, s9
	v_lshlrev_b64 v[26:27], 3, v[22:23]
	v_mov_b32_e32 v19, s8
	v_add_co_u32_e32 v26, vcc, s7, v26
	v_addc_co_u32_e32 v27, vcc, v19, v27, vcc
	global_store_dwordx2 v[26:27], v[16:17], off
.LBB1703_259:
	s_or_b64 exec, exec, s[2:3]
	v_cmp_gt_u32_e32 vcc, s6, v20
	s_or_b64 s[8:9], s[34:35], vcc
	s_and_saveexec_b64 s[2:3], s[8:9]
	s_cbranch_execz .LBB1703_262
; %bb.260:
	v_mov_b32_e32 v19, 1
	v_and_b32_sdwa v19, v19, v28 dst_sel:DWORD dst_unused:UNUSED_PAD src0_sel:DWORD src1_sel:WORD_1
	v_cmp_eq_u32_e32 vcc, 1, v19
	s_and_b64 exec, exec, vcc
	s_cbranch_execz .LBB1703_262
; %bb.261:
	s_lshl_b64 s[8:9], s[22:23], 3
	s_add_u32 s7, s28, s8
	v_mov_b32_e32 v21, 0
	s_addc_u32 s8, s29, s9
	v_lshlrev_b64 v[26:27], 3, v[20:21]
	v_mov_b32_e32 v19, s8
	v_add_co_u32_e32 v26, vcc, s7, v26
	v_addc_co_u32_e32 v27, vcc, v19, v27, vcc
	global_store_dwordx2 v[26:27], v[10:11], off
.LBB1703_262:
	s_or_b64 exec, exec, s[2:3]
	v_cmp_gt_u32_e32 vcc, s6, v18
	s_or_b64 s[6:7], s[34:35], vcc
	s_and_saveexec_b64 s[2:3], s[6:7]
	s_cbranch_execz .LBB1703_265
; %bb.263:
	v_and_b32_e32 v19, 1, v29
	v_cmp_eq_u32_e32 vcc, 1, v19
	s_and_b64 exec, exec, vcc
	s_cbranch_execz .LBB1703_265
; %bb.264:
	s_lshl_b64 s[6:7], s[22:23], 3
	s_add_u32 s6, s28, s6
	v_mov_b32_e32 v19, 0
	s_addc_u32 s7, s29, s7
	v_lshlrev_b64 v[26:27], 3, v[18:19]
	v_mov_b32_e32 v19, s7
	v_add_co_u32_e32 v26, vcc, s6, v26
	v_addc_co_u32_e32 v27, vcc, v19, v27, vcc
	global_store_dwordx2 v[26:27], v[12:13], off
.LBB1703_265:
	s_or_b64 exec, exec, s[2:3]
	s_mov_b64 s[2:3], 0
.LBB1703_266:
	v_and_b32_e32 v26, 1, v28
	s_and_b64 vcc, exec, s[2:3]
	v_cmp_eq_u32_e64 s[2:3], 1, v26
	s_cbranch_vccz .LBB1703_279
; %bb.267:
	s_and_saveexec_b64 s[6:7], s[2:3]
	s_cbranch_execz .LBB1703_269
; %bb.268:
	v_subrev_u32_e32 v19, s16, v24
	v_lshlrev_b32_e32 v19, 3, v19
	ds_write_b64 v19, v[14:15]
.LBB1703_269:
	s_or_b64 exec, exec, s[6:7]
	v_and_b32_e32 v14, 1, v1
	v_cmp_eq_u32_e32 vcc, 1, v14
	s_and_saveexec_b64 s[2:3], vcc
	s_cbranch_execz .LBB1703_271
; %bb.270:
	v_subrev_u32_e32 v14, s16, v22
	v_lshlrev_b32_e32 v14, 3, v14
	ds_write_b64 v14, v[16:17]
.LBB1703_271:
	s_or_b64 exec, exec, s[2:3]
	v_mov_b32_e32 v14, 1
	v_and_b32_sdwa v14, v14, v28 dst_sel:DWORD dst_unused:UNUSED_PAD src0_sel:DWORD src1_sel:WORD_1
	v_cmp_eq_u32_e32 vcc, 1, v14
	s_and_saveexec_b64 s[2:3], vcc
	s_cbranch_execz .LBB1703_273
; %bb.272:
	v_subrev_u32_e32 v14, s16, v20
	v_lshlrev_b32_e32 v14, 3, v14
	ds_write_b64 v14, v[10:11]
.LBB1703_273:
	s_or_b64 exec, exec, s[2:3]
	v_and_b32_e32 v10, 1, v29
	v_cmp_eq_u32_e32 vcc, 1, v10
	s_and_saveexec_b64 s[2:3], vcc
	s_cbranch_execz .LBB1703_275
; %bb.274:
	v_subrev_u32_e32 v10, s16, v18
	v_lshlrev_b32_e32 v10, 3, v10
	ds_write_b64 v10, v[12:13]
.LBB1703_275:
	s_or_b64 exec, exec, s[2:3]
	v_cmp_gt_u32_e32 vcc, s33, v0
	s_waitcnt lgkmcnt(0)
	s_barrier
	s_and_saveexec_b64 s[2:3], vcc
	s_cbranch_execz .LBB1703_278
; %bb.276:
	s_mov_b32 s17, 0
	s_lshl_b64 s[6:7], s[16:17], 3
	s_add_u32 s8, s28, s6
	s_addc_u32 s9, s29, s7
	s_lshl_b64 s[6:7], s[22:23], 3
	s_add_u32 s8, s8, s6
	s_addc_u32 s9, s9, s7
	v_lshlrev_b32_e32 v12, 3, v0
	s_mov_b64 s[6:7], 0
	v_mov_b32_e32 v11, 0
	v_mov_b32_e32 v13, s9
	;; [unrolled: 1-line block ×3, first 2 shown]
.LBB1703_277:                           ; =>This Inner Loop Header: Depth=1
	ds_read_b64 v[14:15], v12
	v_lshlrev_b64 v[16:17], 3, v[10:11]
	v_add_co_u32_e32 v16, vcc, s8, v16
	v_add_u32_e32 v10, 0x80, v10
	v_addc_co_u32_e32 v17, vcc, v13, v17, vcc
	v_cmp_le_u32_e32 vcc, s33, v10
	v_add_u32_e32 v12, 0x400, v12
	s_or_b64 s[6:7], vcc, s[6:7]
	s_waitcnt lgkmcnt(0)
	global_store_dwordx2 v[16:17], v[14:15], off
	s_andn2_b64 exec, exec, s[6:7]
	s_cbranch_execnz .LBB1703_277
.LBB1703_278:
	s_or_b64 exec, exec, s[2:3]
.LBB1703_279:
	s_mov_b64 s[2:3], -1
	s_and_b64 vcc, exec, s[4:5]
	s_barrier
	s_cbranch_vccnz .LBB1703_283
; %bb.280:
	s_and_b64 vcc, exec, s[2:3]
	s_cbranch_vccnz .LBB1703_296
.LBB1703_281:
	s_and_b64 s[0:1], s[0:1], s[24:25]
	s_and_saveexec_b64 s[2:3], s[0:1]
	s_cbranch_execnz .LBB1703_308
.LBB1703_282:
	s_endpgm
.LBB1703_283:
	s_add_i32 s4, s16, s33
	v_cmp_gt_u32_e32 vcc, s4, v24
	s_or_b64 s[6:7], s[34:35], vcc
	s_and_saveexec_b64 s[2:3], s[6:7]
	s_cbranch_execz .LBB1703_286
; %bb.284:
	v_cmp_eq_u32_e32 vcc, 1, v26
	s_and_b64 exec, exec, vcc
	s_cbranch_execz .LBB1703_286
; %bb.285:
	s_lshl_b64 s[6:7], s[22:23], 3
	s_add_u32 s5, s30, s6
	v_mov_b32_e32 v25, 0
	s_addc_u32 s6, s31, s7
	v_lshlrev_b64 v[10:11], 3, v[24:25]
	v_mov_b32_e32 v12, s6
	v_add_co_u32_e32 v10, vcc, s5, v10
	v_addc_co_u32_e32 v11, vcc, v12, v11, vcc
	global_store_dwordx2 v[10:11], v[6:7], off
.LBB1703_286:
	s_or_b64 exec, exec, s[2:3]
	v_cmp_gt_u32_e32 vcc, s4, v22
	s_or_b64 s[6:7], s[34:35], vcc
	s_and_saveexec_b64 s[2:3], s[6:7]
	s_cbranch_execz .LBB1703_289
; %bb.287:
	v_and_b32_e32 v10, 1, v1
	v_cmp_eq_u32_e32 vcc, 1, v10
	s_and_b64 exec, exec, vcc
	s_cbranch_execz .LBB1703_289
; %bb.288:
	s_lshl_b64 s[6:7], s[22:23], 3
	s_add_u32 s5, s30, s6
	v_mov_b32_e32 v23, 0
	s_addc_u32 s6, s31, s7
	v_lshlrev_b64 v[10:11], 3, v[22:23]
	v_mov_b32_e32 v12, s6
	v_add_co_u32_e32 v10, vcc, s5, v10
	v_addc_co_u32_e32 v11, vcc, v12, v11, vcc
	global_store_dwordx2 v[10:11], v[8:9], off
.LBB1703_289:
	s_or_b64 exec, exec, s[2:3]
	v_cmp_gt_u32_e32 vcc, s4, v20
	s_or_b64 s[6:7], s[34:35], vcc
	s_and_saveexec_b64 s[2:3], s[6:7]
	s_cbranch_execz .LBB1703_292
; %bb.290:
	v_mov_b32_e32 v10, 1
	v_and_b32_sdwa v10, v10, v28 dst_sel:DWORD dst_unused:UNUSED_PAD src0_sel:DWORD src1_sel:WORD_1
	v_cmp_eq_u32_e32 vcc, 1, v10
	s_and_b64 exec, exec, vcc
	s_cbranch_execz .LBB1703_292
; %bb.291:
	s_lshl_b64 s[6:7], s[22:23], 3
	s_add_u32 s5, s30, s6
	v_mov_b32_e32 v21, 0
	s_addc_u32 s6, s31, s7
	v_lshlrev_b64 v[10:11], 3, v[20:21]
	v_mov_b32_e32 v12, s6
	v_add_co_u32_e32 v10, vcc, s5, v10
	v_addc_co_u32_e32 v11, vcc, v12, v11, vcc
	global_store_dwordx2 v[10:11], v[2:3], off
.LBB1703_292:
	s_or_b64 exec, exec, s[2:3]
	v_cmp_gt_u32_e32 vcc, s4, v18
	s_or_b64 s[4:5], s[34:35], vcc
	s_and_saveexec_b64 s[2:3], s[4:5]
	s_cbranch_execz .LBB1703_295
; %bb.293:
	v_and_b32_e32 v10, 1, v29
	v_cmp_eq_u32_e32 vcc, 1, v10
	s_and_b64 exec, exec, vcc
	s_cbranch_execz .LBB1703_295
; %bb.294:
	s_lshl_b64 s[4:5], s[22:23], 3
	s_add_u32 s4, s30, s4
	v_mov_b32_e32 v19, 0
	s_addc_u32 s5, s31, s5
	v_lshlrev_b64 v[10:11], 3, v[18:19]
	v_mov_b32_e32 v12, s5
	v_add_co_u32_e32 v10, vcc, s4, v10
	v_addc_co_u32_e32 v11, vcc, v12, v11, vcc
	global_store_dwordx2 v[10:11], v[4:5], off
.LBB1703_295:
	s_or_b64 exec, exec, s[2:3]
	s_branch .LBB1703_281
.LBB1703_296:
	v_cmp_eq_u32_e32 vcc, 1, v26
	s_and_saveexec_b64 s[2:3], vcc
	s_cbranch_execz .LBB1703_298
; %bb.297:
	v_subrev_u32_e32 v10, s16, v24
	v_lshlrev_b32_e32 v10, 3, v10
	ds_write_b64 v10, v[6:7]
.LBB1703_298:
	s_or_b64 exec, exec, s[2:3]
	v_and_b32_e32 v1, 1, v1
	v_cmp_eq_u32_e32 vcc, 1, v1
	s_and_saveexec_b64 s[2:3], vcc
	s_cbranch_execz .LBB1703_300
; %bb.299:
	v_subrev_u32_e32 v1, s16, v22
	v_lshlrev_b32_e32 v1, 3, v1
	ds_write_b64 v1, v[8:9]
.LBB1703_300:
	s_or_b64 exec, exec, s[2:3]
	v_mov_b32_e32 v1, 1
	v_and_b32_sdwa v1, v1, v28 dst_sel:DWORD dst_unused:UNUSED_PAD src0_sel:DWORD src1_sel:WORD_1
	v_cmp_eq_u32_e32 vcc, 1, v1
	s_and_saveexec_b64 s[2:3], vcc
	s_cbranch_execz .LBB1703_302
; %bb.301:
	v_subrev_u32_e32 v1, s16, v20
	v_lshlrev_b32_e32 v1, 3, v1
	ds_write_b64 v1, v[2:3]
.LBB1703_302:
	s_or_b64 exec, exec, s[2:3]
	v_and_b32_e32 v1, 1, v29
	v_cmp_eq_u32_e32 vcc, 1, v1
	s_and_saveexec_b64 s[2:3], vcc
	s_cbranch_execz .LBB1703_304
; %bb.303:
	v_subrev_u32_e32 v1, s16, v18
	v_lshlrev_b32_e32 v1, 3, v1
	ds_write_b64 v1, v[4:5]
.LBB1703_304:
	s_or_b64 exec, exec, s[2:3]
	v_cmp_gt_u32_e32 vcc, s33, v0
	s_waitcnt lgkmcnt(0)
	s_barrier
	s_and_saveexec_b64 s[2:3], vcc
	s_cbranch_execz .LBB1703_307
; %bb.305:
	s_mov_b32 s17, 0
	s_lshl_b64 s[4:5], s[16:17], 3
	s_add_u32 s6, s30, s4
	s_addc_u32 s7, s31, s5
	s_lshl_b64 s[4:5], s[22:23], 3
	s_add_u32 s6, s6, s4
	s_addc_u32 s7, s7, s5
	v_lshlrev_b32_e32 v2, 3, v0
	s_mov_b64 s[4:5], 0
	v_mov_b32_e32 v1, 0
	v_mov_b32_e32 v3, s7
.LBB1703_306:                           ; =>This Inner Loop Header: Depth=1
	ds_read_b64 v[4:5], v2
	v_lshlrev_b64 v[6:7], 3, v[0:1]
	v_add_co_u32_e32 v6, vcc, s6, v6
	v_add_u32_e32 v0, 0x80, v0
	v_addc_co_u32_e32 v7, vcc, v3, v7, vcc
	v_cmp_le_u32_e32 vcc, s33, v0
	v_add_u32_e32 v2, 0x400, v2
	s_or_b64 s[4:5], vcc, s[4:5]
	s_waitcnt lgkmcnt(0)
	global_store_dwordx2 v[6:7], v[4:5], off
	s_andn2_b64 exec, exec, s[4:5]
	s_cbranch_execnz .LBB1703_306
.LBB1703_307:
	s_or_b64 exec, exec, s[2:3]
	s_and_b64 s[0:1], s[0:1], s[24:25]
	s_and_saveexec_b64 s[2:3], s[0:1]
	s_cbranch_execz .LBB1703_282
.LBB1703_308:
	s_add_u32 s0, s22, s33
	s_addc_u32 s1, s23, 0
	s_add_u32 s0, s0, s16
	s_addc_u32 s1, s1, 0
	v_mov_b32_e32 v2, 0
	v_pk_mov_b32 v[0:1], s[0:1], s[0:1] op_sel:[0,1]
	global_store_dwordx2 v2, v[0:1], s[20:21]
	s_endpgm
	.section	.rodata,"a",@progbits
	.p2align	6, 0x0
	.amdhsa_kernel _ZN7rocprim17ROCPRIM_400000_NS6detail17trampoline_kernelINS0_14default_configENS1_25partition_config_selectorILNS1_17partition_subalgoE9EllbEEZZNS1_14partition_implILS5_9ELb0ES3_jPlS8_PNS0_10empty_typeENS0_5tupleIJS8_S9_EEENSB_IJS8_SA_EEENS0_18inequality_wrapperIZN2at6native12_GLOBAL__N_124unique_dim_cuda_templateImEESt5tupleIJNSF_6TensorESK_SK_EERKSK_lbbbEUlllE0_EEPmJS9_EEE10hipError_tPvRmT3_T4_T5_T6_T7_T9_mT8_P12ihipStream_tbDpT10_ENKUlT_T0_E_clISt17integral_constantIbLb1EES1A_EEDaS15_S16_EUlS15_E_NS1_11comp_targetILNS1_3genE4ELNS1_11target_archE910ELNS1_3gpuE8ELNS1_3repE0EEENS1_30default_config_static_selectorELNS0_4arch9wavefront6targetE1EEEvT1_
		.amdhsa_group_segment_fixed_size 4236
		.amdhsa_private_segment_fixed_size 0
		.amdhsa_kernarg_size 136
		.amdhsa_user_sgpr_count 6
		.amdhsa_user_sgpr_private_segment_buffer 1
		.amdhsa_user_sgpr_dispatch_ptr 0
		.amdhsa_user_sgpr_queue_ptr 0
		.amdhsa_user_sgpr_kernarg_segment_ptr 1
		.amdhsa_user_sgpr_dispatch_id 0
		.amdhsa_user_sgpr_flat_scratch_init 0
		.amdhsa_user_sgpr_kernarg_preload_length 0
		.amdhsa_user_sgpr_kernarg_preload_offset 0
		.amdhsa_user_sgpr_private_segment_size 0
		.amdhsa_uses_dynamic_stack 0
		.amdhsa_system_sgpr_private_segment_wavefront_offset 0
		.amdhsa_system_sgpr_workgroup_id_x 1
		.amdhsa_system_sgpr_workgroup_id_y 0
		.amdhsa_system_sgpr_workgroup_id_z 0
		.amdhsa_system_sgpr_workgroup_info 0
		.amdhsa_system_vgpr_workitem_id 0
		.amdhsa_next_free_vgpr 50
		.amdhsa_next_free_sgpr 52
		.amdhsa_accum_offset 52
		.amdhsa_reserve_vcc 1
		.amdhsa_reserve_flat_scratch 0
		.amdhsa_float_round_mode_32 0
		.amdhsa_float_round_mode_16_64 0
		.amdhsa_float_denorm_mode_32 3
		.amdhsa_float_denorm_mode_16_64 3
		.amdhsa_dx10_clamp 1
		.amdhsa_ieee_mode 1
		.amdhsa_fp16_overflow 0
		.amdhsa_tg_split 0
		.amdhsa_exception_fp_ieee_invalid_op 0
		.amdhsa_exception_fp_denorm_src 0
		.amdhsa_exception_fp_ieee_div_zero 0
		.amdhsa_exception_fp_ieee_overflow 0
		.amdhsa_exception_fp_ieee_underflow 0
		.amdhsa_exception_fp_ieee_inexact 0
		.amdhsa_exception_int_div_zero 0
	.end_amdhsa_kernel
	.section	.text._ZN7rocprim17ROCPRIM_400000_NS6detail17trampoline_kernelINS0_14default_configENS1_25partition_config_selectorILNS1_17partition_subalgoE9EllbEEZZNS1_14partition_implILS5_9ELb0ES3_jPlS8_PNS0_10empty_typeENS0_5tupleIJS8_S9_EEENSB_IJS8_SA_EEENS0_18inequality_wrapperIZN2at6native12_GLOBAL__N_124unique_dim_cuda_templateImEESt5tupleIJNSF_6TensorESK_SK_EERKSK_lbbbEUlllE0_EEPmJS9_EEE10hipError_tPvRmT3_T4_T5_T6_T7_T9_mT8_P12ihipStream_tbDpT10_ENKUlT_T0_E_clISt17integral_constantIbLb1EES1A_EEDaS15_S16_EUlS15_E_NS1_11comp_targetILNS1_3genE4ELNS1_11target_archE910ELNS1_3gpuE8ELNS1_3repE0EEENS1_30default_config_static_selectorELNS0_4arch9wavefront6targetE1EEEvT1_,"axG",@progbits,_ZN7rocprim17ROCPRIM_400000_NS6detail17trampoline_kernelINS0_14default_configENS1_25partition_config_selectorILNS1_17partition_subalgoE9EllbEEZZNS1_14partition_implILS5_9ELb0ES3_jPlS8_PNS0_10empty_typeENS0_5tupleIJS8_S9_EEENSB_IJS8_SA_EEENS0_18inequality_wrapperIZN2at6native12_GLOBAL__N_124unique_dim_cuda_templateImEESt5tupleIJNSF_6TensorESK_SK_EERKSK_lbbbEUlllE0_EEPmJS9_EEE10hipError_tPvRmT3_T4_T5_T6_T7_T9_mT8_P12ihipStream_tbDpT10_ENKUlT_T0_E_clISt17integral_constantIbLb1EES1A_EEDaS15_S16_EUlS15_E_NS1_11comp_targetILNS1_3genE4ELNS1_11target_archE910ELNS1_3gpuE8ELNS1_3repE0EEENS1_30default_config_static_selectorELNS0_4arch9wavefront6targetE1EEEvT1_,comdat
.Lfunc_end1703:
	.size	_ZN7rocprim17ROCPRIM_400000_NS6detail17trampoline_kernelINS0_14default_configENS1_25partition_config_selectorILNS1_17partition_subalgoE9EllbEEZZNS1_14partition_implILS5_9ELb0ES3_jPlS8_PNS0_10empty_typeENS0_5tupleIJS8_S9_EEENSB_IJS8_SA_EEENS0_18inequality_wrapperIZN2at6native12_GLOBAL__N_124unique_dim_cuda_templateImEESt5tupleIJNSF_6TensorESK_SK_EERKSK_lbbbEUlllE0_EEPmJS9_EEE10hipError_tPvRmT3_T4_T5_T6_T7_T9_mT8_P12ihipStream_tbDpT10_ENKUlT_T0_E_clISt17integral_constantIbLb1EES1A_EEDaS15_S16_EUlS15_E_NS1_11comp_targetILNS1_3genE4ELNS1_11target_archE910ELNS1_3gpuE8ELNS1_3repE0EEENS1_30default_config_static_selectorELNS0_4arch9wavefront6targetE1EEEvT1_, .Lfunc_end1703-_ZN7rocprim17ROCPRIM_400000_NS6detail17trampoline_kernelINS0_14default_configENS1_25partition_config_selectorILNS1_17partition_subalgoE9EllbEEZZNS1_14partition_implILS5_9ELb0ES3_jPlS8_PNS0_10empty_typeENS0_5tupleIJS8_S9_EEENSB_IJS8_SA_EEENS0_18inequality_wrapperIZN2at6native12_GLOBAL__N_124unique_dim_cuda_templateImEESt5tupleIJNSF_6TensorESK_SK_EERKSK_lbbbEUlllE0_EEPmJS9_EEE10hipError_tPvRmT3_T4_T5_T6_T7_T9_mT8_P12ihipStream_tbDpT10_ENKUlT_T0_E_clISt17integral_constantIbLb1EES1A_EEDaS15_S16_EUlS15_E_NS1_11comp_targetILNS1_3genE4ELNS1_11target_archE910ELNS1_3gpuE8ELNS1_3repE0EEENS1_30default_config_static_selectorELNS0_4arch9wavefront6targetE1EEEvT1_
                                        ; -- End function
	.section	.AMDGPU.csdata,"",@progbits
; Kernel info:
; codeLenInByte = 10980
; NumSgprs: 56
; NumVgprs: 50
; NumAgprs: 0
; TotalNumVgprs: 50
; ScratchSize: 0
; MemoryBound: 1
; FloatMode: 240
; IeeeMode: 1
; LDSByteSize: 4236 bytes/workgroup (compile time only)
; SGPRBlocks: 6
; VGPRBlocks: 6
; NumSGPRsForWavesPerEU: 56
; NumVGPRsForWavesPerEU: 50
; AccumOffset: 52
; Occupancy: 8
; WaveLimiterHint : 1
; COMPUTE_PGM_RSRC2:SCRATCH_EN: 0
; COMPUTE_PGM_RSRC2:USER_SGPR: 6
; COMPUTE_PGM_RSRC2:TRAP_HANDLER: 0
; COMPUTE_PGM_RSRC2:TGID_X_EN: 1
; COMPUTE_PGM_RSRC2:TGID_Y_EN: 0
; COMPUTE_PGM_RSRC2:TGID_Z_EN: 0
; COMPUTE_PGM_RSRC2:TIDIG_COMP_CNT: 0
; COMPUTE_PGM_RSRC3_GFX90A:ACCUM_OFFSET: 12
; COMPUTE_PGM_RSRC3_GFX90A:TG_SPLIT: 0
	.section	.text._ZN7rocprim17ROCPRIM_400000_NS6detail17trampoline_kernelINS0_14default_configENS1_25partition_config_selectorILNS1_17partition_subalgoE9EllbEEZZNS1_14partition_implILS5_9ELb0ES3_jPlS8_PNS0_10empty_typeENS0_5tupleIJS8_S9_EEENSB_IJS8_SA_EEENS0_18inequality_wrapperIZN2at6native12_GLOBAL__N_124unique_dim_cuda_templateImEESt5tupleIJNSF_6TensorESK_SK_EERKSK_lbbbEUlllE0_EEPmJS9_EEE10hipError_tPvRmT3_T4_T5_T6_T7_T9_mT8_P12ihipStream_tbDpT10_ENKUlT_T0_E_clISt17integral_constantIbLb1EES1A_EEDaS15_S16_EUlS15_E_NS1_11comp_targetILNS1_3genE3ELNS1_11target_archE908ELNS1_3gpuE7ELNS1_3repE0EEENS1_30default_config_static_selectorELNS0_4arch9wavefront6targetE1EEEvT1_,"axG",@progbits,_ZN7rocprim17ROCPRIM_400000_NS6detail17trampoline_kernelINS0_14default_configENS1_25partition_config_selectorILNS1_17partition_subalgoE9EllbEEZZNS1_14partition_implILS5_9ELb0ES3_jPlS8_PNS0_10empty_typeENS0_5tupleIJS8_S9_EEENSB_IJS8_SA_EEENS0_18inequality_wrapperIZN2at6native12_GLOBAL__N_124unique_dim_cuda_templateImEESt5tupleIJNSF_6TensorESK_SK_EERKSK_lbbbEUlllE0_EEPmJS9_EEE10hipError_tPvRmT3_T4_T5_T6_T7_T9_mT8_P12ihipStream_tbDpT10_ENKUlT_T0_E_clISt17integral_constantIbLb1EES1A_EEDaS15_S16_EUlS15_E_NS1_11comp_targetILNS1_3genE3ELNS1_11target_archE908ELNS1_3gpuE7ELNS1_3repE0EEENS1_30default_config_static_selectorELNS0_4arch9wavefront6targetE1EEEvT1_,comdat
	.globl	_ZN7rocprim17ROCPRIM_400000_NS6detail17trampoline_kernelINS0_14default_configENS1_25partition_config_selectorILNS1_17partition_subalgoE9EllbEEZZNS1_14partition_implILS5_9ELb0ES3_jPlS8_PNS0_10empty_typeENS0_5tupleIJS8_S9_EEENSB_IJS8_SA_EEENS0_18inequality_wrapperIZN2at6native12_GLOBAL__N_124unique_dim_cuda_templateImEESt5tupleIJNSF_6TensorESK_SK_EERKSK_lbbbEUlllE0_EEPmJS9_EEE10hipError_tPvRmT3_T4_T5_T6_T7_T9_mT8_P12ihipStream_tbDpT10_ENKUlT_T0_E_clISt17integral_constantIbLb1EES1A_EEDaS15_S16_EUlS15_E_NS1_11comp_targetILNS1_3genE3ELNS1_11target_archE908ELNS1_3gpuE7ELNS1_3repE0EEENS1_30default_config_static_selectorELNS0_4arch9wavefront6targetE1EEEvT1_ ; -- Begin function _ZN7rocprim17ROCPRIM_400000_NS6detail17trampoline_kernelINS0_14default_configENS1_25partition_config_selectorILNS1_17partition_subalgoE9EllbEEZZNS1_14partition_implILS5_9ELb0ES3_jPlS8_PNS0_10empty_typeENS0_5tupleIJS8_S9_EEENSB_IJS8_SA_EEENS0_18inequality_wrapperIZN2at6native12_GLOBAL__N_124unique_dim_cuda_templateImEESt5tupleIJNSF_6TensorESK_SK_EERKSK_lbbbEUlllE0_EEPmJS9_EEE10hipError_tPvRmT3_T4_T5_T6_T7_T9_mT8_P12ihipStream_tbDpT10_ENKUlT_T0_E_clISt17integral_constantIbLb1EES1A_EEDaS15_S16_EUlS15_E_NS1_11comp_targetILNS1_3genE3ELNS1_11target_archE908ELNS1_3gpuE7ELNS1_3repE0EEENS1_30default_config_static_selectorELNS0_4arch9wavefront6targetE1EEEvT1_
	.p2align	8
	.type	_ZN7rocprim17ROCPRIM_400000_NS6detail17trampoline_kernelINS0_14default_configENS1_25partition_config_selectorILNS1_17partition_subalgoE9EllbEEZZNS1_14partition_implILS5_9ELb0ES3_jPlS8_PNS0_10empty_typeENS0_5tupleIJS8_S9_EEENSB_IJS8_SA_EEENS0_18inequality_wrapperIZN2at6native12_GLOBAL__N_124unique_dim_cuda_templateImEESt5tupleIJNSF_6TensorESK_SK_EERKSK_lbbbEUlllE0_EEPmJS9_EEE10hipError_tPvRmT3_T4_T5_T6_T7_T9_mT8_P12ihipStream_tbDpT10_ENKUlT_T0_E_clISt17integral_constantIbLb1EES1A_EEDaS15_S16_EUlS15_E_NS1_11comp_targetILNS1_3genE3ELNS1_11target_archE908ELNS1_3gpuE7ELNS1_3repE0EEENS1_30default_config_static_selectorELNS0_4arch9wavefront6targetE1EEEvT1_,@function
_ZN7rocprim17ROCPRIM_400000_NS6detail17trampoline_kernelINS0_14default_configENS1_25partition_config_selectorILNS1_17partition_subalgoE9EllbEEZZNS1_14partition_implILS5_9ELb0ES3_jPlS8_PNS0_10empty_typeENS0_5tupleIJS8_S9_EEENSB_IJS8_SA_EEENS0_18inequality_wrapperIZN2at6native12_GLOBAL__N_124unique_dim_cuda_templateImEESt5tupleIJNSF_6TensorESK_SK_EERKSK_lbbbEUlllE0_EEPmJS9_EEE10hipError_tPvRmT3_T4_T5_T6_T7_T9_mT8_P12ihipStream_tbDpT10_ENKUlT_T0_E_clISt17integral_constantIbLb1EES1A_EEDaS15_S16_EUlS15_E_NS1_11comp_targetILNS1_3genE3ELNS1_11target_archE908ELNS1_3gpuE7ELNS1_3repE0EEENS1_30default_config_static_selectorELNS0_4arch9wavefront6targetE1EEEvT1_: ; @_ZN7rocprim17ROCPRIM_400000_NS6detail17trampoline_kernelINS0_14default_configENS1_25partition_config_selectorILNS1_17partition_subalgoE9EllbEEZZNS1_14partition_implILS5_9ELb0ES3_jPlS8_PNS0_10empty_typeENS0_5tupleIJS8_S9_EEENSB_IJS8_SA_EEENS0_18inequality_wrapperIZN2at6native12_GLOBAL__N_124unique_dim_cuda_templateImEESt5tupleIJNSF_6TensorESK_SK_EERKSK_lbbbEUlllE0_EEPmJS9_EEE10hipError_tPvRmT3_T4_T5_T6_T7_T9_mT8_P12ihipStream_tbDpT10_ENKUlT_T0_E_clISt17integral_constantIbLb1EES1A_EEDaS15_S16_EUlS15_E_NS1_11comp_targetILNS1_3genE3ELNS1_11target_archE908ELNS1_3gpuE7ELNS1_3repE0EEENS1_30default_config_static_selectorELNS0_4arch9wavefront6targetE1EEEvT1_
; %bb.0:
	.section	.rodata,"a",@progbits
	.p2align	6, 0x0
	.amdhsa_kernel _ZN7rocprim17ROCPRIM_400000_NS6detail17trampoline_kernelINS0_14default_configENS1_25partition_config_selectorILNS1_17partition_subalgoE9EllbEEZZNS1_14partition_implILS5_9ELb0ES3_jPlS8_PNS0_10empty_typeENS0_5tupleIJS8_S9_EEENSB_IJS8_SA_EEENS0_18inequality_wrapperIZN2at6native12_GLOBAL__N_124unique_dim_cuda_templateImEESt5tupleIJNSF_6TensorESK_SK_EERKSK_lbbbEUlllE0_EEPmJS9_EEE10hipError_tPvRmT3_T4_T5_T6_T7_T9_mT8_P12ihipStream_tbDpT10_ENKUlT_T0_E_clISt17integral_constantIbLb1EES1A_EEDaS15_S16_EUlS15_E_NS1_11comp_targetILNS1_3genE3ELNS1_11target_archE908ELNS1_3gpuE7ELNS1_3repE0EEENS1_30default_config_static_selectorELNS0_4arch9wavefront6targetE1EEEvT1_
		.amdhsa_group_segment_fixed_size 0
		.amdhsa_private_segment_fixed_size 0
		.amdhsa_kernarg_size 136
		.amdhsa_user_sgpr_count 6
		.amdhsa_user_sgpr_private_segment_buffer 1
		.amdhsa_user_sgpr_dispatch_ptr 0
		.amdhsa_user_sgpr_queue_ptr 0
		.amdhsa_user_sgpr_kernarg_segment_ptr 1
		.amdhsa_user_sgpr_dispatch_id 0
		.amdhsa_user_sgpr_flat_scratch_init 0
		.amdhsa_user_sgpr_kernarg_preload_length 0
		.amdhsa_user_sgpr_kernarg_preload_offset 0
		.amdhsa_user_sgpr_private_segment_size 0
		.amdhsa_uses_dynamic_stack 0
		.amdhsa_system_sgpr_private_segment_wavefront_offset 0
		.amdhsa_system_sgpr_workgroup_id_x 1
		.amdhsa_system_sgpr_workgroup_id_y 0
		.amdhsa_system_sgpr_workgroup_id_z 0
		.amdhsa_system_sgpr_workgroup_info 0
		.amdhsa_system_vgpr_workitem_id 0
		.amdhsa_next_free_vgpr 1
		.amdhsa_next_free_sgpr 0
		.amdhsa_accum_offset 4
		.amdhsa_reserve_vcc 0
		.amdhsa_reserve_flat_scratch 0
		.amdhsa_float_round_mode_32 0
		.amdhsa_float_round_mode_16_64 0
		.amdhsa_float_denorm_mode_32 3
		.amdhsa_float_denorm_mode_16_64 3
		.amdhsa_dx10_clamp 1
		.amdhsa_ieee_mode 1
		.amdhsa_fp16_overflow 0
		.amdhsa_tg_split 0
		.amdhsa_exception_fp_ieee_invalid_op 0
		.amdhsa_exception_fp_denorm_src 0
		.amdhsa_exception_fp_ieee_div_zero 0
		.amdhsa_exception_fp_ieee_overflow 0
		.amdhsa_exception_fp_ieee_underflow 0
		.amdhsa_exception_fp_ieee_inexact 0
		.amdhsa_exception_int_div_zero 0
	.end_amdhsa_kernel
	.section	.text._ZN7rocprim17ROCPRIM_400000_NS6detail17trampoline_kernelINS0_14default_configENS1_25partition_config_selectorILNS1_17partition_subalgoE9EllbEEZZNS1_14partition_implILS5_9ELb0ES3_jPlS8_PNS0_10empty_typeENS0_5tupleIJS8_S9_EEENSB_IJS8_SA_EEENS0_18inequality_wrapperIZN2at6native12_GLOBAL__N_124unique_dim_cuda_templateImEESt5tupleIJNSF_6TensorESK_SK_EERKSK_lbbbEUlllE0_EEPmJS9_EEE10hipError_tPvRmT3_T4_T5_T6_T7_T9_mT8_P12ihipStream_tbDpT10_ENKUlT_T0_E_clISt17integral_constantIbLb1EES1A_EEDaS15_S16_EUlS15_E_NS1_11comp_targetILNS1_3genE3ELNS1_11target_archE908ELNS1_3gpuE7ELNS1_3repE0EEENS1_30default_config_static_selectorELNS0_4arch9wavefront6targetE1EEEvT1_,"axG",@progbits,_ZN7rocprim17ROCPRIM_400000_NS6detail17trampoline_kernelINS0_14default_configENS1_25partition_config_selectorILNS1_17partition_subalgoE9EllbEEZZNS1_14partition_implILS5_9ELb0ES3_jPlS8_PNS0_10empty_typeENS0_5tupleIJS8_S9_EEENSB_IJS8_SA_EEENS0_18inequality_wrapperIZN2at6native12_GLOBAL__N_124unique_dim_cuda_templateImEESt5tupleIJNSF_6TensorESK_SK_EERKSK_lbbbEUlllE0_EEPmJS9_EEE10hipError_tPvRmT3_T4_T5_T6_T7_T9_mT8_P12ihipStream_tbDpT10_ENKUlT_T0_E_clISt17integral_constantIbLb1EES1A_EEDaS15_S16_EUlS15_E_NS1_11comp_targetILNS1_3genE3ELNS1_11target_archE908ELNS1_3gpuE7ELNS1_3repE0EEENS1_30default_config_static_selectorELNS0_4arch9wavefront6targetE1EEEvT1_,comdat
.Lfunc_end1704:
	.size	_ZN7rocprim17ROCPRIM_400000_NS6detail17trampoline_kernelINS0_14default_configENS1_25partition_config_selectorILNS1_17partition_subalgoE9EllbEEZZNS1_14partition_implILS5_9ELb0ES3_jPlS8_PNS0_10empty_typeENS0_5tupleIJS8_S9_EEENSB_IJS8_SA_EEENS0_18inequality_wrapperIZN2at6native12_GLOBAL__N_124unique_dim_cuda_templateImEESt5tupleIJNSF_6TensorESK_SK_EERKSK_lbbbEUlllE0_EEPmJS9_EEE10hipError_tPvRmT3_T4_T5_T6_T7_T9_mT8_P12ihipStream_tbDpT10_ENKUlT_T0_E_clISt17integral_constantIbLb1EES1A_EEDaS15_S16_EUlS15_E_NS1_11comp_targetILNS1_3genE3ELNS1_11target_archE908ELNS1_3gpuE7ELNS1_3repE0EEENS1_30default_config_static_selectorELNS0_4arch9wavefront6targetE1EEEvT1_, .Lfunc_end1704-_ZN7rocprim17ROCPRIM_400000_NS6detail17trampoline_kernelINS0_14default_configENS1_25partition_config_selectorILNS1_17partition_subalgoE9EllbEEZZNS1_14partition_implILS5_9ELb0ES3_jPlS8_PNS0_10empty_typeENS0_5tupleIJS8_S9_EEENSB_IJS8_SA_EEENS0_18inequality_wrapperIZN2at6native12_GLOBAL__N_124unique_dim_cuda_templateImEESt5tupleIJNSF_6TensorESK_SK_EERKSK_lbbbEUlllE0_EEPmJS9_EEE10hipError_tPvRmT3_T4_T5_T6_T7_T9_mT8_P12ihipStream_tbDpT10_ENKUlT_T0_E_clISt17integral_constantIbLb1EES1A_EEDaS15_S16_EUlS15_E_NS1_11comp_targetILNS1_3genE3ELNS1_11target_archE908ELNS1_3gpuE7ELNS1_3repE0EEENS1_30default_config_static_selectorELNS0_4arch9wavefront6targetE1EEEvT1_
                                        ; -- End function
	.section	.AMDGPU.csdata,"",@progbits
; Kernel info:
; codeLenInByte = 0
; NumSgprs: 4
; NumVgprs: 0
; NumAgprs: 0
; TotalNumVgprs: 0
; ScratchSize: 0
; MemoryBound: 0
; FloatMode: 240
; IeeeMode: 1
; LDSByteSize: 0 bytes/workgroup (compile time only)
; SGPRBlocks: 0
; VGPRBlocks: 0
; NumSGPRsForWavesPerEU: 4
; NumVGPRsForWavesPerEU: 1
; AccumOffset: 4
; Occupancy: 8
; WaveLimiterHint : 0
; COMPUTE_PGM_RSRC2:SCRATCH_EN: 0
; COMPUTE_PGM_RSRC2:USER_SGPR: 6
; COMPUTE_PGM_RSRC2:TRAP_HANDLER: 0
; COMPUTE_PGM_RSRC2:TGID_X_EN: 1
; COMPUTE_PGM_RSRC2:TGID_Y_EN: 0
; COMPUTE_PGM_RSRC2:TGID_Z_EN: 0
; COMPUTE_PGM_RSRC2:TIDIG_COMP_CNT: 0
; COMPUTE_PGM_RSRC3_GFX90A:ACCUM_OFFSET: 0
; COMPUTE_PGM_RSRC3_GFX90A:TG_SPLIT: 0
	.section	.text._ZN7rocprim17ROCPRIM_400000_NS6detail17trampoline_kernelINS0_14default_configENS1_25partition_config_selectorILNS1_17partition_subalgoE9EllbEEZZNS1_14partition_implILS5_9ELb0ES3_jPlS8_PNS0_10empty_typeENS0_5tupleIJS8_S9_EEENSB_IJS8_SA_EEENS0_18inequality_wrapperIZN2at6native12_GLOBAL__N_124unique_dim_cuda_templateImEESt5tupleIJNSF_6TensorESK_SK_EERKSK_lbbbEUlllE0_EEPmJS9_EEE10hipError_tPvRmT3_T4_T5_T6_T7_T9_mT8_P12ihipStream_tbDpT10_ENKUlT_T0_E_clISt17integral_constantIbLb1EES1A_EEDaS15_S16_EUlS15_E_NS1_11comp_targetILNS1_3genE2ELNS1_11target_archE906ELNS1_3gpuE6ELNS1_3repE0EEENS1_30default_config_static_selectorELNS0_4arch9wavefront6targetE1EEEvT1_,"axG",@progbits,_ZN7rocprim17ROCPRIM_400000_NS6detail17trampoline_kernelINS0_14default_configENS1_25partition_config_selectorILNS1_17partition_subalgoE9EllbEEZZNS1_14partition_implILS5_9ELb0ES3_jPlS8_PNS0_10empty_typeENS0_5tupleIJS8_S9_EEENSB_IJS8_SA_EEENS0_18inequality_wrapperIZN2at6native12_GLOBAL__N_124unique_dim_cuda_templateImEESt5tupleIJNSF_6TensorESK_SK_EERKSK_lbbbEUlllE0_EEPmJS9_EEE10hipError_tPvRmT3_T4_T5_T6_T7_T9_mT8_P12ihipStream_tbDpT10_ENKUlT_T0_E_clISt17integral_constantIbLb1EES1A_EEDaS15_S16_EUlS15_E_NS1_11comp_targetILNS1_3genE2ELNS1_11target_archE906ELNS1_3gpuE6ELNS1_3repE0EEENS1_30default_config_static_selectorELNS0_4arch9wavefront6targetE1EEEvT1_,comdat
	.globl	_ZN7rocprim17ROCPRIM_400000_NS6detail17trampoline_kernelINS0_14default_configENS1_25partition_config_selectorILNS1_17partition_subalgoE9EllbEEZZNS1_14partition_implILS5_9ELb0ES3_jPlS8_PNS0_10empty_typeENS0_5tupleIJS8_S9_EEENSB_IJS8_SA_EEENS0_18inequality_wrapperIZN2at6native12_GLOBAL__N_124unique_dim_cuda_templateImEESt5tupleIJNSF_6TensorESK_SK_EERKSK_lbbbEUlllE0_EEPmJS9_EEE10hipError_tPvRmT3_T4_T5_T6_T7_T9_mT8_P12ihipStream_tbDpT10_ENKUlT_T0_E_clISt17integral_constantIbLb1EES1A_EEDaS15_S16_EUlS15_E_NS1_11comp_targetILNS1_3genE2ELNS1_11target_archE906ELNS1_3gpuE6ELNS1_3repE0EEENS1_30default_config_static_selectorELNS0_4arch9wavefront6targetE1EEEvT1_ ; -- Begin function _ZN7rocprim17ROCPRIM_400000_NS6detail17trampoline_kernelINS0_14default_configENS1_25partition_config_selectorILNS1_17partition_subalgoE9EllbEEZZNS1_14partition_implILS5_9ELb0ES3_jPlS8_PNS0_10empty_typeENS0_5tupleIJS8_S9_EEENSB_IJS8_SA_EEENS0_18inequality_wrapperIZN2at6native12_GLOBAL__N_124unique_dim_cuda_templateImEESt5tupleIJNSF_6TensorESK_SK_EERKSK_lbbbEUlllE0_EEPmJS9_EEE10hipError_tPvRmT3_T4_T5_T6_T7_T9_mT8_P12ihipStream_tbDpT10_ENKUlT_T0_E_clISt17integral_constantIbLb1EES1A_EEDaS15_S16_EUlS15_E_NS1_11comp_targetILNS1_3genE2ELNS1_11target_archE906ELNS1_3gpuE6ELNS1_3repE0EEENS1_30default_config_static_selectorELNS0_4arch9wavefront6targetE1EEEvT1_
	.p2align	8
	.type	_ZN7rocprim17ROCPRIM_400000_NS6detail17trampoline_kernelINS0_14default_configENS1_25partition_config_selectorILNS1_17partition_subalgoE9EllbEEZZNS1_14partition_implILS5_9ELb0ES3_jPlS8_PNS0_10empty_typeENS0_5tupleIJS8_S9_EEENSB_IJS8_SA_EEENS0_18inequality_wrapperIZN2at6native12_GLOBAL__N_124unique_dim_cuda_templateImEESt5tupleIJNSF_6TensorESK_SK_EERKSK_lbbbEUlllE0_EEPmJS9_EEE10hipError_tPvRmT3_T4_T5_T6_T7_T9_mT8_P12ihipStream_tbDpT10_ENKUlT_T0_E_clISt17integral_constantIbLb1EES1A_EEDaS15_S16_EUlS15_E_NS1_11comp_targetILNS1_3genE2ELNS1_11target_archE906ELNS1_3gpuE6ELNS1_3repE0EEENS1_30default_config_static_selectorELNS0_4arch9wavefront6targetE1EEEvT1_,@function
_ZN7rocprim17ROCPRIM_400000_NS6detail17trampoline_kernelINS0_14default_configENS1_25partition_config_selectorILNS1_17partition_subalgoE9EllbEEZZNS1_14partition_implILS5_9ELb0ES3_jPlS8_PNS0_10empty_typeENS0_5tupleIJS8_S9_EEENSB_IJS8_SA_EEENS0_18inequality_wrapperIZN2at6native12_GLOBAL__N_124unique_dim_cuda_templateImEESt5tupleIJNSF_6TensorESK_SK_EERKSK_lbbbEUlllE0_EEPmJS9_EEE10hipError_tPvRmT3_T4_T5_T6_T7_T9_mT8_P12ihipStream_tbDpT10_ENKUlT_T0_E_clISt17integral_constantIbLb1EES1A_EEDaS15_S16_EUlS15_E_NS1_11comp_targetILNS1_3genE2ELNS1_11target_archE906ELNS1_3gpuE6ELNS1_3repE0EEENS1_30default_config_static_selectorELNS0_4arch9wavefront6targetE1EEEvT1_: ; @_ZN7rocprim17ROCPRIM_400000_NS6detail17trampoline_kernelINS0_14default_configENS1_25partition_config_selectorILNS1_17partition_subalgoE9EllbEEZZNS1_14partition_implILS5_9ELb0ES3_jPlS8_PNS0_10empty_typeENS0_5tupleIJS8_S9_EEENSB_IJS8_SA_EEENS0_18inequality_wrapperIZN2at6native12_GLOBAL__N_124unique_dim_cuda_templateImEESt5tupleIJNSF_6TensorESK_SK_EERKSK_lbbbEUlllE0_EEPmJS9_EEE10hipError_tPvRmT3_T4_T5_T6_T7_T9_mT8_P12ihipStream_tbDpT10_ENKUlT_T0_E_clISt17integral_constantIbLb1EES1A_EEDaS15_S16_EUlS15_E_NS1_11comp_targetILNS1_3genE2ELNS1_11target_archE906ELNS1_3gpuE6ELNS1_3repE0EEENS1_30default_config_static_selectorELNS0_4arch9wavefront6targetE1EEEvT1_
; %bb.0:
	.section	.rodata,"a",@progbits
	.p2align	6, 0x0
	.amdhsa_kernel _ZN7rocprim17ROCPRIM_400000_NS6detail17trampoline_kernelINS0_14default_configENS1_25partition_config_selectorILNS1_17partition_subalgoE9EllbEEZZNS1_14partition_implILS5_9ELb0ES3_jPlS8_PNS0_10empty_typeENS0_5tupleIJS8_S9_EEENSB_IJS8_SA_EEENS0_18inequality_wrapperIZN2at6native12_GLOBAL__N_124unique_dim_cuda_templateImEESt5tupleIJNSF_6TensorESK_SK_EERKSK_lbbbEUlllE0_EEPmJS9_EEE10hipError_tPvRmT3_T4_T5_T6_T7_T9_mT8_P12ihipStream_tbDpT10_ENKUlT_T0_E_clISt17integral_constantIbLb1EES1A_EEDaS15_S16_EUlS15_E_NS1_11comp_targetILNS1_3genE2ELNS1_11target_archE906ELNS1_3gpuE6ELNS1_3repE0EEENS1_30default_config_static_selectorELNS0_4arch9wavefront6targetE1EEEvT1_
		.amdhsa_group_segment_fixed_size 0
		.amdhsa_private_segment_fixed_size 0
		.amdhsa_kernarg_size 136
		.amdhsa_user_sgpr_count 6
		.amdhsa_user_sgpr_private_segment_buffer 1
		.amdhsa_user_sgpr_dispatch_ptr 0
		.amdhsa_user_sgpr_queue_ptr 0
		.amdhsa_user_sgpr_kernarg_segment_ptr 1
		.amdhsa_user_sgpr_dispatch_id 0
		.amdhsa_user_sgpr_flat_scratch_init 0
		.amdhsa_user_sgpr_kernarg_preload_length 0
		.amdhsa_user_sgpr_kernarg_preload_offset 0
		.amdhsa_user_sgpr_private_segment_size 0
		.amdhsa_uses_dynamic_stack 0
		.amdhsa_system_sgpr_private_segment_wavefront_offset 0
		.amdhsa_system_sgpr_workgroup_id_x 1
		.amdhsa_system_sgpr_workgroup_id_y 0
		.amdhsa_system_sgpr_workgroup_id_z 0
		.amdhsa_system_sgpr_workgroup_info 0
		.amdhsa_system_vgpr_workitem_id 0
		.amdhsa_next_free_vgpr 1
		.amdhsa_next_free_sgpr 0
		.amdhsa_accum_offset 4
		.amdhsa_reserve_vcc 0
		.amdhsa_reserve_flat_scratch 0
		.amdhsa_float_round_mode_32 0
		.amdhsa_float_round_mode_16_64 0
		.amdhsa_float_denorm_mode_32 3
		.amdhsa_float_denorm_mode_16_64 3
		.amdhsa_dx10_clamp 1
		.amdhsa_ieee_mode 1
		.amdhsa_fp16_overflow 0
		.amdhsa_tg_split 0
		.amdhsa_exception_fp_ieee_invalid_op 0
		.amdhsa_exception_fp_denorm_src 0
		.amdhsa_exception_fp_ieee_div_zero 0
		.amdhsa_exception_fp_ieee_overflow 0
		.amdhsa_exception_fp_ieee_underflow 0
		.amdhsa_exception_fp_ieee_inexact 0
		.amdhsa_exception_int_div_zero 0
	.end_amdhsa_kernel
	.section	.text._ZN7rocprim17ROCPRIM_400000_NS6detail17trampoline_kernelINS0_14default_configENS1_25partition_config_selectorILNS1_17partition_subalgoE9EllbEEZZNS1_14partition_implILS5_9ELb0ES3_jPlS8_PNS0_10empty_typeENS0_5tupleIJS8_S9_EEENSB_IJS8_SA_EEENS0_18inequality_wrapperIZN2at6native12_GLOBAL__N_124unique_dim_cuda_templateImEESt5tupleIJNSF_6TensorESK_SK_EERKSK_lbbbEUlllE0_EEPmJS9_EEE10hipError_tPvRmT3_T4_T5_T6_T7_T9_mT8_P12ihipStream_tbDpT10_ENKUlT_T0_E_clISt17integral_constantIbLb1EES1A_EEDaS15_S16_EUlS15_E_NS1_11comp_targetILNS1_3genE2ELNS1_11target_archE906ELNS1_3gpuE6ELNS1_3repE0EEENS1_30default_config_static_selectorELNS0_4arch9wavefront6targetE1EEEvT1_,"axG",@progbits,_ZN7rocprim17ROCPRIM_400000_NS6detail17trampoline_kernelINS0_14default_configENS1_25partition_config_selectorILNS1_17partition_subalgoE9EllbEEZZNS1_14partition_implILS5_9ELb0ES3_jPlS8_PNS0_10empty_typeENS0_5tupleIJS8_S9_EEENSB_IJS8_SA_EEENS0_18inequality_wrapperIZN2at6native12_GLOBAL__N_124unique_dim_cuda_templateImEESt5tupleIJNSF_6TensorESK_SK_EERKSK_lbbbEUlllE0_EEPmJS9_EEE10hipError_tPvRmT3_T4_T5_T6_T7_T9_mT8_P12ihipStream_tbDpT10_ENKUlT_T0_E_clISt17integral_constantIbLb1EES1A_EEDaS15_S16_EUlS15_E_NS1_11comp_targetILNS1_3genE2ELNS1_11target_archE906ELNS1_3gpuE6ELNS1_3repE0EEENS1_30default_config_static_selectorELNS0_4arch9wavefront6targetE1EEEvT1_,comdat
.Lfunc_end1705:
	.size	_ZN7rocprim17ROCPRIM_400000_NS6detail17trampoline_kernelINS0_14default_configENS1_25partition_config_selectorILNS1_17partition_subalgoE9EllbEEZZNS1_14partition_implILS5_9ELb0ES3_jPlS8_PNS0_10empty_typeENS0_5tupleIJS8_S9_EEENSB_IJS8_SA_EEENS0_18inequality_wrapperIZN2at6native12_GLOBAL__N_124unique_dim_cuda_templateImEESt5tupleIJNSF_6TensorESK_SK_EERKSK_lbbbEUlllE0_EEPmJS9_EEE10hipError_tPvRmT3_T4_T5_T6_T7_T9_mT8_P12ihipStream_tbDpT10_ENKUlT_T0_E_clISt17integral_constantIbLb1EES1A_EEDaS15_S16_EUlS15_E_NS1_11comp_targetILNS1_3genE2ELNS1_11target_archE906ELNS1_3gpuE6ELNS1_3repE0EEENS1_30default_config_static_selectorELNS0_4arch9wavefront6targetE1EEEvT1_, .Lfunc_end1705-_ZN7rocprim17ROCPRIM_400000_NS6detail17trampoline_kernelINS0_14default_configENS1_25partition_config_selectorILNS1_17partition_subalgoE9EllbEEZZNS1_14partition_implILS5_9ELb0ES3_jPlS8_PNS0_10empty_typeENS0_5tupleIJS8_S9_EEENSB_IJS8_SA_EEENS0_18inequality_wrapperIZN2at6native12_GLOBAL__N_124unique_dim_cuda_templateImEESt5tupleIJNSF_6TensorESK_SK_EERKSK_lbbbEUlllE0_EEPmJS9_EEE10hipError_tPvRmT3_T4_T5_T6_T7_T9_mT8_P12ihipStream_tbDpT10_ENKUlT_T0_E_clISt17integral_constantIbLb1EES1A_EEDaS15_S16_EUlS15_E_NS1_11comp_targetILNS1_3genE2ELNS1_11target_archE906ELNS1_3gpuE6ELNS1_3repE0EEENS1_30default_config_static_selectorELNS0_4arch9wavefront6targetE1EEEvT1_
                                        ; -- End function
	.section	.AMDGPU.csdata,"",@progbits
; Kernel info:
; codeLenInByte = 0
; NumSgprs: 4
; NumVgprs: 0
; NumAgprs: 0
; TotalNumVgprs: 0
; ScratchSize: 0
; MemoryBound: 0
; FloatMode: 240
; IeeeMode: 1
; LDSByteSize: 0 bytes/workgroup (compile time only)
; SGPRBlocks: 0
; VGPRBlocks: 0
; NumSGPRsForWavesPerEU: 4
; NumVGPRsForWavesPerEU: 1
; AccumOffset: 4
; Occupancy: 8
; WaveLimiterHint : 0
; COMPUTE_PGM_RSRC2:SCRATCH_EN: 0
; COMPUTE_PGM_RSRC2:USER_SGPR: 6
; COMPUTE_PGM_RSRC2:TRAP_HANDLER: 0
; COMPUTE_PGM_RSRC2:TGID_X_EN: 1
; COMPUTE_PGM_RSRC2:TGID_Y_EN: 0
; COMPUTE_PGM_RSRC2:TGID_Z_EN: 0
; COMPUTE_PGM_RSRC2:TIDIG_COMP_CNT: 0
; COMPUTE_PGM_RSRC3_GFX90A:ACCUM_OFFSET: 0
; COMPUTE_PGM_RSRC3_GFX90A:TG_SPLIT: 0
	.section	.text._ZN7rocprim17ROCPRIM_400000_NS6detail17trampoline_kernelINS0_14default_configENS1_25partition_config_selectorILNS1_17partition_subalgoE9EllbEEZZNS1_14partition_implILS5_9ELb0ES3_jPlS8_PNS0_10empty_typeENS0_5tupleIJS8_S9_EEENSB_IJS8_SA_EEENS0_18inequality_wrapperIZN2at6native12_GLOBAL__N_124unique_dim_cuda_templateImEESt5tupleIJNSF_6TensorESK_SK_EERKSK_lbbbEUlllE0_EEPmJS9_EEE10hipError_tPvRmT3_T4_T5_T6_T7_T9_mT8_P12ihipStream_tbDpT10_ENKUlT_T0_E_clISt17integral_constantIbLb1EES1A_EEDaS15_S16_EUlS15_E_NS1_11comp_targetILNS1_3genE10ELNS1_11target_archE1200ELNS1_3gpuE4ELNS1_3repE0EEENS1_30default_config_static_selectorELNS0_4arch9wavefront6targetE1EEEvT1_,"axG",@progbits,_ZN7rocprim17ROCPRIM_400000_NS6detail17trampoline_kernelINS0_14default_configENS1_25partition_config_selectorILNS1_17partition_subalgoE9EllbEEZZNS1_14partition_implILS5_9ELb0ES3_jPlS8_PNS0_10empty_typeENS0_5tupleIJS8_S9_EEENSB_IJS8_SA_EEENS0_18inequality_wrapperIZN2at6native12_GLOBAL__N_124unique_dim_cuda_templateImEESt5tupleIJNSF_6TensorESK_SK_EERKSK_lbbbEUlllE0_EEPmJS9_EEE10hipError_tPvRmT3_T4_T5_T6_T7_T9_mT8_P12ihipStream_tbDpT10_ENKUlT_T0_E_clISt17integral_constantIbLb1EES1A_EEDaS15_S16_EUlS15_E_NS1_11comp_targetILNS1_3genE10ELNS1_11target_archE1200ELNS1_3gpuE4ELNS1_3repE0EEENS1_30default_config_static_selectorELNS0_4arch9wavefront6targetE1EEEvT1_,comdat
	.globl	_ZN7rocprim17ROCPRIM_400000_NS6detail17trampoline_kernelINS0_14default_configENS1_25partition_config_selectorILNS1_17partition_subalgoE9EllbEEZZNS1_14partition_implILS5_9ELb0ES3_jPlS8_PNS0_10empty_typeENS0_5tupleIJS8_S9_EEENSB_IJS8_SA_EEENS0_18inequality_wrapperIZN2at6native12_GLOBAL__N_124unique_dim_cuda_templateImEESt5tupleIJNSF_6TensorESK_SK_EERKSK_lbbbEUlllE0_EEPmJS9_EEE10hipError_tPvRmT3_T4_T5_T6_T7_T9_mT8_P12ihipStream_tbDpT10_ENKUlT_T0_E_clISt17integral_constantIbLb1EES1A_EEDaS15_S16_EUlS15_E_NS1_11comp_targetILNS1_3genE10ELNS1_11target_archE1200ELNS1_3gpuE4ELNS1_3repE0EEENS1_30default_config_static_selectorELNS0_4arch9wavefront6targetE1EEEvT1_ ; -- Begin function _ZN7rocprim17ROCPRIM_400000_NS6detail17trampoline_kernelINS0_14default_configENS1_25partition_config_selectorILNS1_17partition_subalgoE9EllbEEZZNS1_14partition_implILS5_9ELb0ES3_jPlS8_PNS0_10empty_typeENS0_5tupleIJS8_S9_EEENSB_IJS8_SA_EEENS0_18inequality_wrapperIZN2at6native12_GLOBAL__N_124unique_dim_cuda_templateImEESt5tupleIJNSF_6TensorESK_SK_EERKSK_lbbbEUlllE0_EEPmJS9_EEE10hipError_tPvRmT3_T4_T5_T6_T7_T9_mT8_P12ihipStream_tbDpT10_ENKUlT_T0_E_clISt17integral_constantIbLb1EES1A_EEDaS15_S16_EUlS15_E_NS1_11comp_targetILNS1_3genE10ELNS1_11target_archE1200ELNS1_3gpuE4ELNS1_3repE0EEENS1_30default_config_static_selectorELNS0_4arch9wavefront6targetE1EEEvT1_
	.p2align	8
	.type	_ZN7rocprim17ROCPRIM_400000_NS6detail17trampoline_kernelINS0_14default_configENS1_25partition_config_selectorILNS1_17partition_subalgoE9EllbEEZZNS1_14partition_implILS5_9ELb0ES3_jPlS8_PNS0_10empty_typeENS0_5tupleIJS8_S9_EEENSB_IJS8_SA_EEENS0_18inequality_wrapperIZN2at6native12_GLOBAL__N_124unique_dim_cuda_templateImEESt5tupleIJNSF_6TensorESK_SK_EERKSK_lbbbEUlllE0_EEPmJS9_EEE10hipError_tPvRmT3_T4_T5_T6_T7_T9_mT8_P12ihipStream_tbDpT10_ENKUlT_T0_E_clISt17integral_constantIbLb1EES1A_EEDaS15_S16_EUlS15_E_NS1_11comp_targetILNS1_3genE10ELNS1_11target_archE1200ELNS1_3gpuE4ELNS1_3repE0EEENS1_30default_config_static_selectorELNS0_4arch9wavefront6targetE1EEEvT1_,@function
_ZN7rocprim17ROCPRIM_400000_NS6detail17trampoline_kernelINS0_14default_configENS1_25partition_config_selectorILNS1_17partition_subalgoE9EllbEEZZNS1_14partition_implILS5_9ELb0ES3_jPlS8_PNS0_10empty_typeENS0_5tupleIJS8_S9_EEENSB_IJS8_SA_EEENS0_18inequality_wrapperIZN2at6native12_GLOBAL__N_124unique_dim_cuda_templateImEESt5tupleIJNSF_6TensorESK_SK_EERKSK_lbbbEUlllE0_EEPmJS9_EEE10hipError_tPvRmT3_T4_T5_T6_T7_T9_mT8_P12ihipStream_tbDpT10_ENKUlT_T0_E_clISt17integral_constantIbLb1EES1A_EEDaS15_S16_EUlS15_E_NS1_11comp_targetILNS1_3genE10ELNS1_11target_archE1200ELNS1_3gpuE4ELNS1_3repE0EEENS1_30default_config_static_selectorELNS0_4arch9wavefront6targetE1EEEvT1_: ; @_ZN7rocprim17ROCPRIM_400000_NS6detail17trampoline_kernelINS0_14default_configENS1_25partition_config_selectorILNS1_17partition_subalgoE9EllbEEZZNS1_14partition_implILS5_9ELb0ES3_jPlS8_PNS0_10empty_typeENS0_5tupleIJS8_S9_EEENSB_IJS8_SA_EEENS0_18inequality_wrapperIZN2at6native12_GLOBAL__N_124unique_dim_cuda_templateImEESt5tupleIJNSF_6TensorESK_SK_EERKSK_lbbbEUlllE0_EEPmJS9_EEE10hipError_tPvRmT3_T4_T5_T6_T7_T9_mT8_P12ihipStream_tbDpT10_ENKUlT_T0_E_clISt17integral_constantIbLb1EES1A_EEDaS15_S16_EUlS15_E_NS1_11comp_targetILNS1_3genE10ELNS1_11target_archE1200ELNS1_3gpuE4ELNS1_3repE0EEENS1_30default_config_static_selectorELNS0_4arch9wavefront6targetE1EEEvT1_
; %bb.0:
	.section	.rodata,"a",@progbits
	.p2align	6, 0x0
	.amdhsa_kernel _ZN7rocprim17ROCPRIM_400000_NS6detail17trampoline_kernelINS0_14default_configENS1_25partition_config_selectorILNS1_17partition_subalgoE9EllbEEZZNS1_14partition_implILS5_9ELb0ES3_jPlS8_PNS0_10empty_typeENS0_5tupleIJS8_S9_EEENSB_IJS8_SA_EEENS0_18inequality_wrapperIZN2at6native12_GLOBAL__N_124unique_dim_cuda_templateImEESt5tupleIJNSF_6TensorESK_SK_EERKSK_lbbbEUlllE0_EEPmJS9_EEE10hipError_tPvRmT3_T4_T5_T6_T7_T9_mT8_P12ihipStream_tbDpT10_ENKUlT_T0_E_clISt17integral_constantIbLb1EES1A_EEDaS15_S16_EUlS15_E_NS1_11comp_targetILNS1_3genE10ELNS1_11target_archE1200ELNS1_3gpuE4ELNS1_3repE0EEENS1_30default_config_static_selectorELNS0_4arch9wavefront6targetE1EEEvT1_
		.amdhsa_group_segment_fixed_size 0
		.amdhsa_private_segment_fixed_size 0
		.amdhsa_kernarg_size 136
		.amdhsa_user_sgpr_count 6
		.amdhsa_user_sgpr_private_segment_buffer 1
		.amdhsa_user_sgpr_dispatch_ptr 0
		.amdhsa_user_sgpr_queue_ptr 0
		.amdhsa_user_sgpr_kernarg_segment_ptr 1
		.amdhsa_user_sgpr_dispatch_id 0
		.amdhsa_user_sgpr_flat_scratch_init 0
		.amdhsa_user_sgpr_kernarg_preload_length 0
		.amdhsa_user_sgpr_kernarg_preload_offset 0
		.amdhsa_user_sgpr_private_segment_size 0
		.amdhsa_uses_dynamic_stack 0
		.amdhsa_system_sgpr_private_segment_wavefront_offset 0
		.amdhsa_system_sgpr_workgroup_id_x 1
		.amdhsa_system_sgpr_workgroup_id_y 0
		.amdhsa_system_sgpr_workgroup_id_z 0
		.amdhsa_system_sgpr_workgroup_info 0
		.amdhsa_system_vgpr_workitem_id 0
		.amdhsa_next_free_vgpr 1
		.amdhsa_next_free_sgpr 0
		.amdhsa_accum_offset 4
		.amdhsa_reserve_vcc 0
		.amdhsa_reserve_flat_scratch 0
		.amdhsa_float_round_mode_32 0
		.amdhsa_float_round_mode_16_64 0
		.amdhsa_float_denorm_mode_32 3
		.amdhsa_float_denorm_mode_16_64 3
		.amdhsa_dx10_clamp 1
		.amdhsa_ieee_mode 1
		.amdhsa_fp16_overflow 0
		.amdhsa_tg_split 0
		.amdhsa_exception_fp_ieee_invalid_op 0
		.amdhsa_exception_fp_denorm_src 0
		.amdhsa_exception_fp_ieee_div_zero 0
		.amdhsa_exception_fp_ieee_overflow 0
		.amdhsa_exception_fp_ieee_underflow 0
		.amdhsa_exception_fp_ieee_inexact 0
		.amdhsa_exception_int_div_zero 0
	.end_amdhsa_kernel
	.section	.text._ZN7rocprim17ROCPRIM_400000_NS6detail17trampoline_kernelINS0_14default_configENS1_25partition_config_selectorILNS1_17partition_subalgoE9EllbEEZZNS1_14partition_implILS5_9ELb0ES3_jPlS8_PNS0_10empty_typeENS0_5tupleIJS8_S9_EEENSB_IJS8_SA_EEENS0_18inequality_wrapperIZN2at6native12_GLOBAL__N_124unique_dim_cuda_templateImEESt5tupleIJNSF_6TensorESK_SK_EERKSK_lbbbEUlllE0_EEPmJS9_EEE10hipError_tPvRmT3_T4_T5_T6_T7_T9_mT8_P12ihipStream_tbDpT10_ENKUlT_T0_E_clISt17integral_constantIbLb1EES1A_EEDaS15_S16_EUlS15_E_NS1_11comp_targetILNS1_3genE10ELNS1_11target_archE1200ELNS1_3gpuE4ELNS1_3repE0EEENS1_30default_config_static_selectorELNS0_4arch9wavefront6targetE1EEEvT1_,"axG",@progbits,_ZN7rocprim17ROCPRIM_400000_NS6detail17trampoline_kernelINS0_14default_configENS1_25partition_config_selectorILNS1_17partition_subalgoE9EllbEEZZNS1_14partition_implILS5_9ELb0ES3_jPlS8_PNS0_10empty_typeENS0_5tupleIJS8_S9_EEENSB_IJS8_SA_EEENS0_18inequality_wrapperIZN2at6native12_GLOBAL__N_124unique_dim_cuda_templateImEESt5tupleIJNSF_6TensorESK_SK_EERKSK_lbbbEUlllE0_EEPmJS9_EEE10hipError_tPvRmT3_T4_T5_T6_T7_T9_mT8_P12ihipStream_tbDpT10_ENKUlT_T0_E_clISt17integral_constantIbLb1EES1A_EEDaS15_S16_EUlS15_E_NS1_11comp_targetILNS1_3genE10ELNS1_11target_archE1200ELNS1_3gpuE4ELNS1_3repE0EEENS1_30default_config_static_selectorELNS0_4arch9wavefront6targetE1EEEvT1_,comdat
.Lfunc_end1706:
	.size	_ZN7rocprim17ROCPRIM_400000_NS6detail17trampoline_kernelINS0_14default_configENS1_25partition_config_selectorILNS1_17partition_subalgoE9EllbEEZZNS1_14partition_implILS5_9ELb0ES3_jPlS8_PNS0_10empty_typeENS0_5tupleIJS8_S9_EEENSB_IJS8_SA_EEENS0_18inequality_wrapperIZN2at6native12_GLOBAL__N_124unique_dim_cuda_templateImEESt5tupleIJNSF_6TensorESK_SK_EERKSK_lbbbEUlllE0_EEPmJS9_EEE10hipError_tPvRmT3_T4_T5_T6_T7_T9_mT8_P12ihipStream_tbDpT10_ENKUlT_T0_E_clISt17integral_constantIbLb1EES1A_EEDaS15_S16_EUlS15_E_NS1_11comp_targetILNS1_3genE10ELNS1_11target_archE1200ELNS1_3gpuE4ELNS1_3repE0EEENS1_30default_config_static_selectorELNS0_4arch9wavefront6targetE1EEEvT1_, .Lfunc_end1706-_ZN7rocprim17ROCPRIM_400000_NS6detail17trampoline_kernelINS0_14default_configENS1_25partition_config_selectorILNS1_17partition_subalgoE9EllbEEZZNS1_14partition_implILS5_9ELb0ES3_jPlS8_PNS0_10empty_typeENS0_5tupleIJS8_S9_EEENSB_IJS8_SA_EEENS0_18inequality_wrapperIZN2at6native12_GLOBAL__N_124unique_dim_cuda_templateImEESt5tupleIJNSF_6TensorESK_SK_EERKSK_lbbbEUlllE0_EEPmJS9_EEE10hipError_tPvRmT3_T4_T5_T6_T7_T9_mT8_P12ihipStream_tbDpT10_ENKUlT_T0_E_clISt17integral_constantIbLb1EES1A_EEDaS15_S16_EUlS15_E_NS1_11comp_targetILNS1_3genE10ELNS1_11target_archE1200ELNS1_3gpuE4ELNS1_3repE0EEENS1_30default_config_static_selectorELNS0_4arch9wavefront6targetE1EEEvT1_
                                        ; -- End function
	.section	.AMDGPU.csdata,"",@progbits
; Kernel info:
; codeLenInByte = 0
; NumSgprs: 4
; NumVgprs: 0
; NumAgprs: 0
; TotalNumVgprs: 0
; ScratchSize: 0
; MemoryBound: 0
; FloatMode: 240
; IeeeMode: 1
; LDSByteSize: 0 bytes/workgroup (compile time only)
; SGPRBlocks: 0
; VGPRBlocks: 0
; NumSGPRsForWavesPerEU: 4
; NumVGPRsForWavesPerEU: 1
; AccumOffset: 4
; Occupancy: 8
; WaveLimiterHint : 0
; COMPUTE_PGM_RSRC2:SCRATCH_EN: 0
; COMPUTE_PGM_RSRC2:USER_SGPR: 6
; COMPUTE_PGM_RSRC2:TRAP_HANDLER: 0
; COMPUTE_PGM_RSRC2:TGID_X_EN: 1
; COMPUTE_PGM_RSRC2:TGID_Y_EN: 0
; COMPUTE_PGM_RSRC2:TGID_Z_EN: 0
; COMPUTE_PGM_RSRC2:TIDIG_COMP_CNT: 0
; COMPUTE_PGM_RSRC3_GFX90A:ACCUM_OFFSET: 0
; COMPUTE_PGM_RSRC3_GFX90A:TG_SPLIT: 0
	.section	.text._ZN7rocprim17ROCPRIM_400000_NS6detail17trampoline_kernelINS0_14default_configENS1_25partition_config_selectorILNS1_17partition_subalgoE9EllbEEZZNS1_14partition_implILS5_9ELb0ES3_jPlS8_PNS0_10empty_typeENS0_5tupleIJS8_S9_EEENSB_IJS8_SA_EEENS0_18inequality_wrapperIZN2at6native12_GLOBAL__N_124unique_dim_cuda_templateImEESt5tupleIJNSF_6TensorESK_SK_EERKSK_lbbbEUlllE0_EEPmJS9_EEE10hipError_tPvRmT3_T4_T5_T6_T7_T9_mT8_P12ihipStream_tbDpT10_ENKUlT_T0_E_clISt17integral_constantIbLb1EES1A_EEDaS15_S16_EUlS15_E_NS1_11comp_targetILNS1_3genE9ELNS1_11target_archE1100ELNS1_3gpuE3ELNS1_3repE0EEENS1_30default_config_static_selectorELNS0_4arch9wavefront6targetE1EEEvT1_,"axG",@progbits,_ZN7rocprim17ROCPRIM_400000_NS6detail17trampoline_kernelINS0_14default_configENS1_25partition_config_selectorILNS1_17partition_subalgoE9EllbEEZZNS1_14partition_implILS5_9ELb0ES3_jPlS8_PNS0_10empty_typeENS0_5tupleIJS8_S9_EEENSB_IJS8_SA_EEENS0_18inequality_wrapperIZN2at6native12_GLOBAL__N_124unique_dim_cuda_templateImEESt5tupleIJNSF_6TensorESK_SK_EERKSK_lbbbEUlllE0_EEPmJS9_EEE10hipError_tPvRmT3_T4_T5_T6_T7_T9_mT8_P12ihipStream_tbDpT10_ENKUlT_T0_E_clISt17integral_constantIbLb1EES1A_EEDaS15_S16_EUlS15_E_NS1_11comp_targetILNS1_3genE9ELNS1_11target_archE1100ELNS1_3gpuE3ELNS1_3repE0EEENS1_30default_config_static_selectorELNS0_4arch9wavefront6targetE1EEEvT1_,comdat
	.globl	_ZN7rocprim17ROCPRIM_400000_NS6detail17trampoline_kernelINS0_14default_configENS1_25partition_config_selectorILNS1_17partition_subalgoE9EllbEEZZNS1_14partition_implILS5_9ELb0ES3_jPlS8_PNS0_10empty_typeENS0_5tupleIJS8_S9_EEENSB_IJS8_SA_EEENS0_18inequality_wrapperIZN2at6native12_GLOBAL__N_124unique_dim_cuda_templateImEESt5tupleIJNSF_6TensorESK_SK_EERKSK_lbbbEUlllE0_EEPmJS9_EEE10hipError_tPvRmT3_T4_T5_T6_T7_T9_mT8_P12ihipStream_tbDpT10_ENKUlT_T0_E_clISt17integral_constantIbLb1EES1A_EEDaS15_S16_EUlS15_E_NS1_11comp_targetILNS1_3genE9ELNS1_11target_archE1100ELNS1_3gpuE3ELNS1_3repE0EEENS1_30default_config_static_selectorELNS0_4arch9wavefront6targetE1EEEvT1_ ; -- Begin function _ZN7rocprim17ROCPRIM_400000_NS6detail17trampoline_kernelINS0_14default_configENS1_25partition_config_selectorILNS1_17partition_subalgoE9EllbEEZZNS1_14partition_implILS5_9ELb0ES3_jPlS8_PNS0_10empty_typeENS0_5tupleIJS8_S9_EEENSB_IJS8_SA_EEENS0_18inequality_wrapperIZN2at6native12_GLOBAL__N_124unique_dim_cuda_templateImEESt5tupleIJNSF_6TensorESK_SK_EERKSK_lbbbEUlllE0_EEPmJS9_EEE10hipError_tPvRmT3_T4_T5_T6_T7_T9_mT8_P12ihipStream_tbDpT10_ENKUlT_T0_E_clISt17integral_constantIbLb1EES1A_EEDaS15_S16_EUlS15_E_NS1_11comp_targetILNS1_3genE9ELNS1_11target_archE1100ELNS1_3gpuE3ELNS1_3repE0EEENS1_30default_config_static_selectorELNS0_4arch9wavefront6targetE1EEEvT1_
	.p2align	8
	.type	_ZN7rocprim17ROCPRIM_400000_NS6detail17trampoline_kernelINS0_14default_configENS1_25partition_config_selectorILNS1_17partition_subalgoE9EllbEEZZNS1_14partition_implILS5_9ELb0ES3_jPlS8_PNS0_10empty_typeENS0_5tupleIJS8_S9_EEENSB_IJS8_SA_EEENS0_18inequality_wrapperIZN2at6native12_GLOBAL__N_124unique_dim_cuda_templateImEESt5tupleIJNSF_6TensorESK_SK_EERKSK_lbbbEUlllE0_EEPmJS9_EEE10hipError_tPvRmT3_T4_T5_T6_T7_T9_mT8_P12ihipStream_tbDpT10_ENKUlT_T0_E_clISt17integral_constantIbLb1EES1A_EEDaS15_S16_EUlS15_E_NS1_11comp_targetILNS1_3genE9ELNS1_11target_archE1100ELNS1_3gpuE3ELNS1_3repE0EEENS1_30default_config_static_selectorELNS0_4arch9wavefront6targetE1EEEvT1_,@function
_ZN7rocprim17ROCPRIM_400000_NS6detail17trampoline_kernelINS0_14default_configENS1_25partition_config_selectorILNS1_17partition_subalgoE9EllbEEZZNS1_14partition_implILS5_9ELb0ES3_jPlS8_PNS0_10empty_typeENS0_5tupleIJS8_S9_EEENSB_IJS8_SA_EEENS0_18inequality_wrapperIZN2at6native12_GLOBAL__N_124unique_dim_cuda_templateImEESt5tupleIJNSF_6TensorESK_SK_EERKSK_lbbbEUlllE0_EEPmJS9_EEE10hipError_tPvRmT3_T4_T5_T6_T7_T9_mT8_P12ihipStream_tbDpT10_ENKUlT_T0_E_clISt17integral_constantIbLb1EES1A_EEDaS15_S16_EUlS15_E_NS1_11comp_targetILNS1_3genE9ELNS1_11target_archE1100ELNS1_3gpuE3ELNS1_3repE0EEENS1_30default_config_static_selectorELNS0_4arch9wavefront6targetE1EEEvT1_: ; @_ZN7rocprim17ROCPRIM_400000_NS6detail17trampoline_kernelINS0_14default_configENS1_25partition_config_selectorILNS1_17partition_subalgoE9EllbEEZZNS1_14partition_implILS5_9ELb0ES3_jPlS8_PNS0_10empty_typeENS0_5tupleIJS8_S9_EEENSB_IJS8_SA_EEENS0_18inequality_wrapperIZN2at6native12_GLOBAL__N_124unique_dim_cuda_templateImEESt5tupleIJNSF_6TensorESK_SK_EERKSK_lbbbEUlllE0_EEPmJS9_EEE10hipError_tPvRmT3_T4_T5_T6_T7_T9_mT8_P12ihipStream_tbDpT10_ENKUlT_T0_E_clISt17integral_constantIbLb1EES1A_EEDaS15_S16_EUlS15_E_NS1_11comp_targetILNS1_3genE9ELNS1_11target_archE1100ELNS1_3gpuE3ELNS1_3repE0EEENS1_30default_config_static_selectorELNS0_4arch9wavefront6targetE1EEEvT1_
; %bb.0:
	.section	.rodata,"a",@progbits
	.p2align	6, 0x0
	.amdhsa_kernel _ZN7rocprim17ROCPRIM_400000_NS6detail17trampoline_kernelINS0_14default_configENS1_25partition_config_selectorILNS1_17partition_subalgoE9EllbEEZZNS1_14partition_implILS5_9ELb0ES3_jPlS8_PNS0_10empty_typeENS0_5tupleIJS8_S9_EEENSB_IJS8_SA_EEENS0_18inequality_wrapperIZN2at6native12_GLOBAL__N_124unique_dim_cuda_templateImEESt5tupleIJNSF_6TensorESK_SK_EERKSK_lbbbEUlllE0_EEPmJS9_EEE10hipError_tPvRmT3_T4_T5_T6_T7_T9_mT8_P12ihipStream_tbDpT10_ENKUlT_T0_E_clISt17integral_constantIbLb1EES1A_EEDaS15_S16_EUlS15_E_NS1_11comp_targetILNS1_3genE9ELNS1_11target_archE1100ELNS1_3gpuE3ELNS1_3repE0EEENS1_30default_config_static_selectorELNS0_4arch9wavefront6targetE1EEEvT1_
		.amdhsa_group_segment_fixed_size 0
		.amdhsa_private_segment_fixed_size 0
		.amdhsa_kernarg_size 136
		.amdhsa_user_sgpr_count 6
		.amdhsa_user_sgpr_private_segment_buffer 1
		.amdhsa_user_sgpr_dispatch_ptr 0
		.amdhsa_user_sgpr_queue_ptr 0
		.amdhsa_user_sgpr_kernarg_segment_ptr 1
		.amdhsa_user_sgpr_dispatch_id 0
		.amdhsa_user_sgpr_flat_scratch_init 0
		.amdhsa_user_sgpr_kernarg_preload_length 0
		.amdhsa_user_sgpr_kernarg_preload_offset 0
		.amdhsa_user_sgpr_private_segment_size 0
		.amdhsa_uses_dynamic_stack 0
		.amdhsa_system_sgpr_private_segment_wavefront_offset 0
		.amdhsa_system_sgpr_workgroup_id_x 1
		.amdhsa_system_sgpr_workgroup_id_y 0
		.amdhsa_system_sgpr_workgroup_id_z 0
		.amdhsa_system_sgpr_workgroup_info 0
		.amdhsa_system_vgpr_workitem_id 0
		.amdhsa_next_free_vgpr 1
		.amdhsa_next_free_sgpr 0
		.amdhsa_accum_offset 4
		.amdhsa_reserve_vcc 0
		.amdhsa_reserve_flat_scratch 0
		.amdhsa_float_round_mode_32 0
		.amdhsa_float_round_mode_16_64 0
		.amdhsa_float_denorm_mode_32 3
		.amdhsa_float_denorm_mode_16_64 3
		.amdhsa_dx10_clamp 1
		.amdhsa_ieee_mode 1
		.amdhsa_fp16_overflow 0
		.amdhsa_tg_split 0
		.amdhsa_exception_fp_ieee_invalid_op 0
		.amdhsa_exception_fp_denorm_src 0
		.amdhsa_exception_fp_ieee_div_zero 0
		.amdhsa_exception_fp_ieee_overflow 0
		.amdhsa_exception_fp_ieee_underflow 0
		.amdhsa_exception_fp_ieee_inexact 0
		.amdhsa_exception_int_div_zero 0
	.end_amdhsa_kernel
	.section	.text._ZN7rocprim17ROCPRIM_400000_NS6detail17trampoline_kernelINS0_14default_configENS1_25partition_config_selectorILNS1_17partition_subalgoE9EllbEEZZNS1_14partition_implILS5_9ELb0ES3_jPlS8_PNS0_10empty_typeENS0_5tupleIJS8_S9_EEENSB_IJS8_SA_EEENS0_18inequality_wrapperIZN2at6native12_GLOBAL__N_124unique_dim_cuda_templateImEESt5tupleIJNSF_6TensorESK_SK_EERKSK_lbbbEUlllE0_EEPmJS9_EEE10hipError_tPvRmT3_T4_T5_T6_T7_T9_mT8_P12ihipStream_tbDpT10_ENKUlT_T0_E_clISt17integral_constantIbLb1EES1A_EEDaS15_S16_EUlS15_E_NS1_11comp_targetILNS1_3genE9ELNS1_11target_archE1100ELNS1_3gpuE3ELNS1_3repE0EEENS1_30default_config_static_selectorELNS0_4arch9wavefront6targetE1EEEvT1_,"axG",@progbits,_ZN7rocprim17ROCPRIM_400000_NS6detail17trampoline_kernelINS0_14default_configENS1_25partition_config_selectorILNS1_17partition_subalgoE9EllbEEZZNS1_14partition_implILS5_9ELb0ES3_jPlS8_PNS0_10empty_typeENS0_5tupleIJS8_S9_EEENSB_IJS8_SA_EEENS0_18inequality_wrapperIZN2at6native12_GLOBAL__N_124unique_dim_cuda_templateImEESt5tupleIJNSF_6TensorESK_SK_EERKSK_lbbbEUlllE0_EEPmJS9_EEE10hipError_tPvRmT3_T4_T5_T6_T7_T9_mT8_P12ihipStream_tbDpT10_ENKUlT_T0_E_clISt17integral_constantIbLb1EES1A_EEDaS15_S16_EUlS15_E_NS1_11comp_targetILNS1_3genE9ELNS1_11target_archE1100ELNS1_3gpuE3ELNS1_3repE0EEENS1_30default_config_static_selectorELNS0_4arch9wavefront6targetE1EEEvT1_,comdat
.Lfunc_end1707:
	.size	_ZN7rocprim17ROCPRIM_400000_NS6detail17trampoline_kernelINS0_14default_configENS1_25partition_config_selectorILNS1_17partition_subalgoE9EllbEEZZNS1_14partition_implILS5_9ELb0ES3_jPlS8_PNS0_10empty_typeENS0_5tupleIJS8_S9_EEENSB_IJS8_SA_EEENS0_18inequality_wrapperIZN2at6native12_GLOBAL__N_124unique_dim_cuda_templateImEESt5tupleIJNSF_6TensorESK_SK_EERKSK_lbbbEUlllE0_EEPmJS9_EEE10hipError_tPvRmT3_T4_T5_T6_T7_T9_mT8_P12ihipStream_tbDpT10_ENKUlT_T0_E_clISt17integral_constantIbLb1EES1A_EEDaS15_S16_EUlS15_E_NS1_11comp_targetILNS1_3genE9ELNS1_11target_archE1100ELNS1_3gpuE3ELNS1_3repE0EEENS1_30default_config_static_selectorELNS0_4arch9wavefront6targetE1EEEvT1_, .Lfunc_end1707-_ZN7rocprim17ROCPRIM_400000_NS6detail17trampoline_kernelINS0_14default_configENS1_25partition_config_selectorILNS1_17partition_subalgoE9EllbEEZZNS1_14partition_implILS5_9ELb0ES3_jPlS8_PNS0_10empty_typeENS0_5tupleIJS8_S9_EEENSB_IJS8_SA_EEENS0_18inequality_wrapperIZN2at6native12_GLOBAL__N_124unique_dim_cuda_templateImEESt5tupleIJNSF_6TensorESK_SK_EERKSK_lbbbEUlllE0_EEPmJS9_EEE10hipError_tPvRmT3_T4_T5_T6_T7_T9_mT8_P12ihipStream_tbDpT10_ENKUlT_T0_E_clISt17integral_constantIbLb1EES1A_EEDaS15_S16_EUlS15_E_NS1_11comp_targetILNS1_3genE9ELNS1_11target_archE1100ELNS1_3gpuE3ELNS1_3repE0EEENS1_30default_config_static_selectorELNS0_4arch9wavefront6targetE1EEEvT1_
                                        ; -- End function
	.section	.AMDGPU.csdata,"",@progbits
; Kernel info:
; codeLenInByte = 0
; NumSgprs: 4
; NumVgprs: 0
; NumAgprs: 0
; TotalNumVgprs: 0
; ScratchSize: 0
; MemoryBound: 0
; FloatMode: 240
; IeeeMode: 1
; LDSByteSize: 0 bytes/workgroup (compile time only)
; SGPRBlocks: 0
; VGPRBlocks: 0
; NumSGPRsForWavesPerEU: 4
; NumVGPRsForWavesPerEU: 1
; AccumOffset: 4
; Occupancy: 8
; WaveLimiterHint : 0
; COMPUTE_PGM_RSRC2:SCRATCH_EN: 0
; COMPUTE_PGM_RSRC2:USER_SGPR: 6
; COMPUTE_PGM_RSRC2:TRAP_HANDLER: 0
; COMPUTE_PGM_RSRC2:TGID_X_EN: 1
; COMPUTE_PGM_RSRC2:TGID_Y_EN: 0
; COMPUTE_PGM_RSRC2:TGID_Z_EN: 0
; COMPUTE_PGM_RSRC2:TIDIG_COMP_CNT: 0
; COMPUTE_PGM_RSRC3_GFX90A:ACCUM_OFFSET: 0
; COMPUTE_PGM_RSRC3_GFX90A:TG_SPLIT: 0
	.section	.text._ZN7rocprim17ROCPRIM_400000_NS6detail17trampoline_kernelINS0_14default_configENS1_25partition_config_selectorILNS1_17partition_subalgoE9EllbEEZZNS1_14partition_implILS5_9ELb0ES3_jPlS8_PNS0_10empty_typeENS0_5tupleIJS8_S9_EEENSB_IJS8_SA_EEENS0_18inequality_wrapperIZN2at6native12_GLOBAL__N_124unique_dim_cuda_templateImEESt5tupleIJNSF_6TensorESK_SK_EERKSK_lbbbEUlllE0_EEPmJS9_EEE10hipError_tPvRmT3_T4_T5_T6_T7_T9_mT8_P12ihipStream_tbDpT10_ENKUlT_T0_E_clISt17integral_constantIbLb1EES1A_EEDaS15_S16_EUlS15_E_NS1_11comp_targetILNS1_3genE8ELNS1_11target_archE1030ELNS1_3gpuE2ELNS1_3repE0EEENS1_30default_config_static_selectorELNS0_4arch9wavefront6targetE1EEEvT1_,"axG",@progbits,_ZN7rocprim17ROCPRIM_400000_NS6detail17trampoline_kernelINS0_14default_configENS1_25partition_config_selectorILNS1_17partition_subalgoE9EllbEEZZNS1_14partition_implILS5_9ELb0ES3_jPlS8_PNS0_10empty_typeENS0_5tupleIJS8_S9_EEENSB_IJS8_SA_EEENS0_18inequality_wrapperIZN2at6native12_GLOBAL__N_124unique_dim_cuda_templateImEESt5tupleIJNSF_6TensorESK_SK_EERKSK_lbbbEUlllE0_EEPmJS9_EEE10hipError_tPvRmT3_T4_T5_T6_T7_T9_mT8_P12ihipStream_tbDpT10_ENKUlT_T0_E_clISt17integral_constantIbLb1EES1A_EEDaS15_S16_EUlS15_E_NS1_11comp_targetILNS1_3genE8ELNS1_11target_archE1030ELNS1_3gpuE2ELNS1_3repE0EEENS1_30default_config_static_selectorELNS0_4arch9wavefront6targetE1EEEvT1_,comdat
	.globl	_ZN7rocprim17ROCPRIM_400000_NS6detail17trampoline_kernelINS0_14default_configENS1_25partition_config_selectorILNS1_17partition_subalgoE9EllbEEZZNS1_14partition_implILS5_9ELb0ES3_jPlS8_PNS0_10empty_typeENS0_5tupleIJS8_S9_EEENSB_IJS8_SA_EEENS0_18inequality_wrapperIZN2at6native12_GLOBAL__N_124unique_dim_cuda_templateImEESt5tupleIJNSF_6TensorESK_SK_EERKSK_lbbbEUlllE0_EEPmJS9_EEE10hipError_tPvRmT3_T4_T5_T6_T7_T9_mT8_P12ihipStream_tbDpT10_ENKUlT_T0_E_clISt17integral_constantIbLb1EES1A_EEDaS15_S16_EUlS15_E_NS1_11comp_targetILNS1_3genE8ELNS1_11target_archE1030ELNS1_3gpuE2ELNS1_3repE0EEENS1_30default_config_static_selectorELNS0_4arch9wavefront6targetE1EEEvT1_ ; -- Begin function _ZN7rocprim17ROCPRIM_400000_NS6detail17trampoline_kernelINS0_14default_configENS1_25partition_config_selectorILNS1_17partition_subalgoE9EllbEEZZNS1_14partition_implILS5_9ELb0ES3_jPlS8_PNS0_10empty_typeENS0_5tupleIJS8_S9_EEENSB_IJS8_SA_EEENS0_18inequality_wrapperIZN2at6native12_GLOBAL__N_124unique_dim_cuda_templateImEESt5tupleIJNSF_6TensorESK_SK_EERKSK_lbbbEUlllE0_EEPmJS9_EEE10hipError_tPvRmT3_T4_T5_T6_T7_T9_mT8_P12ihipStream_tbDpT10_ENKUlT_T0_E_clISt17integral_constantIbLb1EES1A_EEDaS15_S16_EUlS15_E_NS1_11comp_targetILNS1_3genE8ELNS1_11target_archE1030ELNS1_3gpuE2ELNS1_3repE0EEENS1_30default_config_static_selectorELNS0_4arch9wavefront6targetE1EEEvT1_
	.p2align	8
	.type	_ZN7rocprim17ROCPRIM_400000_NS6detail17trampoline_kernelINS0_14default_configENS1_25partition_config_selectorILNS1_17partition_subalgoE9EllbEEZZNS1_14partition_implILS5_9ELb0ES3_jPlS8_PNS0_10empty_typeENS0_5tupleIJS8_S9_EEENSB_IJS8_SA_EEENS0_18inequality_wrapperIZN2at6native12_GLOBAL__N_124unique_dim_cuda_templateImEESt5tupleIJNSF_6TensorESK_SK_EERKSK_lbbbEUlllE0_EEPmJS9_EEE10hipError_tPvRmT3_T4_T5_T6_T7_T9_mT8_P12ihipStream_tbDpT10_ENKUlT_T0_E_clISt17integral_constantIbLb1EES1A_EEDaS15_S16_EUlS15_E_NS1_11comp_targetILNS1_3genE8ELNS1_11target_archE1030ELNS1_3gpuE2ELNS1_3repE0EEENS1_30default_config_static_selectorELNS0_4arch9wavefront6targetE1EEEvT1_,@function
_ZN7rocprim17ROCPRIM_400000_NS6detail17trampoline_kernelINS0_14default_configENS1_25partition_config_selectorILNS1_17partition_subalgoE9EllbEEZZNS1_14partition_implILS5_9ELb0ES3_jPlS8_PNS0_10empty_typeENS0_5tupleIJS8_S9_EEENSB_IJS8_SA_EEENS0_18inequality_wrapperIZN2at6native12_GLOBAL__N_124unique_dim_cuda_templateImEESt5tupleIJNSF_6TensorESK_SK_EERKSK_lbbbEUlllE0_EEPmJS9_EEE10hipError_tPvRmT3_T4_T5_T6_T7_T9_mT8_P12ihipStream_tbDpT10_ENKUlT_T0_E_clISt17integral_constantIbLb1EES1A_EEDaS15_S16_EUlS15_E_NS1_11comp_targetILNS1_3genE8ELNS1_11target_archE1030ELNS1_3gpuE2ELNS1_3repE0EEENS1_30default_config_static_selectorELNS0_4arch9wavefront6targetE1EEEvT1_: ; @_ZN7rocprim17ROCPRIM_400000_NS6detail17trampoline_kernelINS0_14default_configENS1_25partition_config_selectorILNS1_17partition_subalgoE9EllbEEZZNS1_14partition_implILS5_9ELb0ES3_jPlS8_PNS0_10empty_typeENS0_5tupleIJS8_S9_EEENSB_IJS8_SA_EEENS0_18inequality_wrapperIZN2at6native12_GLOBAL__N_124unique_dim_cuda_templateImEESt5tupleIJNSF_6TensorESK_SK_EERKSK_lbbbEUlllE0_EEPmJS9_EEE10hipError_tPvRmT3_T4_T5_T6_T7_T9_mT8_P12ihipStream_tbDpT10_ENKUlT_T0_E_clISt17integral_constantIbLb1EES1A_EEDaS15_S16_EUlS15_E_NS1_11comp_targetILNS1_3genE8ELNS1_11target_archE1030ELNS1_3gpuE2ELNS1_3repE0EEENS1_30default_config_static_selectorELNS0_4arch9wavefront6targetE1EEEvT1_
; %bb.0:
	.section	.rodata,"a",@progbits
	.p2align	6, 0x0
	.amdhsa_kernel _ZN7rocprim17ROCPRIM_400000_NS6detail17trampoline_kernelINS0_14default_configENS1_25partition_config_selectorILNS1_17partition_subalgoE9EllbEEZZNS1_14partition_implILS5_9ELb0ES3_jPlS8_PNS0_10empty_typeENS0_5tupleIJS8_S9_EEENSB_IJS8_SA_EEENS0_18inequality_wrapperIZN2at6native12_GLOBAL__N_124unique_dim_cuda_templateImEESt5tupleIJNSF_6TensorESK_SK_EERKSK_lbbbEUlllE0_EEPmJS9_EEE10hipError_tPvRmT3_T4_T5_T6_T7_T9_mT8_P12ihipStream_tbDpT10_ENKUlT_T0_E_clISt17integral_constantIbLb1EES1A_EEDaS15_S16_EUlS15_E_NS1_11comp_targetILNS1_3genE8ELNS1_11target_archE1030ELNS1_3gpuE2ELNS1_3repE0EEENS1_30default_config_static_selectorELNS0_4arch9wavefront6targetE1EEEvT1_
		.amdhsa_group_segment_fixed_size 0
		.amdhsa_private_segment_fixed_size 0
		.amdhsa_kernarg_size 136
		.amdhsa_user_sgpr_count 6
		.amdhsa_user_sgpr_private_segment_buffer 1
		.amdhsa_user_sgpr_dispatch_ptr 0
		.amdhsa_user_sgpr_queue_ptr 0
		.amdhsa_user_sgpr_kernarg_segment_ptr 1
		.amdhsa_user_sgpr_dispatch_id 0
		.amdhsa_user_sgpr_flat_scratch_init 0
		.amdhsa_user_sgpr_kernarg_preload_length 0
		.amdhsa_user_sgpr_kernarg_preload_offset 0
		.amdhsa_user_sgpr_private_segment_size 0
		.amdhsa_uses_dynamic_stack 0
		.amdhsa_system_sgpr_private_segment_wavefront_offset 0
		.amdhsa_system_sgpr_workgroup_id_x 1
		.amdhsa_system_sgpr_workgroup_id_y 0
		.amdhsa_system_sgpr_workgroup_id_z 0
		.amdhsa_system_sgpr_workgroup_info 0
		.amdhsa_system_vgpr_workitem_id 0
		.amdhsa_next_free_vgpr 1
		.amdhsa_next_free_sgpr 0
		.amdhsa_accum_offset 4
		.amdhsa_reserve_vcc 0
		.amdhsa_reserve_flat_scratch 0
		.amdhsa_float_round_mode_32 0
		.amdhsa_float_round_mode_16_64 0
		.amdhsa_float_denorm_mode_32 3
		.amdhsa_float_denorm_mode_16_64 3
		.amdhsa_dx10_clamp 1
		.amdhsa_ieee_mode 1
		.amdhsa_fp16_overflow 0
		.amdhsa_tg_split 0
		.amdhsa_exception_fp_ieee_invalid_op 0
		.amdhsa_exception_fp_denorm_src 0
		.amdhsa_exception_fp_ieee_div_zero 0
		.amdhsa_exception_fp_ieee_overflow 0
		.amdhsa_exception_fp_ieee_underflow 0
		.amdhsa_exception_fp_ieee_inexact 0
		.amdhsa_exception_int_div_zero 0
	.end_amdhsa_kernel
	.section	.text._ZN7rocprim17ROCPRIM_400000_NS6detail17trampoline_kernelINS0_14default_configENS1_25partition_config_selectorILNS1_17partition_subalgoE9EllbEEZZNS1_14partition_implILS5_9ELb0ES3_jPlS8_PNS0_10empty_typeENS0_5tupleIJS8_S9_EEENSB_IJS8_SA_EEENS0_18inequality_wrapperIZN2at6native12_GLOBAL__N_124unique_dim_cuda_templateImEESt5tupleIJNSF_6TensorESK_SK_EERKSK_lbbbEUlllE0_EEPmJS9_EEE10hipError_tPvRmT3_T4_T5_T6_T7_T9_mT8_P12ihipStream_tbDpT10_ENKUlT_T0_E_clISt17integral_constantIbLb1EES1A_EEDaS15_S16_EUlS15_E_NS1_11comp_targetILNS1_3genE8ELNS1_11target_archE1030ELNS1_3gpuE2ELNS1_3repE0EEENS1_30default_config_static_selectorELNS0_4arch9wavefront6targetE1EEEvT1_,"axG",@progbits,_ZN7rocprim17ROCPRIM_400000_NS6detail17trampoline_kernelINS0_14default_configENS1_25partition_config_selectorILNS1_17partition_subalgoE9EllbEEZZNS1_14partition_implILS5_9ELb0ES3_jPlS8_PNS0_10empty_typeENS0_5tupleIJS8_S9_EEENSB_IJS8_SA_EEENS0_18inequality_wrapperIZN2at6native12_GLOBAL__N_124unique_dim_cuda_templateImEESt5tupleIJNSF_6TensorESK_SK_EERKSK_lbbbEUlllE0_EEPmJS9_EEE10hipError_tPvRmT3_T4_T5_T6_T7_T9_mT8_P12ihipStream_tbDpT10_ENKUlT_T0_E_clISt17integral_constantIbLb1EES1A_EEDaS15_S16_EUlS15_E_NS1_11comp_targetILNS1_3genE8ELNS1_11target_archE1030ELNS1_3gpuE2ELNS1_3repE0EEENS1_30default_config_static_selectorELNS0_4arch9wavefront6targetE1EEEvT1_,comdat
.Lfunc_end1708:
	.size	_ZN7rocprim17ROCPRIM_400000_NS6detail17trampoline_kernelINS0_14default_configENS1_25partition_config_selectorILNS1_17partition_subalgoE9EllbEEZZNS1_14partition_implILS5_9ELb0ES3_jPlS8_PNS0_10empty_typeENS0_5tupleIJS8_S9_EEENSB_IJS8_SA_EEENS0_18inequality_wrapperIZN2at6native12_GLOBAL__N_124unique_dim_cuda_templateImEESt5tupleIJNSF_6TensorESK_SK_EERKSK_lbbbEUlllE0_EEPmJS9_EEE10hipError_tPvRmT3_T4_T5_T6_T7_T9_mT8_P12ihipStream_tbDpT10_ENKUlT_T0_E_clISt17integral_constantIbLb1EES1A_EEDaS15_S16_EUlS15_E_NS1_11comp_targetILNS1_3genE8ELNS1_11target_archE1030ELNS1_3gpuE2ELNS1_3repE0EEENS1_30default_config_static_selectorELNS0_4arch9wavefront6targetE1EEEvT1_, .Lfunc_end1708-_ZN7rocprim17ROCPRIM_400000_NS6detail17trampoline_kernelINS0_14default_configENS1_25partition_config_selectorILNS1_17partition_subalgoE9EllbEEZZNS1_14partition_implILS5_9ELb0ES3_jPlS8_PNS0_10empty_typeENS0_5tupleIJS8_S9_EEENSB_IJS8_SA_EEENS0_18inequality_wrapperIZN2at6native12_GLOBAL__N_124unique_dim_cuda_templateImEESt5tupleIJNSF_6TensorESK_SK_EERKSK_lbbbEUlllE0_EEPmJS9_EEE10hipError_tPvRmT3_T4_T5_T6_T7_T9_mT8_P12ihipStream_tbDpT10_ENKUlT_T0_E_clISt17integral_constantIbLb1EES1A_EEDaS15_S16_EUlS15_E_NS1_11comp_targetILNS1_3genE8ELNS1_11target_archE1030ELNS1_3gpuE2ELNS1_3repE0EEENS1_30default_config_static_selectorELNS0_4arch9wavefront6targetE1EEEvT1_
                                        ; -- End function
	.section	.AMDGPU.csdata,"",@progbits
; Kernel info:
; codeLenInByte = 0
; NumSgprs: 4
; NumVgprs: 0
; NumAgprs: 0
; TotalNumVgprs: 0
; ScratchSize: 0
; MemoryBound: 0
; FloatMode: 240
; IeeeMode: 1
; LDSByteSize: 0 bytes/workgroup (compile time only)
; SGPRBlocks: 0
; VGPRBlocks: 0
; NumSGPRsForWavesPerEU: 4
; NumVGPRsForWavesPerEU: 1
; AccumOffset: 4
; Occupancy: 8
; WaveLimiterHint : 0
; COMPUTE_PGM_RSRC2:SCRATCH_EN: 0
; COMPUTE_PGM_RSRC2:USER_SGPR: 6
; COMPUTE_PGM_RSRC2:TRAP_HANDLER: 0
; COMPUTE_PGM_RSRC2:TGID_X_EN: 1
; COMPUTE_PGM_RSRC2:TGID_Y_EN: 0
; COMPUTE_PGM_RSRC2:TGID_Z_EN: 0
; COMPUTE_PGM_RSRC2:TIDIG_COMP_CNT: 0
; COMPUTE_PGM_RSRC3_GFX90A:ACCUM_OFFSET: 0
; COMPUTE_PGM_RSRC3_GFX90A:TG_SPLIT: 0
	.section	.text._ZN7rocprim17ROCPRIM_400000_NS6detail17trampoline_kernelINS0_14default_configENS1_25partition_config_selectorILNS1_17partition_subalgoE9EllbEEZZNS1_14partition_implILS5_9ELb0ES3_jPlS8_PNS0_10empty_typeENS0_5tupleIJS8_S9_EEENSB_IJS8_SA_EEENS0_18inequality_wrapperIZN2at6native12_GLOBAL__N_124unique_dim_cuda_templateImEESt5tupleIJNSF_6TensorESK_SK_EERKSK_lbbbEUlllE0_EEPmJS9_EEE10hipError_tPvRmT3_T4_T5_T6_T7_T9_mT8_P12ihipStream_tbDpT10_ENKUlT_T0_E_clISt17integral_constantIbLb1EES19_IbLb0EEEEDaS15_S16_EUlS15_E_NS1_11comp_targetILNS1_3genE0ELNS1_11target_archE4294967295ELNS1_3gpuE0ELNS1_3repE0EEENS1_30default_config_static_selectorELNS0_4arch9wavefront6targetE1EEEvT1_,"axG",@progbits,_ZN7rocprim17ROCPRIM_400000_NS6detail17trampoline_kernelINS0_14default_configENS1_25partition_config_selectorILNS1_17partition_subalgoE9EllbEEZZNS1_14partition_implILS5_9ELb0ES3_jPlS8_PNS0_10empty_typeENS0_5tupleIJS8_S9_EEENSB_IJS8_SA_EEENS0_18inequality_wrapperIZN2at6native12_GLOBAL__N_124unique_dim_cuda_templateImEESt5tupleIJNSF_6TensorESK_SK_EERKSK_lbbbEUlllE0_EEPmJS9_EEE10hipError_tPvRmT3_T4_T5_T6_T7_T9_mT8_P12ihipStream_tbDpT10_ENKUlT_T0_E_clISt17integral_constantIbLb1EES19_IbLb0EEEEDaS15_S16_EUlS15_E_NS1_11comp_targetILNS1_3genE0ELNS1_11target_archE4294967295ELNS1_3gpuE0ELNS1_3repE0EEENS1_30default_config_static_selectorELNS0_4arch9wavefront6targetE1EEEvT1_,comdat
	.globl	_ZN7rocprim17ROCPRIM_400000_NS6detail17trampoline_kernelINS0_14default_configENS1_25partition_config_selectorILNS1_17partition_subalgoE9EllbEEZZNS1_14partition_implILS5_9ELb0ES3_jPlS8_PNS0_10empty_typeENS0_5tupleIJS8_S9_EEENSB_IJS8_SA_EEENS0_18inequality_wrapperIZN2at6native12_GLOBAL__N_124unique_dim_cuda_templateImEESt5tupleIJNSF_6TensorESK_SK_EERKSK_lbbbEUlllE0_EEPmJS9_EEE10hipError_tPvRmT3_T4_T5_T6_T7_T9_mT8_P12ihipStream_tbDpT10_ENKUlT_T0_E_clISt17integral_constantIbLb1EES19_IbLb0EEEEDaS15_S16_EUlS15_E_NS1_11comp_targetILNS1_3genE0ELNS1_11target_archE4294967295ELNS1_3gpuE0ELNS1_3repE0EEENS1_30default_config_static_selectorELNS0_4arch9wavefront6targetE1EEEvT1_ ; -- Begin function _ZN7rocprim17ROCPRIM_400000_NS6detail17trampoline_kernelINS0_14default_configENS1_25partition_config_selectorILNS1_17partition_subalgoE9EllbEEZZNS1_14partition_implILS5_9ELb0ES3_jPlS8_PNS0_10empty_typeENS0_5tupleIJS8_S9_EEENSB_IJS8_SA_EEENS0_18inequality_wrapperIZN2at6native12_GLOBAL__N_124unique_dim_cuda_templateImEESt5tupleIJNSF_6TensorESK_SK_EERKSK_lbbbEUlllE0_EEPmJS9_EEE10hipError_tPvRmT3_T4_T5_T6_T7_T9_mT8_P12ihipStream_tbDpT10_ENKUlT_T0_E_clISt17integral_constantIbLb1EES19_IbLb0EEEEDaS15_S16_EUlS15_E_NS1_11comp_targetILNS1_3genE0ELNS1_11target_archE4294967295ELNS1_3gpuE0ELNS1_3repE0EEENS1_30default_config_static_selectorELNS0_4arch9wavefront6targetE1EEEvT1_
	.p2align	8
	.type	_ZN7rocprim17ROCPRIM_400000_NS6detail17trampoline_kernelINS0_14default_configENS1_25partition_config_selectorILNS1_17partition_subalgoE9EllbEEZZNS1_14partition_implILS5_9ELb0ES3_jPlS8_PNS0_10empty_typeENS0_5tupleIJS8_S9_EEENSB_IJS8_SA_EEENS0_18inequality_wrapperIZN2at6native12_GLOBAL__N_124unique_dim_cuda_templateImEESt5tupleIJNSF_6TensorESK_SK_EERKSK_lbbbEUlllE0_EEPmJS9_EEE10hipError_tPvRmT3_T4_T5_T6_T7_T9_mT8_P12ihipStream_tbDpT10_ENKUlT_T0_E_clISt17integral_constantIbLb1EES19_IbLb0EEEEDaS15_S16_EUlS15_E_NS1_11comp_targetILNS1_3genE0ELNS1_11target_archE4294967295ELNS1_3gpuE0ELNS1_3repE0EEENS1_30default_config_static_selectorELNS0_4arch9wavefront6targetE1EEEvT1_,@function
_ZN7rocprim17ROCPRIM_400000_NS6detail17trampoline_kernelINS0_14default_configENS1_25partition_config_selectorILNS1_17partition_subalgoE9EllbEEZZNS1_14partition_implILS5_9ELb0ES3_jPlS8_PNS0_10empty_typeENS0_5tupleIJS8_S9_EEENSB_IJS8_SA_EEENS0_18inequality_wrapperIZN2at6native12_GLOBAL__N_124unique_dim_cuda_templateImEESt5tupleIJNSF_6TensorESK_SK_EERKSK_lbbbEUlllE0_EEPmJS9_EEE10hipError_tPvRmT3_T4_T5_T6_T7_T9_mT8_P12ihipStream_tbDpT10_ENKUlT_T0_E_clISt17integral_constantIbLb1EES19_IbLb0EEEEDaS15_S16_EUlS15_E_NS1_11comp_targetILNS1_3genE0ELNS1_11target_archE4294967295ELNS1_3gpuE0ELNS1_3repE0EEENS1_30default_config_static_selectorELNS0_4arch9wavefront6targetE1EEEvT1_: ; @_ZN7rocprim17ROCPRIM_400000_NS6detail17trampoline_kernelINS0_14default_configENS1_25partition_config_selectorILNS1_17partition_subalgoE9EllbEEZZNS1_14partition_implILS5_9ELb0ES3_jPlS8_PNS0_10empty_typeENS0_5tupleIJS8_S9_EEENSB_IJS8_SA_EEENS0_18inequality_wrapperIZN2at6native12_GLOBAL__N_124unique_dim_cuda_templateImEESt5tupleIJNSF_6TensorESK_SK_EERKSK_lbbbEUlllE0_EEPmJS9_EEE10hipError_tPvRmT3_T4_T5_T6_T7_T9_mT8_P12ihipStream_tbDpT10_ENKUlT_T0_E_clISt17integral_constantIbLb1EES19_IbLb0EEEEDaS15_S16_EUlS15_E_NS1_11comp_targetILNS1_3genE0ELNS1_11target_archE4294967295ELNS1_3gpuE0ELNS1_3repE0EEENS1_30default_config_static_selectorELNS0_4arch9wavefront6targetE1EEEvT1_
; %bb.0:
	.section	.rodata,"a",@progbits
	.p2align	6, 0x0
	.amdhsa_kernel _ZN7rocprim17ROCPRIM_400000_NS6detail17trampoline_kernelINS0_14default_configENS1_25partition_config_selectorILNS1_17partition_subalgoE9EllbEEZZNS1_14partition_implILS5_9ELb0ES3_jPlS8_PNS0_10empty_typeENS0_5tupleIJS8_S9_EEENSB_IJS8_SA_EEENS0_18inequality_wrapperIZN2at6native12_GLOBAL__N_124unique_dim_cuda_templateImEESt5tupleIJNSF_6TensorESK_SK_EERKSK_lbbbEUlllE0_EEPmJS9_EEE10hipError_tPvRmT3_T4_T5_T6_T7_T9_mT8_P12ihipStream_tbDpT10_ENKUlT_T0_E_clISt17integral_constantIbLb1EES19_IbLb0EEEEDaS15_S16_EUlS15_E_NS1_11comp_targetILNS1_3genE0ELNS1_11target_archE4294967295ELNS1_3gpuE0ELNS1_3repE0EEENS1_30default_config_static_selectorELNS0_4arch9wavefront6targetE1EEEvT1_
		.amdhsa_group_segment_fixed_size 0
		.amdhsa_private_segment_fixed_size 0
		.amdhsa_kernarg_size 120
		.amdhsa_user_sgpr_count 6
		.amdhsa_user_sgpr_private_segment_buffer 1
		.amdhsa_user_sgpr_dispatch_ptr 0
		.amdhsa_user_sgpr_queue_ptr 0
		.amdhsa_user_sgpr_kernarg_segment_ptr 1
		.amdhsa_user_sgpr_dispatch_id 0
		.amdhsa_user_sgpr_flat_scratch_init 0
		.amdhsa_user_sgpr_kernarg_preload_length 0
		.amdhsa_user_sgpr_kernarg_preload_offset 0
		.amdhsa_user_sgpr_private_segment_size 0
		.amdhsa_uses_dynamic_stack 0
		.amdhsa_system_sgpr_private_segment_wavefront_offset 0
		.amdhsa_system_sgpr_workgroup_id_x 1
		.amdhsa_system_sgpr_workgroup_id_y 0
		.amdhsa_system_sgpr_workgroup_id_z 0
		.amdhsa_system_sgpr_workgroup_info 0
		.amdhsa_system_vgpr_workitem_id 0
		.amdhsa_next_free_vgpr 1
		.amdhsa_next_free_sgpr 0
		.amdhsa_accum_offset 4
		.amdhsa_reserve_vcc 0
		.amdhsa_reserve_flat_scratch 0
		.amdhsa_float_round_mode_32 0
		.amdhsa_float_round_mode_16_64 0
		.amdhsa_float_denorm_mode_32 3
		.amdhsa_float_denorm_mode_16_64 3
		.amdhsa_dx10_clamp 1
		.amdhsa_ieee_mode 1
		.amdhsa_fp16_overflow 0
		.amdhsa_tg_split 0
		.amdhsa_exception_fp_ieee_invalid_op 0
		.amdhsa_exception_fp_denorm_src 0
		.amdhsa_exception_fp_ieee_div_zero 0
		.amdhsa_exception_fp_ieee_overflow 0
		.amdhsa_exception_fp_ieee_underflow 0
		.amdhsa_exception_fp_ieee_inexact 0
		.amdhsa_exception_int_div_zero 0
	.end_amdhsa_kernel
	.section	.text._ZN7rocprim17ROCPRIM_400000_NS6detail17trampoline_kernelINS0_14default_configENS1_25partition_config_selectorILNS1_17partition_subalgoE9EllbEEZZNS1_14partition_implILS5_9ELb0ES3_jPlS8_PNS0_10empty_typeENS0_5tupleIJS8_S9_EEENSB_IJS8_SA_EEENS0_18inequality_wrapperIZN2at6native12_GLOBAL__N_124unique_dim_cuda_templateImEESt5tupleIJNSF_6TensorESK_SK_EERKSK_lbbbEUlllE0_EEPmJS9_EEE10hipError_tPvRmT3_T4_T5_T6_T7_T9_mT8_P12ihipStream_tbDpT10_ENKUlT_T0_E_clISt17integral_constantIbLb1EES19_IbLb0EEEEDaS15_S16_EUlS15_E_NS1_11comp_targetILNS1_3genE0ELNS1_11target_archE4294967295ELNS1_3gpuE0ELNS1_3repE0EEENS1_30default_config_static_selectorELNS0_4arch9wavefront6targetE1EEEvT1_,"axG",@progbits,_ZN7rocprim17ROCPRIM_400000_NS6detail17trampoline_kernelINS0_14default_configENS1_25partition_config_selectorILNS1_17partition_subalgoE9EllbEEZZNS1_14partition_implILS5_9ELb0ES3_jPlS8_PNS0_10empty_typeENS0_5tupleIJS8_S9_EEENSB_IJS8_SA_EEENS0_18inequality_wrapperIZN2at6native12_GLOBAL__N_124unique_dim_cuda_templateImEESt5tupleIJNSF_6TensorESK_SK_EERKSK_lbbbEUlllE0_EEPmJS9_EEE10hipError_tPvRmT3_T4_T5_T6_T7_T9_mT8_P12ihipStream_tbDpT10_ENKUlT_T0_E_clISt17integral_constantIbLb1EES19_IbLb0EEEEDaS15_S16_EUlS15_E_NS1_11comp_targetILNS1_3genE0ELNS1_11target_archE4294967295ELNS1_3gpuE0ELNS1_3repE0EEENS1_30default_config_static_selectorELNS0_4arch9wavefront6targetE1EEEvT1_,comdat
.Lfunc_end1709:
	.size	_ZN7rocprim17ROCPRIM_400000_NS6detail17trampoline_kernelINS0_14default_configENS1_25partition_config_selectorILNS1_17partition_subalgoE9EllbEEZZNS1_14partition_implILS5_9ELb0ES3_jPlS8_PNS0_10empty_typeENS0_5tupleIJS8_S9_EEENSB_IJS8_SA_EEENS0_18inequality_wrapperIZN2at6native12_GLOBAL__N_124unique_dim_cuda_templateImEESt5tupleIJNSF_6TensorESK_SK_EERKSK_lbbbEUlllE0_EEPmJS9_EEE10hipError_tPvRmT3_T4_T5_T6_T7_T9_mT8_P12ihipStream_tbDpT10_ENKUlT_T0_E_clISt17integral_constantIbLb1EES19_IbLb0EEEEDaS15_S16_EUlS15_E_NS1_11comp_targetILNS1_3genE0ELNS1_11target_archE4294967295ELNS1_3gpuE0ELNS1_3repE0EEENS1_30default_config_static_selectorELNS0_4arch9wavefront6targetE1EEEvT1_, .Lfunc_end1709-_ZN7rocprim17ROCPRIM_400000_NS6detail17trampoline_kernelINS0_14default_configENS1_25partition_config_selectorILNS1_17partition_subalgoE9EllbEEZZNS1_14partition_implILS5_9ELb0ES3_jPlS8_PNS0_10empty_typeENS0_5tupleIJS8_S9_EEENSB_IJS8_SA_EEENS0_18inequality_wrapperIZN2at6native12_GLOBAL__N_124unique_dim_cuda_templateImEESt5tupleIJNSF_6TensorESK_SK_EERKSK_lbbbEUlllE0_EEPmJS9_EEE10hipError_tPvRmT3_T4_T5_T6_T7_T9_mT8_P12ihipStream_tbDpT10_ENKUlT_T0_E_clISt17integral_constantIbLb1EES19_IbLb0EEEEDaS15_S16_EUlS15_E_NS1_11comp_targetILNS1_3genE0ELNS1_11target_archE4294967295ELNS1_3gpuE0ELNS1_3repE0EEENS1_30default_config_static_selectorELNS0_4arch9wavefront6targetE1EEEvT1_
                                        ; -- End function
	.section	.AMDGPU.csdata,"",@progbits
; Kernel info:
; codeLenInByte = 0
; NumSgprs: 4
; NumVgprs: 0
; NumAgprs: 0
; TotalNumVgprs: 0
; ScratchSize: 0
; MemoryBound: 0
; FloatMode: 240
; IeeeMode: 1
; LDSByteSize: 0 bytes/workgroup (compile time only)
; SGPRBlocks: 0
; VGPRBlocks: 0
; NumSGPRsForWavesPerEU: 4
; NumVGPRsForWavesPerEU: 1
; AccumOffset: 4
; Occupancy: 8
; WaveLimiterHint : 0
; COMPUTE_PGM_RSRC2:SCRATCH_EN: 0
; COMPUTE_PGM_RSRC2:USER_SGPR: 6
; COMPUTE_PGM_RSRC2:TRAP_HANDLER: 0
; COMPUTE_PGM_RSRC2:TGID_X_EN: 1
; COMPUTE_PGM_RSRC2:TGID_Y_EN: 0
; COMPUTE_PGM_RSRC2:TGID_Z_EN: 0
; COMPUTE_PGM_RSRC2:TIDIG_COMP_CNT: 0
; COMPUTE_PGM_RSRC3_GFX90A:ACCUM_OFFSET: 0
; COMPUTE_PGM_RSRC3_GFX90A:TG_SPLIT: 0
	.section	.text._ZN7rocprim17ROCPRIM_400000_NS6detail17trampoline_kernelINS0_14default_configENS1_25partition_config_selectorILNS1_17partition_subalgoE9EllbEEZZNS1_14partition_implILS5_9ELb0ES3_jPlS8_PNS0_10empty_typeENS0_5tupleIJS8_S9_EEENSB_IJS8_SA_EEENS0_18inequality_wrapperIZN2at6native12_GLOBAL__N_124unique_dim_cuda_templateImEESt5tupleIJNSF_6TensorESK_SK_EERKSK_lbbbEUlllE0_EEPmJS9_EEE10hipError_tPvRmT3_T4_T5_T6_T7_T9_mT8_P12ihipStream_tbDpT10_ENKUlT_T0_E_clISt17integral_constantIbLb1EES19_IbLb0EEEEDaS15_S16_EUlS15_E_NS1_11comp_targetILNS1_3genE5ELNS1_11target_archE942ELNS1_3gpuE9ELNS1_3repE0EEENS1_30default_config_static_selectorELNS0_4arch9wavefront6targetE1EEEvT1_,"axG",@progbits,_ZN7rocprim17ROCPRIM_400000_NS6detail17trampoline_kernelINS0_14default_configENS1_25partition_config_selectorILNS1_17partition_subalgoE9EllbEEZZNS1_14partition_implILS5_9ELb0ES3_jPlS8_PNS0_10empty_typeENS0_5tupleIJS8_S9_EEENSB_IJS8_SA_EEENS0_18inequality_wrapperIZN2at6native12_GLOBAL__N_124unique_dim_cuda_templateImEESt5tupleIJNSF_6TensorESK_SK_EERKSK_lbbbEUlllE0_EEPmJS9_EEE10hipError_tPvRmT3_T4_T5_T6_T7_T9_mT8_P12ihipStream_tbDpT10_ENKUlT_T0_E_clISt17integral_constantIbLb1EES19_IbLb0EEEEDaS15_S16_EUlS15_E_NS1_11comp_targetILNS1_3genE5ELNS1_11target_archE942ELNS1_3gpuE9ELNS1_3repE0EEENS1_30default_config_static_selectorELNS0_4arch9wavefront6targetE1EEEvT1_,comdat
	.globl	_ZN7rocprim17ROCPRIM_400000_NS6detail17trampoline_kernelINS0_14default_configENS1_25partition_config_selectorILNS1_17partition_subalgoE9EllbEEZZNS1_14partition_implILS5_9ELb0ES3_jPlS8_PNS0_10empty_typeENS0_5tupleIJS8_S9_EEENSB_IJS8_SA_EEENS0_18inequality_wrapperIZN2at6native12_GLOBAL__N_124unique_dim_cuda_templateImEESt5tupleIJNSF_6TensorESK_SK_EERKSK_lbbbEUlllE0_EEPmJS9_EEE10hipError_tPvRmT3_T4_T5_T6_T7_T9_mT8_P12ihipStream_tbDpT10_ENKUlT_T0_E_clISt17integral_constantIbLb1EES19_IbLb0EEEEDaS15_S16_EUlS15_E_NS1_11comp_targetILNS1_3genE5ELNS1_11target_archE942ELNS1_3gpuE9ELNS1_3repE0EEENS1_30default_config_static_selectorELNS0_4arch9wavefront6targetE1EEEvT1_ ; -- Begin function _ZN7rocprim17ROCPRIM_400000_NS6detail17trampoline_kernelINS0_14default_configENS1_25partition_config_selectorILNS1_17partition_subalgoE9EllbEEZZNS1_14partition_implILS5_9ELb0ES3_jPlS8_PNS0_10empty_typeENS0_5tupleIJS8_S9_EEENSB_IJS8_SA_EEENS0_18inequality_wrapperIZN2at6native12_GLOBAL__N_124unique_dim_cuda_templateImEESt5tupleIJNSF_6TensorESK_SK_EERKSK_lbbbEUlllE0_EEPmJS9_EEE10hipError_tPvRmT3_T4_T5_T6_T7_T9_mT8_P12ihipStream_tbDpT10_ENKUlT_T0_E_clISt17integral_constantIbLb1EES19_IbLb0EEEEDaS15_S16_EUlS15_E_NS1_11comp_targetILNS1_3genE5ELNS1_11target_archE942ELNS1_3gpuE9ELNS1_3repE0EEENS1_30default_config_static_selectorELNS0_4arch9wavefront6targetE1EEEvT1_
	.p2align	8
	.type	_ZN7rocprim17ROCPRIM_400000_NS6detail17trampoline_kernelINS0_14default_configENS1_25partition_config_selectorILNS1_17partition_subalgoE9EllbEEZZNS1_14partition_implILS5_9ELb0ES3_jPlS8_PNS0_10empty_typeENS0_5tupleIJS8_S9_EEENSB_IJS8_SA_EEENS0_18inequality_wrapperIZN2at6native12_GLOBAL__N_124unique_dim_cuda_templateImEESt5tupleIJNSF_6TensorESK_SK_EERKSK_lbbbEUlllE0_EEPmJS9_EEE10hipError_tPvRmT3_T4_T5_T6_T7_T9_mT8_P12ihipStream_tbDpT10_ENKUlT_T0_E_clISt17integral_constantIbLb1EES19_IbLb0EEEEDaS15_S16_EUlS15_E_NS1_11comp_targetILNS1_3genE5ELNS1_11target_archE942ELNS1_3gpuE9ELNS1_3repE0EEENS1_30default_config_static_selectorELNS0_4arch9wavefront6targetE1EEEvT1_,@function
_ZN7rocprim17ROCPRIM_400000_NS6detail17trampoline_kernelINS0_14default_configENS1_25partition_config_selectorILNS1_17partition_subalgoE9EllbEEZZNS1_14partition_implILS5_9ELb0ES3_jPlS8_PNS0_10empty_typeENS0_5tupleIJS8_S9_EEENSB_IJS8_SA_EEENS0_18inequality_wrapperIZN2at6native12_GLOBAL__N_124unique_dim_cuda_templateImEESt5tupleIJNSF_6TensorESK_SK_EERKSK_lbbbEUlllE0_EEPmJS9_EEE10hipError_tPvRmT3_T4_T5_T6_T7_T9_mT8_P12ihipStream_tbDpT10_ENKUlT_T0_E_clISt17integral_constantIbLb1EES19_IbLb0EEEEDaS15_S16_EUlS15_E_NS1_11comp_targetILNS1_3genE5ELNS1_11target_archE942ELNS1_3gpuE9ELNS1_3repE0EEENS1_30default_config_static_selectorELNS0_4arch9wavefront6targetE1EEEvT1_: ; @_ZN7rocprim17ROCPRIM_400000_NS6detail17trampoline_kernelINS0_14default_configENS1_25partition_config_selectorILNS1_17partition_subalgoE9EllbEEZZNS1_14partition_implILS5_9ELb0ES3_jPlS8_PNS0_10empty_typeENS0_5tupleIJS8_S9_EEENSB_IJS8_SA_EEENS0_18inequality_wrapperIZN2at6native12_GLOBAL__N_124unique_dim_cuda_templateImEESt5tupleIJNSF_6TensorESK_SK_EERKSK_lbbbEUlllE0_EEPmJS9_EEE10hipError_tPvRmT3_T4_T5_T6_T7_T9_mT8_P12ihipStream_tbDpT10_ENKUlT_T0_E_clISt17integral_constantIbLb1EES19_IbLb0EEEEDaS15_S16_EUlS15_E_NS1_11comp_targetILNS1_3genE5ELNS1_11target_archE942ELNS1_3gpuE9ELNS1_3repE0EEENS1_30default_config_static_selectorELNS0_4arch9wavefront6targetE1EEEvT1_
; %bb.0:
	.section	.rodata,"a",@progbits
	.p2align	6, 0x0
	.amdhsa_kernel _ZN7rocprim17ROCPRIM_400000_NS6detail17trampoline_kernelINS0_14default_configENS1_25partition_config_selectorILNS1_17partition_subalgoE9EllbEEZZNS1_14partition_implILS5_9ELb0ES3_jPlS8_PNS0_10empty_typeENS0_5tupleIJS8_S9_EEENSB_IJS8_SA_EEENS0_18inequality_wrapperIZN2at6native12_GLOBAL__N_124unique_dim_cuda_templateImEESt5tupleIJNSF_6TensorESK_SK_EERKSK_lbbbEUlllE0_EEPmJS9_EEE10hipError_tPvRmT3_T4_T5_T6_T7_T9_mT8_P12ihipStream_tbDpT10_ENKUlT_T0_E_clISt17integral_constantIbLb1EES19_IbLb0EEEEDaS15_S16_EUlS15_E_NS1_11comp_targetILNS1_3genE5ELNS1_11target_archE942ELNS1_3gpuE9ELNS1_3repE0EEENS1_30default_config_static_selectorELNS0_4arch9wavefront6targetE1EEEvT1_
		.amdhsa_group_segment_fixed_size 0
		.amdhsa_private_segment_fixed_size 0
		.amdhsa_kernarg_size 120
		.amdhsa_user_sgpr_count 6
		.amdhsa_user_sgpr_private_segment_buffer 1
		.amdhsa_user_sgpr_dispatch_ptr 0
		.amdhsa_user_sgpr_queue_ptr 0
		.amdhsa_user_sgpr_kernarg_segment_ptr 1
		.amdhsa_user_sgpr_dispatch_id 0
		.amdhsa_user_sgpr_flat_scratch_init 0
		.amdhsa_user_sgpr_kernarg_preload_length 0
		.amdhsa_user_sgpr_kernarg_preload_offset 0
		.amdhsa_user_sgpr_private_segment_size 0
		.amdhsa_uses_dynamic_stack 0
		.amdhsa_system_sgpr_private_segment_wavefront_offset 0
		.amdhsa_system_sgpr_workgroup_id_x 1
		.amdhsa_system_sgpr_workgroup_id_y 0
		.amdhsa_system_sgpr_workgroup_id_z 0
		.amdhsa_system_sgpr_workgroup_info 0
		.amdhsa_system_vgpr_workitem_id 0
		.amdhsa_next_free_vgpr 1
		.amdhsa_next_free_sgpr 0
		.amdhsa_accum_offset 4
		.amdhsa_reserve_vcc 0
		.amdhsa_reserve_flat_scratch 0
		.amdhsa_float_round_mode_32 0
		.amdhsa_float_round_mode_16_64 0
		.amdhsa_float_denorm_mode_32 3
		.amdhsa_float_denorm_mode_16_64 3
		.amdhsa_dx10_clamp 1
		.amdhsa_ieee_mode 1
		.amdhsa_fp16_overflow 0
		.amdhsa_tg_split 0
		.amdhsa_exception_fp_ieee_invalid_op 0
		.amdhsa_exception_fp_denorm_src 0
		.amdhsa_exception_fp_ieee_div_zero 0
		.amdhsa_exception_fp_ieee_overflow 0
		.amdhsa_exception_fp_ieee_underflow 0
		.amdhsa_exception_fp_ieee_inexact 0
		.amdhsa_exception_int_div_zero 0
	.end_amdhsa_kernel
	.section	.text._ZN7rocprim17ROCPRIM_400000_NS6detail17trampoline_kernelINS0_14default_configENS1_25partition_config_selectorILNS1_17partition_subalgoE9EllbEEZZNS1_14partition_implILS5_9ELb0ES3_jPlS8_PNS0_10empty_typeENS0_5tupleIJS8_S9_EEENSB_IJS8_SA_EEENS0_18inequality_wrapperIZN2at6native12_GLOBAL__N_124unique_dim_cuda_templateImEESt5tupleIJNSF_6TensorESK_SK_EERKSK_lbbbEUlllE0_EEPmJS9_EEE10hipError_tPvRmT3_T4_T5_T6_T7_T9_mT8_P12ihipStream_tbDpT10_ENKUlT_T0_E_clISt17integral_constantIbLb1EES19_IbLb0EEEEDaS15_S16_EUlS15_E_NS1_11comp_targetILNS1_3genE5ELNS1_11target_archE942ELNS1_3gpuE9ELNS1_3repE0EEENS1_30default_config_static_selectorELNS0_4arch9wavefront6targetE1EEEvT1_,"axG",@progbits,_ZN7rocprim17ROCPRIM_400000_NS6detail17trampoline_kernelINS0_14default_configENS1_25partition_config_selectorILNS1_17partition_subalgoE9EllbEEZZNS1_14partition_implILS5_9ELb0ES3_jPlS8_PNS0_10empty_typeENS0_5tupleIJS8_S9_EEENSB_IJS8_SA_EEENS0_18inequality_wrapperIZN2at6native12_GLOBAL__N_124unique_dim_cuda_templateImEESt5tupleIJNSF_6TensorESK_SK_EERKSK_lbbbEUlllE0_EEPmJS9_EEE10hipError_tPvRmT3_T4_T5_T6_T7_T9_mT8_P12ihipStream_tbDpT10_ENKUlT_T0_E_clISt17integral_constantIbLb1EES19_IbLb0EEEEDaS15_S16_EUlS15_E_NS1_11comp_targetILNS1_3genE5ELNS1_11target_archE942ELNS1_3gpuE9ELNS1_3repE0EEENS1_30default_config_static_selectorELNS0_4arch9wavefront6targetE1EEEvT1_,comdat
.Lfunc_end1710:
	.size	_ZN7rocprim17ROCPRIM_400000_NS6detail17trampoline_kernelINS0_14default_configENS1_25partition_config_selectorILNS1_17partition_subalgoE9EllbEEZZNS1_14partition_implILS5_9ELb0ES3_jPlS8_PNS0_10empty_typeENS0_5tupleIJS8_S9_EEENSB_IJS8_SA_EEENS0_18inequality_wrapperIZN2at6native12_GLOBAL__N_124unique_dim_cuda_templateImEESt5tupleIJNSF_6TensorESK_SK_EERKSK_lbbbEUlllE0_EEPmJS9_EEE10hipError_tPvRmT3_T4_T5_T6_T7_T9_mT8_P12ihipStream_tbDpT10_ENKUlT_T0_E_clISt17integral_constantIbLb1EES19_IbLb0EEEEDaS15_S16_EUlS15_E_NS1_11comp_targetILNS1_3genE5ELNS1_11target_archE942ELNS1_3gpuE9ELNS1_3repE0EEENS1_30default_config_static_selectorELNS0_4arch9wavefront6targetE1EEEvT1_, .Lfunc_end1710-_ZN7rocprim17ROCPRIM_400000_NS6detail17trampoline_kernelINS0_14default_configENS1_25partition_config_selectorILNS1_17partition_subalgoE9EllbEEZZNS1_14partition_implILS5_9ELb0ES3_jPlS8_PNS0_10empty_typeENS0_5tupleIJS8_S9_EEENSB_IJS8_SA_EEENS0_18inequality_wrapperIZN2at6native12_GLOBAL__N_124unique_dim_cuda_templateImEESt5tupleIJNSF_6TensorESK_SK_EERKSK_lbbbEUlllE0_EEPmJS9_EEE10hipError_tPvRmT3_T4_T5_T6_T7_T9_mT8_P12ihipStream_tbDpT10_ENKUlT_T0_E_clISt17integral_constantIbLb1EES19_IbLb0EEEEDaS15_S16_EUlS15_E_NS1_11comp_targetILNS1_3genE5ELNS1_11target_archE942ELNS1_3gpuE9ELNS1_3repE0EEENS1_30default_config_static_selectorELNS0_4arch9wavefront6targetE1EEEvT1_
                                        ; -- End function
	.section	.AMDGPU.csdata,"",@progbits
; Kernel info:
; codeLenInByte = 0
; NumSgprs: 4
; NumVgprs: 0
; NumAgprs: 0
; TotalNumVgprs: 0
; ScratchSize: 0
; MemoryBound: 0
; FloatMode: 240
; IeeeMode: 1
; LDSByteSize: 0 bytes/workgroup (compile time only)
; SGPRBlocks: 0
; VGPRBlocks: 0
; NumSGPRsForWavesPerEU: 4
; NumVGPRsForWavesPerEU: 1
; AccumOffset: 4
; Occupancy: 8
; WaveLimiterHint : 0
; COMPUTE_PGM_RSRC2:SCRATCH_EN: 0
; COMPUTE_PGM_RSRC2:USER_SGPR: 6
; COMPUTE_PGM_RSRC2:TRAP_HANDLER: 0
; COMPUTE_PGM_RSRC2:TGID_X_EN: 1
; COMPUTE_PGM_RSRC2:TGID_Y_EN: 0
; COMPUTE_PGM_RSRC2:TGID_Z_EN: 0
; COMPUTE_PGM_RSRC2:TIDIG_COMP_CNT: 0
; COMPUTE_PGM_RSRC3_GFX90A:ACCUM_OFFSET: 0
; COMPUTE_PGM_RSRC3_GFX90A:TG_SPLIT: 0
	.section	.text._ZN7rocprim17ROCPRIM_400000_NS6detail17trampoline_kernelINS0_14default_configENS1_25partition_config_selectorILNS1_17partition_subalgoE9EllbEEZZNS1_14partition_implILS5_9ELb0ES3_jPlS8_PNS0_10empty_typeENS0_5tupleIJS8_S9_EEENSB_IJS8_SA_EEENS0_18inequality_wrapperIZN2at6native12_GLOBAL__N_124unique_dim_cuda_templateImEESt5tupleIJNSF_6TensorESK_SK_EERKSK_lbbbEUlllE0_EEPmJS9_EEE10hipError_tPvRmT3_T4_T5_T6_T7_T9_mT8_P12ihipStream_tbDpT10_ENKUlT_T0_E_clISt17integral_constantIbLb1EES19_IbLb0EEEEDaS15_S16_EUlS15_E_NS1_11comp_targetILNS1_3genE4ELNS1_11target_archE910ELNS1_3gpuE8ELNS1_3repE0EEENS1_30default_config_static_selectorELNS0_4arch9wavefront6targetE1EEEvT1_,"axG",@progbits,_ZN7rocprim17ROCPRIM_400000_NS6detail17trampoline_kernelINS0_14default_configENS1_25partition_config_selectorILNS1_17partition_subalgoE9EllbEEZZNS1_14partition_implILS5_9ELb0ES3_jPlS8_PNS0_10empty_typeENS0_5tupleIJS8_S9_EEENSB_IJS8_SA_EEENS0_18inequality_wrapperIZN2at6native12_GLOBAL__N_124unique_dim_cuda_templateImEESt5tupleIJNSF_6TensorESK_SK_EERKSK_lbbbEUlllE0_EEPmJS9_EEE10hipError_tPvRmT3_T4_T5_T6_T7_T9_mT8_P12ihipStream_tbDpT10_ENKUlT_T0_E_clISt17integral_constantIbLb1EES19_IbLb0EEEEDaS15_S16_EUlS15_E_NS1_11comp_targetILNS1_3genE4ELNS1_11target_archE910ELNS1_3gpuE8ELNS1_3repE0EEENS1_30default_config_static_selectorELNS0_4arch9wavefront6targetE1EEEvT1_,comdat
	.globl	_ZN7rocprim17ROCPRIM_400000_NS6detail17trampoline_kernelINS0_14default_configENS1_25partition_config_selectorILNS1_17partition_subalgoE9EllbEEZZNS1_14partition_implILS5_9ELb0ES3_jPlS8_PNS0_10empty_typeENS0_5tupleIJS8_S9_EEENSB_IJS8_SA_EEENS0_18inequality_wrapperIZN2at6native12_GLOBAL__N_124unique_dim_cuda_templateImEESt5tupleIJNSF_6TensorESK_SK_EERKSK_lbbbEUlllE0_EEPmJS9_EEE10hipError_tPvRmT3_T4_T5_T6_T7_T9_mT8_P12ihipStream_tbDpT10_ENKUlT_T0_E_clISt17integral_constantIbLb1EES19_IbLb0EEEEDaS15_S16_EUlS15_E_NS1_11comp_targetILNS1_3genE4ELNS1_11target_archE910ELNS1_3gpuE8ELNS1_3repE0EEENS1_30default_config_static_selectorELNS0_4arch9wavefront6targetE1EEEvT1_ ; -- Begin function _ZN7rocprim17ROCPRIM_400000_NS6detail17trampoline_kernelINS0_14default_configENS1_25partition_config_selectorILNS1_17partition_subalgoE9EllbEEZZNS1_14partition_implILS5_9ELb0ES3_jPlS8_PNS0_10empty_typeENS0_5tupleIJS8_S9_EEENSB_IJS8_SA_EEENS0_18inequality_wrapperIZN2at6native12_GLOBAL__N_124unique_dim_cuda_templateImEESt5tupleIJNSF_6TensorESK_SK_EERKSK_lbbbEUlllE0_EEPmJS9_EEE10hipError_tPvRmT3_T4_T5_T6_T7_T9_mT8_P12ihipStream_tbDpT10_ENKUlT_T0_E_clISt17integral_constantIbLb1EES19_IbLb0EEEEDaS15_S16_EUlS15_E_NS1_11comp_targetILNS1_3genE4ELNS1_11target_archE910ELNS1_3gpuE8ELNS1_3repE0EEENS1_30default_config_static_selectorELNS0_4arch9wavefront6targetE1EEEvT1_
	.p2align	8
	.type	_ZN7rocprim17ROCPRIM_400000_NS6detail17trampoline_kernelINS0_14default_configENS1_25partition_config_selectorILNS1_17partition_subalgoE9EllbEEZZNS1_14partition_implILS5_9ELb0ES3_jPlS8_PNS0_10empty_typeENS0_5tupleIJS8_S9_EEENSB_IJS8_SA_EEENS0_18inequality_wrapperIZN2at6native12_GLOBAL__N_124unique_dim_cuda_templateImEESt5tupleIJNSF_6TensorESK_SK_EERKSK_lbbbEUlllE0_EEPmJS9_EEE10hipError_tPvRmT3_T4_T5_T6_T7_T9_mT8_P12ihipStream_tbDpT10_ENKUlT_T0_E_clISt17integral_constantIbLb1EES19_IbLb0EEEEDaS15_S16_EUlS15_E_NS1_11comp_targetILNS1_3genE4ELNS1_11target_archE910ELNS1_3gpuE8ELNS1_3repE0EEENS1_30default_config_static_selectorELNS0_4arch9wavefront6targetE1EEEvT1_,@function
_ZN7rocprim17ROCPRIM_400000_NS6detail17trampoline_kernelINS0_14default_configENS1_25partition_config_selectorILNS1_17partition_subalgoE9EllbEEZZNS1_14partition_implILS5_9ELb0ES3_jPlS8_PNS0_10empty_typeENS0_5tupleIJS8_S9_EEENSB_IJS8_SA_EEENS0_18inequality_wrapperIZN2at6native12_GLOBAL__N_124unique_dim_cuda_templateImEESt5tupleIJNSF_6TensorESK_SK_EERKSK_lbbbEUlllE0_EEPmJS9_EEE10hipError_tPvRmT3_T4_T5_T6_T7_T9_mT8_P12ihipStream_tbDpT10_ENKUlT_T0_E_clISt17integral_constantIbLb1EES19_IbLb0EEEEDaS15_S16_EUlS15_E_NS1_11comp_targetILNS1_3genE4ELNS1_11target_archE910ELNS1_3gpuE8ELNS1_3repE0EEENS1_30default_config_static_selectorELNS0_4arch9wavefront6targetE1EEEvT1_: ; @_ZN7rocprim17ROCPRIM_400000_NS6detail17trampoline_kernelINS0_14default_configENS1_25partition_config_selectorILNS1_17partition_subalgoE9EllbEEZZNS1_14partition_implILS5_9ELb0ES3_jPlS8_PNS0_10empty_typeENS0_5tupleIJS8_S9_EEENSB_IJS8_SA_EEENS0_18inequality_wrapperIZN2at6native12_GLOBAL__N_124unique_dim_cuda_templateImEESt5tupleIJNSF_6TensorESK_SK_EERKSK_lbbbEUlllE0_EEPmJS9_EEE10hipError_tPvRmT3_T4_T5_T6_T7_T9_mT8_P12ihipStream_tbDpT10_ENKUlT_T0_E_clISt17integral_constantIbLb1EES19_IbLb0EEEEDaS15_S16_EUlS15_E_NS1_11comp_targetILNS1_3genE4ELNS1_11target_archE910ELNS1_3gpuE8ELNS1_3repE0EEENS1_30default_config_static_selectorELNS0_4arch9wavefront6targetE1EEEvT1_
; %bb.0:
	s_load_dwordx8 s[20:27], s[4:5], 0x40
	s_load_dwordx4 s[0:3], s[4:5], 0x8
	s_load_dwordx2 s[12:13], s[4:5], 0x18
	s_load_dword s9, s[4:5], 0x70
	v_lshrrev_b32_e32 v18, 2, v0
	s_waitcnt lgkmcnt(0)
	v_mov_b32_e32 v2, s24
	s_lshl_b64 s[14:15], s[2:3], 3
	s_add_u32 s18, s0, s14
	s_addc_u32 s19, s1, s15
	s_add_i32 s10, s9, -1
	s_lshl_b32 s0, s10, 9
	s_add_i32 s0, s2, s0
	s_lshl_b32 s8, s6, 9
	s_sub_i32 s7, s24, s0
	s_lshl_b32 s0, s9, 9
	s_add_u32 s0, s2, s0
	s_addc_u32 s1, s3, 0
	v_mov_b32_e32 v3, s25
	s_cmp_eq_u32 s6, s10
	s_load_dwordx2 s[22:23], s[22:23], 0x0
	v_cmp_ge_u64_e32 vcc, s[0:1], v[2:3]
	s_cselect_b64 s[24:25], -1, 0
	s_mov_b32 s9, 0
	s_and_b64 s[10:11], s[24:25], vcc
	s_xor_b64 s[34:35], s[10:11], -1
	s_lshl_b64 s[16:17], s[8:9], 3
	s_add_u32 s8, s18, s16
	s_mov_b64 s[0:1], -1
	s_addc_u32 s9, s19, s17
	s_and_b64 vcc, exec, s[34:35]
	s_cbranch_vccz .LBB1711_2
; %bb.1:
	v_lshlrev_b32_e32 v1, 3, v0
	global_load_dwordx2 v[2:3], v1, s[8:9]
	global_load_dwordx2 v[4:5], v1, s[8:9] offset:1024
	global_load_dwordx2 v[6:7], v1, s[8:9] offset:2048
	;; [unrolled: 1-line block ×3, first 2 shown]
	v_or_b32_e32 v11, 0x80, v0
	v_or_b32_e32 v12, 0x100, v0
	;; [unrolled: 1-line block ×3, first 2 shown]
	v_and_b32_e32 v10, 24, v18
	v_lshrrev_b32_e32 v11, 2, v11
	v_lshrrev_b32_e32 v12, 2, v12
	;; [unrolled: 1-line block ×3, first 2 shown]
	v_add_u32_e32 v10, v10, v1
	v_and_b32_e32 v11, 56, v11
	v_and_b32_e32 v12, 0x58, v12
	v_and_b32_e32 v13, 0x78, v13
	v_add_u32_e32 v11, v11, v1
	v_add_u32_e32 v12, v12, v1
	;; [unrolled: 1-line block ×3, first 2 shown]
	s_mov_b64 s[0:1], 0
	s_waitcnt vmcnt(3)
	ds_write_b64 v10, v[2:3]
	s_waitcnt vmcnt(2)
	ds_write_b64 v11, v[4:5] offset:1024
	s_waitcnt vmcnt(1)
	ds_write_b64 v12, v[6:7] offset:2048
	;; [unrolled: 2-line block ×3, first 2 shown]
	s_waitcnt lgkmcnt(0)
	s_barrier
.LBB1711_2:
	s_load_dwordx4 s[28:31], s[4:5], 0x60
	s_andn2_b64 vcc, exec, s[0:1]
	v_cmp_gt_u32_e64 s[0:1], s7, v0
	s_cbranch_vccnz .LBB1711_12
; %bb.3:
                                        ; implicit-def: $vgpr2_vgpr3_vgpr4_vgpr5_vgpr6_vgpr7_vgpr8_vgpr9
	s_and_saveexec_b64 s[18:19], s[0:1]
	s_cbranch_execz .LBB1711_5
; %bb.4:
	v_lshlrev_b32_e32 v1, 3, v0
	global_load_dwordx2 v[2:3], v1, s[8:9]
.LBB1711_5:
	s_or_b64 exec, exec, s[18:19]
	v_or_b32_e32 v1, 0x80, v0
	v_cmp_gt_u32_e32 vcc, s7, v1
	s_and_saveexec_b64 s[0:1], vcc
	s_cbranch_execz .LBB1711_7
; %bb.6:
	v_lshlrev_b32_e32 v4, 3, v0
	global_load_dwordx2 v[4:5], v4, s[8:9] offset:1024
.LBB1711_7:
	s_or_b64 exec, exec, s[0:1]
	v_or_b32_e32 v10, 0x100, v0
	v_cmp_gt_u32_e32 vcc, s7, v10
	s_and_saveexec_b64 s[0:1], vcc
	s_cbranch_execz .LBB1711_9
; %bb.8:
	v_lshlrev_b32_e32 v6, 3, v0
	global_load_dwordx2 v[6:7], v6, s[8:9] offset:2048
.LBB1711_9:
	;; [unrolled: 9-line block ×3, first 2 shown]
	s_or_b64 exec, exec, s[0:1]
	v_lshrrev_b32_e32 v1, 2, v1
	v_lshlrev_b32_e32 v13, 3, v0
	v_and_b32_e32 v1, 56, v1
	v_add_u32_e32 v1, v1, v13
	s_waitcnt vmcnt(0)
	ds_write_b64 v1, v[4:5] offset:1024
	v_lshrrev_b32_e32 v1, 2, v10
	v_and_b32_e32 v1, 0x78, v1
	v_add_u32_e32 v1, v1, v13
	ds_write_b64 v1, v[6:7] offset:2048
	v_lshrrev_b32_e32 v1, 2, v11
	v_and_b32_e32 v12, 24, v18
	v_and_b32_e32 v1, 0x78, v1
	v_add_u32_e32 v12, v12, v13
	v_add_u32_e32 v1, v1, v13
	ds_write_b64 v12, v[2:3]
	ds_write_b64 v1, v[8:9] offset:3072
	s_waitcnt lgkmcnt(0)
	s_barrier
.LBB1711_12:
	v_lshlrev_b32_e32 v1, 2, v0
	v_lshrrev_b32_e32 v2, 3, v0
	v_add_lshl_u32 v19, v2, v1, 3
	s_waitcnt lgkmcnt(0)
	ds_read2_b64 v[14:17], v19 offset1:1
	ds_read2_b64 v[10:13], v19 offset0:2 offset1:3
	s_add_u32 s0, s12, s14
	s_addc_u32 s1, s13, s15
	s_add_u32 s0, s0, s16
	s_addc_u32 s1, s1, s17
	s_mov_b64 s[12:13], -1
	s_and_b64 vcc, exec, s[34:35]
	s_waitcnt lgkmcnt(0)
	s_barrier
	s_cbranch_vccz .LBB1711_14
; %bb.13:
	v_lshlrev_b32_e32 v20, 3, v0
	global_load_dwordx2 v[2:3], v20, s[0:1]
	global_load_dwordx2 v[4:5], v20, s[0:1] offset:1024
	global_load_dwordx2 v[6:7], v20, s[0:1] offset:2048
	;; [unrolled: 1-line block ×3, first 2 shown]
	v_or_b32_e32 v22, 0x80, v0
	v_or_b32_e32 v23, 0x100, v0
	;; [unrolled: 1-line block ×3, first 2 shown]
	v_and_b32_e32 v21, 24, v18
	v_lshrrev_b32_e32 v22, 2, v22
	v_lshrrev_b32_e32 v23, 2, v23
	;; [unrolled: 1-line block ×3, first 2 shown]
	v_add_u32_e32 v21, v21, v20
	v_and_b32_e32 v22, 56, v22
	v_and_b32_e32 v23, 0x58, v23
	;; [unrolled: 1-line block ×3, first 2 shown]
	v_add_u32_e32 v22, v22, v20
	v_add_u32_e32 v23, v23, v20
	;; [unrolled: 1-line block ×3, first 2 shown]
	s_mov_b64 s[12:13], 0
	s_waitcnt vmcnt(3)
	ds_write_b64 v21, v[2:3]
	s_waitcnt vmcnt(2)
	ds_write_b64 v22, v[4:5] offset:1024
	s_waitcnt vmcnt(1)
	ds_write_b64 v23, v[6:7] offset:2048
	;; [unrolled: 2-line block ×3, first 2 shown]
	s_waitcnt lgkmcnt(0)
	s_barrier
.LBB1711_14:
	s_andn2_b64 vcc, exec, s[12:13]
	s_cbranch_vccnz .LBB1711_24
; %bb.15:
	v_cmp_gt_u32_e32 vcc, s7, v0
                                        ; implicit-def: $vgpr2_vgpr3
	s_and_saveexec_b64 s[12:13], vcc
	s_cbranch_execz .LBB1711_17
; %bb.16:
	v_lshlrev_b32_e32 v2, 3, v0
	global_load_dwordx2 v[2:3], v2, s[0:1]
.LBB1711_17:
	s_or_b64 exec, exec, s[12:13]
	v_or_b32_e32 v20, 0x80, v0
	v_cmp_gt_u32_e32 vcc, s7, v20
                                        ; implicit-def: $vgpr4_vgpr5
	s_and_saveexec_b64 s[12:13], vcc
	s_cbranch_execz .LBB1711_19
; %bb.18:
	v_lshlrev_b32_e32 v4, 3, v0
	global_load_dwordx2 v[4:5], v4, s[0:1] offset:1024
.LBB1711_19:
	s_or_b64 exec, exec, s[12:13]
	v_or_b32_e32 v21, 0x100, v0
	v_cmp_gt_u32_e32 vcc, s7, v21
                                        ; implicit-def: $vgpr6_vgpr7
	s_and_saveexec_b64 s[12:13], vcc
	s_cbranch_execz .LBB1711_21
; %bb.20:
	v_lshlrev_b32_e32 v6, 3, v0
	global_load_dwordx2 v[6:7], v6, s[0:1] offset:2048
.LBB1711_21:
	s_or_b64 exec, exec, s[12:13]
	v_or_b32_e32 v22, 0x180, v0
	v_cmp_gt_u32_e32 vcc, s7, v22
                                        ; implicit-def: $vgpr8_vgpr9
	s_and_saveexec_b64 s[12:13], vcc
	s_cbranch_execz .LBB1711_23
; %bb.22:
	v_lshlrev_b32_e32 v8, 3, v0
	global_load_dwordx2 v[8:9], v8, s[0:1] offset:3072
.LBB1711_23:
	s_or_b64 exec, exec, s[12:13]
	v_and_b32_e32 v18, 24, v18
	v_lshlrev_b32_e32 v23, 3, v0
	v_add_u32_e32 v18, v18, v23
	s_waitcnt vmcnt(0)
	ds_write_b64 v18, v[2:3]
	v_lshrrev_b32_e32 v2, 2, v20
	v_and_b32_e32 v2, 56, v2
	v_add_u32_e32 v2, v2, v23
	ds_write_b64 v2, v[4:5] offset:1024
	v_lshrrev_b32_e32 v2, 2, v21
	v_and_b32_e32 v2, 0x78, v2
	v_add_u32_e32 v2, v2, v23
	ds_write_b64 v2, v[6:7] offset:2048
	;; [unrolled: 4-line block ×3, first 2 shown]
	s_waitcnt lgkmcnt(0)
	s_barrier
.LBB1711_24:
	ds_read2_b64 v[6:9], v19 offset1:1
	ds_read2_b64 v[2:5], v19 offset0:2 offset1:3
	s_cmp_lg_u32 s6, 0
	s_cselect_b64 s[16:17], -1, 0
	s_cmp_lg_u64 s[2:3], 0
	s_cselect_b64 s[0:1], -1, 0
	s_or_b64 s[0:1], s[16:17], s[0:1]
	s_mov_b64 s[12:13], 0
	s_and_b64 vcc, exec, s[0:1]
	v_cmp_gt_i64_e64 s[0:1], s[26:27], 0
	s_waitcnt lgkmcnt(0)
	s_barrier
	s_cbranch_vccz .LBB1711_33
; %bb.25:
	s_add_u32 s2, s8, -8
	s_addc_u32 s3, s9, -1
	s_load_dwordx2 s[12:13], s[2:3], 0x0
	v_cndmask_b32_e64 v18, 0, 1, s[0:1]
	v_lshlrev_b32_e32 v26, 3, v0
	s_mov_b64 s[14:15], 0
	s_and_b64 vcc, exec, s[34:35]
	v_cmp_ne_u32_e64 s[0:1], 1, v18
	ds_write_b64 v26, v[12:13]
	s_cbranch_vccz .LBB1711_34
; %bb.26:
	v_mul_lo_u32 v20, v11, s26
	v_mul_lo_u32 v21, v10, s27
	v_mad_u64_u32 v[18:19], s[2:3], v10, s26, 0
	v_add3_u32 v19, v19, v21, v20
	s_and_b64 vcc, exec, s[0:1]
	v_lshlrev_b64 v[18:19], 3, v[18:19]
	s_cbranch_vccnz .LBB1711_37
; %bb.27:
	v_mul_lo_u32 v22, v13, s26
	v_mul_lo_u32 v23, v12, s27
	v_mad_u64_u32 v[20:21], s[2:3], v12, s26, 0
	v_add3_u32 v21, v21, v23, v22
	v_mov_b32_e32 v23, s29
	v_add_co_u32_e32 v22, vcc, s28, v18
	v_addc_co_u32_e64 v23, s[2:3], v23, v19, vcc
	v_lshlrev_b64 v[20:21], 3, v[20:21]
	v_mov_b32_e32 v25, s29
	v_add_co_u32_e64 v24, s[2:3], s28, v20
	v_addc_co_u32_e64 v25, s[8:9], v25, v21, s[2:3]
	global_load_dwordx2 v[28:29], v[22:23], off
	global_load_dwordx2 v[30:31], v[24:25], off
	s_mov_b64 s[14:15], -1
	s_waitcnt vmcnt(0)
	v_cmp_eq_u64_e64 s[8:9], v[28:29], v[30:31]
	s_and_saveexec_b64 s[18:19], s[8:9]
	s_cbranch_execz .LBB1711_36
; %bb.28:
	v_mov_b32_e32 v20, s29
	v_addc_co_u32_e64 v21, s[2:3], v21, v20, s[2:3]
	v_add_co_u32_e64 v20, s[2:3], 8, v24
	v_mov_b32_e32 v23, s29
	v_addc_co_u32_e64 v21, s[2:3], 0, v21, s[2:3]
	v_addc_co_u32_e32 v23, vcc, v19, v23, vcc
	v_add_co_u32_e32 v22, vcc, 8, v22
	s_add_u32 s2, s26, -1
	v_addc_co_u32_e32 v23, vcc, 0, v23, vcc
	s_addc_u32 s3, s27, -1
	s_mov_b64 s[8:9], 0
	s_mov_b64 s[36:37], 0
                                        ; implicit-def: $sgpr14_sgpr15
	s_branch .LBB1711_31
.LBB1711_29:                            ;   in Loop: Header=BB1711_31 Depth=1
	global_load_dwordx2 v[24:25], v[22:23], off
	global_load_dwordx2 v[28:29], v[20:21], off
	v_add_co_u32_e32 v20, vcc, 8, v20
	v_addc_co_u32_e32 v21, vcc, 0, v21, vcc
	v_add_co_u32_e32 v22, vcc, 8, v22
	v_addc_co_u32_e32 v23, vcc, 0, v23, vcc
	s_add_u32 s36, s36, 1
	s_addc_u32 s37, s37, 0
	s_andn2_b64 s[14:15], s[14:15], exec
	s_waitcnt vmcnt(0)
	v_cmp_ne_u64_e32 vcc, v[24:25], v[28:29]
	s_and_b64 s[38:39], vcc, exec
	s_or_b64 s[14:15], s[14:15], s[38:39]
.LBB1711_30:                            ;   in Loop: Header=BB1711_31 Depth=1
	s_and_b64 s[38:39], exec, s[14:15]
	s_or_b64 s[8:9], s[38:39], s[8:9]
	v_pk_mov_b32 v[24:25], s[36:37], s[36:37] op_sel:[0,1]
	s_andn2_b64 exec, exec, s[8:9]
	s_cbranch_execz .LBB1711_35
.LBB1711_31:                            ; =>This Inner Loop Header: Depth=1
	s_or_b64 s[14:15], s[14:15], exec
	s_cmp_eq_u64 s[2:3], s[36:37]
	s_cbranch_scc0 .LBB1711_29
; %bb.32:                               ;   in Loop: Header=BB1711_31 Depth=1
                                        ; implicit-def: $vgpr20_vgpr21
                                        ; implicit-def: $vgpr22_vgpr23
	s_mov_b64 s[36:37], s[26:27]
	s_branch .LBB1711_30
.LBB1711_33:
                                        ; implicit-def: $sgpr18_sgpr19
                                        ; implicit-def: $vgpr28
	s_branch .LBB1711_115
.LBB1711_34:
                                        ; implicit-def: $sgpr18_sgpr19
                                        ; implicit-def: $vgpr28
	s_cbranch_execnz .LBB1711_67
	s_branch .LBB1711_114
.LBB1711_35:
	s_or_b64 exec, exec, s[8:9]
	v_cmp_gt_i64_e32 vcc, s[26:27], v[24:25]
	s_orn2_b64 s[14:15], vcc, exec
.LBB1711_36:
	s_or_b64 exec, exec, s[18:19]
.LBB1711_37:
	v_mul_lo_u32 v22, v17, s26
	v_mul_lo_u32 v23, v16, s27
	v_mad_u64_u32 v[20:21], s[2:3], v16, s26, 0
	v_add3_u32 v21, v21, v23, v22
	s_mov_b64 s[18:19], 0
	s_and_b64 vcc, exec, s[0:1]
	v_lshlrev_b64 v[20:21], 3, v[20:21]
	s_mov_b64 s[36:37], 0
	s_cbranch_vccnz .LBB1711_46
; %bb.38:
	v_mov_b32_e32 v23, s29
	v_add_co_u32_e32 v22, vcc, s28, v20
	v_addc_co_u32_e64 v23, s[2:3], v23, v21, vcc
	v_mov_b32_e32 v25, s29
	v_add_co_u32_e64 v24, s[2:3], s28, v18
	v_addc_co_u32_e64 v25, s[8:9], v25, v19, s[2:3]
	global_load_dwordx2 v[28:29], v[22:23], off
	global_load_dwordx2 v[30:31], v[24:25], off
	s_mov_b64 s[36:37], -1
	s_waitcnt vmcnt(0)
	v_cmp_eq_u64_e64 s[8:9], v[28:29], v[30:31]
	s_and_saveexec_b64 s[38:39], s[8:9]
	s_cbranch_execz .LBB1711_45
; %bb.39:
	v_mov_b32_e32 v18, s29
	v_addc_co_u32_e64 v19, s[2:3], v19, v18, s[2:3]
	v_add_co_u32_e64 v18, s[2:3], 8, v24
	v_mov_b32_e32 v23, s29
	v_addc_co_u32_e64 v19, s[2:3], 0, v19, s[2:3]
	v_addc_co_u32_e32 v23, vcc, v21, v23, vcc
	v_add_co_u32_e32 v22, vcc, 8, v22
	s_add_u32 s2, s26, -1
	v_addc_co_u32_e32 v23, vcc, 0, v23, vcc
	s_addc_u32 s3, s27, -1
	s_mov_b64 s[8:9], 0
	s_mov_b64 s[40:41], 0
                                        ; implicit-def: $sgpr36_sgpr37
	s_branch .LBB1711_42
.LBB1711_40:                            ;   in Loop: Header=BB1711_42 Depth=1
	global_load_dwordx2 v[24:25], v[22:23], off
	global_load_dwordx2 v[28:29], v[18:19], off
	v_add_co_u32_e32 v18, vcc, 8, v18
	v_addc_co_u32_e32 v19, vcc, 0, v19, vcc
	v_add_co_u32_e32 v22, vcc, 8, v22
	v_addc_co_u32_e32 v23, vcc, 0, v23, vcc
	s_add_u32 s40, s40, 1
	s_addc_u32 s41, s41, 0
	s_andn2_b64 s[36:37], s[36:37], exec
	s_waitcnt vmcnt(0)
	v_cmp_ne_u64_e32 vcc, v[24:25], v[28:29]
	s_and_b64 s[42:43], vcc, exec
	s_or_b64 s[36:37], s[36:37], s[42:43]
.LBB1711_41:                            ;   in Loop: Header=BB1711_42 Depth=1
	s_and_b64 s[42:43], exec, s[36:37]
	s_or_b64 s[8:9], s[42:43], s[8:9]
	v_pk_mov_b32 v[24:25], s[40:41], s[40:41] op_sel:[0,1]
	s_andn2_b64 exec, exec, s[8:9]
	s_cbranch_execz .LBB1711_44
.LBB1711_42:                            ; =>This Inner Loop Header: Depth=1
	s_or_b64 s[36:37], s[36:37], exec
	s_cmp_eq_u64 s[2:3], s[40:41]
	s_cbranch_scc0 .LBB1711_40
; %bb.43:                               ;   in Loop: Header=BB1711_42 Depth=1
                                        ; implicit-def: $vgpr18_vgpr19
                                        ; implicit-def: $vgpr22_vgpr23
	s_mov_b64 s[40:41], s[26:27]
	s_branch .LBB1711_41
.LBB1711_44:
	s_or_b64 exec, exec, s[8:9]
	v_cmp_gt_i64_e32 vcc, s[26:27], v[24:25]
	s_orn2_b64 s[36:37], vcc, exec
.LBB1711_45:
	s_or_b64 exec, exec, s[38:39]
.LBB1711_46:
	v_mul_lo_u32 v22, v15, s26
	v_mul_lo_u32 v23, v14, s27
	v_mad_u64_u32 v[18:19], s[2:3], v14, s26, 0
	v_add3_u32 v19, v19, v23, v22
	s_and_b64 vcc, exec, s[0:1]
	v_lshlrev_b64 v[18:19], 3, v[18:19]
	s_cbranch_vccnz .LBB1711_55
; %bb.47:
	v_mov_b32_e32 v23, s29
	v_add_co_u32_e32 v22, vcc, s28, v18
	v_addc_co_u32_e64 v23, s[2:3], v23, v19, vcc
	v_mov_b32_e32 v25, s29
	v_add_co_u32_e64 v24, s[2:3], s28, v20
	v_addc_co_u32_e64 v25, s[8:9], v25, v21, s[2:3]
	global_load_dwordx2 v[28:29], v[22:23], off
	global_load_dwordx2 v[30:31], v[24:25], off
	s_mov_b64 s[18:19], -1
	s_waitcnt vmcnt(0)
	v_cmp_eq_u64_e64 s[8:9], v[28:29], v[30:31]
	s_and_saveexec_b64 s[38:39], s[8:9]
	s_cbranch_execz .LBB1711_54
; %bb.48:
	v_mov_b32_e32 v20, s29
	v_addc_co_u32_e64 v21, s[2:3], v21, v20, s[2:3]
	v_add_co_u32_e64 v20, s[2:3], 8, v24
	v_mov_b32_e32 v23, s29
	v_addc_co_u32_e64 v21, s[2:3], 0, v21, s[2:3]
	v_addc_co_u32_e32 v23, vcc, v19, v23, vcc
	v_add_co_u32_e32 v22, vcc, 8, v22
	s_add_u32 s2, s26, -1
	v_addc_co_u32_e32 v23, vcc, 0, v23, vcc
	s_addc_u32 s3, s27, -1
	s_mov_b64 s[8:9], 0
	s_mov_b64 s[40:41], 0
                                        ; implicit-def: $sgpr18_sgpr19
	s_branch .LBB1711_51
.LBB1711_49:                            ;   in Loop: Header=BB1711_51 Depth=1
	global_load_dwordx2 v[24:25], v[22:23], off
	global_load_dwordx2 v[28:29], v[20:21], off
	v_add_co_u32_e32 v20, vcc, 8, v20
	v_addc_co_u32_e32 v21, vcc, 0, v21, vcc
	v_add_co_u32_e32 v22, vcc, 8, v22
	v_addc_co_u32_e32 v23, vcc, 0, v23, vcc
	s_add_u32 s40, s40, 1
	s_addc_u32 s41, s41, 0
	s_andn2_b64 s[18:19], s[18:19], exec
	s_waitcnt vmcnt(0)
	v_cmp_ne_u64_e32 vcc, v[24:25], v[28:29]
	s_and_b64 s[42:43], vcc, exec
	s_or_b64 s[18:19], s[18:19], s[42:43]
.LBB1711_50:                            ;   in Loop: Header=BB1711_51 Depth=1
	s_and_b64 s[42:43], exec, s[18:19]
	s_or_b64 s[8:9], s[42:43], s[8:9]
	v_pk_mov_b32 v[24:25], s[40:41], s[40:41] op_sel:[0,1]
	s_andn2_b64 exec, exec, s[8:9]
	s_cbranch_execz .LBB1711_53
.LBB1711_51:                            ; =>This Inner Loop Header: Depth=1
	s_or_b64 s[18:19], s[18:19], exec
	s_cmp_eq_u64 s[2:3], s[40:41]
	s_cbranch_scc0 .LBB1711_49
; %bb.52:                               ;   in Loop: Header=BB1711_51 Depth=1
                                        ; implicit-def: $vgpr20_vgpr21
                                        ; implicit-def: $vgpr22_vgpr23
	s_mov_b64 s[40:41], s[26:27]
	s_branch .LBB1711_50
.LBB1711_53:
	s_or_b64 exec, exec, s[8:9]
	v_cmp_gt_i64_e32 vcc, s[26:27], v[24:25]
	s_orn2_b64 s[18:19], vcc, exec
.LBB1711_54:
	s_or_b64 exec, exec, s[38:39]
.LBB1711_55:
	v_cmp_ne_u32_e32 vcc, 0, v0
	s_waitcnt lgkmcnt(0)
	v_pk_mov_b32 v[20:21], s[12:13], s[12:13] op_sel:[0,1]
	s_barrier
	s_and_saveexec_b64 s[2:3], vcc
	s_cbranch_execz .LBB1711_57
; %bb.56:
	v_add_u32_e32 v20, -8, v26
	ds_read_b64 v[20:21], v20
.LBB1711_57:
	s_or_b64 exec, exec, s[2:3]
	v_cndmask_b32_e64 v23, 0, 1, s[14:15]
	v_cndmask_b32_e64 v22, 0, 1, s[36:37]
	;; [unrolled: 1-line block ×3, first 2 shown]
	v_lshlrev_b16_e32 v23, 8, v23
	v_lshlrev_b16_e32 v27, 8, v24
	v_or_b32_sdwa v28, v22, v23 dst_sel:WORD_1 dst_unused:UNUSED_PAD src0_sel:DWORD src1_sel:DWORD
	s_mov_b64 s[14:15], 0
	s_and_b64 vcc, exec, s[0:1]
	s_mov_b64 s[18:19], 0
	s_cbranch_vccnz .LBB1711_66
; %bb.58:
	s_waitcnt lgkmcnt(0)
	v_mul_lo_u32 v22, v21, s26
	v_mul_lo_u32 v23, v20, s27
	v_mad_u64_u32 v[20:21], s[2:3], v20, s26, 0
	v_add3_u32 v21, v21, v23, v22
	v_lshlrev_b64 v[20:21], 3, v[20:21]
	v_mov_b32_e32 v23, s29
	v_add_co_u32_e32 v22, vcc, s28, v20
	v_addc_co_u32_e64 v23, s[2:3], v23, v21, vcc
	v_mov_b32_e32 v20, s29
	v_add_co_u32_e64 v24, s[2:3], s28, v18
	v_addc_co_u32_e64 v25, s[8:9], v20, v19, s[2:3]
	global_load_dwordx2 v[30:31], v[22:23], off
	global_load_dwordx2 v[32:33], v[24:25], off
	s_mov_b64 s[18:19], -1
	s_waitcnt vmcnt(0)
	v_cmp_eq_u64_e64 s[8:9], v[30:31], v[32:33]
	s_and_saveexec_b64 s[36:37], s[8:9]
	s_cbranch_execz .LBB1711_65
; %bb.59:
	v_mov_b32_e32 v18, s29
	v_addc_co_u32_e64 v19, s[2:3], v19, v18, s[2:3]
	v_add_co_u32_e64 v18, s[2:3], 8, v24
	v_mov_b32_e32 v20, s29
	v_addc_co_u32_e64 v19, s[2:3], 0, v19, s[2:3]
	v_addc_co_u32_e32 v21, vcc, v21, v20, vcc
	v_add_co_u32_e32 v20, vcc, 8, v22
	s_add_u32 s2, s26, -1
	v_addc_co_u32_e32 v21, vcc, 0, v21, vcc
	s_addc_u32 s3, s27, -1
	s_mov_b64 s[8:9], 0
	s_mov_b64 s[38:39], 0
                                        ; implicit-def: $sgpr18_sgpr19
	s_branch .LBB1711_62
.LBB1711_60:                            ;   in Loop: Header=BB1711_62 Depth=1
	global_load_dwordx2 v[22:23], v[20:21], off
	global_load_dwordx2 v[24:25], v[18:19], off
	v_add_co_u32_e32 v18, vcc, 8, v18
	v_addc_co_u32_e32 v19, vcc, 0, v19, vcc
	v_add_co_u32_e32 v20, vcc, 8, v20
	v_addc_co_u32_e32 v21, vcc, 0, v21, vcc
	s_add_u32 s38, s38, 1
	s_addc_u32 s39, s39, 0
	s_andn2_b64 s[18:19], s[18:19], exec
	s_waitcnt vmcnt(0)
	v_cmp_ne_u64_e32 vcc, v[22:23], v[24:25]
	s_and_b64 s[40:41], vcc, exec
	s_or_b64 s[18:19], s[18:19], s[40:41]
.LBB1711_61:                            ;   in Loop: Header=BB1711_62 Depth=1
	s_and_b64 s[40:41], exec, s[18:19]
	s_or_b64 s[8:9], s[40:41], s[8:9]
	v_pk_mov_b32 v[22:23], s[38:39], s[38:39] op_sel:[0,1]
	s_andn2_b64 exec, exec, s[8:9]
	s_cbranch_execz .LBB1711_64
.LBB1711_62:                            ; =>This Inner Loop Header: Depth=1
	s_or_b64 s[18:19], s[18:19], exec
	s_cmp_eq_u64 s[2:3], s[38:39]
	s_cbranch_scc0 .LBB1711_60
; %bb.63:                               ;   in Loop: Header=BB1711_62 Depth=1
                                        ; implicit-def: $vgpr18_vgpr19
                                        ; implicit-def: $vgpr20_vgpr21
	s_mov_b64 s[38:39], s[26:27]
	s_branch .LBB1711_61
.LBB1711_64:
	s_or_b64 exec, exec, s[8:9]
	v_cmp_gt_i64_e32 vcc, s[26:27], v[22:23]
	s_orn2_b64 s[18:19], vcc, exec
.LBB1711_65:
	s_or_b64 exec, exec, s[36:37]
.LBB1711_66:
	v_or_b32_e32 v28, v27, v28
	s_and_b64 vcc, exec, s[14:15]
	s_cbranch_vccz .LBB1711_114
.LBB1711_67:
	v_or_b32_e32 v18, 3, v1
	v_cmp_gt_u32_e32 vcc, s7, v18
	s_mov_b64 s[18:19], 0
	s_mov_b64 s[14:15], 0
	s_and_saveexec_b64 s[36:37], vcc
	s_cbranch_execz .LBB1711_78
; %bb.68:
	s_and_b64 vcc, exec, s[0:1]
	s_mov_b64 s[38:39], 0
	s_cbranch_vccnz .LBB1711_77
; %bb.69:
	s_waitcnt lgkmcnt(0)
	v_mul_lo_u32 v20, v11, s26
	v_mul_lo_u32 v21, v10, s27
	v_mad_u64_u32 v[18:19], s[2:3], v10, s26, 0
	v_add3_u32 v19, v19, v21, v20
	v_mul_lo_u32 v20, v13, s26
	v_mul_lo_u32 v21, v12, s27
	v_mad_u64_u32 v[24:25], s[2:3], v12, s26, 0
	v_add3_u32 v25, v25, v21, v20
	v_lshlrev_b64 v[20:21], 3, v[18:19]
	v_mov_b32_e32 v18, s29
	v_add_co_u32_e32 v22, vcc, s28, v20
	v_addc_co_u32_e64 v23, s[2:3], v18, v21, vcc
	v_lshlrev_b64 v[18:19], 3, v[24:25]
	v_mov_b32_e32 v20, s29
	v_add_co_u32_e64 v24, s[2:3], s28, v18
	v_addc_co_u32_e64 v25, s[8:9], v20, v19, s[2:3]
	global_load_dwordx2 v[28:29], v[22:23], off
	global_load_dwordx2 v[30:31], v[24:25], off
	s_mov_b64 s[38:39], -1
	s_waitcnt vmcnt(0)
	v_cmp_eq_u64_e64 s[8:9], v[28:29], v[30:31]
	s_and_saveexec_b64 s[14:15], s[8:9]
	s_cbranch_execz .LBB1711_76
; %bb.70:
	v_mov_b32_e32 v18, s29
	v_addc_co_u32_e64 v19, s[2:3], v19, v18, s[2:3]
	v_add_co_u32_e64 v18, s[2:3], 8, v24
	v_mov_b32_e32 v20, s29
	v_addc_co_u32_e64 v19, s[2:3], 0, v19, s[2:3]
	v_addc_co_u32_e32 v21, vcc, v21, v20, vcc
	v_add_co_u32_e32 v20, vcc, 8, v22
	s_add_u32 s2, s26, -1
	v_addc_co_u32_e32 v21, vcc, 0, v21, vcc
	s_addc_u32 s3, s27, -1
	s_mov_b64 s[8:9], 0
	s_mov_b64 s[40:41], 0
                                        ; implicit-def: $sgpr38_sgpr39
	s_branch .LBB1711_73
.LBB1711_71:                            ;   in Loop: Header=BB1711_73 Depth=1
	global_load_dwordx2 v[22:23], v[20:21], off
	global_load_dwordx2 v[24:25], v[18:19], off
	v_add_co_u32_e32 v18, vcc, 8, v18
	v_addc_co_u32_e32 v19, vcc, 0, v19, vcc
	v_add_co_u32_e32 v20, vcc, 8, v20
	v_addc_co_u32_e32 v21, vcc, 0, v21, vcc
	s_add_u32 s40, s40, 1
	s_addc_u32 s41, s41, 0
	s_andn2_b64 s[38:39], s[38:39], exec
	s_waitcnt vmcnt(0)
	v_cmp_ne_u64_e32 vcc, v[22:23], v[24:25]
	s_and_b64 s[42:43], vcc, exec
	s_or_b64 s[38:39], s[38:39], s[42:43]
.LBB1711_72:                            ;   in Loop: Header=BB1711_73 Depth=1
	s_and_b64 s[42:43], exec, s[38:39]
	s_or_b64 s[8:9], s[42:43], s[8:9]
	v_pk_mov_b32 v[22:23], s[40:41], s[40:41] op_sel:[0,1]
	s_andn2_b64 exec, exec, s[8:9]
	s_cbranch_execz .LBB1711_75
.LBB1711_73:                            ; =>This Inner Loop Header: Depth=1
	s_or_b64 s[38:39], s[38:39], exec
	s_cmp_eq_u64 s[2:3], s[40:41]
	s_cbranch_scc0 .LBB1711_71
; %bb.74:                               ;   in Loop: Header=BB1711_73 Depth=1
                                        ; implicit-def: $vgpr18_vgpr19
                                        ; implicit-def: $vgpr20_vgpr21
	s_mov_b64 s[40:41], s[26:27]
	s_branch .LBB1711_72
.LBB1711_75:
	s_or_b64 exec, exec, s[8:9]
	v_cmp_gt_i64_e32 vcc, s[26:27], v[22:23]
	s_orn2_b64 s[38:39], vcc, exec
.LBB1711_76:
	s_or_b64 exec, exec, s[14:15]
.LBB1711_77:
	s_and_b64 s[14:15], s[38:39], exec
.LBB1711_78:
	s_or_b64 exec, exec, s[36:37]
	v_or_b32_e32 v18, 2, v1
	v_cmp_gt_u32_e32 vcc, s7, v18
	s_and_saveexec_b64 s[36:37], vcc
	s_cbranch_execz .LBB1711_89
; %bb.79:
	s_and_b64 vcc, exec, s[0:1]
	s_mov_b64 s[38:39], 0
	s_cbranch_vccnz .LBB1711_88
; %bb.80:
	s_waitcnt lgkmcnt(0)
	v_mul_lo_u32 v20, v17, s26
	v_mul_lo_u32 v21, v16, s27
	v_mad_u64_u32 v[18:19], s[2:3], v16, s26, 0
	v_add3_u32 v19, v19, v21, v20
	v_mul_lo_u32 v20, v11, s26
	v_mul_lo_u32 v21, v10, s27
	v_mad_u64_u32 v[24:25], s[2:3], v10, s26, 0
	v_add3_u32 v25, v25, v21, v20
	v_lshlrev_b64 v[20:21], 3, v[18:19]
	v_mov_b32_e32 v18, s29
	v_add_co_u32_e32 v22, vcc, s28, v20
	v_addc_co_u32_e64 v23, s[2:3], v18, v21, vcc
	v_lshlrev_b64 v[18:19], 3, v[24:25]
	v_mov_b32_e32 v20, s29
	v_add_co_u32_e64 v24, s[2:3], s28, v18
	v_addc_co_u32_e64 v25, s[8:9], v20, v19, s[2:3]
	global_load_dwordx2 v[28:29], v[22:23], off
	global_load_dwordx2 v[30:31], v[24:25], off
	s_mov_b64 s[38:39], -1
	s_waitcnt vmcnt(0)
	v_cmp_eq_u64_e64 s[8:9], v[28:29], v[30:31]
	s_and_saveexec_b64 s[18:19], s[8:9]
	s_cbranch_execz .LBB1711_87
; %bb.81:
	v_mov_b32_e32 v18, s29
	v_addc_co_u32_e64 v19, s[2:3], v19, v18, s[2:3]
	v_add_co_u32_e64 v18, s[2:3], 8, v24
	v_mov_b32_e32 v20, s29
	v_addc_co_u32_e64 v19, s[2:3], 0, v19, s[2:3]
	v_addc_co_u32_e32 v21, vcc, v21, v20, vcc
	v_add_co_u32_e32 v20, vcc, 8, v22
	s_add_u32 s2, s26, -1
	v_addc_co_u32_e32 v21, vcc, 0, v21, vcc
	s_addc_u32 s3, s27, -1
	s_mov_b64 s[8:9], 0
	s_mov_b64 s[40:41], 0
                                        ; implicit-def: $sgpr38_sgpr39
	s_branch .LBB1711_84
.LBB1711_82:                            ;   in Loop: Header=BB1711_84 Depth=1
	global_load_dwordx2 v[22:23], v[20:21], off
	global_load_dwordx2 v[24:25], v[18:19], off
	v_add_co_u32_e32 v18, vcc, 8, v18
	v_addc_co_u32_e32 v19, vcc, 0, v19, vcc
	v_add_co_u32_e32 v20, vcc, 8, v20
	v_addc_co_u32_e32 v21, vcc, 0, v21, vcc
	s_add_u32 s40, s40, 1
	s_addc_u32 s41, s41, 0
	s_andn2_b64 s[38:39], s[38:39], exec
	s_waitcnt vmcnt(0)
	v_cmp_ne_u64_e32 vcc, v[22:23], v[24:25]
	s_and_b64 s[42:43], vcc, exec
	s_or_b64 s[38:39], s[38:39], s[42:43]
.LBB1711_83:                            ;   in Loop: Header=BB1711_84 Depth=1
	s_and_b64 s[42:43], exec, s[38:39]
	s_or_b64 s[8:9], s[42:43], s[8:9]
	v_pk_mov_b32 v[22:23], s[40:41], s[40:41] op_sel:[0,1]
	s_andn2_b64 exec, exec, s[8:9]
	s_cbranch_execz .LBB1711_86
.LBB1711_84:                            ; =>This Inner Loop Header: Depth=1
	s_or_b64 s[38:39], s[38:39], exec
	s_cmp_eq_u64 s[2:3], s[40:41]
	s_cbranch_scc0 .LBB1711_82
; %bb.85:                               ;   in Loop: Header=BB1711_84 Depth=1
                                        ; implicit-def: $vgpr18_vgpr19
                                        ; implicit-def: $vgpr20_vgpr21
	s_mov_b64 s[40:41], s[26:27]
	s_branch .LBB1711_83
.LBB1711_86:
	s_or_b64 exec, exec, s[8:9]
	v_cmp_gt_i64_e32 vcc, s[26:27], v[22:23]
	s_orn2_b64 s[38:39], vcc, exec
.LBB1711_87:
	s_or_b64 exec, exec, s[18:19]
.LBB1711_88:
	s_and_b64 s[18:19], s[38:39], exec
.LBB1711_89:
	s_or_b64 exec, exec, s[36:37]
	v_or_b32_e32 v18, 1, v1
	v_cmp_gt_u32_e32 vcc, s7, v18
	s_mov_b64 s[2:3], 0
	s_and_saveexec_b64 s[36:37], vcc
	s_cbranch_execz .LBB1711_100
; %bb.90:
	s_and_b64 vcc, exec, s[0:1]
	s_mov_b64 s[40:41], 0
	s_cbranch_vccnz .LBB1711_99
; %bb.91:
	s_waitcnt lgkmcnt(0)
	v_mul_lo_u32 v20, v15, s26
	v_mul_lo_u32 v21, v14, s27
	v_mad_u64_u32 v[18:19], s[2:3], v14, s26, 0
	v_add3_u32 v19, v19, v21, v20
	v_mul_lo_u32 v20, v17, s26
	v_mul_lo_u32 v21, v16, s27
	v_mad_u64_u32 v[24:25], s[2:3], v16, s26, 0
	v_add3_u32 v25, v25, v21, v20
	v_lshlrev_b64 v[20:21], 3, v[18:19]
	v_mov_b32_e32 v18, s29
	v_add_co_u32_e32 v22, vcc, s28, v20
	v_addc_co_u32_e64 v23, s[2:3], v18, v21, vcc
	v_lshlrev_b64 v[18:19], 3, v[24:25]
	v_mov_b32_e32 v20, s29
	v_add_co_u32_e64 v24, s[2:3], s28, v18
	v_addc_co_u32_e64 v25, s[8:9], v20, v19, s[2:3]
	global_load_dwordx2 v[28:29], v[22:23], off
	global_load_dwordx2 v[30:31], v[24:25], off
	s_mov_b64 s[40:41], -1
	s_waitcnt vmcnt(0)
	v_cmp_eq_u64_e64 s[8:9], v[28:29], v[30:31]
	s_and_saveexec_b64 s[38:39], s[8:9]
	s_cbranch_execz .LBB1711_98
; %bb.92:
	v_mov_b32_e32 v18, s29
	v_addc_co_u32_e64 v19, s[2:3], v19, v18, s[2:3]
	v_add_co_u32_e64 v18, s[2:3], 8, v24
	v_mov_b32_e32 v20, s29
	v_addc_co_u32_e64 v19, s[2:3], 0, v19, s[2:3]
	v_addc_co_u32_e32 v21, vcc, v21, v20, vcc
	v_add_co_u32_e32 v20, vcc, 8, v22
	s_add_u32 s2, s26, -1
	v_addc_co_u32_e32 v21, vcc, 0, v21, vcc
	s_addc_u32 s3, s27, -1
	s_mov_b64 s[8:9], 0
	s_mov_b64 s[42:43], 0
                                        ; implicit-def: $sgpr40_sgpr41
	s_branch .LBB1711_95
.LBB1711_93:                            ;   in Loop: Header=BB1711_95 Depth=1
	global_load_dwordx2 v[22:23], v[20:21], off
	global_load_dwordx2 v[24:25], v[18:19], off
	v_add_co_u32_e32 v18, vcc, 8, v18
	v_addc_co_u32_e32 v19, vcc, 0, v19, vcc
	v_add_co_u32_e32 v20, vcc, 8, v20
	v_addc_co_u32_e32 v21, vcc, 0, v21, vcc
	s_add_u32 s42, s42, 1
	s_addc_u32 s43, s43, 0
	s_andn2_b64 s[40:41], s[40:41], exec
	s_waitcnt vmcnt(0)
	v_cmp_ne_u64_e32 vcc, v[22:23], v[24:25]
	s_and_b64 s[44:45], vcc, exec
	s_or_b64 s[40:41], s[40:41], s[44:45]
.LBB1711_94:                            ;   in Loop: Header=BB1711_95 Depth=1
	s_and_b64 s[44:45], exec, s[40:41]
	s_or_b64 s[8:9], s[44:45], s[8:9]
	v_pk_mov_b32 v[22:23], s[42:43], s[42:43] op_sel:[0,1]
	s_andn2_b64 exec, exec, s[8:9]
	s_cbranch_execz .LBB1711_97
.LBB1711_95:                            ; =>This Inner Loop Header: Depth=1
	s_or_b64 s[40:41], s[40:41], exec
	s_cmp_eq_u64 s[2:3], s[42:43]
	s_cbranch_scc0 .LBB1711_93
; %bb.96:                               ;   in Loop: Header=BB1711_95 Depth=1
                                        ; implicit-def: $vgpr18_vgpr19
                                        ; implicit-def: $vgpr20_vgpr21
	s_mov_b64 s[42:43], s[26:27]
	s_branch .LBB1711_94
.LBB1711_97:
	s_or_b64 exec, exec, s[8:9]
	v_cmp_gt_i64_e32 vcc, s[26:27], v[22:23]
	s_orn2_b64 s[40:41], vcc, exec
.LBB1711_98:
	s_or_b64 exec, exec, s[38:39]
.LBB1711_99:
	s_and_b64 s[2:3], s[40:41], exec
.LBB1711_100:
	s_or_b64 exec, exec, s[36:37]
	v_cmp_ne_u32_e32 vcc, 0, v0
	s_waitcnt lgkmcnt(0)
	v_pk_mov_b32 v[18:19], s[12:13], s[12:13] op_sel:[0,1]
	s_barrier
	s_and_saveexec_b64 s[8:9], vcc
	s_cbranch_execz .LBB1711_102
; %bb.101:
	v_add_u32_e32 v18, -8, v26
	ds_read_b64 v[18:19], v18
.LBB1711_102:
	s_or_b64 exec, exec, s[8:9]
	v_cndmask_b32_e64 v21, 0, 1, s[14:15]
	v_cndmask_b32_e64 v20, 0, 1, s[18:19]
	;; [unrolled: 1-line block ×3, first 2 shown]
	v_lshlrev_b16_e32 v21, 8, v21
	v_lshlrev_b16_e32 v26, 8, v22
	v_or_b32_sdwa v27, v20, v21 dst_sel:WORD_1 dst_unused:UNUSED_PAD src0_sel:DWORD src1_sel:DWORD
	v_cmp_gt_u32_e32 vcc, s7, v1
	s_mov_b64 s[18:19], 0
	s_and_saveexec_b64 s[8:9], vcc
	s_cbranch_execz .LBB1711_113
; %bb.103:
	s_and_b64 vcc, exec, s[0:1]
	s_mov_b64 s[14:15], 0
	s_cbranch_vccnz .LBB1711_112
; %bb.104:
	s_waitcnt lgkmcnt(0)
	v_mul_lo_u32 v20, v19, s26
	v_mul_lo_u32 v21, v18, s27
	v_mad_u64_u32 v[18:19], s[0:1], v18, s26, 0
	v_add3_u32 v19, v19, v21, v20
	v_mul_lo_u32 v20, v15, s26
	v_mul_lo_u32 v21, v14, s27
	v_mad_u64_u32 v[24:25], s[0:1], v14, s26, 0
	v_add3_u32 v25, v25, v21, v20
	v_lshlrev_b64 v[20:21], 3, v[18:19]
	v_mov_b32_e32 v18, s29
	v_add_co_u32_e32 v22, vcc, s28, v20
	v_addc_co_u32_e64 v23, s[0:1], v18, v21, vcc
	v_lshlrev_b64 v[18:19], 3, v[24:25]
	v_mov_b32_e32 v20, s29
	v_add_co_u32_e64 v24, s[0:1], s28, v18
	v_addc_co_u32_e64 v25, s[2:3], v20, v19, s[0:1]
	global_load_dwordx2 v[28:29], v[22:23], off
	global_load_dwordx2 v[30:31], v[24:25], off
	s_mov_b64 s[14:15], -1
	s_waitcnt vmcnt(0)
	v_cmp_eq_u64_e64 s[2:3], v[28:29], v[30:31]
	s_and_saveexec_b64 s[12:13], s[2:3]
	s_cbranch_execz .LBB1711_111
; %bb.105:
	v_mov_b32_e32 v18, s29
	v_addc_co_u32_e64 v19, s[0:1], v19, v18, s[0:1]
	v_add_co_u32_e64 v18, s[0:1], 8, v24
	v_mov_b32_e32 v20, s29
	v_addc_co_u32_e64 v19, s[0:1], 0, v19, s[0:1]
	v_addc_co_u32_e32 v21, vcc, v21, v20, vcc
	v_add_co_u32_e32 v20, vcc, 8, v22
	s_add_u32 s0, s26, -1
	v_addc_co_u32_e32 v21, vcc, 0, v21, vcc
	s_addc_u32 s1, s27, -1
	s_mov_b64 s[2:3], 0
                                        ; implicit-def: $sgpr14_sgpr15
	s_branch .LBB1711_108
.LBB1711_106:                           ;   in Loop: Header=BB1711_108 Depth=1
	global_load_dwordx2 v[22:23], v[20:21], off
	global_load_dwordx2 v[24:25], v[18:19], off
	v_add_co_u32_e32 v18, vcc, 8, v18
	v_addc_co_u32_e32 v19, vcc, 0, v19, vcc
	v_add_co_u32_e32 v20, vcc, 8, v20
	v_addc_co_u32_e32 v21, vcc, 0, v21, vcc
	s_add_u32 s18, s18, 1
	s_addc_u32 s19, s19, 0
	s_andn2_b64 s[14:15], s[14:15], exec
	s_waitcnt vmcnt(0)
	v_cmp_ne_u64_e32 vcc, v[22:23], v[24:25]
	s_and_b64 s[36:37], vcc, exec
	s_or_b64 s[14:15], s[14:15], s[36:37]
.LBB1711_107:                           ;   in Loop: Header=BB1711_108 Depth=1
	s_and_b64 s[36:37], exec, s[14:15]
	s_or_b64 s[2:3], s[36:37], s[2:3]
	v_pk_mov_b32 v[22:23], s[18:19], s[18:19] op_sel:[0,1]
	s_andn2_b64 exec, exec, s[2:3]
	s_cbranch_execz .LBB1711_110
.LBB1711_108:                           ; =>This Inner Loop Header: Depth=1
	s_or_b64 s[14:15], s[14:15], exec
	s_cmp_eq_u64 s[0:1], s[18:19]
	s_cbranch_scc0 .LBB1711_106
; %bb.109:                              ;   in Loop: Header=BB1711_108 Depth=1
                                        ; implicit-def: $vgpr18_vgpr19
                                        ; implicit-def: $vgpr20_vgpr21
	s_mov_b64 s[18:19], s[26:27]
	s_branch .LBB1711_107
.LBB1711_110:
	s_or_b64 exec, exec, s[2:3]
	v_cmp_gt_i64_e32 vcc, s[26:27], v[22:23]
	s_orn2_b64 s[14:15], vcc, exec
.LBB1711_111:
	s_or_b64 exec, exec, s[12:13]
.LBB1711_112:
	s_and_b64 s[18:19], s[14:15], exec
.LBB1711_113:
	s_or_b64 exec, exec, s[8:9]
	v_or_b32_e32 v28, v26, v27
.LBB1711_114:
	s_waitcnt lgkmcnt(0)
	s_mov_b64 s[12:13], -1
	s_cbranch_execnz .LBB1711_203
.LBB1711_115:
	v_lshlrev_b32_e32 v29, 3, v0
	s_mov_b64 s[18:19], 0
	v_cmp_gt_i64_e64 s[14:15], s[26:27], 0
	s_and_b64 vcc, exec, s[34:35]
	ds_write_b64 v29, v[12:13]
	s_cbranch_vccz .LBB1711_123
; %bb.116:
	v_mul_lo_u32 v20, v11, s26
	v_mul_lo_u32 v21, v10, s27
	v_mad_u64_u32 v[18:19], s[0:1], v10, s26, 0
	v_add3_u32 v19, v19, v21, v20
	v_cndmask_b32_e64 v20, 0, 1, s[14:15]
	v_cmp_ne_u32_e64 s[0:1], 1, v20
	s_andn2_b64 vcc, exec, s[14:15]
	v_lshlrev_b64 v[18:19], 3, v[18:19]
	s_cbranch_vccnz .LBB1711_126
; %bb.117:
	v_mul_lo_u32 v22, v13, s26
	v_mul_lo_u32 v23, v12, s27
	v_mad_u64_u32 v[20:21], s[2:3], v12, s26, 0
	v_add3_u32 v21, v21, v23, v22
	v_mov_b32_e32 v23, s29
	v_add_co_u32_e32 v22, vcc, s28, v18
	v_addc_co_u32_e64 v23, s[2:3], v23, v19, vcc
	v_lshlrev_b64 v[20:21], 3, v[20:21]
	v_mov_b32_e32 v25, s29
	v_add_co_u32_e64 v24, s[2:3], s28, v20
	v_addc_co_u32_e64 v25, s[8:9], v25, v21, s[2:3]
	global_load_dwordx2 v[26:27], v[22:23], off
	global_load_dwordx2 v[30:31], v[24:25], off
	s_mov_b64 s[18:19], -1
	s_waitcnt vmcnt(0)
	v_cmp_eq_u64_e64 s[8:9], v[26:27], v[30:31]
	s_and_saveexec_b64 s[36:37], s[8:9]
	s_cbranch_execz .LBB1711_125
; %bb.118:
	v_mov_b32_e32 v20, s29
	v_addc_co_u32_e64 v21, s[2:3], v21, v20, s[2:3]
	v_add_co_u32_e64 v20, s[2:3], 8, v24
	v_mov_b32_e32 v23, s29
	v_addc_co_u32_e64 v21, s[2:3], 0, v21, s[2:3]
	v_addc_co_u32_e32 v23, vcc, v19, v23, vcc
	v_add_co_u32_e32 v22, vcc, 8, v22
	s_add_u32 s2, s26, -1
	v_addc_co_u32_e32 v23, vcc, 0, v23, vcc
	s_addc_u32 s3, s27, -1
	s_mov_b64 s[8:9], 0
	s_mov_b64 s[38:39], 0
                                        ; implicit-def: $sgpr18_sgpr19
	s_branch .LBB1711_121
.LBB1711_119:                           ;   in Loop: Header=BB1711_121 Depth=1
	global_load_dwordx2 v[24:25], v[22:23], off
	global_load_dwordx2 v[26:27], v[20:21], off
	v_add_co_u32_e32 v20, vcc, 8, v20
	v_addc_co_u32_e32 v21, vcc, 0, v21, vcc
	v_add_co_u32_e32 v22, vcc, 8, v22
	v_addc_co_u32_e32 v23, vcc, 0, v23, vcc
	s_add_u32 s38, s38, 1
	s_addc_u32 s39, s39, 0
	s_andn2_b64 s[18:19], s[18:19], exec
	s_waitcnt vmcnt(0)
	v_cmp_ne_u64_e32 vcc, v[24:25], v[26:27]
	s_and_b64 s[40:41], vcc, exec
	s_or_b64 s[18:19], s[18:19], s[40:41]
.LBB1711_120:                           ;   in Loop: Header=BB1711_121 Depth=1
	s_and_b64 s[40:41], exec, s[18:19]
	s_or_b64 s[8:9], s[40:41], s[8:9]
	v_pk_mov_b32 v[24:25], s[38:39], s[38:39] op_sel:[0,1]
	s_andn2_b64 exec, exec, s[8:9]
	s_cbranch_execz .LBB1711_124
.LBB1711_121:                           ; =>This Inner Loop Header: Depth=1
	s_or_b64 s[18:19], s[18:19], exec
	s_cmp_eq_u64 s[2:3], s[38:39]
	s_cbranch_scc0 .LBB1711_119
; %bb.122:                              ;   in Loop: Header=BB1711_121 Depth=1
                                        ; implicit-def: $vgpr20_vgpr21
                                        ; implicit-def: $vgpr22_vgpr23
	s_mov_b64 s[38:39], s[26:27]
	s_branch .LBB1711_120
.LBB1711_123:
                                        ; implicit-def: $sgpr18_sgpr19
                                        ; implicit-def: $vgpr28
	s_cbranch_execnz .LBB1711_156
	s_branch .LBB1711_203
.LBB1711_124:
	s_or_b64 exec, exec, s[8:9]
	v_cmp_gt_i64_e32 vcc, s[26:27], v[24:25]
	s_orn2_b64 s[18:19], vcc, exec
.LBB1711_125:
	s_or_b64 exec, exec, s[36:37]
.LBB1711_126:
	v_mul_lo_u32 v22, v17, s26
	v_mul_lo_u32 v23, v16, s27
	v_mad_u64_u32 v[20:21], s[2:3], v16, s26, 0
	v_add3_u32 v21, v21, v23, v22
	s_mov_b64 s[36:37], 0
	s_and_b64 vcc, exec, s[0:1]
	v_lshlrev_b64 v[20:21], 3, v[20:21]
	s_mov_b64 s[38:39], 0
	s_cbranch_vccnz .LBB1711_135
; %bb.127:
	v_mov_b32_e32 v23, s29
	v_add_co_u32_e32 v22, vcc, s28, v20
	v_addc_co_u32_e64 v23, s[2:3], v23, v21, vcc
	v_mov_b32_e32 v25, s29
	v_add_co_u32_e64 v24, s[2:3], s28, v18
	v_addc_co_u32_e64 v25, s[8:9], v25, v19, s[2:3]
	global_load_dwordx2 v[26:27], v[22:23], off
	global_load_dwordx2 v[30:31], v[24:25], off
	s_mov_b64 s[38:39], -1
	s_waitcnt vmcnt(0)
	v_cmp_eq_u64_e64 s[8:9], v[26:27], v[30:31]
	s_and_saveexec_b64 s[40:41], s[8:9]
	s_cbranch_execz .LBB1711_134
; %bb.128:
	v_mov_b32_e32 v18, s29
	v_addc_co_u32_e64 v19, s[2:3], v19, v18, s[2:3]
	v_add_co_u32_e64 v18, s[2:3], 8, v24
	v_mov_b32_e32 v23, s29
	v_addc_co_u32_e64 v19, s[2:3], 0, v19, s[2:3]
	v_addc_co_u32_e32 v23, vcc, v21, v23, vcc
	v_add_co_u32_e32 v22, vcc, 8, v22
	s_add_u32 s2, s26, -1
	v_addc_co_u32_e32 v23, vcc, 0, v23, vcc
	s_addc_u32 s3, s27, -1
	s_mov_b64 s[8:9], 0
	s_mov_b64 s[42:43], 0
                                        ; implicit-def: $sgpr38_sgpr39
	s_branch .LBB1711_131
.LBB1711_129:                           ;   in Loop: Header=BB1711_131 Depth=1
	global_load_dwordx2 v[24:25], v[22:23], off
	global_load_dwordx2 v[26:27], v[18:19], off
	v_add_co_u32_e32 v18, vcc, 8, v18
	v_addc_co_u32_e32 v19, vcc, 0, v19, vcc
	v_add_co_u32_e32 v22, vcc, 8, v22
	v_addc_co_u32_e32 v23, vcc, 0, v23, vcc
	s_add_u32 s42, s42, 1
	s_addc_u32 s43, s43, 0
	s_andn2_b64 s[38:39], s[38:39], exec
	s_waitcnt vmcnt(0)
	v_cmp_ne_u64_e32 vcc, v[24:25], v[26:27]
	s_and_b64 s[44:45], vcc, exec
	s_or_b64 s[38:39], s[38:39], s[44:45]
.LBB1711_130:                           ;   in Loop: Header=BB1711_131 Depth=1
	s_and_b64 s[44:45], exec, s[38:39]
	s_or_b64 s[8:9], s[44:45], s[8:9]
	v_pk_mov_b32 v[24:25], s[42:43], s[42:43] op_sel:[0,1]
	s_andn2_b64 exec, exec, s[8:9]
	s_cbranch_execz .LBB1711_133
.LBB1711_131:                           ; =>This Inner Loop Header: Depth=1
	s_or_b64 s[38:39], s[38:39], exec
	s_cmp_eq_u64 s[2:3], s[42:43]
	s_cbranch_scc0 .LBB1711_129
; %bb.132:                              ;   in Loop: Header=BB1711_131 Depth=1
                                        ; implicit-def: $vgpr18_vgpr19
                                        ; implicit-def: $vgpr22_vgpr23
	s_mov_b64 s[42:43], s[26:27]
	s_branch .LBB1711_130
.LBB1711_133:
	s_or_b64 exec, exec, s[8:9]
	v_cmp_gt_i64_e32 vcc, s[26:27], v[24:25]
	s_orn2_b64 s[38:39], vcc, exec
.LBB1711_134:
	s_or_b64 exec, exec, s[40:41]
.LBB1711_135:
	v_mul_lo_u32 v22, v15, s26
	v_mul_lo_u32 v23, v14, s27
	v_mad_u64_u32 v[18:19], s[2:3], v14, s26, 0
	s_and_b64 vcc, exec, s[0:1]
	v_add3_u32 v19, v19, v23, v22
	s_cbranch_vccnz .LBB1711_144
; %bb.136:
	v_lshlrev_b64 v[22:23], 3, v[18:19]
	v_mov_b32_e32 v25, s29
	v_add_co_u32_e32 v24, vcc, s28, v22
	v_addc_co_u32_e64 v25, s[2:3], v25, v23, vcc
	v_mov_b32_e32 v22, s29
	v_add_co_u32_e64 v26, s[2:3], s28, v20
	v_addc_co_u32_e64 v27, s[8:9], v22, v21, s[2:3]
	global_load_dwordx2 v[30:31], v[24:25], off
	global_load_dwordx2 v[32:33], v[26:27], off
	s_mov_b64 s[36:37], -1
	s_waitcnt vmcnt(0)
	v_cmp_eq_u64_e64 s[8:9], v[30:31], v[32:33]
	s_and_saveexec_b64 s[40:41], s[8:9]
	s_cbranch_execz .LBB1711_143
; %bb.137:
	v_mov_b32_e32 v20, s29
	v_addc_co_u32_e64 v21, s[2:3], v21, v20, s[2:3]
	v_add_co_u32_e64 v20, s[2:3], 8, v26
	v_mov_b32_e32 v22, s29
	v_addc_co_u32_e64 v21, s[2:3], 0, v21, s[2:3]
	v_addc_co_u32_e32 v23, vcc, v23, v22, vcc
	v_add_co_u32_e32 v22, vcc, 8, v24
	s_add_u32 s2, s26, -1
	v_addc_co_u32_e32 v23, vcc, 0, v23, vcc
	s_addc_u32 s3, s27, -1
	s_mov_b64 s[8:9], 0
	s_mov_b64 s[42:43], 0
                                        ; implicit-def: $sgpr36_sgpr37
	s_branch .LBB1711_140
.LBB1711_138:                           ;   in Loop: Header=BB1711_140 Depth=1
	global_load_dwordx2 v[24:25], v[22:23], off
	global_load_dwordx2 v[26:27], v[20:21], off
	v_add_co_u32_e32 v20, vcc, 8, v20
	v_addc_co_u32_e32 v21, vcc, 0, v21, vcc
	v_add_co_u32_e32 v22, vcc, 8, v22
	v_addc_co_u32_e32 v23, vcc, 0, v23, vcc
	s_add_u32 s42, s42, 1
	s_addc_u32 s43, s43, 0
	s_andn2_b64 s[36:37], s[36:37], exec
	s_waitcnt vmcnt(0)
	v_cmp_ne_u64_e32 vcc, v[24:25], v[26:27]
	s_and_b64 s[44:45], vcc, exec
	s_or_b64 s[36:37], s[36:37], s[44:45]
.LBB1711_139:                           ;   in Loop: Header=BB1711_140 Depth=1
	s_and_b64 s[44:45], exec, s[36:37]
	s_or_b64 s[8:9], s[44:45], s[8:9]
	v_pk_mov_b32 v[24:25], s[42:43], s[42:43] op_sel:[0,1]
	s_andn2_b64 exec, exec, s[8:9]
	s_cbranch_execz .LBB1711_142
.LBB1711_140:                           ; =>This Inner Loop Header: Depth=1
	s_or_b64 s[36:37], s[36:37], exec
	s_cmp_eq_u64 s[2:3], s[42:43]
	s_cbranch_scc0 .LBB1711_138
; %bb.141:                              ;   in Loop: Header=BB1711_140 Depth=1
                                        ; implicit-def: $vgpr20_vgpr21
                                        ; implicit-def: $vgpr22_vgpr23
	s_mov_b64 s[42:43], s[26:27]
	s_branch .LBB1711_139
.LBB1711_142:
	s_or_b64 exec, exec, s[8:9]
	v_cmp_gt_i64_e32 vcc, s[26:27], v[24:25]
	s_orn2_b64 s[36:37], vcc, exec
.LBB1711_143:
	s_or_b64 exec, exec, s[40:41]
.LBB1711_144:
	v_cndmask_b32_e64 v21, 0, 1, s[18:19]
	v_cndmask_b32_e64 v22, 0, 1, s[36:37]
	;; [unrolled: 1-line block ×3, first 2 shown]
	v_lshlrev_b16_e32 v22, 8, v22
	v_lshlrev_b16_e32 v21, 8, v21
	v_or_b32_e32 v22, 1, v22
	v_or_b32_sdwa v20, v20, v21 dst_sel:WORD_1 dst_unused:UNUSED_PAD src0_sel:DWORD src1_sel:DWORD
	v_or_b32_sdwa v28, v22, v20 dst_sel:DWORD dst_unused:UNUSED_PAD src0_sel:WORD_0 src1_sel:DWORD
	v_cmp_ne_u32_e32 vcc, 0, v0
	s_waitcnt lgkmcnt(0)
	s_barrier
	s_waitcnt lgkmcnt(0)
                                        ; implicit-def: $sgpr18_sgpr19
	s_and_saveexec_b64 s[2:3], vcc
	s_xor_b64 s[8:9], exec, s[2:3]
	s_cbranch_execz .LBB1711_155
; %bb.145:
	s_and_b64 vcc, exec, s[0:1]
	s_mov_b64 s[36:37], 0
	s_cbranch_vccnz .LBB1711_154
; %bb.146:
	v_add_u32_e32 v20, -8, v29
	ds_read_b64 v[20:21], v20
	v_mov_b32_e32 v23, s29
	v_lshlrev_b64 v[18:19], 3, v[18:19]
	s_mov_b64 s[36:37], -1
	s_waitcnt lgkmcnt(0)
	v_mul_lo_u32 v22, v21, s26
	v_mul_lo_u32 v24, v20, s27
	v_mad_u64_u32 v[20:21], s[0:1], v20, s26, 0
	v_add3_u32 v21, v21, v24, v22
	v_lshlrev_b64 v[20:21], 3, v[20:21]
	v_add_co_u32_e32 v22, vcc, s28, v20
	v_addc_co_u32_e64 v23, s[0:1], v23, v21, vcc
	v_mov_b32_e32 v20, s29
	v_add_co_u32_e64 v24, s[0:1], s28, v18
	v_addc_co_u32_e64 v25, s[2:3], v20, v19, s[0:1]
	global_load_dwordx2 v[26:27], v[22:23], off
	global_load_dwordx2 v[30:31], v[24:25], off
	s_waitcnt vmcnt(0)
	v_cmp_eq_u64_e64 s[2:3], v[26:27], v[30:31]
	s_and_saveexec_b64 s[18:19], s[2:3]
	s_cbranch_execz .LBB1711_153
; %bb.147:
	v_mov_b32_e32 v18, s29
	v_addc_co_u32_e64 v19, s[0:1], v19, v18, s[0:1]
	v_add_co_u32_e64 v18, s[0:1], 8, v24
	v_mov_b32_e32 v20, s29
	v_addc_co_u32_e64 v19, s[0:1], 0, v19, s[0:1]
	v_addc_co_u32_e32 v21, vcc, v21, v20, vcc
	v_add_co_u32_e32 v20, vcc, 8, v22
	s_add_u32 s0, s26, -1
	v_addc_co_u32_e32 v21, vcc, 0, v21, vcc
	s_addc_u32 s1, s27, -1
	s_mov_b64 s[2:3], 0
	s_mov_b64 s[38:39], 0
                                        ; implicit-def: $sgpr36_sgpr37
	s_branch .LBB1711_150
.LBB1711_148:                           ;   in Loop: Header=BB1711_150 Depth=1
	global_load_dwordx2 v[22:23], v[20:21], off
	global_load_dwordx2 v[24:25], v[18:19], off
	v_add_co_u32_e32 v18, vcc, 8, v18
	v_addc_co_u32_e32 v19, vcc, 0, v19, vcc
	v_add_co_u32_e32 v20, vcc, 8, v20
	v_addc_co_u32_e32 v21, vcc, 0, v21, vcc
	s_add_u32 s38, s38, 1
	s_addc_u32 s39, s39, 0
	s_andn2_b64 s[36:37], s[36:37], exec
	s_waitcnt vmcnt(0)
	v_cmp_ne_u64_e32 vcc, v[22:23], v[24:25]
	s_and_b64 s[40:41], vcc, exec
	s_or_b64 s[36:37], s[36:37], s[40:41]
.LBB1711_149:                           ;   in Loop: Header=BB1711_150 Depth=1
	s_and_b64 s[40:41], exec, s[36:37]
	s_or_b64 s[2:3], s[40:41], s[2:3]
	v_pk_mov_b32 v[22:23], s[38:39], s[38:39] op_sel:[0,1]
	s_andn2_b64 exec, exec, s[2:3]
	s_cbranch_execz .LBB1711_152
.LBB1711_150:                           ; =>This Inner Loop Header: Depth=1
	s_or_b64 s[36:37], s[36:37], exec
	s_cmp_eq_u64 s[0:1], s[38:39]
	s_cbranch_scc0 .LBB1711_148
; %bb.151:                              ;   in Loop: Header=BB1711_150 Depth=1
                                        ; implicit-def: $vgpr18_vgpr19
                                        ; implicit-def: $vgpr20_vgpr21
	s_mov_b64 s[38:39], s[26:27]
	s_branch .LBB1711_149
.LBB1711_152:
	s_or_b64 exec, exec, s[2:3]
	v_cmp_gt_i64_e32 vcc, s[26:27], v[22:23]
	s_orn2_b64 s[36:37], vcc, exec
.LBB1711_153:
	s_or_b64 exec, exec, s[18:19]
.LBB1711_154:
	s_and_b64 s[18:19], s[36:37], exec
	s_or_b64 s[12:13], s[12:13], exec
.LBB1711_155:
	s_or_b64 exec, exec, s[8:9]
	s_branch .LBB1711_203
.LBB1711_156:
	v_or_b32_e32 v18, 3, v1
	v_cmp_gt_u32_e32 vcc, s7, v18
	s_mov_b64 s[18:19], 0
	s_mov_b64 s[8:9], 0
	s_and_saveexec_b64 s[36:37], vcc
	s_cbranch_execz .LBB1711_167
; %bb.157:
	s_andn2_b64 vcc, exec, s[14:15]
	s_mov_b64 s[38:39], 0
	s_cbranch_vccnz .LBB1711_166
; %bb.158:
	v_mul_lo_u32 v20, v11, s26
	v_mul_lo_u32 v21, v10, s27
	v_mad_u64_u32 v[18:19], s[0:1], v10, s26, 0
	v_add3_u32 v19, v19, v21, v20
	v_mul_lo_u32 v20, v13, s26
	v_mul_lo_u32 v21, v12, s27
	v_mad_u64_u32 v[24:25], s[0:1], v12, s26, 0
	v_add3_u32 v25, v25, v21, v20
	v_lshlrev_b64 v[20:21], 3, v[18:19]
	v_mov_b32_e32 v18, s29
	v_add_co_u32_e32 v22, vcc, s28, v20
	v_addc_co_u32_e64 v23, s[0:1], v18, v21, vcc
	v_lshlrev_b64 v[18:19], 3, v[24:25]
	v_mov_b32_e32 v20, s29
	v_add_co_u32_e64 v24, s[0:1], s28, v18
	v_addc_co_u32_e64 v25, s[2:3], v20, v19, s[0:1]
	global_load_dwordx2 v[26:27], v[22:23], off
	global_load_dwordx2 v[30:31], v[24:25], off
	s_mov_b64 s[38:39], -1
	s_waitcnt vmcnt(0)
	v_cmp_eq_u64_e64 s[2:3], v[26:27], v[30:31]
	s_and_saveexec_b64 s[8:9], s[2:3]
	s_cbranch_execz .LBB1711_165
; %bb.159:
	v_mov_b32_e32 v18, s29
	v_addc_co_u32_e64 v19, s[0:1], v19, v18, s[0:1]
	v_add_co_u32_e64 v18, s[0:1], 8, v24
	v_mov_b32_e32 v20, s29
	v_addc_co_u32_e64 v19, s[0:1], 0, v19, s[0:1]
	v_addc_co_u32_e32 v21, vcc, v21, v20, vcc
	v_add_co_u32_e32 v20, vcc, 8, v22
	s_add_u32 s0, s26, -1
	v_addc_co_u32_e32 v21, vcc, 0, v21, vcc
	s_addc_u32 s1, s27, -1
	s_mov_b64 s[2:3], 0
	s_mov_b64 s[40:41], 0
                                        ; implicit-def: $sgpr38_sgpr39
	s_branch .LBB1711_162
.LBB1711_160:                           ;   in Loop: Header=BB1711_162 Depth=1
	global_load_dwordx2 v[22:23], v[20:21], off
	global_load_dwordx2 v[24:25], v[18:19], off
	v_add_co_u32_e32 v18, vcc, 8, v18
	v_addc_co_u32_e32 v19, vcc, 0, v19, vcc
	v_add_co_u32_e32 v20, vcc, 8, v20
	v_addc_co_u32_e32 v21, vcc, 0, v21, vcc
	s_add_u32 s40, s40, 1
	s_addc_u32 s41, s41, 0
	s_andn2_b64 s[38:39], s[38:39], exec
	s_waitcnt vmcnt(0)
	v_cmp_ne_u64_e32 vcc, v[22:23], v[24:25]
	s_and_b64 s[42:43], vcc, exec
	s_or_b64 s[38:39], s[38:39], s[42:43]
.LBB1711_161:                           ;   in Loop: Header=BB1711_162 Depth=1
	s_and_b64 s[42:43], exec, s[38:39]
	s_or_b64 s[2:3], s[42:43], s[2:3]
	v_pk_mov_b32 v[22:23], s[40:41], s[40:41] op_sel:[0,1]
	s_andn2_b64 exec, exec, s[2:3]
	s_cbranch_execz .LBB1711_164
.LBB1711_162:                           ; =>This Inner Loop Header: Depth=1
	s_or_b64 s[38:39], s[38:39], exec
	s_cmp_eq_u64 s[0:1], s[40:41]
	s_cbranch_scc0 .LBB1711_160
; %bb.163:                              ;   in Loop: Header=BB1711_162 Depth=1
                                        ; implicit-def: $vgpr18_vgpr19
                                        ; implicit-def: $vgpr20_vgpr21
	s_mov_b64 s[40:41], s[26:27]
	s_branch .LBB1711_161
.LBB1711_164:
	s_or_b64 exec, exec, s[2:3]
	v_cmp_gt_i64_e32 vcc, s[26:27], v[22:23]
	s_orn2_b64 s[38:39], vcc, exec
.LBB1711_165:
	s_or_b64 exec, exec, s[8:9]
.LBB1711_166:
	s_and_b64 s[8:9], s[38:39], exec
.LBB1711_167:
	s_or_b64 exec, exec, s[36:37]
	v_or_b32_e32 v18, 2, v1
	v_cmp_gt_u32_e32 vcc, s7, v18
	s_and_saveexec_b64 s[36:37], vcc
	s_cbranch_execz .LBB1711_178
; %bb.168:
	s_andn2_b64 vcc, exec, s[14:15]
	s_mov_b64 s[38:39], 0
	s_cbranch_vccnz .LBB1711_177
; %bb.169:
	v_mul_lo_u32 v20, v17, s26
	v_mul_lo_u32 v21, v16, s27
	v_mad_u64_u32 v[18:19], s[0:1], v16, s26, 0
	v_add3_u32 v19, v19, v21, v20
	v_mul_lo_u32 v20, v11, s26
	v_mul_lo_u32 v21, v10, s27
	v_mad_u64_u32 v[24:25], s[0:1], v10, s26, 0
	v_add3_u32 v25, v25, v21, v20
	v_lshlrev_b64 v[20:21], 3, v[18:19]
	v_mov_b32_e32 v18, s29
	v_add_co_u32_e32 v22, vcc, s28, v20
	v_addc_co_u32_e64 v23, s[0:1], v18, v21, vcc
	v_lshlrev_b64 v[18:19], 3, v[24:25]
	v_mov_b32_e32 v20, s29
	v_add_co_u32_e64 v24, s[0:1], s28, v18
	v_addc_co_u32_e64 v25, s[2:3], v20, v19, s[0:1]
	global_load_dwordx2 v[26:27], v[22:23], off
	global_load_dwordx2 v[30:31], v[24:25], off
	s_mov_b64 s[38:39], -1
	s_waitcnt vmcnt(0)
	v_cmp_eq_u64_e64 s[2:3], v[26:27], v[30:31]
	s_and_saveexec_b64 s[18:19], s[2:3]
	s_cbranch_execz .LBB1711_176
; %bb.170:
	v_mov_b32_e32 v18, s29
	v_addc_co_u32_e64 v19, s[0:1], v19, v18, s[0:1]
	v_add_co_u32_e64 v18, s[0:1], 8, v24
	v_mov_b32_e32 v20, s29
	v_addc_co_u32_e64 v19, s[0:1], 0, v19, s[0:1]
	v_addc_co_u32_e32 v21, vcc, v21, v20, vcc
	v_add_co_u32_e32 v20, vcc, 8, v22
	s_add_u32 s0, s26, -1
	v_addc_co_u32_e32 v21, vcc, 0, v21, vcc
	s_addc_u32 s1, s27, -1
	s_mov_b64 s[2:3], 0
	s_mov_b64 s[40:41], 0
                                        ; implicit-def: $sgpr38_sgpr39
	s_branch .LBB1711_173
.LBB1711_171:                           ;   in Loop: Header=BB1711_173 Depth=1
	global_load_dwordx2 v[22:23], v[20:21], off
	global_load_dwordx2 v[24:25], v[18:19], off
	v_add_co_u32_e32 v18, vcc, 8, v18
	v_addc_co_u32_e32 v19, vcc, 0, v19, vcc
	v_add_co_u32_e32 v20, vcc, 8, v20
	v_addc_co_u32_e32 v21, vcc, 0, v21, vcc
	s_add_u32 s40, s40, 1
	s_addc_u32 s41, s41, 0
	s_andn2_b64 s[38:39], s[38:39], exec
	s_waitcnt vmcnt(0)
	v_cmp_ne_u64_e32 vcc, v[22:23], v[24:25]
	s_and_b64 s[42:43], vcc, exec
	s_or_b64 s[38:39], s[38:39], s[42:43]
.LBB1711_172:                           ;   in Loop: Header=BB1711_173 Depth=1
	s_and_b64 s[42:43], exec, s[38:39]
	s_or_b64 s[2:3], s[42:43], s[2:3]
	v_pk_mov_b32 v[22:23], s[40:41], s[40:41] op_sel:[0,1]
	s_andn2_b64 exec, exec, s[2:3]
	s_cbranch_execz .LBB1711_175
.LBB1711_173:                           ; =>This Inner Loop Header: Depth=1
	s_or_b64 s[38:39], s[38:39], exec
	s_cmp_eq_u64 s[0:1], s[40:41]
	s_cbranch_scc0 .LBB1711_171
; %bb.174:                              ;   in Loop: Header=BB1711_173 Depth=1
                                        ; implicit-def: $vgpr18_vgpr19
                                        ; implicit-def: $vgpr20_vgpr21
	s_mov_b64 s[40:41], s[26:27]
	s_branch .LBB1711_172
.LBB1711_175:
	s_or_b64 exec, exec, s[2:3]
	v_cmp_gt_i64_e32 vcc, s[26:27], v[22:23]
	s_orn2_b64 s[38:39], vcc, exec
.LBB1711_176:
	s_or_b64 exec, exec, s[18:19]
.LBB1711_177:
	s_and_b64 s[18:19], s[38:39], exec
.LBB1711_178:
	s_or_b64 exec, exec, s[36:37]
	v_or_b32_e32 v18, 1, v1
	v_cmp_gt_u32_e32 vcc, s7, v18
	s_mov_b64 s[0:1], 0
	s_and_saveexec_b64 s[36:37], vcc
	s_cbranch_execz .LBB1711_189
; %bb.179:
	s_andn2_b64 vcc, exec, s[14:15]
	s_mov_b64 s[40:41], 0
	s_cbranch_vccnz .LBB1711_188
; %bb.180:
	v_mul_lo_u32 v20, v15, s26
	v_mul_lo_u32 v21, v14, s27
	v_mad_u64_u32 v[18:19], s[0:1], v14, s26, 0
	v_add3_u32 v19, v19, v21, v20
	v_mul_lo_u32 v20, v17, s26
	v_mul_lo_u32 v21, v16, s27
	v_mad_u64_u32 v[24:25], s[0:1], v16, s26, 0
	v_add3_u32 v25, v25, v21, v20
	v_lshlrev_b64 v[20:21], 3, v[18:19]
	v_mov_b32_e32 v18, s29
	v_add_co_u32_e32 v22, vcc, s28, v20
	v_addc_co_u32_e64 v23, s[0:1], v18, v21, vcc
	v_lshlrev_b64 v[18:19], 3, v[24:25]
	v_mov_b32_e32 v20, s29
	v_add_co_u32_e64 v24, s[0:1], s28, v18
	v_addc_co_u32_e64 v25, s[2:3], v20, v19, s[0:1]
	global_load_dwordx2 v[26:27], v[22:23], off
	global_load_dwordx2 v[30:31], v[24:25], off
	s_mov_b64 s[40:41], -1
	s_waitcnt vmcnt(0)
	v_cmp_eq_u64_e64 s[2:3], v[26:27], v[30:31]
	s_and_saveexec_b64 s[38:39], s[2:3]
	s_cbranch_execz .LBB1711_187
; %bb.181:
	v_mov_b32_e32 v18, s29
	v_addc_co_u32_e64 v19, s[0:1], v19, v18, s[0:1]
	v_add_co_u32_e64 v18, s[0:1], 8, v24
	v_mov_b32_e32 v20, s29
	v_addc_co_u32_e64 v19, s[0:1], 0, v19, s[0:1]
	v_addc_co_u32_e32 v21, vcc, v21, v20, vcc
	v_add_co_u32_e32 v20, vcc, 8, v22
	s_add_u32 s0, s26, -1
	v_addc_co_u32_e32 v21, vcc, 0, v21, vcc
	s_addc_u32 s1, s27, -1
	s_mov_b64 s[2:3], 0
	s_mov_b64 s[42:43], 0
                                        ; implicit-def: $sgpr40_sgpr41
	s_branch .LBB1711_184
.LBB1711_182:                           ;   in Loop: Header=BB1711_184 Depth=1
	global_load_dwordx2 v[22:23], v[20:21], off
	global_load_dwordx2 v[24:25], v[18:19], off
	v_add_co_u32_e32 v18, vcc, 8, v18
	v_addc_co_u32_e32 v19, vcc, 0, v19, vcc
	v_add_co_u32_e32 v20, vcc, 8, v20
	v_addc_co_u32_e32 v21, vcc, 0, v21, vcc
	s_add_u32 s42, s42, 1
	s_addc_u32 s43, s43, 0
	s_andn2_b64 s[40:41], s[40:41], exec
	s_waitcnt vmcnt(0)
	v_cmp_ne_u64_e32 vcc, v[22:23], v[24:25]
	s_and_b64 s[44:45], vcc, exec
	s_or_b64 s[40:41], s[40:41], s[44:45]
.LBB1711_183:                           ;   in Loop: Header=BB1711_184 Depth=1
	s_and_b64 s[44:45], exec, s[40:41]
	s_or_b64 s[2:3], s[44:45], s[2:3]
	v_pk_mov_b32 v[22:23], s[42:43], s[42:43] op_sel:[0,1]
	s_andn2_b64 exec, exec, s[2:3]
	s_cbranch_execz .LBB1711_186
.LBB1711_184:                           ; =>This Inner Loop Header: Depth=1
	s_or_b64 s[40:41], s[40:41], exec
	s_cmp_eq_u64 s[0:1], s[42:43]
	s_cbranch_scc0 .LBB1711_182
; %bb.185:                              ;   in Loop: Header=BB1711_184 Depth=1
                                        ; implicit-def: $vgpr18_vgpr19
                                        ; implicit-def: $vgpr20_vgpr21
	s_mov_b64 s[42:43], s[26:27]
	s_branch .LBB1711_183
.LBB1711_186:
	s_or_b64 exec, exec, s[2:3]
	v_cmp_gt_i64_e32 vcc, s[26:27], v[22:23]
	s_orn2_b64 s[40:41], vcc, exec
.LBB1711_187:
	s_or_b64 exec, exec, s[38:39]
.LBB1711_188:
	s_and_b64 s[0:1], s[40:41], exec
.LBB1711_189:
	s_or_b64 exec, exec, s[36:37]
	v_cndmask_b32_e64 v19, 0, 1, s[8:9]
	v_cndmask_b32_e64 v20, 0, 1, s[0:1]
	;; [unrolled: 1-line block ×3, first 2 shown]
	v_lshlrev_b16_e32 v20, 8, v20
	v_lshlrev_b16_e32 v19, 8, v19
	v_or_b32_e32 v20, 1, v20
	v_or_b32_sdwa v18, v18, v19 dst_sel:WORD_1 dst_unused:UNUSED_PAD src0_sel:DWORD src1_sel:DWORD
	v_or_b32_sdwa v28, v20, v18 dst_sel:DWORD dst_unused:UNUSED_PAD src0_sel:WORD_0 src1_sel:DWORD
	v_cmp_ne_u32_e32 vcc, 0, v0
	s_waitcnt lgkmcnt(0)
	s_barrier
	s_waitcnt lgkmcnt(0)
                                        ; implicit-def: $sgpr18_sgpr19
	s_and_saveexec_b64 s[8:9], vcc
	s_cbranch_execz .LBB1711_202
; %bb.190:
	v_cmp_gt_u32_e32 vcc, s7, v1
	s_mov_b64 s[0:1], 0
	s_and_saveexec_b64 s[18:19], vcc
	s_cbranch_execz .LBB1711_201
; %bb.191:
	s_andn2_b64 vcc, exec, s[14:15]
	s_mov_b64 s[36:37], 0
	s_cbranch_vccnz .LBB1711_200
; %bb.192:
	v_add_u32_e32 v18, -8, v29
	ds_read_b64 v[18:19], v18
	v_mul_lo_u32 v20, v15, s26
	v_mad_u64_u32 v[24:25], s[0:1], v14, s26, 0
	s_mov_b64 s[36:37], -1
	s_waitcnt lgkmcnt(0)
	v_mul_lo_u32 v21, v19, s26
	v_mul_lo_u32 v22, v18, s27
	v_mad_u64_u32 v[18:19], s[0:1], v18, s26, 0
	v_add3_u32 v19, v19, v22, v21
	v_mul_lo_u32 v21, v14, s27
	v_add3_u32 v25, v25, v21, v20
	v_lshlrev_b64 v[20:21], 3, v[18:19]
	v_mov_b32_e32 v18, s29
	v_add_co_u32_e32 v22, vcc, s28, v20
	v_addc_co_u32_e64 v23, s[0:1], v18, v21, vcc
	v_lshlrev_b64 v[18:19], 3, v[24:25]
	v_mov_b32_e32 v20, s29
	v_add_co_u32_e64 v24, s[0:1], s28, v18
	v_addc_co_u32_e64 v25, s[2:3], v20, v19, s[0:1]
	global_load_dwordx2 v[26:27], v[22:23], off
	global_load_dwordx2 v[30:31], v[24:25], off
	s_waitcnt vmcnt(0)
	v_cmp_eq_u64_e64 s[2:3], v[26:27], v[30:31]
	s_and_saveexec_b64 s[14:15], s[2:3]
	s_cbranch_execz .LBB1711_199
; %bb.193:
	v_mov_b32_e32 v18, s29
	v_addc_co_u32_e64 v19, s[0:1], v19, v18, s[0:1]
	v_add_co_u32_e64 v18, s[0:1], 8, v24
	v_mov_b32_e32 v20, s29
	v_addc_co_u32_e64 v19, s[0:1], 0, v19, s[0:1]
	v_addc_co_u32_e32 v21, vcc, v21, v20, vcc
	v_add_co_u32_e32 v20, vcc, 8, v22
	s_add_u32 s0, s26, -1
	v_addc_co_u32_e32 v21, vcc, 0, v21, vcc
	s_addc_u32 s1, s27, -1
	s_mov_b64 s[2:3], 0
	s_mov_b64 s[36:37], 0
                                        ; implicit-def: $sgpr28_sgpr29
	s_branch .LBB1711_196
.LBB1711_194:                           ;   in Loop: Header=BB1711_196 Depth=1
	global_load_dwordx2 v[22:23], v[20:21], off
	global_load_dwordx2 v[24:25], v[18:19], off
	v_add_co_u32_e32 v18, vcc, 8, v18
	v_addc_co_u32_e32 v19, vcc, 0, v19, vcc
	v_add_co_u32_e32 v20, vcc, 8, v20
	v_addc_co_u32_e32 v21, vcc, 0, v21, vcc
	s_add_u32 s36, s36, 1
	s_addc_u32 s37, s37, 0
	s_andn2_b64 s[28:29], s[28:29], exec
	s_waitcnt vmcnt(0)
	v_cmp_ne_u64_e32 vcc, v[22:23], v[24:25]
	s_and_b64 s[38:39], vcc, exec
	s_or_b64 s[28:29], s[28:29], s[38:39]
.LBB1711_195:                           ;   in Loop: Header=BB1711_196 Depth=1
	s_and_b64 s[38:39], exec, s[28:29]
	s_or_b64 s[2:3], s[38:39], s[2:3]
	v_pk_mov_b32 v[22:23], s[36:37], s[36:37] op_sel:[0,1]
	s_andn2_b64 exec, exec, s[2:3]
	s_cbranch_execz .LBB1711_198
.LBB1711_196:                           ; =>This Inner Loop Header: Depth=1
	s_or_b64 s[28:29], s[28:29], exec
	s_cmp_eq_u64 s[0:1], s[36:37]
	s_cbranch_scc0 .LBB1711_194
; %bb.197:                              ;   in Loop: Header=BB1711_196 Depth=1
                                        ; implicit-def: $vgpr18_vgpr19
                                        ; implicit-def: $vgpr20_vgpr21
	s_mov_b64 s[36:37], s[26:27]
	s_branch .LBB1711_195
.LBB1711_198:
	s_or_b64 exec, exec, s[2:3]
	v_cmp_gt_i64_e32 vcc, s[26:27], v[22:23]
	s_orn2_b64 s[36:37], vcc, exec
.LBB1711_199:
	s_or_b64 exec, exec, s[14:15]
.LBB1711_200:
	s_and_b64 s[0:1], s[36:37], exec
.LBB1711_201:
	s_or_b64 exec, exec, s[18:19]
	s_and_b64 s[18:19], s[0:1], exec
	s_or_b64 s[12:13], s[12:13], exec
.LBB1711_202:
	s_or_b64 exec, exec, s[8:9]
.LBB1711_203:
	s_and_saveexec_b64 s[0:1], s[12:13]
; %bb.204:
	v_and_b32_e32 v18, 0xffffff00, v28
	v_cndmask_b32_e64 v19, 0, 1, s[18:19]
	v_or_b32_e32 v18, v19, v18
	v_and_b32_e32 v18, 0xffff, v18
	s_mov_b32 s2, 0xffff0000
	v_and_or_b32 v28, v28, s2, v18
; %bb.205:
	s_or_b64 exec, exec, s[0:1]
	s_andn2_b64 vcc, exec, s[10:11]
	s_cbranch_vccnz .LBB1711_207
; %bb.206:
	v_cmp_gt_u32_e32 vcc, s7, v1
	v_cndmask_b32_e32 v18, 0, v28, vcc
	v_or_b32_e32 v19, 1, v1
	v_and_b32_e32 v18, 0xff, v18
	v_cmp_gt_u32_e32 vcc, s7, v19
	v_cndmask_b32_e32 v18, v18, v28, vcc
	v_or_b32_e32 v19, 2, v1
	v_and_b32_e32 v18, 0xffff, v18
	;; [unrolled: 4-line block ×3, first 2 shown]
	v_cmp_gt_u32_e32 vcc, s7, v19
	v_cndmask_b32_e32 v28, v18, v28, vcc
.LBB1711_207:
	v_bfe_u32 v30, v28, 16, 8
	v_lshrrev_b32_e32 v29, 24, v28
	v_add_u32_sdwa v18, v28, v28 dst_sel:DWORD dst_unused:UNUSED_PAD src0_sel:BYTE_1 src1_sel:BYTE_0
	v_add3_u32 v33, v18, v30, v29
	v_mbcnt_lo_u32_b32 v18, -1, 0
	v_mbcnt_hi_u32_b32 v31, -1, v18
	v_and_b32_e32 v18, 15, v31
	v_cmp_eq_u32_e64 s[14:15], 0, v18
	v_cmp_lt_u32_e64 s[12:13], 1, v18
	v_cmp_lt_u32_e64 s[10:11], 3, v18
	;; [unrolled: 1-line block ×3, first 2 shown]
	v_and_b32_e32 v18, 16, v31
	v_cmp_eq_u32_e64 s[18:19], 0, v18
	v_or_b32_e32 v18, 63, v0
	v_cmp_lt_u32_e64 s[0:1], 31, v31
	v_lshrrev_b32_e32 v32, 6, v0
	v_cmp_eq_u32_e64 s[2:3], v18, v0
	s_and_b64 vcc, exec, s[16:17]
	s_waitcnt lgkmcnt(0)
	s_barrier
	s_cbranch_vccz .LBB1711_238
; %bb.208:
	v_mov_b32_dpp v18, v33 row_shr:1 row_mask:0xf bank_mask:0xf
	v_cndmask_b32_e64 v18, v18, 0, s[14:15]
	v_add_u32_e32 v18, v18, v33
	s_nop 1
	v_mov_b32_dpp v19, v18 row_shr:2 row_mask:0xf bank_mask:0xf
	v_cndmask_b32_e64 v19, 0, v19, s[12:13]
	v_add_u32_e32 v18, v18, v19
	s_nop 1
	;; [unrolled: 4-line block ×4, first 2 shown]
	v_mov_b32_dpp v19, v18 row_bcast:15 row_mask:0xf bank_mask:0xf
	v_cndmask_b32_e64 v19, v19, 0, s[18:19]
	v_add_u32_e32 v18, v18, v19
	s_nop 1
	v_mov_b32_dpp v19, v18 row_bcast:31 row_mask:0xf bank_mask:0xf
	v_cndmask_b32_e64 v19, 0, v19, s[0:1]
	v_add_u32_e32 v18, v18, v19
	s_and_saveexec_b64 s[16:17], s[2:3]
	s_cbranch_execz .LBB1711_210
; %bb.209:
	v_lshlrev_b32_e32 v19, 2, v32
	ds_write_b32 v19, v18
.LBB1711_210:
	s_or_b64 exec, exec, s[16:17]
	v_cmp_gt_u32_e32 vcc, 2, v0
	s_waitcnt lgkmcnt(0)
	s_barrier
	s_and_saveexec_b64 s[16:17], vcc
	s_cbranch_execz .LBB1711_212
; %bb.211:
	ds_read_b32 v19, v1
	v_bfe_i32 v20, v31, 0, 1
	s_waitcnt lgkmcnt(0)
	v_mov_b32_dpp v21, v19 row_shr:1 row_mask:0xf bank_mask:0xf
	v_and_b32_e32 v20, v20, v21
	v_add_u32_e32 v19, v20, v19
	ds_write_b32 v1, v19
.LBB1711_212:
	s_or_b64 exec, exec, s[16:17]
	v_cmp_gt_u32_e32 vcc, 64, v0
	v_cmp_lt_u32_e64 s[16:17], 63, v0
	s_waitcnt lgkmcnt(0)
	s_barrier
	s_waitcnt lgkmcnt(0)
                                        ; implicit-def: $vgpr34
	s_and_saveexec_b64 s[26:27], s[16:17]
	s_cbranch_execz .LBB1711_214
; %bb.213:
	v_lshl_add_u32 v19, v32, 2, -4
	ds_read_b32 v34, v19
	s_waitcnt lgkmcnt(0)
	v_add_u32_e32 v18, v34, v18
.LBB1711_214:
	s_or_b64 exec, exec, s[26:27]
	v_add_u32_e32 v19, -1, v31
	v_and_b32_e32 v20, 64, v31
	v_cmp_lt_i32_e64 s[16:17], v19, v20
	v_cndmask_b32_e64 v19, v19, v31, s[16:17]
	v_lshlrev_b32_e32 v19, 2, v19
	ds_bpermute_b32 v35, v19, v18
	v_cmp_eq_u32_e64 s[16:17], 0, v31
	s_and_saveexec_b64 s[26:27], vcc
	s_cbranch_execz .LBB1711_237
; %bb.215:
	v_mov_b32_e32 v27, 0
	ds_read_b32 v18, v27 offset:4
	s_and_saveexec_b64 s[28:29], s[16:17]
	s_cbranch_execz .LBB1711_217
; %bb.216:
	s_add_i32 s36, s6, 64
	s_mov_b32 s37, 0
	s_lshl_b64 s[36:37], s[36:37], 3
	s_add_u32 s36, s30, s36
	v_mov_b32_e32 v19, 1
	s_addc_u32 s37, s31, s37
	s_waitcnt lgkmcnt(0)
	global_store_dwordx2 v27, v[18:19], s[36:37]
.LBB1711_217:
	s_or_b64 exec, exec, s[28:29]
	v_xad_u32 v20, v31, -1, s6
	v_add_u32_e32 v26, 64, v20
	v_lshlrev_b64 v[22:23], 3, v[26:27]
	v_mov_b32_e32 v19, s31
	v_add_co_u32_e32 v22, vcc, s30, v22
	v_addc_co_u32_e32 v23, vcc, v19, v23, vcc
	global_load_dwordx2 v[24:25], v[22:23], off glc
	s_waitcnt vmcnt(0)
	v_cmp_eq_u16_sdwa s[36:37], v25, v27 src0_sel:BYTE_0 src1_sel:DWORD
	s_and_saveexec_b64 s[28:29], s[36:37]
	s_cbranch_execz .LBB1711_223
; %bb.218:
	s_mov_b32 s7, 1
	s_mov_b64 s[36:37], 0
	v_mov_b32_e32 v19, 0
.LBB1711_219:                           ; =>This Loop Header: Depth=1
                                        ;     Child Loop BB1711_220 Depth 2
	s_max_u32 s33, s7, 1
.LBB1711_220:                           ;   Parent Loop BB1711_219 Depth=1
                                        ; =>  This Inner Loop Header: Depth=2
	s_add_i32 s33, s33, -1
	s_cmp_eq_u32 s33, 0
	s_sleep 1
	s_cbranch_scc0 .LBB1711_220
; %bb.221:                              ;   in Loop: Header=BB1711_219 Depth=1
	global_load_dwordx2 v[24:25], v[22:23], off glc
	s_cmp_lt_u32 s7, 32
	s_cselect_b64 s[38:39], -1, 0
	s_cmp_lg_u64 s[38:39], 0
	s_addc_u32 s7, s7, 0
	s_waitcnt vmcnt(0)
	v_cmp_ne_u16_sdwa s[38:39], v25, v19 src0_sel:BYTE_0 src1_sel:DWORD
	s_or_b64 s[36:37], s[38:39], s[36:37]
	s_andn2_b64 exec, exec, s[36:37]
	s_cbranch_execnz .LBB1711_219
; %bb.222:
	s_or_b64 exec, exec, s[36:37]
.LBB1711_223:
	s_or_b64 exec, exec, s[28:29]
	v_and_b32_e32 v36, 63, v31
	v_mov_b32_e32 v19, 2
	v_cmp_ne_u32_e32 vcc, 63, v36
	v_cmp_eq_u16_sdwa s[28:29], v25, v19 src0_sel:BYTE_0 src1_sel:DWORD
	v_lshlrev_b64 v[22:23], v31, -1
	v_addc_co_u32_e32 v27, vcc, 0, v31, vcc
	v_and_b32_e32 v21, s29, v23
	v_lshlrev_b32_e32 v37, 2, v27
	v_or_b32_e32 v21, 0x80000000, v21
	ds_bpermute_b32 v27, v37, v24
	v_and_b32_e32 v26, s28, v22
	v_ffbl_b32_e32 v21, v21
	v_add_u32_e32 v21, 32, v21
	v_ffbl_b32_e32 v26, v26
	v_min_u32_e32 v21, v26, v21
	v_cmp_lt_u32_e32 vcc, v36, v21
	s_waitcnt lgkmcnt(0)
	v_cndmask_b32_e32 v26, 0, v27, vcc
	v_cmp_gt_u32_e32 vcc, 62, v36
	v_add_u32_e32 v24, v26, v24
	v_cndmask_b32_e64 v26, 0, 1, vcc
	v_lshlrev_b32_e32 v26, 1, v26
	v_add_lshl_u32 v38, v26, v31, 2
	ds_bpermute_b32 v26, v38, v24
	v_add_u32_e32 v39, 2, v36
	v_cmp_le_u32_e32 vcc, v39, v21
	v_add_u32_e32 v41, 4, v36
	v_add_u32_e32 v43, 8, v36
	s_waitcnt lgkmcnt(0)
	v_cndmask_b32_e32 v26, 0, v26, vcc
	v_cmp_gt_u32_e32 vcc, 60, v36
	v_add_u32_e32 v24, v24, v26
	v_cndmask_b32_e64 v26, 0, 1, vcc
	v_lshlrev_b32_e32 v26, 2, v26
	v_add_lshl_u32 v40, v26, v31, 2
	ds_bpermute_b32 v26, v40, v24
	v_cmp_le_u32_e32 vcc, v41, v21
	v_add_u32_e32 v46, 16, v36
	v_add_u32_e32 v48, 32, v36
	s_waitcnt lgkmcnt(0)
	v_cndmask_b32_e32 v26, 0, v26, vcc
	v_cmp_gt_u32_e32 vcc, 56, v36
	v_add_u32_e32 v24, v24, v26
	v_cndmask_b32_e64 v26, 0, 1, vcc
	v_lshlrev_b32_e32 v26, 3, v26
	v_add_lshl_u32 v42, v26, v31, 2
	ds_bpermute_b32 v26, v42, v24
	v_cmp_le_u32_e32 vcc, v43, v21
	s_waitcnt lgkmcnt(0)
	v_cndmask_b32_e32 v26, 0, v26, vcc
	v_cmp_gt_u32_e32 vcc, 48, v36
	v_add_u32_e32 v24, v24, v26
	v_cndmask_b32_e64 v26, 0, 1, vcc
	v_lshlrev_b32_e32 v26, 4, v26
	v_add_lshl_u32 v45, v26, v31, 2
	ds_bpermute_b32 v26, v45, v24
	v_cmp_le_u32_e32 vcc, v46, v21
	;; [unrolled: 9-line block ×3, first 2 shown]
	s_waitcnt lgkmcnt(0)
	v_cndmask_b32_e32 v21, 0, v26, vcc
	v_add_u32_e32 v24, v24, v21
	v_mov_b32_e32 v21, 0
	s_branch .LBB1711_225
.LBB1711_224:                           ;   in Loop: Header=BB1711_225 Depth=1
	s_or_b64 exec, exec, s[28:29]
	v_cmp_eq_u16_sdwa s[28:29], v25, v19 src0_sel:BYTE_0 src1_sel:DWORD
	v_and_b32_e32 v26, s29, v23
	v_or_b32_e32 v26, 0x80000000, v26
	ds_bpermute_b32 v49, v37, v24
	v_and_b32_e32 v27, s28, v22
	v_ffbl_b32_e32 v26, v26
	v_add_u32_e32 v26, 32, v26
	v_ffbl_b32_e32 v27, v27
	v_min_u32_e32 v26, v27, v26
	v_cmp_lt_u32_e32 vcc, v36, v26
	s_waitcnt lgkmcnt(0)
	v_cndmask_b32_e32 v27, 0, v49, vcc
	v_add_u32_e32 v24, v27, v24
	ds_bpermute_b32 v27, v38, v24
	v_cmp_le_u32_e32 vcc, v39, v26
	v_subrev_u32_e32 v20, 64, v20
	s_waitcnt lgkmcnt(0)
	v_cndmask_b32_e32 v27, 0, v27, vcc
	v_add_u32_e32 v24, v24, v27
	ds_bpermute_b32 v27, v40, v24
	v_cmp_le_u32_e32 vcc, v41, v26
	s_waitcnt lgkmcnt(0)
	v_cndmask_b32_e32 v27, 0, v27, vcc
	v_add_u32_e32 v24, v24, v27
	ds_bpermute_b32 v27, v42, v24
	v_cmp_le_u32_e32 vcc, v43, v26
	;; [unrolled: 5-line block ×4, first 2 shown]
	s_waitcnt lgkmcnt(0)
	v_cndmask_b32_e32 v26, 0, v27, vcc
	v_add3_u32 v24, v26, v44, v24
.LBB1711_225:                           ; =>This Loop Header: Depth=1
                                        ;     Child Loop BB1711_228 Depth 2
                                        ;       Child Loop BB1711_229 Depth 3
	v_cmp_ne_u16_sdwa s[28:29], v25, v19 src0_sel:BYTE_0 src1_sel:DWORD
	v_cndmask_b32_e64 v25, 0, 1, s[28:29]
	;;#ASMSTART
	;;#ASMEND
	v_cmp_ne_u32_e32 vcc, 0, v25
	s_cmp_lg_u64 vcc, exec
	v_mov_b32_e32 v44, v24
	s_cbranch_scc1 .LBB1711_232
; %bb.226:                              ;   in Loop: Header=BB1711_225 Depth=1
	v_lshlrev_b64 v[24:25], 3, v[20:21]
	v_mov_b32_e32 v27, s31
	v_add_co_u32_e32 v26, vcc, s30, v24
	v_addc_co_u32_e32 v27, vcc, v27, v25, vcc
	global_load_dwordx2 v[24:25], v[26:27], off glc
	s_waitcnt vmcnt(0)
	v_cmp_eq_u16_sdwa s[36:37], v25, v21 src0_sel:BYTE_0 src1_sel:DWORD
	s_and_saveexec_b64 s[28:29], s[36:37]
	s_cbranch_execz .LBB1711_224
; %bb.227:                              ;   in Loop: Header=BB1711_225 Depth=1
	s_mov_b32 s7, 1
	s_mov_b64 s[36:37], 0
.LBB1711_228:                           ;   Parent Loop BB1711_225 Depth=1
                                        ; =>  This Loop Header: Depth=2
                                        ;       Child Loop BB1711_229 Depth 3
	s_max_u32 s33, s7, 1
.LBB1711_229:                           ;   Parent Loop BB1711_225 Depth=1
                                        ;     Parent Loop BB1711_228 Depth=2
                                        ; =>    This Inner Loop Header: Depth=3
	s_add_i32 s33, s33, -1
	s_cmp_eq_u32 s33, 0
	s_sleep 1
	s_cbranch_scc0 .LBB1711_229
; %bb.230:                              ;   in Loop: Header=BB1711_228 Depth=2
	global_load_dwordx2 v[24:25], v[26:27], off glc
	s_cmp_lt_u32 s7, 32
	s_cselect_b64 s[38:39], -1, 0
	s_cmp_lg_u64 s[38:39], 0
	s_addc_u32 s7, s7, 0
	s_waitcnt vmcnt(0)
	v_cmp_ne_u16_sdwa s[38:39], v25, v21 src0_sel:BYTE_0 src1_sel:DWORD
	s_or_b64 s[36:37], s[38:39], s[36:37]
	s_andn2_b64 exec, exec, s[36:37]
	s_cbranch_execnz .LBB1711_228
; %bb.231:                              ;   in Loop: Header=BB1711_225 Depth=1
	s_or_b64 exec, exec, s[36:37]
	s_branch .LBB1711_224
.LBB1711_232:                           ;   in Loop: Header=BB1711_225 Depth=1
                                        ; implicit-def: $vgpr24
                                        ; implicit-def: $vgpr25
	s_cbranch_execz .LBB1711_225
; %bb.233:
	s_and_saveexec_b64 s[28:29], s[16:17]
	s_cbranch_execz .LBB1711_235
; %bb.234:
	s_add_i32 s6, s6, 64
	s_mov_b32 s7, 0
	s_lshl_b64 s[6:7], s[6:7], 3
	s_add_u32 s6, s30, s6
	v_add_u32_e32 v20, v44, v18
	v_mov_b32_e32 v21, 2
	s_addc_u32 s7, s31, s7
	v_mov_b32_e32 v19, 0
	global_store_dwordx2 v19, v[20:21], s[6:7]
	s_movk_i32 s6, 0x1000
	v_add_u32_e64 v19, s6, 0
	ds_write2_b32 v19, v18, v44 offset0:32 offset1:34
.LBB1711_235:
	s_or_b64 exec, exec, s[28:29]
	v_cmp_eq_u32_e32 vcc, 0, v0
	s_and_b64 exec, exec, vcc
	s_cbranch_execz .LBB1711_237
; %bb.236:
	v_mov_b32_e32 v18, 0
	ds_write_b32 v18, v44 offset:4
.LBB1711_237:
	s_or_b64 exec, exec, s[26:27]
	v_mov_b32_e32 v19, 0
	s_waitcnt lgkmcnt(0)
	s_barrier
	ds_read_b32 v19, v19 offset:4
	s_movk_i32 s6, 0x1000
	v_add_u32_e64 v20, s6, 0
	v_cndmask_b32_e64 v18, v35, v34, s[16:17]
	v_cmp_ne_u32_e32 vcc, 0, v0
	s_waitcnt lgkmcnt(0)
	s_barrier
	ds_read2_b32 v[26:27], v20 offset0:32 offset1:34
	v_cndmask_b32_e32 v18, 0, v18, vcc
	v_add_u32_e32 v24, v19, v18
	v_add_u32_sdwa v22, v24, v28 dst_sel:DWORD dst_unused:UNUSED_PAD src0_sel:DWORD src1_sel:BYTE_0
	v_add_u32_sdwa v20, v22, v28 dst_sel:DWORD dst_unused:UNUSED_PAD src0_sel:DWORD src1_sel:BYTE_1
	v_add_u32_e32 v18, v20, v30
	s_waitcnt lgkmcnt(0)
	v_readfirstlane_b32 s26, v26
	v_readfirstlane_b32 s16, v27
	s_branch .LBB1711_248
.LBB1711_238:
                                        ; implicit-def: $vgpr18
                                        ; implicit-def: $vgpr20
                                        ; implicit-def: $vgpr22
                                        ; implicit-def: $vgpr24
                                        ; implicit-def: $sgpr16
                                        ; implicit-def: $sgpr26
	s_cbranch_execz .LBB1711_248
; %bb.239:
	s_nop 0
	v_mov_b32_dpp v18, v33 row_shr:1 row_mask:0xf bank_mask:0xf
	v_cndmask_b32_e64 v18, v18, 0, s[14:15]
	v_add_u32_e32 v18, v18, v33
	s_nop 1
	v_mov_b32_dpp v19, v18 row_shr:2 row_mask:0xf bank_mask:0xf
	v_cndmask_b32_e64 v19, 0, v19, s[12:13]
	v_add_u32_e32 v18, v18, v19
	;; [unrolled: 4-line block ×4, first 2 shown]
	s_nop 1
	v_mov_b32_dpp v19, v18 row_bcast:15 row_mask:0xf bank_mask:0xf
	v_cndmask_b32_e64 v19, v19, 0, s[18:19]
	v_add_u32_e32 v18, v18, v19
	s_nop 1
	v_mov_b32_dpp v19, v18 row_bcast:31 row_mask:0xf bank_mask:0xf
	v_cndmask_b32_e64 v19, 0, v19, s[0:1]
	v_add_u32_e32 v18, v18, v19
	s_and_saveexec_b64 s[0:1], s[2:3]
	s_cbranch_execz .LBB1711_241
; %bb.240:
	v_lshlrev_b32_e32 v19, 2, v32
	ds_write_b32 v19, v18
.LBB1711_241:
	s_or_b64 exec, exec, s[0:1]
	v_cmp_gt_u32_e32 vcc, 2, v0
	s_waitcnt lgkmcnt(0)
	s_barrier
	s_and_saveexec_b64 s[0:1], vcc
	s_cbranch_execz .LBB1711_243
; %bb.242:
	ds_read_b32 v19, v1
	v_bfe_i32 v20, v31, 0, 1
	s_waitcnt lgkmcnt(0)
	v_mov_b32_dpp v21, v19 row_shr:1 row_mask:0xf bank_mask:0xf
	v_and_b32_e32 v20, v20, v21
	v_add_u32_e32 v19, v20, v19
	ds_write_b32 v1, v19
.LBB1711_243:
	s_or_b64 exec, exec, s[0:1]
	v_cmp_lt_u32_e32 vcc, 63, v0
	v_mov_b32_e32 v19, 0
	v_mov_b32_e32 v1, 0
	s_waitcnt lgkmcnt(0)
	s_barrier
	s_and_saveexec_b64 s[0:1], vcc
	s_cbranch_execz .LBB1711_245
; %bb.244:
	v_lshl_add_u32 v1, v32, 2, -4
	ds_read_b32 v1, v1
.LBB1711_245:
	s_or_b64 exec, exec, s[0:1]
	v_add_u32_e32 v20, -1, v31
	v_and_b32_e32 v21, 64, v31
	v_cmp_lt_i32_e32 vcc, v20, v21
	v_cndmask_b32_e32 v20, v20, v31, vcc
	s_waitcnt lgkmcnt(0)
	v_add_u32_e32 v18, v1, v18
	v_lshlrev_b32_e32 v20, 2, v20
	ds_read_b32 v19, v19 offset:4
	ds_bpermute_b32 v18, v20, v18
	s_mov_b32 s16, 0
	v_cmp_eq_u32_e32 vcc, 0, v0
	s_waitcnt lgkmcnt(1)
	v_readfirstlane_b32 s26, v19
	s_and_saveexec_b64 s[0:1], vcc
	s_cbranch_execz .LBB1711_247
; %bb.246:
	v_mov_b32_e32 v19, 0
	v_mov_b32_e32 v20, s26
	;; [unrolled: 1-line block ×3, first 2 shown]
	global_store_dwordx2 v19, v[20:21], s[30:31] offset:512
.LBB1711_247:
	s_or_b64 exec, exec, s[0:1]
	v_cmp_eq_u32_e64 s[0:1], 0, v31
	s_waitcnt lgkmcnt(0)
	v_cndmask_b32_e64 v1, v18, v1, s[0:1]
	v_cndmask_b32_e64 v24, v1, 0, vcc
	v_add_u32_sdwa v22, v24, v28 dst_sel:DWORD dst_unused:UNUSED_PAD src0_sel:DWORD src1_sel:BYTE_0
	v_add_u32_sdwa v20, v22, v28 dst_sel:DWORD dst_unused:UNUSED_PAD src0_sel:DWORD src1_sel:BYTE_1
	v_add_u32_e32 v18, v20, v30
	s_barrier
.LBB1711_248:
	s_load_dwordx4 s[4:7], s[4:5], 0x28
	s_cmpk_lt_u32 s26, 0x81
	s_cselect_b64 s[2:3], -1, 0
	v_lshrrev_b32_e32 v1, 8, v28
	s_mov_b64 s[0:1], -1
	s_and_b64 vcc, exec, s[2:3]
	s_cbranch_vccz .LBB1711_262
; %bb.249:
	s_add_i32 s8, s16, s26
	v_cmp_gt_u32_e32 vcc, s8, v24
	s_or_b64 s[10:11], s[34:35], vcc
	s_and_saveexec_b64 s[0:1], s[10:11]
	s_cbranch_execz .LBB1711_252
; %bb.250:
	v_and_b32_e32 v19, 1, v28
	v_cmp_eq_u32_e32 vcc, 1, v19
	s_and_b64 exec, exec, vcc
	s_cbranch_execz .LBB1711_252
; %bb.251:
	s_lshl_b64 s[10:11], s[22:23], 3
	s_waitcnt lgkmcnt(0)
	s_add_u32 s9, s4, s10
	v_mov_b32_e32 v25, 0
	s_addc_u32 s10, s5, s11
	v_lshlrev_b64 v[26:27], 3, v[24:25]
	v_mov_b32_e32 v19, s10
	v_add_co_u32_e32 v26, vcc, s9, v26
	v_addc_co_u32_e32 v27, vcc, v19, v27, vcc
	global_store_dwordx2 v[26:27], v[14:15], off
.LBB1711_252:
	s_or_b64 exec, exec, s[0:1]
	v_cmp_gt_u32_e32 vcc, s8, v22
	s_or_b64 s[10:11], s[34:35], vcc
	s_and_saveexec_b64 s[0:1], s[10:11]
	s_cbranch_execz .LBB1711_255
; %bb.253:
	v_and_b32_e32 v19, 1, v1
	v_cmp_eq_u32_e32 vcc, 1, v19
	s_and_b64 exec, exec, vcc
	s_cbranch_execz .LBB1711_255
; %bb.254:
	s_lshl_b64 s[10:11], s[22:23], 3
	s_waitcnt lgkmcnt(0)
	s_add_u32 s9, s4, s10
	v_mov_b32_e32 v23, 0
	s_addc_u32 s10, s5, s11
	v_lshlrev_b64 v[26:27], 3, v[22:23]
	v_mov_b32_e32 v19, s10
	v_add_co_u32_e32 v26, vcc, s9, v26
	v_addc_co_u32_e32 v27, vcc, v19, v27, vcc
	global_store_dwordx2 v[26:27], v[16:17], off
.LBB1711_255:
	s_or_b64 exec, exec, s[0:1]
	v_cmp_gt_u32_e32 vcc, s8, v20
	s_or_b64 s[10:11], s[34:35], vcc
	s_and_saveexec_b64 s[0:1], s[10:11]
	s_cbranch_execz .LBB1711_258
; %bb.256:
	v_mov_b32_e32 v19, 1
	v_and_b32_sdwa v19, v19, v28 dst_sel:DWORD dst_unused:UNUSED_PAD src0_sel:DWORD src1_sel:WORD_1
	v_cmp_eq_u32_e32 vcc, 1, v19
	s_and_b64 exec, exec, vcc
	s_cbranch_execz .LBB1711_258
; %bb.257:
	s_lshl_b64 s[10:11], s[22:23], 3
	s_waitcnt lgkmcnt(0)
	s_add_u32 s9, s4, s10
	v_mov_b32_e32 v21, 0
	s_addc_u32 s10, s5, s11
	v_lshlrev_b64 v[26:27], 3, v[20:21]
	v_mov_b32_e32 v19, s10
	v_add_co_u32_e32 v26, vcc, s9, v26
	v_addc_co_u32_e32 v27, vcc, v19, v27, vcc
	global_store_dwordx2 v[26:27], v[10:11], off
.LBB1711_258:
	s_or_b64 exec, exec, s[0:1]
	v_cmp_gt_u32_e32 vcc, s8, v18
	s_or_b64 s[8:9], s[34:35], vcc
	s_and_saveexec_b64 s[0:1], s[8:9]
	s_cbranch_execz .LBB1711_261
; %bb.259:
	v_and_b32_e32 v19, 1, v29
	v_cmp_eq_u32_e32 vcc, 1, v19
	s_and_b64 exec, exec, vcc
	s_cbranch_execz .LBB1711_261
; %bb.260:
	s_lshl_b64 s[8:9], s[22:23], 3
	s_waitcnt lgkmcnt(0)
	s_add_u32 s8, s4, s8
	v_mov_b32_e32 v19, 0
	s_addc_u32 s9, s5, s9
	v_lshlrev_b64 v[26:27], 3, v[18:19]
	v_mov_b32_e32 v19, s9
	v_add_co_u32_e32 v26, vcc, s8, v26
	v_addc_co_u32_e32 v27, vcc, v19, v27, vcc
	global_store_dwordx2 v[26:27], v[12:13], off
.LBB1711_261:
	s_or_b64 exec, exec, s[0:1]
	s_mov_b64 s[0:1], 0
.LBB1711_262:
	v_and_b32_e32 v26, 1, v28
	s_and_b64 vcc, exec, s[0:1]
	v_cmp_eq_u32_e64 s[0:1], 1, v26
	s_cbranch_vccz .LBB1711_275
; %bb.263:
	s_and_saveexec_b64 s[8:9], s[0:1]
	s_cbranch_execz .LBB1711_265
; %bb.264:
	v_subrev_u32_e32 v19, s16, v24
	v_lshlrev_b32_e32 v19, 3, v19
	ds_write_b64 v19, v[14:15]
.LBB1711_265:
	s_or_b64 exec, exec, s[8:9]
	v_and_b32_e32 v14, 1, v1
	v_cmp_eq_u32_e32 vcc, 1, v14
	s_and_saveexec_b64 s[0:1], vcc
	s_cbranch_execz .LBB1711_267
; %bb.266:
	v_subrev_u32_e32 v14, s16, v22
	v_lshlrev_b32_e32 v14, 3, v14
	ds_write_b64 v14, v[16:17]
.LBB1711_267:
	s_or_b64 exec, exec, s[0:1]
	v_mov_b32_e32 v14, 1
	v_and_b32_sdwa v14, v14, v28 dst_sel:DWORD dst_unused:UNUSED_PAD src0_sel:DWORD src1_sel:WORD_1
	v_cmp_eq_u32_e32 vcc, 1, v14
	s_and_saveexec_b64 s[0:1], vcc
	s_cbranch_execz .LBB1711_269
; %bb.268:
	v_subrev_u32_e32 v14, s16, v20
	v_lshlrev_b32_e32 v14, 3, v14
	ds_write_b64 v14, v[10:11]
.LBB1711_269:
	s_or_b64 exec, exec, s[0:1]
	v_and_b32_e32 v10, 1, v29
	v_cmp_eq_u32_e32 vcc, 1, v10
	s_and_saveexec_b64 s[0:1], vcc
	s_cbranch_execz .LBB1711_271
; %bb.270:
	v_subrev_u32_e32 v10, s16, v18
	v_lshlrev_b32_e32 v10, 3, v10
	ds_write_b64 v10, v[12:13]
.LBB1711_271:
	s_or_b64 exec, exec, s[0:1]
	v_cmp_gt_u32_e32 vcc, s26, v0
	s_waitcnt lgkmcnt(0)
	s_barrier
	s_and_saveexec_b64 s[0:1], vcc
	s_cbranch_execz .LBB1711_274
; %bb.272:
	s_mov_b32 s17, 0
	s_lshl_b64 s[8:9], s[16:17], 3
	s_add_u32 s8, s4, s8
	s_addc_u32 s9, s5, s9
	s_lshl_b64 s[4:5], s[22:23], 3
	s_add_u32 s8, s8, s4
	s_addc_u32 s9, s9, s5
	v_lshlrev_b32_e32 v12, 3, v0
	s_mov_b64 s[4:5], 0
	v_mov_b32_e32 v11, 0
	v_mov_b32_e32 v13, s9
	;; [unrolled: 1-line block ×3, first 2 shown]
.LBB1711_273:                           ; =>This Inner Loop Header: Depth=1
	ds_read_b64 v[14:15], v12
	v_lshlrev_b64 v[16:17], 3, v[10:11]
	v_add_co_u32_e32 v16, vcc, s8, v16
	v_add_u32_e32 v10, 0x80, v10
	v_addc_co_u32_e32 v17, vcc, v13, v17, vcc
	v_cmp_le_u32_e32 vcc, s26, v10
	v_add_u32_e32 v12, 0x400, v12
	s_or_b64 s[4:5], vcc, s[4:5]
	s_waitcnt lgkmcnt(0)
	global_store_dwordx2 v[16:17], v[14:15], off
	s_andn2_b64 exec, exec, s[4:5]
	s_cbranch_execnz .LBB1711_273
.LBB1711_274:
	s_or_b64 exec, exec, s[0:1]
.LBB1711_275:
	s_mov_b64 s[0:1], -1
	s_and_b64 vcc, exec, s[2:3]
	s_waitcnt lgkmcnt(0)
	s_barrier
	s_cbranch_vccnz .LBB1711_279
; %bb.276:
	s_and_b64 vcc, exec, s[0:1]
	s_cbranch_vccnz .LBB1711_292
.LBB1711_277:
	v_cmp_eq_u32_e32 vcc, 0, v0
	s_and_b64 s[0:1], vcc, s[24:25]
	s_and_saveexec_b64 s[2:3], s[0:1]
	s_cbranch_execnz .LBB1711_304
.LBB1711_278:
	s_endpgm
.LBB1711_279:
	s_add_i32 s2, s16, s26
	v_cmp_gt_u32_e32 vcc, s2, v24
	s_or_b64 s[4:5], s[34:35], vcc
	s_and_saveexec_b64 s[0:1], s[4:5]
	s_cbranch_execz .LBB1711_282
; %bb.280:
	v_cmp_eq_u32_e32 vcc, 1, v26
	s_and_b64 exec, exec, vcc
	s_cbranch_execz .LBB1711_282
; %bb.281:
	s_lshl_b64 s[4:5], s[22:23], 3
	s_add_u32 s3, s6, s4
	v_mov_b32_e32 v25, 0
	s_addc_u32 s4, s7, s5
	v_lshlrev_b64 v[10:11], 3, v[24:25]
	v_mov_b32_e32 v12, s4
	v_add_co_u32_e32 v10, vcc, s3, v10
	v_addc_co_u32_e32 v11, vcc, v12, v11, vcc
	global_store_dwordx2 v[10:11], v[6:7], off
.LBB1711_282:
	s_or_b64 exec, exec, s[0:1]
	v_cmp_gt_u32_e32 vcc, s2, v22
	s_or_b64 s[4:5], s[34:35], vcc
	s_and_saveexec_b64 s[0:1], s[4:5]
	s_cbranch_execz .LBB1711_285
; %bb.283:
	v_and_b32_e32 v10, 1, v1
	v_cmp_eq_u32_e32 vcc, 1, v10
	s_and_b64 exec, exec, vcc
	s_cbranch_execz .LBB1711_285
; %bb.284:
	s_lshl_b64 s[4:5], s[22:23], 3
	s_add_u32 s3, s6, s4
	v_mov_b32_e32 v23, 0
	s_addc_u32 s4, s7, s5
	v_lshlrev_b64 v[10:11], 3, v[22:23]
	v_mov_b32_e32 v12, s4
	v_add_co_u32_e32 v10, vcc, s3, v10
	v_addc_co_u32_e32 v11, vcc, v12, v11, vcc
	global_store_dwordx2 v[10:11], v[8:9], off
.LBB1711_285:
	s_or_b64 exec, exec, s[0:1]
	v_cmp_gt_u32_e32 vcc, s2, v20
	s_or_b64 s[4:5], s[34:35], vcc
	s_and_saveexec_b64 s[0:1], s[4:5]
	s_cbranch_execz .LBB1711_288
; %bb.286:
	v_mov_b32_e32 v10, 1
	v_and_b32_sdwa v10, v10, v28 dst_sel:DWORD dst_unused:UNUSED_PAD src0_sel:DWORD src1_sel:WORD_1
	v_cmp_eq_u32_e32 vcc, 1, v10
	s_and_b64 exec, exec, vcc
	s_cbranch_execz .LBB1711_288
; %bb.287:
	s_lshl_b64 s[4:5], s[22:23], 3
	s_add_u32 s3, s6, s4
	v_mov_b32_e32 v21, 0
	s_addc_u32 s4, s7, s5
	v_lshlrev_b64 v[10:11], 3, v[20:21]
	v_mov_b32_e32 v12, s4
	v_add_co_u32_e32 v10, vcc, s3, v10
	v_addc_co_u32_e32 v11, vcc, v12, v11, vcc
	global_store_dwordx2 v[10:11], v[2:3], off
.LBB1711_288:
	s_or_b64 exec, exec, s[0:1]
	v_cmp_gt_u32_e32 vcc, s2, v18
	s_or_b64 s[2:3], s[34:35], vcc
	s_and_saveexec_b64 s[0:1], s[2:3]
	s_cbranch_execz .LBB1711_291
; %bb.289:
	v_and_b32_e32 v10, 1, v29
	v_cmp_eq_u32_e32 vcc, 1, v10
	s_and_b64 exec, exec, vcc
	s_cbranch_execz .LBB1711_291
; %bb.290:
	s_lshl_b64 s[2:3], s[22:23], 3
	s_add_u32 s2, s6, s2
	v_mov_b32_e32 v19, 0
	s_addc_u32 s3, s7, s3
	v_lshlrev_b64 v[10:11], 3, v[18:19]
	v_mov_b32_e32 v12, s3
	v_add_co_u32_e32 v10, vcc, s2, v10
	v_addc_co_u32_e32 v11, vcc, v12, v11, vcc
	global_store_dwordx2 v[10:11], v[4:5], off
.LBB1711_291:
	s_or_b64 exec, exec, s[0:1]
	s_branch .LBB1711_277
.LBB1711_292:
	v_cmp_eq_u32_e32 vcc, 1, v26
	s_and_saveexec_b64 s[0:1], vcc
	s_cbranch_execz .LBB1711_294
; %bb.293:
	v_subrev_u32_e32 v10, s16, v24
	v_lshlrev_b32_e32 v10, 3, v10
	ds_write_b64 v10, v[6:7]
.LBB1711_294:
	s_or_b64 exec, exec, s[0:1]
	v_and_b32_e32 v1, 1, v1
	v_cmp_eq_u32_e32 vcc, 1, v1
	s_and_saveexec_b64 s[0:1], vcc
	s_cbranch_execz .LBB1711_296
; %bb.295:
	v_subrev_u32_e32 v1, s16, v22
	v_lshlrev_b32_e32 v1, 3, v1
	ds_write_b64 v1, v[8:9]
.LBB1711_296:
	s_or_b64 exec, exec, s[0:1]
	v_mov_b32_e32 v1, 1
	v_and_b32_sdwa v1, v1, v28 dst_sel:DWORD dst_unused:UNUSED_PAD src0_sel:DWORD src1_sel:WORD_1
	v_cmp_eq_u32_e32 vcc, 1, v1
	s_and_saveexec_b64 s[0:1], vcc
	s_cbranch_execz .LBB1711_298
; %bb.297:
	v_subrev_u32_e32 v1, s16, v20
	v_lshlrev_b32_e32 v1, 3, v1
	ds_write_b64 v1, v[2:3]
.LBB1711_298:
	s_or_b64 exec, exec, s[0:1]
	v_and_b32_e32 v1, 1, v29
	v_cmp_eq_u32_e32 vcc, 1, v1
	s_and_saveexec_b64 s[0:1], vcc
	s_cbranch_execz .LBB1711_300
; %bb.299:
	v_subrev_u32_e32 v1, s16, v18
	v_lshlrev_b32_e32 v1, 3, v1
	ds_write_b64 v1, v[4:5]
.LBB1711_300:
	s_or_b64 exec, exec, s[0:1]
	v_cmp_gt_u32_e32 vcc, s26, v0
	s_waitcnt lgkmcnt(0)
	s_barrier
	s_and_saveexec_b64 s[0:1], vcc
	s_cbranch_execz .LBB1711_303
; %bb.301:
	s_mov_b32 s17, 0
	s_lshl_b64 s[2:3], s[16:17], 3
	s_add_u32 s4, s6, s2
	s_addc_u32 s5, s7, s3
	s_lshl_b64 s[2:3], s[22:23], 3
	s_add_u32 s4, s4, s2
	s_addc_u32 s5, s5, s3
	v_lshlrev_b32_e32 v1, 3, v0
	s_mov_b64 s[2:3], 0
	v_mov_b32_e32 v3, 0
	v_mov_b32_e32 v4, s5
	;; [unrolled: 1-line block ×3, first 2 shown]
.LBB1711_302:                           ; =>This Inner Loop Header: Depth=1
	ds_read_b64 v[6:7], v1
	v_lshlrev_b64 v[8:9], 3, v[2:3]
	v_add_co_u32_e32 v8, vcc, s4, v8
	v_add_u32_e32 v2, 0x80, v2
	v_addc_co_u32_e32 v9, vcc, v4, v9, vcc
	v_cmp_le_u32_e32 vcc, s26, v2
	v_add_u32_e32 v1, 0x400, v1
	s_or_b64 s[2:3], vcc, s[2:3]
	s_waitcnt lgkmcnt(0)
	global_store_dwordx2 v[8:9], v[6:7], off
	s_andn2_b64 exec, exec, s[2:3]
	s_cbranch_execnz .LBB1711_302
.LBB1711_303:
	s_or_b64 exec, exec, s[0:1]
	v_cmp_eq_u32_e32 vcc, 0, v0
	s_and_b64 s[0:1], vcc, s[24:25]
	s_and_saveexec_b64 s[2:3], s[0:1]
	s_cbranch_execz .LBB1711_278
.LBB1711_304:
	s_add_u32 s0, s22, s26
	s_addc_u32 s1, s23, 0
	s_add_u32 s0, s0, s16
	s_addc_u32 s1, s1, 0
	v_mov_b32_e32 v2, 0
	v_pk_mov_b32 v[0:1], s[0:1], s[0:1] op_sel:[0,1]
	global_store_dwordx2 v2, v[0:1], s[20:21]
	s_endpgm
	.section	.rodata,"a",@progbits
	.p2align	6, 0x0
	.amdhsa_kernel _ZN7rocprim17ROCPRIM_400000_NS6detail17trampoline_kernelINS0_14default_configENS1_25partition_config_selectorILNS1_17partition_subalgoE9EllbEEZZNS1_14partition_implILS5_9ELb0ES3_jPlS8_PNS0_10empty_typeENS0_5tupleIJS8_S9_EEENSB_IJS8_SA_EEENS0_18inequality_wrapperIZN2at6native12_GLOBAL__N_124unique_dim_cuda_templateImEESt5tupleIJNSF_6TensorESK_SK_EERKSK_lbbbEUlllE0_EEPmJS9_EEE10hipError_tPvRmT3_T4_T5_T6_T7_T9_mT8_P12ihipStream_tbDpT10_ENKUlT_T0_E_clISt17integral_constantIbLb1EES19_IbLb0EEEEDaS15_S16_EUlS15_E_NS1_11comp_targetILNS1_3genE4ELNS1_11target_archE910ELNS1_3gpuE8ELNS1_3repE0EEENS1_30default_config_static_selectorELNS0_4arch9wavefront6targetE1EEEvT1_
		.amdhsa_group_segment_fixed_size 4236
		.amdhsa_private_segment_fixed_size 0
		.amdhsa_kernarg_size 120
		.amdhsa_user_sgpr_count 6
		.amdhsa_user_sgpr_private_segment_buffer 1
		.amdhsa_user_sgpr_dispatch_ptr 0
		.amdhsa_user_sgpr_queue_ptr 0
		.amdhsa_user_sgpr_kernarg_segment_ptr 1
		.amdhsa_user_sgpr_dispatch_id 0
		.amdhsa_user_sgpr_flat_scratch_init 0
		.amdhsa_user_sgpr_kernarg_preload_length 0
		.amdhsa_user_sgpr_kernarg_preload_offset 0
		.amdhsa_user_sgpr_private_segment_size 0
		.amdhsa_uses_dynamic_stack 0
		.amdhsa_system_sgpr_private_segment_wavefront_offset 0
		.amdhsa_system_sgpr_workgroup_id_x 1
		.amdhsa_system_sgpr_workgroup_id_y 0
		.amdhsa_system_sgpr_workgroup_id_z 0
		.amdhsa_system_sgpr_workgroup_info 0
		.amdhsa_system_vgpr_workitem_id 0
		.amdhsa_next_free_vgpr 50
		.amdhsa_next_free_sgpr 46
		.amdhsa_accum_offset 52
		.amdhsa_reserve_vcc 1
		.amdhsa_reserve_flat_scratch 0
		.amdhsa_float_round_mode_32 0
		.amdhsa_float_round_mode_16_64 0
		.amdhsa_float_denorm_mode_32 3
		.amdhsa_float_denorm_mode_16_64 3
		.amdhsa_dx10_clamp 1
		.amdhsa_ieee_mode 1
		.amdhsa_fp16_overflow 0
		.amdhsa_tg_split 0
		.amdhsa_exception_fp_ieee_invalid_op 0
		.amdhsa_exception_fp_denorm_src 0
		.amdhsa_exception_fp_ieee_div_zero 0
		.amdhsa_exception_fp_ieee_overflow 0
		.amdhsa_exception_fp_ieee_underflow 0
		.amdhsa_exception_fp_ieee_inexact 0
		.amdhsa_exception_int_div_zero 0
	.end_amdhsa_kernel
	.section	.text._ZN7rocprim17ROCPRIM_400000_NS6detail17trampoline_kernelINS0_14default_configENS1_25partition_config_selectorILNS1_17partition_subalgoE9EllbEEZZNS1_14partition_implILS5_9ELb0ES3_jPlS8_PNS0_10empty_typeENS0_5tupleIJS8_S9_EEENSB_IJS8_SA_EEENS0_18inequality_wrapperIZN2at6native12_GLOBAL__N_124unique_dim_cuda_templateImEESt5tupleIJNSF_6TensorESK_SK_EERKSK_lbbbEUlllE0_EEPmJS9_EEE10hipError_tPvRmT3_T4_T5_T6_T7_T9_mT8_P12ihipStream_tbDpT10_ENKUlT_T0_E_clISt17integral_constantIbLb1EES19_IbLb0EEEEDaS15_S16_EUlS15_E_NS1_11comp_targetILNS1_3genE4ELNS1_11target_archE910ELNS1_3gpuE8ELNS1_3repE0EEENS1_30default_config_static_selectorELNS0_4arch9wavefront6targetE1EEEvT1_,"axG",@progbits,_ZN7rocprim17ROCPRIM_400000_NS6detail17trampoline_kernelINS0_14default_configENS1_25partition_config_selectorILNS1_17partition_subalgoE9EllbEEZZNS1_14partition_implILS5_9ELb0ES3_jPlS8_PNS0_10empty_typeENS0_5tupleIJS8_S9_EEENSB_IJS8_SA_EEENS0_18inequality_wrapperIZN2at6native12_GLOBAL__N_124unique_dim_cuda_templateImEESt5tupleIJNSF_6TensorESK_SK_EERKSK_lbbbEUlllE0_EEPmJS9_EEE10hipError_tPvRmT3_T4_T5_T6_T7_T9_mT8_P12ihipStream_tbDpT10_ENKUlT_T0_E_clISt17integral_constantIbLb1EES19_IbLb0EEEEDaS15_S16_EUlS15_E_NS1_11comp_targetILNS1_3genE4ELNS1_11target_archE910ELNS1_3gpuE8ELNS1_3repE0EEENS1_30default_config_static_selectorELNS0_4arch9wavefront6targetE1EEEvT1_,comdat
.Lfunc_end1711:
	.size	_ZN7rocprim17ROCPRIM_400000_NS6detail17trampoline_kernelINS0_14default_configENS1_25partition_config_selectorILNS1_17partition_subalgoE9EllbEEZZNS1_14partition_implILS5_9ELb0ES3_jPlS8_PNS0_10empty_typeENS0_5tupleIJS8_S9_EEENSB_IJS8_SA_EEENS0_18inequality_wrapperIZN2at6native12_GLOBAL__N_124unique_dim_cuda_templateImEESt5tupleIJNSF_6TensorESK_SK_EERKSK_lbbbEUlllE0_EEPmJS9_EEE10hipError_tPvRmT3_T4_T5_T6_T7_T9_mT8_P12ihipStream_tbDpT10_ENKUlT_T0_E_clISt17integral_constantIbLb1EES19_IbLb0EEEEDaS15_S16_EUlS15_E_NS1_11comp_targetILNS1_3genE4ELNS1_11target_archE910ELNS1_3gpuE8ELNS1_3repE0EEENS1_30default_config_static_selectorELNS0_4arch9wavefront6targetE1EEEvT1_, .Lfunc_end1711-_ZN7rocprim17ROCPRIM_400000_NS6detail17trampoline_kernelINS0_14default_configENS1_25partition_config_selectorILNS1_17partition_subalgoE9EllbEEZZNS1_14partition_implILS5_9ELb0ES3_jPlS8_PNS0_10empty_typeENS0_5tupleIJS8_S9_EEENSB_IJS8_SA_EEENS0_18inequality_wrapperIZN2at6native12_GLOBAL__N_124unique_dim_cuda_templateImEESt5tupleIJNSF_6TensorESK_SK_EERKSK_lbbbEUlllE0_EEPmJS9_EEE10hipError_tPvRmT3_T4_T5_T6_T7_T9_mT8_P12ihipStream_tbDpT10_ENKUlT_T0_E_clISt17integral_constantIbLb1EES19_IbLb0EEEEDaS15_S16_EUlS15_E_NS1_11comp_targetILNS1_3genE4ELNS1_11target_archE910ELNS1_3gpuE8ELNS1_3repE0EEENS1_30default_config_static_selectorELNS0_4arch9wavefront6targetE1EEEvT1_
                                        ; -- End function
	.section	.AMDGPU.csdata,"",@progbits
; Kernel info:
; codeLenInByte = 10876
; NumSgprs: 50
; NumVgprs: 50
; NumAgprs: 0
; TotalNumVgprs: 50
; ScratchSize: 0
; MemoryBound: 1
; FloatMode: 240
; IeeeMode: 1
; LDSByteSize: 4236 bytes/workgroup (compile time only)
; SGPRBlocks: 6
; VGPRBlocks: 6
; NumSGPRsForWavesPerEU: 50
; NumVGPRsForWavesPerEU: 50
; AccumOffset: 52
; Occupancy: 8
; WaveLimiterHint : 1
; COMPUTE_PGM_RSRC2:SCRATCH_EN: 0
; COMPUTE_PGM_RSRC2:USER_SGPR: 6
; COMPUTE_PGM_RSRC2:TRAP_HANDLER: 0
; COMPUTE_PGM_RSRC2:TGID_X_EN: 1
; COMPUTE_PGM_RSRC2:TGID_Y_EN: 0
; COMPUTE_PGM_RSRC2:TGID_Z_EN: 0
; COMPUTE_PGM_RSRC2:TIDIG_COMP_CNT: 0
; COMPUTE_PGM_RSRC3_GFX90A:ACCUM_OFFSET: 12
; COMPUTE_PGM_RSRC3_GFX90A:TG_SPLIT: 0
	.section	.text._ZN7rocprim17ROCPRIM_400000_NS6detail17trampoline_kernelINS0_14default_configENS1_25partition_config_selectorILNS1_17partition_subalgoE9EllbEEZZNS1_14partition_implILS5_9ELb0ES3_jPlS8_PNS0_10empty_typeENS0_5tupleIJS8_S9_EEENSB_IJS8_SA_EEENS0_18inequality_wrapperIZN2at6native12_GLOBAL__N_124unique_dim_cuda_templateImEESt5tupleIJNSF_6TensorESK_SK_EERKSK_lbbbEUlllE0_EEPmJS9_EEE10hipError_tPvRmT3_T4_T5_T6_T7_T9_mT8_P12ihipStream_tbDpT10_ENKUlT_T0_E_clISt17integral_constantIbLb1EES19_IbLb0EEEEDaS15_S16_EUlS15_E_NS1_11comp_targetILNS1_3genE3ELNS1_11target_archE908ELNS1_3gpuE7ELNS1_3repE0EEENS1_30default_config_static_selectorELNS0_4arch9wavefront6targetE1EEEvT1_,"axG",@progbits,_ZN7rocprim17ROCPRIM_400000_NS6detail17trampoline_kernelINS0_14default_configENS1_25partition_config_selectorILNS1_17partition_subalgoE9EllbEEZZNS1_14partition_implILS5_9ELb0ES3_jPlS8_PNS0_10empty_typeENS0_5tupleIJS8_S9_EEENSB_IJS8_SA_EEENS0_18inequality_wrapperIZN2at6native12_GLOBAL__N_124unique_dim_cuda_templateImEESt5tupleIJNSF_6TensorESK_SK_EERKSK_lbbbEUlllE0_EEPmJS9_EEE10hipError_tPvRmT3_T4_T5_T6_T7_T9_mT8_P12ihipStream_tbDpT10_ENKUlT_T0_E_clISt17integral_constantIbLb1EES19_IbLb0EEEEDaS15_S16_EUlS15_E_NS1_11comp_targetILNS1_3genE3ELNS1_11target_archE908ELNS1_3gpuE7ELNS1_3repE0EEENS1_30default_config_static_selectorELNS0_4arch9wavefront6targetE1EEEvT1_,comdat
	.globl	_ZN7rocprim17ROCPRIM_400000_NS6detail17trampoline_kernelINS0_14default_configENS1_25partition_config_selectorILNS1_17partition_subalgoE9EllbEEZZNS1_14partition_implILS5_9ELb0ES3_jPlS8_PNS0_10empty_typeENS0_5tupleIJS8_S9_EEENSB_IJS8_SA_EEENS0_18inequality_wrapperIZN2at6native12_GLOBAL__N_124unique_dim_cuda_templateImEESt5tupleIJNSF_6TensorESK_SK_EERKSK_lbbbEUlllE0_EEPmJS9_EEE10hipError_tPvRmT3_T4_T5_T6_T7_T9_mT8_P12ihipStream_tbDpT10_ENKUlT_T0_E_clISt17integral_constantIbLb1EES19_IbLb0EEEEDaS15_S16_EUlS15_E_NS1_11comp_targetILNS1_3genE3ELNS1_11target_archE908ELNS1_3gpuE7ELNS1_3repE0EEENS1_30default_config_static_selectorELNS0_4arch9wavefront6targetE1EEEvT1_ ; -- Begin function _ZN7rocprim17ROCPRIM_400000_NS6detail17trampoline_kernelINS0_14default_configENS1_25partition_config_selectorILNS1_17partition_subalgoE9EllbEEZZNS1_14partition_implILS5_9ELb0ES3_jPlS8_PNS0_10empty_typeENS0_5tupleIJS8_S9_EEENSB_IJS8_SA_EEENS0_18inequality_wrapperIZN2at6native12_GLOBAL__N_124unique_dim_cuda_templateImEESt5tupleIJNSF_6TensorESK_SK_EERKSK_lbbbEUlllE0_EEPmJS9_EEE10hipError_tPvRmT3_T4_T5_T6_T7_T9_mT8_P12ihipStream_tbDpT10_ENKUlT_T0_E_clISt17integral_constantIbLb1EES19_IbLb0EEEEDaS15_S16_EUlS15_E_NS1_11comp_targetILNS1_3genE3ELNS1_11target_archE908ELNS1_3gpuE7ELNS1_3repE0EEENS1_30default_config_static_selectorELNS0_4arch9wavefront6targetE1EEEvT1_
	.p2align	8
	.type	_ZN7rocprim17ROCPRIM_400000_NS6detail17trampoline_kernelINS0_14default_configENS1_25partition_config_selectorILNS1_17partition_subalgoE9EllbEEZZNS1_14partition_implILS5_9ELb0ES3_jPlS8_PNS0_10empty_typeENS0_5tupleIJS8_S9_EEENSB_IJS8_SA_EEENS0_18inequality_wrapperIZN2at6native12_GLOBAL__N_124unique_dim_cuda_templateImEESt5tupleIJNSF_6TensorESK_SK_EERKSK_lbbbEUlllE0_EEPmJS9_EEE10hipError_tPvRmT3_T4_T5_T6_T7_T9_mT8_P12ihipStream_tbDpT10_ENKUlT_T0_E_clISt17integral_constantIbLb1EES19_IbLb0EEEEDaS15_S16_EUlS15_E_NS1_11comp_targetILNS1_3genE3ELNS1_11target_archE908ELNS1_3gpuE7ELNS1_3repE0EEENS1_30default_config_static_selectorELNS0_4arch9wavefront6targetE1EEEvT1_,@function
_ZN7rocprim17ROCPRIM_400000_NS6detail17trampoline_kernelINS0_14default_configENS1_25partition_config_selectorILNS1_17partition_subalgoE9EllbEEZZNS1_14partition_implILS5_9ELb0ES3_jPlS8_PNS0_10empty_typeENS0_5tupleIJS8_S9_EEENSB_IJS8_SA_EEENS0_18inequality_wrapperIZN2at6native12_GLOBAL__N_124unique_dim_cuda_templateImEESt5tupleIJNSF_6TensorESK_SK_EERKSK_lbbbEUlllE0_EEPmJS9_EEE10hipError_tPvRmT3_T4_T5_T6_T7_T9_mT8_P12ihipStream_tbDpT10_ENKUlT_T0_E_clISt17integral_constantIbLb1EES19_IbLb0EEEEDaS15_S16_EUlS15_E_NS1_11comp_targetILNS1_3genE3ELNS1_11target_archE908ELNS1_3gpuE7ELNS1_3repE0EEENS1_30default_config_static_selectorELNS0_4arch9wavefront6targetE1EEEvT1_: ; @_ZN7rocprim17ROCPRIM_400000_NS6detail17trampoline_kernelINS0_14default_configENS1_25partition_config_selectorILNS1_17partition_subalgoE9EllbEEZZNS1_14partition_implILS5_9ELb0ES3_jPlS8_PNS0_10empty_typeENS0_5tupleIJS8_S9_EEENSB_IJS8_SA_EEENS0_18inequality_wrapperIZN2at6native12_GLOBAL__N_124unique_dim_cuda_templateImEESt5tupleIJNSF_6TensorESK_SK_EERKSK_lbbbEUlllE0_EEPmJS9_EEE10hipError_tPvRmT3_T4_T5_T6_T7_T9_mT8_P12ihipStream_tbDpT10_ENKUlT_T0_E_clISt17integral_constantIbLb1EES19_IbLb0EEEEDaS15_S16_EUlS15_E_NS1_11comp_targetILNS1_3genE3ELNS1_11target_archE908ELNS1_3gpuE7ELNS1_3repE0EEENS1_30default_config_static_selectorELNS0_4arch9wavefront6targetE1EEEvT1_
; %bb.0:
	.section	.rodata,"a",@progbits
	.p2align	6, 0x0
	.amdhsa_kernel _ZN7rocprim17ROCPRIM_400000_NS6detail17trampoline_kernelINS0_14default_configENS1_25partition_config_selectorILNS1_17partition_subalgoE9EllbEEZZNS1_14partition_implILS5_9ELb0ES3_jPlS8_PNS0_10empty_typeENS0_5tupleIJS8_S9_EEENSB_IJS8_SA_EEENS0_18inequality_wrapperIZN2at6native12_GLOBAL__N_124unique_dim_cuda_templateImEESt5tupleIJNSF_6TensorESK_SK_EERKSK_lbbbEUlllE0_EEPmJS9_EEE10hipError_tPvRmT3_T4_T5_T6_T7_T9_mT8_P12ihipStream_tbDpT10_ENKUlT_T0_E_clISt17integral_constantIbLb1EES19_IbLb0EEEEDaS15_S16_EUlS15_E_NS1_11comp_targetILNS1_3genE3ELNS1_11target_archE908ELNS1_3gpuE7ELNS1_3repE0EEENS1_30default_config_static_selectorELNS0_4arch9wavefront6targetE1EEEvT1_
		.amdhsa_group_segment_fixed_size 0
		.amdhsa_private_segment_fixed_size 0
		.amdhsa_kernarg_size 120
		.amdhsa_user_sgpr_count 6
		.amdhsa_user_sgpr_private_segment_buffer 1
		.amdhsa_user_sgpr_dispatch_ptr 0
		.amdhsa_user_sgpr_queue_ptr 0
		.amdhsa_user_sgpr_kernarg_segment_ptr 1
		.amdhsa_user_sgpr_dispatch_id 0
		.amdhsa_user_sgpr_flat_scratch_init 0
		.amdhsa_user_sgpr_kernarg_preload_length 0
		.amdhsa_user_sgpr_kernarg_preload_offset 0
		.amdhsa_user_sgpr_private_segment_size 0
		.amdhsa_uses_dynamic_stack 0
		.amdhsa_system_sgpr_private_segment_wavefront_offset 0
		.amdhsa_system_sgpr_workgroup_id_x 1
		.amdhsa_system_sgpr_workgroup_id_y 0
		.amdhsa_system_sgpr_workgroup_id_z 0
		.amdhsa_system_sgpr_workgroup_info 0
		.amdhsa_system_vgpr_workitem_id 0
		.amdhsa_next_free_vgpr 1
		.amdhsa_next_free_sgpr 0
		.amdhsa_accum_offset 4
		.amdhsa_reserve_vcc 0
		.amdhsa_reserve_flat_scratch 0
		.amdhsa_float_round_mode_32 0
		.amdhsa_float_round_mode_16_64 0
		.amdhsa_float_denorm_mode_32 3
		.amdhsa_float_denorm_mode_16_64 3
		.amdhsa_dx10_clamp 1
		.amdhsa_ieee_mode 1
		.amdhsa_fp16_overflow 0
		.amdhsa_tg_split 0
		.amdhsa_exception_fp_ieee_invalid_op 0
		.amdhsa_exception_fp_denorm_src 0
		.amdhsa_exception_fp_ieee_div_zero 0
		.amdhsa_exception_fp_ieee_overflow 0
		.amdhsa_exception_fp_ieee_underflow 0
		.amdhsa_exception_fp_ieee_inexact 0
		.amdhsa_exception_int_div_zero 0
	.end_amdhsa_kernel
	.section	.text._ZN7rocprim17ROCPRIM_400000_NS6detail17trampoline_kernelINS0_14default_configENS1_25partition_config_selectorILNS1_17partition_subalgoE9EllbEEZZNS1_14partition_implILS5_9ELb0ES3_jPlS8_PNS0_10empty_typeENS0_5tupleIJS8_S9_EEENSB_IJS8_SA_EEENS0_18inequality_wrapperIZN2at6native12_GLOBAL__N_124unique_dim_cuda_templateImEESt5tupleIJNSF_6TensorESK_SK_EERKSK_lbbbEUlllE0_EEPmJS9_EEE10hipError_tPvRmT3_T4_T5_T6_T7_T9_mT8_P12ihipStream_tbDpT10_ENKUlT_T0_E_clISt17integral_constantIbLb1EES19_IbLb0EEEEDaS15_S16_EUlS15_E_NS1_11comp_targetILNS1_3genE3ELNS1_11target_archE908ELNS1_3gpuE7ELNS1_3repE0EEENS1_30default_config_static_selectorELNS0_4arch9wavefront6targetE1EEEvT1_,"axG",@progbits,_ZN7rocprim17ROCPRIM_400000_NS6detail17trampoline_kernelINS0_14default_configENS1_25partition_config_selectorILNS1_17partition_subalgoE9EllbEEZZNS1_14partition_implILS5_9ELb0ES3_jPlS8_PNS0_10empty_typeENS0_5tupleIJS8_S9_EEENSB_IJS8_SA_EEENS0_18inequality_wrapperIZN2at6native12_GLOBAL__N_124unique_dim_cuda_templateImEESt5tupleIJNSF_6TensorESK_SK_EERKSK_lbbbEUlllE0_EEPmJS9_EEE10hipError_tPvRmT3_T4_T5_T6_T7_T9_mT8_P12ihipStream_tbDpT10_ENKUlT_T0_E_clISt17integral_constantIbLb1EES19_IbLb0EEEEDaS15_S16_EUlS15_E_NS1_11comp_targetILNS1_3genE3ELNS1_11target_archE908ELNS1_3gpuE7ELNS1_3repE0EEENS1_30default_config_static_selectorELNS0_4arch9wavefront6targetE1EEEvT1_,comdat
.Lfunc_end1712:
	.size	_ZN7rocprim17ROCPRIM_400000_NS6detail17trampoline_kernelINS0_14default_configENS1_25partition_config_selectorILNS1_17partition_subalgoE9EllbEEZZNS1_14partition_implILS5_9ELb0ES3_jPlS8_PNS0_10empty_typeENS0_5tupleIJS8_S9_EEENSB_IJS8_SA_EEENS0_18inequality_wrapperIZN2at6native12_GLOBAL__N_124unique_dim_cuda_templateImEESt5tupleIJNSF_6TensorESK_SK_EERKSK_lbbbEUlllE0_EEPmJS9_EEE10hipError_tPvRmT3_T4_T5_T6_T7_T9_mT8_P12ihipStream_tbDpT10_ENKUlT_T0_E_clISt17integral_constantIbLb1EES19_IbLb0EEEEDaS15_S16_EUlS15_E_NS1_11comp_targetILNS1_3genE3ELNS1_11target_archE908ELNS1_3gpuE7ELNS1_3repE0EEENS1_30default_config_static_selectorELNS0_4arch9wavefront6targetE1EEEvT1_, .Lfunc_end1712-_ZN7rocprim17ROCPRIM_400000_NS6detail17trampoline_kernelINS0_14default_configENS1_25partition_config_selectorILNS1_17partition_subalgoE9EllbEEZZNS1_14partition_implILS5_9ELb0ES3_jPlS8_PNS0_10empty_typeENS0_5tupleIJS8_S9_EEENSB_IJS8_SA_EEENS0_18inequality_wrapperIZN2at6native12_GLOBAL__N_124unique_dim_cuda_templateImEESt5tupleIJNSF_6TensorESK_SK_EERKSK_lbbbEUlllE0_EEPmJS9_EEE10hipError_tPvRmT3_T4_T5_T6_T7_T9_mT8_P12ihipStream_tbDpT10_ENKUlT_T0_E_clISt17integral_constantIbLb1EES19_IbLb0EEEEDaS15_S16_EUlS15_E_NS1_11comp_targetILNS1_3genE3ELNS1_11target_archE908ELNS1_3gpuE7ELNS1_3repE0EEENS1_30default_config_static_selectorELNS0_4arch9wavefront6targetE1EEEvT1_
                                        ; -- End function
	.section	.AMDGPU.csdata,"",@progbits
; Kernel info:
; codeLenInByte = 0
; NumSgprs: 4
; NumVgprs: 0
; NumAgprs: 0
; TotalNumVgprs: 0
; ScratchSize: 0
; MemoryBound: 0
; FloatMode: 240
; IeeeMode: 1
; LDSByteSize: 0 bytes/workgroup (compile time only)
; SGPRBlocks: 0
; VGPRBlocks: 0
; NumSGPRsForWavesPerEU: 4
; NumVGPRsForWavesPerEU: 1
; AccumOffset: 4
; Occupancy: 8
; WaveLimiterHint : 0
; COMPUTE_PGM_RSRC2:SCRATCH_EN: 0
; COMPUTE_PGM_RSRC2:USER_SGPR: 6
; COMPUTE_PGM_RSRC2:TRAP_HANDLER: 0
; COMPUTE_PGM_RSRC2:TGID_X_EN: 1
; COMPUTE_PGM_RSRC2:TGID_Y_EN: 0
; COMPUTE_PGM_RSRC2:TGID_Z_EN: 0
; COMPUTE_PGM_RSRC2:TIDIG_COMP_CNT: 0
; COMPUTE_PGM_RSRC3_GFX90A:ACCUM_OFFSET: 0
; COMPUTE_PGM_RSRC3_GFX90A:TG_SPLIT: 0
	.section	.text._ZN7rocprim17ROCPRIM_400000_NS6detail17trampoline_kernelINS0_14default_configENS1_25partition_config_selectorILNS1_17partition_subalgoE9EllbEEZZNS1_14partition_implILS5_9ELb0ES3_jPlS8_PNS0_10empty_typeENS0_5tupleIJS8_S9_EEENSB_IJS8_SA_EEENS0_18inequality_wrapperIZN2at6native12_GLOBAL__N_124unique_dim_cuda_templateImEESt5tupleIJNSF_6TensorESK_SK_EERKSK_lbbbEUlllE0_EEPmJS9_EEE10hipError_tPvRmT3_T4_T5_T6_T7_T9_mT8_P12ihipStream_tbDpT10_ENKUlT_T0_E_clISt17integral_constantIbLb1EES19_IbLb0EEEEDaS15_S16_EUlS15_E_NS1_11comp_targetILNS1_3genE2ELNS1_11target_archE906ELNS1_3gpuE6ELNS1_3repE0EEENS1_30default_config_static_selectorELNS0_4arch9wavefront6targetE1EEEvT1_,"axG",@progbits,_ZN7rocprim17ROCPRIM_400000_NS6detail17trampoline_kernelINS0_14default_configENS1_25partition_config_selectorILNS1_17partition_subalgoE9EllbEEZZNS1_14partition_implILS5_9ELb0ES3_jPlS8_PNS0_10empty_typeENS0_5tupleIJS8_S9_EEENSB_IJS8_SA_EEENS0_18inequality_wrapperIZN2at6native12_GLOBAL__N_124unique_dim_cuda_templateImEESt5tupleIJNSF_6TensorESK_SK_EERKSK_lbbbEUlllE0_EEPmJS9_EEE10hipError_tPvRmT3_T4_T5_T6_T7_T9_mT8_P12ihipStream_tbDpT10_ENKUlT_T0_E_clISt17integral_constantIbLb1EES19_IbLb0EEEEDaS15_S16_EUlS15_E_NS1_11comp_targetILNS1_3genE2ELNS1_11target_archE906ELNS1_3gpuE6ELNS1_3repE0EEENS1_30default_config_static_selectorELNS0_4arch9wavefront6targetE1EEEvT1_,comdat
	.globl	_ZN7rocprim17ROCPRIM_400000_NS6detail17trampoline_kernelINS0_14default_configENS1_25partition_config_selectorILNS1_17partition_subalgoE9EllbEEZZNS1_14partition_implILS5_9ELb0ES3_jPlS8_PNS0_10empty_typeENS0_5tupleIJS8_S9_EEENSB_IJS8_SA_EEENS0_18inequality_wrapperIZN2at6native12_GLOBAL__N_124unique_dim_cuda_templateImEESt5tupleIJNSF_6TensorESK_SK_EERKSK_lbbbEUlllE0_EEPmJS9_EEE10hipError_tPvRmT3_T4_T5_T6_T7_T9_mT8_P12ihipStream_tbDpT10_ENKUlT_T0_E_clISt17integral_constantIbLb1EES19_IbLb0EEEEDaS15_S16_EUlS15_E_NS1_11comp_targetILNS1_3genE2ELNS1_11target_archE906ELNS1_3gpuE6ELNS1_3repE0EEENS1_30default_config_static_selectorELNS0_4arch9wavefront6targetE1EEEvT1_ ; -- Begin function _ZN7rocprim17ROCPRIM_400000_NS6detail17trampoline_kernelINS0_14default_configENS1_25partition_config_selectorILNS1_17partition_subalgoE9EllbEEZZNS1_14partition_implILS5_9ELb0ES3_jPlS8_PNS0_10empty_typeENS0_5tupleIJS8_S9_EEENSB_IJS8_SA_EEENS0_18inequality_wrapperIZN2at6native12_GLOBAL__N_124unique_dim_cuda_templateImEESt5tupleIJNSF_6TensorESK_SK_EERKSK_lbbbEUlllE0_EEPmJS9_EEE10hipError_tPvRmT3_T4_T5_T6_T7_T9_mT8_P12ihipStream_tbDpT10_ENKUlT_T0_E_clISt17integral_constantIbLb1EES19_IbLb0EEEEDaS15_S16_EUlS15_E_NS1_11comp_targetILNS1_3genE2ELNS1_11target_archE906ELNS1_3gpuE6ELNS1_3repE0EEENS1_30default_config_static_selectorELNS0_4arch9wavefront6targetE1EEEvT1_
	.p2align	8
	.type	_ZN7rocprim17ROCPRIM_400000_NS6detail17trampoline_kernelINS0_14default_configENS1_25partition_config_selectorILNS1_17partition_subalgoE9EllbEEZZNS1_14partition_implILS5_9ELb0ES3_jPlS8_PNS0_10empty_typeENS0_5tupleIJS8_S9_EEENSB_IJS8_SA_EEENS0_18inequality_wrapperIZN2at6native12_GLOBAL__N_124unique_dim_cuda_templateImEESt5tupleIJNSF_6TensorESK_SK_EERKSK_lbbbEUlllE0_EEPmJS9_EEE10hipError_tPvRmT3_T4_T5_T6_T7_T9_mT8_P12ihipStream_tbDpT10_ENKUlT_T0_E_clISt17integral_constantIbLb1EES19_IbLb0EEEEDaS15_S16_EUlS15_E_NS1_11comp_targetILNS1_3genE2ELNS1_11target_archE906ELNS1_3gpuE6ELNS1_3repE0EEENS1_30default_config_static_selectorELNS0_4arch9wavefront6targetE1EEEvT1_,@function
_ZN7rocprim17ROCPRIM_400000_NS6detail17trampoline_kernelINS0_14default_configENS1_25partition_config_selectorILNS1_17partition_subalgoE9EllbEEZZNS1_14partition_implILS5_9ELb0ES3_jPlS8_PNS0_10empty_typeENS0_5tupleIJS8_S9_EEENSB_IJS8_SA_EEENS0_18inequality_wrapperIZN2at6native12_GLOBAL__N_124unique_dim_cuda_templateImEESt5tupleIJNSF_6TensorESK_SK_EERKSK_lbbbEUlllE0_EEPmJS9_EEE10hipError_tPvRmT3_T4_T5_T6_T7_T9_mT8_P12ihipStream_tbDpT10_ENKUlT_T0_E_clISt17integral_constantIbLb1EES19_IbLb0EEEEDaS15_S16_EUlS15_E_NS1_11comp_targetILNS1_3genE2ELNS1_11target_archE906ELNS1_3gpuE6ELNS1_3repE0EEENS1_30default_config_static_selectorELNS0_4arch9wavefront6targetE1EEEvT1_: ; @_ZN7rocprim17ROCPRIM_400000_NS6detail17trampoline_kernelINS0_14default_configENS1_25partition_config_selectorILNS1_17partition_subalgoE9EllbEEZZNS1_14partition_implILS5_9ELb0ES3_jPlS8_PNS0_10empty_typeENS0_5tupleIJS8_S9_EEENSB_IJS8_SA_EEENS0_18inequality_wrapperIZN2at6native12_GLOBAL__N_124unique_dim_cuda_templateImEESt5tupleIJNSF_6TensorESK_SK_EERKSK_lbbbEUlllE0_EEPmJS9_EEE10hipError_tPvRmT3_T4_T5_T6_T7_T9_mT8_P12ihipStream_tbDpT10_ENKUlT_T0_E_clISt17integral_constantIbLb1EES19_IbLb0EEEEDaS15_S16_EUlS15_E_NS1_11comp_targetILNS1_3genE2ELNS1_11target_archE906ELNS1_3gpuE6ELNS1_3repE0EEENS1_30default_config_static_selectorELNS0_4arch9wavefront6targetE1EEEvT1_
; %bb.0:
	.section	.rodata,"a",@progbits
	.p2align	6, 0x0
	.amdhsa_kernel _ZN7rocprim17ROCPRIM_400000_NS6detail17trampoline_kernelINS0_14default_configENS1_25partition_config_selectorILNS1_17partition_subalgoE9EllbEEZZNS1_14partition_implILS5_9ELb0ES3_jPlS8_PNS0_10empty_typeENS0_5tupleIJS8_S9_EEENSB_IJS8_SA_EEENS0_18inequality_wrapperIZN2at6native12_GLOBAL__N_124unique_dim_cuda_templateImEESt5tupleIJNSF_6TensorESK_SK_EERKSK_lbbbEUlllE0_EEPmJS9_EEE10hipError_tPvRmT3_T4_T5_T6_T7_T9_mT8_P12ihipStream_tbDpT10_ENKUlT_T0_E_clISt17integral_constantIbLb1EES19_IbLb0EEEEDaS15_S16_EUlS15_E_NS1_11comp_targetILNS1_3genE2ELNS1_11target_archE906ELNS1_3gpuE6ELNS1_3repE0EEENS1_30default_config_static_selectorELNS0_4arch9wavefront6targetE1EEEvT1_
		.amdhsa_group_segment_fixed_size 0
		.amdhsa_private_segment_fixed_size 0
		.amdhsa_kernarg_size 120
		.amdhsa_user_sgpr_count 6
		.amdhsa_user_sgpr_private_segment_buffer 1
		.amdhsa_user_sgpr_dispatch_ptr 0
		.amdhsa_user_sgpr_queue_ptr 0
		.amdhsa_user_sgpr_kernarg_segment_ptr 1
		.amdhsa_user_sgpr_dispatch_id 0
		.amdhsa_user_sgpr_flat_scratch_init 0
		.amdhsa_user_sgpr_kernarg_preload_length 0
		.amdhsa_user_sgpr_kernarg_preload_offset 0
		.amdhsa_user_sgpr_private_segment_size 0
		.amdhsa_uses_dynamic_stack 0
		.amdhsa_system_sgpr_private_segment_wavefront_offset 0
		.amdhsa_system_sgpr_workgroup_id_x 1
		.amdhsa_system_sgpr_workgroup_id_y 0
		.amdhsa_system_sgpr_workgroup_id_z 0
		.amdhsa_system_sgpr_workgroup_info 0
		.amdhsa_system_vgpr_workitem_id 0
		.amdhsa_next_free_vgpr 1
		.amdhsa_next_free_sgpr 0
		.amdhsa_accum_offset 4
		.amdhsa_reserve_vcc 0
		.amdhsa_reserve_flat_scratch 0
		.amdhsa_float_round_mode_32 0
		.amdhsa_float_round_mode_16_64 0
		.amdhsa_float_denorm_mode_32 3
		.amdhsa_float_denorm_mode_16_64 3
		.amdhsa_dx10_clamp 1
		.amdhsa_ieee_mode 1
		.amdhsa_fp16_overflow 0
		.amdhsa_tg_split 0
		.amdhsa_exception_fp_ieee_invalid_op 0
		.amdhsa_exception_fp_denorm_src 0
		.amdhsa_exception_fp_ieee_div_zero 0
		.amdhsa_exception_fp_ieee_overflow 0
		.amdhsa_exception_fp_ieee_underflow 0
		.amdhsa_exception_fp_ieee_inexact 0
		.amdhsa_exception_int_div_zero 0
	.end_amdhsa_kernel
	.section	.text._ZN7rocprim17ROCPRIM_400000_NS6detail17trampoline_kernelINS0_14default_configENS1_25partition_config_selectorILNS1_17partition_subalgoE9EllbEEZZNS1_14partition_implILS5_9ELb0ES3_jPlS8_PNS0_10empty_typeENS0_5tupleIJS8_S9_EEENSB_IJS8_SA_EEENS0_18inequality_wrapperIZN2at6native12_GLOBAL__N_124unique_dim_cuda_templateImEESt5tupleIJNSF_6TensorESK_SK_EERKSK_lbbbEUlllE0_EEPmJS9_EEE10hipError_tPvRmT3_T4_T5_T6_T7_T9_mT8_P12ihipStream_tbDpT10_ENKUlT_T0_E_clISt17integral_constantIbLb1EES19_IbLb0EEEEDaS15_S16_EUlS15_E_NS1_11comp_targetILNS1_3genE2ELNS1_11target_archE906ELNS1_3gpuE6ELNS1_3repE0EEENS1_30default_config_static_selectorELNS0_4arch9wavefront6targetE1EEEvT1_,"axG",@progbits,_ZN7rocprim17ROCPRIM_400000_NS6detail17trampoline_kernelINS0_14default_configENS1_25partition_config_selectorILNS1_17partition_subalgoE9EllbEEZZNS1_14partition_implILS5_9ELb0ES3_jPlS8_PNS0_10empty_typeENS0_5tupleIJS8_S9_EEENSB_IJS8_SA_EEENS0_18inequality_wrapperIZN2at6native12_GLOBAL__N_124unique_dim_cuda_templateImEESt5tupleIJNSF_6TensorESK_SK_EERKSK_lbbbEUlllE0_EEPmJS9_EEE10hipError_tPvRmT3_T4_T5_T6_T7_T9_mT8_P12ihipStream_tbDpT10_ENKUlT_T0_E_clISt17integral_constantIbLb1EES19_IbLb0EEEEDaS15_S16_EUlS15_E_NS1_11comp_targetILNS1_3genE2ELNS1_11target_archE906ELNS1_3gpuE6ELNS1_3repE0EEENS1_30default_config_static_selectorELNS0_4arch9wavefront6targetE1EEEvT1_,comdat
.Lfunc_end1713:
	.size	_ZN7rocprim17ROCPRIM_400000_NS6detail17trampoline_kernelINS0_14default_configENS1_25partition_config_selectorILNS1_17partition_subalgoE9EllbEEZZNS1_14partition_implILS5_9ELb0ES3_jPlS8_PNS0_10empty_typeENS0_5tupleIJS8_S9_EEENSB_IJS8_SA_EEENS0_18inequality_wrapperIZN2at6native12_GLOBAL__N_124unique_dim_cuda_templateImEESt5tupleIJNSF_6TensorESK_SK_EERKSK_lbbbEUlllE0_EEPmJS9_EEE10hipError_tPvRmT3_T4_T5_T6_T7_T9_mT8_P12ihipStream_tbDpT10_ENKUlT_T0_E_clISt17integral_constantIbLb1EES19_IbLb0EEEEDaS15_S16_EUlS15_E_NS1_11comp_targetILNS1_3genE2ELNS1_11target_archE906ELNS1_3gpuE6ELNS1_3repE0EEENS1_30default_config_static_selectorELNS0_4arch9wavefront6targetE1EEEvT1_, .Lfunc_end1713-_ZN7rocprim17ROCPRIM_400000_NS6detail17trampoline_kernelINS0_14default_configENS1_25partition_config_selectorILNS1_17partition_subalgoE9EllbEEZZNS1_14partition_implILS5_9ELb0ES3_jPlS8_PNS0_10empty_typeENS0_5tupleIJS8_S9_EEENSB_IJS8_SA_EEENS0_18inequality_wrapperIZN2at6native12_GLOBAL__N_124unique_dim_cuda_templateImEESt5tupleIJNSF_6TensorESK_SK_EERKSK_lbbbEUlllE0_EEPmJS9_EEE10hipError_tPvRmT3_T4_T5_T6_T7_T9_mT8_P12ihipStream_tbDpT10_ENKUlT_T0_E_clISt17integral_constantIbLb1EES19_IbLb0EEEEDaS15_S16_EUlS15_E_NS1_11comp_targetILNS1_3genE2ELNS1_11target_archE906ELNS1_3gpuE6ELNS1_3repE0EEENS1_30default_config_static_selectorELNS0_4arch9wavefront6targetE1EEEvT1_
                                        ; -- End function
	.section	.AMDGPU.csdata,"",@progbits
; Kernel info:
; codeLenInByte = 0
; NumSgprs: 4
; NumVgprs: 0
; NumAgprs: 0
; TotalNumVgprs: 0
; ScratchSize: 0
; MemoryBound: 0
; FloatMode: 240
; IeeeMode: 1
; LDSByteSize: 0 bytes/workgroup (compile time only)
; SGPRBlocks: 0
; VGPRBlocks: 0
; NumSGPRsForWavesPerEU: 4
; NumVGPRsForWavesPerEU: 1
; AccumOffset: 4
; Occupancy: 8
; WaveLimiterHint : 0
; COMPUTE_PGM_RSRC2:SCRATCH_EN: 0
; COMPUTE_PGM_RSRC2:USER_SGPR: 6
; COMPUTE_PGM_RSRC2:TRAP_HANDLER: 0
; COMPUTE_PGM_RSRC2:TGID_X_EN: 1
; COMPUTE_PGM_RSRC2:TGID_Y_EN: 0
; COMPUTE_PGM_RSRC2:TGID_Z_EN: 0
; COMPUTE_PGM_RSRC2:TIDIG_COMP_CNT: 0
; COMPUTE_PGM_RSRC3_GFX90A:ACCUM_OFFSET: 0
; COMPUTE_PGM_RSRC3_GFX90A:TG_SPLIT: 0
	.section	.text._ZN7rocprim17ROCPRIM_400000_NS6detail17trampoline_kernelINS0_14default_configENS1_25partition_config_selectorILNS1_17partition_subalgoE9EllbEEZZNS1_14partition_implILS5_9ELb0ES3_jPlS8_PNS0_10empty_typeENS0_5tupleIJS8_S9_EEENSB_IJS8_SA_EEENS0_18inequality_wrapperIZN2at6native12_GLOBAL__N_124unique_dim_cuda_templateImEESt5tupleIJNSF_6TensorESK_SK_EERKSK_lbbbEUlllE0_EEPmJS9_EEE10hipError_tPvRmT3_T4_T5_T6_T7_T9_mT8_P12ihipStream_tbDpT10_ENKUlT_T0_E_clISt17integral_constantIbLb1EES19_IbLb0EEEEDaS15_S16_EUlS15_E_NS1_11comp_targetILNS1_3genE10ELNS1_11target_archE1200ELNS1_3gpuE4ELNS1_3repE0EEENS1_30default_config_static_selectorELNS0_4arch9wavefront6targetE1EEEvT1_,"axG",@progbits,_ZN7rocprim17ROCPRIM_400000_NS6detail17trampoline_kernelINS0_14default_configENS1_25partition_config_selectorILNS1_17partition_subalgoE9EllbEEZZNS1_14partition_implILS5_9ELb0ES3_jPlS8_PNS0_10empty_typeENS0_5tupleIJS8_S9_EEENSB_IJS8_SA_EEENS0_18inequality_wrapperIZN2at6native12_GLOBAL__N_124unique_dim_cuda_templateImEESt5tupleIJNSF_6TensorESK_SK_EERKSK_lbbbEUlllE0_EEPmJS9_EEE10hipError_tPvRmT3_T4_T5_T6_T7_T9_mT8_P12ihipStream_tbDpT10_ENKUlT_T0_E_clISt17integral_constantIbLb1EES19_IbLb0EEEEDaS15_S16_EUlS15_E_NS1_11comp_targetILNS1_3genE10ELNS1_11target_archE1200ELNS1_3gpuE4ELNS1_3repE0EEENS1_30default_config_static_selectorELNS0_4arch9wavefront6targetE1EEEvT1_,comdat
	.globl	_ZN7rocprim17ROCPRIM_400000_NS6detail17trampoline_kernelINS0_14default_configENS1_25partition_config_selectorILNS1_17partition_subalgoE9EllbEEZZNS1_14partition_implILS5_9ELb0ES3_jPlS8_PNS0_10empty_typeENS0_5tupleIJS8_S9_EEENSB_IJS8_SA_EEENS0_18inequality_wrapperIZN2at6native12_GLOBAL__N_124unique_dim_cuda_templateImEESt5tupleIJNSF_6TensorESK_SK_EERKSK_lbbbEUlllE0_EEPmJS9_EEE10hipError_tPvRmT3_T4_T5_T6_T7_T9_mT8_P12ihipStream_tbDpT10_ENKUlT_T0_E_clISt17integral_constantIbLb1EES19_IbLb0EEEEDaS15_S16_EUlS15_E_NS1_11comp_targetILNS1_3genE10ELNS1_11target_archE1200ELNS1_3gpuE4ELNS1_3repE0EEENS1_30default_config_static_selectorELNS0_4arch9wavefront6targetE1EEEvT1_ ; -- Begin function _ZN7rocprim17ROCPRIM_400000_NS6detail17trampoline_kernelINS0_14default_configENS1_25partition_config_selectorILNS1_17partition_subalgoE9EllbEEZZNS1_14partition_implILS5_9ELb0ES3_jPlS8_PNS0_10empty_typeENS0_5tupleIJS8_S9_EEENSB_IJS8_SA_EEENS0_18inequality_wrapperIZN2at6native12_GLOBAL__N_124unique_dim_cuda_templateImEESt5tupleIJNSF_6TensorESK_SK_EERKSK_lbbbEUlllE0_EEPmJS9_EEE10hipError_tPvRmT3_T4_T5_T6_T7_T9_mT8_P12ihipStream_tbDpT10_ENKUlT_T0_E_clISt17integral_constantIbLb1EES19_IbLb0EEEEDaS15_S16_EUlS15_E_NS1_11comp_targetILNS1_3genE10ELNS1_11target_archE1200ELNS1_3gpuE4ELNS1_3repE0EEENS1_30default_config_static_selectorELNS0_4arch9wavefront6targetE1EEEvT1_
	.p2align	8
	.type	_ZN7rocprim17ROCPRIM_400000_NS6detail17trampoline_kernelINS0_14default_configENS1_25partition_config_selectorILNS1_17partition_subalgoE9EllbEEZZNS1_14partition_implILS5_9ELb0ES3_jPlS8_PNS0_10empty_typeENS0_5tupleIJS8_S9_EEENSB_IJS8_SA_EEENS0_18inequality_wrapperIZN2at6native12_GLOBAL__N_124unique_dim_cuda_templateImEESt5tupleIJNSF_6TensorESK_SK_EERKSK_lbbbEUlllE0_EEPmJS9_EEE10hipError_tPvRmT3_T4_T5_T6_T7_T9_mT8_P12ihipStream_tbDpT10_ENKUlT_T0_E_clISt17integral_constantIbLb1EES19_IbLb0EEEEDaS15_S16_EUlS15_E_NS1_11comp_targetILNS1_3genE10ELNS1_11target_archE1200ELNS1_3gpuE4ELNS1_3repE0EEENS1_30default_config_static_selectorELNS0_4arch9wavefront6targetE1EEEvT1_,@function
_ZN7rocprim17ROCPRIM_400000_NS6detail17trampoline_kernelINS0_14default_configENS1_25partition_config_selectorILNS1_17partition_subalgoE9EllbEEZZNS1_14partition_implILS5_9ELb0ES3_jPlS8_PNS0_10empty_typeENS0_5tupleIJS8_S9_EEENSB_IJS8_SA_EEENS0_18inequality_wrapperIZN2at6native12_GLOBAL__N_124unique_dim_cuda_templateImEESt5tupleIJNSF_6TensorESK_SK_EERKSK_lbbbEUlllE0_EEPmJS9_EEE10hipError_tPvRmT3_T4_T5_T6_T7_T9_mT8_P12ihipStream_tbDpT10_ENKUlT_T0_E_clISt17integral_constantIbLb1EES19_IbLb0EEEEDaS15_S16_EUlS15_E_NS1_11comp_targetILNS1_3genE10ELNS1_11target_archE1200ELNS1_3gpuE4ELNS1_3repE0EEENS1_30default_config_static_selectorELNS0_4arch9wavefront6targetE1EEEvT1_: ; @_ZN7rocprim17ROCPRIM_400000_NS6detail17trampoline_kernelINS0_14default_configENS1_25partition_config_selectorILNS1_17partition_subalgoE9EllbEEZZNS1_14partition_implILS5_9ELb0ES3_jPlS8_PNS0_10empty_typeENS0_5tupleIJS8_S9_EEENSB_IJS8_SA_EEENS0_18inequality_wrapperIZN2at6native12_GLOBAL__N_124unique_dim_cuda_templateImEESt5tupleIJNSF_6TensorESK_SK_EERKSK_lbbbEUlllE0_EEPmJS9_EEE10hipError_tPvRmT3_T4_T5_T6_T7_T9_mT8_P12ihipStream_tbDpT10_ENKUlT_T0_E_clISt17integral_constantIbLb1EES19_IbLb0EEEEDaS15_S16_EUlS15_E_NS1_11comp_targetILNS1_3genE10ELNS1_11target_archE1200ELNS1_3gpuE4ELNS1_3repE0EEENS1_30default_config_static_selectorELNS0_4arch9wavefront6targetE1EEEvT1_
; %bb.0:
	.section	.rodata,"a",@progbits
	.p2align	6, 0x0
	.amdhsa_kernel _ZN7rocprim17ROCPRIM_400000_NS6detail17trampoline_kernelINS0_14default_configENS1_25partition_config_selectorILNS1_17partition_subalgoE9EllbEEZZNS1_14partition_implILS5_9ELb0ES3_jPlS8_PNS0_10empty_typeENS0_5tupleIJS8_S9_EEENSB_IJS8_SA_EEENS0_18inequality_wrapperIZN2at6native12_GLOBAL__N_124unique_dim_cuda_templateImEESt5tupleIJNSF_6TensorESK_SK_EERKSK_lbbbEUlllE0_EEPmJS9_EEE10hipError_tPvRmT3_T4_T5_T6_T7_T9_mT8_P12ihipStream_tbDpT10_ENKUlT_T0_E_clISt17integral_constantIbLb1EES19_IbLb0EEEEDaS15_S16_EUlS15_E_NS1_11comp_targetILNS1_3genE10ELNS1_11target_archE1200ELNS1_3gpuE4ELNS1_3repE0EEENS1_30default_config_static_selectorELNS0_4arch9wavefront6targetE1EEEvT1_
		.amdhsa_group_segment_fixed_size 0
		.amdhsa_private_segment_fixed_size 0
		.amdhsa_kernarg_size 120
		.amdhsa_user_sgpr_count 6
		.amdhsa_user_sgpr_private_segment_buffer 1
		.amdhsa_user_sgpr_dispatch_ptr 0
		.amdhsa_user_sgpr_queue_ptr 0
		.amdhsa_user_sgpr_kernarg_segment_ptr 1
		.amdhsa_user_sgpr_dispatch_id 0
		.amdhsa_user_sgpr_flat_scratch_init 0
		.amdhsa_user_sgpr_kernarg_preload_length 0
		.amdhsa_user_sgpr_kernarg_preload_offset 0
		.amdhsa_user_sgpr_private_segment_size 0
		.amdhsa_uses_dynamic_stack 0
		.amdhsa_system_sgpr_private_segment_wavefront_offset 0
		.amdhsa_system_sgpr_workgroup_id_x 1
		.amdhsa_system_sgpr_workgroup_id_y 0
		.amdhsa_system_sgpr_workgroup_id_z 0
		.amdhsa_system_sgpr_workgroup_info 0
		.amdhsa_system_vgpr_workitem_id 0
		.amdhsa_next_free_vgpr 1
		.amdhsa_next_free_sgpr 0
		.amdhsa_accum_offset 4
		.amdhsa_reserve_vcc 0
		.amdhsa_reserve_flat_scratch 0
		.amdhsa_float_round_mode_32 0
		.amdhsa_float_round_mode_16_64 0
		.amdhsa_float_denorm_mode_32 3
		.amdhsa_float_denorm_mode_16_64 3
		.amdhsa_dx10_clamp 1
		.amdhsa_ieee_mode 1
		.amdhsa_fp16_overflow 0
		.amdhsa_tg_split 0
		.amdhsa_exception_fp_ieee_invalid_op 0
		.amdhsa_exception_fp_denorm_src 0
		.amdhsa_exception_fp_ieee_div_zero 0
		.amdhsa_exception_fp_ieee_overflow 0
		.amdhsa_exception_fp_ieee_underflow 0
		.amdhsa_exception_fp_ieee_inexact 0
		.amdhsa_exception_int_div_zero 0
	.end_amdhsa_kernel
	.section	.text._ZN7rocprim17ROCPRIM_400000_NS6detail17trampoline_kernelINS0_14default_configENS1_25partition_config_selectorILNS1_17partition_subalgoE9EllbEEZZNS1_14partition_implILS5_9ELb0ES3_jPlS8_PNS0_10empty_typeENS0_5tupleIJS8_S9_EEENSB_IJS8_SA_EEENS0_18inequality_wrapperIZN2at6native12_GLOBAL__N_124unique_dim_cuda_templateImEESt5tupleIJNSF_6TensorESK_SK_EERKSK_lbbbEUlllE0_EEPmJS9_EEE10hipError_tPvRmT3_T4_T5_T6_T7_T9_mT8_P12ihipStream_tbDpT10_ENKUlT_T0_E_clISt17integral_constantIbLb1EES19_IbLb0EEEEDaS15_S16_EUlS15_E_NS1_11comp_targetILNS1_3genE10ELNS1_11target_archE1200ELNS1_3gpuE4ELNS1_3repE0EEENS1_30default_config_static_selectorELNS0_4arch9wavefront6targetE1EEEvT1_,"axG",@progbits,_ZN7rocprim17ROCPRIM_400000_NS6detail17trampoline_kernelINS0_14default_configENS1_25partition_config_selectorILNS1_17partition_subalgoE9EllbEEZZNS1_14partition_implILS5_9ELb0ES3_jPlS8_PNS0_10empty_typeENS0_5tupleIJS8_S9_EEENSB_IJS8_SA_EEENS0_18inequality_wrapperIZN2at6native12_GLOBAL__N_124unique_dim_cuda_templateImEESt5tupleIJNSF_6TensorESK_SK_EERKSK_lbbbEUlllE0_EEPmJS9_EEE10hipError_tPvRmT3_T4_T5_T6_T7_T9_mT8_P12ihipStream_tbDpT10_ENKUlT_T0_E_clISt17integral_constantIbLb1EES19_IbLb0EEEEDaS15_S16_EUlS15_E_NS1_11comp_targetILNS1_3genE10ELNS1_11target_archE1200ELNS1_3gpuE4ELNS1_3repE0EEENS1_30default_config_static_selectorELNS0_4arch9wavefront6targetE1EEEvT1_,comdat
.Lfunc_end1714:
	.size	_ZN7rocprim17ROCPRIM_400000_NS6detail17trampoline_kernelINS0_14default_configENS1_25partition_config_selectorILNS1_17partition_subalgoE9EllbEEZZNS1_14partition_implILS5_9ELb0ES3_jPlS8_PNS0_10empty_typeENS0_5tupleIJS8_S9_EEENSB_IJS8_SA_EEENS0_18inequality_wrapperIZN2at6native12_GLOBAL__N_124unique_dim_cuda_templateImEESt5tupleIJNSF_6TensorESK_SK_EERKSK_lbbbEUlllE0_EEPmJS9_EEE10hipError_tPvRmT3_T4_T5_T6_T7_T9_mT8_P12ihipStream_tbDpT10_ENKUlT_T0_E_clISt17integral_constantIbLb1EES19_IbLb0EEEEDaS15_S16_EUlS15_E_NS1_11comp_targetILNS1_3genE10ELNS1_11target_archE1200ELNS1_3gpuE4ELNS1_3repE0EEENS1_30default_config_static_selectorELNS0_4arch9wavefront6targetE1EEEvT1_, .Lfunc_end1714-_ZN7rocprim17ROCPRIM_400000_NS6detail17trampoline_kernelINS0_14default_configENS1_25partition_config_selectorILNS1_17partition_subalgoE9EllbEEZZNS1_14partition_implILS5_9ELb0ES3_jPlS8_PNS0_10empty_typeENS0_5tupleIJS8_S9_EEENSB_IJS8_SA_EEENS0_18inequality_wrapperIZN2at6native12_GLOBAL__N_124unique_dim_cuda_templateImEESt5tupleIJNSF_6TensorESK_SK_EERKSK_lbbbEUlllE0_EEPmJS9_EEE10hipError_tPvRmT3_T4_T5_T6_T7_T9_mT8_P12ihipStream_tbDpT10_ENKUlT_T0_E_clISt17integral_constantIbLb1EES19_IbLb0EEEEDaS15_S16_EUlS15_E_NS1_11comp_targetILNS1_3genE10ELNS1_11target_archE1200ELNS1_3gpuE4ELNS1_3repE0EEENS1_30default_config_static_selectorELNS0_4arch9wavefront6targetE1EEEvT1_
                                        ; -- End function
	.section	.AMDGPU.csdata,"",@progbits
; Kernel info:
; codeLenInByte = 0
; NumSgprs: 4
; NumVgprs: 0
; NumAgprs: 0
; TotalNumVgprs: 0
; ScratchSize: 0
; MemoryBound: 0
; FloatMode: 240
; IeeeMode: 1
; LDSByteSize: 0 bytes/workgroup (compile time only)
; SGPRBlocks: 0
; VGPRBlocks: 0
; NumSGPRsForWavesPerEU: 4
; NumVGPRsForWavesPerEU: 1
; AccumOffset: 4
; Occupancy: 8
; WaveLimiterHint : 0
; COMPUTE_PGM_RSRC2:SCRATCH_EN: 0
; COMPUTE_PGM_RSRC2:USER_SGPR: 6
; COMPUTE_PGM_RSRC2:TRAP_HANDLER: 0
; COMPUTE_PGM_RSRC2:TGID_X_EN: 1
; COMPUTE_PGM_RSRC2:TGID_Y_EN: 0
; COMPUTE_PGM_RSRC2:TGID_Z_EN: 0
; COMPUTE_PGM_RSRC2:TIDIG_COMP_CNT: 0
; COMPUTE_PGM_RSRC3_GFX90A:ACCUM_OFFSET: 0
; COMPUTE_PGM_RSRC3_GFX90A:TG_SPLIT: 0
	.section	.text._ZN7rocprim17ROCPRIM_400000_NS6detail17trampoline_kernelINS0_14default_configENS1_25partition_config_selectorILNS1_17partition_subalgoE9EllbEEZZNS1_14partition_implILS5_9ELb0ES3_jPlS8_PNS0_10empty_typeENS0_5tupleIJS8_S9_EEENSB_IJS8_SA_EEENS0_18inequality_wrapperIZN2at6native12_GLOBAL__N_124unique_dim_cuda_templateImEESt5tupleIJNSF_6TensorESK_SK_EERKSK_lbbbEUlllE0_EEPmJS9_EEE10hipError_tPvRmT3_T4_T5_T6_T7_T9_mT8_P12ihipStream_tbDpT10_ENKUlT_T0_E_clISt17integral_constantIbLb1EES19_IbLb0EEEEDaS15_S16_EUlS15_E_NS1_11comp_targetILNS1_3genE9ELNS1_11target_archE1100ELNS1_3gpuE3ELNS1_3repE0EEENS1_30default_config_static_selectorELNS0_4arch9wavefront6targetE1EEEvT1_,"axG",@progbits,_ZN7rocprim17ROCPRIM_400000_NS6detail17trampoline_kernelINS0_14default_configENS1_25partition_config_selectorILNS1_17partition_subalgoE9EllbEEZZNS1_14partition_implILS5_9ELb0ES3_jPlS8_PNS0_10empty_typeENS0_5tupleIJS8_S9_EEENSB_IJS8_SA_EEENS0_18inequality_wrapperIZN2at6native12_GLOBAL__N_124unique_dim_cuda_templateImEESt5tupleIJNSF_6TensorESK_SK_EERKSK_lbbbEUlllE0_EEPmJS9_EEE10hipError_tPvRmT3_T4_T5_T6_T7_T9_mT8_P12ihipStream_tbDpT10_ENKUlT_T0_E_clISt17integral_constantIbLb1EES19_IbLb0EEEEDaS15_S16_EUlS15_E_NS1_11comp_targetILNS1_3genE9ELNS1_11target_archE1100ELNS1_3gpuE3ELNS1_3repE0EEENS1_30default_config_static_selectorELNS0_4arch9wavefront6targetE1EEEvT1_,comdat
	.globl	_ZN7rocprim17ROCPRIM_400000_NS6detail17trampoline_kernelINS0_14default_configENS1_25partition_config_selectorILNS1_17partition_subalgoE9EllbEEZZNS1_14partition_implILS5_9ELb0ES3_jPlS8_PNS0_10empty_typeENS0_5tupleIJS8_S9_EEENSB_IJS8_SA_EEENS0_18inequality_wrapperIZN2at6native12_GLOBAL__N_124unique_dim_cuda_templateImEESt5tupleIJNSF_6TensorESK_SK_EERKSK_lbbbEUlllE0_EEPmJS9_EEE10hipError_tPvRmT3_T4_T5_T6_T7_T9_mT8_P12ihipStream_tbDpT10_ENKUlT_T0_E_clISt17integral_constantIbLb1EES19_IbLb0EEEEDaS15_S16_EUlS15_E_NS1_11comp_targetILNS1_3genE9ELNS1_11target_archE1100ELNS1_3gpuE3ELNS1_3repE0EEENS1_30default_config_static_selectorELNS0_4arch9wavefront6targetE1EEEvT1_ ; -- Begin function _ZN7rocprim17ROCPRIM_400000_NS6detail17trampoline_kernelINS0_14default_configENS1_25partition_config_selectorILNS1_17partition_subalgoE9EllbEEZZNS1_14partition_implILS5_9ELb0ES3_jPlS8_PNS0_10empty_typeENS0_5tupleIJS8_S9_EEENSB_IJS8_SA_EEENS0_18inequality_wrapperIZN2at6native12_GLOBAL__N_124unique_dim_cuda_templateImEESt5tupleIJNSF_6TensorESK_SK_EERKSK_lbbbEUlllE0_EEPmJS9_EEE10hipError_tPvRmT3_T4_T5_T6_T7_T9_mT8_P12ihipStream_tbDpT10_ENKUlT_T0_E_clISt17integral_constantIbLb1EES19_IbLb0EEEEDaS15_S16_EUlS15_E_NS1_11comp_targetILNS1_3genE9ELNS1_11target_archE1100ELNS1_3gpuE3ELNS1_3repE0EEENS1_30default_config_static_selectorELNS0_4arch9wavefront6targetE1EEEvT1_
	.p2align	8
	.type	_ZN7rocprim17ROCPRIM_400000_NS6detail17trampoline_kernelINS0_14default_configENS1_25partition_config_selectorILNS1_17partition_subalgoE9EllbEEZZNS1_14partition_implILS5_9ELb0ES3_jPlS8_PNS0_10empty_typeENS0_5tupleIJS8_S9_EEENSB_IJS8_SA_EEENS0_18inequality_wrapperIZN2at6native12_GLOBAL__N_124unique_dim_cuda_templateImEESt5tupleIJNSF_6TensorESK_SK_EERKSK_lbbbEUlllE0_EEPmJS9_EEE10hipError_tPvRmT3_T4_T5_T6_T7_T9_mT8_P12ihipStream_tbDpT10_ENKUlT_T0_E_clISt17integral_constantIbLb1EES19_IbLb0EEEEDaS15_S16_EUlS15_E_NS1_11comp_targetILNS1_3genE9ELNS1_11target_archE1100ELNS1_3gpuE3ELNS1_3repE0EEENS1_30default_config_static_selectorELNS0_4arch9wavefront6targetE1EEEvT1_,@function
_ZN7rocprim17ROCPRIM_400000_NS6detail17trampoline_kernelINS0_14default_configENS1_25partition_config_selectorILNS1_17partition_subalgoE9EllbEEZZNS1_14partition_implILS5_9ELb0ES3_jPlS8_PNS0_10empty_typeENS0_5tupleIJS8_S9_EEENSB_IJS8_SA_EEENS0_18inequality_wrapperIZN2at6native12_GLOBAL__N_124unique_dim_cuda_templateImEESt5tupleIJNSF_6TensorESK_SK_EERKSK_lbbbEUlllE0_EEPmJS9_EEE10hipError_tPvRmT3_T4_T5_T6_T7_T9_mT8_P12ihipStream_tbDpT10_ENKUlT_T0_E_clISt17integral_constantIbLb1EES19_IbLb0EEEEDaS15_S16_EUlS15_E_NS1_11comp_targetILNS1_3genE9ELNS1_11target_archE1100ELNS1_3gpuE3ELNS1_3repE0EEENS1_30default_config_static_selectorELNS0_4arch9wavefront6targetE1EEEvT1_: ; @_ZN7rocprim17ROCPRIM_400000_NS6detail17trampoline_kernelINS0_14default_configENS1_25partition_config_selectorILNS1_17partition_subalgoE9EllbEEZZNS1_14partition_implILS5_9ELb0ES3_jPlS8_PNS0_10empty_typeENS0_5tupleIJS8_S9_EEENSB_IJS8_SA_EEENS0_18inequality_wrapperIZN2at6native12_GLOBAL__N_124unique_dim_cuda_templateImEESt5tupleIJNSF_6TensorESK_SK_EERKSK_lbbbEUlllE0_EEPmJS9_EEE10hipError_tPvRmT3_T4_T5_T6_T7_T9_mT8_P12ihipStream_tbDpT10_ENKUlT_T0_E_clISt17integral_constantIbLb1EES19_IbLb0EEEEDaS15_S16_EUlS15_E_NS1_11comp_targetILNS1_3genE9ELNS1_11target_archE1100ELNS1_3gpuE3ELNS1_3repE0EEENS1_30default_config_static_selectorELNS0_4arch9wavefront6targetE1EEEvT1_
; %bb.0:
	.section	.rodata,"a",@progbits
	.p2align	6, 0x0
	.amdhsa_kernel _ZN7rocprim17ROCPRIM_400000_NS6detail17trampoline_kernelINS0_14default_configENS1_25partition_config_selectorILNS1_17partition_subalgoE9EllbEEZZNS1_14partition_implILS5_9ELb0ES3_jPlS8_PNS0_10empty_typeENS0_5tupleIJS8_S9_EEENSB_IJS8_SA_EEENS0_18inequality_wrapperIZN2at6native12_GLOBAL__N_124unique_dim_cuda_templateImEESt5tupleIJNSF_6TensorESK_SK_EERKSK_lbbbEUlllE0_EEPmJS9_EEE10hipError_tPvRmT3_T4_T5_T6_T7_T9_mT8_P12ihipStream_tbDpT10_ENKUlT_T0_E_clISt17integral_constantIbLb1EES19_IbLb0EEEEDaS15_S16_EUlS15_E_NS1_11comp_targetILNS1_3genE9ELNS1_11target_archE1100ELNS1_3gpuE3ELNS1_3repE0EEENS1_30default_config_static_selectorELNS0_4arch9wavefront6targetE1EEEvT1_
		.amdhsa_group_segment_fixed_size 0
		.amdhsa_private_segment_fixed_size 0
		.amdhsa_kernarg_size 120
		.amdhsa_user_sgpr_count 6
		.amdhsa_user_sgpr_private_segment_buffer 1
		.amdhsa_user_sgpr_dispatch_ptr 0
		.amdhsa_user_sgpr_queue_ptr 0
		.amdhsa_user_sgpr_kernarg_segment_ptr 1
		.amdhsa_user_sgpr_dispatch_id 0
		.amdhsa_user_sgpr_flat_scratch_init 0
		.amdhsa_user_sgpr_kernarg_preload_length 0
		.amdhsa_user_sgpr_kernarg_preload_offset 0
		.amdhsa_user_sgpr_private_segment_size 0
		.amdhsa_uses_dynamic_stack 0
		.amdhsa_system_sgpr_private_segment_wavefront_offset 0
		.amdhsa_system_sgpr_workgroup_id_x 1
		.amdhsa_system_sgpr_workgroup_id_y 0
		.amdhsa_system_sgpr_workgroup_id_z 0
		.amdhsa_system_sgpr_workgroup_info 0
		.amdhsa_system_vgpr_workitem_id 0
		.amdhsa_next_free_vgpr 1
		.amdhsa_next_free_sgpr 0
		.amdhsa_accum_offset 4
		.amdhsa_reserve_vcc 0
		.amdhsa_reserve_flat_scratch 0
		.amdhsa_float_round_mode_32 0
		.amdhsa_float_round_mode_16_64 0
		.amdhsa_float_denorm_mode_32 3
		.amdhsa_float_denorm_mode_16_64 3
		.amdhsa_dx10_clamp 1
		.amdhsa_ieee_mode 1
		.amdhsa_fp16_overflow 0
		.amdhsa_tg_split 0
		.amdhsa_exception_fp_ieee_invalid_op 0
		.amdhsa_exception_fp_denorm_src 0
		.amdhsa_exception_fp_ieee_div_zero 0
		.amdhsa_exception_fp_ieee_overflow 0
		.amdhsa_exception_fp_ieee_underflow 0
		.amdhsa_exception_fp_ieee_inexact 0
		.amdhsa_exception_int_div_zero 0
	.end_amdhsa_kernel
	.section	.text._ZN7rocprim17ROCPRIM_400000_NS6detail17trampoline_kernelINS0_14default_configENS1_25partition_config_selectorILNS1_17partition_subalgoE9EllbEEZZNS1_14partition_implILS5_9ELb0ES3_jPlS8_PNS0_10empty_typeENS0_5tupleIJS8_S9_EEENSB_IJS8_SA_EEENS0_18inequality_wrapperIZN2at6native12_GLOBAL__N_124unique_dim_cuda_templateImEESt5tupleIJNSF_6TensorESK_SK_EERKSK_lbbbEUlllE0_EEPmJS9_EEE10hipError_tPvRmT3_T4_T5_T6_T7_T9_mT8_P12ihipStream_tbDpT10_ENKUlT_T0_E_clISt17integral_constantIbLb1EES19_IbLb0EEEEDaS15_S16_EUlS15_E_NS1_11comp_targetILNS1_3genE9ELNS1_11target_archE1100ELNS1_3gpuE3ELNS1_3repE0EEENS1_30default_config_static_selectorELNS0_4arch9wavefront6targetE1EEEvT1_,"axG",@progbits,_ZN7rocprim17ROCPRIM_400000_NS6detail17trampoline_kernelINS0_14default_configENS1_25partition_config_selectorILNS1_17partition_subalgoE9EllbEEZZNS1_14partition_implILS5_9ELb0ES3_jPlS8_PNS0_10empty_typeENS0_5tupleIJS8_S9_EEENSB_IJS8_SA_EEENS0_18inequality_wrapperIZN2at6native12_GLOBAL__N_124unique_dim_cuda_templateImEESt5tupleIJNSF_6TensorESK_SK_EERKSK_lbbbEUlllE0_EEPmJS9_EEE10hipError_tPvRmT3_T4_T5_T6_T7_T9_mT8_P12ihipStream_tbDpT10_ENKUlT_T0_E_clISt17integral_constantIbLb1EES19_IbLb0EEEEDaS15_S16_EUlS15_E_NS1_11comp_targetILNS1_3genE9ELNS1_11target_archE1100ELNS1_3gpuE3ELNS1_3repE0EEENS1_30default_config_static_selectorELNS0_4arch9wavefront6targetE1EEEvT1_,comdat
.Lfunc_end1715:
	.size	_ZN7rocprim17ROCPRIM_400000_NS6detail17trampoline_kernelINS0_14default_configENS1_25partition_config_selectorILNS1_17partition_subalgoE9EllbEEZZNS1_14partition_implILS5_9ELb0ES3_jPlS8_PNS0_10empty_typeENS0_5tupleIJS8_S9_EEENSB_IJS8_SA_EEENS0_18inequality_wrapperIZN2at6native12_GLOBAL__N_124unique_dim_cuda_templateImEESt5tupleIJNSF_6TensorESK_SK_EERKSK_lbbbEUlllE0_EEPmJS9_EEE10hipError_tPvRmT3_T4_T5_T6_T7_T9_mT8_P12ihipStream_tbDpT10_ENKUlT_T0_E_clISt17integral_constantIbLb1EES19_IbLb0EEEEDaS15_S16_EUlS15_E_NS1_11comp_targetILNS1_3genE9ELNS1_11target_archE1100ELNS1_3gpuE3ELNS1_3repE0EEENS1_30default_config_static_selectorELNS0_4arch9wavefront6targetE1EEEvT1_, .Lfunc_end1715-_ZN7rocprim17ROCPRIM_400000_NS6detail17trampoline_kernelINS0_14default_configENS1_25partition_config_selectorILNS1_17partition_subalgoE9EllbEEZZNS1_14partition_implILS5_9ELb0ES3_jPlS8_PNS0_10empty_typeENS0_5tupleIJS8_S9_EEENSB_IJS8_SA_EEENS0_18inequality_wrapperIZN2at6native12_GLOBAL__N_124unique_dim_cuda_templateImEESt5tupleIJNSF_6TensorESK_SK_EERKSK_lbbbEUlllE0_EEPmJS9_EEE10hipError_tPvRmT3_T4_T5_T6_T7_T9_mT8_P12ihipStream_tbDpT10_ENKUlT_T0_E_clISt17integral_constantIbLb1EES19_IbLb0EEEEDaS15_S16_EUlS15_E_NS1_11comp_targetILNS1_3genE9ELNS1_11target_archE1100ELNS1_3gpuE3ELNS1_3repE0EEENS1_30default_config_static_selectorELNS0_4arch9wavefront6targetE1EEEvT1_
                                        ; -- End function
	.section	.AMDGPU.csdata,"",@progbits
; Kernel info:
; codeLenInByte = 0
; NumSgprs: 4
; NumVgprs: 0
; NumAgprs: 0
; TotalNumVgprs: 0
; ScratchSize: 0
; MemoryBound: 0
; FloatMode: 240
; IeeeMode: 1
; LDSByteSize: 0 bytes/workgroup (compile time only)
; SGPRBlocks: 0
; VGPRBlocks: 0
; NumSGPRsForWavesPerEU: 4
; NumVGPRsForWavesPerEU: 1
; AccumOffset: 4
; Occupancy: 8
; WaveLimiterHint : 0
; COMPUTE_PGM_RSRC2:SCRATCH_EN: 0
; COMPUTE_PGM_RSRC2:USER_SGPR: 6
; COMPUTE_PGM_RSRC2:TRAP_HANDLER: 0
; COMPUTE_PGM_RSRC2:TGID_X_EN: 1
; COMPUTE_PGM_RSRC2:TGID_Y_EN: 0
; COMPUTE_PGM_RSRC2:TGID_Z_EN: 0
; COMPUTE_PGM_RSRC2:TIDIG_COMP_CNT: 0
; COMPUTE_PGM_RSRC3_GFX90A:ACCUM_OFFSET: 0
; COMPUTE_PGM_RSRC3_GFX90A:TG_SPLIT: 0
	.section	.text._ZN7rocprim17ROCPRIM_400000_NS6detail17trampoline_kernelINS0_14default_configENS1_25partition_config_selectorILNS1_17partition_subalgoE9EllbEEZZNS1_14partition_implILS5_9ELb0ES3_jPlS8_PNS0_10empty_typeENS0_5tupleIJS8_S9_EEENSB_IJS8_SA_EEENS0_18inequality_wrapperIZN2at6native12_GLOBAL__N_124unique_dim_cuda_templateImEESt5tupleIJNSF_6TensorESK_SK_EERKSK_lbbbEUlllE0_EEPmJS9_EEE10hipError_tPvRmT3_T4_T5_T6_T7_T9_mT8_P12ihipStream_tbDpT10_ENKUlT_T0_E_clISt17integral_constantIbLb1EES19_IbLb0EEEEDaS15_S16_EUlS15_E_NS1_11comp_targetILNS1_3genE8ELNS1_11target_archE1030ELNS1_3gpuE2ELNS1_3repE0EEENS1_30default_config_static_selectorELNS0_4arch9wavefront6targetE1EEEvT1_,"axG",@progbits,_ZN7rocprim17ROCPRIM_400000_NS6detail17trampoline_kernelINS0_14default_configENS1_25partition_config_selectorILNS1_17partition_subalgoE9EllbEEZZNS1_14partition_implILS5_9ELb0ES3_jPlS8_PNS0_10empty_typeENS0_5tupleIJS8_S9_EEENSB_IJS8_SA_EEENS0_18inequality_wrapperIZN2at6native12_GLOBAL__N_124unique_dim_cuda_templateImEESt5tupleIJNSF_6TensorESK_SK_EERKSK_lbbbEUlllE0_EEPmJS9_EEE10hipError_tPvRmT3_T4_T5_T6_T7_T9_mT8_P12ihipStream_tbDpT10_ENKUlT_T0_E_clISt17integral_constantIbLb1EES19_IbLb0EEEEDaS15_S16_EUlS15_E_NS1_11comp_targetILNS1_3genE8ELNS1_11target_archE1030ELNS1_3gpuE2ELNS1_3repE0EEENS1_30default_config_static_selectorELNS0_4arch9wavefront6targetE1EEEvT1_,comdat
	.globl	_ZN7rocprim17ROCPRIM_400000_NS6detail17trampoline_kernelINS0_14default_configENS1_25partition_config_selectorILNS1_17partition_subalgoE9EllbEEZZNS1_14partition_implILS5_9ELb0ES3_jPlS8_PNS0_10empty_typeENS0_5tupleIJS8_S9_EEENSB_IJS8_SA_EEENS0_18inequality_wrapperIZN2at6native12_GLOBAL__N_124unique_dim_cuda_templateImEESt5tupleIJNSF_6TensorESK_SK_EERKSK_lbbbEUlllE0_EEPmJS9_EEE10hipError_tPvRmT3_T4_T5_T6_T7_T9_mT8_P12ihipStream_tbDpT10_ENKUlT_T0_E_clISt17integral_constantIbLb1EES19_IbLb0EEEEDaS15_S16_EUlS15_E_NS1_11comp_targetILNS1_3genE8ELNS1_11target_archE1030ELNS1_3gpuE2ELNS1_3repE0EEENS1_30default_config_static_selectorELNS0_4arch9wavefront6targetE1EEEvT1_ ; -- Begin function _ZN7rocprim17ROCPRIM_400000_NS6detail17trampoline_kernelINS0_14default_configENS1_25partition_config_selectorILNS1_17partition_subalgoE9EllbEEZZNS1_14partition_implILS5_9ELb0ES3_jPlS8_PNS0_10empty_typeENS0_5tupleIJS8_S9_EEENSB_IJS8_SA_EEENS0_18inequality_wrapperIZN2at6native12_GLOBAL__N_124unique_dim_cuda_templateImEESt5tupleIJNSF_6TensorESK_SK_EERKSK_lbbbEUlllE0_EEPmJS9_EEE10hipError_tPvRmT3_T4_T5_T6_T7_T9_mT8_P12ihipStream_tbDpT10_ENKUlT_T0_E_clISt17integral_constantIbLb1EES19_IbLb0EEEEDaS15_S16_EUlS15_E_NS1_11comp_targetILNS1_3genE8ELNS1_11target_archE1030ELNS1_3gpuE2ELNS1_3repE0EEENS1_30default_config_static_selectorELNS0_4arch9wavefront6targetE1EEEvT1_
	.p2align	8
	.type	_ZN7rocprim17ROCPRIM_400000_NS6detail17trampoline_kernelINS0_14default_configENS1_25partition_config_selectorILNS1_17partition_subalgoE9EllbEEZZNS1_14partition_implILS5_9ELb0ES3_jPlS8_PNS0_10empty_typeENS0_5tupleIJS8_S9_EEENSB_IJS8_SA_EEENS0_18inequality_wrapperIZN2at6native12_GLOBAL__N_124unique_dim_cuda_templateImEESt5tupleIJNSF_6TensorESK_SK_EERKSK_lbbbEUlllE0_EEPmJS9_EEE10hipError_tPvRmT3_T4_T5_T6_T7_T9_mT8_P12ihipStream_tbDpT10_ENKUlT_T0_E_clISt17integral_constantIbLb1EES19_IbLb0EEEEDaS15_S16_EUlS15_E_NS1_11comp_targetILNS1_3genE8ELNS1_11target_archE1030ELNS1_3gpuE2ELNS1_3repE0EEENS1_30default_config_static_selectorELNS0_4arch9wavefront6targetE1EEEvT1_,@function
_ZN7rocprim17ROCPRIM_400000_NS6detail17trampoline_kernelINS0_14default_configENS1_25partition_config_selectorILNS1_17partition_subalgoE9EllbEEZZNS1_14partition_implILS5_9ELb0ES3_jPlS8_PNS0_10empty_typeENS0_5tupleIJS8_S9_EEENSB_IJS8_SA_EEENS0_18inequality_wrapperIZN2at6native12_GLOBAL__N_124unique_dim_cuda_templateImEESt5tupleIJNSF_6TensorESK_SK_EERKSK_lbbbEUlllE0_EEPmJS9_EEE10hipError_tPvRmT3_T4_T5_T6_T7_T9_mT8_P12ihipStream_tbDpT10_ENKUlT_T0_E_clISt17integral_constantIbLb1EES19_IbLb0EEEEDaS15_S16_EUlS15_E_NS1_11comp_targetILNS1_3genE8ELNS1_11target_archE1030ELNS1_3gpuE2ELNS1_3repE0EEENS1_30default_config_static_selectorELNS0_4arch9wavefront6targetE1EEEvT1_: ; @_ZN7rocprim17ROCPRIM_400000_NS6detail17trampoline_kernelINS0_14default_configENS1_25partition_config_selectorILNS1_17partition_subalgoE9EllbEEZZNS1_14partition_implILS5_9ELb0ES3_jPlS8_PNS0_10empty_typeENS0_5tupleIJS8_S9_EEENSB_IJS8_SA_EEENS0_18inequality_wrapperIZN2at6native12_GLOBAL__N_124unique_dim_cuda_templateImEESt5tupleIJNSF_6TensorESK_SK_EERKSK_lbbbEUlllE0_EEPmJS9_EEE10hipError_tPvRmT3_T4_T5_T6_T7_T9_mT8_P12ihipStream_tbDpT10_ENKUlT_T0_E_clISt17integral_constantIbLb1EES19_IbLb0EEEEDaS15_S16_EUlS15_E_NS1_11comp_targetILNS1_3genE8ELNS1_11target_archE1030ELNS1_3gpuE2ELNS1_3repE0EEENS1_30default_config_static_selectorELNS0_4arch9wavefront6targetE1EEEvT1_
; %bb.0:
	.section	.rodata,"a",@progbits
	.p2align	6, 0x0
	.amdhsa_kernel _ZN7rocprim17ROCPRIM_400000_NS6detail17trampoline_kernelINS0_14default_configENS1_25partition_config_selectorILNS1_17partition_subalgoE9EllbEEZZNS1_14partition_implILS5_9ELb0ES3_jPlS8_PNS0_10empty_typeENS0_5tupleIJS8_S9_EEENSB_IJS8_SA_EEENS0_18inequality_wrapperIZN2at6native12_GLOBAL__N_124unique_dim_cuda_templateImEESt5tupleIJNSF_6TensorESK_SK_EERKSK_lbbbEUlllE0_EEPmJS9_EEE10hipError_tPvRmT3_T4_T5_T6_T7_T9_mT8_P12ihipStream_tbDpT10_ENKUlT_T0_E_clISt17integral_constantIbLb1EES19_IbLb0EEEEDaS15_S16_EUlS15_E_NS1_11comp_targetILNS1_3genE8ELNS1_11target_archE1030ELNS1_3gpuE2ELNS1_3repE0EEENS1_30default_config_static_selectorELNS0_4arch9wavefront6targetE1EEEvT1_
		.amdhsa_group_segment_fixed_size 0
		.amdhsa_private_segment_fixed_size 0
		.amdhsa_kernarg_size 120
		.amdhsa_user_sgpr_count 6
		.amdhsa_user_sgpr_private_segment_buffer 1
		.amdhsa_user_sgpr_dispatch_ptr 0
		.amdhsa_user_sgpr_queue_ptr 0
		.amdhsa_user_sgpr_kernarg_segment_ptr 1
		.amdhsa_user_sgpr_dispatch_id 0
		.amdhsa_user_sgpr_flat_scratch_init 0
		.amdhsa_user_sgpr_kernarg_preload_length 0
		.amdhsa_user_sgpr_kernarg_preload_offset 0
		.amdhsa_user_sgpr_private_segment_size 0
		.amdhsa_uses_dynamic_stack 0
		.amdhsa_system_sgpr_private_segment_wavefront_offset 0
		.amdhsa_system_sgpr_workgroup_id_x 1
		.amdhsa_system_sgpr_workgroup_id_y 0
		.amdhsa_system_sgpr_workgroup_id_z 0
		.amdhsa_system_sgpr_workgroup_info 0
		.amdhsa_system_vgpr_workitem_id 0
		.amdhsa_next_free_vgpr 1
		.amdhsa_next_free_sgpr 0
		.amdhsa_accum_offset 4
		.amdhsa_reserve_vcc 0
		.amdhsa_reserve_flat_scratch 0
		.amdhsa_float_round_mode_32 0
		.amdhsa_float_round_mode_16_64 0
		.amdhsa_float_denorm_mode_32 3
		.amdhsa_float_denorm_mode_16_64 3
		.amdhsa_dx10_clamp 1
		.amdhsa_ieee_mode 1
		.amdhsa_fp16_overflow 0
		.amdhsa_tg_split 0
		.amdhsa_exception_fp_ieee_invalid_op 0
		.amdhsa_exception_fp_denorm_src 0
		.amdhsa_exception_fp_ieee_div_zero 0
		.amdhsa_exception_fp_ieee_overflow 0
		.amdhsa_exception_fp_ieee_underflow 0
		.amdhsa_exception_fp_ieee_inexact 0
		.amdhsa_exception_int_div_zero 0
	.end_amdhsa_kernel
	.section	.text._ZN7rocprim17ROCPRIM_400000_NS6detail17trampoline_kernelINS0_14default_configENS1_25partition_config_selectorILNS1_17partition_subalgoE9EllbEEZZNS1_14partition_implILS5_9ELb0ES3_jPlS8_PNS0_10empty_typeENS0_5tupleIJS8_S9_EEENSB_IJS8_SA_EEENS0_18inequality_wrapperIZN2at6native12_GLOBAL__N_124unique_dim_cuda_templateImEESt5tupleIJNSF_6TensorESK_SK_EERKSK_lbbbEUlllE0_EEPmJS9_EEE10hipError_tPvRmT3_T4_T5_T6_T7_T9_mT8_P12ihipStream_tbDpT10_ENKUlT_T0_E_clISt17integral_constantIbLb1EES19_IbLb0EEEEDaS15_S16_EUlS15_E_NS1_11comp_targetILNS1_3genE8ELNS1_11target_archE1030ELNS1_3gpuE2ELNS1_3repE0EEENS1_30default_config_static_selectorELNS0_4arch9wavefront6targetE1EEEvT1_,"axG",@progbits,_ZN7rocprim17ROCPRIM_400000_NS6detail17trampoline_kernelINS0_14default_configENS1_25partition_config_selectorILNS1_17partition_subalgoE9EllbEEZZNS1_14partition_implILS5_9ELb0ES3_jPlS8_PNS0_10empty_typeENS0_5tupleIJS8_S9_EEENSB_IJS8_SA_EEENS0_18inequality_wrapperIZN2at6native12_GLOBAL__N_124unique_dim_cuda_templateImEESt5tupleIJNSF_6TensorESK_SK_EERKSK_lbbbEUlllE0_EEPmJS9_EEE10hipError_tPvRmT3_T4_T5_T6_T7_T9_mT8_P12ihipStream_tbDpT10_ENKUlT_T0_E_clISt17integral_constantIbLb1EES19_IbLb0EEEEDaS15_S16_EUlS15_E_NS1_11comp_targetILNS1_3genE8ELNS1_11target_archE1030ELNS1_3gpuE2ELNS1_3repE0EEENS1_30default_config_static_selectorELNS0_4arch9wavefront6targetE1EEEvT1_,comdat
.Lfunc_end1716:
	.size	_ZN7rocprim17ROCPRIM_400000_NS6detail17trampoline_kernelINS0_14default_configENS1_25partition_config_selectorILNS1_17partition_subalgoE9EllbEEZZNS1_14partition_implILS5_9ELb0ES3_jPlS8_PNS0_10empty_typeENS0_5tupleIJS8_S9_EEENSB_IJS8_SA_EEENS0_18inequality_wrapperIZN2at6native12_GLOBAL__N_124unique_dim_cuda_templateImEESt5tupleIJNSF_6TensorESK_SK_EERKSK_lbbbEUlllE0_EEPmJS9_EEE10hipError_tPvRmT3_T4_T5_T6_T7_T9_mT8_P12ihipStream_tbDpT10_ENKUlT_T0_E_clISt17integral_constantIbLb1EES19_IbLb0EEEEDaS15_S16_EUlS15_E_NS1_11comp_targetILNS1_3genE8ELNS1_11target_archE1030ELNS1_3gpuE2ELNS1_3repE0EEENS1_30default_config_static_selectorELNS0_4arch9wavefront6targetE1EEEvT1_, .Lfunc_end1716-_ZN7rocprim17ROCPRIM_400000_NS6detail17trampoline_kernelINS0_14default_configENS1_25partition_config_selectorILNS1_17partition_subalgoE9EllbEEZZNS1_14partition_implILS5_9ELb0ES3_jPlS8_PNS0_10empty_typeENS0_5tupleIJS8_S9_EEENSB_IJS8_SA_EEENS0_18inequality_wrapperIZN2at6native12_GLOBAL__N_124unique_dim_cuda_templateImEESt5tupleIJNSF_6TensorESK_SK_EERKSK_lbbbEUlllE0_EEPmJS9_EEE10hipError_tPvRmT3_T4_T5_T6_T7_T9_mT8_P12ihipStream_tbDpT10_ENKUlT_T0_E_clISt17integral_constantIbLb1EES19_IbLb0EEEEDaS15_S16_EUlS15_E_NS1_11comp_targetILNS1_3genE8ELNS1_11target_archE1030ELNS1_3gpuE2ELNS1_3repE0EEENS1_30default_config_static_selectorELNS0_4arch9wavefront6targetE1EEEvT1_
                                        ; -- End function
	.section	.AMDGPU.csdata,"",@progbits
; Kernel info:
; codeLenInByte = 0
; NumSgprs: 4
; NumVgprs: 0
; NumAgprs: 0
; TotalNumVgprs: 0
; ScratchSize: 0
; MemoryBound: 0
; FloatMode: 240
; IeeeMode: 1
; LDSByteSize: 0 bytes/workgroup (compile time only)
; SGPRBlocks: 0
; VGPRBlocks: 0
; NumSGPRsForWavesPerEU: 4
; NumVGPRsForWavesPerEU: 1
; AccumOffset: 4
; Occupancy: 8
; WaveLimiterHint : 0
; COMPUTE_PGM_RSRC2:SCRATCH_EN: 0
; COMPUTE_PGM_RSRC2:USER_SGPR: 6
; COMPUTE_PGM_RSRC2:TRAP_HANDLER: 0
; COMPUTE_PGM_RSRC2:TGID_X_EN: 1
; COMPUTE_PGM_RSRC2:TGID_Y_EN: 0
; COMPUTE_PGM_RSRC2:TGID_Z_EN: 0
; COMPUTE_PGM_RSRC2:TIDIG_COMP_CNT: 0
; COMPUTE_PGM_RSRC3_GFX90A:ACCUM_OFFSET: 0
; COMPUTE_PGM_RSRC3_GFX90A:TG_SPLIT: 0
	.section	.text._ZN7rocprim17ROCPRIM_400000_NS6detail17trampoline_kernelINS0_14default_configENS1_25partition_config_selectorILNS1_17partition_subalgoE9EllbEEZZNS1_14partition_implILS5_9ELb0ES3_jPlS8_PNS0_10empty_typeENS0_5tupleIJS8_S9_EEENSB_IJS8_SA_EEENS0_18inequality_wrapperIZN2at6native12_GLOBAL__N_124unique_dim_cuda_templateImEESt5tupleIJNSF_6TensorESK_SK_EERKSK_lbbbEUlllE0_EEPmJS9_EEE10hipError_tPvRmT3_T4_T5_T6_T7_T9_mT8_P12ihipStream_tbDpT10_ENKUlT_T0_E_clISt17integral_constantIbLb0EES19_IbLb1EEEEDaS15_S16_EUlS15_E_NS1_11comp_targetILNS1_3genE0ELNS1_11target_archE4294967295ELNS1_3gpuE0ELNS1_3repE0EEENS1_30default_config_static_selectorELNS0_4arch9wavefront6targetE1EEEvT1_,"axG",@progbits,_ZN7rocprim17ROCPRIM_400000_NS6detail17trampoline_kernelINS0_14default_configENS1_25partition_config_selectorILNS1_17partition_subalgoE9EllbEEZZNS1_14partition_implILS5_9ELb0ES3_jPlS8_PNS0_10empty_typeENS0_5tupleIJS8_S9_EEENSB_IJS8_SA_EEENS0_18inequality_wrapperIZN2at6native12_GLOBAL__N_124unique_dim_cuda_templateImEESt5tupleIJNSF_6TensorESK_SK_EERKSK_lbbbEUlllE0_EEPmJS9_EEE10hipError_tPvRmT3_T4_T5_T6_T7_T9_mT8_P12ihipStream_tbDpT10_ENKUlT_T0_E_clISt17integral_constantIbLb0EES19_IbLb1EEEEDaS15_S16_EUlS15_E_NS1_11comp_targetILNS1_3genE0ELNS1_11target_archE4294967295ELNS1_3gpuE0ELNS1_3repE0EEENS1_30default_config_static_selectorELNS0_4arch9wavefront6targetE1EEEvT1_,comdat
	.globl	_ZN7rocprim17ROCPRIM_400000_NS6detail17trampoline_kernelINS0_14default_configENS1_25partition_config_selectorILNS1_17partition_subalgoE9EllbEEZZNS1_14partition_implILS5_9ELb0ES3_jPlS8_PNS0_10empty_typeENS0_5tupleIJS8_S9_EEENSB_IJS8_SA_EEENS0_18inequality_wrapperIZN2at6native12_GLOBAL__N_124unique_dim_cuda_templateImEESt5tupleIJNSF_6TensorESK_SK_EERKSK_lbbbEUlllE0_EEPmJS9_EEE10hipError_tPvRmT3_T4_T5_T6_T7_T9_mT8_P12ihipStream_tbDpT10_ENKUlT_T0_E_clISt17integral_constantIbLb0EES19_IbLb1EEEEDaS15_S16_EUlS15_E_NS1_11comp_targetILNS1_3genE0ELNS1_11target_archE4294967295ELNS1_3gpuE0ELNS1_3repE0EEENS1_30default_config_static_selectorELNS0_4arch9wavefront6targetE1EEEvT1_ ; -- Begin function _ZN7rocprim17ROCPRIM_400000_NS6detail17trampoline_kernelINS0_14default_configENS1_25partition_config_selectorILNS1_17partition_subalgoE9EllbEEZZNS1_14partition_implILS5_9ELb0ES3_jPlS8_PNS0_10empty_typeENS0_5tupleIJS8_S9_EEENSB_IJS8_SA_EEENS0_18inequality_wrapperIZN2at6native12_GLOBAL__N_124unique_dim_cuda_templateImEESt5tupleIJNSF_6TensorESK_SK_EERKSK_lbbbEUlllE0_EEPmJS9_EEE10hipError_tPvRmT3_T4_T5_T6_T7_T9_mT8_P12ihipStream_tbDpT10_ENKUlT_T0_E_clISt17integral_constantIbLb0EES19_IbLb1EEEEDaS15_S16_EUlS15_E_NS1_11comp_targetILNS1_3genE0ELNS1_11target_archE4294967295ELNS1_3gpuE0ELNS1_3repE0EEENS1_30default_config_static_selectorELNS0_4arch9wavefront6targetE1EEEvT1_
	.p2align	8
	.type	_ZN7rocprim17ROCPRIM_400000_NS6detail17trampoline_kernelINS0_14default_configENS1_25partition_config_selectorILNS1_17partition_subalgoE9EllbEEZZNS1_14partition_implILS5_9ELb0ES3_jPlS8_PNS0_10empty_typeENS0_5tupleIJS8_S9_EEENSB_IJS8_SA_EEENS0_18inequality_wrapperIZN2at6native12_GLOBAL__N_124unique_dim_cuda_templateImEESt5tupleIJNSF_6TensorESK_SK_EERKSK_lbbbEUlllE0_EEPmJS9_EEE10hipError_tPvRmT3_T4_T5_T6_T7_T9_mT8_P12ihipStream_tbDpT10_ENKUlT_T0_E_clISt17integral_constantIbLb0EES19_IbLb1EEEEDaS15_S16_EUlS15_E_NS1_11comp_targetILNS1_3genE0ELNS1_11target_archE4294967295ELNS1_3gpuE0ELNS1_3repE0EEENS1_30default_config_static_selectorELNS0_4arch9wavefront6targetE1EEEvT1_,@function
_ZN7rocprim17ROCPRIM_400000_NS6detail17trampoline_kernelINS0_14default_configENS1_25partition_config_selectorILNS1_17partition_subalgoE9EllbEEZZNS1_14partition_implILS5_9ELb0ES3_jPlS8_PNS0_10empty_typeENS0_5tupleIJS8_S9_EEENSB_IJS8_SA_EEENS0_18inequality_wrapperIZN2at6native12_GLOBAL__N_124unique_dim_cuda_templateImEESt5tupleIJNSF_6TensorESK_SK_EERKSK_lbbbEUlllE0_EEPmJS9_EEE10hipError_tPvRmT3_T4_T5_T6_T7_T9_mT8_P12ihipStream_tbDpT10_ENKUlT_T0_E_clISt17integral_constantIbLb0EES19_IbLb1EEEEDaS15_S16_EUlS15_E_NS1_11comp_targetILNS1_3genE0ELNS1_11target_archE4294967295ELNS1_3gpuE0ELNS1_3repE0EEENS1_30default_config_static_selectorELNS0_4arch9wavefront6targetE1EEEvT1_: ; @_ZN7rocprim17ROCPRIM_400000_NS6detail17trampoline_kernelINS0_14default_configENS1_25partition_config_selectorILNS1_17partition_subalgoE9EllbEEZZNS1_14partition_implILS5_9ELb0ES3_jPlS8_PNS0_10empty_typeENS0_5tupleIJS8_S9_EEENSB_IJS8_SA_EEENS0_18inequality_wrapperIZN2at6native12_GLOBAL__N_124unique_dim_cuda_templateImEESt5tupleIJNSF_6TensorESK_SK_EERKSK_lbbbEUlllE0_EEPmJS9_EEE10hipError_tPvRmT3_T4_T5_T6_T7_T9_mT8_P12ihipStream_tbDpT10_ENKUlT_T0_E_clISt17integral_constantIbLb0EES19_IbLb1EEEEDaS15_S16_EUlS15_E_NS1_11comp_targetILNS1_3genE0ELNS1_11target_archE4294967295ELNS1_3gpuE0ELNS1_3repE0EEENS1_30default_config_static_selectorELNS0_4arch9wavefront6targetE1EEEvT1_
; %bb.0:
	.section	.rodata,"a",@progbits
	.p2align	6, 0x0
	.amdhsa_kernel _ZN7rocprim17ROCPRIM_400000_NS6detail17trampoline_kernelINS0_14default_configENS1_25partition_config_selectorILNS1_17partition_subalgoE9EllbEEZZNS1_14partition_implILS5_9ELb0ES3_jPlS8_PNS0_10empty_typeENS0_5tupleIJS8_S9_EEENSB_IJS8_SA_EEENS0_18inequality_wrapperIZN2at6native12_GLOBAL__N_124unique_dim_cuda_templateImEESt5tupleIJNSF_6TensorESK_SK_EERKSK_lbbbEUlllE0_EEPmJS9_EEE10hipError_tPvRmT3_T4_T5_T6_T7_T9_mT8_P12ihipStream_tbDpT10_ENKUlT_T0_E_clISt17integral_constantIbLb0EES19_IbLb1EEEEDaS15_S16_EUlS15_E_NS1_11comp_targetILNS1_3genE0ELNS1_11target_archE4294967295ELNS1_3gpuE0ELNS1_3repE0EEENS1_30default_config_static_selectorELNS0_4arch9wavefront6targetE1EEEvT1_
		.amdhsa_group_segment_fixed_size 0
		.amdhsa_private_segment_fixed_size 0
		.amdhsa_kernarg_size 136
		.amdhsa_user_sgpr_count 6
		.amdhsa_user_sgpr_private_segment_buffer 1
		.amdhsa_user_sgpr_dispatch_ptr 0
		.amdhsa_user_sgpr_queue_ptr 0
		.amdhsa_user_sgpr_kernarg_segment_ptr 1
		.amdhsa_user_sgpr_dispatch_id 0
		.amdhsa_user_sgpr_flat_scratch_init 0
		.amdhsa_user_sgpr_kernarg_preload_length 0
		.amdhsa_user_sgpr_kernarg_preload_offset 0
		.amdhsa_user_sgpr_private_segment_size 0
		.amdhsa_uses_dynamic_stack 0
		.amdhsa_system_sgpr_private_segment_wavefront_offset 0
		.amdhsa_system_sgpr_workgroup_id_x 1
		.amdhsa_system_sgpr_workgroup_id_y 0
		.amdhsa_system_sgpr_workgroup_id_z 0
		.amdhsa_system_sgpr_workgroup_info 0
		.amdhsa_system_vgpr_workitem_id 0
		.amdhsa_next_free_vgpr 1
		.amdhsa_next_free_sgpr 0
		.amdhsa_accum_offset 4
		.amdhsa_reserve_vcc 0
		.amdhsa_reserve_flat_scratch 0
		.amdhsa_float_round_mode_32 0
		.amdhsa_float_round_mode_16_64 0
		.amdhsa_float_denorm_mode_32 3
		.amdhsa_float_denorm_mode_16_64 3
		.amdhsa_dx10_clamp 1
		.amdhsa_ieee_mode 1
		.amdhsa_fp16_overflow 0
		.amdhsa_tg_split 0
		.amdhsa_exception_fp_ieee_invalid_op 0
		.amdhsa_exception_fp_denorm_src 0
		.amdhsa_exception_fp_ieee_div_zero 0
		.amdhsa_exception_fp_ieee_overflow 0
		.amdhsa_exception_fp_ieee_underflow 0
		.amdhsa_exception_fp_ieee_inexact 0
		.amdhsa_exception_int_div_zero 0
	.end_amdhsa_kernel
	.section	.text._ZN7rocprim17ROCPRIM_400000_NS6detail17trampoline_kernelINS0_14default_configENS1_25partition_config_selectorILNS1_17partition_subalgoE9EllbEEZZNS1_14partition_implILS5_9ELb0ES3_jPlS8_PNS0_10empty_typeENS0_5tupleIJS8_S9_EEENSB_IJS8_SA_EEENS0_18inequality_wrapperIZN2at6native12_GLOBAL__N_124unique_dim_cuda_templateImEESt5tupleIJNSF_6TensorESK_SK_EERKSK_lbbbEUlllE0_EEPmJS9_EEE10hipError_tPvRmT3_T4_T5_T6_T7_T9_mT8_P12ihipStream_tbDpT10_ENKUlT_T0_E_clISt17integral_constantIbLb0EES19_IbLb1EEEEDaS15_S16_EUlS15_E_NS1_11comp_targetILNS1_3genE0ELNS1_11target_archE4294967295ELNS1_3gpuE0ELNS1_3repE0EEENS1_30default_config_static_selectorELNS0_4arch9wavefront6targetE1EEEvT1_,"axG",@progbits,_ZN7rocprim17ROCPRIM_400000_NS6detail17trampoline_kernelINS0_14default_configENS1_25partition_config_selectorILNS1_17partition_subalgoE9EllbEEZZNS1_14partition_implILS5_9ELb0ES3_jPlS8_PNS0_10empty_typeENS0_5tupleIJS8_S9_EEENSB_IJS8_SA_EEENS0_18inequality_wrapperIZN2at6native12_GLOBAL__N_124unique_dim_cuda_templateImEESt5tupleIJNSF_6TensorESK_SK_EERKSK_lbbbEUlllE0_EEPmJS9_EEE10hipError_tPvRmT3_T4_T5_T6_T7_T9_mT8_P12ihipStream_tbDpT10_ENKUlT_T0_E_clISt17integral_constantIbLb0EES19_IbLb1EEEEDaS15_S16_EUlS15_E_NS1_11comp_targetILNS1_3genE0ELNS1_11target_archE4294967295ELNS1_3gpuE0ELNS1_3repE0EEENS1_30default_config_static_selectorELNS0_4arch9wavefront6targetE1EEEvT1_,comdat
.Lfunc_end1717:
	.size	_ZN7rocprim17ROCPRIM_400000_NS6detail17trampoline_kernelINS0_14default_configENS1_25partition_config_selectorILNS1_17partition_subalgoE9EllbEEZZNS1_14partition_implILS5_9ELb0ES3_jPlS8_PNS0_10empty_typeENS0_5tupleIJS8_S9_EEENSB_IJS8_SA_EEENS0_18inequality_wrapperIZN2at6native12_GLOBAL__N_124unique_dim_cuda_templateImEESt5tupleIJNSF_6TensorESK_SK_EERKSK_lbbbEUlllE0_EEPmJS9_EEE10hipError_tPvRmT3_T4_T5_T6_T7_T9_mT8_P12ihipStream_tbDpT10_ENKUlT_T0_E_clISt17integral_constantIbLb0EES19_IbLb1EEEEDaS15_S16_EUlS15_E_NS1_11comp_targetILNS1_3genE0ELNS1_11target_archE4294967295ELNS1_3gpuE0ELNS1_3repE0EEENS1_30default_config_static_selectorELNS0_4arch9wavefront6targetE1EEEvT1_, .Lfunc_end1717-_ZN7rocprim17ROCPRIM_400000_NS6detail17trampoline_kernelINS0_14default_configENS1_25partition_config_selectorILNS1_17partition_subalgoE9EllbEEZZNS1_14partition_implILS5_9ELb0ES3_jPlS8_PNS0_10empty_typeENS0_5tupleIJS8_S9_EEENSB_IJS8_SA_EEENS0_18inequality_wrapperIZN2at6native12_GLOBAL__N_124unique_dim_cuda_templateImEESt5tupleIJNSF_6TensorESK_SK_EERKSK_lbbbEUlllE0_EEPmJS9_EEE10hipError_tPvRmT3_T4_T5_T6_T7_T9_mT8_P12ihipStream_tbDpT10_ENKUlT_T0_E_clISt17integral_constantIbLb0EES19_IbLb1EEEEDaS15_S16_EUlS15_E_NS1_11comp_targetILNS1_3genE0ELNS1_11target_archE4294967295ELNS1_3gpuE0ELNS1_3repE0EEENS1_30default_config_static_selectorELNS0_4arch9wavefront6targetE1EEEvT1_
                                        ; -- End function
	.section	.AMDGPU.csdata,"",@progbits
; Kernel info:
; codeLenInByte = 0
; NumSgprs: 4
; NumVgprs: 0
; NumAgprs: 0
; TotalNumVgprs: 0
; ScratchSize: 0
; MemoryBound: 0
; FloatMode: 240
; IeeeMode: 1
; LDSByteSize: 0 bytes/workgroup (compile time only)
; SGPRBlocks: 0
; VGPRBlocks: 0
; NumSGPRsForWavesPerEU: 4
; NumVGPRsForWavesPerEU: 1
; AccumOffset: 4
; Occupancy: 8
; WaveLimiterHint : 0
; COMPUTE_PGM_RSRC2:SCRATCH_EN: 0
; COMPUTE_PGM_RSRC2:USER_SGPR: 6
; COMPUTE_PGM_RSRC2:TRAP_HANDLER: 0
; COMPUTE_PGM_RSRC2:TGID_X_EN: 1
; COMPUTE_PGM_RSRC2:TGID_Y_EN: 0
; COMPUTE_PGM_RSRC2:TGID_Z_EN: 0
; COMPUTE_PGM_RSRC2:TIDIG_COMP_CNT: 0
; COMPUTE_PGM_RSRC3_GFX90A:ACCUM_OFFSET: 0
; COMPUTE_PGM_RSRC3_GFX90A:TG_SPLIT: 0
	.section	.text._ZN7rocprim17ROCPRIM_400000_NS6detail17trampoline_kernelINS0_14default_configENS1_25partition_config_selectorILNS1_17partition_subalgoE9EllbEEZZNS1_14partition_implILS5_9ELb0ES3_jPlS8_PNS0_10empty_typeENS0_5tupleIJS8_S9_EEENSB_IJS8_SA_EEENS0_18inequality_wrapperIZN2at6native12_GLOBAL__N_124unique_dim_cuda_templateImEESt5tupleIJNSF_6TensorESK_SK_EERKSK_lbbbEUlllE0_EEPmJS9_EEE10hipError_tPvRmT3_T4_T5_T6_T7_T9_mT8_P12ihipStream_tbDpT10_ENKUlT_T0_E_clISt17integral_constantIbLb0EES19_IbLb1EEEEDaS15_S16_EUlS15_E_NS1_11comp_targetILNS1_3genE5ELNS1_11target_archE942ELNS1_3gpuE9ELNS1_3repE0EEENS1_30default_config_static_selectorELNS0_4arch9wavefront6targetE1EEEvT1_,"axG",@progbits,_ZN7rocprim17ROCPRIM_400000_NS6detail17trampoline_kernelINS0_14default_configENS1_25partition_config_selectorILNS1_17partition_subalgoE9EllbEEZZNS1_14partition_implILS5_9ELb0ES3_jPlS8_PNS0_10empty_typeENS0_5tupleIJS8_S9_EEENSB_IJS8_SA_EEENS0_18inequality_wrapperIZN2at6native12_GLOBAL__N_124unique_dim_cuda_templateImEESt5tupleIJNSF_6TensorESK_SK_EERKSK_lbbbEUlllE0_EEPmJS9_EEE10hipError_tPvRmT3_T4_T5_T6_T7_T9_mT8_P12ihipStream_tbDpT10_ENKUlT_T0_E_clISt17integral_constantIbLb0EES19_IbLb1EEEEDaS15_S16_EUlS15_E_NS1_11comp_targetILNS1_3genE5ELNS1_11target_archE942ELNS1_3gpuE9ELNS1_3repE0EEENS1_30default_config_static_selectorELNS0_4arch9wavefront6targetE1EEEvT1_,comdat
	.globl	_ZN7rocprim17ROCPRIM_400000_NS6detail17trampoline_kernelINS0_14default_configENS1_25partition_config_selectorILNS1_17partition_subalgoE9EllbEEZZNS1_14partition_implILS5_9ELb0ES3_jPlS8_PNS0_10empty_typeENS0_5tupleIJS8_S9_EEENSB_IJS8_SA_EEENS0_18inequality_wrapperIZN2at6native12_GLOBAL__N_124unique_dim_cuda_templateImEESt5tupleIJNSF_6TensorESK_SK_EERKSK_lbbbEUlllE0_EEPmJS9_EEE10hipError_tPvRmT3_T4_T5_T6_T7_T9_mT8_P12ihipStream_tbDpT10_ENKUlT_T0_E_clISt17integral_constantIbLb0EES19_IbLb1EEEEDaS15_S16_EUlS15_E_NS1_11comp_targetILNS1_3genE5ELNS1_11target_archE942ELNS1_3gpuE9ELNS1_3repE0EEENS1_30default_config_static_selectorELNS0_4arch9wavefront6targetE1EEEvT1_ ; -- Begin function _ZN7rocprim17ROCPRIM_400000_NS6detail17trampoline_kernelINS0_14default_configENS1_25partition_config_selectorILNS1_17partition_subalgoE9EllbEEZZNS1_14partition_implILS5_9ELb0ES3_jPlS8_PNS0_10empty_typeENS0_5tupleIJS8_S9_EEENSB_IJS8_SA_EEENS0_18inequality_wrapperIZN2at6native12_GLOBAL__N_124unique_dim_cuda_templateImEESt5tupleIJNSF_6TensorESK_SK_EERKSK_lbbbEUlllE0_EEPmJS9_EEE10hipError_tPvRmT3_T4_T5_T6_T7_T9_mT8_P12ihipStream_tbDpT10_ENKUlT_T0_E_clISt17integral_constantIbLb0EES19_IbLb1EEEEDaS15_S16_EUlS15_E_NS1_11comp_targetILNS1_3genE5ELNS1_11target_archE942ELNS1_3gpuE9ELNS1_3repE0EEENS1_30default_config_static_selectorELNS0_4arch9wavefront6targetE1EEEvT1_
	.p2align	8
	.type	_ZN7rocprim17ROCPRIM_400000_NS6detail17trampoline_kernelINS0_14default_configENS1_25partition_config_selectorILNS1_17partition_subalgoE9EllbEEZZNS1_14partition_implILS5_9ELb0ES3_jPlS8_PNS0_10empty_typeENS0_5tupleIJS8_S9_EEENSB_IJS8_SA_EEENS0_18inequality_wrapperIZN2at6native12_GLOBAL__N_124unique_dim_cuda_templateImEESt5tupleIJNSF_6TensorESK_SK_EERKSK_lbbbEUlllE0_EEPmJS9_EEE10hipError_tPvRmT3_T4_T5_T6_T7_T9_mT8_P12ihipStream_tbDpT10_ENKUlT_T0_E_clISt17integral_constantIbLb0EES19_IbLb1EEEEDaS15_S16_EUlS15_E_NS1_11comp_targetILNS1_3genE5ELNS1_11target_archE942ELNS1_3gpuE9ELNS1_3repE0EEENS1_30default_config_static_selectorELNS0_4arch9wavefront6targetE1EEEvT1_,@function
_ZN7rocprim17ROCPRIM_400000_NS6detail17trampoline_kernelINS0_14default_configENS1_25partition_config_selectorILNS1_17partition_subalgoE9EllbEEZZNS1_14partition_implILS5_9ELb0ES3_jPlS8_PNS0_10empty_typeENS0_5tupleIJS8_S9_EEENSB_IJS8_SA_EEENS0_18inequality_wrapperIZN2at6native12_GLOBAL__N_124unique_dim_cuda_templateImEESt5tupleIJNSF_6TensorESK_SK_EERKSK_lbbbEUlllE0_EEPmJS9_EEE10hipError_tPvRmT3_T4_T5_T6_T7_T9_mT8_P12ihipStream_tbDpT10_ENKUlT_T0_E_clISt17integral_constantIbLb0EES19_IbLb1EEEEDaS15_S16_EUlS15_E_NS1_11comp_targetILNS1_3genE5ELNS1_11target_archE942ELNS1_3gpuE9ELNS1_3repE0EEENS1_30default_config_static_selectorELNS0_4arch9wavefront6targetE1EEEvT1_: ; @_ZN7rocprim17ROCPRIM_400000_NS6detail17trampoline_kernelINS0_14default_configENS1_25partition_config_selectorILNS1_17partition_subalgoE9EllbEEZZNS1_14partition_implILS5_9ELb0ES3_jPlS8_PNS0_10empty_typeENS0_5tupleIJS8_S9_EEENSB_IJS8_SA_EEENS0_18inequality_wrapperIZN2at6native12_GLOBAL__N_124unique_dim_cuda_templateImEESt5tupleIJNSF_6TensorESK_SK_EERKSK_lbbbEUlllE0_EEPmJS9_EEE10hipError_tPvRmT3_T4_T5_T6_T7_T9_mT8_P12ihipStream_tbDpT10_ENKUlT_T0_E_clISt17integral_constantIbLb0EES19_IbLb1EEEEDaS15_S16_EUlS15_E_NS1_11comp_targetILNS1_3genE5ELNS1_11target_archE942ELNS1_3gpuE9ELNS1_3repE0EEENS1_30default_config_static_selectorELNS0_4arch9wavefront6targetE1EEEvT1_
; %bb.0:
	.section	.rodata,"a",@progbits
	.p2align	6, 0x0
	.amdhsa_kernel _ZN7rocprim17ROCPRIM_400000_NS6detail17trampoline_kernelINS0_14default_configENS1_25partition_config_selectorILNS1_17partition_subalgoE9EllbEEZZNS1_14partition_implILS5_9ELb0ES3_jPlS8_PNS0_10empty_typeENS0_5tupleIJS8_S9_EEENSB_IJS8_SA_EEENS0_18inequality_wrapperIZN2at6native12_GLOBAL__N_124unique_dim_cuda_templateImEESt5tupleIJNSF_6TensorESK_SK_EERKSK_lbbbEUlllE0_EEPmJS9_EEE10hipError_tPvRmT3_T4_T5_T6_T7_T9_mT8_P12ihipStream_tbDpT10_ENKUlT_T0_E_clISt17integral_constantIbLb0EES19_IbLb1EEEEDaS15_S16_EUlS15_E_NS1_11comp_targetILNS1_3genE5ELNS1_11target_archE942ELNS1_3gpuE9ELNS1_3repE0EEENS1_30default_config_static_selectorELNS0_4arch9wavefront6targetE1EEEvT1_
		.amdhsa_group_segment_fixed_size 0
		.amdhsa_private_segment_fixed_size 0
		.amdhsa_kernarg_size 136
		.amdhsa_user_sgpr_count 6
		.amdhsa_user_sgpr_private_segment_buffer 1
		.amdhsa_user_sgpr_dispatch_ptr 0
		.amdhsa_user_sgpr_queue_ptr 0
		.amdhsa_user_sgpr_kernarg_segment_ptr 1
		.amdhsa_user_sgpr_dispatch_id 0
		.amdhsa_user_sgpr_flat_scratch_init 0
		.amdhsa_user_sgpr_kernarg_preload_length 0
		.amdhsa_user_sgpr_kernarg_preload_offset 0
		.amdhsa_user_sgpr_private_segment_size 0
		.amdhsa_uses_dynamic_stack 0
		.amdhsa_system_sgpr_private_segment_wavefront_offset 0
		.amdhsa_system_sgpr_workgroup_id_x 1
		.amdhsa_system_sgpr_workgroup_id_y 0
		.amdhsa_system_sgpr_workgroup_id_z 0
		.amdhsa_system_sgpr_workgroup_info 0
		.amdhsa_system_vgpr_workitem_id 0
		.amdhsa_next_free_vgpr 1
		.amdhsa_next_free_sgpr 0
		.amdhsa_accum_offset 4
		.amdhsa_reserve_vcc 0
		.amdhsa_reserve_flat_scratch 0
		.amdhsa_float_round_mode_32 0
		.amdhsa_float_round_mode_16_64 0
		.amdhsa_float_denorm_mode_32 3
		.amdhsa_float_denorm_mode_16_64 3
		.amdhsa_dx10_clamp 1
		.amdhsa_ieee_mode 1
		.amdhsa_fp16_overflow 0
		.amdhsa_tg_split 0
		.amdhsa_exception_fp_ieee_invalid_op 0
		.amdhsa_exception_fp_denorm_src 0
		.amdhsa_exception_fp_ieee_div_zero 0
		.amdhsa_exception_fp_ieee_overflow 0
		.amdhsa_exception_fp_ieee_underflow 0
		.amdhsa_exception_fp_ieee_inexact 0
		.amdhsa_exception_int_div_zero 0
	.end_amdhsa_kernel
	.section	.text._ZN7rocprim17ROCPRIM_400000_NS6detail17trampoline_kernelINS0_14default_configENS1_25partition_config_selectorILNS1_17partition_subalgoE9EllbEEZZNS1_14partition_implILS5_9ELb0ES3_jPlS8_PNS0_10empty_typeENS0_5tupleIJS8_S9_EEENSB_IJS8_SA_EEENS0_18inequality_wrapperIZN2at6native12_GLOBAL__N_124unique_dim_cuda_templateImEESt5tupleIJNSF_6TensorESK_SK_EERKSK_lbbbEUlllE0_EEPmJS9_EEE10hipError_tPvRmT3_T4_T5_T6_T7_T9_mT8_P12ihipStream_tbDpT10_ENKUlT_T0_E_clISt17integral_constantIbLb0EES19_IbLb1EEEEDaS15_S16_EUlS15_E_NS1_11comp_targetILNS1_3genE5ELNS1_11target_archE942ELNS1_3gpuE9ELNS1_3repE0EEENS1_30default_config_static_selectorELNS0_4arch9wavefront6targetE1EEEvT1_,"axG",@progbits,_ZN7rocprim17ROCPRIM_400000_NS6detail17trampoline_kernelINS0_14default_configENS1_25partition_config_selectorILNS1_17partition_subalgoE9EllbEEZZNS1_14partition_implILS5_9ELb0ES3_jPlS8_PNS0_10empty_typeENS0_5tupleIJS8_S9_EEENSB_IJS8_SA_EEENS0_18inequality_wrapperIZN2at6native12_GLOBAL__N_124unique_dim_cuda_templateImEESt5tupleIJNSF_6TensorESK_SK_EERKSK_lbbbEUlllE0_EEPmJS9_EEE10hipError_tPvRmT3_T4_T5_T6_T7_T9_mT8_P12ihipStream_tbDpT10_ENKUlT_T0_E_clISt17integral_constantIbLb0EES19_IbLb1EEEEDaS15_S16_EUlS15_E_NS1_11comp_targetILNS1_3genE5ELNS1_11target_archE942ELNS1_3gpuE9ELNS1_3repE0EEENS1_30default_config_static_selectorELNS0_4arch9wavefront6targetE1EEEvT1_,comdat
.Lfunc_end1718:
	.size	_ZN7rocprim17ROCPRIM_400000_NS6detail17trampoline_kernelINS0_14default_configENS1_25partition_config_selectorILNS1_17partition_subalgoE9EllbEEZZNS1_14partition_implILS5_9ELb0ES3_jPlS8_PNS0_10empty_typeENS0_5tupleIJS8_S9_EEENSB_IJS8_SA_EEENS0_18inequality_wrapperIZN2at6native12_GLOBAL__N_124unique_dim_cuda_templateImEESt5tupleIJNSF_6TensorESK_SK_EERKSK_lbbbEUlllE0_EEPmJS9_EEE10hipError_tPvRmT3_T4_T5_T6_T7_T9_mT8_P12ihipStream_tbDpT10_ENKUlT_T0_E_clISt17integral_constantIbLb0EES19_IbLb1EEEEDaS15_S16_EUlS15_E_NS1_11comp_targetILNS1_3genE5ELNS1_11target_archE942ELNS1_3gpuE9ELNS1_3repE0EEENS1_30default_config_static_selectorELNS0_4arch9wavefront6targetE1EEEvT1_, .Lfunc_end1718-_ZN7rocprim17ROCPRIM_400000_NS6detail17trampoline_kernelINS0_14default_configENS1_25partition_config_selectorILNS1_17partition_subalgoE9EllbEEZZNS1_14partition_implILS5_9ELb0ES3_jPlS8_PNS0_10empty_typeENS0_5tupleIJS8_S9_EEENSB_IJS8_SA_EEENS0_18inequality_wrapperIZN2at6native12_GLOBAL__N_124unique_dim_cuda_templateImEESt5tupleIJNSF_6TensorESK_SK_EERKSK_lbbbEUlllE0_EEPmJS9_EEE10hipError_tPvRmT3_T4_T5_T6_T7_T9_mT8_P12ihipStream_tbDpT10_ENKUlT_T0_E_clISt17integral_constantIbLb0EES19_IbLb1EEEEDaS15_S16_EUlS15_E_NS1_11comp_targetILNS1_3genE5ELNS1_11target_archE942ELNS1_3gpuE9ELNS1_3repE0EEENS1_30default_config_static_selectorELNS0_4arch9wavefront6targetE1EEEvT1_
                                        ; -- End function
	.section	.AMDGPU.csdata,"",@progbits
; Kernel info:
; codeLenInByte = 0
; NumSgprs: 4
; NumVgprs: 0
; NumAgprs: 0
; TotalNumVgprs: 0
; ScratchSize: 0
; MemoryBound: 0
; FloatMode: 240
; IeeeMode: 1
; LDSByteSize: 0 bytes/workgroup (compile time only)
; SGPRBlocks: 0
; VGPRBlocks: 0
; NumSGPRsForWavesPerEU: 4
; NumVGPRsForWavesPerEU: 1
; AccumOffset: 4
; Occupancy: 8
; WaveLimiterHint : 0
; COMPUTE_PGM_RSRC2:SCRATCH_EN: 0
; COMPUTE_PGM_RSRC2:USER_SGPR: 6
; COMPUTE_PGM_RSRC2:TRAP_HANDLER: 0
; COMPUTE_PGM_RSRC2:TGID_X_EN: 1
; COMPUTE_PGM_RSRC2:TGID_Y_EN: 0
; COMPUTE_PGM_RSRC2:TGID_Z_EN: 0
; COMPUTE_PGM_RSRC2:TIDIG_COMP_CNT: 0
; COMPUTE_PGM_RSRC3_GFX90A:ACCUM_OFFSET: 0
; COMPUTE_PGM_RSRC3_GFX90A:TG_SPLIT: 0
	.section	.text._ZN7rocprim17ROCPRIM_400000_NS6detail17trampoline_kernelINS0_14default_configENS1_25partition_config_selectorILNS1_17partition_subalgoE9EllbEEZZNS1_14partition_implILS5_9ELb0ES3_jPlS8_PNS0_10empty_typeENS0_5tupleIJS8_S9_EEENSB_IJS8_SA_EEENS0_18inequality_wrapperIZN2at6native12_GLOBAL__N_124unique_dim_cuda_templateImEESt5tupleIJNSF_6TensorESK_SK_EERKSK_lbbbEUlllE0_EEPmJS9_EEE10hipError_tPvRmT3_T4_T5_T6_T7_T9_mT8_P12ihipStream_tbDpT10_ENKUlT_T0_E_clISt17integral_constantIbLb0EES19_IbLb1EEEEDaS15_S16_EUlS15_E_NS1_11comp_targetILNS1_3genE4ELNS1_11target_archE910ELNS1_3gpuE8ELNS1_3repE0EEENS1_30default_config_static_selectorELNS0_4arch9wavefront6targetE1EEEvT1_,"axG",@progbits,_ZN7rocprim17ROCPRIM_400000_NS6detail17trampoline_kernelINS0_14default_configENS1_25partition_config_selectorILNS1_17partition_subalgoE9EllbEEZZNS1_14partition_implILS5_9ELb0ES3_jPlS8_PNS0_10empty_typeENS0_5tupleIJS8_S9_EEENSB_IJS8_SA_EEENS0_18inequality_wrapperIZN2at6native12_GLOBAL__N_124unique_dim_cuda_templateImEESt5tupleIJNSF_6TensorESK_SK_EERKSK_lbbbEUlllE0_EEPmJS9_EEE10hipError_tPvRmT3_T4_T5_T6_T7_T9_mT8_P12ihipStream_tbDpT10_ENKUlT_T0_E_clISt17integral_constantIbLb0EES19_IbLb1EEEEDaS15_S16_EUlS15_E_NS1_11comp_targetILNS1_3genE4ELNS1_11target_archE910ELNS1_3gpuE8ELNS1_3repE0EEENS1_30default_config_static_selectorELNS0_4arch9wavefront6targetE1EEEvT1_,comdat
	.globl	_ZN7rocprim17ROCPRIM_400000_NS6detail17trampoline_kernelINS0_14default_configENS1_25partition_config_selectorILNS1_17partition_subalgoE9EllbEEZZNS1_14partition_implILS5_9ELb0ES3_jPlS8_PNS0_10empty_typeENS0_5tupleIJS8_S9_EEENSB_IJS8_SA_EEENS0_18inequality_wrapperIZN2at6native12_GLOBAL__N_124unique_dim_cuda_templateImEESt5tupleIJNSF_6TensorESK_SK_EERKSK_lbbbEUlllE0_EEPmJS9_EEE10hipError_tPvRmT3_T4_T5_T6_T7_T9_mT8_P12ihipStream_tbDpT10_ENKUlT_T0_E_clISt17integral_constantIbLb0EES19_IbLb1EEEEDaS15_S16_EUlS15_E_NS1_11comp_targetILNS1_3genE4ELNS1_11target_archE910ELNS1_3gpuE8ELNS1_3repE0EEENS1_30default_config_static_selectorELNS0_4arch9wavefront6targetE1EEEvT1_ ; -- Begin function _ZN7rocprim17ROCPRIM_400000_NS6detail17trampoline_kernelINS0_14default_configENS1_25partition_config_selectorILNS1_17partition_subalgoE9EllbEEZZNS1_14partition_implILS5_9ELb0ES3_jPlS8_PNS0_10empty_typeENS0_5tupleIJS8_S9_EEENSB_IJS8_SA_EEENS0_18inequality_wrapperIZN2at6native12_GLOBAL__N_124unique_dim_cuda_templateImEESt5tupleIJNSF_6TensorESK_SK_EERKSK_lbbbEUlllE0_EEPmJS9_EEE10hipError_tPvRmT3_T4_T5_T6_T7_T9_mT8_P12ihipStream_tbDpT10_ENKUlT_T0_E_clISt17integral_constantIbLb0EES19_IbLb1EEEEDaS15_S16_EUlS15_E_NS1_11comp_targetILNS1_3genE4ELNS1_11target_archE910ELNS1_3gpuE8ELNS1_3repE0EEENS1_30default_config_static_selectorELNS0_4arch9wavefront6targetE1EEEvT1_
	.p2align	8
	.type	_ZN7rocprim17ROCPRIM_400000_NS6detail17trampoline_kernelINS0_14default_configENS1_25partition_config_selectorILNS1_17partition_subalgoE9EllbEEZZNS1_14partition_implILS5_9ELb0ES3_jPlS8_PNS0_10empty_typeENS0_5tupleIJS8_S9_EEENSB_IJS8_SA_EEENS0_18inequality_wrapperIZN2at6native12_GLOBAL__N_124unique_dim_cuda_templateImEESt5tupleIJNSF_6TensorESK_SK_EERKSK_lbbbEUlllE0_EEPmJS9_EEE10hipError_tPvRmT3_T4_T5_T6_T7_T9_mT8_P12ihipStream_tbDpT10_ENKUlT_T0_E_clISt17integral_constantIbLb0EES19_IbLb1EEEEDaS15_S16_EUlS15_E_NS1_11comp_targetILNS1_3genE4ELNS1_11target_archE910ELNS1_3gpuE8ELNS1_3repE0EEENS1_30default_config_static_selectorELNS0_4arch9wavefront6targetE1EEEvT1_,@function
_ZN7rocprim17ROCPRIM_400000_NS6detail17trampoline_kernelINS0_14default_configENS1_25partition_config_selectorILNS1_17partition_subalgoE9EllbEEZZNS1_14partition_implILS5_9ELb0ES3_jPlS8_PNS0_10empty_typeENS0_5tupleIJS8_S9_EEENSB_IJS8_SA_EEENS0_18inequality_wrapperIZN2at6native12_GLOBAL__N_124unique_dim_cuda_templateImEESt5tupleIJNSF_6TensorESK_SK_EERKSK_lbbbEUlllE0_EEPmJS9_EEE10hipError_tPvRmT3_T4_T5_T6_T7_T9_mT8_P12ihipStream_tbDpT10_ENKUlT_T0_E_clISt17integral_constantIbLb0EES19_IbLb1EEEEDaS15_S16_EUlS15_E_NS1_11comp_targetILNS1_3genE4ELNS1_11target_archE910ELNS1_3gpuE8ELNS1_3repE0EEENS1_30default_config_static_selectorELNS0_4arch9wavefront6targetE1EEEvT1_: ; @_ZN7rocprim17ROCPRIM_400000_NS6detail17trampoline_kernelINS0_14default_configENS1_25partition_config_selectorILNS1_17partition_subalgoE9EllbEEZZNS1_14partition_implILS5_9ELb0ES3_jPlS8_PNS0_10empty_typeENS0_5tupleIJS8_S9_EEENSB_IJS8_SA_EEENS0_18inequality_wrapperIZN2at6native12_GLOBAL__N_124unique_dim_cuda_templateImEESt5tupleIJNSF_6TensorESK_SK_EERKSK_lbbbEUlllE0_EEPmJS9_EEE10hipError_tPvRmT3_T4_T5_T6_T7_T9_mT8_P12ihipStream_tbDpT10_ENKUlT_T0_E_clISt17integral_constantIbLb0EES19_IbLb1EEEEDaS15_S16_EUlS15_E_NS1_11comp_targetILNS1_3genE4ELNS1_11target_archE910ELNS1_3gpuE8ELNS1_3repE0EEENS1_30default_config_static_selectorELNS0_4arch9wavefront6targetE1EEEvT1_
; %bb.0:
	s_load_dwordx4 s[8:11], s[4:5], 0x8
	s_load_dwordx2 s[14:15], s[4:5], 0x18
	s_load_dwordx8 s[20:27], s[4:5], 0x40
	s_load_dwordx4 s[16:19], s[4:5], 0x60
	v_cmp_ne_u32_e64 s[2:3], 0, v0
	v_cmp_eq_u32_e64 s[0:1], 0, v0
	s_and_saveexec_b64 s[6:7], s[0:1]
	s_cbranch_execz .LBB1719_4
; %bb.1:
	s_mov_b64 s[28:29], exec
	v_mbcnt_lo_u32_b32 v1, s28, 0
	v_mbcnt_hi_u32_b32 v1, s29, v1
	v_cmp_eq_u32_e32 vcc, 0, v1
                                        ; implicit-def: $vgpr2
	s_and_saveexec_b64 s[12:13], vcc
	s_cbranch_execz .LBB1719_3
; %bb.2:
	s_load_dwordx2 s[30:31], s[4:5], 0x78
	s_bcnt1_i32_b64 s28, s[28:29]
	v_mov_b32_e32 v2, 0
	v_mov_b32_e32 v3, s28
	s_waitcnt lgkmcnt(0)
	global_atomic_add v2, v2, v3, s[30:31] glc
.LBB1719_3:
	s_or_b64 exec, exec, s[12:13]
	s_waitcnt vmcnt(0)
	v_readfirstlane_b32 s12, v2
	v_add_u32_e32 v1, s12, v1
	v_mov_b32_e32 v2, 0
	ds_write_b32 v2, v1
.LBB1719_4:
	s_or_b64 exec, exec, s[6:7]
	v_mov_b32_e32 v1, 0
	s_load_dwordx4 s[28:31], s[4:5], 0x28
	s_load_dword s6, s[4:5], 0x70
	s_waitcnt lgkmcnt(0)
	s_barrier
	ds_read_b32 v6, v1
	s_waitcnt lgkmcnt(0)
	s_barrier
	global_load_dwordx2 v[2:3], v1, s[22:23]
	s_lshl_b64 s[36:37], s[10:11], 3
	s_add_u32 s22, s8, s36
	s_addc_u32 s23, s9, s37
	s_add_i32 s12, s6, -1
	s_lshl_b32 s8, s6, 9
	s_lshl_b32 s6, s12, 9
	s_add_i32 s6, s10, s6
	v_readfirstlane_b32 s33, v6
	s_sub_i32 s48, s24, s6
	s_lshl_b32 s6, s33, 9
	s_add_u32 s8, s10, s8
	s_addc_u32 s9, s11, 0
	v_mov_b32_e32 v4, s24
	v_mov_b32_e32 v5, s25
	s_cmp_eq_u32 s33, s12
	v_cmp_ge_u64_e32 vcc, s[8:9], v[4:5]
	s_cselect_b64 s[24:25], -1, 0
	s_mov_b32 s7, 0
	s_and_b64 s[12:13], vcc, s[24:25]
	s_lshl_b64 s[8:9], s[6:7], 3
	s_xor_b64 s[34:35], s[12:13], -1
	s_add_u32 s6, s22, s8
	s_mov_b64 s[4:5], -1
	v_lshrrev_b32_e32 v18, 2, v0
	s_addc_u32 s7, s23, s9
	s_and_b64 vcc, exec, s[34:35]
	s_waitcnt vmcnt(0)
	v_readfirstlane_b32 s22, v2
	v_readfirstlane_b32 s23, v3
	s_cbranch_vccz .LBB1719_6
; %bb.5:
	v_lshlrev_b32_e32 v1, 3, v0
	global_load_dwordx2 v[2:3], v1, s[6:7]
	global_load_dwordx2 v[4:5], v1, s[6:7] offset:1024
	global_load_dwordx2 v[6:7], v1, s[6:7] offset:2048
	;; [unrolled: 1-line block ×3, first 2 shown]
	v_or_b32_e32 v11, 0x80, v0
	v_or_b32_e32 v12, 0x100, v0
	;; [unrolled: 1-line block ×3, first 2 shown]
	v_and_b32_e32 v10, 24, v18
	v_lshrrev_b32_e32 v11, 2, v11
	v_lshrrev_b32_e32 v12, 2, v12
	;; [unrolled: 1-line block ×3, first 2 shown]
	v_add_u32_e32 v10, v10, v1
	v_and_b32_e32 v11, 56, v11
	v_and_b32_e32 v12, 0x58, v12
	;; [unrolled: 1-line block ×3, first 2 shown]
	v_add_u32_e32 v11, v11, v1
	v_add_u32_e32 v12, v12, v1
	;; [unrolled: 1-line block ×3, first 2 shown]
	s_mov_b64 s[4:5], 0
	s_waitcnt vmcnt(3)
	ds_write_b64 v10, v[2:3]
	s_waitcnt vmcnt(2)
	ds_write_b64 v11, v[4:5] offset:1024
	s_waitcnt vmcnt(1)
	ds_write_b64 v12, v[6:7] offset:2048
	;; [unrolled: 2-line block ×3, first 2 shown]
	s_waitcnt lgkmcnt(0)
	s_barrier
.LBB1719_6:
	s_andn2_b64 vcc, exec, s[4:5]
	v_cmp_gt_u32_e64 s[4:5], s48, v0
	s_cbranch_vccnz .LBB1719_16
; %bb.7:
                                        ; implicit-def: $vgpr2_vgpr3_vgpr4_vgpr5_vgpr6_vgpr7_vgpr8_vgpr9
	s_and_saveexec_b64 s[38:39], s[4:5]
	s_cbranch_execz .LBB1719_9
; %bb.8:
	v_lshlrev_b32_e32 v1, 3, v0
	global_load_dwordx2 v[2:3], v1, s[6:7]
.LBB1719_9:
	s_or_b64 exec, exec, s[38:39]
	v_or_b32_e32 v1, 0x80, v0
	v_cmp_gt_u32_e32 vcc, s48, v1
	s_and_saveexec_b64 s[4:5], vcc
	s_cbranch_execz .LBB1719_11
; %bb.10:
	v_lshlrev_b32_e32 v4, 3, v0
	global_load_dwordx2 v[4:5], v4, s[6:7] offset:1024
.LBB1719_11:
	s_or_b64 exec, exec, s[4:5]
	v_or_b32_e32 v10, 0x100, v0
	v_cmp_gt_u32_e32 vcc, s48, v10
	s_and_saveexec_b64 s[4:5], vcc
	s_cbranch_execz .LBB1719_13
; %bb.12:
	v_lshlrev_b32_e32 v6, 3, v0
	global_load_dwordx2 v[6:7], v6, s[6:7] offset:2048
.LBB1719_13:
	;; [unrolled: 9-line block ×3, first 2 shown]
	s_or_b64 exec, exec, s[4:5]
	v_lshrrev_b32_e32 v1, 2, v1
	v_lshlrev_b32_e32 v13, 3, v0
	v_and_b32_e32 v1, 56, v1
	v_add_u32_e32 v1, v1, v13
	s_waitcnt vmcnt(0)
	ds_write_b64 v1, v[4:5] offset:1024
	v_lshrrev_b32_e32 v1, 2, v10
	v_and_b32_e32 v1, 0x78, v1
	v_add_u32_e32 v1, v1, v13
	ds_write_b64 v1, v[6:7] offset:2048
	v_lshrrev_b32_e32 v1, 2, v11
	v_and_b32_e32 v12, 24, v18
	v_and_b32_e32 v1, 0x78, v1
	v_add_u32_e32 v12, v12, v13
	v_add_u32_e32 v1, v1, v13
	ds_write_b64 v12, v[2:3]
	ds_write_b64 v1, v[8:9] offset:3072
	s_waitcnt lgkmcnt(0)
	s_barrier
.LBB1719_16:
	v_lshlrev_b32_e32 v1, 2, v0
	v_lshrrev_b32_e32 v2, 3, v0
	v_add_lshl_u32 v19, v2, v1, 3
	ds_read2_b64 v[14:17], v19 offset1:1
	ds_read2_b64 v[10:13], v19 offset0:2 offset1:3
	s_add_u32 s4, s14, s36
	s_addc_u32 s5, s15, s37
	s_add_u32 s4, s4, s8
	s_addc_u32 s5, s5, s9
	s_mov_b64 s[8:9], -1
	s_and_b64 vcc, exec, s[34:35]
	s_waitcnt lgkmcnt(0)
	s_barrier
	s_cbranch_vccz .LBB1719_18
; %bb.17:
	v_lshlrev_b32_e32 v20, 3, v0
	global_load_dwordx2 v[2:3], v20, s[4:5]
	global_load_dwordx2 v[4:5], v20, s[4:5] offset:1024
	global_load_dwordx2 v[6:7], v20, s[4:5] offset:2048
	;; [unrolled: 1-line block ×3, first 2 shown]
	v_or_b32_e32 v22, 0x80, v0
	v_or_b32_e32 v23, 0x100, v0
	v_or_b32_e32 v24, 0x180, v0
	v_and_b32_e32 v21, 24, v18
	v_lshrrev_b32_e32 v22, 2, v22
	v_lshrrev_b32_e32 v23, 2, v23
	;; [unrolled: 1-line block ×3, first 2 shown]
	v_add_u32_e32 v21, v21, v20
	v_and_b32_e32 v22, 56, v22
	v_and_b32_e32 v23, 0x58, v23
	;; [unrolled: 1-line block ×3, first 2 shown]
	v_add_u32_e32 v22, v22, v20
	v_add_u32_e32 v23, v23, v20
	;; [unrolled: 1-line block ×3, first 2 shown]
	s_mov_b64 s[8:9], 0
	s_waitcnt vmcnt(3)
	ds_write_b64 v21, v[2:3]
	s_waitcnt vmcnt(2)
	ds_write_b64 v22, v[4:5] offset:1024
	s_waitcnt vmcnt(1)
	ds_write_b64 v23, v[6:7] offset:2048
	;; [unrolled: 2-line block ×3, first 2 shown]
	s_waitcnt lgkmcnt(0)
	s_barrier
.LBB1719_18:
	s_andn2_b64 vcc, exec, s[8:9]
	s_cbranch_vccnz .LBB1719_28
; %bb.19:
	v_cmp_gt_u32_e32 vcc, s48, v0
                                        ; implicit-def: $vgpr2_vgpr3
	s_and_saveexec_b64 s[8:9], vcc
	s_cbranch_execz .LBB1719_21
; %bb.20:
	v_lshlrev_b32_e32 v2, 3, v0
	global_load_dwordx2 v[2:3], v2, s[4:5]
.LBB1719_21:
	s_or_b64 exec, exec, s[8:9]
	v_or_b32_e32 v20, 0x80, v0
	v_cmp_gt_u32_e32 vcc, s48, v20
                                        ; implicit-def: $vgpr4_vgpr5
	s_and_saveexec_b64 s[8:9], vcc
	s_cbranch_execz .LBB1719_23
; %bb.22:
	v_lshlrev_b32_e32 v4, 3, v0
	global_load_dwordx2 v[4:5], v4, s[4:5] offset:1024
.LBB1719_23:
	s_or_b64 exec, exec, s[8:9]
	v_or_b32_e32 v21, 0x100, v0
	v_cmp_gt_u32_e32 vcc, s48, v21
                                        ; implicit-def: $vgpr6_vgpr7
	s_and_saveexec_b64 s[8:9], vcc
	s_cbranch_execz .LBB1719_25
; %bb.24:
	v_lshlrev_b32_e32 v6, 3, v0
	global_load_dwordx2 v[6:7], v6, s[4:5] offset:2048
.LBB1719_25:
	s_or_b64 exec, exec, s[8:9]
	v_or_b32_e32 v22, 0x180, v0
	v_cmp_gt_u32_e32 vcc, s48, v22
                                        ; implicit-def: $vgpr8_vgpr9
	s_and_saveexec_b64 s[8:9], vcc
	s_cbranch_execz .LBB1719_27
; %bb.26:
	v_lshlrev_b32_e32 v8, 3, v0
	global_load_dwordx2 v[8:9], v8, s[4:5] offset:3072
.LBB1719_27:
	s_or_b64 exec, exec, s[8:9]
	v_and_b32_e32 v18, 24, v18
	v_lshlrev_b32_e32 v23, 3, v0
	v_add_u32_e32 v18, v18, v23
	s_waitcnt vmcnt(0)
	ds_write_b64 v18, v[2:3]
	v_lshrrev_b32_e32 v2, 2, v20
	v_and_b32_e32 v2, 56, v2
	v_add_u32_e32 v2, v2, v23
	ds_write_b64 v2, v[4:5] offset:1024
	v_lshrrev_b32_e32 v2, 2, v21
	v_and_b32_e32 v2, 0x78, v2
	v_add_u32_e32 v2, v2, v23
	ds_write_b64 v2, v[6:7] offset:2048
	;; [unrolled: 4-line block ×3, first 2 shown]
	s_waitcnt lgkmcnt(0)
	s_barrier
.LBB1719_28:
	ds_read2_b64 v[6:9], v19 offset1:1
	ds_read2_b64 v[2:5], v19 offset0:2 offset1:3
	s_cmp_lg_u32 s33, 0
	s_cselect_b64 s[36:37], -1, 0
	s_cmp_lg_u64 s[10:11], 0
	s_cselect_b64 s[4:5], -1, 0
	s_or_b64 s[4:5], s[4:5], s[36:37]
	s_mov_b64 s[14:15], 0
	s_and_b64 vcc, exec, s[4:5]
	v_cmp_gt_i64_e64 s[4:5], s[26:27], 0
	s_waitcnt lgkmcnt(0)
	s_barrier
	s_cbranch_vccz .LBB1719_37
; %bb.29:
	v_mov_b32_e32 v18, 0
	global_load_dwordx2 v[18:19], v18, s[6:7] offset:-8
	v_cndmask_b32_e64 v20, 0, 1, s[4:5]
	v_lshlrev_b32_e32 v29, 3, v0
	s_mov_b64 s[10:11], 0
	s_and_b64 vcc, exec, s[34:35]
	v_cmp_ne_u32_e64 s[4:5], 1, v20
	ds_write_b64 v29, v[12:13]
	s_cbranch_vccz .LBB1719_38
; %bb.30:
	v_mul_lo_u32 v22, v11, s26
	v_mul_lo_u32 v23, v10, s27
	v_mad_u64_u32 v[20:21], s[6:7], v10, s26, 0
	v_add3_u32 v21, v21, v23, v22
	s_and_b64 vcc, exec, s[4:5]
	v_lshlrev_b64 v[20:21], 3, v[20:21]
	s_cbranch_vccnz .LBB1719_41
; %bb.31:
	v_mul_lo_u32 v24, v13, s26
	v_mul_lo_u32 v25, v12, s27
	v_mad_u64_u32 v[22:23], s[6:7], v12, s26, 0
	v_add3_u32 v23, v23, v25, v24
	v_mov_b32_e32 v25, s17
	v_add_co_u32_e32 v24, vcc, s16, v20
	v_addc_co_u32_e64 v25, s[6:7], v25, v21, vcc
	v_lshlrev_b64 v[22:23], 3, v[22:23]
	v_mov_b32_e32 v27, s17
	v_add_co_u32_e64 v26, s[6:7], s16, v22
	v_addc_co_u32_e64 v27, s[8:9], v27, v23, s[6:7]
	global_load_dwordx2 v[30:31], v[24:25], off
	global_load_dwordx2 v[32:33], v[26:27], off
	s_mov_b64 s[10:11], -1
	s_waitcnt vmcnt(0)
	v_cmp_eq_u64_e64 s[8:9], v[30:31], v[32:33]
	s_and_saveexec_b64 s[14:15], s[8:9]
	s_cbranch_execz .LBB1719_40
; %bb.32:
	v_mov_b32_e32 v22, s17
	v_addc_co_u32_e64 v23, s[6:7], v23, v22, s[6:7]
	v_add_co_u32_e64 v22, s[6:7], 8, v26
	v_mov_b32_e32 v25, s17
	v_addc_co_u32_e64 v23, s[6:7], 0, v23, s[6:7]
	v_addc_co_u32_e32 v25, vcc, v21, v25, vcc
	v_add_co_u32_e32 v24, vcc, 8, v24
	s_add_u32 s6, s26, -1
	v_addc_co_u32_e32 v25, vcc, 0, v25, vcc
	s_addc_u32 s7, s27, -1
	s_mov_b64 s[8:9], 0
	s_mov_b64 s[38:39], 0
                                        ; implicit-def: $sgpr10_sgpr11
	s_branch .LBB1719_35
.LBB1719_33:                            ;   in Loop: Header=BB1719_35 Depth=1
	global_load_dwordx2 v[26:27], v[24:25], off
	global_load_dwordx2 v[30:31], v[22:23], off
	v_add_co_u32_e32 v22, vcc, 8, v22
	v_addc_co_u32_e32 v23, vcc, 0, v23, vcc
	v_add_co_u32_e32 v24, vcc, 8, v24
	v_addc_co_u32_e32 v25, vcc, 0, v25, vcc
	s_add_u32 s38, s38, 1
	s_addc_u32 s39, s39, 0
	s_andn2_b64 s[10:11], s[10:11], exec
	s_waitcnt vmcnt(0)
	v_cmp_ne_u64_e32 vcc, v[26:27], v[30:31]
	s_and_b64 s[40:41], vcc, exec
	s_or_b64 s[10:11], s[10:11], s[40:41]
.LBB1719_34:                            ;   in Loop: Header=BB1719_35 Depth=1
	s_and_b64 s[40:41], exec, s[10:11]
	s_or_b64 s[8:9], s[40:41], s[8:9]
	v_pk_mov_b32 v[26:27], s[38:39], s[38:39] op_sel:[0,1]
	s_andn2_b64 exec, exec, s[8:9]
	s_cbranch_execz .LBB1719_39
.LBB1719_35:                            ; =>This Inner Loop Header: Depth=1
	s_or_b64 s[10:11], s[10:11], exec
	s_cmp_eq_u64 s[6:7], s[38:39]
	s_cbranch_scc0 .LBB1719_33
; %bb.36:                               ;   in Loop: Header=BB1719_35 Depth=1
                                        ; implicit-def: $vgpr22_vgpr23
                                        ; implicit-def: $vgpr24_vgpr25
	s_mov_b64 s[38:39], s[26:27]
	s_branch .LBB1719_34
.LBB1719_37:
                                        ; implicit-def: $sgpr38_sgpr39
                                        ; implicit-def: $vgpr28
	s_branch .LBB1719_119
.LBB1719_38:
                                        ; implicit-def: $sgpr38_sgpr39
                                        ; implicit-def: $vgpr28
	s_cbranch_execnz .LBB1719_71
	s_branch .LBB1719_118
.LBB1719_39:
	s_or_b64 exec, exec, s[8:9]
	v_cmp_gt_i64_e32 vcc, s[26:27], v[26:27]
	s_orn2_b64 s[10:11], vcc, exec
.LBB1719_40:
	s_or_b64 exec, exec, s[14:15]
.LBB1719_41:
	v_mul_lo_u32 v24, v17, s26
	v_mul_lo_u32 v25, v16, s27
	v_mad_u64_u32 v[22:23], s[6:7], v16, s26, 0
	v_add3_u32 v23, v23, v25, v24
	s_mov_b64 s[14:15], 0
	s_and_b64 vcc, exec, s[4:5]
	v_lshlrev_b64 v[22:23], 3, v[22:23]
	s_mov_b64 s[38:39], 0
	s_cbranch_vccnz .LBB1719_50
; %bb.42:
	v_mov_b32_e32 v25, s17
	v_add_co_u32_e32 v24, vcc, s16, v22
	v_addc_co_u32_e64 v25, s[6:7], v25, v23, vcc
	v_mov_b32_e32 v27, s17
	v_add_co_u32_e64 v26, s[6:7], s16, v20
	v_addc_co_u32_e64 v27, s[8:9], v27, v21, s[6:7]
	global_load_dwordx2 v[30:31], v[24:25], off
	global_load_dwordx2 v[32:33], v[26:27], off
	s_mov_b64 s[38:39], -1
	s_waitcnt vmcnt(0)
	v_cmp_eq_u64_e64 s[8:9], v[30:31], v[32:33]
	s_and_saveexec_b64 s[40:41], s[8:9]
	s_cbranch_execz .LBB1719_49
; %bb.43:
	v_mov_b32_e32 v20, s17
	v_addc_co_u32_e64 v21, s[6:7], v21, v20, s[6:7]
	v_add_co_u32_e64 v20, s[6:7], 8, v26
	v_mov_b32_e32 v25, s17
	v_addc_co_u32_e64 v21, s[6:7], 0, v21, s[6:7]
	v_addc_co_u32_e32 v25, vcc, v23, v25, vcc
	v_add_co_u32_e32 v24, vcc, 8, v24
	s_add_u32 s6, s26, -1
	v_addc_co_u32_e32 v25, vcc, 0, v25, vcc
	s_addc_u32 s7, s27, -1
	s_mov_b64 s[8:9], 0
	s_mov_b64 s[42:43], 0
                                        ; implicit-def: $sgpr38_sgpr39
	s_branch .LBB1719_46
.LBB1719_44:                            ;   in Loop: Header=BB1719_46 Depth=1
	global_load_dwordx2 v[26:27], v[24:25], off
	global_load_dwordx2 v[30:31], v[20:21], off
	v_add_co_u32_e32 v20, vcc, 8, v20
	v_addc_co_u32_e32 v21, vcc, 0, v21, vcc
	v_add_co_u32_e32 v24, vcc, 8, v24
	v_addc_co_u32_e32 v25, vcc, 0, v25, vcc
	s_add_u32 s42, s42, 1
	s_addc_u32 s43, s43, 0
	s_andn2_b64 s[38:39], s[38:39], exec
	s_waitcnt vmcnt(0)
	v_cmp_ne_u64_e32 vcc, v[26:27], v[30:31]
	s_and_b64 s[44:45], vcc, exec
	s_or_b64 s[38:39], s[38:39], s[44:45]
.LBB1719_45:                            ;   in Loop: Header=BB1719_46 Depth=1
	s_and_b64 s[44:45], exec, s[38:39]
	s_or_b64 s[8:9], s[44:45], s[8:9]
	v_pk_mov_b32 v[26:27], s[42:43], s[42:43] op_sel:[0,1]
	s_andn2_b64 exec, exec, s[8:9]
	s_cbranch_execz .LBB1719_48
.LBB1719_46:                            ; =>This Inner Loop Header: Depth=1
	s_or_b64 s[38:39], s[38:39], exec
	s_cmp_eq_u64 s[6:7], s[42:43]
	s_cbranch_scc0 .LBB1719_44
; %bb.47:                               ;   in Loop: Header=BB1719_46 Depth=1
                                        ; implicit-def: $vgpr20_vgpr21
                                        ; implicit-def: $vgpr24_vgpr25
	s_mov_b64 s[42:43], s[26:27]
	s_branch .LBB1719_45
.LBB1719_48:
	s_or_b64 exec, exec, s[8:9]
	v_cmp_gt_i64_e32 vcc, s[26:27], v[26:27]
	s_orn2_b64 s[38:39], vcc, exec
.LBB1719_49:
	s_or_b64 exec, exec, s[40:41]
.LBB1719_50:
	v_mul_lo_u32 v24, v15, s26
	v_mul_lo_u32 v25, v14, s27
	v_mad_u64_u32 v[20:21], s[6:7], v14, s26, 0
	v_add3_u32 v21, v21, v25, v24
	s_and_b64 vcc, exec, s[4:5]
	v_lshlrev_b64 v[20:21], 3, v[20:21]
	s_cbranch_vccnz .LBB1719_59
; %bb.51:
	v_mov_b32_e32 v25, s17
	v_add_co_u32_e32 v24, vcc, s16, v20
	v_addc_co_u32_e64 v25, s[6:7], v25, v21, vcc
	v_mov_b32_e32 v27, s17
	v_add_co_u32_e64 v26, s[6:7], s16, v22
	v_addc_co_u32_e64 v27, s[8:9], v27, v23, s[6:7]
	global_load_dwordx2 v[30:31], v[24:25], off
	global_load_dwordx2 v[32:33], v[26:27], off
	s_mov_b64 s[14:15], -1
	s_waitcnt vmcnt(0)
	v_cmp_eq_u64_e64 s[8:9], v[30:31], v[32:33]
	s_and_saveexec_b64 s[40:41], s[8:9]
	s_cbranch_execz .LBB1719_58
; %bb.52:
	v_mov_b32_e32 v22, s17
	v_addc_co_u32_e64 v23, s[6:7], v23, v22, s[6:7]
	v_add_co_u32_e64 v22, s[6:7], 8, v26
	v_mov_b32_e32 v25, s17
	v_addc_co_u32_e64 v23, s[6:7], 0, v23, s[6:7]
	v_addc_co_u32_e32 v25, vcc, v21, v25, vcc
	v_add_co_u32_e32 v24, vcc, 8, v24
	s_add_u32 s6, s26, -1
	v_addc_co_u32_e32 v25, vcc, 0, v25, vcc
	s_addc_u32 s7, s27, -1
	s_mov_b64 s[8:9], 0
	s_mov_b64 s[42:43], 0
                                        ; implicit-def: $sgpr14_sgpr15
	s_branch .LBB1719_55
.LBB1719_53:                            ;   in Loop: Header=BB1719_55 Depth=1
	global_load_dwordx2 v[26:27], v[24:25], off
	global_load_dwordx2 v[30:31], v[22:23], off
	v_add_co_u32_e32 v22, vcc, 8, v22
	v_addc_co_u32_e32 v23, vcc, 0, v23, vcc
	v_add_co_u32_e32 v24, vcc, 8, v24
	v_addc_co_u32_e32 v25, vcc, 0, v25, vcc
	s_add_u32 s42, s42, 1
	s_addc_u32 s43, s43, 0
	s_andn2_b64 s[14:15], s[14:15], exec
	s_waitcnt vmcnt(0)
	v_cmp_ne_u64_e32 vcc, v[26:27], v[30:31]
	s_and_b64 s[44:45], vcc, exec
	s_or_b64 s[14:15], s[14:15], s[44:45]
.LBB1719_54:                            ;   in Loop: Header=BB1719_55 Depth=1
	s_and_b64 s[44:45], exec, s[14:15]
	s_or_b64 s[8:9], s[44:45], s[8:9]
	v_pk_mov_b32 v[26:27], s[42:43], s[42:43] op_sel:[0,1]
	s_andn2_b64 exec, exec, s[8:9]
	s_cbranch_execz .LBB1719_57
.LBB1719_55:                            ; =>This Inner Loop Header: Depth=1
	s_or_b64 s[14:15], s[14:15], exec
	s_cmp_eq_u64 s[6:7], s[42:43]
	s_cbranch_scc0 .LBB1719_53
; %bb.56:                               ;   in Loop: Header=BB1719_55 Depth=1
                                        ; implicit-def: $vgpr22_vgpr23
                                        ; implicit-def: $vgpr24_vgpr25
	s_mov_b64 s[42:43], s[26:27]
	s_branch .LBB1719_54
.LBB1719_57:
	s_or_b64 exec, exec, s[8:9]
	v_cmp_gt_i64_e32 vcc, s[26:27], v[26:27]
	s_orn2_b64 s[14:15], vcc, exec
.LBB1719_58:
	s_or_b64 exec, exec, s[40:41]
.LBB1719_59:
	s_waitcnt vmcnt(0)
	v_pk_mov_b32 v[22:23], v[18:19], v[18:19] op_sel:[0,1]
	s_waitcnt lgkmcnt(0)
	s_barrier
	s_and_saveexec_b64 s[6:7], s[2:3]
	s_cbranch_execz .LBB1719_61
; %bb.60:
	v_add_u32_e32 v22, -8, v29
	ds_read_b64 v[22:23], v22
.LBB1719_61:
	s_or_b64 exec, exec, s[6:7]
	v_cndmask_b32_e64 v25, 0, 1, s[10:11]
	v_cndmask_b32_e64 v24, 0, 1, s[38:39]
	;; [unrolled: 1-line block ×3, first 2 shown]
	v_lshlrev_b16_e32 v25, 8, v25
	v_lshlrev_b16_e32 v28, 8, v26
	v_or_b32_sdwa v30, v24, v25 dst_sel:WORD_1 dst_unused:UNUSED_PAD src0_sel:DWORD src1_sel:DWORD
	s_mov_b64 s[10:11], 0
	s_and_b64 vcc, exec, s[4:5]
	s_mov_b64 s[38:39], 0
	s_cbranch_vccnz .LBB1719_70
; %bb.62:
	s_waitcnt lgkmcnt(0)
	v_mul_lo_u32 v24, v23, s26
	v_mul_lo_u32 v25, v22, s27
	v_mad_u64_u32 v[22:23], s[6:7], v22, s26, 0
	v_add3_u32 v23, v23, v25, v24
	v_lshlrev_b64 v[22:23], 3, v[22:23]
	v_mov_b32_e32 v25, s17
	v_add_co_u32_e32 v24, vcc, s16, v22
	v_addc_co_u32_e64 v25, s[6:7], v25, v23, vcc
	v_mov_b32_e32 v22, s17
	v_add_co_u32_e64 v26, s[6:7], s16, v20
	v_addc_co_u32_e64 v27, s[8:9], v22, v21, s[6:7]
	global_load_dwordx2 v[32:33], v[24:25], off
	global_load_dwordx2 v[34:35], v[26:27], off
	s_mov_b64 s[38:39], -1
	s_waitcnt vmcnt(0)
	v_cmp_eq_u64_e64 s[8:9], v[32:33], v[34:35]
	s_and_saveexec_b64 s[14:15], s[8:9]
	s_cbranch_execz .LBB1719_69
; %bb.63:
	v_mov_b32_e32 v20, s17
	v_addc_co_u32_e64 v21, s[6:7], v21, v20, s[6:7]
	v_add_co_u32_e64 v20, s[6:7], 8, v26
	v_mov_b32_e32 v22, s17
	v_addc_co_u32_e64 v21, s[6:7], 0, v21, s[6:7]
	v_addc_co_u32_e32 v23, vcc, v23, v22, vcc
	v_add_co_u32_e32 v22, vcc, 8, v24
	s_add_u32 s6, s26, -1
	v_addc_co_u32_e32 v23, vcc, 0, v23, vcc
	s_addc_u32 s7, s27, -1
	s_mov_b64 s[8:9], 0
	s_mov_b64 s[40:41], 0
                                        ; implicit-def: $sgpr38_sgpr39
	s_branch .LBB1719_66
.LBB1719_64:                            ;   in Loop: Header=BB1719_66 Depth=1
	global_load_dwordx2 v[24:25], v[22:23], off
	global_load_dwordx2 v[26:27], v[20:21], off
	v_add_co_u32_e32 v20, vcc, 8, v20
	v_addc_co_u32_e32 v21, vcc, 0, v21, vcc
	v_add_co_u32_e32 v22, vcc, 8, v22
	v_addc_co_u32_e32 v23, vcc, 0, v23, vcc
	s_add_u32 s40, s40, 1
	s_addc_u32 s41, s41, 0
	s_andn2_b64 s[38:39], s[38:39], exec
	s_waitcnt vmcnt(0)
	v_cmp_ne_u64_e32 vcc, v[24:25], v[26:27]
	s_and_b64 s[42:43], vcc, exec
	s_or_b64 s[38:39], s[38:39], s[42:43]
.LBB1719_65:                            ;   in Loop: Header=BB1719_66 Depth=1
	s_and_b64 s[42:43], exec, s[38:39]
	s_or_b64 s[8:9], s[42:43], s[8:9]
	v_pk_mov_b32 v[24:25], s[40:41], s[40:41] op_sel:[0,1]
	s_andn2_b64 exec, exec, s[8:9]
	s_cbranch_execz .LBB1719_68
.LBB1719_66:                            ; =>This Inner Loop Header: Depth=1
	s_or_b64 s[38:39], s[38:39], exec
	s_cmp_eq_u64 s[6:7], s[40:41]
	s_cbranch_scc0 .LBB1719_64
; %bb.67:                               ;   in Loop: Header=BB1719_66 Depth=1
                                        ; implicit-def: $vgpr20_vgpr21
                                        ; implicit-def: $vgpr22_vgpr23
	s_mov_b64 s[40:41], s[26:27]
	s_branch .LBB1719_65
.LBB1719_68:
	s_or_b64 exec, exec, s[8:9]
	v_cmp_gt_i64_e32 vcc, s[26:27], v[24:25]
	s_orn2_b64 s[38:39], vcc, exec
.LBB1719_69:
	s_or_b64 exec, exec, s[14:15]
.LBB1719_70:
	v_or_b32_e32 v28, v28, v30
	s_and_b64 vcc, exec, s[10:11]
	s_cbranch_vccz .LBB1719_118
.LBB1719_71:
	v_or_b32_e32 v20, 3, v1
	v_cmp_gt_u32_e32 vcc, s48, v20
	s_mov_b64 s[14:15], 0
	s_mov_b64 s[10:11], 0
	s_and_saveexec_b64 s[38:39], vcc
	s_cbranch_execz .LBB1719_82
; %bb.72:
	s_and_b64 vcc, exec, s[4:5]
	s_mov_b64 s[40:41], 0
	s_cbranch_vccnz .LBB1719_81
; %bb.73:
	s_waitcnt lgkmcnt(0)
	v_mul_lo_u32 v22, v11, s26
	v_mul_lo_u32 v23, v10, s27
	v_mad_u64_u32 v[20:21], s[6:7], v10, s26, 0
	v_add3_u32 v21, v21, v23, v22
	v_mul_lo_u32 v22, v13, s26
	v_mul_lo_u32 v23, v12, s27
	v_mad_u64_u32 v[26:27], s[6:7], v12, s26, 0
	v_add3_u32 v27, v27, v23, v22
	v_lshlrev_b64 v[22:23], 3, v[20:21]
	v_mov_b32_e32 v20, s17
	v_add_co_u32_e32 v24, vcc, s16, v22
	v_addc_co_u32_e64 v25, s[6:7], v20, v23, vcc
	v_lshlrev_b64 v[20:21], 3, v[26:27]
	v_mov_b32_e32 v22, s17
	v_add_co_u32_e64 v26, s[6:7], s16, v20
	v_addc_co_u32_e64 v27, s[8:9], v22, v21, s[6:7]
	global_load_dwordx2 v[30:31], v[24:25], off
	global_load_dwordx2 v[32:33], v[26:27], off
	s_mov_b64 s[40:41], -1
	s_waitcnt vmcnt(0)
	v_cmp_eq_u64_e64 s[8:9], v[30:31], v[32:33]
	s_and_saveexec_b64 s[10:11], s[8:9]
	s_cbranch_execz .LBB1719_80
; %bb.74:
	v_mov_b32_e32 v20, s17
	v_addc_co_u32_e64 v21, s[6:7], v21, v20, s[6:7]
	v_add_co_u32_e64 v20, s[6:7], 8, v26
	v_mov_b32_e32 v22, s17
	v_addc_co_u32_e64 v21, s[6:7], 0, v21, s[6:7]
	v_addc_co_u32_e32 v23, vcc, v23, v22, vcc
	v_add_co_u32_e32 v22, vcc, 8, v24
	s_add_u32 s6, s26, -1
	v_addc_co_u32_e32 v23, vcc, 0, v23, vcc
	s_addc_u32 s7, s27, -1
	s_mov_b64 s[8:9], 0
	s_mov_b64 s[42:43], 0
                                        ; implicit-def: $sgpr40_sgpr41
	s_branch .LBB1719_77
.LBB1719_75:                            ;   in Loop: Header=BB1719_77 Depth=1
	global_load_dwordx2 v[24:25], v[22:23], off
	global_load_dwordx2 v[26:27], v[20:21], off
	v_add_co_u32_e32 v20, vcc, 8, v20
	v_addc_co_u32_e32 v21, vcc, 0, v21, vcc
	v_add_co_u32_e32 v22, vcc, 8, v22
	v_addc_co_u32_e32 v23, vcc, 0, v23, vcc
	s_add_u32 s42, s42, 1
	s_addc_u32 s43, s43, 0
	s_andn2_b64 s[40:41], s[40:41], exec
	s_waitcnt vmcnt(0)
	v_cmp_ne_u64_e32 vcc, v[24:25], v[26:27]
	s_and_b64 s[44:45], vcc, exec
	s_or_b64 s[40:41], s[40:41], s[44:45]
.LBB1719_76:                            ;   in Loop: Header=BB1719_77 Depth=1
	s_and_b64 s[44:45], exec, s[40:41]
	s_or_b64 s[8:9], s[44:45], s[8:9]
	v_pk_mov_b32 v[24:25], s[42:43], s[42:43] op_sel:[0,1]
	s_andn2_b64 exec, exec, s[8:9]
	s_cbranch_execz .LBB1719_79
.LBB1719_77:                            ; =>This Inner Loop Header: Depth=1
	s_or_b64 s[40:41], s[40:41], exec
	s_cmp_eq_u64 s[6:7], s[42:43]
	s_cbranch_scc0 .LBB1719_75
; %bb.78:                               ;   in Loop: Header=BB1719_77 Depth=1
                                        ; implicit-def: $vgpr20_vgpr21
                                        ; implicit-def: $vgpr22_vgpr23
	s_mov_b64 s[42:43], s[26:27]
	s_branch .LBB1719_76
.LBB1719_79:
	s_or_b64 exec, exec, s[8:9]
	v_cmp_gt_i64_e32 vcc, s[26:27], v[24:25]
	s_orn2_b64 s[40:41], vcc, exec
.LBB1719_80:
	s_or_b64 exec, exec, s[10:11]
.LBB1719_81:
	s_and_b64 s[10:11], s[40:41], exec
.LBB1719_82:
	s_or_b64 exec, exec, s[38:39]
	v_or_b32_e32 v20, 2, v1
	v_cmp_gt_u32_e32 vcc, s48, v20
	s_and_saveexec_b64 s[38:39], vcc
	s_cbranch_execz .LBB1719_93
; %bb.83:
	s_and_b64 vcc, exec, s[4:5]
	s_mov_b64 s[40:41], 0
	s_cbranch_vccnz .LBB1719_92
; %bb.84:
	s_waitcnt lgkmcnt(0)
	v_mul_lo_u32 v22, v17, s26
	v_mul_lo_u32 v23, v16, s27
	v_mad_u64_u32 v[20:21], s[6:7], v16, s26, 0
	v_add3_u32 v21, v21, v23, v22
	v_mul_lo_u32 v22, v11, s26
	v_mul_lo_u32 v23, v10, s27
	v_mad_u64_u32 v[26:27], s[6:7], v10, s26, 0
	v_add3_u32 v27, v27, v23, v22
	v_lshlrev_b64 v[22:23], 3, v[20:21]
	v_mov_b32_e32 v20, s17
	v_add_co_u32_e32 v24, vcc, s16, v22
	v_addc_co_u32_e64 v25, s[6:7], v20, v23, vcc
	v_lshlrev_b64 v[20:21], 3, v[26:27]
	v_mov_b32_e32 v22, s17
	v_add_co_u32_e64 v26, s[6:7], s16, v20
	v_addc_co_u32_e64 v27, s[8:9], v22, v21, s[6:7]
	global_load_dwordx2 v[30:31], v[24:25], off
	global_load_dwordx2 v[32:33], v[26:27], off
	s_mov_b64 s[40:41], -1
	s_waitcnt vmcnt(0)
	v_cmp_eq_u64_e64 s[8:9], v[30:31], v[32:33]
	s_and_saveexec_b64 s[14:15], s[8:9]
	s_cbranch_execz .LBB1719_91
; %bb.85:
	v_mov_b32_e32 v20, s17
	v_addc_co_u32_e64 v21, s[6:7], v21, v20, s[6:7]
	v_add_co_u32_e64 v20, s[6:7], 8, v26
	v_mov_b32_e32 v22, s17
	v_addc_co_u32_e64 v21, s[6:7], 0, v21, s[6:7]
	v_addc_co_u32_e32 v23, vcc, v23, v22, vcc
	v_add_co_u32_e32 v22, vcc, 8, v24
	s_add_u32 s6, s26, -1
	v_addc_co_u32_e32 v23, vcc, 0, v23, vcc
	s_addc_u32 s7, s27, -1
	s_mov_b64 s[8:9], 0
	s_mov_b64 s[42:43], 0
                                        ; implicit-def: $sgpr40_sgpr41
	s_branch .LBB1719_88
.LBB1719_86:                            ;   in Loop: Header=BB1719_88 Depth=1
	global_load_dwordx2 v[24:25], v[22:23], off
	global_load_dwordx2 v[26:27], v[20:21], off
	v_add_co_u32_e32 v20, vcc, 8, v20
	v_addc_co_u32_e32 v21, vcc, 0, v21, vcc
	v_add_co_u32_e32 v22, vcc, 8, v22
	v_addc_co_u32_e32 v23, vcc, 0, v23, vcc
	s_add_u32 s42, s42, 1
	s_addc_u32 s43, s43, 0
	s_andn2_b64 s[40:41], s[40:41], exec
	s_waitcnt vmcnt(0)
	v_cmp_ne_u64_e32 vcc, v[24:25], v[26:27]
	s_and_b64 s[44:45], vcc, exec
	s_or_b64 s[40:41], s[40:41], s[44:45]
.LBB1719_87:                            ;   in Loop: Header=BB1719_88 Depth=1
	s_and_b64 s[44:45], exec, s[40:41]
	s_or_b64 s[8:9], s[44:45], s[8:9]
	v_pk_mov_b32 v[24:25], s[42:43], s[42:43] op_sel:[0,1]
	s_andn2_b64 exec, exec, s[8:9]
	s_cbranch_execz .LBB1719_90
.LBB1719_88:                            ; =>This Inner Loop Header: Depth=1
	s_or_b64 s[40:41], s[40:41], exec
	s_cmp_eq_u64 s[6:7], s[42:43]
	s_cbranch_scc0 .LBB1719_86
; %bb.89:                               ;   in Loop: Header=BB1719_88 Depth=1
                                        ; implicit-def: $vgpr20_vgpr21
                                        ; implicit-def: $vgpr22_vgpr23
	s_mov_b64 s[42:43], s[26:27]
	s_branch .LBB1719_87
.LBB1719_90:
	s_or_b64 exec, exec, s[8:9]
	v_cmp_gt_i64_e32 vcc, s[26:27], v[24:25]
	s_orn2_b64 s[40:41], vcc, exec
.LBB1719_91:
	s_or_b64 exec, exec, s[14:15]
.LBB1719_92:
	s_and_b64 s[14:15], s[40:41], exec
.LBB1719_93:
	s_or_b64 exec, exec, s[38:39]
	v_or_b32_e32 v20, 1, v1
	v_cmp_gt_u32_e32 vcc, s48, v20
	s_mov_b64 s[6:7], 0
	s_and_saveexec_b64 s[38:39], vcc
	s_cbranch_execz .LBB1719_104
; %bb.94:
	s_and_b64 vcc, exec, s[4:5]
	s_mov_b64 s[42:43], 0
	s_cbranch_vccnz .LBB1719_103
; %bb.95:
	s_waitcnt lgkmcnt(0)
	v_mul_lo_u32 v22, v15, s26
	v_mul_lo_u32 v23, v14, s27
	v_mad_u64_u32 v[20:21], s[6:7], v14, s26, 0
	v_add3_u32 v21, v21, v23, v22
	v_mul_lo_u32 v22, v17, s26
	v_mul_lo_u32 v23, v16, s27
	v_mad_u64_u32 v[26:27], s[6:7], v16, s26, 0
	v_add3_u32 v27, v27, v23, v22
	v_lshlrev_b64 v[22:23], 3, v[20:21]
	v_mov_b32_e32 v20, s17
	v_add_co_u32_e32 v24, vcc, s16, v22
	v_addc_co_u32_e64 v25, s[6:7], v20, v23, vcc
	v_lshlrev_b64 v[20:21], 3, v[26:27]
	v_mov_b32_e32 v22, s17
	v_add_co_u32_e64 v26, s[6:7], s16, v20
	v_addc_co_u32_e64 v27, s[8:9], v22, v21, s[6:7]
	global_load_dwordx2 v[30:31], v[24:25], off
	global_load_dwordx2 v[32:33], v[26:27], off
	s_mov_b64 s[42:43], -1
	s_waitcnt vmcnt(0)
	v_cmp_eq_u64_e64 s[8:9], v[30:31], v[32:33]
	s_and_saveexec_b64 s[40:41], s[8:9]
	s_cbranch_execz .LBB1719_102
; %bb.96:
	v_mov_b32_e32 v20, s17
	v_addc_co_u32_e64 v21, s[6:7], v21, v20, s[6:7]
	v_add_co_u32_e64 v20, s[6:7], 8, v26
	v_mov_b32_e32 v22, s17
	v_addc_co_u32_e64 v21, s[6:7], 0, v21, s[6:7]
	v_addc_co_u32_e32 v23, vcc, v23, v22, vcc
	v_add_co_u32_e32 v22, vcc, 8, v24
	s_add_u32 s6, s26, -1
	v_addc_co_u32_e32 v23, vcc, 0, v23, vcc
	s_addc_u32 s7, s27, -1
	s_mov_b64 s[8:9], 0
	s_mov_b64 s[44:45], 0
                                        ; implicit-def: $sgpr42_sgpr43
	s_branch .LBB1719_99
.LBB1719_97:                            ;   in Loop: Header=BB1719_99 Depth=1
	global_load_dwordx2 v[24:25], v[22:23], off
	global_load_dwordx2 v[26:27], v[20:21], off
	v_add_co_u32_e32 v20, vcc, 8, v20
	v_addc_co_u32_e32 v21, vcc, 0, v21, vcc
	v_add_co_u32_e32 v22, vcc, 8, v22
	v_addc_co_u32_e32 v23, vcc, 0, v23, vcc
	s_add_u32 s44, s44, 1
	s_addc_u32 s45, s45, 0
	s_andn2_b64 s[42:43], s[42:43], exec
	s_waitcnt vmcnt(0)
	v_cmp_ne_u64_e32 vcc, v[24:25], v[26:27]
	s_and_b64 s[46:47], vcc, exec
	s_or_b64 s[42:43], s[42:43], s[46:47]
.LBB1719_98:                            ;   in Loop: Header=BB1719_99 Depth=1
	s_and_b64 s[46:47], exec, s[42:43]
	s_or_b64 s[8:9], s[46:47], s[8:9]
	v_pk_mov_b32 v[24:25], s[44:45], s[44:45] op_sel:[0,1]
	s_andn2_b64 exec, exec, s[8:9]
	s_cbranch_execz .LBB1719_101
.LBB1719_99:                            ; =>This Inner Loop Header: Depth=1
	s_or_b64 s[42:43], s[42:43], exec
	s_cmp_eq_u64 s[6:7], s[44:45]
	s_cbranch_scc0 .LBB1719_97
; %bb.100:                              ;   in Loop: Header=BB1719_99 Depth=1
                                        ; implicit-def: $vgpr20_vgpr21
                                        ; implicit-def: $vgpr22_vgpr23
	s_mov_b64 s[44:45], s[26:27]
	s_branch .LBB1719_98
.LBB1719_101:
	s_or_b64 exec, exec, s[8:9]
	v_cmp_gt_i64_e32 vcc, s[26:27], v[24:25]
	s_orn2_b64 s[42:43], vcc, exec
.LBB1719_102:
	s_or_b64 exec, exec, s[40:41]
.LBB1719_103:
	s_and_b64 s[6:7], s[42:43], exec
.LBB1719_104:
	s_or_b64 exec, exec, s[38:39]
	s_waitcnt lgkmcnt(0)
	s_barrier
	s_and_saveexec_b64 s[8:9], s[2:3]
	s_cbranch_execz .LBB1719_106
; %bb.105:
	s_waitcnt vmcnt(0)
	v_add_u32_e32 v18, -8, v29
	ds_read_b64 v[18:19], v18
.LBB1719_106:
	s_or_b64 exec, exec, s[8:9]
	v_cndmask_b32_e64 v21, 0, 1, s[10:11]
	v_cndmask_b32_e64 v20, 0, 1, s[14:15]
	v_cndmask_b32_e64 v22, 0, 1, s[6:7]
	v_lshlrev_b16_e32 v21, 8, v21
	v_lshlrev_b16_e32 v26, 8, v22
	v_or_b32_sdwa v27, v20, v21 dst_sel:WORD_1 dst_unused:UNUSED_PAD src0_sel:DWORD src1_sel:DWORD
	v_cmp_gt_u32_e32 vcc, s48, v1
	s_mov_b64 s[38:39], 0
	s_and_saveexec_b64 s[8:9], vcc
	s_cbranch_execz .LBB1719_117
; %bb.107:
	s_and_b64 vcc, exec, s[4:5]
	s_mov_b64 s[14:15], 0
	s_cbranch_vccnz .LBB1719_116
; %bb.108:
	s_waitcnt vmcnt(0) lgkmcnt(0)
	v_mul_lo_u32 v20, v19, s26
	v_mul_lo_u32 v21, v18, s27
	v_mad_u64_u32 v[18:19], s[4:5], v18, s26, 0
	v_add3_u32 v19, v19, v21, v20
	v_mul_lo_u32 v20, v15, s26
	v_mul_lo_u32 v21, v14, s27
	v_mad_u64_u32 v[24:25], s[4:5], v14, s26, 0
	v_add3_u32 v25, v25, v21, v20
	v_lshlrev_b64 v[20:21], 3, v[18:19]
	v_mov_b32_e32 v18, s17
	v_add_co_u32_e32 v22, vcc, s16, v20
	v_addc_co_u32_e64 v23, s[4:5], v18, v21, vcc
	v_lshlrev_b64 v[18:19], 3, v[24:25]
	v_mov_b32_e32 v20, s17
	v_add_co_u32_e64 v24, s[4:5], s16, v18
	v_addc_co_u32_e64 v25, s[6:7], v20, v19, s[4:5]
	global_load_dwordx2 v[28:29], v[22:23], off
	global_load_dwordx2 v[30:31], v[24:25], off
	s_mov_b64 s[14:15], -1
	s_waitcnt vmcnt(0)
	v_cmp_eq_u64_e64 s[6:7], v[28:29], v[30:31]
	s_and_saveexec_b64 s[10:11], s[6:7]
	s_cbranch_execz .LBB1719_115
; %bb.109:
	v_mov_b32_e32 v18, s17
	v_addc_co_u32_e64 v19, s[4:5], v19, v18, s[4:5]
	v_add_co_u32_e64 v18, s[4:5], 8, v24
	v_mov_b32_e32 v20, s17
	v_addc_co_u32_e64 v19, s[4:5], 0, v19, s[4:5]
	v_addc_co_u32_e32 v21, vcc, v21, v20, vcc
	v_add_co_u32_e32 v20, vcc, 8, v22
	s_add_u32 s4, s26, -1
	v_addc_co_u32_e32 v21, vcc, 0, v21, vcc
	s_addc_u32 s5, s27, -1
	s_mov_b64 s[6:7], 0
                                        ; implicit-def: $sgpr14_sgpr15
	s_branch .LBB1719_112
.LBB1719_110:                           ;   in Loop: Header=BB1719_112 Depth=1
	global_load_dwordx2 v[22:23], v[20:21], off
	global_load_dwordx2 v[24:25], v[18:19], off
	v_add_co_u32_e32 v18, vcc, 8, v18
	v_addc_co_u32_e32 v19, vcc, 0, v19, vcc
	v_add_co_u32_e32 v20, vcc, 8, v20
	v_addc_co_u32_e32 v21, vcc, 0, v21, vcc
	s_add_u32 s38, s38, 1
	s_addc_u32 s39, s39, 0
	s_andn2_b64 s[14:15], s[14:15], exec
	s_waitcnt vmcnt(0)
	v_cmp_ne_u64_e32 vcc, v[22:23], v[24:25]
	s_and_b64 s[40:41], vcc, exec
	s_or_b64 s[14:15], s[14:15], s[40:41]
.LBB1719_111:                           ;   in Loop: Header=BB1719_112 Depth=1
	s_and_b64 s[40:41], exec, s[14:15]
	s_or_b64 s[6:7], s[40:41], s[6:7]
	v_pk_mov_b32 v[22:23], s[38:39], s[38:39] op_sel:[0,1]
	s_andn2_b64 exec, exec, s[6:7]
	s_cbranch_execz .LBB1719_114
.LBB1719_112:                           ; =>This Inner Loop Header: Depth=1
	s_or_b64 s[14:15], s[14:15], exec
	s_cmp_eq_u64 s[4:5], s[38:39]
	s_cbranch_scc0 .LBB1719_110
; %bb.113:                              ;   in Loop: Header=BB1719_112 Depth=1
                                        ; implicit-def: $vgpr18_vgpr19
                                        ; implicit-def: $vgpr20_vgpr21
	s_mov_b64 s[38:39], s[26:27]
	s_branch .LBB1719_111
.LBB1719_114:
	s_or_b64 exec, exec, s[6:7]
	v_cmp_gt_i64_e32 vcc, s[26:27], v[22:23]
	s_orn2_b64 s[14:15], vcc, exec
.LBB1719_115:
	s_or_b64 exec, exec, s[10:11]
.LBB1719_116:
	s_and_b64 s[38:39], s[14:15], exec
.LBB1719_117:
	s_or_b64 exec, exec, s[8:9]
	v_or_b32_e32 v28, v26, v27
.LBB1719_118:
	s_mov_b64 s[14:15], -1
	s_cbranch_execnz .LBB1719_207
.LBB1719_119:
	v_lshlrev_b32_e32 v29, 3, v0
	s_mov_b64 s[38:39], 0
	v_cmp_gt_i64_e64 s[10:11], s[26:27], 0
	s_and_b64 vcc, exec, s[34:35]
	ds_write_b64 v29, v[12:13]
	s_cbranch_vccz .LBB1719_127
; %bb.120:
	v_mul_lo_u32 v20, v11, s26
	v_mul_lo_u32 v21, v10, s27
	s_waitcnt vmcnt(0) lgkmcnt(1)
	v_mad_u64_u32 v[18:19], s[4:5], v10, s26, 0
	v_add3_u32 v19, v19, v21, v20
	v_cndmask_b32_e64 v20, 0, 1, s[10:11]
	v_cmp_ne_u32_e64 s[4:5], 1, v20
	s_andn2_b64 vcc, exec, s[10:11]
	v_lshlrev_b64 v[18:19], 3, v[18:19]
	s_cbranch_vccnz .LBB1719_130
; %bb.121:
	v_mul_lo_u32 v22, v13, s26
	v_mul_lo_u32 v23, v12, s27
	v_mad_u64_u32 v[20:21], s[6:7], v12, s26, 0
	v_add3_u32 v21, v21, v23, v22
	v_mov_b32_e32 v23, s17
	v_add_co_u32_e32 v22, vcc, s16, v18
	v_addc_co_u32_e64 v23, s[6:7], v23, v19, vcc
	v_lshlrev_b64 v[20:21], 3, v[20:21]
	v_mov_b32_e32 v25, s17
	v_add_co_u32_e64 v24, s[6:7], s16, v20
	v_addc_co_u32_e64 v25, s[8:9], v25, v21, s[6:7]
	global_load_dwordx2 v[26:27], v[22:23], off
	global_load_dwordx2 v[30:31], v[24:25], off
	s_mov_b64 s[38:39], -1
	s_waitcnt vmcnt(0)
	v_cmp_eq_u64_e64 s[8:9], v[26:27], v[30:31]
	s_and_saveexec_b64 s[40:41], s[8:9]
	s_cbranch_execz .LBB1719_129
; %bb.122:
	v_mov_b32_e32 v20, s17
	v_addc_co_u32_e64 v21, s[6:7], v21, v20, s[6:7]
	v_add_co_u32_e64 v20, s[6:7], 8, v24
	v_mov_b32_e32 v23, s17
	v_addc_co_u32_e64 v21, s[6:7], 0, v21, s[6:7]
	v_addc_co_u32_e32 v23, vcc, v19, v23, vcc
	v_add_co_u32_e32 v22, vcc, 8, v22
	s_add_u32 s6, s26, -1
	v_addc_co_u32_e32 v23, vcc, 0, v23, vcc
	s_addc_u32 s7, s27, -1
	s_mov_b64 s[8:9], 0
	s_mov_b64 s[42:43], 0
                                        ; implicit-def: $sgpr38_sgpr39
	s_branch .LBB1719_125
.LBB1719_123:                           ;   in Loop: Header=BB1719_125 Depth=1
	global_load_dwordx2 v[24:25], v[22:23], off
	global_load_dwordx2 v[26:27], v[20:21], off
	v_add_co_u32_e32 v20, vcc, 8, v20
	v_addc_co_u32_e32 v21, vcc, 0, v21, vcc
	v_add_co_u32_e32 v22, vcc, 8, v22
	v_addc_co_u32_e32 v23, vcc, 0, v23, vcc
	s_add_u32 s42, s42, 1
	s_addc_u32 s43, s43, 0
	s_andn2_b64 s[38:39], s[38:39], exec
	s_waitcnt vmcnt(0)
	v_cmp_ne_u64_e32 vcc, v[24:25], v[26:27]
	s_and_b64 s[44:45], vcc, exec
	s_or_b64 s[38:39], s[38:39], s[44:45]
.LBB1719_124:                           ;   in Loop: Header=BB1719_125 Depth=1
	s_and_b64 s[44:45], exec, s[38:39]
	s_or_b64 s[8:9], s[44:45], s[8:9]
	v_pk_mov_b32 v[24:25], s[42:43], s[42:43] op_sel:[0,1]
	s_andn2_b64 exec, exec, s[8:9]
	s_cbranch_execz .LBB1719_128
.LBB1719_125:                           ; =>This Inner Loop Header: Depth=1
	s_or_b64 s[38:39], s[38:39], exec
	s_cmp_eq_u64 s[6:7], s[42:43]
	s_cbranch_scc0 .LBB1719_123
; %bb.126:                              ;   in Loop: Header=BB1719_125 Depth=1
                                        ; implicit-def: $vgpr20_vgpr21
                                        ; implicit-def: $vgpr22_vgpr23
	s_mov_b64 s[42:43], s[26:27]
	s_branch .LBB1719_124
.LBB1719_127:
                                        ; implicit-def: $sgpr38_sgpr39
                                        ; implicit-def: $vgpr28
	s_cbranch_execnz .LBB1719_160
	s_branch .LBB1719_207
.LBB1719_128:
	s_or_b64 exec, exec, s[8:9]
	v_cmp_gt_i64_e32 vcc, s[26:27], v[24:25]
	s_orn2_b64 s[38:39], vcc, exec
.LBB1719_129:
	s_or_b64 exec, exec, s[40:41]
.LBB1719_130:
	v_mul_lo_u32 v22, v17, s26
	v_mul_lo_u32 v23, v16, s27
	v_mad_u64_u32 v[20:21], s[6:7], v16, s26, 0
	v_add3_u32 v21, v21, v23, v22
	s_mov_b64 s[40:41], 0
	s_and_b64 vcc, exec, s[4:5]
	v_lshlrev_b64 v[20:21], 3, v[20:21]
	s_mov_b64 s[42:43], 0
	s_cbranch_vccnz .LBB1719_139
; %bb.131:
	v_mov_b32_e32 v23, s17
	v_add_co_u32_e32 v22, vcc, s16, v20
	v_addc_co_u32_e64 v23, s[6:7], v23, v21, vcc
	v_mov_b32_e32 v25, s17
	v_add_co_u32_e64 v24, s[6:7], s16, v18
	v_addc_co_u32_e64 v25, s[8:9], v25, v19, s[6:7]
	global_load_dwordx2 v[26:27], v[22:23], off
	global_load_dwordx2 v[30:31], v[24:25], off
	s_mov_b64 s[42:43], -1
	s_waitcnt vmcnt(0)
	v_cmp_eq_u64_e64 s[8:9], v[26:27], v[30:31]
	s_and_saveexec_b64 s[44:45], s[8:9]
	s_cbranch_execz .LBB1719_138
; %bb.132:
	v_mov_b32_e32 v18, s17
	v_addc_co_u32_e64 v19, s[6:7], v19, v18, s[6:7]
	v_add_co_u32_e64 v18, s[6:7], 8, v24
	v_mov_b32_e32 v23, s17
	v_addc_co_u32_e64 v19, s[6:7], 0, v19, s[6:7]
	v_addc_co_u32_e32 v23, vcc, v21, v23, vcc
	v_add_co_u32_e32 v22, vcc, 8, v22
	s_add_u32 s6, s26, -1
	v_addc_co_u32_e32 v23, vcc, 0, v23, vcc
	s_addc_u32 s7, s27, -1
	s_mov_b64 s[8:9], 0
	s_mov_b64 s[46:47], 0
                                        ; implicit-def: $sgpr42_sgpr43
	s_branch .LBB1719_135
.LBB1719_133:                           ;   in Loop: Header=BB1719_135 Depth=1
	global_load_dwordx2 v[24:25], v[22:23], off
	global_load_dwordx2 v[26:27], v[18:19], off
	v_add_co_u32_e32 v18, vcc, 8, v18
	v_addc_co_u32_e32 v19, vcc, 0, v19, vcc
	v_add_co_u32_e32 v22, vcc, 8, v22
	v_addc_co_u32_e32 v23, vcc, 0, v23, vcc
	s_add_u32 s46, s46, 1
	s_addc_u32 s47, s47, 0
	s_andn2_b64 s[42:43], s[42:43], exec
	s_waitcnt vmcnt(0)
	v_cmp_ne_u64_e32 vcc, v[24:25], v[26:27]
	s_and_b64 s[50:51], vcc, exec
	s_or_b64 s[42:43], s[42:43], s[50:51]
.LBB1719_134:                           ;   in Loop: Header=BB1719_135 Depth=1
	s_and_b64 s[50:51], exec, s[42:43]
	s_or_b64 s[8:9], s[50:51], s[8:9]
	v_pk_mov_b32 v[24:25], s[46:47], s[46:47] op_sel:[0,1]
	s_andn2_b64 exec, exec, s[8:9]
	s_cbranch_execz .LBB1719_137
.LBB1719_135:                           ; =>This Inner Loop Header: Depth=1
	s_or_b64 s[42:43], s[42:43], exec
	s_cmp_eq_u64 s[6:7], s[46:47]
	s_cbranch_scc0 .LBB1719_133
; %bb.136:                              ;   in Loop: Header=BB1719_135 Depth=1
                                        ; implicit-def: $vgpr18_vgpr19
                                        ; implicit-def: $vgpr22_vgpr23
	s_mov_b64 s[46:47], s[26:27]
	s_branch .LBB1719_134
.LBB1719_137:
	s_or_b64 exec, exec, s[8:9]
	v_cmp_gt_i64_e32 vcc, s[26:27], v[24:25]
	s_orn2_b64 s[42:43], vcc, exec
.LBB1719_138:
	s_or_b64 exec, exec, s[44:45]
.LBB1719_139:
	v_mul_lo_u32 v22, v15, s26
	v_mul_lo_u32 v23, v14, s27
	v_mad_u64_u32 v[18:19], s[6:7], v14, s26, 0
	s_and_b64 vcc, exec, s[4:5]
	v_add3_u32 v19, v19, v23, v22
	s_cbranch_vccnz .LBB1719_148
; %bb.140:
	v_lshlrev_b64 v[22:23], 3, v[18:19]
	v_mov_b32_e32 v25, s17
	v_add_co_u32_e32 v24, vcc, s16, v22
	v_addc_co_u32_e64 v25, s[6:7], v25, v23, vcc
	v_mov_b32_e32 v22, s17
	v_add_co_u32_e64 v26, s[6:7], s16, v20
	v_addc_co_u32_e64 v27, s[8:9], v22, v21, s[6:7]
	global_load_dwordx2 v[30:31], v[24:25], off
	global_load_dwordx2 v[32:33], v[26:27], off
	s_mov_b64 s[40:41], -1
	s_waitcnt vmcnt(0)
	v_cmp_eq_u64_e64 s[8:9], v[30:31], v[32:33]
	s_and_saveexec_b64 s[44:45], s[8:9]
	s_cbranch_execz .LBB1719_147
; %bb.141:
	v_mov_b32_e32 v20, s17
	v_addc_co_u32_e64 v21, s[6:7], v21, v20, s[6:7]
	v_add_co_u32_e64 v20, s[6:7], 8, v26
	v_mov_b32_e32 v22, s17
	v_addc_co_u32_e64 v21, s[6:7], 0, v21, s[6:7]
	v_addc_co_u32_e32 v23, vcc, v23, v22, vcc
	v_add_co_u32_e32 v22, vcc, 8, v24
	s_add_u32 s6, s26, -1
	v_addc_co_u32_e32 v23, vcc, 0, v23, vcc
	s_addc_u32 s7, s27, -1
	s_mov_b64 s[8:9], 0
	s_mov_b64 s[46:47], 0
                                        ; implicit-def: $sgpr40_sgpr41
	s_branch .LBB1719_144
.LBB1719_142:                           ;   in Loop: Header=BB1719_144 Depth=1
	global_load_dwordx2 v[24:25], v[22:23], off
	global_load_dwordx2 v[26:27], v[20:21], off
	v_add_co_u32_e32 v20, vcc, 8, v20
	v_addc_co_u32_e32 v21, vcc, 0, v21, vcc
	v_add_co_u32_e32 v22, vcc, 8, v22
	v_addc_co_u32_e32 v23, vcc, 0, v23, vcc
	s_add_u32 s46, s46, 1
	s_addc_u32 s47, s47, 0
	s_andn2_b64 s[40:41], s[40:41], exec
	s_waitcnt vmcnt(0)
	v_cmp_ne_u64_e32 vcc, v[24:25], v[26:27]
	s_and_b64 s[50:51], vcc, exec
	s_or_b64 s[40:41], s[40:41], s[50:51]
.LBB1719_143:                           ;   in Loop: Header=BB1719_144 Depth=1
	s_and_b64 s[50:51], exec, s[40:41]
	s_or_b64 s[8:9], s[50:51], s[8:9]
	v_pk_mov_b32 v[24:25], s[46:47], s[46:47] op_sel:[0,1]
	s_andn2_b64 exec, exec, s[8:9]
	s_cbranch_execz .LBB1719_146
.LBB1719_144:                           ; =>This Inner Loop Header: Depth=1
	s_or_b64 s[40:41], s[40:41], exec
	s_cmp_eq_u64 s[6:7], s[46:47]
	s_cbranch_scc0 .LBB1719_142
; %bb.145:                              ;   in Loop: Header=BB1719_144 Depth=1
                                        ; implicit-def: $vgpr20_vgpr21
                                        ; implicit-def: $vgpr22_vgpr23
	s_mov_b64 s[46:47], s[26:27]
	s_branch .LBB1719_143
.LBB1719_146:
	s_or_b64 exec, exec, s[8:9]
	v_cmp_gt_i64_e32 vcc, s[26:27], v[24:25]
	s_orn2_b64 s[40:41], vcc, exec
.LBB1719_147:
	s_or_b64 exec, exec, s[44:45]
.LBB1719_148:
	v_cndmask_b32_e64 v21, 0, 1, s[38:39]
	v_cndmask_b32_e64 v22, 0, 1, s[40:41]
	;; [unrolled: 1-line block ×3, first 2 shown]
	v_lshlrev_b16_e32 v22, 8, v22
	v_lshlrev_b16_e32 v21, 8, v21
	v_or_b32_e32 v22, 1, v22
	v_or_b32_sdwa v20, v20, v21 dst_sel:WORD_1 dst_unused:UNUSED_PAD src0_sel:DWORD src1_sel:DWORD
	v_or_b32_sdwa v28, v22, v20 dst_sel:DWORD dst_unused:UNUSED_PAD src0_sel:WORD_0 src1_sel:DWORD
	s_waitcnt lgkmcnt(0)
	s_barrier
	s_waitcnt lgkmcnt(0)
                                        ; implicit-def: $sgpr38_sgpr39
	s_and_saveexec_b64 s[6:7], s[2:3]
	s_xor_b64 s[8:9], exec, s[6:7]
	s_cbranch_execz .LBB1719_159
; %bb.149:
	s_and_b64 vcc, exec, s[4:5]
	s_mov_b64 s[40:41], 0
	s_cbranch_vccnz .LBB1719_158
; %bb.150:
	v_add_u32_e32 v20, -8, v29
	ds_read_b64 v[20:21], v20
	v_mov_b32_e32 v23, s17
	v_lshlrev_b64 v[18:19], 3, v[18:19]
	s_mov_b64 s[40:41], -1
	s_waitcnt lgkmcnt(0)
	v_mul_lo_u32 v22, v21, s26
	v_mul_lo_u32 v24, v20, s27
	v_mad_u64_u32 v[20:21], s[4:5], v20, s26, 0
	v_add3_u32 v21, v21, v24, v22
	v_lshlrev_b64 v[20:21], 3, v[20:21]
	v_add_co_u32_e32 v22, vcc, s16, v20
	v_addc_co_u32_e64 v23, s[4:5], v23, v21, vcc
	v_mov_b32_e32 v20, s17
	v_add_co_u32_e64 v24, s[4:5], s16, v18
	v_addc_co_u32_e64 v25, s[6:7], v20, v19, s[4:5]
	global_load_dwordx2 v[26:27], v[22:23], off
	global_load_dwordx2 v[30:31], v[24:25], off
	s_waitcnt vmcnt(0)
	v_cmp_eq_u64_e64 s[6:7], v[26:27], v[30:31]
	s_and_saveexec_b64 s[38:39], s[6:7]
	s_cbranch_execz .LBB1719_157
; %bb.151:
	v_mov_b32_e32 v18, s17
	v_addc_co_u32_e64 v19, s[4:5], v19, v18, s[4:5]
	v_add_co_u32_e64 v18, s[4:5], 8, v24
	v_mov_b32_e32 v20, s17
	v_addc_co_u32_e64 v19, s[4:5], 0, v19, s[4:5]
	v_addc_co_u32_e32 v21, vcc, v21, v20, vcc
	v_add_co_u32_e32 v20, vcc, 8, v22
	s_add_u32 s4, s26, -1
	v_addc_co_u32_e32 v21, vcc, 0, v21, vcc
	s_addc_u32 s5, s27, -1
	s_mov_b64 s[6:7], 0
	s_mov_b64 s[42:43], 0
                                        ; implicit-def: $sgpr40_sgpr41
	s_branch .LBB1719_154
.LBB1719_152:                           ;   in Loop: Header=BB1719_154 Depth=1
	global_load_dwordx2 v[22:23], v[20:21], off
	global_load_dwordx2 v[24:25], v[18:19], off
	v_add_co_u32_e32 v18, vcc, 8, v18
	v_addc_co_u32_e32 v19, vcc, 0, v19, vcc
	v_add_co_u32_e32 v20, vcc, 8, v20
	v_addc_co_u32_e32 v21, vcc, 0, v21, vcc
	s_add_u32 s42, s42, 1
	s_addc_u32 s43, s43, 0
	s_andn2_b64 s[40:41], s[40:41], exec
	s_waitcnt vmcnt(0)
	v_cmp_ne_u64_e32 vcc, v[22:23], v[24:25]
	s_and_b64 s[44:45], vcc, exec
	s_or_b64 s[40:41], s[40:41], s[44:45]
.LBB1719_153:                           ;   in Loop: Header=BB1719_154 Depth=1
	s_and_b64 s[44:45], exec, s[40:41]
	s_or_b64 s[6:7], s[44:45], s[6:7]
	v_pk_mov_b32 v[22:23], s[42:43], s[42:43] op_sel:[0,1]
	s_andn2_b64 exec, exec, s[6:7]
	s_cbranch_execz .LBB1719_156
.LBB1719_154:                           ; =>This Inner Loop Header: Depth=1
	s_or_b64 s[40:41], s[40:41], exec
	s_cmp_eq_u64 s[4:5], s[42:43]
	s_cbranch_scc0 .LBB1719_152
; %bb.155:                              ;   in Loop: Header=BB1719_154 Depth=1
                                        ; implicit-def: $vgpr18_vgpr19
                                        ; implicit-def: $vgpr20_vgpr21
	s_mov_b64 s[42:43], s[26:27]
	s_branch .LBB1719_153
.LBB1719_156:
	s_or_b64 exec, exec, s[6:7]
	v_cmp_gt_i64_e32 vcc, s[26:27], v[22:23]
	s_orn2_b64 s[40:41], vcc, exec
.LBB1719_157:
	s_or_b64 exec, exec, s[38:39]
.LBB1719_158:
	s_and_b64 s[38:39], s[40:41], exec
	s_or_b64 s[14:15], s[14:15], exec
.LBB1719_159:
	s_or_b64 exec, exec, s[8:9]
	s_branch .LBB1719_207
.LBB1719_160:
	s_waitcnt vmcnt(0) lgkmcnt(1)
	v_or_b32_e32 v18, 3, v1
	v_cmp_gt_u32_e32 vcc, s48, v18
	s_mov_b64 s[38:39], 0
	s_mov_b64 s[8:9], 0
	s_and_saveexec_b64 s[40:41], vcc
	s_cbranch_execz .LBB1719_171
; %bb.161:
	s_andn2_b64 vcc, exec, s[10:11]
	s_mov_b64 s[42:43], 0
	s_cbranch_vccnz .LBB1719_170
; %bb.162:
	v_mul_lo_u32 v20, v11, s26
	v_mul_lo_u32 v21, v10, s27
	v_mad_u64_u32 v[18:19], s[4:5], v10, s26, 0
	v_add3_u32 v19, v19, v21, v20
	v_mul_lo_u32 v20, v13, s26
	v_mul_lo_u32 v21, v12, s27
	v_mad_u64_u32 v[24:25], s[4:5], v12, s26, 0
	v_add3_u32 v25, v25, v21, v20
	v_lshlrev_b64 v[20:21], 3, v[18:19]
	v_mov_b32_e32 v18, s17
	v_add_co_u32_e32 v22, vcc, s16, v20
	v_addc_co_u32_e64 v23, s[4:5], v18, v21, vcc
	v_lshlrev_b64 v[18:19], 3, v[24:25]
	v_mov_b32_e32 v20, s17
	v_add_co_u32_e64 v24, s[4:5], s16, v18
	v_addc_co_u32_e64 v25, s[6:7], v20, v19, s[4:5]
	global_load_dwordx2 v[26:27], v[22:23], off
	global_load_dwordx2 v[30:31], v[24:25], off
	s_mov_b64 s[42:43], -1
	s_waitcnt vmcnt(0)
	v_cmp_eq_u64_e64 s[6:7], v[26:27], v[30:31]
	s_and_saveexec_b64 s[8:9], s[6:7]
	s_cbranch_execz .LBB1719_169
; %bb.163:
	v_mov_b32_e32 v18, s17
	v_addc_co_u32_e64 v19, s[4:5], v19, v18, s[4:5]
	v_add_co_u32_e64 v18, s[4:5], 8, v24
	v_mov_b32_e32 v20, s17
	v_addc_co_u32_e64 v19, s[4:5], 0, v19, s[4:5]
	v_addc_co_u32_e32 v21, vcc, v21, v20, vcc
	v_add_co_u32_e32 v20, vcc, 8, v22
	s_add_u32 s4, s26, -1
	v_addc_co_u32_e32 v21, vcc, 0, v21, vcc
	s_addc_u32 s5, s27, -1
	s_mov_b64 s[6:7], 0
	s_mov_b64 s[44:45], 0
                                        ; implicit-def: $sgpr42_sgpr43
	s_branch .LBB1719_166
.LBB1719_164:                           ;   in Loop: Header=BB1719_166 Depth=1
	global_load_dwordx2 v[22:23], v[20:21], off
	global_load_dwordx2 v[24:25], v[18:19], off
	v_add_co_u32_e32 v18, vcc, 8, v18
	v_addc_co_u32_e32 v19, vcc, 0, v19, vcc
	v_add_co_u32_e32 v20, vcc, 8, v20
	v_addc_co_u32_e32 v21, vcc, 0, v21, vcc
	s_add_u32 s44, s44, 1
	s_addc_u32 s45, s45, 0
	s_andn2_b64 s[42:43], s[42:43], exec
	s_waitcnt vmcnt(0)
	v_cmp_ne_u64_e32 vcc, v[22:23], v[24:25]
	s_and_b64 s[46:47], vcc, exec
	s_or_b64 s[42:43], s[42:43], s[46:47]
.LBB1719_165:                           ;   in Loop: Header=BB1719_166 Depth=1
	s_and_b64 s[46:47], exec, s[42:43]
	s_or_b64 s[6:7], s[46:47], s[6:7]
	v_pk_mov_b32 v[22:23], s[44:45], s[44:45] op_sel:[0,1]
	s_andn2_b64 exec, exec, s[6:7]
	s_cbranch_execz .LBB1719_168
.LBB1719_166:                           ; =>This Inner Loop Header: Depth=1
	s_or_b64 s[42:43], s[42:43], exec
	s_cmp_eq_u64 s[4:5], s[44:45]
	s_cbranch_scc0 .LBB1719_164
; %bb.167:                              ;   in Loop: Header=BB1719_166 Depth=1
                                        ; implicit-def: $vgpr18_vgpr19
                                        ; implicit-def: $vgpr20_vgpr21
	s_mov_b64 s[44:45], s[26:27]
	s_branch .LBB1719_165
.LBB1719_168:
	s_or_b64 exec, exec, s[6:7]
	v_cmp_gt_i64_e32 vcc, s[26:27], v[22:23]
	s_orn2_b64 s[42:43], vcc, exec
.LBB1719_169:
	s_or_b64 exec, exec, s[8:9]
.LBB1719_170:
	s_and_b64 s[8:9], s[42:43], exec
.LBB1719_171:
	s_or_b64 exec, exec, s[40:41]
	v_or_b32_e32 v18, 2, v1
	v_cmp_gt_u32_e32 vcc, s48, v18
	s_and_saveexec_b64 s[40:41], vcc
	s_cbranch_execz .LBB1719_182
; %bb.172:
	s_andn2_b64 vcc, exec, s[10:11]
	s_mov_b64 s[42:43], 0
	s_cbranch_vccnz .LBB1719_181
; %bb.173:
	v_mul_lo_u32 v20, v17, s26
	v_mul_lo_u32 v21, v16, s27
	v_mad_u64_u32 v[18:19], s[4:5], v16, s26, 0
	v_add3_u32 v19, v19, v21, v20
	v_mul_lo_u32 v20, v11, s26
	v_mul_lo_u32 v21, v10, s27
	v_mad_u64_u32 v[24:25], s[4:5], v10, s26, 0
	v_add3_u32 v25, v25, v21, v20
	v_lshlrev_b64 v[20:21], 3, v[18:19]
	v_mov_b32_e32 v18, s17
	v_add_co_u32_e32 v22, vcc, s16, v20
	v_addc_co_u32_e64 v23, s[4:5], v18, v21, vcc
	v_lshlrev_b64 v[18:19], 3, v[24:25]
	v_mov_b32_e32 v20, s17
	v_add_co_u32_e64 v24, s[4:5], s16, v18
	v_addc_co_u32_e64 v25, s[6:7], v20, v19, s[4:5]
	global_load_dwordx2 v[26:27], v[22:23], off
	global_load_dwordx2 v[30:31], v[24:25], off
	s_mov_b64 s[42:43], -1
	s_waitcnt vmcnt(0)
	v_cmp_eq_u64_e64 s[6:7], v[26:27], v[30:31]
	s_and_saveexec_b64 s[38:39], s[6:7]
	s_cbranch_execz .LBB1719_180
; %bb.174:
	v_mov_b32_e32 v18, s17
	v_addc_co_u32_e64 v19, s[4:5], v19, v18, s[4:5]
	v_add_co_u32_e64 v18, s[4:5], 8, v24
	v_mov_b32_e32 v20, s17
	v_addc_co_u32_e64 v19, s[4:5], 0, v19, s[4:5]
	v_addc_co_u32_e32 v21, vcc, v21, v20, vcc
	v_add_co_u32_e32 v20, vcc, 8, v22
	s_add_u32 s4, s26, -1
	v_addc_co_u32_e32 v21, vcc, 0, v21, vcc
	s_addc_u32 s5, s27, -1
	s_mov_b64 s[6:7], 0
	s_mov_b64 s[44:45], 0
                                        ; implicit-def: $sgpr42_sgpr43
	s_branch .LBB1719_177
.LBB1719_175:                           ;   in Loop: Header=BB1719_177 Depth=1
	global_load_dwordx2 v[22:23], v[20:21], off
	global_load_dwordx2 v[24:25], v[18:19], off
	v_add_co_u32_e32 v18, vcc, 8, v18
	v_addc_co_u32_e32 v19, vcc, 0, v19, vcc
	v_add_co_u32_e32 v20, vcc, 8, v20
	v_addc_co_u32_e32 v21, vcc, 0, v21, vcc
	s_add_u32 s44, s44, 1
	s_addc_u32 s45, s45, 0
	s_andn2_b64 s[42:43], s[42:43], exec
	s_waitcnt vmcnt(0)
	v_cmp_ne_u64_e32 vcc, v[22:23], v[24:25]
	s_and_b64 s[46:47], vcc, exec
	s_or_b64 s[42:43], s[42:43], s[46:47]
.LBB1719_176:                           ;   in Loop: Header=BB1719_177 Depth=1
	s_and_b64 s[46:47], exec, s[42:43]
	s_or_b64 s[6:7], s[46:47], s[6:7]
	v_pk_mov_b32 v[22:23], s[44:45], s[44:45] op_sel:[0,1]
	s_andn2_b64 exec, exec, s[6:7]
	s_cbranch_execz .LBB1719_179
.LBB1719_177:                           ; =>This Inner Loop Header: Depth=1
	s_or_b64 s[42:43], s[42:43], exec
	s_cmp_eq_u64 s[4:5], s[44:45]
	s_cbranch_scc0 .LBB1719_175
; %bb.178:                              ;   in Loop: Header=BB1719_177 Depth=1
                                        ; implicit-def: $vgpr18_vgpr19
                                        ; implicit-def: $vgpr20_vgpr21
	s_mov_b64 s[44:45], s[26:27]
	s_branch .LBB1719_176
.LBB1719_179:
	s_or_b64 exec, exec, s[6:7]
	v_cmp_gt_i64_e32 vcc, s[26:27], v[22:23]
	s_orn2_b64 s[42:43], vcc, exec
.LBB1719_180:
	s_or_b64 exec, exec, s[38:39]
.LBB1719_181:
	s_and_b64 s[38:39], s[42:43], exec
.LBB1719_182:
	s_or_b64 exec, exec, s[40:41]
	v_or_b32_e32 v18, 1, v1
	v_cmp_gt_u32_e32 vcc, s48, v18
	s_mov_b64 s[4:5], 0
	s_and_saveexec_b64 s[40:41], vcc
	s_cbranch_execz .LBB1719_193
; %bb.183:
	s_andn2_b64 vcc, exec, s[10:11]
	s_mov_b64 s[44:45], 0
	s_cbranch_vccnz .LBB1719_192
; %bb.184:
	v_mul_lo_u32 v20, v15, s26
	v_mul_lo_u32 v21, v14, s27
	v_mad_u64_u32 v[18:19], s[4:5], v14, s26, 0
	v_add3_u32 v19, v19, v21, v20
	v_mul_lo_u32 v20, v17, s26
	v_mul_lo_u32 v21, v16, s27
	v_mad_u64_u32 v[24:25], s[4:5], v16, s26, 0
	v_add3_u32 v25, v25, v21, v20
	v_lshlrev_b64 v[20:21], 3, v[18:19]
	v_mov_b32_e32 v18, s17
	v_add_co_u32_e32 v22, vcc, s16, v20
	v_addc_co_u32_e64 v23, s[4:5], v18, v21, vcc
	v_lshlrev_b64 v[18:19], 3, v[24:25]
	v_mov_b32_e32 v20, s17
	v_add_co_u32_e64 v24, s[4:5], s16, v18
	v_addc_co_u32_e64 v25, s[6:7], v20, v19, s[4:5]
	global_load_dwordx2 v[26:27], v[22:23], off
	global_load_dwordx2 v[30:31], v[24:25], off
	s_mov_b64 s[44:45], -1
	s_waitcnt vmcnt(0)
	v_cmp_eq_u64_e64 s[6:7], v[26:27], v[30:31]
	s_and_saveexec_b64 s[42:43], s[6:7]
	s_cbranch_execz .LBB1719_191
; %bb.185:
	v_mov_b32_e32 v18, s17
	v_addc_co_u32_e64 v19, s[4:5], v19, v18, s[4:5]
	v_add_co_u32_e64 v18, s[4:5], 8, v24
	v_mov_b32_e32 v20, s17
	v_addc_co_u32_e64 v19, s[4:5], 0, v19, s[4:5]
	v_addc_co_u32_e32 v21, vcc, v21, v20, vcc
	v_add_co_u32_e32 v20, vcc, 8, v22
	s_add_u32 s4, s26, -1
	v_addc_co_u32_e32 v21, vcc, 0, v21, vcc
	s_addc_u32 s5, s27, -1
	s_mov_b64 s[6:7], 0
	s_mov_b64 s[46:47], 0
                                        ; implicit-def: $sgpr44_sgpr45
	s_branch .LBB1719_188
.LBB1719_186:                           ;   in Loop: Header=BB1719_188 Depth=1
	global_load_dwordx2 v[22:23], v[20:21], off
	global_load_dwordx2 v[24:25], v[18:19], off
	v_add_co_u32_e32 v18, vcc, 8, v18
	v_addc_co_u32_e32 v19, vcc, 0, v19, vcc
	v_add_co_u32_e32 v20, vcc, 8, v20
	v_addc_co_u32_e32 v21, vcc, 0, v21, vcc
	s_add_u32 s46, s46, 1
	s_addc_u32 s47, s47, 0
	s_andn2_b64 s[44:45], s[44:45], exec
	s_waitcnt vmcnt(0)
	v_cmp_ne_u64_e32 vcc, v[22:23], v[24:25]
	s_and_b64 s[50:51], vcc, exec
	s_or_b64 s[44:45], s[44:45], s[50:51]
.LBB1719_187:                           ;   in Loop: Header=BB1719_188 Depth=1
	s_and_b64 s[50:51], exec, s[44:45]
	s_or_b64 s[6:7], s[50:51], s[6:7]
	v_pk_mov_b32 v[22:23], s[46:47], s[46:47] op_sel:[0,1]
	s_andn2_b64 exec, exec, s[6:7]
	s_cbranch_execz .LBB1719_190
.LBB1719_188:                           ; =>This Inner Loop Header: Depth=1
	s_or_b64 s[44:45], s[44:45], exec
	s_cmp_eq_u64 s[4:5], s[46:47]
	s_cbranch_scc0 .LBB1719_186
; %bb.189:                              ;   in Loop: Header=BB1719_188 Depth=1
                                        ; implicit-def: $vgpr18_vgpr19
                                        ; implicit-def: $vgpr20_vgpr21
	s_mov_b64 s[46:47], s[26:27]
	s_branch .LBB1719_187
.LBB1719_190:
	s_or_b64 exec, exec, s[6:7]
	v_cmp_gt_i64_e32 vcc, s[26:27], v[22:23]
	s_orn2_b64 s[44:45], vcc, exec
.LBB1719_191:
	s_or_b64 exec, exec, s[42:43]
.LBB1719_192:
	s_and_b64 s[4:5], s[44:45], exec
.LBB1719_193:
	s_or_b64 exec, exec, s[40:41]
	v_cndmask_b32_e64 v19, 0, 1, s[8:9]
	v_cndmask_b32_e64 v20, 0, 1, s[4:5]
	v_cndmask_b32_e64 v18, 0, 1, s[38:39]
	v_lshlrev_b16_e32 v20, 8, v20
	v_lshlrev_b16_e32 v19, 8, v19
	v_or_b32_e32 v20, 1, v20
	v_or_b32_sdwa v18, v18, v19 dst_sel:WORD_1 dst_unused:UNUSED_PAD src0_sel:DWORD src1_sel:DWORD
	v_or_b32_sdwa v28, v20, v18 dst_sel:DWORD dst_unused:UNUSED_PAD src0_sel:WORD_0 src1_sel:DWORD
	s_waitcnt lgkmcnt(0)
	s_barrier
	s_waitcnt lgkmcnt(0)
                                        ; implicit-def: $sgpr38_sgpr39
	s_and_saveexec_b64 s[6:7], s[2:3]
	s_cbranch_execz .LBB1719_206
; %bb.194:
	v_cmp_gt_u32_e32 vcc, s48, v1
	s_mov_b64 s[2:3], 0
	s_and_saveexec_b64 s[8:9], vcc
	s_cbranch_execz .LBB1719_205
; %bb.195:
	s_andn2_b64 vcc, exec, s[10:11]
	s_mov_b64 s[38:39], 0
	s_cbranch_vccnz .LBB1719_204
; %bb.196:
	v_add_u32_e32 v18, -8, v29
	ds_read_b64 v[18:19], v18
	v_mul_lo_u32 v20, v15, s26
	v_mad_u64_u32 v[24:25], s[2:3], v14, s26, 0
	s_mov_b64 s[38:39], -1
	s_waitcnt lgkmcnt(0)
	v_mul_lo_u32 v21, v19, s26
	v_mul_lo_u32 v22, v18, s27
	v_mad_u64_u32 v[18:19], s[2:3], v18, s26, 0
	v_add3_u32 v19, v19, v22, v21
	v_mul_lo_u32 v21, v14, s27
	v_add3_u32 v25, v25, v21, v20
	v_lshlrev_b64 v[20:21], 3, v[18:19]
	v_mov_b32_e32 v18, s17
	v_add_co_u32_e32 v22, vcc, s16, v20
	v_addc_co_u32_e64 v23, s[2:3], v18, v21, vcc
	v_lshlrev_b64 v[18:19], 3, v[24:25]
	v_mov_b32_e32 v20, s17
	v_add_co_u32_e64 v24, s[2:3], s16, v18
	v_addc_co_u32_e64 v25, s[4:5], v20, v19, s[2:3]
	global_load_dwordx2 v[26:27], v[22:23], off
	global_load_dwordx2 v[30:31], v[24:25], off
	s_waitcnt vmcnt(0)
	v_cmp_eq_u64_e64 s[4:5], v[26:27], v[30:31]
	s_and_saveexec_b64 s[10:11], s[4:5]
	s_cbranch_execz .LBB1719_203
; %bb.197:
	v_mov_b32_e32 v18, s17
	v_addc_co_u32_e64 v19, s[2:3], v19, v18, s[2:3]
	v_add_co_u32_e64 v18, s[2:3], 8, v24
	v_mov_b32_e32 v20, s17
	v_addc_co_u32_e64 v19, s[2:3], 0, v19, s[2:3]
	v_addc_co_u32_e32 v21, vcc, v21, v20, vcc
	v_add_co_u32_e32 v20, vcc, 8, v22
	s_add_u32 s2, s26, -1
	v_addc_co_u32_e32 v21, vcc, 0, v21, vcc
	s_addc_u32 s3, s27, -1
	s_mov_b64 s[4:5], 0
	s_mov_b64 s[38:39], 0
                                        ; implicit-def: $sgpr16_sgpr17
	s_branch .LBB1719_200
.LBB1719_198:                           ;   in Loop: Header=BB1719_200 Depth=1
	global_load_dwordx2 v[22:23], v[20:21], off
	global_load_dwordx2 v[24:25], v[18:19], off
	v_add_co_u32_e32 v18, vcc, 8, v18
	v_addc_co_u32_e32 v19, vcc, 0, v19, vcc
	v_add_co_u32_e32 v20, vcc, 8, v20
	v_addc_co_u32_e32 v21, vcc, 0, v21, vcc
	s_add_u32 s38, s38, 1
	s_addc_u32 s39, s39, 0
	s_andn2_b64 s[16:17], s[16:17], exec
	s_waitcnt vmcnt(0)
	v_cmp_ne_u64_e32 vcc, v[22:23], v[24:25]
	s_and_b64 s[40:41], vcc, exec
	s_or_b64 s[16:17], s[16:17], s[40:41]
.LBB1719_199:                           ;   in Loop: Header=BB1719_200 Depth=1
	s_and_b64 s[40:41], exec, s[16:17]
	s_or_b64 s[4:5], s[40:41], s[4:5]
	v_pk_mov_b32 v[22:23], s[38:39], s[38:39] op_sel:[0,1]
	s_andn2_b64 exec, exec, s[4:5]
	s_cbranch_execz .LBB1719_202
.LBB1719_200:                           ; =>This Inner Loop Header: Depth=1
	s_or_b64 s[16:17], s[16:17], exec
	s_cmp_eq_u64 s[2:3], s[38:39]
	s_cbranch_scc0 .LBB1719_198
; %bb.201:                              ;   in Loop: Header=BB1719_200 Depth=1
                                        ; implicit-def: $vgpr18_vgpr19
                                        ; implicit-def: $vgpr20_vgpr21
	s_mov_b64 s[38:39], s[26:27]
	s_branch .LBB1719_199
.LBB1719_202:
	s_or_b64 exec, exec, s[4:5]
	v_cmp_gt_i64_e32 vcc, s[26:27], v[22:23]
	s_orn2_b64 s[38:39], vcc, exec
.LBB1719_203:
	s_or_b64 exec, exec, s[10:11]
.LBB1719_204:
	s_and_b64 s[2:3], s[38:39], exec
.LBB1719_205:
	s_or_b64 exec, exec, s[8:9]
	s_and_b64 s[38:39], s[2:3], exec
	s_or_b64 s[14:15], s[14:15], exec
.LBB1719_206:
	s_or_b64 exec, exec, s[6:7]
.LBB1719_207:
	s_and_saveexec_b64 s[2:3], s[14:15]
	s_cbranch_execz .LBB1719_209
; %bb.208:
	s_waitcnt vmcnt(0) lgkmcnt(0)
	v_and_b32_e32 v18, 0xffffff00, v28
	v_cndmask_b32_e64 v19, 0, 1, s[38:39]
	v_or_b32_e32 v18, v19, v18
	v_and_b32_e32 v18, 0xffff, v18
	s_mov_b32 s4, 0xffff0000
	v_and_or_b32 v28, v28, s4, v18
.LBB1719_209:
	s_or_b64 exec, exec, s[2:3]
	s_andn2_b64 vcc, exec, s[12:13]
	s_cbranch_vccnz .LBB1719_211
; %bb.210:
	v_cmp_gt_u32_e32 vcc, s48, v1
	s_waitcnt vmcnt(0) lgkmcnt(0)
	v_cndmask_b32_e32 v18, 0, v28, vcc
	v_or_b32_e32 v19, 1, v1
	v_and_b32_e32 v18, 0xff, v18
	v_cmp_gt_u32_e32 vcc, s48, v19
	v_cndmask_b32_e32 v18, v18, v28, vcc
	v_or_b32_e32 v19, 2, v1
	v_and_b32_e32 v18, 0xffff, v18
	v_cmp_gt_u32_e32 vcc, s48, v19
	;; [unrolled: 4-line block ×3, first 2 shown]
	v_cndmask_b32_e32 v28, v18, v28, vcc
.LBB1719_211:
	v_bfe_u32 v30, v28, 16, 8
	v_lshrrev_b32_e32 v29, 24, v28
	s_waitcnt vmcnt(0) lgkmcnt(0)
	v_add_u32_sdwa v18, v28, v28 dst_sel:DWORD dst_unused:UNUSED_PAD src0_sel:BYTE_1 src1_sel:BYTE_0
	v_add3_u32 v33, v18, v30, v29
	v_mbcnt_lo_u32_b32 v18, -1, 0
	v_mbcnt_hi_u32_b32 v31, -1, v18
	v_and_b32_e32 v18, 15, v31
	v_cmp_eq_u32_e64 s[14:15], 0, v18
	v_cmp_lt_u32_e64 s[12:13], 1, v18
	v_cmp_lt_u32_e64 s[10:11], 3, v18
	;; [unrolled: 1-line block ×3, first 2 shown]
	v_and_b32_e32 v18, 16, v31
	v_cmp_eq_u32_e64 s[6:7], 0, v18
	v_or_b32_e32 v18, 63, v0
	v_cmp_lt_u32_e64 s[2:3], 31, v31
	v_lshrrev_b32_e32 v32, 6, v0
	v_cmp_eq_u32_e64 s[4:5], v18, v0
	s_and_b64 vcc, exec, s[36:37]
	s_barrier
	s_cbranch_vccz .LBB1719_238
; %bb.212:
	v_mov_b32_dpp v18, v33 row_shr:1 row_mask:0xf bank_mask:0xf
	v_cndmask_b32_e64 v18, v18, 0, s[14:15]
	v_add_u32_e32 v18, v18, v33
	s_nop 1
	v_mov_b32_dpp v19, v18 row_shr:2 row_mask:0xf bank_mask:0xf
	v_cndmask_b32_e64 v19, 0, v19, s[12:13]
	v_add_u32_e32 v18, v18, v19
	s_nop 1
	;; [unrolled: 4-line block ×4, first 2 shown]
	v_mov_b32_dpp v19, v18 row_bcast:15 row_mask:0xf bank_mask:0xf
	v_cndmask_b32_e64 v19, v19, 0, s[6:7]
	v_add_u32_e32 v18, v18, v19
	s_nop 1
	v_mov_b32_dpp v19, v18 row_bcast:31 row_mask:0xf bank_mask:0xf
	v_cndmask_b32_e64 v19, 0, v19, s[2:3]
	v_add_u32_e32 v18, v18, v19
	s_and_saveexec_b64 s[16:17], s[4:5]
	s_cbranch_execz .LBB1719_214
; %bb.213:
	v_lshlrev_b32_e32 v19, 2, v32
	ds_write_b32 v19, v18
.LBB1719_214:
	s_or_b64 exec, exec, s[16:17]
	v_cmp_gt_u32_e32 vcc, 2, v0
	s_waitcnt lgkmcnt(0)
	s_barrier
	s_and_saveexec_b64 s[16:17], vcc
	s_cbranch_execz .LBB1719_216
; %bb.215:
	ds_read_b32 v19, v1
	v_bfe_i32 v20, v31, 0, 1
	s_waitcnt lgkmcnt(0)
	v_mov_b32_dpp v21, v19 row_shr:1 row_mask:0xf bank_mask:0xf
	v_and_b32_e32 v20, v20, v21
	v_add_u32_e32 v19, v20, v19
	ds_write_b32 v1, v19
.LBB1719_216:
	s_or_b64 exec, exec, s[16:17]
	v_cmp_gt_u32_e32 vcc, 64, v0
	v_cmp_lt_u32_e64 s[16:17], 63, v0
	s_waitcnt lgkmcnt(0)
	s_barrier
	s_waitcnt lgkmcnt(0)
                                        ; implicit-def: $vgpr34
	s_and_saveexec_b64 s[26:27], s[16:17]
	s_cbranch_execz .LBB1719_218
; %bb.217:
	v_lshl_add_u32 v19, v32, 2, -4
	ds_read_b32 v34, v19
	s_waitcnt lgkmcnt(0)
	v_add_u32_e32 v18, v34, v18
.LBB1719_218:
	s_or_b64 exec, exec, s[26:27]
	v_add_u32_e32 v19, -1, v31
	v_and_b32_e32 v20, 64, v31
	v_cmp_lt_i32_e64 s[16:17], v19, v20
	v_cndmask_b32_e64 v19, v19, v31, s[16:17]
	v_lshlrev_b32_e32 v19, 2, v19
	ds_bpermute_b32 v35, v19, v18
	v_cmp_eq_u32_e64 s[16:17], 0, v31
	s_and_saveexec_b64 s[26:27], vcc
	s_cbranch_execz .LBB1719_237
; %bb.219:
	v_mov_b32_e32 v25, 0
	ds_read_b32 v18, v25 offset:4
	s_and_saveexec_b64 s[36:37], s[16:17]
	s_cbranch_execz .LBB1719_221
; %bb.220:
	s_add_i32 s38, s33, 64
	s_mov_b32 s39, 0
	s_lshl_b64 s[38:39], s[38:39], 3
	s_add_u32 s38, s18, s38
	v_mov_b32_e32 v19, 1
	s_addc_u32 s39, s19, s39
	s_waitcnt lgkmcnt(0)
	global_store_dwordx2 v25, v[18:19], s[38:39]
.LBB1719_221:
	s_or_b64 exec, exec, s[36:37]
	v_xad_u32 v20, v31, -1, s33
	v_add_u32_e32 v24, 64, v20
	v_lshlrev_b64 v[22:23], 3, v[24:25]
	v_mov_b32_e32 v19, s19
	v_add_co_u32_e32 v26, vcc, s18, v22
	v_addc_co_u32_e32 v27, vcc, v19, v23, vcc
	global_load_dwordx2 v[22:23], v[26:27], off glc
	s_waitcnt vmcnt(0)
	v_cmp_eq_u16_sdwa s[38:39], v23, v25 src0_sel:BYTE_0 src1_sel:DWORD
	s_and_saveexec_b64 s[36:37], s[38:39]
	s_cbranch_execz .LBB1719_225
; %bb.222:
	s_mov_b64 s[38:39], 0
	v_mov_b32_e32 v19, 0
.LBB1719_223:                           ; =>This Inner Loop Header: Depth=1
	global_load_dwordx2 v[22:23], v[26:27], off glc
	s_waitcnt vmcnt(0)
	v_cmp_ne_u16_sdwa s[40:41], v23, v19 src0_sel:BYTE_0 src1_sel:DWORD
	s_or_b64 s[38:39], s[40:41], s[38:39]
	s_andn2_b64 exec, exec, s[38:39]
	s_cbranch_execnz .LBB1719_223
; %bb.224:
	s_or_b64 exec, exec, s[38:39]
.LBB1719_225:
	s_or_b64 exec, exec, s[36:37]
	v_and_b32_e32 v36, 63, v31
	v_mov_b32_e32 v19, 2
	v_cmp_ne_u32_e32 vcc, 63, v36
	v_cmp_eq_u16_sdwa s[36:37], v23, v19 src0_sel:BYTE_0 src1_sel:DWORD
	v_lshlrev_b64 v[24:25], v31, -1
	v_addc_co_u32_e32 v27, vcc, 0, v31, vcc
	v_and_b32_e32 v21, s37, v25
	v_lshlrev_b32_e32 v37, 2, v27
	v_or_b32_e32 v21, 0x80000000, v21
	ds_bpermute_b32 v27, v37, v22
	v_and_b32_e32 v26, s36, v24
	v_ffbl_b32_e32 v21, v21
	v_add_u32_e32 v21, 32, v21
	v_ffbl_b32_e32 v26, v26
	v_min_u32_e32 v21, v26, v21
	v_cmp_lt_u32_e32 vcc, v36, v21
	s_waitcnt lgkmcnt(0)
	v_cndmask_b32_e32 v26, 0, v27, vcc
	v_cmp_gt_u32_e32 vcc, 62, v36
	v_add_u32_e32 v22, v26, v22
	v_cndmask_b32_e64 v26, 0, 1, vcc
	v_lshlrev_b32_e32 v26, 1, v26
	v_add_lshl_u32 v38, v26, v31, 2
	ds_bpermute_b32 v26, v38, v22
	v_add_u32_e32 v39, 2, v36
	v_cmp_le_u32_e32 vcc, v39, v21
	v_add_u32_e32 v41, 4, v36
	v_add_u32_e32 v43, 8, v36
	s_waitcnt lgkmcnt(0)
	v_cndmask_b32_e32 v26, 0, v26, vcc
	v_cmp_gt_u32_e32 vcc, 60, v36
	v_add_u32_e32 v22, v22, v26
	v_cndmask_b32_e64 v26, 0, 1, vcc
	v_lshlrev_b32_e32 v26, 2, v26
	v_add_lshl_u32 v40, v26, v31, 2
	ds_bpermute_b32 v26, v40, v22
	v_cmp_le_u32_e32 vcc, v41, v21
	v_add_u32_e32 v46, 16, v36
	v_add_u32_e32 v48, 32, v36
	s_waitcnt lgkmcnt(0)
	v_cndmask_b32_e32 v26, 0, v26, vcc
	v_cmp_gt_u32_e32 vcc, 56, v36
	v_add_u32_e32 v22, v22, v26
	v_cndmask_b32_e64 v26, 0, 1, vcc
	v_lshlrev_b32_e32 v26, 3, v26
	v_add_lshl_u32 v42, v26, v31, 2
	ds_bpermute_b32 v26, v42, v22
	v_cmp_le_u32_e32 vcc, v43, v21
	s_waitcnt lgkmcnt(0)
	v_cndmask_b32_e32 v26, 0, v26, vcc
	v_cmp_gt_u32_e32 vcc, 48, v36
	v_add_u32_e32 v22, v22, v26
	v_cndmask_b32_e64 v26, 0, 1, vcc
	v_lshlrev_b32_e32 v26, 4, v26
	v_add_lshl_u32 v45, v26, v31, 2
	ds_bpermute_b32 v26, v45, v22
	v_cmp_le_u32_e32 vcc, v46, v21
	;; [unrolled: 9-line block ×3, first 2 shown]
	s_waitcnt lgkmcnt(0)
	v_cndmask_b32_e32 v21, 0, v26, vcc
	v_add_u32_e32 v22, v22, v21
	v_mov_b32_e32 v21, 0
	s_branch .LBB1719_227
.LBB1719_226:                           ;   in Loop: Header=BB1719_227 Depth=1
	s_or_b64 exec, exec, s[36:37]
	v_cmp_eq_u16_sdwa s[36:37], v23, v19 src0_sel:BYTE_0 src1_sel:DWORD
	v_and_b32_e32 v26, s37, v25
	v_or_b32_e32 v26, 0x80000000, v26
	ds_bpermute_b32 v49, v37, v22
	v_and_b32_e32 v27, s36, v24
	v_ffbl_b32_e32 v26, v26
	v_add_u32_e32 v26, 32, v26
	v_ffbl_b32_e32 v27, v27
	v_min_u32_e32 v26, v27, v26
	v_cmp_lt_u32_e32 vcc, v36, v26
	s_waitcnt lgkmcnt(0)
	v_cndmask_b32_e32 v27, 0, v49, vcc
	v_add_u32_e32 v22, v27, v22
	ds_bpermute_b32 v27, v38, v22
	v_cmp_le_u32_e32 vcc, v39, v26
	v_subrev_u32_e32 v20, 64, v20
	s_waitcnt lgkmcnt(0)
	v_cndmask_b32_e32 v27, 0, v27, vcc
	v_add_u32_e32 v22, v22, v27
	ds_bpermute_b32 v27, v40, v22
	v_cmp_le_u32_e32 vcc, v41, v26
	s_waitcnt lgkmcnt(0)
	v_cndmask_b32_e32 v27, 0, v27, vcc
	v_add_u32_e32 v22, v22, v27
	ds_bpermute_b32 v27, v42, v22
	v_cmp_le_u32_e32 vcc, v43, v26
	;; [unrolled: 5-line block ×4, first 2 shown]
	s_waitcnt lgkmcnt(0)
	v_cndmask_b32_e32 v26, 0, v27, vcc
	v_add3_u32 v22, v26, v44, v22
.LBB1719_227:                           ; =>This Loop Header: Depth=1
                                        ;     Child Loop BB1719_230 Depth 2
	v_cmp_ne_u16_sdwa s[36:37], v23, v19 src0_sel:BYTE_0 src1_sel:DWORD
	v_cndmask_b32_e64 v23, 0, 1, s[36:37]
	;;#ASMSTART
	;;#ASMEND
	v_cmp_ne_u32_e32 vcc, 0, v23
	s_cmp_lg_u64 vcc, exec
	v_mov_b32_e32 v44, v22
	s_cbranch_scc1 .LBB1719_232
; %bb.228:                              ;   in Loop: Header=BB1719_227 Depth=1
	v_lshlrev_b64 v[22:23], 3, v[20:21]
	v_mov_b32_e32 v27, s19
	v_add_co_u32_e32 v26, vcc, s18, v22
	v_addc_co_u32_e32 v27, vcc, v27, v23, vcc
	global_load_dwordx2 v[22:23], v[26:27], off glc
	s_waitcnt vmcnt(0)
	v_cmp_eq_u16_sdwa s[38:39], v23, v21 src0_sel:BYTE_0 src1_sel:DWORD
	s_and_saveexec_b64 s[36:37], s[38:39]
	s_cbranch_execz .LBB1719_226
; %bb.229:                              ;   in Loop: Header=BB1719_227 Depth=1
	s_mov_b64 s[38:39], 0
.LBB1719_230:                           ;   Parent Loop BB1719_227 Depth=1
                                        ; =>  This Inner Loop Header: Depth=2
	global_load_dwordx2 v[22:23], v[26:27], off glc
	s_waitcnt vmcnt(0)
	v_cmp_ne_u16_sdwa s[40:41], v23, v21 src0_sel:BYTE_0 src1_sel:DWORD
	s_or_b64 s[38:39], s[40:41], s[38:39]
	s_andn2_b64 exec, exec, s[38:39]
	s_cbranch_execnz .LBB1719_230
; %bb.231:                              ;   in Loop: Header=BB1719_227 Depth=1
	s_or_b64 exec, exec, s[38:39]
	s_branch .LBB1719_226
.LBB1719_232:                           ;   in Loop: Header=BB1719_227 Depth=1
                                        ; implicit-def: $vgpr22
                                        ; implicit-def: $vgpr23
	s_cbranch_execz .LBB1719_227
; %bb.233:
	s_and_saveexec_b64 s[36:37], s[16:17]
	s_cbranch_execz .LBB1719_235
; %bb.234:
	s_add_i32 s38, s33, 64
	s_mov_b32 s39, 0
	s_lshl_b64 s[38:39], s[38:39], 3
	s_add_u32 s38, s18, s38
	v_add_u32_e32 v20, v44, v18
	v_mov_b32_e32 v21, 2
	s_addc_u32 s39, s19, s39
	v_mov_b32_e32 v19, 0
	s_movk_i32 s33, 0x1000
	global_store_dwordx2 v19, v[20:21], s[38:39]
	v_add_u32_e64 v19, s33, 0
	ds_write2_b32 v19, v18, v44 offset0:32 offset1:34
.LBB1719_235:
	s_or_b64 exec, exec, s[36:37]
	s_and_b64 exec, exec, s[0:1]
	s_cbranch_execz .LBB1719_237
; %bb.236:
	v_mov_b32_e32 v18, 0
	ds_write_b32 v18, v44 offset:4
.LBB1719_237:
	s_or_b64 exec, exec, s[26:27]
	v_mov_b32_e32 v19, 0
	s_waitcnt lgkmcnt(0)
	s_barrier
	ds_read_b32 v19, v19 offset:4
	v_cndmask_b32_e64 v18, v35, v34, s[16:17]
	s_movk_i32 s16, 0x1000
	v_add_u32_e64 v20, s16, 0
	s_waitcnt lgkmcnt(0)
	s_barrier
	ds_read2_b32 v[26:27], v20 offset0:32 offset1:34
	v_cndmask_b32_e64 v18, v18, 0, s[0:1]
	v_add_u32_e32 v24, v19, v18
	v_add_u32_sdwa v22, v24, v28 dst_sel:DWORD dst_unused:UNUSED_PAD src0_sel:DWORD src1_sel:BYTE_0
	v_add_u32_sdwa v20, v22, v28 dst_sel:DWORD dst_unused:UNUSED_PAD src0_sel:DWORD src1_sel:BYTE_1
	v_add_u32_e32 v18, v20, v30
	s_waitcnt lgkmcnt(0)
	v_readfirstlane_b32 s33, v26
	v_readfirstlane_b32 s16, v27
	s_branch .LBB1719_248
.LBB1719_238:
                                        ; implicit-def: $vgpr18
                                        ; implicit-def: $vgpr20
                                        ; implicit-def: $vgpr22
                                        ; implicit-def: $vgpr24
                                        ; implicit-def: $sgpr16
                                        ; implicit-def: $sgpr33
	s_cbranch_execz .LBB1719_248
; %bb.239:
	s_nop 0
	v_mov_b32_dpp v18, v33 row_shr:1 row_mask:0xf bank_mask:0xf
	v_cndmask_b32_e64 v18, v18, 0, s[14:15]
	v_add_u32_e32 v18, v18, v33
	s_nop 1
	v_mov_b32_dpp v19, v18 row_shr:2 row_mask:0xf bank_mask:0xf
	v_cndmask_b32_e64 v19, 0, v19, s[12:13]
	v_add_u32_e32 v18, v18, v19
	;; [unrolled: 4-line block ×4, first 2 shown]
	s_nop 1
	v_mov_b32_dpp v19, v18 row_bcast:15 row_mask:0xf bank_mask:0xf
	v_cndmask_b32_e64 v19, v19, 0, s[6:7]
	v_add_u32_e32 v18, v18, v19
	s_nop 1
	v_mov_b32_dpp v19, v18 row_bcast:31 row_mask:0xf bank_mask:0xf
	v_cndmask_b32_e64 v19, 0, v19, s[2:3]
	v_add_u32_e32 v18, v18, v19
	s_and_saveexec_b64 s[2:3], s[4:5]
	s_cbranch_execz .LBB1719_241
; %bb.240:
	v_lshlrev_b32_e32 v19, 2, v32
	ds_write_b32 v19, v18
.LBB1719_241:
	s_or_b64 exec, exec, s[2:3]
	v_cmp_gt_u32_e32 vcc, 2, v0
	s_waitcnt lgkmcnt(0)
	s_barrier
	s_and_saveexec_b64 s[2:3], vcc
	s_cbranch_execz .LBB1719_243
; %bb.242:
	ds_read_b32 v19, v1
	v_bfe_i32 v20, v31, 0, 1
	s_waitcnt lgkmcnt(0)
	v_mov_b32_dpp v21, v19 row_shr:1 row_mask:0xf bank_mask:0xf
	v_and_b32_e32 v20, v20, v21
	v_add_u32_e32 v19, v20, v19
	ds_write_b32 v1, v19
.LBB1719_243:
	s_or_b64 exec, exec, s[2:3]
	v_cmp_lt_u32_e32 vcc, 63, v0
	v_mov_b32_e32 v19, 0
	v_mov_b32_e32 v1, 0
	s_waitcnt lgkmcnt(0)
	s_barrier
	s_and_saveexec_b64 s[2:3], vcc
	s_cbranch_execz .LBB1719_245
; %bb.244:
	v_lshl_add_u32 v1, v32, 2, -4
	ds_read_b32 v1, v1
.LBB1719_245:
	s_or_b64 exec, exec, s[2:3]
	v_add_u32_e32 v20, -1, v31
	v_and_b32_e32 v21, 64, v31
	v_cmp_lt_i32_e32 vcc, v20, v21
	v_cndmask_b32_e32 v20, v20, v31, vcc
	s_waitcnt lgkmcnt(0)
	v_add_u32_e32 v18, v1, v18
	v_lshlrev_b32_e32 v20, 2, v20
	ds_read_b32 v19, v19 offset:4
	ds_bpermute_b32 v18, v20, v18
	s_waitcnt lgkmcnt(1)
	v_readfirstlane_b32 s33, v19
	s_and_saveexec_b64 s[2:3], s[0:1]
	s_cbranch_execz .LBB1719_247
; %bb.246:
	v_mov_b32_e32 v19, 0
	v_mov_b32_e32 v20, s33
	;; [unrolled: 1-line block ×3, first 2 shown]
	global_store_dwordx2 v19, v[20:21], s[18:19] offset:512
.LBB1719_247:
	s_or_b64 exec, exec, s[2:3]
	v_cmp_eq_u32_e32 vcc, 0, v31
	s_waitcnt lgkmcnt(0)
	v_cndmask_b32_e32 v1, v18, v1, vcc
	v_cndmask_b32_e64 v24, v1, 0, s[0:1]
	v_add_u32_sdwa v22, v24, v28 dst_sel:DWORD dst_unused:UNUSED_PAD src0_sel:DWORD src1_sel:BYTE_0
	v_add_u32_sdwa v20, v22, v28 dst_sel:DWORD dst_unused:UNUSED_PAD src0_sel:DWORD src1_sel:BYTE_1
	s_mov_b32 s16, 0
	v_add_u32_e32 v18, v20, v30
	s_barrier
.LBB1719_248:
	s_cmpk_lt_u32 s33, 0x81
	s_cselect_b64 s[4:5], -1, 0
	v_lshrrev_b32_e32 v1, 8, v28
	s_mov_b64 s[2:3], -1
	s_and_b64 vcc, exec, s[4:5]
	s_cbranch_vccz .LBB1719_262
; %bb.249:
	s_add_i32 s6, s16, s33
	v_cmp_gt_u32_e32 vcc, s6, v24
	s_or_b64 s[8:9], s[34:35], vcc
	s_and_saveexec_b64 s[2:3], s[8:9]
	s_cbranch_execz .LBB1719_252
; %bb.250:
	v_and_b32_e32 v19, 1, v28
	v_cmp_eq_u32_e32 vcc, 1, v19
	s_and_b64 exec, exec, vcc
	s_cbranch_execz .LBB1719_252
; %bb.251:
	s_lshl_b64 s[8:9], s[22:23], 3
	s_add_u32 s7, s28, s8
	v_mov_b32_e32 v25, 0
	s_addc_u32 s8, s29, s9
	v_lshlrev_b64 v[26:27], 3, v[24:25]
	v_mov_b32_e32 v19, s8
	v_add_co_u32_e32 v26, vcc, s7, v26
	v_addc_co_u32_e32 v27, vcc, v19, v27, vcc
	global_store_dwordx2 v[26:27], v[14:15], off
.LBB1719_252:
	s_or_b64 exec, exec, s[2:3]
	v_cmp_gt_u32_e32 vcc, s6, v22
	s_or_b64 s[8:9], s[34:35], vcc
	s_and_saveexec_b64 s[2:3], s[8:9]
	s_cbranch_execz .LBB1719_255
; %bb.253:
	v_and_b32_e32 v19, 1, v1
	v_cmp_eq_u32_e32 vcc, 1, v19
	s_and_b64 exec, exec, vcc
	s_cbranch_execz .LBB1719_255
; %bb.254:
	s_lshl_b64 s[8:9], s[22:23], 3
	s_add_u32 s7, s28, s8
	v_mov_b32_e32 v23, 0
	s_addc_u32 s8, s29, s9
	v_lshlrev_b64 v[26:27], 3, v[22:23]
	v_mov_b32_e32 v19, s8
	v_add_co_u32_e32 v26, vcc, s7, v26
	v_addc_co_u32_e32 v27, vcc, v19, v27, vcc
	global_store_dwordx2 v[26:27], v[16:17], off
.LBB1719_255:
	s_or_b64 exec, exec, s[2:3]
	v_cmp_gt_u32_e32 vcc, s6, v20
	s_or_b64 s[8:9], s[34:35], vcc
	s_and_saveexec_b64 s[2:3], s[8:9]
	s_cbranch_execz .LBB1719_258
; %bb.256:
	v_mov_b32_e32 v19, 1
	v_and_b32_sdwa v19, v19, v28 dst_sel:DWORD dst_unused:UNUSED_PAD src0_sel:DWORD src1_sel:WORD_1
	v_cmp_eq_u32_e32 vcc, 1, v19
	s_and_b64 exec, exec, vcc
	s_cbranch_execz .LBB1719_258
; %bb.257:
	s_lshl_b64 s[8:9], s[22:23], 3
	s_add_u32 s7, s28, s8
	v_mov_b32_e32 v21, 0
	s_addc_u32 s8, s29, s9
	v_lshlrev_b64 v[26:27], 3, v[20:21]
	v_mov_b32_e32 v19, s8
	v_add_co_u32_e32 v26, vcc, s7, v26
	v_addc_co_u32_e32 v27, vcc, v19, v27, vcc
	global_store_dwordx2 v[26:27], v[10:11], off
.LBB1719_258:
	s_or_b64 exec, exec, s[2:3]
	v_cmp_gt_u32_e32 vcc, s6, v18
	s_or_b64 s[6:7], s[34:35], vcc
	s_and_saveexec_b64 s[2:3], s[6:7]
	s_cbranch_execz .LBB1719_261
; %bb.259:
	v_and_b32_e32 v19, 1, v29
	v_cmp_eq_u32_e32 vcc, 1, v19
	s_and_b64 exec, exec, vcc
	s_cbranch_execz .LBB1719_261
; %bb.260:
	s_lshl_b64 s[6:7], s[22:23], 3
	s_add_u32 s6, s28, s6
	v_mov_b32_e32 v19, 0
	s_addc_u32 s7, s29, s7
	v_lshlrev_b64 v[26:27], 3, v[18:19]
	v_mov_b32_e32 v19, s7
	v_add_co_u32_e32 v26, vcc, s6, v26
	v_addc_co_u32_e32 v27, vcc, v19, v27, vcc
	global_store_dwordx2 v[26:27], v[12:13], off
.LBB1719_261:
	s_or_b64 exec, exec, s[2:3]
	s_mov_b64 s[2:3], 0
.LBB1719_262:
	v_and_b32_e32 v26, 1, v28
	s_and_b64 vcc, exec, s[2:3]
	v_cmp_eq_u32_e64 s[2:3], 1, v26
	s_cbranch_vccz .LBB1719_275
; %bb.263:
	s_and_saveexec_b64 s[6:7], s[2:3]
	s_cbranch_execz .LBB1719_265
; %bb.264:
	v_subrev_u32_e32 v19, s16, v24
	v_lshlrev_b32_e32 v19, 3, v19
	ds_write_b64 v19, v[14:15]
.LBB1719_265:
	s_or_b64 exec, exec, s[6:7]
	v_and_b32_e32 v14, 1, v1
	v_cmp_eq_u32_e32 vcc, 1, v14
	s_and_saveexec_b64 s[2:3], vcc
	s_cbranch_execz .LBB1719_267
; %bb.266:
	v_subrev_u32_e32 v14, s16, v22
	v_lshlrev_b32_e32 v14, 3, v14
	ds_write_b64 v14, v[16:17]
.LBB1719_267:
	s_or_b64 exec, exec, s[2:3]
	v_mov_b32_e32 v14, 1
	v_and_b32_sdwa v14, v14, v28 dst_sel:DWORD dst_unused:UNUSED_PAD src0_sel:DWORD src1_sel:WORD_1
	v_cmp_eq_u32_e32 vcc, 1, v14
	s_and_saveexec_b64 s[2:3], vcc
	s_cbranch_execz .LBB1719_269
; %bb.268:
	v_subrev_u32_e32 v14, s16, v20
	v_lshlrev_b32_e32 v14, 3, v14
	ds_write_b64 v14, v[10:11]
.LBB1719_269:
	s_or_b64 exec, exec, s[2:3]
	v_and_b32_e32 v10, 1, v29
	v_cmp_eq_u32_e32 vcc, 1, v10
	s_and_saveexec_b64 s[2:3], vcc
	s_cbranch_execz .LBB1719_271
; %bb.270:
	v_subrev_u32_e32 v10, s16, v18
	v_lshlrev_b32_e32 v10, 3, v10
	ds_write_b64 v10, v[12:13]
.LBB1719_271:
	s_or_b64 exec, exec, s[2:3]
	v_cmp_gt_u32_e32 vcc, s33, v0
	s_waitcnt lgkmcnt(0)
	s_barrier
	s_and_saveexec_b64 s[2:3], vcc
	s_cbranch_execz .LBB1719_274
; %bb.272:
	s_mov_b32 s17, 0
	s_lshl_b64 s[6:7], s[16:17], 3
	s_add_u32 s8, s28, s6
	s_addc_u32 s9, s29, s7
	s_lshl_b64 s[6:7], s[22:23], 3
	s_add_u32 s8, s8, s6
	s_addc_u32 s9, s9, s7
	v_lshlrev_b32_e32 v12, 3, v0
	s_mov_b64 s[6:7], 0
	v_mov_b32_e32 v11, 0
	v_mov_b32_e32 v13, s9
	v_mov_b32_e32 v10, v0
.LBB1719_273:                           ; =>This Inner Loop Header: Depth=1
	ds_read_b64 v[14:15], v12
	v_lshlrev_b64 v[16:17], 3, v[10:11]
	v_add_co_u32_e32 v16, vcc, s8, v16
	v_add_u32_e32 v10, 0x80, v10
	v_addc_co_u32_e32 v17, vcc, v13, v17, vcc
	v_cmp_le_u32_e32 vcc, s33, v10
	v_add_u32_e32 v12, 0x400, v12
	s_or_b64 s[6:7], vcc, s[6:7]
	s_waitcnt lgkmcnt(0)
	global_store_dwordx2 v[16:17], v[14:15], off
	s_andn2_b64 exec, exec, s[6:7]
	s_cbranch_execnz .LBB1719_273
.LBB1719_274:
	s_or_b64 exec, exec, s[2:3]
.LBB1719_275:
	s_mov_b64 s[2:3], -1
	s_and_b64 vcc, exec, s[4:5]
	s_barrier
	s_cbranch_vccnz .LBB1719_279
; %bb.276:
	s_and_b64 vcc, exec, s[2:3]
	s_cbranch_vccnz .LBB1719_292
.LBB1719_277:
	s_and_b64 s[0:1], s[0:1], s[24:25]
	s_and_saveexec_b64 s[2:3], s[0:1]
	s_cbranch_execnz .LBB1719_304
.LBB1719_278:
	s_endpgm
.LBB1719_279:
	s_add_i32 s4, s16, s33
	v_cmp_gt_u32_e32 vcc, s4, v24
	s_or_b64 s[6:7], s[34:35], vcc
	s_and_saveexec_b64 s[2:3], s[6:7]
	s_cbranch_execz .LBB1719_282
; %bb.280:
	v_cmp_eq_u32_e32 vcc, 1, v26
	s_and_b64 exec, exec, vcc
	s_cbranch_execz .LBB1719_282
; %bb.281:
	s_lshl_b64 s[6:7], s[22:23], 3
	s_add_u32 s5, s30, s6
	v_mov_b32_e32 v25, 0
	s_addc_u32 s6, s31, s7
	v_lshlrev_b64 v[10:11], 3, v[24:25]
	v_mov_b32_e32 v12, s6
	v_add_co_u32_e32 v10, vcc, s5, v10
	v_addc_co_u32_e32 v11, vcc, v12, v11, vcc
	global_store_dwordx2 v[10:11], v[6:7], off
.LBB1719_282:
	s_or_b64 exec, exec, s[2:3]
	v_cmp_gt_u32_e32 vcc, s4, v22
	s_or_b64 s[6:7], s[34:35], vcc
	s_and_saveexec_b64 s[2:3], s[6:7]
	s_cbranch_execz .LBB1719_285
; %bb.283:
	v_and_b32_e32 v10, 1, v1
	v_cmp_eq_u32_e32 vcc, 1, v10
	s_and_b64 exec, exec, vcc
	s_cbranch_execz .LBB1719_285
; %bb.284:
	s_lshl_b64 s[6:7], s[22:23], 3
	s_add_u32 s5, s30, s6
	v_mov_b32_e32 v23, 0
	s_addc_u32 s6, s31, s7
	v_lshlrev_b64 v[10:11], 3, v[22:23]
	v_mov_b32_e32 v12, s6
	v_add_co_u32_e32 v10, vcc, s5, v10
	v_addc_co_u32_e32 v11, vcc, v12, v11, vcc
	global_store_dwordx2 v[10:11], v[8:9], off
.LBB1719_285:
	s_or_b64 exec, exec, s[2:3]
	v_cmp_gt_u32_e32 vcc, s4, v20
	s_or_b64 s[6:7], s[34:35], vcc
	s_and_saveexec_b64 s[2:3], s[6:7]
	s_cbranch_execz .LBB1719_288
; %bb.286:
	v_mov_b32_e32 v10, 1
	v_and_b32_sdwa v10, v10, v28 dst_sel:DWORD dst_unused:UNUSED_PAD src0_sel:DWORD src1_sel:WORD_1
	v_cmp_eq_u32_e32 vcc, 1, v10
	s_and_b64 exec, exec, vcc
	s_cbranch_execz .LBB1719_288
; %bb.287:
	s_lshl_b64 s[6:7], s[22:23], 3
	s_add_u32 s5, s30, s6
	v_mov_b32_e32 v21, 0
	s_addc_u32 s6, s31, s7
	v_lshlrev_b64 v[10:11], 3, v[20:21]
	v_mov_b32_e32 v12, s6
	v_add_co_u32_e32 v10, vcc, s5, v10
	v_addc_co_u32_e32 v11, vcc, v12, v11, vcc
	global_store_dwordx2 v[10:11], v[2:3], off
.LBB1719_288:
	s_or_b64 exec, exec, s[2:3]
	v_cmp_gt_u32_e32 vcc, s4, v18
	s_or_b64 s[4:5], s[34:35], vcc
	s_and_saveexec_b64 s[2:3], s[4:5]
	s_cbranch_execz .LBB1719_291
; %bb.289:
	v_and_b32_e32 v10, 1, v29
	v_cmp_eq_u32_e32 vcc, 1, v10
	s_and_b64 exec, exec, vcc
	s_cbranch_execz .LBB1719_291
; %bb.290:
	s_lshl_b64 s[4:5], s[22:23], 3
	s_add_u32 s4, s30, s4
	v_mov_b32_e32 v19, 0
	s_addc_u32 s5, s31, s5
	v_lshlrev_b64 v[10:11], 3, v[18:19]
	v_mov_b32_e32 v12, s5
	v_add_co_u32_e32 v10, vcc, s4, v10
	v_addc_co_u32_e32 v11, vcc, v12, v11, vcc
	global_store_dwordx2 v[10:11], v[4:5], off
.LBB1719_291:
	s_or_b64 exec, exec, s[2:3]
	s_branch .LBB1719_277
.LBB1719_292:
	v_cmp_eq_u32_e32 vcc, 1, v26
	s_and_saveexec_b64 s[2:3], vcc
	s_cbranch_execz .LBB1719_294
; %bb.293:
	v_subrev_u32_e32 v10, s16, v24
	v_lshlrev_b32_e32 v10, 3, v10
	ds_write_b64 v10, v[6:7]
.LBB1719_294:
	s_or_b64 exec, exec, s[2:3]
	v_and_b32_e32 v1, 1, v1
	v_cmp_eq_u32_e32 vcc, 1, v1
	s_and_saveexec_b64 s[2:3], vcc
	s_cbranch_execz .LBB1719_296
; %bb.295:
	v_subrev_u32_e32 v1, s16, v22
	v_lshlrev_b32_e32 v1, 3, v1
	ds_write_b64 v1, v[8:9]
.LBB1719_296:
	s_or_b64 exec, exec, s[2:3]
	v_mov_b32_e32 v1, 1
	v_and_b32_sdwa v1, v1, v28 dst_sel:DWORD dst_unused:UNUSED_PAD src0_sel:DWORD src1_sel:WORD_1
	v_cmp_eq_u32_e32 vcc, 1, v1
	s_and_saveexec_b64 s[2:3], vcc
	s_cbranch_execz .LBB1719_298
; %bb.297:
	v_subrev_u32_e32 v1, s16, v20
	v_lshlrev_b32_e32 v1, 3, v1
	ds_write_b64 v1, v[2:3]
.LBB1719_298:
	s_or_b64 exec, exec, s[2:3]
	v_and_b32_e32 v1, 1, v29
	v_cmp_eq_u32_e32 vcc, 1, v1
	s_and_saveexec_b64 s[2:3], vcc
	s_cbranch_execz .LBB1719_300
; %bb.299:
	v_subrev_u32_e32 v1, s16, v18
	v_lshlrev_b32_e32 v1, 3, v1
	ds_write_b64 v1, v[4:5]
.LBB1719_300:
	s_or_b64 exec, exec, s[2:3]
	v_cmp_gt_u32_e32 vcc, s33, v0
	s_waitcnt lgkmcnt(0)
	s_barrier
	s_and_saveexec_b64 s[2:3], vcc
	s_cbranch_execz .LBB1719_303
; %bb.301:
	s_mov_b32 s17, 0
	s_lshl_b64 s[4:5], s[16:17], 3
	s_add_u32 s6, s30, s4
	s_addc_u32 s7, s31, s5
	s_lshl_b64 s[4:5], s[22:23], 3
	s_add_u32 s6, s6, s4
	s_addc_u32 s7, s7, s5
	v_lshlrev_b32_e32 v2, 3, v0
	s_mov_b64 s[4:5], 0
	v_mov_b32_e32 v1, 0
	v_mov_b32_e32 v3, s7
.LBB1719_302:                           ; =>This Inner Loop Header: Depth=1
	ds_read_b64 v[4:5], v2
	v_lshlrev_b64 v[6:7], 3, v[0:1]
	v_add_co_u32_e32 v6, vcc, s6, v6
	v_add_u32_e32 v0, 0x80, v0
	v_addc_co_u32_e32 v7, vcc, v3, v7, vcc
	v_cmp_le_u32_e32 vcc, s33, v0
	v_add_u32_e32 v2, 0x400, v2
	s_or_b64 s[4:5], vcc, s[4:5]
	s_waitcnt lgkmcnt(0)
	global_store_dwordx2 v[6:7], v[4:5], off
	s_andn2_b64 exec, exec, s[4:5]
	s_cbranch_execnz .LBB1719_302
.LBB1719_303:
	s_or_b64 exec, exec, s[2:3]
	s_and_b64 s[0:1], s[0:1], s[24:25]
	s_and_saveexec_b64 s[2:3], s[0:1]
	s_cbranch_execz .LBB1719_278
.LBB1719_304:
	s_add_u32 s0, s22, s33
	s_addc_u32 s1, s23, 0
	s_add_u32 s0, s0, s16
	s_addc_u32 s1, s1, 0
	v_mov_b32_e32 v2, 0
	v_pk_mov_b32 v[0:1], s[0:1], s[0:1] op_sel:[0,1]
	global_store_dwordx2 v2, v[0:1], s[20:21]
	s_endpgm
	.section	.rodata,"a",@progbits
	.p2align	6, 0x0
	.amdhsa_kernel _ZN7rocprim17ROCPRIM_400000_NS6detail17trampoline_kernelINS0_14default_configENS1_25partition_config_selectorILNS1_17partition_subalgoE9EllbEEZZNS1_14partition_implILS5_9ELb0ES3_jPlS8_PNS0_10empty_typeENS0_5tupleIJS8_S9_EEENSB_IJS8_SA_EEENS0_18inequality_wrapperIZN2at6native12_GLOBAL__N_124unique_dim_cuda_templateImEESt5tupleIJNSF_6TensorESK_SK_EERKSK_lbbbEUlllE0_EEPmJS9_EEE10hipError_tPvRmT3_T4_T5_T6_T7_T9_mT8_P12ihipStream_tbDpT10_ENKUlT_T0_E_clISt17integral_constantIbLb0EES19_IbLb1EEEEDaS15_S16_EUlS15_E_NS1_11comp_targetILNS1_3genE4ELNS1_11target_archE910ELNS1_3gpuE8ELNS1_3repE0EEENS1_30default_config_static_selectorELNS0_4arch9wavefront6targetE1EEEvT1_
		.amdhsa_group_segment_fixed_size 4236
		.amdhsa_private_segment_fixed_size 0
		.amdhsa_kernarg_size 136
		.amdhsa_user_sgpr_count 6
		.amdhsa_user_sgpr_private_segment_buffer 1
		.amdhsa_user_sgpr_dispatch_ptr 0
		.amdhsa_user_sgpr_queue_ptr 0
		.amdhsa_user_sgpr_kernarg_segment_ptr 1
		.amdhsa_user_sgpr_dispatch_id 0
		.amdhsa_user_sgpr_flat_scratch_init 0
		.amdhsa_user_sgpr_kernarg_preload_length 0
		.amdhsa_user_sgpr_kernarg_preload_offset 0
		.amdhsa_user_sgpr_private_segment_size 0
		.amdhsa_uses_dynamic_stack 0
		.amdhsa_system_sgpr_private_segment_wavefront_offset 0
		.amdhsa_system_sgpr_workgroup_id_x 1
		.amdhsa_system_sgpr_workgroup_id_y 0
		.amdhsa_system_sgpr_workgroup_id_z 0
		.amdhsa_system_sgpr_workgroup_info 0
		.amdhsa_system_vgpr_workitem_id 0
		.amdhsa_next_free_vgpr 50
		.amdhsa_next_free_sgpr 52
		.amdhsa_accum_offset 52
		.amdhsa_reserve_vcc 1
		.amdhsa_reserve_flat_scratch 0
		.amdhsa_float_round_mode_32 0
		.amdhsa_float_round_mode_16_64 0
		.amdhsa_float_denorm_mode_32 3
		.amdhsa_float_denorm_mode_16_64 3
		.amdhsa_dx10_clamp 1
		.amdhsa_ieee_mode 1
		.amdhsa_fp16_overflow 0
		.amdhsa_tg_split 0
		.amdhsa_exception_fp_ieee_invalid_op 0
		.amdhsa_exception_fp_denorm_src 0
		.amdhsa_exception_fp_ieee_div_zero 0
		.amdhsa_exception_fp_ieee_overflow 0
		.amdhsa_exception_fp_ieee_underflow 0
		.amdhsa_exception_fp_ieee_inexact 0
		.amdhsa_exception_int_div_zero 0
	.end_amdhsa_kernel
	.section	.text._ZN7rocprim17ROCPRIM_400000_NS6detail17trampoline_kernelINS0_14default_configENS1_25partition_config_selectorILNS1_17partition_subalgoE9EllbEEZZNS1_14partition_implILS5_9ELb0ES3_jPlS8_PNS0_10empty_typeENS0_5tupleIJS8_S9_EEENSB_IJS8_SA_EEENS0_18inequality_wrapperIZN2at6native12_GLOBAL__N_124unique_dim_cuda_templateImEESt5tupleIJNSF_6TensorESK_SK_EERKSK_lbbbEUlllE0_EEPmJS9_EEE10hipError_tPvRmT3_T4_T5_T6_T7_T9_mT8_P12ihipStream_tbDpT10_ENKUlT_T0_E_clISt17integral_constantIbLb0EES19_IbLb1EEEEDaS15_S16_EUlS15_E_NS1_11comp_targetILNS1_3genE4ELNS1_11target_archE910ELNS1_3gpuE8ELNS1_3repE0EEENS1_30default_config_static_selectorELNS0_4arch9wavefront6targetE1EEEvT1_,"axG",@progbits,_ZN7rocprim17ROCPRIM_400000_NS6detail17trampoline_kernelINS0_14default_configENS1_25partition_config_selectorILNS1_17partition_subalgoE9EllbEEZZNS1_14partition_implILS5_9ELb0ES3_jPlS8_PNS0_10empty_typeENS0_5tupleIJS8_S9_EEENSB_IJS8_SA_EEENS0_18inequality_wrapperIZN2at6native12_GLOBAL__N_124unique_dim_cuda_templateImEESt5tupleIJNSF_6TensorESK_SK_EERKSK_lbbbEUlllE0_EEPmJS9_EEE10hipError_tPvRmT3_T4_T5_T6_T7_T9_mT8_P12ihipStream_tbDpT10_ENKUlT_T0_E_clISt17integral_constantIbLb0EES19_IbLb1EEEEDaS15_S16_EUlS15_E_NS1_11comp_targetILNS1_3genE4ELNS1_11target_archE910ELNS1_3gpuE8ELNS1_3repE0EEENS1_30default_config_static_selectorELNS0_4arch9wavefront6targetE1EEEvT1_,comdat
.Lfunc_end1719:
	.size	_ZN7rocprim17ROCPRIM_400000_NS6detail17trampoline_kernelINS0_14default_configENS1_25partition_config_selectorILNS1_17partition_subalgoE9EllbEEZZNS1_14partition_implILS5_9ELb0ES3_jPlS8_PNS0_10empty_typeENS0_5tupleIJS8_S9_EEENSB_IJS8_SA_EEENS0_18inequality_wrapperIZN2at6native12_GLOBAL__N_124unique_dim_cuda_templateImEESt5tupleIJNSF_6TensorESK_SK_EERKSK_lbbbEUlllE0_EEPmJS9_EEE10hipError_tPvRmT3_T4_T5_T6_T7_T9_mT8_P12ihipStream_tbDpT10_ENKUlT_T0_E_clISt17integral_constantIbLb0EES19_IbLb1EEEEDaS15_S16_EUlS15_E_NS1_11comp_targetILNS1_3genE4ELNS1_11target_archE910ELNS1_3gpuE8ELNS1_3repE0EEENS1_30default_config_static_selectorELNS0_4arch9wavefront6targetE1EEEvT1_, .Lfunc_end1719-_ZN7rocprim17ROCPRIM_400000_NS6detail17trampoline_kernelINS0_14default_configENS1_25partition_config_selectorILNS1_17partition_subalgoE9EllbEEZZNS1_14partition_implILS5_9ELb0ES3_jPlS8_PNS0_10empty_typeENS0_5tupleIJS8_S9_EEENSB_IJS8_SA_EEENS0_18inequality_wrapperIZN2at6native12_GLOBAL__N_124unique_dim_cuda_templateImEESt5tupleIJNSF_6TensorESK_SK_EERKSK_lbbbEUlllE0_EEPmJS9_EEE10hipError_tPvRmT3_T4_T5_T6_T7_T9_mT8_P12ihipStream_tbDpT10_ENKUlT_T0_E_clISt17integral_constantIbLb0EES19_IbLb1EEEEDaS15_S16_EUlS15_E_NS1_11comp_targetILNS1_3genE4ELNS1_11target_archE910ELNS1_3gpuE8ELNS1_3repE0EEENS1_30default_config_static_selectorELNS0_4arch9wavefront6targetE1EEEvT1_
                                        ; -- End function
	.section	.AMDGPU.csdata,"",@progbits
; Kernel info:
; codeLenInByte = 10900
; NumSgprs: 56
; NumVgprs: 50
; NumAgprs: 0
; TotalNumVgprs: 50
; ScratchSize: 0
; MemoryBound: 1
; FloatMode: 240
; IeeeMode: 1
; LDSByteSize: 4236 bytes/workgroup (compile time only)
; SGPRBlocks: 6
; VGPRBlocks: 6
; NumSGPRsForWavesPerEU: 56
; NumVGPRsForWavesPerEU: 50
; AccumOffset: 52
; Occupancy: 8
; WaveLimiterHint : 1
; COMPUTE_PGM_RSRC2:SCRATCH_EN: 0
; COMPUTE_PGM_RSRC2:USER_SGPR: 6
; COMPUTE_PGM_RSRC2:TRAP_HANDLER: 0
; COMPUTE_PGM_RSRC2:TGID_X_EN: 1
; COMPUTE_PGM_RSRC2:TGID_Y_EN: 0
; COMPUTE_PGM_RSRC2:TGID_Z_EN: 0
; COMPUTE_PGM_RSRC2:TIDIG_COMP_CNT: 0
; COMPUTE_PGM_RSRC3_GFX90A:ACCUM_OFFSET: 12
; COMPUTE_PGM_RSRC3_GFX90A:TG_SPLIT: 0
	.section	.text._ZN7rocprim17ROCPRIM_400000_NS6detail17trampoline_kernelINS0_14default_configENS1_25partition_config_selectorILNS1_17partition_subalgoE9EllbEEZZNS1_14partition_implILS5_9ELb0ES3_jPlS8_PNS0_10empty_typeENS0_5tupleIJS8_S9_EEENSB_IJS8_SA_EEENS0_18inequality_wrapperIZN2at6native12_GLOBAL__N_124unique_dim_cuda_templateImEESt5tupleIJNSF_6TensorESK_SK_EERKSK_lbbbEUlllE0_EEPmJS9_EEE10hipError_tPvRmT3_T4_T5_T6_T7_T9_mT8_P12ihipStream_tbDpT10_ENKUlT_T0_E_clISt17integral_constantIbLb0EES19_IbLb1EEEEDaS15_S16_EUlS15_E_NS1_11comp_targetILNS1_3genE3ELNS1_11target_archE908ELNS1_3gpuE7ELNS1_3repE0EEENS1_30default_config_static_selectorELNS0_4arch9wavefront6targetE1EEEvT1_,"axG",@progbits,_ZN7rocprim17ROCPRIM_400000_NS6detail17trampoline_kernelINS0_14default_configENS1_25partition_config_selectorILNS1_17partition_subalgoE9EllbEEZZNS1_14partition_implILS5_9ELb0ES3_jPlS8_PNS0_10empty_typeENS0_5tupleIJS8_S9_EEENSB_IJS8_SA_EEENS0_18inequality_wrapperIZN2at6native12_GLOBAL__N_124unique_dim_cuda_templateImEESt5tupleIJNSF_6TensorESK_SK_EERKSK_lbbbEUlllE0_EEPmJS9_EEE10hipError_tPvRmT3_T4_T5_T6_T7_T9_mT8_P12ihipStream_tbDpT10_ENKUlT_T0_E_clISt17integral_constantIbLb0EES19_IbLb1EEEEDaS15_S16_EUlS15_E_NS1_11comp_targetILNS1_3genE3ELNS1_11target_archE908ELNS1_3gpuE7ELNS1_3repE0EEENS1_30default_config_static_selectorELNS0_4arch9wavefront6targetE1EEEvT1_,comdat
	.globl	_ZN7rocprim17ROCPRIM_400000_NS6detail17trampoline_kernelINS0_14default_configENS1_25partition_config_selectorILNS1_17partition_subalgoE9EllbEEZZNS1_14partition_implILS5_9ELb0ES3_jPlS8_PNS0_10empty_typeENS0_5tupleIJS8_S9_EEENSB_IJS8_SA_EEENS0_18inequality_wrapperIZN2at6native12_GLOBAL__N_124unique_dim_cuda_templateImEESt5tupleIJNSF_6TensorESK_SK_EERKSK_lbbbEUlllE0_EEPmJS9_EEE10hipError_tPvRmT3_T4_T5_T6_T7_T9_mT8_P12ihipStream_tbDpT10_ENKUlT_T0_E_clISt17integral_constantIbLb0EES19_IbLb1EEEEDaS15_S16_EUlS15_E_NS1_11comp_targetILNS1_3genE3ELNS1_11target_archE908ELNS1_3gpuE7ELNS1_3repE0EEENS1_30default_config_static_selectorELNS0_4arch9wavefront6targetE1EEEvT1_ ; -- Begin function _ZN7rocprim17ROCPRIM_400000_NS6detail17trampoline_kernelINS0_14default_configENS1_25partition_config_selectorILNS1_17partition_subalgoE9EllbEEZZNS1_14partition_implILS5_9ELb0ES3_jPlS8_PNS0_10empty_typeENS0_5tupleIJS8_S9_EEENSB_IJS8_SA_EEENS0_18inequality_wrapperIZN2at6native12_GLOBAL__N_124unique_dim_cuda_templateImEESt5tupleIJNSF_6TensorESK_SK_EERKSK_lbbbEUlllE0_EEPmJS9_EEE10hipError_tPvRmT3_T4_T5_T6_T7_T9_mT8_P12ihipStream_tbDpT10_ENKUlT_T0_E_clISt17integral_constantIbLb0EES19_IbLb1EEEEDaS15_S16_EUlS15_E_NS1_11comp_targetILNS1_3genE3ELNS1_11target_archE908ELNS1_3gpuE7ELNS1_3repE0EEENS1_30default_config_static_selectorELNS0_4arch9wavefront6targetE1EEEvT1_
	.p2align	8
	.type	_ZN7rocprim17ROCPRIM_400000_NS6detail17trampoline_kernelINS0_14default_configENS1_25partition_config_selectorILNS1_17partition_subalgoE9EllbEEZZNS1_14partition_implILS5_9ELb0ES3_jPlS8_PNS0_10empty_typeENS0_5tupleIJS8_S9_EEENSB_IJS8_SA_EEENS0_18inequality_wrapperIZN2at6native12_GLOBAL__N_124unique_dim_cuda_templateImEESt5tupleIJNSF_6TensorESK_SK_EERKSK_lbbbEUlllE0_EEPmJS9_EEE10hipError_tPvRmT3_T4_T5_T6_T7_T9_mT8_P12ihipStream_tbDpT10_ENKUlT_T0_E_clISt17integral_constantIbLb0EES19_IbLb1EEEEDaS15_S16_EUlS15_E_NS1_11comp_targetILNS1_3genE3ELNS1_11target_archE908ELNS1_3gpuE7ELNS1_3repE0EEENS1_30default_config_static_selectorELNS0_4arch9wavefront6targetE1EEEvT1_,@function
_ZN7rocprim17ROCPRIM_400000_NS6detail17trampoline_kernelINS0_14default_configENS1_25partition_config_selectorILNS1_17partition_subalgoE9EllbEEZZNS1_14partition_implILS5_9ELb0ES3_jPlS8_PNS0_10empty_typeENS0_5tupleIJS8_S9_EEENSB_IJS8_SA_EEENS0_18inequality_wrapperIZN2at6native12_GLOBAL__N_124unique_dim_cuda_templateImEESt5tupleIJNSF_6TensorESK_SK_EERKSK_lbbbEUlllE0_EEPmJS9_EEE10hipError_tPvRmT3_T4_T5_T6_T7_T9_mT8_P12ihipStream_tbDpT10_ENKUlT_T0_E_clISt17integral_constantIbLb0EES19_IbLb1EEEEDaS15_S16_EUlS15_E_NS1_11comp_targetILNS1_3genE3ELNS1_11target_archE908ELNS1_3gpuE7ELNS1_3repE0EEENS1_30default_config_static_selectorELNS0_4arch9wavefront6targetE1EEEvT1_: ; @_ZN7rocprim17ROCPRIM_400000_NS6detail17trampoline_kernelINS0_14default_configENS1_25partition_config_selectorILNS1_17partition_subalgoE9EllbEEZZNS1_14partition_implILS5_9ELb0ES3_jPlS8_PNS0_10empty_typeENS0_5tupleIJS8_S9_EEENSB_IJS8_SA_EEENS0_18inequality_wrapperIZN2at6native12_GLOBAL__N_124unique_dim_cuda_templateImEESt5tupleIJNSF_6TensorESK_SK_EERKSK_lbbbEUlllE0_EEPmJS9_EEE10hipError_tPvRmT3_T4_T5_T6_T7_T9_mT8_P12ihipStream_tbDpT10_ENKUlT_T0_E_clISt17integral_constantIbLb0EES19_IbLb1EEEEDaS15_S16_EUlS15_E_NS1_11comp_targetILNS1_3genE3ELNS1_11target_archE908ELNS1_3gpuE7ELNS1_3repE0EEENS1_30default_config_static_selectorELNS0_4arch9wavefront6targetE1EEEvT1_
; %bb.0:
	.section	.rodata,"a",@progbits
	.p2align	6, 0x0
	.amdhsa_kernel _ZN7rocprim17ROCPRIM_400000_NS6detail17trampoline_kernelINS0_14default_configENS1_25partition_config_selectorILNS1_17partition_subalgoE9EllbEEZZNS1_14partition_implILS5_9ELb0ES3_jPlS8_PNS0_10empty_typeENS0_5tupleIJS8_S9_EEENSB_IJS8_SA_EEENS0_18inequality_wrapperIZN2at6native12_GLOBAL__N_124unique_dim_cuda_templateImEESt5tupleIJNSF_6TensorESK_SK_EERKSK_lbbbEUlllE0_EEPmJS9_EEE10hipError_tPvRmT3_T4_T5_T6_T7_T9_mT8_P12ihipStream_tbDpT10_ENKUlT_T0_E_clISt17integral_constantIbLb0EES19_IbLb1EEEEDaS15_S16_EUlS15_E_NS1_11comp_targetILNS1_3genE3ELNS1_11target_archE908ELNS1_3gpuE7ELNS1_3repE0EEENS1_30default_config_static_selectorELNS0_4arch9wavefront6targetE1EEEvT1_
		.amdhsa_group_segment_fixed_size 0
		.amdhsa_private_segment_fixed_size 0
		.amdhsa_kernarg_size 136
		.amdhsa_user_sgpr_count 6
		.amdhsa_user_sgpr_private_segment_buffer 1
		.amdhsa_user_sgpr_dispatch_ptr 0
		.amdhsa_user_sgpr_queue_ptr 0
		.amdhsa_user_sgpr_kernarg_segment_ptr 1
		.amdhsa_user_sgpr_dispatch_id 0
		.amdhsa_user_sgpr_flat_scratch_init 0
		.amdhsa_user_sgpr_kernarg_preload_length 0
		.amdhsa_user_sgpr_kernarg_preload_offset 0
		.amdhsa_user_sgpr_private_segment_size 0
		.amdhsa_uses_dynamic_stack 0
		.amdhsa_system_sgpr_private_segment_wavefront_offset 0
		.amdhsa_system_sgpr_workgroup_id_x 1
		.amdhsa_system_sgpr_workgroup_id_y 0
		.amdhsa_system_sgpr_workgroup_id_z 0
		.amdhsa_system_sgpr_workgroup_info 0
		.amdhsa_system_vgpr_workitem_id 0
		.amdhsa_next_free_vgpr 1
		.amdhsa_next_free_sgpr 0
		.amdhsa_accum_offset 4
		.amdhsa_reserve_vcc 0
		.amdhsa_reserve_flat_scratch 0
		.amdhsa_float_round_mode_32 0
		.amdhsa_float_round_mode_16_64 0
		.amdhsa_float_denorm_mode_32 3
		.amdhsa_float_denorm_mode_16_64 3
		.amdhsa_dx10_clamp 1
		.amdhsa_ieee_mode 1
		.amdhsa_fp16_overflow 0
		.amdhsa_tg_split 0
		.amdhsa_exception_fp_ieee_invalid_op 0
		.amdhsa_exception_fp_denorm_src 0
		.amdhsa_exception_fp_ieee_div_zero 0
		.amdhsa_exception_fp_ieee_overflow 0
		.amdhsa_exception_fp_ieee_underflow 0
		.amdhsa_exception_fp_ieee_inexact 0
		.amdhsa_exception_int_div_zero 0
	.end_amdhsa_kernel
	.section	.text._ZN7rocprim17ROCPRIM_400000_NS6detail17trampoline_kernelINS0_14default_configENS1_25partition_config_selectorILNS1_17partition_subalgoE9EllbEEZZNS1_14partition_implILS5_9ELb0ES3_jPlS8_PNS0_10empty_typeENS0_5tupleIJS8_S9_EEENSB_IJS8_SA_EEENS0_18inequality_wrapperIZN2at6native12_GLOBAL__N_124unique_dim_cuda_templateImEESt5tupleIJNSF_6TensorESK_SK_EERKSK_lbbbEUlllE0_EEPmJS9_EEE10hipError_tPvRmT3_T4_T5_T6_T7_T9_mT8_P12ihipStream_tbDpT10_ENKUlT_T0_E_clISt17integral_constantIbLb0EES19_IbLb1EEEEDaS15_S16_EUlS15_E_NS1_11comp_targetILNS1_3genE3ELNS1_11target_archE908ELNS1_3gpuE7ELNS1_3repE0EEENS1_30default_config_static_selectorELNS0_4arch9wavefront6targetE1EEEvT1_,"axG",@progbits,_ZN7rocprim17ROCPRIM_400000_NS6detail17trampoline_kernelINS0_14default_configENS1_25partition_config_selectorILNS1_17partition_subalgoE9EllbEEZZNS1_14partition_implILS5_9ELb0ES3_jPlS8_PNS0_10empty_typeENS0_5tupleIJS8_S9_EEENSB_IJS8_SA_EEENS0_18inequality_wrapperIZN2at6native12_GLOBAL__N_124unique_dim_cuda_templateImEESt5tupleIJNSF_6TensorESK_SK_EERKSK_lbbbEUlllE0_EEPmJS9_EEE10hipError_tPvRmT3_T4_T5_T6_T7_T9_mT8_P12ihipStream_tbDpT10_ENKUlT_T0_E_clISt17integral_constantIbLb0EES19_IbLb1EEEEDaS15_S16_EUlS15_E_NS1_11comp_targetILNS1_3genE3ELNS1_11target_archE908ELNS1_3gpuE7ELNS1_3repE0EEENS1_30default_config_static_selectorELNS0_4arch9wavefront6targetE1EEEvT1_,comdat
.Lfunc_end1720:
	.size	_ZN7rocprim17ROCPRIM_400000_NS6detail17trampoline_kernelINS0_14default_configENS1_25partition_config_selectorILNS1_17partition_subalgoE9EllbEEZZNS1_14partition_implILS5_9ELb0ES3_jPlS8_PNS0_10empty_typeENS0_5tupleIJS8_S9_EEENSB_IJS8_SA_EEENS0_18inequality_wrapperIZN2at6native12_GLOBAL__N_124unique_dim_cuda_templateImEESt5tupleIJNSF_6TensorESK_SK_EERKSK_lbbbEUlllE0_EEPmJS9_EEE10hipError_tPvRmT3_T4_T5_T6_T7_T9_mT8_P12ihipStream_tbDpT10_ENKUlT_T0_E_clISt17integral_constantIbLb0EES19_IbLb1EEEEDaS15_S16_EUlS15_E_NS1_11comp_targetILNS1_3genE3ELNS1_11target_archE908ELNS1_3gpuE7ELNS1_3repE0EEENS1_30default_config_static_selectorELNS0_4arch9wavefront6targetE1EEEvT1_, .Lfunc_end1720-_ZN7rocprim17ROCPRIM_400000_NS6detail17trampoline_kernelINS0_14default_configENS1_25partition_config_selectorILNS1_17partition_subalgoE9EllbEEZZNS1_14partition_implILS5_9ELb0ES3_jPlS8_PNS0_10empty_typeENS0_5tupleIJS8_S9_EEENSB_IJS8_SA_EEENS0_18inequality_wrapperIZN2at6native12_GLOBAL__N_124unique_dim_cuda_templateImEESt5tupleIJNSF_6TensorESK_SK_EERKSK_lbbbEUlllE0_EEPmJS9_EEE10hipError_tPvRmT3_T4_T5_T6_T7_T9_mT8_P12ihipStream_tbDpT10_ENKUlT_T0_E_clISt17integral_constantIbLb0EES19_IbLb1EEEEDaS15_S16_EUlS15_E_NS1_11comp_targetILNS1_3genE3ELNS1_11target_archE908ELNS1_3gpuE7ELNS1_3repE0EEENS1_30default_config_static_selectorELNS0_4arch9wavefront6targetE1EEEvT1_
                                        ; -- End function
	.section	.AMDGPU.csdata,"",@progbits
; Kernel info:
; codeLenInByte = 0
; NumSgprs: 4
; NumVgprs: 0
; NumAgprs: 0
; TotalNumVgprs: 0
; ScratchSize: 0
; MemoryBound: 0
; FloatMode: 240
; IeeeMode: 1
; LDSByteSize: 0 bytes/workgroup (compile time only)
; SGPRBlocks: 0
; VGPRBlocks: 0
; NumSGPRsForWavesPerEU: 4
; NumVGPRsForWavesPerEU: 1
; AccumOffset: 4
; Occupancy: 8
; WaveLimiterHint : 0
; COMPUTE_PGM_RSRC2:SCRATCH_EN: 0
; COMPUTE_PGM_RSRC2:USER_SGPR: 6
; COMPUTE_PGM_RSRC2:TRAP_HANDLER: 0
; COMPUTE_PGM_RSRC2:TGID_X_EN: 1
; COMPUTE_PGM_RSRC2:TGID_Y_EN: 0
; COMPUTE_PGM_RSRC2:TGID_Z_EN: 0
; COMPUTE_PGM_RSRC2:TIDIG_COMP_CNT: 0
; COMPUTE_PGM_RSRC3_GFX90A:ACCUM_OFFSET: 0
; COMPUTE_PGM_RSRC3_GFX90A:TG_SPLIT: 0
	.section	.text._ZN7rocprim17ROCPRIM_400000_NS6detail17trampoline_kernelINS0_14default_configENS1_25partition_config_selectorILNS1_17partition_subalgoE9EllbEEZZNS1_14partition_implILS5_9ELb0ES3_jPlS8_PNS0_10empty_typeENS0_5tupleIJS8_S9_EEENSB_IJS8_SA_EEENS0_18inequality_wrapperIZN2at6native12_GLOBAL__N_124unique_dim_cuda_templateImEESt5tupleIJNSF_6TensorESK_SK_EERKSK_lbbbEUlllE0_EEPmJS9_EEE10hipError_tPvRmT3_T4_T5_T6_T7_T9_mT8_P12ihipStream_tbDpT10_ENKUlT_T0_E_clISt17integral_constantIbLb0EES19_IbLb1EEEEDaS15_S16_EUlS15_E_NS1_11comp_targetILNS1_3genE2ELNS1_11target_archE906ELNS1_3gpuE6ELNS1_3repE0EEENS1_30default_config_static_selectorELNS0_4arch9wavefront6targetE1EEEvT1_,"axG",@progbits,_ZN7rocprim17ROCPRIM_400000_NS6detail17trampoline_kernelINS0_14default_configENS1_25partition_config_selectorILNS1_17partition_subalgoE9EllbEEZZNS1_14partition_implILS5_9ELb0ES3_jPlS8_PNS0_10empty_typeENS0_5tupleIJS8_S9_EEENSB_IJS8_SA_EEENS0_18inequality_wrapperIZN2at6native12_GLOBAL__N_124unique_dim_cuda_templateImEESt5tupleIJNSF_6TensorESK_SK_EERKSK_lbbbEUlllE0_EEPmJS9_EEE10hipError_tPvRmT3_T4_T5_T6_T7_T9_mT8_P12ihipStream_tbDpT10_ENKUlT_T0_E_clISt17integral_constantIbLb0EES19_IbLb1EEEEDaS15_S16_EUlS15_E_NS1_11comp_targetILNS1_3genE2ELNS1_11target_archE906ELNS1_3gpuE6ELNS1_3repE0EEENS1_30default_config_static_selectorELNS0_4arch9wavefront6targetE1EEEvT1_,comdat
	.globl	_ZN7rocprim17ROCPRIM_400000_NS6detail17trampoline_kernelINS0_14default_configENS1_25partition_config_selectorILNS1_17partition_subalgoE9EllbEEZZNS1_14partition_implILS5_9ELb0ES3_jPlS8_PNS0_10empty_typeENS0_5tupleIJS8_S9_EEENSB_IJS8_SA_EEENS0_18inequality_wrapperIZN2at6native12_GLOBAL__N_124unique_dim_cuda_templateImEESt5tupleIJNSF_6TensorESK_SK_EERKSK_lbbbEUlllE0_EEPmJS9_EEE10hipError_tPvRmT3_T4_T5_T6_T7_T9_mT8_P12ihipStream_tbDpT10_ENKUlT_T0_E_clISt17integral_constantIbLb0EES19_IbLb1EEEEDaS15_S16_EUlS15_E_NS1_11comp_targetILNS1_3genE2ELNS1_11target_archE906ELNS1_3gpuE6ELNS1_3repE0EEENS1_30default_config_static_selectorELNS0_4arch9wavefront6targetE1EEEvT1_ ; -- Begin function _ZN7rocprim17ROCPRIM_400000_NS6detail17trampoline_kernelINS0_14default_configENS1_25partition_config_selectorILNS1_17partition_subalgoE9EllbEEZZNS1_14partition_implILS5_9ELb0ES3_jPlS8_PNS0_10empty_typeENS0_5tupleIJS8_S9_EEENSB_IJS8_SA_EEENS0_18inequality_wrapperIZN2at6native12_GLOBAL__N_124unique_dim_cuda_templateImEESt5tupleIJNSF_6TensorESK_SK_EERKSK_lbbbEUlllE0_EEPmJS9_EEE10hipError_tPvRmT3_T4_T5_T6_T7_T9_mT8_P12ihipStream_tbDpT10_ENKUlT_T0_E_clISt17integral_constantIbLb0EES19_IbLb1EEEEDaS15_S16_EUlS15_E_NS1_11comp_targetILNS1_3genE2ELNS1_11target_archE906ELNS1_3gpuE6ELNS1_3repE0EEENS1_30default_config_static_selectorELNS0_4arch9wavefront6targetE1EEEvT1_
	.p2align	8
	.type	_ZN7rocprim17ROCPRIM_400000_NS6detail17trampoline_kernelINS0_14default_configENS1_25partition_config_selectorILNS1_17partition_subalgoE9EllbEEZZNS1_14partition_implILS5_9ELb0ES3_jPlS8_PNS0_10empty_typeENS0_5tupleIJS8_S9_EEENSB_IJS8_SA_EEENS0_18inequality_wrapperIZN2at6native12_GLOBAL__N_124unique_dim_cuda_templateImEESt5tupleIJNSF_6TensorESK_SK_EERKSK_lbbbEUlllE0_EEPmJS9_EEE10hipError_tPvRmT3_T4_T5_T6_T7_T9_mT8_P12ihipStream_tbDpT10_ENKUlT_T0_E_clISt17integral_constantIbLb0EES19_IbLb1EEEEDaS15_S16_EUlS15_E_NS1_11comp_targetILNS1_3genE2ELNS1_11target_archE906ELNS1_3gpuE6ELNS1_3repE0EEENS1_30default_config_static_selectorELNS0_4arch9wavefront6targetE1EEEvT1_,@function
_ZN7rocprim17ROCPRIM_400000_NS6detail17trampoline_kernelINS0_14default_configENS1_25partition_config_selectorILNS1_17partition_subalgoE9EllbEEZZNS1_14partition_implILS5_9ELb0ES3_jPlS8_PNS0_10empty_typeENS0_5tupleIJS8_S9_EEENSB_IJS8_SA_EEENS0_18inequality_wrapperIZN2at6native12_GLOBAL__N_124unique_dim_cuda_templateImEESt5tupleIJNSF_6TensorESK_SK_EERKSK_lbbbEUlllE0_EEPmJS9_EEE10hipError_tPvRmT3_T4_T5_T6_T7_T9_mT8_P12ihipStream_tbDpT10_ENKUlT_T0_E_clISt17integral_constantIbLb0EES19_IbLb1EEEEDaS15_S16_EUlS15_E_NS1_11comp_targetILNS1_3genE2ELNS1_11target_archE906ELNS1_3gpuE6ELNS1_3repE0EEENS1_30default_config_static_selectorELNS0_4arch9wavefront6targetE1EEEvT1_: ; @_ZN7rocprim17ROCPRIM_400000_NS6detail17trampoline_kernelINS0_14default_configENS1_25partition_config_selectorILNS1_17partition_subalgoE9EllbEEZZNS1_14partition_implILS5_9ELb0ES3_jPlS8_PNS0_10empty_typeENS0_5tupleIJS8_S9_EEENSB_IJS8_SA_EEENS0_18inequality_wrapperIZN2at6native12_GLOBAL__N_124unique_dim_cuda_templateImEESt5tupleIJNSF_6TensorESK_SK_EERKSK_lbbbEUlllE0_EEPmJS9_EEE10hipError_tPvRmT3_T4_T5_T6_T7_T9_mT8_P12ihipStream_tbDpT10_ENKUlT_T0_E_clISt17integral_constantIbLb0EES19_IbLb1EEEEDaS15_S16_EUlS15_E_NS1_11comp_targetILNS1_3genE2ELNS1_11target_archE906ELNS1_3gpuE6ELNS1_3repE0EEENS1_30default_config_static_selectorELNS0_4arch9wavefront6targetE1EEEvT1_
; %bb.0:
	.section	.rodata,"a",@progbits
	.p2align	6, 0x0
	.amdhsa_kernel _ZN7rocprim17ROCPRIM_400000_NS6detail17trampoline_kernelINS0_14default_configENS1_25partition_config_selectorILNS1_17partition_subalgoE9EllbEEZZNS1_14partition_implILS5_9ELb0ES3_jPlS8_PNS0_10empty_typeENS0_5tupleIJS8_S9_EEENSB_IJS8_SA_EEENS0_18inequality_wrapperIZN2at6native12_GLOBAL__N_124unique_dim_cuda_templateImEESt5tupleIJNSF_6TensorESK_SK_EERKSK_lbbbEUlllE0_EEPmJS9_EEE10hipError_tPvRmT3_T4_T5_T6_T7_T9_mT8_P12ihipStream_tbDpT10_ENKUlT_T0_E_clISt17integral_constantIbLb0EES19_IbLb1EEEEDaS15_S16_EUlS15_E_NS1_11comp_targetILNS1_3genE2ELNS1_11target_archE906ELNS1_3gpuE6ELNS1_3repE0EEENS1_30default_config_static_selectorELNS0_4arch9wavefront6targetE1EEEvT1_
		.amdhsa_group_segment_fixed_size 0
		.amdhsa_private_segment_fixed_size 0
		.amdhsa_kernarg_size 136
		.amdhsa_user_sgpr_count 6
		.amdhsa_user_sgpr_private_segment_buffer 1
		.amdhsa_user_sgpr_dispatch_ptr 0
		.amdhsa_user_sgpr_queue_ptr 0
		.amdhsa_user_sgpr_kernarg_segment_ptr 1
		.amdhsa_user_sgpr_dispatch_id 0
		.amdhsa_user_sgpr_flat_scratch_init 0
		.amdhsa_user_sgpr_kernarg_preload_length 0
		.amdhsa_user_sgpr_kernarg_preload_offset 0
		.amdhsa_user_sgpr_private_segment_size 0
		.amdhsa_uses_dynamic_stack 0
		.amdhsa_system_sgpr_private_segment_wavefront_offset 0
		.amdhsa_system_sgpr_workgroup_id_x 1
		.amdhsa_system_sgpr_workgroup_id_y 0
		.amdhsa_system_sgpr_workgroup_id_z 0
		.amdhsa_system_sgpr_workgroup_info 0
		.amdhsa_system_vgpr_workitem_id 0
		.amdhsa_next_free_vgpr 1
		.amdhsa_next_free_sgpr 0
		.amdhsa_accum_offset 4
		.amdhsa_reserve_vcc 0
		.amdhsa_reserve_flat_scratch 0
		.amdhsa_float_round_mode_32 0
		.amdhsa_float_round_mode_16_64 0
		.amdhsa_float_denorm_mode_32 3
		.amdhsa_float_denorm_mode_16_64 3
		.amdhsa_dx10_clamp 1
		.amdhsa_ieee_mode 1
		.amdhsa_fp16_overflow 0
		.amdhsa_tg_split 0
		.amdhsa_exception_fp_ieee_invalid_op 0
		.amdhsa_exception_fp_denorm_src 0
		.amdhsa_exception_fp_ieee_div_zero 0
		.amdhsa_exception_fp_ieee_overflow 0
		.amdhsa_exception_fp_ieee_underflow 0
		.amdhsa_exception_fp_ieee_inexact 0
		.amdhsa_exception_int_div_zero 0
	.end_amdhsa_kernel
	.section	.text._ZN7rocprim17ROCPRIM_400000_NS6detail17trampoline_kernelINS0_14default_configENS1_25partition_config_selectorILNS1_17partition_subalgoE9EllbEEZZNS1_14partition_implILS5_9ELb0ES3_jPlS8_PNS0_10empty_typeENS0_5tupleIJS8_S9_EEENSB_IJS8_SA_EEENS0_18inequality_wrapperIZN2at6native12_GLOBAL__N_124unique_dim_cuda_templateImEESt5tupleIJNSF_6TensorESK_SK_EERKSK_lbbbEUlllE0_EEPmJS9_EEE10hipError_tPvRmT3_T4_T5_T6_T7_T9_mT8_P12ihipStream_tbDpT10_ENKUlT_T0_E_clISt17integral_constantIbLb0EES19_IbLb1EEEEDaS15_S16_EUlS15_E_NS1_11comp_targetILNS1_3genE2ELNS1_11target_archE906ELNS1_3gpuE6ELNS1_3repE0EEENS1_30default_config_static_selectorELNS0_4arch9wavefront6targetE1EEEvT1_,"axG",@progbits,_ZN7rocprim17ROCPRIM_400000_NS6detail17trampoline_kernelINS0_14default_configENS1_25partition_config_selectorILNS1_17partition_subalgoE9EllbEEZZNS1_14partition_implILS5_9ELb0ES3_jPlS8_PNS0_10empty_typeENS0_5tupleIJS8_S9_EEENSB_IJS8_SA_EEENS0_18inequality_wrapperIZN2at6native12_GLOBAL__N_124unique_dim_cuda_templateImEESt5tupleIJNSF_6TensorESK_SK_EERKSK_lbbbEUlllE0_EEPmJS9_EEE10hipError_tPvRmT3_T4_T5_T6_T7_T9_mT8_P12ihipStream_tbDpT10_ENKUlT_T0_E_clISt17integral_constantIbLb0EES19_IbLb1EEEEDaS15_S16_EUlS15_E_NS1_11comp_targetILNS1_3genE2ELNS1_11target_archE906ELNS1_3gpuE6ELNS1_3repE0EEENS1_30default_config_static_selectorELNS0_4arch9wavefront6targetE1EEEvT1_,comdat
.Lfunc_end1721:
	.size	_ZN7rocprim17ROCPRIM_400000_NS6detail17trampoline_kernelINS0_14default_configENS1_25partition_config_selectorILNS1_17partition_subalgoE9EllbEEZZNS1_14partition_implILS5_9ELb0ES3_jPlS8_PNS0_10empty_typeENS0_5tupleIJS8_S9_EEENSB_IJS8_SA_EEENS0_18inequality_wrapperIZN2at6native12_GLOBAL__N_124unique_dim_cuda_templateImEESt5tupleIJNSF_6TensorESK_SK_EERKSK_lbbbEUlllE0_EEPmJS9_EEE10hipError_tPvRmT3_T4_T5_T6_T7_T9_mT8_P12ihipStream_tbDpT10_ENKUlT_T0_E_clISt17integral_constantIbLb0EES19_IbLb1EEEEDaS15_S16_EUlS15_E_NS1_11comp_targetILNS1_3genE2ELNS1_11target_archE906ELNS1_3gpuE6ELNS1_3repE0EEENS1_30default_config_static_selectorELNS0_4arch9wavefront6targetE1EEEvT1_, .Lfunc_end1721-_ZN7rocprim17ROCPRIM_400000_NS6detail17trampoline_kernelINS0_14default_configENS1_25partition_config_selectorILNS1_17partition_subalgoE9EllbEEZZNS1_14partition_implILS5_9ELb0ES3_jPlS8_PNS0_10empty_typeENS0_5tupleIJS8_S9_EEENSB_IJS8_SA_EEENS0_18inequality_wrapperIZN2at6native12_GLOBAL__N_124unique_dim_cuda_templateImEESt5tupleIJNSF_6TensorESK_SK_EERKSK_lbbbEUlllE0_EEPmJS9_EEE10hipError_tPvRmT3_T4_T5_T6_T7_T9_mT8_P12ihipStream_tbDpT10_ENKUlT_T0_E_clISt17integral_constantIbLb0EES19_IbLb1EEEEDaS15_S16_EUlS15_E_NS1_11comp_targetILNS1_3genE2ELNS1_11target_archE906ELNS1_3gpuE6ELNS1_3repE0EEENS1_30default_config_static_selectorELNS0_4arch9wavefront6targetE1EEEvT1_
                                        ; -- End function
	.section	.AMDGPU.csdata,"",@progbits
; Kernel info:
; codeLenInByte = 0
; NumSgprs: 4
; NumVgprs: 0
; NumAgprs: 0
; TotalNumVgprs: 0
; ScratchSize: 0
; MemoryBound: 0
; FloatMode: 240
; IeeeMode: 1
; LDSByteSize: 0 bytes/workgroup (compile time only)
; SGPRBlocks: 0
; VGPRBlocks: 0
; NumSGPRsForWavesPerEU: 4
; NumVGPRsForWavesPerEU: 1
; AccumOffset: 4
; Occupancy: 8
; WaveLimiterHint : 0
; COMPUTE_PGM_RSRC2:SCRATCH_EN: 0
; COMPUTE_PGM_RSRC2:USER_SGPR: 6
; COMPUTE_PGM_RSRC2:TRAP_HANDLER: 0
; COMPUTE_PGM_RSRC2:TGID_X_EN: 1
; COMPUTE_PGM_RSRC2:TGID_Y_EN: 0
; COMPUTE_PGM_RSRC2:TGID_Z_EN: 0
; COMPUTE_PGM_RSRC2:TIDIG_COMP_CNT: 0
; COMPUTE_PGM_RSRC3_GFX90A:ACCUM_OFFSET: 0
; COMPUTE_PGM_RSRC3_GFX90A:TG_SPLIT: 0
	.section	.text._ZN7rocprim17ROCPRIM_400000_NS6detail17trampoline_kernelINS0_14default_configENS1_25partition_config_selectorILNS1_17partition_subalgoE9EllbEEZZNS1_14partition_implILS5_9ELb0ES3_jPlS8_PNS0_10empty_typeENS0_5tupleIJS8_S9_EEENSB_IJS8_SA_EEENS0_18inequality_wrapperIZN2at6native12_GLOBAL__N_124unique_dim_cuda_templateImEESt5tupleIJNSF_6TensorESK_SK_EERKSK_lbbbEUlllE0_EEPmJS9_EEE10hipError_tPvRmT3_T4_T5_T6_T7_T9_mT8_P12ihipStream_tbDpT10_ENKUlT_T0_E_clISt17integral_constantIbLb0EES19_IbLb1EEEEDaS15_S16_EUlS15_E_NS1_11comp_targetILNS1_3genE10ELNS1_11target_archE1200ELNS1_3gpuE4ELNS1_3repE0EEENS1_30default_config_static_selectorELNS0_4arch9wavefront6targetE1EEEvT1_,"axG",@progbits,_ZN7rocprim17ROCPRIM_400000_NS6detail17trampoline_kernelINS0_14default_configENS1_25partition_config_selectorILNS1_17partition_subalgoE9EllbEEZZNS1_14partition_implILS5_9ELb0ES3_jPlS8_PNS0_10empty_typeENS0_5tupleIJS8_S9_EEENSB_IJS8_SA_EEENS0_18inequality_wrapperIZN2at6native12_GLOBAL__N_124unique_dim_cuda_templateImEESt5tupleIJNSF_6TensorESK_SK_EERKSK_lbbbEUlllE0_EEPmJS9_EEE10hipError_tPvRmT3_T4_T5_T6_T7_T9_mT8_P12ihipStream_tbDpT10_ENKUlT_T0_E_clISt17integral_constantIbLb0EES19_IbLb1EEEEDaS15_S16_EUlS15_E_NS1_11comp_targetILNS1_3genE10ELNS1_11target_archE1200ELNS1_3gpuE4ELNS1_3repE0EEENS1_30default_config_static_selectorELNS0_4arch9wavefront6targetE1EEEvT1_,comdat
	.globl	_ZN7rocprim17ROCPRIM_400000_NS6detail17trampoline_kernelINS0_14default_configENS1_25partition_config_selectorILNS1_17partition_subalgoE9EllbEEZZNS1_14partition_implILS5_9ELb0ES3_jPlS8_PNS0_10empty_typeENS0_5tupleIJS8_S9_EEENSB_IJS8_SA_EEENS0_18inequality_wrapperIZN2at6native12_GLOBAL__N_124unique_dim_cuda_templateImEESt5tupleIJNSF_6TensorESK_SK_EERKSK_lbbbEUlllE0_EEPmJS9_EEE10hipError_tPvRmT3_T4_T5_T6_T7_T9_mT8_P12ihipStream_tbDpT10_ENKUlT_T0_E_clISt17integral_constantIbLb0EES19_IbLb1EEEEDaS15_S16_EUlS15_E_NS1_11comp_targetILNS1_3genE10ELNS1_11target_archE1200ELNS1_3gpuE4ELNS1_3repE0EEENS1_30default_config_static_selectorELNS0_4arch9wavefront6targetE1EEEvT1_ ; -- Begin function _ZN7rocprim17ROCPRIM_400000_NS6detail17trampoline_kernelINS0_14default_configENS1_25partition_config_selectorILNS1_17partition_subalgoE9EllbEEZZNS1_14partition_implILS5_9ELb0ES3_jPlS8_PNS0_10empty_typeENS0_5tupleIJS8_S9_EEENSB_IJS8_SA_EEENS0_18inequality_wrapperIZN2at6native12_GLOBAL__N_124unique_dim_cuda_templateImEESt5tupleIJNSF_6TensorESK_SK_EERKSK_lbbbEUlllE0_EEPmJS9_EEE10hipError_tPvRmT3_T4_T5_T6_T7_T9_mT8_P12ihipStream_tbDpT10_ENKUlT_T0_E_clISt17integral_constantIbLb0EES19_IbLb1EEEEDaS15_S16_EUlS15_E_NS1_11comp_targetILNS1_3genE10ELNS1_11target_archE1200ELNS1_3gpuE4ELNS1_3repE0EEENS1_30default_config_static_selectorELNS0_4arch9wavefront6targetE1EEEvT1_
	.p2align	8
	.type	_ZN7rocprim17ROCPRIM_400000_NS6detail17trampoline_kernelINS0_14default_configENS1_25partition_config_selectorILNS1_17partition_subalgoE9EllbEEZZNS1_14partition_implILS5_9ELb0ES3_jPlS8_PNS0_10empty_typeENS0_5tupleIJS8_S9_EEENSB_IJS8_SA_EEENS0_18inequality_wrapperIZN2at6native12_GLOBAL__N_124unique_dim_cuda_templateImEESt5tupleIJNSF_6TensorESK_SK_EERKSK_lbbbEUlllE0_EEPmJS9_EEE10hipError_tPvRmT3_T4_T5_T6_T7_T9_mT8_P12ihipStream_tbDpT10_ENKUlT_T0_E_clISt17integral_constantIbLb0EES19_IbLb1EEEEDaS15_S16_EUlS15_E_NS1_11comp_targetILNS1_3genE10ELNS1_11target_archE1200ELNS1_3gpuE4ELNS1_3repE0EEENS1_30default_config_static_selectorELNS0_4arch9wavefront6targetE1EEEvT1_,@function
_ZN7rocprim17ROCPRIM_400000_NS6detail17trampoline_kernelINS0_14default_configENS1_25partition_config_selectorILNS1_17partition_subalgoE9EllbEEZZNS1_14partition_implILS5_9ELb0ES3_jPlS8_PNS0_10empty_typeENS0_5tupleIJS8_S9_EEENSB_IJS8_SA_EEENS0_18inequality_wrapperIZN2at6native12_GLOBAL__N_124unique_dim_cuda_templateImEESt5tupleIJNSF_6TensorESK_SK_EERKSK_lbbbEUlllE0_EEPmJS9_EEE10hipError_tPvRmT3_T4_T5_T6_T7_T9_mT8_P12ihipStream_tbDpT10_ENKUlT_T0_E_clISt17integral_constantIbLb0EES19_IbLb1EEEEDaS15_S16_EUlS15_E_NS1_11comp_targetILNS1_3genE10ELNS1_11target_archE1200ELNS1_3gpuE4ELNS1_3repE0EEENS1_30default_config_static_selectorELNS0_4arch9wavefront6targetE1EEEvT1_: ; @_ZN7rocprim17ROCPRIM_400000_NS6detail17trampoline_kernelINS0_14default_configENS1_25partition_config_selectorILNS1_17partition_subalgoE9EllbEEZZNS1_14partition_implILS5_9ELb0ES3_jPlS8_PNS0_10empty_typeENS0_5tupleIJS8_S9_EEENSB_IJS8_SA_EEENS0_18inequality_wrapperIZN2at6native12_GLOBAL__N_124unique_dim_cuda_templateImEESt5tupleIJNSF_6TensorESK_SK_EERKSK_lbbbEUlllE0_EEPmJS9_EEE10hipError_tPvRmT3_T4_T5_T6_T7_T9_mT8_P12ihipStream_tbDpT10_ENKUlT_T0_E_clISt17integral_constantIbLb0EES19_IbLb1EEEEDaS15_S16_EUlS15_E_NS1_11comp_targetILNS1_3genE10ELNS1_11target_archE1200ELNS1_3gpuE4ELNS1_3repE0EEENS1_30default_config_static_selectorELNS0_4arch9wavefront6targetE1EEEvT1_
; %bb.0:
	.section	.rodata,"a",@progbits
	.p2align	6, 0x0
	.amdhsa_kernel _ZN7rocprim17ROCPRIM_400000_NS6detail17trampoline_kernelINS0_14default_configENS1_25partition_config_selectorILNS1_17partition_subalgoE9EllbEEZZNS1_14partition_implILS5_9ELb0ES3_jPlS8_PNS0_10empty_typeENS0_5tupleIJS8_S9_EEENSB_IJS8_SA_EEENS0_18inequality_wrapperIZN2at6native12_GLOBAL__N_124unique_dim_cuda_templateImEESt5tupleIJNSF_6TensorESK_SK_EERKSK_lbbbEUlllE0_EEPmJS9_EEE10hipError_tPvRmT3_T4_T5_T6_T7_T9_mT8_P12ihipStream_tbDpT10_ENKUlT_T0_E_clISt17integral_constantIbLb0EES19_IbLb1EEEEDaS15_S16_EUlS15_E_NS1_11comp_targetILNS1_3genE10ELNS1_11target_archE1200ELNS1_3gpuE4ELNS1_3repE0EEENS1_30default_config_static_selectorELNS0_4arch9wavefront6targetE1EEEvT1_
		.amdhsa_group_segment_fixed_size 0
		.amdhsa_private_segment_fixed_size 0
		.amdhsa_kernarg_size 136
		.amdhsa_user_sgpr_count 6
		.amdhsa_user_sgpr_private_segment_buffer 1
		.amdhsa_user_sgpr_dispatch_ptr 0
		.amdhsa_user_sgpr_queue_ptr 0
		.amdhsa_user_sgpr_kernarg_segment_ptr 1
		.amdhsa_user_sgpr_dispatch_id 0
		.amdhsa_user_sgpr_flat_scratch_init 0
		.amdhsa_user_sgpr_kernarg_preload_length 0
		.amdhsa_user_sgpr_kernarg_preload_offset 0
		.amdhsa_user_sgpr_private_segment_size 0
		.amdhsa_uses_dynamic_stack 0
		.amdhsa_system_sgpr_private_segment_wavefront_offset 0
		.amdhsa_system_sgpr_workgroup_id_x 1
		.amdhsa_system_sgpr_workgroup_id_y 0
		.amdhsa_system_sgpr_workgroup_id_z 0
		.amdhsa_system_sgpr_workgroup_info 0
		.amdhsa_system_vgpr_workitem_id 0
		.amdhsa_next_free_vgpr 1
		.amdhsa_next_free_sgpr 0
		.amdhsa_accum_offset 4
		.amdhsa_reserve_vcc 0
		.amdhsa_reserve_flat_scratch 0
		.amdhsa_float_round_mode_32 0
		.amdhsa_float_round_mode_16_64 0
		.amdhsa_float_denorm_mode_32 3
		.amdhsa_float_denorm_mode_16_64 3
		.amdhsa_dx10_clamp 1
		.amdhsa_ieee_mode 1
		.amdhsa_fp16_overflow 0
		.amdhsa_tg_split 0
		.amdhsa_exception_fp_ieee_invalid_op 0
		.amdhsa_exception_fp_denorm_src 0
		.amdhsa_exception_fp_ieee_div_zero 0
		.amdhsa_exception_fp_ieee_overflow 0
		.amdhsa_exception_fp_ieee_underflow 0
		.amdhsa_exception_fp_ieee_inexact 0
		.amdhsa_exception_int_div_zero 0
	.end_amdhsa_kernel
	.section	.text._ZN7rocprim17ROCPRIM_400000_NS6detail17trampoline_kernelINS0_14default_configENS1_25partition_config_selectorILNS1_17partition_subalgoE9EllbEEZZNS1_14partition_implILS5_9ELb0ES3_jPlS8_PNS0_10empty_typeENS0_5tupleIJS8_S9_EEENSB_IJS8_SA_EEENS0_18inequality_wrapperIZN2at6native12_GLOBAL__N_124unique_dim_cuda_templateImEESt5tupleIJNSF_6TensorESK_SK_EERKSK_lbbbEUlllE0_EEPmJS9_EEE10hipError_tPvRmT3_T4_T5_T6_T7_T9_mT8_P12ihipStream_tbDpT10_ENKUlT_T0_E_clISt17integral_constantIbLb0EES19_IbLb1EEEEDaS15_S16_EUlS15_E_NS1_11comp_targetILNS1_3genE10ELNS1_11target_archE1200ELNS1_3gpuE4ELNS1_3repE0EEENS1_30default_config_static_selectorELNS0_4arch9wavefront6targetE1EEEvT1_,"axG",@progbits,_ZN7rocprim17ROCPRIM_400000_NS6detail17trampoline_kernelINS0_14default_configENS1_25partition_config_selectorILNS1_17partition_subalgoE9EllbEEZZNS1_14partition_implILS5_9ELb0ES3_jPlS8_PNS0_10empty_typeENS0_5tupleIJS8_S9_EEENSB_IJS8_SA_EEENS0_18inequality_wrapperIZN2at6native12_GLOBAL__N_124unique_dim_cuda_templateImEESt5tupleIJNSF_6TensorESK_SK_EERKSK_lbbbEUlllE0_EEPmJS9_EEE10hipError_tPvRmT3_T4_T5_T6_T7_T9_mT8_P12ihipStream_tbDpT10_ENKUlT_T0_E_clISt17integral_constantIbLb0EES19_IbLb1EEEEDaS15_S16_EUlS15_E_NS1_11comp_targetILNS1_3genE10ELNS1_11target_archE1200ELNS1_3gpuE4ELNS1_3repE0EEENS1_30default_config_static_selectorELNS0_4arch9wavefront6targetE1EEEvT1_,comdat
.Lfunc_end1722:
	.size	_ZN7rocprim17ROCPRIM_400000_NS6detail17trampoline_kernelINS0_14default_configENS1_25partition_config_selectorILNS1_17partition_subalgoE9EllbEEZZNS1_14partition_implILS5_9ELb0ES3_jPlS8_PNS0_10empty_typeENS0_5tupleIJS8_S9_EEENSB_IJS8_SA_EEENS0_18inequality_wrapperIZN2at6native12_GLOBAL__N_124unique_dim_cuda_templateImEESt5tupleIJNSF_6TensorESK_SK_EERKSK_lbbbEUlllE0_EEPmJS9_EEE10hipError_tPvRmT3_T4_T5_T6_T7_T9_mT8_P12ihipStream_tbDpT10_ENKUlT_T0_E_clISt17integral_constantIbLb0EES19_IbLb1EEEEDaS15_S16_EUlS15_E_NS1_11comp_targetILNS1_3genE10ELNS1_11target_archE1200ELNS1_3gpuE4ELNS1_3repE0EEENS1_30default_config_static_selectorELNS0_4arch9wavefront6targetE1EEEvT1_, .Lfunc_end1722-_ZN7rocprim17ROCPRIM_400000_NS6detail17trampoline_kernelINS0_14default_configENS1_25partition_config_selectorILNS1_17partition_subalgoE9EllbEEZZNS1_14partition_implILS5_9ELb0ES3_jPlS8_PNS0_10empty_typeENS0_5tupleIJS8_S9_EEENSB_IJS8_SA_EEENS0_18inequality_wrapperIZN2at6native12_GLOBAL__N_124unique_dim_cuda_templateImEESt5tupleIJNSF_6TensorESK_SK_EERKSK_lbbbEUlllE0_EEPmJS9_EEE10hipError_tPvRmT3_T4_T5_T6_T7_T9_mT8_P12ihipStream_tbDpT10_ENKUlT_T0_E_clISt17integral_constantIbLb0EES19_IbLb1EEEEDaS15_S16_EUlS15_E_NS1_11comp_targetILNS1_3genE10ELNS1_11target_archE1200ELNS1_3gpuE4ELNS1_3repE0EEENS1_30default_config_static_selectorELNS0_4arch9wavefront6targetE1EEEvT1_
                                        ; -- End function
	.section	.AMDGPU.csdata,"",@progbits
; Kernel info:
; codeLenInByte = 0
; NumSgprs: 4
; NumVgprs: 0
; NumAgprs: 0
; TotalNumVgprs: 0
; ScratchSize: 0
; MemoryBound: 0
; FloatMode: 240
; IeeeMode: 1
; LDSByteSize: 0 bytes/workgroup (compile time only)
; SGPRBlocks: 0
; VGPRBlocks: 0
; NumSGPRsForWavesPerEU: 4
; NumVGPRsForWavesPerEU: 1
; AccumOffset: 4
; Occupancy: 8
; WaveLimiterHint : 0
; COMPUTE_PGM_RSRC2:SCRATCH_EN: 0
; COMPUTE_PGM_RSRC2:USER_SGPR: 6
; COMPUTE_PGM_RSRC2:TRAP_HANDLER: 0
; COMPUTE_PGM_RSRC2:TGID_X_EN: 1
; COMPUTE_PGM_RSRC2:TGID_Y_EN: 0
; COMPUTE_PGM_RSRC2:TGID_Z_EN: 0
; COMPUTE_PGM_RSRC2:TIDIG_COMP_CNT: 0
; COMPUTE_PGM_RSRC3_GFX90A:ACCUM_OFFSET: 0
; COMPUTE_PGM_RSRC3_GFX90A:TG_SPLIT: 0
	.section	.text._ZN7rocprim17ROCPRIM_400000_NS6detail17trampoline_kernelINS0_14default_configENS1_25partition_config_selectorILNS1_17partition_subalgoE9EllbEEZZNS1_14partition_implILS5_9ELb0ES3_jPlS8_PNS0_10empty_typeENS0_5tupleIJS8_S9_EEENSB_IJS8_SA_EEENS0_18inequality_wrapperIZN2at6native12_GLOBAL__N_124unique_dim_cuda_templateImEESt5tupleIJNSF_6TensorESK_SK_EERKSK_lbbbEUlllE0_EEPmJS9_EEE10hipError_tPvRmT3_T4_T5_T6_T7_T9_mT8_P12ihipStream_tbDpT10_ENKUlT_T0_E_clISt17integral_constantIbLb0EES19_IbLb1EEEEDaS15_S16_EUlS15_E_NS1_11comp_targetILNS1_3genE9ELNS1_11target_archE1100ELNS1_3gpuE3ELNS1_3repE0EEENS1_30default_config_static_selectorELNS0_4arch9wavefront6targetE1EEEvT1_,"axG",@progbits,_ZN7rocprim17ROCPRIM_400000_NS6detail17trampoline_kernelINS0_14default_configENS1_25partition_config_selectorILNS1_17partition_subalgoE9EllbEEZZNS1_14partition_implILS5_9ELb0ES3_jPlS8_PNS0_10empty_typeENS0_5tupleIJS8_S9_EEENSB_IJS8_SA_EEENS0_18inequality_wrapperIZN2at6native12_GLOBAL__N_124unique_dim_cuda_templateImEESt5tupleIJNSF_6TensorESK_SK_EERKSK_lbbbEUlllE0_EEPmJS9_EEE10hipError_tPvRmT3_T4_T5_T6_T7_T9_mT8_P12ihipStream_tbDpT10_ENKUlT_T0_E_clISt17integral_constantIbLb0EES19_IbLb1EEEEDaS15_S16_EUlS15_E_NS1_11comp_targetILNS1_3genE9ELNS1_11target_archE1100ELNS1_3gpuE3ELNS1_3repE0EEENS1_30default_config_static_selectorELNS0_4arch9wavefront6targetE1EEEvT1_,comdat
	.globl	_ZN7rocprim17ROCPRIM_400000_NS6detail17trampoline_kernelINS0_14default_configENS1_25partition_config_selectorILNS1_17partition_subalgoE9EllbEEZZNS1_14partition_implILS5_9ELb0ES3_jPlS8_PNS0_10empty_typeENS0_5tupleIJS8_S9_EEENSB_IJS8_SA_EEENS0_18inequality_wrapperIZN2at6native12_GLOBAL__N_124unique_dim_cuda_templateImEESt5tupleIJNSF_6TensorESK_SK_EERKSK_lbbbEUlllE0_EEPmJS9_EEE10hipError_tPvRmT3_T4_T5_T6_T7_T9_mT8_P12ihipStream_tbDpT10_ENKUlT_T0_E_clISt17integral_constantIbLb0EES19_IbLb1EEEEDaS15_S16_EUlS15_E_NS1_11comp_targetILNS1_3genE9ELNS1_11target_archE1100ELNS1_3gpuE3ELNS1_3repE0EEENS1_30default_config_static_selectorELNS0_4arch9wavefront6targetE1EEEvT1_ ; -- Begin function _ZN7rocprim17ROCPRIM_400000_NS6detail17trampoline_kernelINS0_14default_configENS1_25partition_config_selectorILNS1_17partition_subalgoE9EllbEEZZNS1_14partition_implILS5_9ELb0ES3_jPlS8_PNS0_10empty_typeENS0_5tupleIJS8_S9_EEENSB_IJS8_SA_EEENS0_18inequality_wrapperIZN2at6native12_GLOBAL__N_124unique_dim_cuda_templateImEESt5tupleIJNSF_6TensorESK_SK_EERKSK_lbbbEUlllE0_EEPmJS9_EEE10hipError_tPvRmT3_T4_T5_T6_T7_T9_mT8_P12ihipStream_tbDpT10_ENKUlT_T0_E_clISt17integral_constantIbLb0EES19_IbLb1EEEEDaS15_S16_EUlS15_E_NS1_11comp_targetILNS1_3genE9ELNS1_11target_archE1100ELNS1_3gpuE3ELNS1_3repE0EEENS1_30default_config_static_selectorELNS0_4arch9wavefront6targetE1EEEvT1_
	.p2align	8
	.type	_ZN7rocprim17ROCPRIM_400000_NS6detail17trampoline_kernelINS0_14default_configENS1_25partition_config_selectorILNS1_17partition_subalgoE9EllbEEZZNS1_14partition_implILS5_9ELb0ES3_jPlS8_PNS0_10empty_typeENS0_5tupleIJS8_S9_EEENSB_IJS8_SA_EEENS0_18inequality_wrapperIZN2at6native12_GLOBAL__N_124unique_dim_cuda_templateImEESt5tupleIJNSF_6TensorESK_SK_EERKSK_lbbbEUlllE0_EEPmJS9_EEE10hipError_tPvRmT3_T4_T5_T6_T7_T9_mT8_P12ihipStream_tbDpT10_ENKUlT_T0_E_clISt17integral_constantIbLb0EES19_IbLb1EEEEDaS15_S16_EUlS15_E_NS1_11comp_targetILNS1_3genE9ELNS1_11target_archE1100ELNS1_3gpuE3ELNS1_3repE0EEENS1_30default_config_static_selectorELNS0_4arch9wavefront6targetE1EEEvT1_,@function
_ZN7rocprim17ROCPRIM_400000_NS6detail17trampoline_kernelINS0_14default_configENS1_25partition_config_selectorILNS1_17partition_subalgoE9EllbEEZZNS1_14partition_implILS5_9ELb0ES3_jPlS8_PNS0_10empty_typeENS0_5tupleIJS8_S9_EEENSB_IJS8_SA_EEENS0_18inequality_wrapperIZN2at6native12_GLOBAL__N_124unique_dim_cuda_templateImEESt5tupleIJNSF_6TensorESK_SK_EERKSK_lbbbEUlllE0_EEPmJS9_EEE10hipError_tPvRmT3_T4_T5_T6_T7_T9_mT8_P12ihipStream_tbDpT10_ENKUlT_T0_E_clISt17integral_constantIbLb0EES19_IbLb1EEEEDaS15_S16_EUlS15_E_NS1_11comp_targetILNS1_3genE9ELNS1_11target_archE1100ELNS1_3gpuE3ELNS1_3repE0EEENS1_30default_config_static_selectorELNS0_4arch9wavefront6targetE1EEEvT1_: ; @_ZN7rocprim17ROCPRIM_400000_NS6detail17trampoline_kernelINS0_14default_configENS1_25partition_config_selectorILNS1_17partition_subalgoE9EllbEEZZNS1_14partition_implILS5_9ELb0ES3_jPlS8_PNS0_10empty_typeENS0_5tupleIJS8_S9_EEENSB_IJS8_SA_EEENS0_18inequality_wrapperIZN2at6native12_GLOBAL__N_124unique_dim_cuda_templateImEESt5tupleIJNSF_6TensorESK_SK_EERKSK_lbbbEUlllE0_EEPmJS9_EEE10hipError_tPvRmT3_T4_T5_T6_T7_T9_mT8_P12ihipStream_tbDpT10_ENKUlT_T0_E_clISt17integral_constantIbLb0EES19_IbLb1EEEEDaS15_S16_EUlS15_E_NS1_11comp_targetILNS1_3genE9ELNS1_11target_archE1100ELNS1_3gpuE3ELNS1_3repE0EEENS1_30default_config_static_selectorELNS0_4arch9wavefront6targetE1EEEvT1_
; %bb.0:
	.section	.rodata,"a",@progbits
	.p2align	6, 0x0
	.amdhsa_kernel _ZN7rocprim17ROCPRIM_400000_NS6detail17trampoline_kernelINS0_14default_configENS1_25partition_config_selectorILNS1_17partition_subalgoE9EllbEEZZNS1_14partition_implILS5_9ELb0ES3_jPlS8_PNS0_10empty_typeENS0_5tupleIJS8_S9_EEENSB_IJS8_SA_EEENS0_18inequality_wrapperIZN2at6native12_GLOBAL__N_124unique_dim_cuda_templateImEESt5tupleIJNSF_6TensorESK_SK_EERKSK_lbbbEUlllE0_EEPmJS9_EEE10hipError_tPvRmT3_T4_T5_T6_T7_T9_mT8_P12ihipStream_tbDpT10_ENKUlT_T0_E_clISt17integral_constantIbLb0EES19_IbLb1EEEEDaS15_S16_EUlS15_E_NS1_11comp_targetILNS1_3genE9ELNS1_11target_archE1100ELNS1_3gpuE3ELNS1_3repE0EEENS1_30default_config_static_selectorELNS0_4arch9wavefront6targetE1EEEvT1_
		.amdhsa_group_segment_fixed_size 0
		.amdhsa_private_segment_fixed_size 0
		.amdhsa_kernarg_size 136
		.amdhsa_user_sgpr_count 6
		.amdhsa_user_sgpr_private_segment_buffer 1
		.amdhsa_user_sgpr_dispatch_ptr 0
		.amdhsa_user_sgpr_queue_ptr 0
		.amdhsa_user_sgpr_kernarg_segment_ptr 1
		.amdhsa_user_sgpr_dispatch_id 0
		.amdhsa_user_sgpr_flat_scratch_init 0
		.amdhsa_user_sgpr_kernarg_preload_length 0
		.amdhsa_user_sgpr_kernarg_preload_offset 0
		.amdhsa_user_sgpr_private_segment_size 0
		.amdhsa_uses_dynamic_stack 0
		.amdhsa_system_sgpr_private_segment_wavefront_offset 0
		.amdhsa_system_sgpr_workgroup_id_x 1
		.amdhsa_system_sgpr_workgroup_id_y 0
		.amdhsa_system_sgpr_workgroup_id_z 0
		.amdhsa_system_sgpr_workgroup_info 0
		.amdhsa_system_vgpr_workitem_id 0
		.amdhsa_next_free_vgpr 1
		.amdhsa_next_free_sgpr 0
		.amdhsa_accum_offset 4
		.amdhsa_reserve_vcc 0
		.amdhsa_reserve_flat_scratch 0
		.amdhsa_float_round_mode_32 0
		.amdhsa_float_round_mode_16_64 0
		.amdhsa_float_denorm_mode_32 3
		.amdhsa_float_denorm_mode_16_64 3
		.amdhsa_dx10_clamp 1
		.amdhsa_ieee_mode 1
		.amdhsa_fp16_overflow 0
		.amdhsa_tg_split 0
		.amdhsa_exception_fp_ieee_invalid_op 0
		.amdhsa_exception_fp_denorm_src 0
		.amdhsa_exception_fp_ieee_div_zero 0
		.amdhsa_exception_fp_ieee_overflow 0
		.amdhsa_exception_fp_ieee_underflow 0
		.amdhsa_exception_fp_ieee_inexact 0
		.amdhsa_exception_int_div_zero 0
	.end_amdhsa_kernel
	.section	.text._ZN7rocprim17ROCPRIM_400000_NS6detail17trampoline_kernelINS0_14default_configENS1_25partition_config_selectorILNS1_17partition_subalgoE9EllbEEZZNS1_14partition_implILS5_9ELb0ES3_jPlS8_PNS0_10empty_typeENS0_5tupleIJS8_S9_EEENSB_IJS8_SA_EEENS0_18inequality_wrapperIZN2at6native12_GLOBAL__N_124unique_dim_cuda_templateImEESt5tupleIJNSF_6TensorESK_SK_EERKSK_lbbbEUlllE0_EEPmJS9_EEE10hipError_tPvRmT3_T4_T5_T6_T7_T9_mT8_P12ihipStream_tbDpT10_ENKUlT_T0_E_clISt17integral_constantIbLb0EES19_IbLb1EEEEDaS15_S16_EUlS15_E_NS1_11comp_targetILNS1_3genE9ELNS1_11target_archE1100ELNS1_3gpuE3ELNS1_3repE0EEENS1_30default_config_static_selectorELNS0_4arch9wavefront6targetE1EEEvT1_,"axG",@progbits,_ZN7rocprim17ROCPRIM_400000_NS6detail17trampoline_kernelINS0_14default_configENS1_25partition_config_selectorILNS1_17partition_subalgoE9EllbEEZZNS1_14partition_implILS5_9ELb0ES3_jPlS8_PNS0_10empty_typeENS0_5tupleIJS8_S9_EEENSB_IJS8_SA_EEENS0_18inequality_wrapperIZN2at6native12_GLOBAL__N_124unique_dim_cuda_templateImEESt5tupleIJNSF_6TensorESK_SK_EERKSK_lbbbEUlllE0_EEPmJS9_EEE10hipError_tPvRmT3_T4_T5_T6_T7_T9_mT8_P12ihipStream_tbDpT10_ENKUlT_T0_E_clISt17integral_constantIbLb0EES19_IbLb1EEEEDaS15_S16_EUlS15_E_NS1_11comp_targetILNS1_3genE9ELNS1_11target_archE1100ELNS1_3gpuE3ELNS1_3repE0EEENS1_30default_config_static_selectorELNS0_4arch9wavefront6targetE1EEEvT1_,comdat
.Lfunc_end1723:
	.size	_ZN7rocprim17ROCPRIM_400000_NS6detail17trampoline_kernelINS0_14default_configENS1_25partition_config_selectorILNS1_17partition_subalgoE9EllbEEZZNS1_14partition_implILS5_9ELb0ES3_jPlS8_PNS0_10empty_typeENS0_5tupleIJS8_S9_EEENSB_IJS8_SA_EEENS0_18inequality_wrapperIZN2at6native12_GLOBAL__N_124unique_dim_cuda_templateImEESt5tupleIJNSF_6TensorESK_SK_EERKSK_lbbbEUlllE0_EEPmJS9_EEE10hipError_tPvRmT3_T4_T5_T6_T7_T9_mT8_P12ihipStream_tbDpT10_ENKUlT_T0_E_clISt17integral_constantIbLb0EES19_IbLb1EEEEDaS15_S16_EUlS15_E_NS1_11comp_targetILNS1_3genE9ELNS1_11target_archE1100ELNS1_3gpuE3ELNS1_3repE0EEENS1_30default_config_static_selectorELNS0_4arch9wavefront6targetE1EEEvT1_, .Lfunc_end1723-_ZN7rocprim17ROCPRIM_400000_NS6detail17trampoline_kernelINS0_14default_configENS1_25partition_config_selectorILNS1_17partition_subalgoE9EllbEEZZNS1_14partition_implILS5_9ELb0ES3_jPlS8_PNS0_10empty_typeENS0_5tupleIJS8_S9_EEENSB_IJS8_SA_EEENS0_18inequality_wrapperIZN2at6native12_GLOBAL__N_124unique_dim_cuda_templateImEESt5tupleIJNSF_6TensorESK_SK_EERKSK_lbbbEUlllE0_EEPmJS9_EEE10hipError_tPvRmT3_T4_T5_T6_T7_T9_mT8_P12ihipStream_tbDpT10_ENKUlT_T0_E_clISt17integral_constantIbLb0EES19_IbLb1EEEEDaS15_S16_EUlS15_E_NS1_11comp_targetILNS1_3genE9ELNS1_11target_archE1100ELNS1_3gpuE3ELNS1_3repE0EEENS1_30default_config_static_selectorELNS0_4arch9wavefront6targetE1EEEvT1_
                                        ; -- End function
	.section	.AMDGPU.csdata,"",@progbits
; Kernel info:
; codeLenInByte = 0
; NumSgprs: 4
; NumVgprs: 0
; NumAgprs: 0
; TotalNumVgprs: 0
; ScratchSize: 0
; MemoryBound: 0
; FloatMode: 240
; IeeeMode: 1
; LDSByteSize: 0 bytes/workgroup (compile time only)
; SGPRBlocks: 0
; VGPRBlocks: 0
; NumSGPRsForWavesPerEU: 4
; NumVGPRsForWavesPerEU: 1
; AccumOffset: 4
; Occupancy: 8
; WaveLimiterHint : 0
; COMPUTE_PGM_RSRC2:SCRATCH_EN: 0
; COMPUTE_PGM_RSRC2:USER_SGPR: 6
; COMPUTE_PGM_RSRC2:TRAP_HANDLER: 0
; COMPUTE_PGM_RSRC2:TGID_X_EN: 1
; COMPUTE_PGM_RSRC2:TGID_Y_EN: 0
; COMPUTE_PGM_RSRC2:TGID_Z_EN: 0
; COMPUTE_PGM_RSRC2:TIDIG_COMP_CNT: 0
; COMPUTE_PGM_RSRC3_GFX90A:ACCUM_OFFSET: 0
; COMPUTE_PGM_RSRC3_GFX90A:TG_SPLIT: 0
	.section	.text._ZN7rocprim17ROCPRIM_400000_NS6detail17trampoline_kernelINS0_14default_configENS1_25partition_config_selectorILNS1_17partition_subalgoE9EllbEEZZNS1_14partition_implILS5_9ELb0ES3_jPlS8_PNS0_10empty_typeENS0_5tupleIJS8_S9_EEENSB_IJS8_SA_EEENS0_18inequality_wrapperIZN2at6native12_GLOBAL__N_124unique_dim_cuda_templateImEESt5tupleIJNSF_6TensorESK_SK_EERKSK_lbbbEUlllE0_EEPmJS9_EEE10hipError_tPvRmT3_T4_T5_T6_T7_T9_mT8_P12ihipStream_tbDpT10_ENKUlT_T0_E_clISt17integral_constantIbLb0EES19_IbLb1EEEEDaS15_S16_EUlS15_E_NS1_11comp_targetILNS1_3genE8ELNS1_11target_archE1030ELNS1_3gpuE2ELNS1_3repE0EEENS1_30default_config_static_selectorELNS0_4arch9wavefront6targetE1EEEvT1_,"axG",@progbits,_ZN7rocprim17ROCPRIM_400000_NS6detail17trampoline_kernelINS0_14default_configENS1_25partition_config_selectorILNS1_17partition_subalgoE9EllbEEZZNS1_14partition_implILS5_9ELb0ES3_jPlS8_PNS0_10empty_typeENS0_5tupleIJS8_S9_EEENSB_IJS8_SA_EEENS0_18inequality_wrapperIZN2at6native12_GLOBAL__N_124unique_dim_cuda_templateImEESt5tupleIJNSF_6TensorESK_SK_EERKSK_lbbbEUlllE0_EEPmJS9_EEE10hipError_tPvRmT3_T4_T5_T6_T7_T9_mT8_P12ihipStream_tbDpT10_ENKUlT_T0_E_clISt17integral_constantIbLb0EES19_IbLb1EEEEDaS15_S16_EUlS15_E_NS1_11comp_targetILNS1_3genE8ELNS1_11target_archE1030ELNS1_3gpuE2ELNS1_3repE0EEENS1_30default_config_static_selectorELNS0_4arch9wavefront6targetE1EEEvT1_,comdat
	.globl	_ZN7rocprim17ROCPRIM_400000_NS6detail17trampoline_kernelINS0_14default_configENS1_25partition_config_selectorILNS1_17partition_subalgoE9EllbEEZZNS1_14partition_implILS5_9ELb0ES3_jPlS8_PNS0_10empty_typeENS0_5tupleIJS8_S9_EEENSB_IJS8_SA_EEENS0_18inequality_wrapperIZN2at6native12_GLOBAL__N_124unique_dim_cuda_templateImEESt5tupleIJNSF_6TensorESK_SK_EERKSK_lbbbEUlllE0_EEPmJS9_EEE10hipError_tPvRmT3_T4_T5_T6_T7_T9_mT8_P12ihipStream_tbDpT10_ENKUlT_T0_E_clISt17integral_constantIbLb0EES19_IbLb1EEEEDaS15_S16_EUlS15_E_NS1_11comp_targetILNS1_3genE8ELNS1_11target_archE1030ELNS1_3gpuE2ELNS1_3repE0EEENS1_30default_config_static_selectorELNS0_4arch9wavefront6targetE1EEEvT1_ ; -- Begin function _ZN7rocprim17ROCPRIM_400000_NS6detail17trampoline_kernelINS0_14default_configENS1_25partition_config_selectorILNS1_17partition_subalgoE9EllbEEZZNS1_14partition_implILS5_9ELb0ES3_jPlS8_PNS0_10empty_typeENS0_5tupleIJS8_S9_EEENSB_IJS8_SA_EEENS0_18inequality_wrapperIZN2at6native12_GLOBAL__N_124unique_dim_cuda_templateImEESt5tupleIJNSF_6TensorESK_SK_EERKSK_lbbbEUlllE0_EEPmJS9_EEE10hipError_tPvRmT3_T4_T5_T6_T7_T9_mT8_P12ihipStream_tbDpT10_ENKUlT_T0_E_clISt17integral_constantIbLb0EES19_IbLb1EEEEDaS15_S16_EUlS15_E_NS1_11comp_targetILNS1_3genE8ELNS1_11target_archE1030ELNS1_3gpuE2ELNS1_3repE0EEENS1_30default_config_static_selectorELNS0_4arch9wavefront6targetE1EEEvT1_
	.p2align	8
	.type	_ZN7rocprim17ROCPRIM_400000_NS6detail17trampoline_kernelINS0_14default_configENS1_25partition_config_selectorILNS1_17partition_subalgoE9EllbEEZZNS1_14partition_implILS5_9ELb0ES3_jPlS8_PNS0_10empty_typeENS0_5tupleIJS8_S9_EEENSB_IJS8_SA_EEENS0_18inequality_wrapperIZN2at6native12_GLOBAL__N_124unique_dim_cuda_templateImEESt5tupleIJNSF_6TensorESK_SK_EERKSK_lbbbEUlllE0_EEPmJS9_EEE10hipError_tPvRmT3_T4_T5_T6_T7_T9_mT8_P12ihipStream_tbDpT10_ENKUlT_T0_E_clISt17integral_constantIbLb0EES19_IbLb1EEEEDaS15_S16_EUlS15_E_NS1_11comp_targetILNS1_3genE8ELNS1_11target_archE1030ELNS1_3gpuE2ELNS1_3repE0EEENS1_30default_config_static_selectorELNS0_4arch9wavefront6targetE1EEEvT1_,@function
_ZN7rocprim17ROCPRIM_400000_NS6detail17trampoline_kernelINS0_14default_configENS1_25partition_config_selectorILNS1_17partition_subalgoE9EllbEEZZNS1_14partition_implILS5_9ELb0ES3_jPlS8_PNS0_10empty_typeENS0_5tupleIJS8_S9_EEENSB_IJS8_SA_EEENS0_18inequality_wrapperIZN2at6native12_GLOBAL__N_124unique_dim_cuda_templateImEESt5tupleIJNSF_6TensorESK_SK_EERKSK_lbbbEUlllE0_EEPmJS9_EEE10hipError_tPvRmT3_T4_T5_T6_T7_T9_mT8_P12ihipStream_tbDpT10_ENKUlT_T0_E_clISt17integral_constantIbLb0EES19_IbLb1EEEEDaS15_S16_EUlS15_E_NS1_11comp_targetILNS1_3genE8ELNS1_11target_archE1030ELNS1_3gpuE2ELNS1_3repE0EEENS1_30default_config_static_selectorELNS0_4arch9wavefront6targetE1EEEvT1_: ; @_ZN7rocprim17ROCPRIM_400000_NS6detail17trampoline_kernelINS0_14default_configENS1_25partition_config_selectorILNS1_17partition_subalgoE9EllbEEZZNS1_14partition_implILS5_9ELb0ES3_jPlS8_PNS0_10empty_typeENS0_5tupleIJS8_S9_EEENSB_IJS8_SA_EEENS0_18inequality_wrapperIZN2at6native12_GLOBAL__N_124unique_dim_cuda_templateImEESt5tupleIJNSF_6TensorESK_SK_EERKSK_lbbbEUlllE0_EEPmJS9_EEE10hipError_tPvRmT3_T4_T5_T6_T7_T9_mT8_P12ihipStream_tbDpT10_ENKUlT_T0_E_clISt17integral_constantIbLb0EES19_IbLb1EEEEDaS15_S16_EUlS15_E_NS1_11comp_targetILNS1_3genE8ELNS1_11target_archE1030ELNS1_3gpuE2ELNS1_3repE0EEENS1_30default_config_static_selectorELNS0_4arch9wavefront6targetE1EEEvT1_
; %bb.0:
	.section	.rodata,"a",@progbits
	.p2align	6, 0x0
	.amdhsa_kernel _ZN7rocprim17ROCPRIM_400000_NS6detail17trampoline_kernelINS0_14default_configENS1_25partition_config_selectorILNS1_17partition_subalgoE9EllbEEZZNS1_14partition_implILS5_9ELb0ES3_jPlS8_PNS0_10empty_typeENS0_5tupleIJS8_S9_EEENSB_IJS8_SA_EEENS0_18inequality_wrapperIZN2at6native12_GLOBAL__N_124unique_dim_cuda_templateImEESt5tupleIJNSF_6TensorESK_SK_EERKSK_lbbbEUlllE0_EEPmJS9_EEE10hipError_tPvRmT3_T4_T5_T6_T7_T9_mT8_P12ihipStream_tbDpT10_ENKUlT_T0_E_clISt17integral_constantIbLb0EES19_IbLb1EEEEDaS15_S16_EUlS15_E_NS1_11comp_targetILNS1_3genE8ELNS1_11target_archE1030ELNS1_3gpuE2ELNS1_3repE0EEENS1_30default_config_static_selectorELNS0_4arch9wavefront6targetE1EEEvT1_
		.amdhsa_group_segment_fixed_size 0
		.amdhsa_private_segment_fixed_size 0
		.amdhsa_kernarg_size 136
		.amdhsa_user_sgpr_count 6
		.amdhsa_user_sgpr_private_segment_buffer 1
		.amdhsa_user_sgpr_dispatch_ptr 0
		.amdhsa_user_sgpr_queue_ptr 0
		.amdhsa_user_sgpr_kernarg_segment_ptr 1
		.amdhsa_user_sgpr_dispatch_id 0
		.amdhsa_user_sgpr_flat_scratch_init 0
		.amdhsa_user_sgpr_kernarg_preload_length 0
		.amdhsa_user_sgpr_kernarg_preload_offset 0
		.amdhsa_user_sgpr_private_segment_size 0
		.amdhsa_uses_dynamic_stack 0
		.amdhsa_system_sgpr_private_segment_wavefront_offset 0
		.amdhsa_system_sgpr_workgroup_id_x 1
		.amdhsa_system_sgpr_workgroup_id_y 0
		.amdhsa_system_sgpr_workgroup_id_z 0
		.amdhsa_system_sgpr_workgroup_info 0
		.amdhsa_system_vgpr_workitem_id 0
		.amdhsa_next_free_vgpr 1
		.amdhsa_next_free_sgpr 0
		.amdhsa_accum_offset 4
		.amdhsa_reserve_vcc 0
		.amdhsa_reserve_flat_scratch 0
		.amdhsa_float_round_mode_32 0
		.amdhsa_float_round_mode_16_64 0
		.amdhsa_float_denorm_mode_32 3
		.amdhsa_float_denorm_mode_16_64 3
		.amdhsa_dx10_clamp 1
		.amdhsa_ieee_mode 1
		.amdhsa_fp16_overflow 0
		.amdhsa_tg_split 0
		.amdhsa_exception_fp_ieee_invalid_op 0
		.amdhsa_exception_fp_denorm_src 0
		.amdhsa_exception_fp_ieee_div_zero 0
		.amdhsa_exception_fp_ieee_overflow 0
		.amdhsa_exception_fp_ieee_underflow 0
		.amdhsa_exception_fp_ieee_inexact 0
		.amdhsa_exception_int_div_zero 0
	.end_amdhsa_kernel
	.section	.text._ZN7rocprim17ROCPRIM_400000_NS6detail17trampoline_kernelINS0_14default_configENS1_25partition_config_selectorILNS1_17partition_subalgoE9EllbEEZZNS1_14partition_implILS5_9ELb0ES3_jPlS8_PNS0_10empty_typeENS0_5tupleIJS8_S9_EEENSB_IJS8_SA_EEENS0_18inequality_wrapperIZN2at6native12_GLOBAL__N_124unique_dim_cuda_templateImEESt5tupleIJNSF_6TensorESK_SK_EERKSK_lbbbEUlllE0_EEPmJS9_EEE10hipError_tPvRmT3_T4_T5_T6_T7_T9_mT8_P12ihipStream_tbDpT10_ENKUlT_T0_E_clISt17integral_constantIbLb0EES19_IbLb1EEEEDaS15_S16_EUlS15_E_NS1_11comp_targetILNS1_3genE8ELNS1_11target_archE1030ELNS1_3gpuE2ELNS1_3repE0EEENS1_30default_config_static_selectorELNS0_4arch9wavefront6targetE1EEEvT1_,"axG",@progbits,_ZN7rocprim17ROCPRIM_400000_NS6detail17trampoline_kernelINS0_14default_configENS1_25partition_config_selectorILNS1_17partition_subalgoE9EllbEEZZNS1_14partition_implILS5_9ELb0ES3_jPlS8_PNS0_10empty_typeENS0_5tupleIJS8_S9_EEENSB_IJS8_SA_EEENS0_18inequality_wrapperIZN2at6native12_GLOBAL__N_124unique_dim_cuda_templateImEESt5tupleIJNSF_6TensorESK_SK_EERKSK_lbbbEUlllE0_EEPmJS9_EEE10hipError_tPvRmT3_T4_T5_T6_T7_T9_mT8_P12ihipStream_tbDpT10_ENKUlT_T0_E_clISt17integral_constantIbLb0EES19_IbLb1EEEEDaS15_S16_EUlS15_E_NS1_11comp_targetILNS1_3genE8ELNS1_11target_archE1030ELNS1_3gpuE2ELNS1_3repE0EEENS1_30default_config_static_selectorELNS0_4arch9wavefront6targetE1EEEvT1_,comdat
.Lfunc_end1724:
	.size	_ZN7rocprim17ROCPRIM_400000_NS6detail17trampoline_kernelINS0_14default_configENS1_25partition_config_selectorILNS1_17partition_subalgoE9EllbEEZZNS1_14partition_implILS5_9ELb0ES3_jPlS8_PNS0_10empty_typeENS0_5tupleIJS8_S9_EEENSB_IJS8_SA_EEENS0_18inequality_wrapperIZN2at6native12_GLOBAL__N_124unique_dim_cuda_templateImEESt5tupleIJNSF_6TensorESK_SK_EERKSK_lbbbEUlllE0_EEPmJS9_EEE10hipError_tPvRmT3_T4_T5_T6_T7_T9_mT8_P12ihipStream_tbDpT10_ENKUlT_T0_E_clISt17integral_constantIbLb0EES19_IbLb1EEEEDaS15_S16_EUlS15_E_NS1_11comp_targetILNS1_3genE8ELNS1_11target_archE1030ELNS1_3gpuE2ELNS1_3repE0EEENS1_30default_config_static_selectorELNS0_4arch9wavefront6targetE1EEEvT1_, .Lfunc_end1724-_ZN7rocprim17ROCPRIM_400000_NS6detail17trampoline_kernelINS0_14default_configENS1_25partition_config_selectorILNS1_17partition_subalgoE9EllbEEZZNS1_14partition_implILS5_9ELb0ES3_jPlS8_PNS0_10empty_typeENS0_5tupleIJS8_S9_EEENSB_IJS8_SA_EEENS0_18inequality_wrapperIZN2at6native12_GLOBAL__N_124unique_dim_cuda_templateImEESt5tupleIJNSF_6TensorESK_SK_EERKSK_lbbbEUlllE0_EEPmJS9_EEE10hipError_tPvRmT3_T4_T5_T6_T7_T9_mT8_P12ihipStream_tbDpT10_ENKUlT_T0_E_clISt17integral_constantIbLb0EES19_IbLb1EEEEDaS15_S16_EUlS15_E_NS1_11comp_targetILNS1_3genE8ELNS1_11target_archE1030ELNS1_3gpuE2ELNS1_3repE0EEENS1_30default_config_static_selectorELNS0_4arch9wavefront6targetE1EEEvT1_
                                        ; -- End function
	.section	.AMDGPU.csdata,"",@progbits
; Kernel info:
; codeLenInByte = 0
; NumSgprs: 4
; NumVgprs: 0
; NumAgprs: 0
; TotalNumVgprs: 0
; ScratchSize: 0
; MemoryBound: 0
; FloatMode: 240
; IeeeMode: 1
; LDSByteSize: 0 bytes/workgroup (compile time only)
; SGPRBlocks: 0
; VGPRBlocks: 0
; NumSGPRsForWavesPerEU: 4
; NumVGPRsForWavesPerEU: 1
; AccumOffset: 4
; Occupancy: 8
; WaveLimiterHint : 0
; COMPUTE_PGM_RSRC2:SCRATCH_EN: 0
; COMPUTE_PGM_RSRC2:USER_SGPR: 6
; COMPUTE_PGM_RSRC2:TRAP_HANDLER: 0
; COMPUTE_PGM_RSRC2:TGID_X_EN: 1
; COMPUTE_PGM_RSRC2:TGID_Y_EN: 0
; COMPUTE_PGM_RSRC2:TGID_Z_EN: 0
; COMPUTE_PGM_RSRC2:TIDIG_COMP_CNT: 0
; COMPUTE_PGM_RSRC3_GFX90A:ACCUM_OFFSET: 0
; COMPUTE_PGM_RSRC3_GFX90A:TG_SPLIT: 0
	.text
	.p2alignl 6, 3212836864
	.fill 256, 4, 3212836864
	.type	__hip_cuid_cca4af3b1f1b38f9,@object ; @__hip_cuid_cca4af3b1f1b38f9
	.section	.bss,"aw",@nobits
	.globl	__hip_cuid_cca4af3b1f1b38f9
__hip_cuid_cca4af3b1f1b38f9:
	.byte	0                               ; 0x0
	.size	__hip_cuid_cca4af3b1f1b38f9, 1

	.ident	"AMD clang version 19.0.0git (https://github.com/RadeonOpenCompute/llvm-project roc-6.4.0 25133 c7fe45cf4b819c5991fe208aaa96edf142730f1d)"
	.section	".note.GNU-stack","",@progbits
	.addrsig
	.addrsig_sym __hip_cuid_cca4af3b1f1b38f9
	.amdgpu_metadata
---
amdhsa.kernels:
  - .agpr_count:     0
    .args:           []
    .group_segment_fixed_size: 0
    .kernarg_segment_align: 4
    .kernarg_segment_size: 0
    .language:       OpenCL C
    .language_version:
      - 2
      - 0
    .max_flat_workgroup_size: 1024
    .name:           _ZN7rocprim17ROCPRIM_400000_NS6detail44device_merge_sort_compile_time_verifier_archINS1_11comp_targetILNS1_3genE0ELNS1_11target_archE4294967295ELNS1_3gpuE0ELNS1_3repE0EEES8_NS0_14default_configES9_NS1_37merge_sort_block_sort_config_selectorIlNS0_10empty_typeEEENS1_38merge_sort_block_merge_config_selectorIlSB_EEEEvv
    .private_segment_fixed_size: 0
    .sgpr_count:     4
    .sgpr_spill_count: 0
    .symbol:         _ZN7rocprim17ROCPRIM_400000_NS6detail44device_merge_sort_compile_time_verifier_archINS1_11comp_targetILNS1_3genE0ELNS1_11target_archE4294967295ELNS1_3gpuE0ELNS1_3repE0EEES8_NS0_14default_configES9_NS1_37merge_sort_block_sort_config_selectorIlNS0_10empty_typeEEENS1_38merge_sort_block_merge_config_selectorIlSB_EEEEvv.kd
    .uniform_work_group_size: 1
    .uses_dynamic_stack: false
    .vgpr_count:     0
    .vgpr_spill_count: 0
    .wavefront_size: 64
  - .agpr_count:     0
    .args:           []
    .group_segment_fixed_size: 0
    .kernarg_segment_align: 4
    .kernarg_segment_size: 0
    .language:       OpenCL C
    .language_version:
      - 2
      - 0
    .max_flat_workgroup_size: 1024
    .name:           _ZN7rocprim17ROCPRIM_400000_NS6detail44device_merge_sort_compile_time_verifier_archINS1_11comp_targetILNS1_3genE5ELNS1_11target_archE942ELNS1_3gpuE9ELNS1_3repE0EEES8_NS0_14default_configES9_NS1_37merge_sort_block_sort_config_selectorIlNS0_10empty_typeEEENS1_38merge_sort_block_merge_config_selectorIlSB_EEEEvv
    .private_segment_fixed_size: 0
    .sgpr_count:     4
    .sgpr_spill_count: 0
    .symbol:         _ZN7rocprim17ROCPRIM_400000_NS6detail44device_merge_sort_compile_time_verifier_archINS1_11comp_targetILNS1_3genE5ELNS1_11target_archE942ELNS1_3gpuE9ELNS1_3repE0EEES8_NS0_14default_configES9_NS1_37merge_sort_block_sort_config_selectorIlNS0_10empty_typeEEENS1_38merge_sort_block_merge_config_selectorIlSB_EEEEvv.kd
    .uniform_work_group_size: 1
    .uses_dynamic_stack: false
    .vgpr_count:     0
    .vgpr_spill_count: 0
    .wavefront_size: 64
  - .agpr_count:     0
    .args:           []
    .group_segment_fixed_size: 0
    .kernarg_segment_align: 4
    .kernarg_segment_size: 0
    .language:       OpenCL C
    .language_version:
      - 2
      - 0
    .max_flat_workgroup_size: 1024
    .name:           _ZN7rocprim17ROCPRIM_400000_NS6detail44device_merge_sort_compile_time_verifier_archINS1_11comp_targetILNS1_3genE4ELNS1_11target_archE910ELNS1_3gpuE8ELNS1_3repE0EEES8_NS0_14default_configES9_NS1_37merge_sort_block_sort_config_selectorIlNS0_10empty_typeEEENS1_38merge_sort_block_merge_config_selectorIlSB_EEEEvv
    .private_segment_fixed_size: 0
    .sgpr_count:     4
    .sgpr_spill_count: 0
    .symbol:         _ZN7rocprim17ROCPRIM_400000_NS6detail44device_merge_sort_compile_time_verifier_archINS1_11comp_targetILNS1_3genE4ELNS1_11target_archE910ELNS1_3gpuE8ELNS1_3repE0EEES8_NS0_14default_configES9_NS1_37merge_sort_block_sort_config_selectorIlNS0_10empty_typeEEENS1_38merge_sort_block_merge_config_selectorIlSB_EEEEvv.kd
    .uniform_work_group_size: 1
    .uses_dynamic_stack: false
    .vgpr_count:     0
    .vgpr_spill_count: 0
    .wavefront_size: 64
  - .agpr_count:     0
    .args:           []
    .group_segment_fixed_size: 0
    .kernarg_segment_align: 4
    .kernarg_segment_size: 0
    .language:       OpenCL C
    .language_version:
      - 2
      - 0
    .max_flat_workgroup_size: 1024
    .name:           _ZN7rocprim17ROCPRIM_400000_NS6detail44device_merge_sort_compile_time_verifier_archINS1_11comp_targetILNS1_3genE3ELNS1_11target_archE908ELNS1_3gpuE7ELNS1_3repE0EEES8_NS0_14default_configES9_NS1_37merge_sort_block_sort_config_selectorIlNS0_10empty_typeEEENS1_38merge_sort_block_merge_config_selectorIlSB_EEEEvv
    .private_segment_fixed_size: 0
    .sgpr_count:     4
    .sgpr_spill_count: 0
    .symbol:         _ZN7rocprim17ROCPRIM_400000_NS6detail44device_merge_sort_compile_time_verifier_archINS1_11comp_targetILNS1_3genE3ELNS1_11target_archE908ELNS1_3gpuE7ELNS1_3repE0EEES8_NS0_14default_configES9_NS1_37merge_sort_block_sort_config_selectorIlNS0_10empty_typeEEENS1_38merge_sort_block_merge_config_selectorIlSB_EEEEvv.kd
    .uniform_work_group_size: 1
    .uses_dynamic_stack: false
    .vgpr_count:     0
    .vgpr_spill_count: 0
    .wavefront_size: 64
  - .agpr_count:     0
    .args:           []
    .group_segment_fixed_size: 0
    .kernarg_segment_align: 4
    .kernarg_segment_size: 0
    .language:       OpenCL C
    .language_version:
      - 2
      - 0
    .max_flat_workgroup_size: 1024
    .name:           _ZN7rocprim17ROCPRIM_400000_NS6detail44device_merge_sort_compile_time_verifier_archINS1_11comp_targetILNS1_3genE2ELNS1_11target_archE906ELNS1_3gpuE6ELNS1_3repE0EEES8_NS0_14default_configES9_NS1_37merge_sort_block_sort_config_selectorIlNS0_10empty_typeEEENS1_38merge_sort_block_merge_config_selectorIlSB_EEEEvv
    .private_segment_fixed_size: 0
    .sgpr_count:     4
    .sgpr_spill_count: 0
    .symbol:         _ZN7rocprim17ROCPRIM_400000_NS6detail44device_merge_sort_compile_time_verifier_archINS1_11comp_targetILNS1_3genE2ELNS1_11target_archE906ELNS1_3gpuE6ELNS1_3repE0EEES8_NS0_14default_configES9_NS1_37merge_sort_block_sort_config_selectorIlNS0_10empty_typeEEENS1_38merge_sort_block_merge_config_selectorIlSB_EEEEvv.kd
    .uniform_work_group_size: 1
    .uses_dynamic_stack: false
    .vgpr_count:     0
    .vgpr_spill_count: 0
    .wavefront_size: 64
  - .agpr_count:     0
    .args:           []
    .group_segment_fixed_size: 0
    .kernarg_segment_align: 4
    .kernarg_segment_size: 0
    .language:       OpenCL C
    .language_version:
      - 2
      - 0
    .max_flat_workgroup_size: 1024
    .name:           _ZN7rocprim17ROCPRIM_400000_NS6detail44device_merge_sort_compile_time_verifier_archINS1_11comp_targetILNS1_3genE10ELNS1_11target_archE1201ELNS1_3gpuE5ELNS1_3repE0EEES8_NS0_14default_configES9_NS1_37merge_sort_block_sort_config_selectorIlNS0_10empty_typeEEENS1_38merge_sort_block_merge_config_selectorIlSB_EEEEvv
    .private_segment_fixed_size: 0
    .sgpr_count:     4
    .sgpr_spill_count: 0
    .symbol:         _ZN7rocprim17ROCPRIM_400000_NS6detail44device_merge_sort_compile_time_verifier_archINS1_11comp_targetILNS1_3genE10ELNS1_11target_archE1201ELNS1_3gpuE5ELNS1_3repE0EEES8_NS0_14default_configES9_NS1_37merge_sort_block_sort_config_selectorIlNS0_10empty_typeEEENS1_38merge_sort_block_merge_config_selectorIlSB_EEEEvv.kd
    .uniform_work_group_size: 1
    .uses_dynamic_stack: false
    .vgpr_count:     0
    .vgpr_spill_count: 0
    .wavefront_size: 64
  - .agpr_count:     0
    .args:           []
    .group_segment_fixed_size: 0
    .kernarg_segment_align: 4
    .kernarg_segment_size: 0
    .language:       OpenCL C
    .language_version:
      - 2
      - 0
    .max_flat_workgroup_size: 1024
    .name:           _ZN7rocprim17ROCPRIM_400000_NS6detail44device_merge_sort_compile_time_verifier_archINS1_11comp_targetILNS1_3genE10ELNS1_11target_archE1200ELNS1_3gpuE4ELNS1_3repE0EEENS3_ILS4_10ELS5_1201ELS6_5ELS7_0EEENS0_14default_configESA_NS1_37merge_sort_block_sort_config_selectorIlNS0_10empty_typeEEENS1_38merge_sort_block_merge_config_selectorIlSC_EEEEvv
    .private_segment_fixed_size: 0
    .sgpr_count:     4
    .sgpr_spill_count: 0
    .symbol:         _ZN7rocprim17ROCPRIM_400000_NS6detail44device_merge_sort_compile_time_verifier_archINS1_11comp_targetILNS1_3genE10ELNS1_11target_archE1200ELNS1_3gpuE4ELNS1_3repE0EEENS3_ILS4_10ELS5_1201ELS6_5ELS7_0EEENS0_14default_configESA_NS1_37merge_sort_block_sort_config_selectorIlNS0_10empty_typeEEENS1_38merge_sort_block_merge_config_selectorIlSC_EEEEvv.kd
    .uniform_work_group_size: 1
    .uses_dynamic_stack: false
    .vgpr_count:     0
    .vgpr_spill_count: 0
    .wavefront_size: 64
  - .agpr_count:     0
    .args:           []
    .group_segment_fixed_size: 0
    .kernarg_segment_align: 4
    .kernarg_segment_size: 0
    .language:       OpenCL C
    .language_version:
      - 2
      - 0
    .max_flat_workgroup_size: 1024
    .name:           _ZN7rocprim17ROCPRIM_400000_NS6detail44device_merge_sort_compile_time_verifier_archINS1_11comp_targetILNS1_3genE9ELNS1_11target_archE1100ELNS1_3gpuE3ELNS1_3repE0EEES8_NS0_14default_configES9_NS1_37merge_sort_block_sort_config_selectorIlNS0_10empty_typeEEENS1_38merge_sort_block_merge_config_selectorIlSB_EEEEvv
    .private_segment_fixed_size: 0
    .sgpr_count:     4
    .sgpr_spill_count: 0
    .symbol:         _ZN7rocprim17ROCPRIM_400000_NS6detail44device_merge_sort_compile_time_verifier_archINS1_11comp_targetILNS1_3genE9ELNS1_11target_archE1100ELNS1_3gpuE3ELNS1_3repE0EEES8_NS0_14default_configES9_NS1_37merge_sort_block_sort_config_selectorIlNS0_10empty_typeEEENS1_38merge_sort_block_merge_config_selectorIlSB_EEEEvv.kd
    .uniform_work_group_size: 1
    .uses_dynamic_stack: false
    .vgpr_count:     0
    .vgpr_spill_count: 0
    .wavefront_size: 64
  - .agpr_count:     0
    .args:           []
    .group_segment_fixed_size: 0
    .kernarg_segment_align: 4
    .kernarg_segment_size: 0
    .language:       OpenCL C
    .language_version:
      - 2
      - 0
    .max_flat_workgroup_size: 1024
    .name:           _ZN7rocprim17ROCPRIM_400000_NS6detail44device_merge_sort_compile_time_verifier_archINS1_11comp_targetILNS1_3genE8ELNS1_11target_archE1030ELNS1_3gpuE2ELNS1_3repE0EEES8_NS0_14default_configES9_NS1_37merge_sort_block_sort_config_selectorIlNS0_10empty_typeEEENS1_38merge_sort_block_merge_config_selectorIlSB_EEEEvv
    .private_segment_fixed_size: 0
    .sgpr_count:     4
    .sgpr_spill_count: 0
    .symbol:         _ZN7rocprim17ROCPRIM_400000_NS6detail44device_merge_sort_compile_time_verifier_archINS1_11comp_targetILNS1_3genE8ELNS1_11target_archE1030ELNS1_3gpuE2ELNS1_3repE0EEES8_NS0_14default_configES9_NS1_37merge_sort_block_sort_config_selectorIlNS0_10empty_typeEEENS1_38merge_sort_block_merge_config_selectorIlSB_EEEEvv.kd
    .uniform_work_group_size: 1
    .uses_dynamic_stack: false
    .vgpr_count:     0
    .vgpr_spill_count: 0
    .wavefront_size: 64
  - .agpr_count:     0
    .args:
      - .offset:         0
        .size:           72
        .value_kind:     by_value
    .group_segment_fixed_size: 0
    .kernarg_segment_align: 8
    .kernarg_segment_size: 72
    .language:       OpenCL C
    .language_version:
      - 2
      - 0
    .max_flat_workgroup_size: 256
    .name:           _ZN7rocprim17ROCPRIM_400000_NS6detail17trampoline_kernelINS0_14default_configENS1_37merge_sort_block_sort_config_selectorIlNS0_10empty_typeEEEZNS1_21merge_sort_block_sortIS3_PlS8_PS5_S9_ZN2at6native12_GLOBAL__N_124unique_dim_cuda_templateIhEESt5tupleIJNSA_6TensorESF_SF_EERKSF_lbbbEUlllE_EE10hipError_tT0_T1_T2_T3_mRjT4_P12ihipStream_tbNS1_7vsmem_tEEUlT_E_NS1_11comp_targetILNS1_3genE0ELNS1_11target_archE4294967295ELNS1_3gpuE0ELNS1_3repE0EEENS1_30default_config_static_selectorELNS0_4arch9wavefront6targetE1EEEvSM_
    .private_segment_fixed_size: 0
    .sgpr_count:     4
    .sgpr_spill_count: 0
    .symbol:         _ZN7rocprim17ROCPRIM_400000_NS6detail17trampoline_kernelINS0_14default_configENS1_37merge_sort_block_sort_config_selectorIlNS0_10empty_typeEEEZNS1_21merge_sort_block_sortIS3_PlS8_PS5_S9_ZN2at6native12_GLOBAL__N_124unique_dim_cuda_templateIhEESt5tupleIJNSA_6TensorESF_SF_EERKSF_lbbbEUlllE_EE10hipError_tT0_T1_T2_T3_mRjT4_P12ihipStream_tbNS1_7vsmem_tEEUlT_E_NS1_11comp_targetILNS1_3genE0ELNS1_11target_archE4294967295ELNS1_3gpuE0ELNS1_3repE0EEENS1_30default_config_static_selectorELNS0_4arch9wavefront6targetE1EEEvSM_.kd
    .uniform_work_group_size: 1
    .uses_dynamic_stack: false
    .vgpr_count:     0
    .vgpr_spill_count: 0
    .wavefront_size: 64
  - .agpr_count:     0
    .args:
      - .offset:         0
        .size:           72
        .value_kind:     by_value
    .group_segment_fixed_size: 0
    .kernarg_segment_align: 8
    .kernarg_segment_size: 72
    .language:       OpenCL C
    .language_version:
      - 2
      - 0
    .max_flat_workgroup_size: 256
    .name:           _ZN7rocprim17ROCPRIM_400000_NS6detail17trampoline_kernelINS0_14default_configENS1_37merge_sort_block_sort_config_selectorIlNS0_10empty_typeEEEZNS1_21merge_sort_block_sortIS3_PlS8_PS5_S9_ZN2at6native12_GLOBAL__N_124unique_dim_cuda_templateIhEESt5tupleIJNSA_6TensorESF_SF_EERKSF_lbbbEUlllE_EE10hipError_tT0_T1_T2_T3_mRjT4_P12ihipStream_tbNS1_7vsmem_tEEUlT_E_NS1_11comp_targetILNS1_3genE5ELNS1_11target_archE942ELNS1_3gpuE9ELNS1_3repE0EEENS1_30default_config_static_selectorELNS0_4arch9wavefront6targetE1EEEvSM_
    .private_segment_fixed_size: 0
    .sgpr_count:     4
    .sgpr_spill_count: 0
    .symbol:         _ZN7rocprim17ROCPRIM_400000_NS6detail17trampoline_kernelINS0_14default_configENS1_37merge_sort_block_sort_config_selectorIlNS0_10empty_typeEEEZNS1_21merge_sort_block_sortIS3_PlS8_PS5_S9_ZN2at6native12_GLOBAL__N_124unique_dim_cuda_templateIhEESt5tupleIJNSA_6TensorESF_SF_EERKSF_lbbbEUlllE_EE10hipError_tT0_T1_T2_T3_mRjT4_P12ihipStream_tbNS1_7vsmem_tEEUlT_E_NS1_11comp_targetILNS1_3genE5ELNS1_11target_archE942ELNS1_3gpuE9ELNS1_3repE0EEENS1_30default_config_static_selectorELNS0_4arch9wavefront6targetE1EEEvSM_.kd
    .uniform_work_group_size: 1
    .uses_dynamic_stack: false
    .vgpr_count:     0
    .vgpr_spill_count: 0
    .wavefront_size: 64
  - .agpr_count:     0
    .args:
      - .offset:         0
        .size:           72
        .value_kind:     by_value
      - .offset:         72
        .size:           4
        .value_kind:     hidden_block_count_x
      - .offset:         76
        .size:           4
        .value_kind:     hidden_block_count_y
      - .offset:         80
        .size:           4
        .value_kind:     hidden_block_count_z
      - .offset:         84
        .size:           2
        .value_kind:     hidden_group_size_x
      - .offset:         86
        .size:           2
        .value_kind:     hidden_group_size_y
      - .offset:         88
        .size:           2
        .value_kind:     hidden_group_size_z
      - .offset:         90
        .size:           2
        .value_kind:     hidden_remainder_x
      - .offset:         92
        .size:           2
        .value_kind:     hidden_remainder_y
      - .offset:         94
        .size:           2
        .value_kind:     hidden_remainder_z
      - .offset:         112
        .size:           8
        .value_kind:     hidden_global_offset_x
      - .offset:         120
        .size:           8
        .value_kind:     hidden_global_offset_y
      - .offset:         128
        .size:           8
        .value_kind:     hidden_global_offset_z
      - .offset:         136
        .size:           2
        .value_kind:     hidden_grid_dims
    .group_segment_fixed_size: 8448
    .kernarg_segment_align: 8
    .kernarg_segment_size: 328
    .language:       OpenCL C
    .language_version:
      - 2
      - 0
    .max_flat_workgroup_size: 256
    .name:           _ZN7rocprim17ROCPRIM_400000_NS6detail17trampoline_kernelINS0_14default_configENS1_37merge_sort_block_sort_config_selectorIlNS0_10empty_typeEEEZNS1_21merge_sort_block_sortIS3_PlS8_PS5_S9_ZN2at6native12_GLOBAL__N_124unique_dim_cuda_templateIhEESt5tupleIJNSA_6TensorESF_SF_EERKSF_lbbbEUlllE_EE10hipError_tT0_T1_T2_T3_mRjT4_P12ihipStream_tbNS1_7vsmem_tEEUlT_E_NS1_11comp_targetILNS1_3genE4ELNS1_11target_archE910ELNS1_3gpuE8ELNS1_3repE0EEENS1_30default_config_static_selectorELNS0_4arch9wavefront6targetE1EEEvSM_
    .private_segment_fixed_size: 0
    .sgpr_count:     58
    .sgpr_spill_count: 0
    .symbol:         _ZN7rocprim17ROCPRIM_400000_NS6detail17trampoline_kernelINS0_14default_configENS1_37merge_sort_block_sort_config_selectorIlNS0_10empty_typeEEEZNS1_21merge_sort_block_sortIS3_PlS8_PS5_S9_ZN2at6native12_GLOBAL__N_124unique_dim_cuda_templateIhEESt5tupleIJNSA_6TensorESF_SF_EERKSF_lbbbEUlllE_EE10hipError_tT0_T1_T2_T3_mRjT4_P12ihipStream_tbNS1_7vsmem_tEEUlT_E_NS1_11comp_targetILNS1_3genE4ELNS1_11target_archE910ELNS1_3gpuE8ELNS1_3repE0EEENS1_30default_config_static_selectorELNS0_4arch9wavefront6targetE1EEEvSM_.kd
    .uniform_work_group_size: 1
    .uses_dynamic_stack: false
    .vgpr_count:     46
    .vgpr_spill_count: 0
    .wavefront_size: 64
  - .agpr_count:     0
    .args:
      - .offset:         0
        .size:           72
        .value_kind:     by_value
    .group_segment_fixed_size: 0
    .kernarg_segment_align: 8
    .kernarg_segment_size: 72
    .language:       OpenCL C
    .language_version:
      - 2
      - 0
    .max_flat_workgroup_size: 256
    .name:           _ZN7rocprim17ROCPRIM_400000_NS6detail17trampoline_kernelINS0_14default_configENS1_37merge_sort_block_sort_config_selectorIlNS0_10empty_typeEEEZNS1_21merge_sort_block_sortIS3_PlS8_PS5_S9_ZN2at6native12_GLOBAL__N_124unique_dim_cuda_templateIhEESt5tupleIJNSA_6TensorESF_SF_EERKSF_lbbbEUlllE_EE10hipError_tT0_T1_T2_T3_mRjT4_P12ihipStream_tbNS1_7vsmem_tEEUlT_E_NS1_11comp_targetILNS1_3genE3ELNS1_11target_archE908ELNS1_3gpuE7ELNS1_3repE0EEENS1_30default_config_static_selectorELNS0_4arch9wavefront6targetE1EEEvSM_
    .private_segment_fixed_size: 0
    .sgpr_count:     4
    .sgpr_spill_count: 0
    .symbol:         _ZN7rocprim17ROCPRIM_400000_NS6detail17trampoline_kernelINS0_14default_configENS1_37merge_sort_block_sort_config_selectorIlNS0_10empty_typeEEEZNS1_21merge_sort_block_sortIS3_PlS8_PS5_S9_ZN2at6native12_GLOBAL__N_124unique_dim_cuda_templateIhEESt5tupleIJNSA_6TensorESF_SF_EERKSF_lbbbEUlllE_EE10hipError_tT0_T1_T2_T3_mRjT4_P12ihipStream_tbNS1_7vsmem_tEEUlT_E_NS1_11comp_targetILNS1_3genE3ELNS1_11target_archE908ELNS1_3gpuE7ELNS1_3repE0EEENS1_30default_config_static_selectorELNS0_4arch9wavefront6targetE1EEEvSM_.kd
    .uniform_work_group_size: 1
    .uses_dynamic_stack: false
    .vgpr_count:     0
    .vgpr_spill_count: 0
    .wavefront_size: 64
  - .agpr_count:     0
    .args:
      - .offset:         0
        .size:           72
        .value_kind:     by_value
    .group_segment_fixed_size: 0
    .kernarg_segment_align: 8
    .kernarg_segment_size: 72
    .language:       OpenCL C
    .language_version:
      - 2
      - 0
    .max_flat_workgroup_size: 256
    .name:           _ZN7rocprim17ROCPRIM_400000_NS6detail17trampoline_kernelINS0_14default_configENS1_37merge_sort_block_sort_config_selectorIlNS0_10empty_typeEEEZNS1_21merge_sort_block_sortIS3_PlS8_PS5_S9_ZN2at6native12_GLOBAL__N_124unique_dim_cuda_templateIhEESt5tupleIJNSA_6TensorESF_SF_EERKSF_lbbbEUlllE_EE10hipError_tT0_T1_T2_T3_mRjT4_P12ihipStream_tbNS1_7vsmem_tEEUlT_E_NS1_11comp_targetILNS1_3genE2ELNS1_11target_archE906ELNS1_3gpuE6ELNS1_3repE0EEENS1_30default_config_static_selectorELNS0_4arch9wavefront6targetE1EEEvSM_
    .private_segment_fixed_size: 0
    .sgpr_count:     4
    .sgpr_spill_count: 0
    .symbol:         _ZN7rocprim17ROCPRIM_400000_NS6detail17trampoline_kernelINS0_14default_configENS1_37merge_sort_block_sort_config_selectorIlNS0_10empty_typeEEEZNS1_21merge_sort_block_sortIS3_PlS8_PS5_S9_ZN2at6native12_GLOBAL__N_124unique_dim_cuda_templateIhEESt5tupleIJNSA_6TensorESF_SF_EERKSF_lbbbEUlllE_EE10hipError_tT0_T1_T2_T3_mRjT4_P12ihipStream_tbNS1_7vsmem_tEEUlT_E_NS1_11comp_targetILNS1_3genE2ELNS1_11target_archE906ELNS1_3gpuE6ELNS1_3repE0EEENS1_30default_config_static_selectorELNS0_4arch9wavefront6targetE1EEEvSM_.kd
    .uniform_work_group_size: 1
    .uses_dynamic_stack: false
    .vgpr_count:     0
    .vgpr_spill_count: 0
    .wavefront_size: 64
  - .agpr_count:     0
    .args:
      - .offset:         0
        .size:           72
        .value_kind:     by_value
    .group_segment_fixed_size: 0
    .kernarg_segment_align: 8
    .kernarg_segment_size: 72
    .language:       OpenCL C
    .language_version:
      - 2
      - 0
    .max_flat_workgroup_size: 256
    .name:           _ZN7rocprim17ROCPRIM_400000_NS6detail17trampoline_kernelINS0_14default_configENS1_37merge_sort_block_sort_config_selectorIlNS0_10empty_typeEEEZNS1_21merge_sort_block_sortIS3_PlS8_PS5_S9_ZN2at6native12_GLOBAL__N_124unique_dim_cuda_templateIhEESt5tupleIJNSA_6TensorESF_SF_EERKSF_lbbbEUlllE_EE10hipError_tT0_T1_T2_T3_mRjT4_P12ihipStream_tbNS1_7vsmem_tEEUlT_E_NS1_11comp_targetILNS1_3genE10ELNS1_11target_archE1201ELNS1_3gpuE5ELNS1_3repE0EEENS1_30default_config_static_selectorELNS0_4arch9wavefront6targetE1EEEvSM_
    .private_segment_fixed_size: 0
    .sgpr_count:     4
    .sgpr_spill_count: 0
    .symbol:         _ZN7rocprim17ROCPRIM_400000_NS6detail17trampoline_kernelINS0_14default_configENS1_37merge_sort_block_sort_config_selectorIlNS0_10empty_typeEEEZNS1_21merge_sort_block_sortIS3_PlS8_PS5_S9_ZN2at6native12_GLOBAL__N_124unique_dim_cuda_templateIhEESt5tupleIJNSA_6TensorESF_SF_EERKSF_lbbbEUlllE_EE10hipError_tT0_T1_T2_T3_mRjT4_P12ihipStream_tbNS1_7vsmem_tEEUlT_E_NS1_11comp_targetILNS1_3genE10ELNS1_11target_archE1201ELNS1_3gpuE5ELNS1_3repE0EEENS1_30default_config_static_selectorELNS0_4arch9wavefront6targetE1EEEvSM_.kd
    .uniform_work_group_size: 1
    .uses_dynamic_stack: false
    .vgpr_count:     0
    .vgpr_spill_count: 0
    .wavefront_size: 64
  - .agpr_count:     0
    .args:
      - .offset:         0
        .size:           72
        .value_kind:     by_value
    .group_segment_fixed_size: 0
    .kernarg_segment_align: 8
    .kernarg_segment_size: 72
    .language:       OpenCL C
    .language_version:
      - 2
      - 0
    .max_flat_workgroup_size: 512
    .name:           _ZN7rocprim17ROCPRIM_400000_NS6detail17trampoline_kernelINS0_14default_configENS1_37merge_sort_block_sort_config_selectorIlNS0_10empty_typeEEEZNS1_21merge_sort_block_sortIS3_PlS8_PS5_S9_ZN2at6native12_GLOBAL__N_124unique_dim_cuda_templateIhEESt5tupleIJNSA_6TensorESF_SF_EERKSF_lbbbEUlllE_EE10hipError_tT0_T1_T2_T3_mRjT4_P12ihipStream_tbNS1_7vsmem_tEEUlT_E_NS1_11comp_targetILNS1_3genE10ELNS1_11target_archE1200ELNS1_3gpuE4ELNS1_3repE0EEENS1_30default_config_static_selectorELNS0_4arch9wavefront6targetE1EEEvSM_
    .private_segment_fixed_size: 0
    .sgpr_count:     4
    .sgpr_spill_count: 0
    .symbol:         _ZN7rocprim17ROCPRIM_400000_NS6detail17trampoline_kernelINS0_14default_configENS1_37merge_sort_block_sort_config_selectorIlNS0_10empty_typeEEEZNS1_21merge_sort_block_sortIS3_PlS8_PS5_S9_ZN2at6native12_GLOBAL__N_124unique_dim_cuda_templateIhEESt5tupleIJNSA_6TensorESF_SF_EERKSF_lbbbEUlllE_EE10hipError_tT0_T1_T2_T3_mRjT4_P12ihipStream_tbNS1_7vsmem_tEEUlT_E_NS1_11comp_targetILNS1_3genE10ELNS1_11target_archE1200ELNS1_3gpuE4ELNS1_3repE0EEENS1_30default_config_static_selectorELNS0_4arch9wavefront6targetE1EEEvSM_.kd
    .uniform_work_group_size: 1
    .uses_dynamic_stack: false
    .vgpr_count:     0
    .vgpr_spill_count: 0
    .wavefront_size: 64
  - .agpr_count:     0
    .args:
      - .offset:         0
        .size:           72
        .value_kind:     by_value
    .group_segment_fixed_size: 0
    .kernarg_segment_align: 8
    .kernarg_segment_size: 72
    .language:       OpenCL C
    .language_version:
      - 2
      - 0
    .max_flat_workgroup_size: 256
    .name:           _ZN7rocprim17ROCPRIM_400000_NS6detail17trampoline_kernelINS0_14default_configENS1_37merge_sort_block_sort_config_selectorIlNS0_10empty_typeEEEZNS1_21merge_sort_block_sortIS3_PlS8_PS5_S9_ZN2at6native12_GLOBAL__N_124unique_dim_cuda_templateIhEESt5tupleIJNSA_6TensorESF_SF_EERKSF_lbbbEUlllE_EE10hipError_tT0_T1_T2_T3_mRjT4_P12ihipStream_tbNS1_7vsmem_tEEUlT_E_NS1_11comp_targetILNS1_3genE9ELNS1_11target_archE1100ELNS1_3gpuE3ELNS1_3repE0EEENS1_30default_config_static_selectorELNS0_4arch9wavefront6targetE1EEEvSM_
    .private_segment_fixed_size: 0
    .sgpr_count:     4
    .sgpr_spill_count: 0
    .symbol:         _ZN7rocprim17ROCPRIM_400000_NS6detail17trampoline_kernelINS0_14default_configENS1_37merge_sort_block_sort_config_selectorIlNS0_10empty_typeEEEZNS1_21merge_sort_block_sortIS3_PlS8_PS5_S9_ZN2at6native12_GLOBAL__N_124unique_dim_cuda_templateIhEESt5tupleIJNSA_6TensorESF_SF_EERKSF_lbbbEUlllE_EE10hipError_tT0_T1_T2_T3_mRjT4_P12ihipStream_tbNS1_7vsmem_tEEUlT_E_NS1_11comp_targetILNS1_3genE9ELNS1_11target_archE1100ELNS1_3gpuE3ELNS1_3repE0EEENS1_30default_config_static_selectorELNS0_4arch9wavefront6targetE1EEEvSM_.kd
    .uniform_work_group_size: 1
    .uses_dynamic_stack: false
    .vgpr_count:     0
    .vgpr_spill_count: 0
    .wavefront_size: 64
  - .agpr_count:     0
    .args:
      - .offset:         0
        .size:           72
        .value_kind:     by_value
    .group_segment_fixed_size: 0
    .kernarg_segment_align: 8
    .kernarg_segment_size: 72
    .language:       OpenCL C
    .language_version:
      - 2
      - 0
    .max_flat_workgroup_size: 256
    .name:           _ZN7rocprim17ROCPRIM_400000_NS6detail17trampoline_kernelINS0_14default_configENS1_37merge_sort_block_sort_config_selectorIlNS0_10empty_typeEEEZNS1_21merge_sort_block_sortIS3_PlS8_PS5_S9_ZN2at6native12_GLOBAL__N_124unique_dim_cuda_templateIhEESt5tupleIJNSA_6TensorESF_SF_EERKSF_lbbbEUlllE_EE10hipError_tT0_T1_T2_T3_mRjT4_P12ihipStream_tbNS1_7vsmem_tEEUlT_E_NS1_11comp_targetILNS1_3genE8ELNS1_11target_archE1030ELNS1_3gpuE2ELNS1_3repE0EEENS1_30default_config_static_selectorELNS0_4arch9wavefront6targetE1EEEvSM_
    .private_segment_fixed_size: 0
    .sgpr_count:     4
    .sgpr_spill_count: 0
    .symbol:         _ZN7rocprim17ROCPRIM_400000_NS6detail17trampoline_kernelINS0_14default_configENS1_37merge_sort_block_sort_config_selectorIlNS0_10empty_typeEEEZNS1_21merge_sort_block_sortIS3_PlS8_PS5_S9_ZN2at6native12_GLOBAL__N_124unique_dim_cuda_templateIhEESt5tupleIJNSA_6TensorESF_SF_EERKSF_lbbbEUlllE_EE10hipError_tT0_T1_T2_T3_mRjT4_P12ihipStream_tbNS1_7vsmem_tEEUlT_E_NS1_11comp_targetILNS1_3genE8ELNS1_11target_archE1030ELNS1_3gpuE2ELNS1_3repE0EEENS1_30default_config_static_selectorELNS0_4arch9wavefront6targetE1EEEvSM_.kd
    .uniform_work_group_size: 1
    .uses_dynamic_stack: false
    .vgpr_count:     0
    .vgpr_spill_count: 0
    .wavefront_size: 64
  - .agpr_count:     0
    .args:
      - .offset:         0
        .size:           56
        .value_kind:     by_value
    .group_segment_fixed_size: 0
    .kernarg_segment_align: 8
    .kernarg_segment_size: 56
    .language:       OpenCL C
    .language_version:
      - 2
      - 0
    .max_flat_workgroup_size: 128
    .name:           _ZN7rocprim17ROCPRIM_400000_NS6detail17trampoline_kernelINS0_14default_configENS1_38merge_sort_block_merge_config_selectorIlNS0_10empty_typeEEEZZNS1_27merge_sort_block_merge_implIS3_PlPS5_mZN2at6native12_GLOBAL__N_124unique_dim_cuda_templateIhEESt5tupleIJNSA_6TensorESF_SF_EERKSF_lbbbEUlllE_EE10hipError_tT0_T1_T2_jT3_P12ihipStream_tbPNSt15iterator_traitsISL_E10value_typeEPNSR_ISM_E10value_typeEPSN_NS1_7vsmem_tEENKUlT_SL_SM_SN_E_clIS8_S8_S9_S9_EESK_S10_SL_SM_SN_EUlS10_E_NS1_11comp_targetILNS1_3genE0ELNS1_11target_archE4294967295ELNS1_3gpuE0ELNS1_3repE0EEENS1_48merge_mergepath_partition_config_static_selectorELNS0_4arch9wavefront6targetE1EEEvSM_
    .private_segment_fixed_size: 0
    .sgpr_count:     4
    .sgpr_spill_count: 0
    .symbol:         _ZN7rocprim17ROCPRIM_400000_NS6detail17trampoline_kernelINS0_14default_configENS1_38merge_sort_block_merge_config_selectorIlNS0_10empty_typeEEEZZNS1_27merge_sort_block_merge_implIS3_PlPS5_mZN2at6native12_GLOBAL__N_124unique_dim_cuda_templateIhEESt5tupleIJNSA_6TensorESF_SF_EERKSF_lbbbEUlllE_EE10hipError_tT0_T1_T2_jT3_P12ihipStream_tbPNSt15iterator_traitsISL_E10value_typeEPNSR_ISM_E10value_typeEPSN_NS1_7vsmem_tEENKUlT_SL_SM_SN_E_clIS8_S8_S9_S9_EESK_S10_SL_SM_SN_EUlS10_E_NS1_11comp_targetILNS1_3genE0ELNS1_11target_archE4294967295ELNS1_3gpuE0ELNS1_3repE0EEENS1_48merge_mergepath_partition_config_static_selectorELNS0_4arch9wavefront6targetE1EEEvSM_.kd
    .uniform_work_group_size: 1
    .uses_dynamic_stack: false
    .vgpr_count:     0
    .vgpr_spill_count: 0
    .wavefront_size: 64
  - .agpr_count:     0
    .args:
      - .offset:         0
        .size:           56
        .value_kind:     by_value
    .group_segment_fixed_size: 0
    .kernarg_segment_align: 8
    .kernarg_segment_size: 56
    .language:       OpenCL C
    .language_version:
      - 2
      - 0
    .max_flat_workgroup_size: 128
    .name:           _ZN7rocprim17ROCPRIM_400000_NS6detail17trampoline_kernelINS0_14default_configENS1_38merge_sort_block_merge_config_selectorIlNS0_10empty_typeEEEZZNS1_27merge_sort_block_merge_implIS3_PlPS5_mZN2at6native12_GLOBAL__N_124unique_dim_cuda_templateIhEESt5tupleIJNSA_6TensorESF_SF_EERKSF_lbbbEUlllE_EE10hipError_tT0_T1_T2_jT3_P12ihipStream_tbPNSt15iterator_traitsISL_E10value_typeEPNSR_ISM_E10value_typeEPSN_NS1_7vsmem_tEENKUlT_SL_SM_SN_E_clIS8_S8_S9_S9_EESK_S10_SL_SM_SN_EUlS10_E_NS1_11comp_targetILNS1_3genE10ELNS1_11target_archE1201ELNS1_3gpuE5ELNS1_3repE0EEENS1_48merge_mergepath_partition_config_static_selectorELNS0_4arch9wavefront6targetE1EEEvSM_
    .private_segment_fixed_size: 0
    .sgpr_count:     4
    .sgpr_spill_count: 0
    .symbol:         _ZN7rocprim17ROCPRIM_400000_NS6detail17trampoline_kernelINS0_14default_configENS1_38merge_sort_block_merge_config_selectorIlNS0_10empty_typeEEEZZNS1_27merge_sort_block_merge_implIS3_PlPS5_mZN2at6native12_GLOBAL__N_124unique_dim_cuda_templateIhEESt5tupleIJNSA_6TensorESF_SF_EERKSF_lbbbEUlllE_EE10hipError_tT0_T1_T2_jT3_P12ihipStream_tbPNSt15iterator_traitsISL_E10value_typeEPNSR_ISM_E10value_typeEPSN_NS1_7vsmem_tEENKUlT_SL_SM_SN_E_clIS8_S8_S9_S9_EESK_S10_SL_SM_SN_EUlS10_E_NS1_11comp_targetILNS1_3genE10ELNS1_11target_archE1201ELNS1_3gpuE5ELNS1_3repE0EEENS1_48merge_mergepath_partition_config_static_selectorELNS0_4arch9wavefront6targetE1EEEvSM_.kd
    .uniform_work_group_size: 1
    .uses_dynamic_stack: false
    .vgpr_count:     0
    .vgpr_spill_count: 0
    .wavefront_size: 64
  - .agpr_count:     0
    .args:
      - .offset:         0
        .size:           56
        .value_kind:     by_value
    .group_segment_fixed_size: 0
    .kernarg_segment_align: 8
    .kernarg_segment_size: 56
    .language:       OpenCL C
    .language_version:
      - 2
      - 0
    .max_flat_workgroup_size: 128
    .name:           _ZN7rocprim17ROCPRIM_400000_NS6detail17trampoline_kernelINS0_14default_configENS1_38merge_sort_block_merge_config_selectorIlNS0_10empty_typeEEEZZNS1_27merge_sort_block_merge_implIS3_PlPS5_mZN2at6native12_GLOBAL__N_124unique_dim_cuda_templateIhEESt5tupleIJNSA_6TensorESF_SF_EERKSF_lbbbEUlllE_EE10hipError_tT0_T1_T2_jT3_P12ihipStream_tbPNSt15iterator_traitsISL_E10value_typeEPNSR_ISM_E10value_typeEPSN_NS1_7vsmem_tEENKUlT_SL_SM_SN_E_clIS8_S8_S9_S9_EESK_S10_SL_SM_SN_EUlS10_E_NS1_11comp_targetILNS1_3genE5ELNS1_11target_archE942ELNS1_3gpuE9ELNS1_3repE0EEENS1_48merge_mergepath_partition_config_static_selectorELNS0_4arch9wavefront6targetE1EEEvSM_
    .private_segment_fixed_size: 0
    .sgpr_count:     4
    .sgpr_spill_count: 0
    .symbol:         _ZN7rocprim17ROCPRIM_400000_NS6detail17trampoline_kernelINS0_14default_configENS1_38merge_sort_block_merge_config_selectorIlNS0_10empty_typeEEEZZNS1_27merge_sort_block_merge_implIS3_PlPS5_mZN2at6native12_GLOBAL__N_124unique_dim_cuda_templateIhEESt5tupleIJNSA_6TensorESF_SF_EERKSF_lbbbEUlllE_EE10hipError_tT0_T1_T2_jT3_P12ihipStream_tbPNSt15iterator_traitsISL_E10value_typeEPNSR_ISM_E10value_typeEPSN_NS1_7vsmem_tEENKUlT_SL_SM_SN_E_clIS8_S8_S9_S9_EESK_S10_SL_SM_SN_EUlS10_E_NS1_11comp_targetILNS1_3genE5ELNS1_11target_archE942ELNS1_3gpuE9ELNS1_3repE0EEENS1_48merge_mergepath_partition_config_static_selectorELNS0_4arch9wavefront6targetE1EEEvSM_.kd
    .uniform_work_group_size: 1
    .uses_dynamic_stack: false
    .vgpr_count:     0
    .vgpr_spill_count: 0
    .wavefront_size: 64
  - .agpr_count:     0
    .args:
      - .offset:         0
        .size:           56
        .value_kind:     by_value
    .group_segment_fixed_size: 0
    .kernarg_segment_align: 8
    .kernarg_segment_size: 56
    .language:       OpenCL C
    .language_version:
      - 2
      - 0
    .max_flat_workgroup_size: 128
    .name:           _ZN7rocprim17ROCPRIM_400000_NS6detail17trampoline_kernelINS0_14default_configENS1_38merge_sort_block_merge_config_selectorIlNS0_10empty_typeEEEZZNS1_27merge_sort_block_merge_implIS3_PlPS5_mZN2at6native12_GLOBAL__N_124unique_dim_cuda_templateIhEESt5tupleIJNSA_6TensorESF_SF_EERKSF_lbbbEUlllE_EE10hipError_tT0_T1_T2_jT3_P12ihipStream_tbPNSt15iterator_traitsISL_E10value_typeEPNSR_ISM_E10value_typeEPSN_NS1_7vsmem_tEENKUlT_SL_SM_SN_E_clIS8_S8_S9_S9_EESK_S10_SL_SM_SN_EUlS10_E_NS1_11comp_targetILNS1_3genE4ELNS1_11target_archE910ELNS1_3gpuE8ELNS1_3repE0EEENS1_48merge_mergepath_partition_config_static_selectorELNS0_4arch9wavefront6targetE1EEEvSM_
    .private_segment_fixed_size: 0
    .sgpr_count:     36
    .sgpr_spill_count: 0
    .symbol:         _ZN7rocprim17ROCPRIM_400000_NS6detail17trampoline_kernelINS0_14default_configENS1_38merge_sort_block_merge_config_selectorIlNS0_10empty_typeEEEZZNS1_27merge_sort_block_merge_implIS3_PlPS5_mZN2at6native12_GLOBAL__N_124unique_dim_cuda_templateIhEESt5tupleIJNSA_6TensorESF_SF_EERKSF_lbbbEUlllE_EE10hipError_tT0_T1_T2_jT3_P12ihipStream_tbPNSt15iterator_traitsISL_E10value_typeEPNSR_ISM_E10value_typeEPSN_NS1_7vsmem_tEENKUlT_SL_SM_SN_E_clIS8_S8_S9_S9_EESK_S10_SL_SM_SN_EUlS10_E_NS1_11comp_targetILNS1_3genE4ELNS1_11target_archE910ELNS1_3gpuE8ELNS1_3repE0EEENS1_48merge_mergepath_partition_config_static_selectorELNS0_4arch9wavefront6targetE1EEEvSM_.kd
    .uniform_work_group_size: 1
    .uses_dynamic_stack: false
    .vgpr_count:     23
    .vgpr_spill_count: 0
    .wavefront_size: 64
  - .agpr_count:     0
    .args:
      - .offset:         0
        .size:           56
        .value_kind:     by_value
    .group_segment_fixed_size: 0
    .kernarg_segment_align: 8
    .kernarg_segment_size: 56
    .language:       OpenCL C
    .language_version:
      - 2
      - 0
    .max_flat_workgroup_size: 128
    .name:           _ZN7rocprim17ROCPRIM_400000_NS6detail17trampoline_kernelINS0_14default_configENS1_38merge_sort_block_merge_config_selectorIlNS0_10empty_typeEEEZZNS1_27merge_sort_block_merge_implIS3_PlPS5_mZN2at6native12_GLOBAL__N_124unique_dim_cuda_templateIhEESt5tupleIJNSA_6TensorESF_SF_EERKSF_lbbbEUlllE_EE10hipError_tT0_T1_T2_jT3_P12ihipStream_tbPNSt15iterator_traitsISL_E10value_typeEPNSR_ISM_E10value_typeEPSN_NS1_7vsmem_tEENKUlT_SL_SM_SN_E_clIS8_S8_S9_S9_EESK_S10_SL_SM_SN_EUlS10_E_NS1_11comp_targetILNS1_3genE3ELNS1_11target_archE908ELNS1_3gpuE7ELNS1_3repE0EEENS1_48merge_mergepath_partition_config_static_selectorELNS0_4arch9wavefront6targetE1EEEvSM_
    .private_segment_fixed_size: 0
    .sgpr_count:     4
    .sgpr_spill_count: 0
    .symbol:         _ZN7rocprim17ROCPRIM_400000_NS6detail17trampoline_kernelINS0_14default_configENS1_38merge_sort_block_merge_config_selectorIlNS0_10empty_typeEEEZZNS1_27merge_sort_block_merge_implIS3_PlPS5_mZN2at6native12_GLOBAL__N_124unique_dim_cuda_templateIhEESt5tupleIJNSA_6TensorESF_SF_EERKSF_lbbbEUlllE_EE10hipError_tT0_T1_T2_jT3_P12ihipStream_tbPNSt15iterator_traitsISL_E10value_typeEPNSR_ISM_E10value_typeEPSN_NS1_7vsmem_tEENKUlT_SL_SM_SN_E_clIS8_S8_S9_S9_EESK_S10_SL_SM_SN_EUlS10_E_NS1_11comp_targetILNS1_3genE3ELNS1_11target_archE908ELNS1_3gpuE7ELNS1_3repE0EEENS1_48merge_mergepath_partition_config_static_selectorELNS0_4arch9wavefront6targetE1EEEvSM_.kd
    .uniform_work_group_size: 1
    .uses_dynamic_stack: false
    .vgpr_count:     0
    .vgpr_spill_count: 0
    .wavefront_size: 64
  - .agpr_count:     0
    .args:
      - .offset:         0
        .size:           56
        .value_kind:     by_value
    .group_segment_fixed_size: 0
    .kernarg_segment_align: 8
    .kernarg_segment_size: 56
    .language:       OpenCL C
    .language_version:
      - 2
      - 0
    .max_flat_workgroup_size: 128
    .name:           _ZN7rocprim17ROCPRIM_400000_NS6detail17trampoline_kernelINS0_14default_configENS1_38merge_sort_block_merge_config_selectorIlNS0_10empty_typeEEEZZNS1_27merge_sort_block_merge_implIS3_PlPS5_mZN2at6native12_GLOBAL__N_124unique_dim_cuda_templateIhEESt5tupleIJNSA_6TensorESF_SF_EERKSF_lbbbEUlllE_EE10hipError_tT0_T1_T2_jT3_P12ihipStream_tbPNSt15iterator_traitsISL_E10value_typeEPNSR_ISM_E10value_typeEPSN_NS1_7vsmem_tEENKUlT_SL_SM_SN_E_clIS8_S8_S9_S9_EESK_S10_SL_SM_SN_EUlS10_E_NS1_11comp_targetILNS1_3genE2ELNS1_11target_archE906ELNS1_3gpuE6ELNS1_3repE0EEENS1_48merge_mergepath_partition_config_static_selectorELNS0_4arch9wavefront6targetE1EEEvSM_
    .private_segment_fixed_size: 0
    .sgpr_count:     4
    .sgpr_spill_count: 0
    .symbol:         _ZN7rocprim17ROCPRIM_400000_NS6detail17trampoline_kernelINS0_14default_configENS1_38merge_sort_block_merge_config_selectorIlNS0_10empty_typeEEEZZNS1_27merge_sort_block_merge_implIS3_PlPS5_mZN2at6native12_GLOBAL__N_124unique_dim_cuda_templateIhEESt5tupleIJNSA_6TensorESF_SF_EERKSF_lbbbEUlllE_EE10hipError_tT0_T1_T2_jT3_P12ihipStream_tbPNSt15iterator_traitsISL_E10value_typeEPNSR_ISM_E10value_typeEPSN_NS1_7vsmem_tEENKUlT_SL_SM_SN_E_clIS8_S8_S9_S9_EESK_S10_SL_SM_SN_EUlS10_E_NS1_11comp_targetILNS1_3genE2ELNS1_11target_archE906ELNS1_3gpuE6ELNS1_3repE0EEENS1_48merge_mergepath_partition_config_static_selectorELNS0_4arch9wavefront6targetE1EEEvSM_.kd
    .uniform_work_group_size: 1
    .uses_dynamic_stack: false
    .vgpr_count:     0
    .vgpr_spill_count: 0
    .wavefront_size: 64
  - .agpr_count:     0
    .args:
      - .offset:         0
        .size:           56
        .value_kind:     by_value
    .group_segment_fixed_size: 0
    .kernarg_segment_align: 8
    .kernarg_segment_size: 56
    .language:       OpenCL C
    .language_version:
      - 2
      - 0
    .max_flat_workgroup_size: 128
    .name:           _ZN7rocprim17ROCPRIM_400000_NS6detail17trampoline_kernelINS0_14default_configENS1_38merge_sort_block_merge_config_selectorIlNS0_10empty_typeEEEZZNS1_27merge_sort_block_merge_implIS3_PlPS5_mZN2at6native12_GLOBAL__N_124unique_dim_cuda_templateIhEESt5tupleIJNSA_6TensorESF_SF_EERKSF_lbbbEUlllE_EE10hipError_tT0_T1_T2_jT3_P12ihipStream_tbPNSt15iterator_traitsISL_E10value_typeEPNSR_ISM_E10value_typeEPSN_NS1_7vsmem_tEENKUlT_SL_SM_SN_E_clIS8_S8_S9_S9_EESK_S10_SL_SM_SN_EUlS10_E_NS1_11comp_targetILNS1_3genE9ELNS1_11target_archE1100ELNS1_3gpuE3ELNS1_3repE0EEENS1_48merge_mergepath_partition_config_static_selectorELNS0_4arch9wavefront6targetE1EEEvSM_
    .private_segment_fixed_size: 0
    .sgpr_count:     4
    .sgpr_spill_count: 0
    .symbol:         _ZN7rocprim17ROCPRIM_400000_NS6detail17trampoline_kernelINS0_14default_configENS1_38merge_sort_block_merge_config_selectorIlNS0_10empty_typeEEEZZNS1_27merge_sort_block_merge_implIS3_PlPS5_mZN2at6native12_GLOBAL__N_124unique_dim_cuda_templateIhEESt5tupleIJNSA_6TensorESF_SF_EERKSF_lbbbEUlllE_EE10hipError_tT0_T1_T2_jT3_P12ihipStream_tbPNSt15iterator_traitsISL_E10value_typeEPNSR_ISM_E10value_typeEPSN_NS1_7vsmem_tEENKUlT_SL_SM_SN_E_clIS8_S8_S9_S9_EESK_S10_SL_SM_SN_EUlS10_E_NS1_11comp_targetILNS1_3genE9ELNS1_11target_archE1100ELNS1_3gpuE3ELNS1_3repE0EEENS1_48merge_mergepath_partition_config_static_selectorELNS0_4arch9wavefront6targetE1EEEvSM_.kd
    .uniform_work_group_size: 1
    .uses_dynamic_stack: false
    .vgpr_count:     0
    .vgpr_spill_count: 0
    .wavefront_size: 64
  - .agpr_count:     0
    .args:
      - .offset:         0
        .size:           56
        .value_kind:     by_value
    .group_segment_fixed_size: 0
    .kernarg_segment_align: 8
    .kernarg_segment_size: 56
    .language:       OpenCL C
    .language_version:
      - 2
      - 0
    .max_flat_workgroup_size: 128
    .name:           _ZN7rocprim17ROCPRIM_400000_NS6detail17trampoline_kernelINS0_14default_configENS1_38merge_sort_block_merge_config_selectorIlNS0_10empty_typeEEEZZNS1_27merge_sort_block_merge_implIS3_PlPS5_mZN2at6native12_GLOBAL__N_124unique_dim_cuda_templateIhEESt5tupleIJNSA_6TensorESF_SF_EERKSF_lbbbEUlllE_EE10hipError_tT0_T1_T2_jT3_P12ihipStream_tbPNSt15iterator_traitsISL_E10value_typeEPNSR_ISM_E10value_typeEPSN_NS1_7vsmem_tEENKUlT_SL_SM_SN_E_clIS8_S8_S9_S9_EESK_S10_SL_SM_SN_EUlS10_E_NS1_11comp_targetILNS1_3genE8ELNS1_11target_archE1030ELNS1_3gpuE2ELNS1_3repE0EEENS1_48merge_mergepath_partition_config_static_selectorELNS0_4arch9wavefront6targetE1EEEvSM_
    .private_segment_fixed_size: 0
    .sgpr_count:     4
    .sgpr_spill_count: 0
    .symbol:         _ZN7rocprim17ROCPRIM_400000_NS6detail17trampoline_kernelINS0_14default_configENS1_38merge_sort_block_merge_config_selectorIlNS0_10empty_typeEEEZZNS1_27merge_sort_block_merge_implIS3_PlPS5_mZN2at6native12_GLOBAL__N_124unique_dim_cuda_templateIhEESt5tupleIJNSA_6TensorESF_SF_EERKSF_lbbbEUlllE_EE10hipError_tT0_T1_T2_jT3_P12ihipStream_tbPNSt15iterator_traitsISL_E10value_typeEPNSR_ISM_E10value_typeEPSN_NS1_7vsmem_tEENKUlT_SL_SM_SN_E_clIS8_S8_S9_S9_EESK_S10_SL_SM_SN_EUlS10_E_NS1_11comp_targetILNS1_3genE8ELNS1_11target_archE1030ELNS1_3gpuE2ELNS1_3repE0EEENS1_48merge_mergepath_partition_config_static_selectorELNS0_4arch9wavefront6targetE1EEEvSM_.kd
    .uniform_work_group_size: 1
    .uses_dynamic_stack: false
    .vgpr_count:     0
    .vgpr_spill_count: 0
    .wavefront_size: 64
  - .agpr_count:     0
    .args:
      - .offset:         0
        .size:           88
        .value_kind:     by_value
    .group_segment_fixed_size: 0
    .kernarg_segment_align: 8
    .kernarg_segment_size: 88
    .language:       OpenCL C
    .language_version:
      - 2
      - 0
    .max_flat_workgroup_size: 128
    .name:           _ZN7rocprim17ROCPRIM_400000_NS6detail17trampoline_kernelINS0_14default_configENS1_38merge_sort_block_merge_config_selectorIlNS0_10empty_typeEEEZZNS1_27merge_sort_block_merge_implIS3_PlPS5_mZN2at6native12_GLOBAL__N_124unique_dim_cuda_templateIhEESt5tupleIJNSA_6TensorESF_SF_EERKSF_lbbbEUlllE_EE10hipError_tT0_T1_T2_jT3_P12ihipStream_tbPNSt15iterator_traitsISL_E10value_typeEPNSR_ISM_E10value_typeEPSN_NS1_7vsmem_tEENKUlT_SL_SM_SN_E_clIS8_S8_S9_S9_EESK_S10_SL_SM_SN_EUlS10_E0_NS1_11comp_targetILNS1_3genE0ELNS1_11target_archE4294967295ELNS1_3gpuE0ELNS1_3repE0EEENS1_38merge_mergepath_config_static_selectorELNS0_4arch9wavefront6targetE1EEEvSM_
    .private_segment_fixed_size: 0
    .sgpr_count:     4
    .sgpr_spill_count: 0
    .symbol:         _ZN7rocprim17ROCPRIM_400000_NS6detail17trampoline_kernelINS0_14default_configENS1_38merge_sort_block_merge_config_selectorIlNS0_10empty_typeEEEZZNS1_27merge_sort_block_merge_implIS3_PlPS5_mZN2at6native12_GLOBAL__N_124unique_dim_cuda_templateIhEESt5tupleIJNSA_6TensorESF_SF_EERKSF_lbbbEUlllE_EE10hipError_tT0_T1_T2_jT3_P12ihipStream_tbPNSt15iterator_traitsISL_E10value_typeEPNSR_ISM_E10value_typeEPSN_NS1_7vsmem_tEENKUlT_SL_SM_SN_E_clIS8_S8_S9_S9_EESK_S10_SL_SM_SN_EUlS10_E0_NS1_11comp_targetILNS1_3genE0ELNS1_11target_archE4294967295ELNS1_3gpuE0ELNS1_3repE0EEENS1_38merge_mergepath_config_static_selectorELNS0_4arch9wavefront6targetE1EEEvSM_.kd
    .uniform_work_group_size: 1
    .uses_dynamic_stack: false
    .vgpr_count:     0
    .vgpr_spill_count: 0
    .wavefront_size: 64
  - .agpr_count:     0
    .args:
      - .offset:         0
        .size:           88
        .value_kind:     by_value
    .group_segment_fixed_size: 0
    .kernarg_segment_align: 8
    .kernarg_segment_size: 88
    .language:       OpenCL C
    .language_version:
      - 2
      - 0
    .max_flat_workgroup_size: 512
    .name:           _ZN7rocprim17ROCPRIM_400000_NS6detail17trampoline_kernelINS0_14default_configENS1_38merge_sort_block_merge_config_selectorIlNS0_10empty_typeEEEZZNS1_27merge_sort_block_merge_implIS3_PlPS5_mZN2at6native12_GLOBAL__N_124unique_dim_cuda_templateIhEESt5tupleIJNSA_6TensorESF_SF_EERKSF_lbbbEUlllE_EE10hipError_tT0_T1_T2_jT3_P12ihipStream_tbPNSt15iterator_traitsISL_E10value_typeEPNSR_ISM_E10value_typeEPSN_NS1_7vsmem_tEENKUlT_SL_SM_SN_E_clIS8_S8_S9_S9_EESK_S10_SL_SM_SN_EUlS10_E0_NS1_11comp_targetILNS1_3genE10ELNS1_11target_archE1201ELNS1_3gpuE5ELNS1_3repE0EEENS1_38merge_mergepath_config_static_selectorELNS0_4arch9wavefront6targetE1EEEvSM_
    .private_segment_fixed_size: 0
    .sgpr_count:     4
    .sgpr_spill_count: 0
    .symbol:         _ZN7rocprim17ROCPRIM_400000_NS6detail17trampoline_kernelINS0_14default_configENS1_38merge_sort_block_merge_config_selectorIlNS0_10empty_typeEEEZZNS1_27merge_sort_block_merge_implIS3_PlPS5_mZN2at6native12_GLOBAL__N_124unique_dim_cuda_templateIhEESt5tupleIJNSA_6TensorESF_SF_EERKSF_lbbbEUlllE_EE10hipError_tT0_T1_T2_jT3_P12ihipStream_tbPNSt15iterator_traitsISL_E10value_typeEPNSR_ISM_E10value_typeEPSN_NS1_7vsmem_tEENKUlT_SL_SM_SN_E_clIS8_S8_S9_S9_EESK_S10_SL_SM_SN_EUlS10_E0_NS1_11comp_targetILNS1_3genE10ELNS1_11target_archE1201ELNS1_3gpuE5ELNS1_3repE0EEENS1_38merge_mergepath_config_static_selectorELNS0_4arch9wavefront6targetE1EEEvSM_.kd
    .uniform_work_group_size: 1
    .uses_dynamic_stack: false
    .vgpr_count:     0
    .vgpr_spill_count: 0
    .wavefront_size: 64
  - .agpr_count:     0
    .args:
      - .offset:         0
        .size:           88
        .value_kind:     by_value
    .group_segment_fixed_size: 0
    .kernarg_segment_align: 8
    .kernarg_segment_size: 88
    .language:       OpenCL C
    .language_version:
      - 2
      - 0
    .max_flat_workgroup_size: 128
    .name:           _ZN7rocprim17ROCPRIM_400000_NS6detail17trampoline_kernelINS0_14default_configENS1_38merge_sort_block_merge_config_selectorIlNS0_10empty_typeEEEZZNS1_27merge_sort_block_merge_implIS3_PlPS5_mZN2at6native12_GLOBAL__N_124unique_dim_cuda_templateIhEESt5tupleIJNSA_6TensorESF_SF_EERKSF_lbbbEUlllE_EE10hipError_tT0_T1_T2_jT3_P12ihipStream_tbPNSt15iterator_traitsISL_E10value_typeEPNSR_ISM_E10value_typeEPSN_NS1_7vsmem_tEENKUlT_SL_SM_SN_E_clIS8_S8_S9_S9_EESK_S10_SL_SM_SN_EUlS10_E0_NS1_11comp_targetILNS1_3genE5ELNS1_11target_archE942ELNS1_3gpuE9ELNS1_3repE0EEENS1_38merge_mergepath_config_static_selectorELNS0_4arch9wavefront6targetE1EEEvSM_
    .private_segment_fixed_size: 0
    .sgpr_count:     4
    .sgpr_spill_count: 0
    .symbol:         _ZN7rocprim17ROCPRIM_400000_NS6detail17trampoline_kernelINS0_14default_configENS1_38merge_sort_block_merge_config_selectorIlNS0_10empty_typeEEEZZNS1_27merge_sort_block_merge_implIS3_PlPS5_mZN2at6native12_GLOBAL__N_124unique_dim_cuda_templateIhEESt5tupleIJNSA_6TensorESF_SF_EERKSF_lbbbEUlllE_EE10hipError_tT0_T1_T2_jT3_P12ihipStream_tbPNSt15iterator_traitsISL_E10value_typeEPNSR_ISM_E10value_typeEPSN_NS1_7vsmem_tEENKUlT_SL_SM_SN_E_clIS8_S8_S9_S9_EESK_S10_SL_SM_SN_EUlS10_E0_NS1_11comp_targetILNS1_3genE5ELNS1_11target_archE942ELNS1_3gpuE9ELNS1_3repE0EEENS1_38merge_mergepath_config_static_selectorELNS0_4arch9wavefront6targetE1EEEvSM_.kd
    .uniform_work_group_size: 1
    .uses_dynamic_stack: false
    .vgpr_count:     0
    .vgpr_spill_count: 0
    .wavefront_size: 64
  - .agpr_count:     0
    .args:
      - .offset:         0
        .size:           88
        .value_kind:     by_value
      - .offset:         88
        .size:           4
        .value_kind:     hidden_block_count_x
      - .offset:         92
        .size:           4
        .value_kind:     hidden_block_count_y
      - .offset:         96
        .size:           4
        .value_kind:     hidden_block_count_z
      - .offset:         100
        .size:           2
        .value_kind:     hidden_group_size_x
      - .offset:         102
        .size:           2
        .value_kind:     hidden_group_size_y
      - .offset:         104
        .size:           2
        .value_kind:     hidden_group_size_z
      - .offset:         106
        .size:           2
        .value_kind:     hidden_remainder_x
      - .offset:         108
        .size:           2
        .value_kind:     hidden_remainder_y
      - .offset:         110
        .size:           2
        .value_kind:     hidden_remainder_z
      - .offset:         128
        .size:           8
        .value_kind:     hidden_global_offset_x
      - .offset:         136
        .size:           8
        .value_kind:     hidden_global_offset_y
      - .offset:         144
        .size:           8
        .value_kind:     hidden_global_offset_z
      - .offset:         152
        .size:           2
        .value_kind:     hidden_grid_dims
    .group_segment_fixed_size: 8448
    .kernarg_segment_align: 8
    .kernarg_segment_size: 344
    .language:       OpenCL C
    .language_version:
      - 2
      - 0
    .max_flat_workgroup_size: 256
    .name:           _ZN7rocprim17ROCPRIM_400000_NS6detail17trampoline_kernelINS0_14default_configENS1_38merge_sort_block_merge_config_selectorIlNS0_10empty_typeEEEZZNS1_27merge_sort_block_merge_implIS3_PlPS5_mZN2at6native12_GLOBAL__N_124unique_dim_cuda_templateIhEESt5tupleIJNSA_6TensorESF_SF_EERKSF_lbbbEUlllE_EE10hipError_tT0_T1_T2_jT3_P12ihipStream_tbPNSt15iterator_traitsISL_E10value_typeEPNSR_ISM_E10value_typeEPSN_NS1_7vsmem_tEENKUlT_SL_SM_SN_E_clIS8_S8_S9_S9_EESK_S10_SL_SM_SN_EUlS10_E0_NS1_11comp_targetILNS1_3genE4ELNS1_11target_archE910ELNS1_3gpuE8ELNS1_3repE0EEENS1_38merge_mergepath_config_static_selectorELNS0_4arch9wavefront6targetE1EEEvSM_
    .private_segment_fixed_size: 0
    .sgpr_count:     50
    .sgpr_spill_count: 0
    .symbol:         _ZN7rocprim17ROCPRIM_400000_NS6detail17trampoline_kernelINS0_14default_configENS1_38merge_sort_block_merge_config_selectorIlNS0_10empty_typeEEEZZNS1_27merge_sort_block_merge_implIS3_PlPS5_mZN2at6native12_GLOBAL__N_124unique_dim_cuda_templateIhEESt5tupleIJNSA_6TensorESF_SF_EERKSF_lbbbEUlllE_EE10hipError_tT0_T1_T2_jT3_P12ihipStream_tbPNSt15iterator_traitsISL_E10value_typeEPNSR_ISM_E10value_typeEPSN_NS1_7vsmem_tEENKUlT_SL_SM_SN_E_clIS8_S8_S9_S9_EESK_S10_SL_SM_SN_EUlS10_E0_NS1_11comp_targetILNS1_3genE4ELNS1_11target_archE910ELNS1_3gpuE8ELNS1_3repE0EEENS1_38merge_mergepath_config_static_selectorELNS0_4arch9wavefront6targetE1EEEvSM_.kd
    .uniform_work_group_size: 1
    .uses_dynamic_stack: false
    .vgpr_count:     24
    .vgpr_spill_count: 0
    .wavefront_size: 64
  - .agpr_count:     0
    .args:
      - .offset:         0
        .size:           88
        .value_kind:     by_value
    .group_segment_fixed_size: 0
    .kernarg_segment_align: 8
    .kernarg_segment_size: 88
    .language:       OpenCL C
    .language_version:
      - 2
      - 0
    .max_flat_workgroup_size: 128
    .name:           _ZN7rocprim17ROCPRIM_400000_NS6detail17trampoline_kernelINS0_14default_configENS1_38merge_sort_block_merge_config_selectorIlNS0_10empty_typeEEEZZNS1_27merge_sort_block_merge_implIS3_PlPS5_mZN2at6native12_GLOBAL__N_124unique_dim_cuda_templateIhEESt5tupleIJNSA_6TensorESF_SF_EERKSF_lbbbEUlllE_EE10hipError_tT0_T1_T2_jT3_P12ihipStream_tbPNSt15iterator_traitsISL_E10value_typeEPNSR_ISM_E10value_typeEPSN_NS1_7vsmem_tEENKUlT_SL_SM_SN_E_clIS8_S8_S9_S9_EESK_S10_SL_SM_SN_EUlS10_E0_NS1_11comp_targetILNS1_3genE3ELNS1_11target_archE908ELNS1_3gpuE7ELNS1_3repE0EEENS1_38merge_mergepath_config_static_selectorELNS0_4arch9wavefront6targetE1EEEvSM_
    .private_segment_fixed_size: 0
    .sgpr_count:     4
    .sgpr_spill_count: 0
    .symbol:         _ZN7rocprim17ROCPRIM_400000_NS6detail17trampoline_kernelINS0_14default_configENS1_38merge_sort_block_merge_config_selectorIlNS0_10empty_typeEEEZZNS1_27merge_sort_block_merge_implIS3_PlPS5_mZN2at6native12_GLOBAL__N_124unique_dim_cuda_templateIhEESt5tupleIJNSA_6TensorESF_SF_EERKSF_lbbbEUlllE_EE10hipError_tT0_T1_T2_jT3_P12ihipStream_tbPNSt15iterator_traitsISL_E10value_typeEPNSR_ISM_E10value_typeEPSN_NS1_7vsmem_tEENKUlT_SL_SM_SN_E_clIS8_S8_S9_S9_EESK_S10_SL_SM_SN_EUlS10_E0_NS1_11comp_targetILNS1_3genE3ELNS1_11target_archE908ELNS1_3gpuE7ELNS1_3repE0EEENS1_38merge_mergepath_config_static_selectorELNS0_4arch9wavefront6targetE1EEEvSM_.kd
    .uniform_work_group_size: 1
    .uses_dynamic_stack: false
    .vgpr_count:     0
    .vgpr_spill_count: 0
    .wavefront_size: 64
  - .agpr_count:     0
    .args:
      - .offset:         0
        .size:           88
        .value_kind:     by_value
    .group_segment_fixed_size: 0
    .kernarg_segment_align: 8
    .kernarg_segment_size: 88
    .language:       OpenCL C
    .language_version:
      - 2
      - 0
    .max_flat_workgroup_size: 256
    .name:           _ZN7rocprim17ROCPRIM_400000_NS6detail17trampoline_kernelINS0_14default_configENS1_38merge_sort_block_merge_config_selectorIlNS0_10empty_typeEEEZZNS1_27merge_sort_block_merge_implIS3_PlPS5_mZN2at6native12_GLOBAL__N_124unique_dim_cuda_templateIhEESt5tupleIJNSA_6TensorESF_SF_EERKSF_lbbbEUlllE_EE10hipError_tT0_T1_T2_jT3_P12ihipStream_tbPNSt15iterator_traitsISL_E10value_typeEPNSR_ISM_E10value_typeEPSN_NS1_7vsmem_tEENKUlT_SL_SM_SN_E_clIS8_S8_S9_S9_EESK_S10_SL_SM_SN_EUlS10_E0_NS1_11comp_targetILNS1_3genE2ELNS1_11target_archE906ELNS1_3gpuE6ELNS1_3repE0EEENS1_38merge_mergepath_config_static_selectorELNS0_4arch9wavefront6targetE1EEEvSM_
    .private_segment_fixed_size: 0
    .sgpr_count:     4
    .sgpr_spill_count: 0
    .symbol:         _ZN7rocprim17ROCPRIM_400000_NS6detail17trampoline_kernelINS0_14default_configENS1_38merge_sort_block_merge_config_selectorIlNS0_10empty_typeEEEZZNS1_27merge_sort_block_merge_implIS3_PlPS5_mZN2at6native12_GLOBAL__N_124unique_dim_cuda_templateIhEESt5tupleIJNSA_6TensorESF_SF_EERKSF_lbbbEUlllE_EE10hipError_tT0_T1_T2_jT3_P12ihipStream_tbPNSt15iterator_traitsISL_E10value_typeEPNSR_ISM_E10value_typeEPSN_NS1_7vsmem_tEENKUlT_SL_SM_SN_E_clIS8_S8_S9_S9_EESK_S10_SL_SM_SN_EUlS10_E0_NS1_11comp_targetILNS1_3genE2ELNS1_11target_archE906ELNS1_3gpuE6ELNS1_3repE0EEENS1_38merge_mergepath_config_static_selectorELNS0_4arch9wavefront6targetE1EEEvSM_.kd
    .uniform_work_group_size: 1
    .uses_dynamic_stack: false
    .vgpr_count:     0
    .vgpr_spill_count: 0
    .wavefront_size: 64
  - .agpr_count:     0
    .args:
      - .offset:         0
        .size:           88
        .value_kind:     by_value
    .group_segment_fixed_size: 0
    .kernarg_segment_align: 8
    .kernarg_segment_size: 88
    .language:       OpenCL C
    .language_version:
      - 2
      - 0
    .max_flat_workgroup_size: 512
    .name:           _ZN7rocprim17ROCPRIM_400000_NS6detail17trampoline_kernelINS0_14default_configENS1_38merge_sort_block_merge_config_selectorIlNS0_10empty_typeEEEZZNS1_27merge_sort_block_merge_implIS3_PlPS5_mZN2at6native12_GLOBAL__N_124unique_dim_cuda_templateIhEESt5tupleIJNSA_6TensorESF_SF_EERKSF_lbbbEUlllE_EE10hipError_tT0_T1_T2_jT3_P12ihipStream_tbPNSt15iterator_traitsISL_E10value_typeEPNSR_ISM_E10value_typeEPSN_NS1_7vsmem_tEENKUlT_SL_SM_SN_E_clIS8_S8_S9_S9_EESK_S10_SL_SM_SN_EUlS10_E0_NS1_11comp_targetILNS1_3genE9ELNS1_11target_archE1100ELNS1_3gpuE3ELNS1_3repE0EEENS1_38merge_mergepath_config_static_selectorELNS0_4arch9wavefront6targetE1EEEvSM_
    .private_segment_fixed_size: 0
    .sgpr_count:     4
    .sgpr_spill_count: 0
    .symbol:         _ZN7rocprim17ROCPRIM_400000_NS6detail17trampoline_kernelINS0_14default_configENS1_38merge_sort_block_merge_config_selectorIlNS0_10empty_typeEEEZZNS1_27merge_sort_block_merge_implIS3_PlPS5_mZN2at6native12_GLOBAL__N_124unique_dim_cuda_templateIhEESt5tupleIJNSA_6TensorESF_SF_EERKSF_lbbbEUlllE_EE10hipError_tT0_T1_T2_jT3_P12ihipStream_tbPNSt15iterator_traitsISL_E10value_typeEPNSR_ISM_E10value_typeEPSN_NS1_7vsmem_tEENKUlT_SL_SM_SN_E_clIS8_S8_S9_S9_EESK_S10_SL_SM_SN_EUlS10_E0_NS1_11comp_targetILNS1_3genE9ELNS1_11target_archE1100ELNS1_3gpuE3ELNS1_3repE0EEENS1_38merge_mergepath_config_static_selectorELNS0_4arch9wavefront6targetE1EEEvSM_.kd
    .uniform_work_group_size: 1
    .uses_dynamic_stack: false
    .vgpr_count:     0
    .vgpr_spill_count: 0
    .wavefront_size: 64
  - .agpr_count:     0
    .args:
      - .offset:         0
        .size:           88
        .value_kind:     by_value
    .group_segment_fixed_size: 0
    .kernarg_segment_align: 8
    .kernarg_segment_size: 88
    .language:       OpenCL C
    .language_version:
      - 2
      - 0
    .max_flat_workgroup_size: 1024
    .name:           _ZN7rocprim17ROCPRIM_400000_NS6detail17trampoline_kernelINS0_14default_configENS1_38merge_sort_block_merge_config_selectorIlNS0_10empty_typeEEEZZNS1_27merge_sort_block_merge_implIS3_PlPS5_mZN2at6native12_GLOBAL__N_124unique_dim_cuda_templateIhEESt5tupleIJNSA_6TensorESF_SF_EERKSF_lbbbEUlllE_EE10hipError_tT0_T1_T2_jT3_P12ihipStream_tbPNSt15iterator_traitsISL_E10value_typeEPNSR_ISM_E10value_typeEPSN_NS1_7vsmem_tEENKUlT_SL_SM_SN_E_clIS8_S8_S9_S9_EESK_S10_SL_SM_SN_EUlS10_E0_NS1_11comp_targetILNS1_3genE8ELNS1_11target_archE1030ELNS1_3gpuE2ELNS1_3repE0EEENS1_38merge_mergepath_config_static_selectorELNS0_4arch9wavefront6targetE1EEEvSM_
    .private_segment_fixed_size: 0
    .sgpr_count:     4
    .sgpr_spill_count: 0
    .symbol:         _ZN7rocprim17ROCPRIM_400000_NS6detail17trampoline_kernelINS0_14default_configENS1_38merge_sort_block_merge_config_selectorIlNS0_10empty_typeEEEZZNS1_27merge_sort_block_merge_implIS3_PlPS5_mZN2at6native12_GLOBAL__N_124unique_dim_cuda_templateIhEESt5tupleIJNSA_6TensorESF_SF_EERKSF_lbbbEUlllE_EE10hipError_tT0_T1_T2_jT3_P12ihipStream_tbPNSt15iterator_traitsISL_E10value_typeEPNSR_ISM_E10value_typeEPSN_NS1_7vsmem_tEENKUlT_SL_SM_SN_E_clIS8_S8_S9_S9_EESK_S10_SL_SM_SN_EUlS10_E0_NS1_11comp_targetILNS1_3genE8ELNS1_11target_archE1030ELNS1_3gpuE2ELNS1_3repE0EEENS1_38merge_mergepath_config_static_selectorELNS0_4arch9wavefront6targetE1EEEvSM_.kd
    .uniform_work_group_size: 1
    .uses_dynamic_stack: false
    .vgpr_count:     0
    .vgpr_spill_count: 0
    .wavefront_size: 64
  - .agpr_count:     0
    .args:
      - .offset:         0
        .size:           64
        .value_kind:     by_value
    .group_segment_fixed_size: 0
    .kernarg_segment_align: 8
    .kernarg_segment_size: 64
    .language:       OpenCL C
    .language_version:
      - 2
      - 0
    .max_flat_workgroup_size: 256
    .name:           _ZN7rocprim17ROCPRIM_400000_NS6detail17trampoline_kernelINS0_14default_configENS1_38merge_sort_block_merge_config_selectorIlNS0_10empty_typeEEEZZNS1_27merge_sort_block_merge_implIS3_PlPS5_mZN2at6native12_GLOBAL__N_124unique_dim_cuda_templateIhEESt5tupleIJNSA_6TensorESF_SF_EERKSF_lbbbEUlllE_EE10hipError_tT0_T1_T2_jT3_P12ihipStream_tbPNSt15iterator_traitsISL_E10value_typeEPNSR_ISM_E10value_typeEPSN_NS1_7vsmem_tEENKUlT_SL_SM_SN_E_clIS8_S8_S9_S9_EESK_S10_SL_SM_SN_EUlS10_E1_NS1_11comp_targetILNS1_3genE0ELNS1_11target_archE4294967295ELNS1_3gpuE0ELNS1_3repE0EEENS1_36merge_oddeven_config_static_selectorELNS0_4arch9wavefront6targetE1EEEvSM_
    .private_segment_fixed_size: 0
    .sgpr_count:     4
    .sgpr_spill_count: 0
    .symbol:         _ZN7rocprim17ROCPRIM_400000_NS6detail17trampoline_kernelINS0_14default_configENS1_38merge_sort_block_merge_config_selectorIlNS0_10empty_typeEEEZZNS1_27merge_sort_block_merge_implIS3_PlPS5_mZN2at6native12_GLOBAL__N_124unique_dim_cuda_templateIhEESt5tupleIJNSA_6TensorESF_SF_EERKSF_lbbbEUlllE_EE10hipError_tT0_T1_T2_jT3_P12ihipStream_tbPNSt15iterator_traitsISL_E10value_typeEPNSR_ISM_E10value_typeEPSN_NS1_7vsmem_tEENKUlT_SL_SM_SN_E_clIS8_S8_S9_S9_EESK_S10_SL_SM_SN_EUlS10_E1_NS1_11comp_targetILNS1_3genE0ELNS1_11target_archE4294967295ELNS1_3gpuE0ELNS1_3repE0EEENS1_36merge_oddeven_config_static_selectorELNS0_4arch9wavefront6targetE1EEEvSM_.kd
    .uniform_work_group_size: 1
    .uses_dynamic_stack: false
    .vgpr_count:     0
    .vgpr_spill_count: 0
    .wavefront_size: 64
  - .agpr_count:     0
    .args:
      - .offset:         0
        .size:           64
        .value_kind:     by_value
    .group_segment_fixed_size: 0
    .kernarg_segment_align: 8
    .kernarg_segment_size: 64
    .language:       OpenCL C
    .language_version:
      - 2
      - 0
    .max_flat_workgroup_size: 256
    .name:           _ZN7rocprim17ROCPRIM_400000_NS6detail17trampoline_kernelINS0_14default_configENS1_38merge_sort_block_merge_config_selectorIlNS0_10empty_typeEEEZZNS1_27merge_sort_block_merge_implIS3_PlPS5_mZN2at6native12_GLOBAL__N_124unique_dim_cuda_templateIhEESt5tupleIJNSA_6TensorESF_SF_EERKSF_lbbbEUlllE_EE10hipError_tT0_T1_T2_jT3_P12ihipStream_tbPNSt15iterator_traitsISL_E10value_typeEPNSR_ISM_E10value_typeEPSN_NS1_7vsmem_tEENKUlT_SL_SM_SN_E_clIS8_S8_S9_S9_EESK_S10_SL_SM_SN_EUlS10_E1_NS1_11comp_targetILNS1_3genE10ELNS1_11target_archE1201ELNS1_3gpuE5ELNS1_3repE0EEENS1_36merge_oddeven_config_static_selectorELNS0_4arch9wavefront6targetE1EEEvSM_
    .private_segment_fixed_size: 0
    .sgpr_count:     4
    .sgpr_spill_count: 0
    .symbol:         _ZN7rocprim17ROCPRIM_400000_NS6detail17trampoline_kernelINS0_14default_configENS1_38merge_sort_block_merge_config_selectorIlNS0_10empty_typeEEEZZNS1_27merge_sort_block_merge_implIS3_PlPS5_mZN2at6native12_GLOBAL__N_124unique_dim_cuda_templateIhEESt5tupleIJNSA_6TensorESF_SF_EERKSF_lbbbEUlllE_EE10hipError_tT0_T1_T2_jT3_P12ihipStream_tbPNSt15iterator_traitsISL_E10value_typeEPNSR_ISM_E10value_typeEPSN_NS1_7vsmem_tEENKUlT_SL_SM_SN_E_clIS8_S8_S9_S9_EESK_S10_SL_SM_SN_EUlS10_E1_NS1_11comp_targetILNS1_3genE10ELNS1_11target_archE1201ELNS1_3gpuE5ELNS1_3repE0EEENS1_36merge_oddeven_config_static_selectorELNS0_4arch9wavefront6targetE1EEEvSM_.kd
    .uniform_work_group_size: 1
    .uses_dynamic_stack: false
    .vgpr_count:     0
    .vgpr_spill_count: 0
    .wavefront_size: 64
  - .agpr_count:     0
    .args:
      - .offset:         0
        .size:           64
        .value_kind:     by_value
    .group_segment_fixed_size: 0
    .kernarg_segment_align: 8
    .kernarg_segment_size: 64
    .language:       OpenCL C
    .language_version:
      - 2
      - 0
    .max_flat_workgroup_size: 256
    .name:           _ZN7rocprim17ROCPRIM_400000_NS6detail17trampoline_kernelINS0_14default_configENS1_38merge_sort_block_merge_config_selectorIlNS0_10empty_typeEEEZZNS1_27merge_sort_block_merge_implIS3_PlPS5_mZN2at6native12_GLOBAL__N_124unique_dim_cuda_templateIhEESt5tupleIJNSA_6TensorESF_SF_EERKSF_lbbbEUlllE_EE10hipError_tT0_T1_T2_jT3_P12ihipStream_tbPNSt15iterator_traitsISL_E10value_typeEPNSR_ISM_E10value_typeEPSN_NS1_7vsmem_tEENKUlT_SL_SM_SN_E_clIS8_S8_S9_S9_EESK_S10_SL_SM_SN_EUlS10_E1_NS1_11comp_targetILNS1_3genE5ELNS1_11target_archE942ELNS1_3gpuE9ELNS1_3repE0EEENS1_36merge_oddeven_config_static_selectorELNS0_4arch9wavefront6targetE1EEEvSM_
    .private_segment_fixed_size: 0
    .sgpr_count:     4
    .sgpr_spill_count: 0
    .symbol:         _ZN7rocprim17ROCPRIM_400000_NS6detail17trampoline_kernelINS0_14default_configENS1_38merge_sort_block_merge_config_selectorIlNS0_10empty_typeEEEZZNS1_27merge_sort_block_merge_implIS3_PlPS5_mZN2at6native12_GLOBAL__N_124unique_dim_cuda_templateIhEESt5tupleIJNSA_6TensorESF_SF_EERKSF_lbbbEUlllE_EE10hipError_tT0_T1_T2_jT3_P12ihipStream_tbPNSt15iterator_traitsISL_E10value_typeEPNSR_ISM_E10value_typeEPSN_NS1_7vsmem_tEENKUlT_SL_SM_SN_E_clIS8_S8_S9_S9_EESK_S10_SL_SM_SN_EUlS10_E1_NS1_11comp_targetILNS1_3genE5ELNS1_11target_archE942ELNS1_3gpuE9ELNS1_3repE0EEENS1_36merge_oddeven_config_static_selectorELNS0_4arch9wavefront6targetE1EEEvSM_.kd
    .uniform_work_group_size: 1
    .uses_dynamic_stack: false
    .vgpr_count:     0
    .vgpr_spill_count: 0
    .wavefront_size: 64
  - .agpr_count:     0
    .args:
      - .offset:         0
        .size:           64
        .value_kind:     by_value
    .group_segment_fixed_size: 0
    .kernarg_segment_align: 8
    .kernarg_segment_size: 64
    .language:       OpenCL C
    .language_version:
      - 2
      - 0
    .max_flat_workgroup_size: 256
    .name:           _ZN7rocprim17ROCPRIM_400000_NS6detail17trampoline_kernelINS0_14default_configENS1_38merge_sort_block_merge_config_selectorIlNS0_10empty_typeEEEZZNS1_27merge_sort_block_merge_implIS3_PlPS5_mZN2at6native12_GLOBAL__N_124unique_dim_cuda_templateIhEESt5tupleIJNSA_6TensorESF_SF_EERKSF_lbbbEUlllE_EE10hipError_tT0_T1_T2_jT3_P12ihipStream_tbPNSt15iterator_traitsISL_E10value_typeEPNSR_ISM_E10value_typeEPSN_NS1_7vsmem_tEENKUlT_SL_SM_SN_E_clIS8_S8_S9_S9_EESK_S10_SL_SM_SN_EUlS10_E1_NS1_11comp_targetILNS1_3genE4ELNS1_11target_archE910ELNS1_3gpuE8ELNS1_3repE0EEENS1_36merge_oddeven_config_static_selectorELNS0_4arch9wavefront6targetE1EEEvSM_
    .private_segment_fixed_size: 0
    .sgpr_count:     48
    .sgpr_spill_count: 0
    .symbol:         _ZN7rocprim17ROCPRIM_400000_NS6detail17trampoline_kernelINS0_14default_configENS1_38merge_sort_block_merge_config_selectorIlNS0_10empty_typeEEEZZNS1_27merge_sort_block_merge_implIS3_PlPS5_mZN2at6native12_GLOBAL__N_124unique_dim_cuda_templateIhEESt5tupleIJNSA_6TensorESF_SF_EERKSF_lbbbEUlllE_EE10hipError_tT0_T1_T2_jT3_P12ihipStream_tbPNSt15iterator_traitsISL_E10value_typeEPNSR_ISM_E10value_typeEPSN_NS1_7vsmem_tEENKUlT_SL_SM_SN_E_clIS8_S8_S9_S9_EESK_S10_SL_SM_SN_EUlS10_E1_NS1_11comp_targetILNS1_3genE4ELNS1_11target_archE910ELNS1_3gpuE8ELNS1_3repE0EEENS1_36merge_oddeven_config_static_selectorELNS0_4arch9wavefront6targetE1EEEvSM_.kd
    .uniform_work_group_size: 1
    .uses_dynamic_stack: false
    .vgpr_count:     20
    .vgpr_spill_count: 0
    .wavefront_size: 64
  - .agpr_count:     0
    .args:
      - .offset:         0
        .size:           64
        .value_kind:     by_value
    .group_segment_fixed_size: 0
    .kernarg_segment_align: 8
    .kernarg_segment_size: 64
    .language:       OpenCL C
    .language_version:
      - 2
      - 0
    .max_flat_workgroup_size: 256
    .name:           _ZN7rocprim17ROCPRIM_400000_NS6detail17trampoline_kernelINS0_14default_configENS1_38merge_sort_block_merge_config_selectorIlNS0_10empty_typeEEEZZNS1_27merge_sort_block_merge_implIS3_PlPS5_mZN2at6native12_GLOBAL__N_124unique_dim_cuda_templateIhEESt5tupleIJNSA_6TensorESF_SF_EERKSF_lbbbEUlllE_EE10hipError_tT0_T1_T2_jT3_P12ihipStream_tbPNSt15iterator_traitsISL_E10value_typeEPNSR_ISM_E10value_typeEPSN_NS1_7vsmem_tEENKUlT_SL_SM_SN_E_clIS8_S8_S9_S9_EESK_S10_SL_SM_SN_EUlS10_E1_NS1_11comp_targetILNS1_3genE3ELNS1_11target_archE908ELNS1_3gpuE7ELNS1_3repE0EEENS1_36merge_oddeven_config_static_selectorELNS0_4arch9wavefront6targetE1EEEvSM_
    .private_segment_fixed_size: 0
    .sgpr_count:     4
    .sgpr_spill_count: 0
    .symbol:         _ZN7rocprim17ROCPRIM_400000_NS6detail17trampoline_kernelINS0_14default_configENS1_38merge_sort_block_merge_config_selectorIlNS0_10empty_typeEEEZZNS1_27merge_sort_block_merge_implIS3_PlPS5_mZN2at6native12_GLOBAL__N_124unique_dim_cuda_templateIhEESt5tupleIJNSA_6TensorESF_SF_EERKSF_lbbbEUlllE_EE10hipError_tT0_T1_T2_jT3_P12ihipStream_tbPNSt15iterator_traitsISL_E10value_typeEPNSR_ISM_E10value_typeEPSN_NS1_7vsmem_tEENKUlT_SL_SM_SN_E_clIS8_S8_S9_S9_EESK_S10_SL_SM_SN_EUlS10_E1_NS1_11comp_targetILNS1_3genE3ELNS1_11target_archE908ELNS1_3gpuE7ELNS1_3repE0EEENS1_36merge_oddeven_config_static_selectorELNS0_4arch9wavefront6targetE1EEEvSM_.kd
    .uniform_work_group_size: 1
    .uses_dynamic_stack: false
    .vgpr_count:     0
    .vgpr_spill_count: 0
    .wavefront_size: 64
  - .agpr_count:     0
    .args:
      - .offset:         0
        .size:           64
        .value_kind:     by_value
    .group_segment_fixed_size: 0
    .kernarg_segment_align: 8
    .kernarg_segment_size: 64
    .language:       OpenCL C
    .language_version:
      - 2
      - 0
    .max_flat_workgroup_size: 256
    .name:           _ZN7rocprim17ROCPRIM_400000_NS6detail17trampoline_kernelINS0_14default_configENS1_38merge_sort_block_merge_config_selectorIlNS0_10empty_typeEEEZZNS1_27merge_sort_block_merge_implIS3_PlPS5_mZN2at6native12_GLOBAL__N_124unique_dim_cuda_templateIhEESt5tupleIJNSA_6TensorESF_SF_EERKSF_lbbbEUlllE_EE10hipError_tT0_T1_T2_jT3_P12ihipStream_tbPNSt15iterator_traitsISL_E10value_typeEPNSR_ISM_E10value_typeEPSN_NS1_7vsmem_tEENKUlT_SL_SM_SN_E_clIS8_S8_S9_S9_EESK_S10_SL_SM_SN_EUlS10_E1_NS1_11comp_targetILNS1_3genE2ELNS1_11target_archE906ELNS1_3gpuE6ELNS1_3repE0EEENS1_36merge_oddeven_config_static_selectorELNS0_4arch9wavefront6targetE1EEEvSM_
    .private_segment_fixed_size: 0
    .sgpr_count:     4
    .sgpr_spill_count: 0
    .symbol:         _ZN7rocprim17ROCPRIM_400000_NS6detail17trampoline_kernelINS0_14default_configENS1_38merge_sort_block_merge_config_selectorIlNS0_10empty_typeEEEZZNS1_27merge_sort_block_merge_implIS3_PlPS5_mZN2at6native12_GLOBAL__N_124unique_dim_cuda_templateIhEESt5tupleIJNSA_6TensorESF_SF_EERKSF_lbbbEUlllE_EE10hipError_tT0_T1_T2_jT3_P12ihipStream_tbPNSt15iterator_traitsISL_E10value_typeEPNSR_ISM_E10value_typeEPSN_NS1_7vsmem_tEENKUlT_SL_SM_SN_E_clIS8_S8_S9_S9_EESK_S10_SL_SM_SN_EUlS10_E1_NS1_11comp_targetILNS1_3genE2ELNS1_11target_archE906ELNS1_3gpuE6ELNS1_3repE0EEENS1_36merge_oddeven_config_static_selectorELNS0_4arch9wavefront6targetE1EEEvSM_.kd
    .uniform_work_group_size: 1
    .uses_dynamic_stack: false
    .vgpr_count:     0
    .vgpr_spill_count: 0
    .wavefront_size: 64
  - .agpr_count:     0
    .args:
      - .offset:         0
        .size:           64
        .value_kind:     by_value
    .group_segment_fixed_size: 0
    .kernarg_segment_align: 8
    .kernarg_segment_size: 64
    .language:       OpenCL C
    .language_version:
      - 2
      - 0
    .max_flat_workgroup_size: 256
    .name:           _ZN7rocprim17ROCPRIM_400000_NS6detail17trampoline_kernelINS0_14default_configENS1_38merge_sort_block_merge_config_selectorIlNS0_10empty_typeEEEZZNS1_27merge_sort_block_merge_implIS3_PlPS5_mZN2at6native12_GLOBAL__N_124unique_dim_cuda_templateIhEESt5tupleIJNSA_6TensorESF_SF_EERKSF_lbbbEUlllE_EE10hipError_tT0_T1_T2_jT3_P12ihipStream_tbPNSt15iterator_traitsISL_E10value_typeEPNSR_ISM_E10value_typeEPSN_NS1_7vsmem_tEENKUlT_SL_SM_SN_E_clIS8_S8_S9_S9_EESK_S10_SL_SM_SN_EUlS10_E1_NS1_11comp_targetILNS1_3genE9ELNS1_11target_archE1100ELNS1_3gpuE3ELNS1_3repE0EEENS1_36merge_oddeven_config_static_selectorELNS0_4arch9wavefront6targetE1EEEvSM_
    .private_segment_fixed_size: 0
    .sgpr_count:     4
    .sgpr_spill_count: 0
    .symbol:         _ZN7rocprim17ROCPRIM_400000_NS6detail17trampoline_kernelINS0_14default_configENS1_38merge_sort_block_merge_config_selectorIlNS0_10empty_typeEEEZZNS1_27merge_sort_block_merge_implIS3_PlPS5_mZN2at6native12_GLOBAL__N_124unique_dim_cuda_templateIhEESt5tupleIJNSA_6TensorESF_SF_EERKSF_lbbbEUlllE_EE10hipError_tT0_T1_T2_jT3_P12ihipStream_tbPNSt15iterator_traitsISL_E10value_typeEPNSR_ISM_E10value_typeEPSN_NS1_7vsmem_tEENKUlT_SL_SM_SN_E_clIS8_S8_S9_S9_EESK_S10_SL_SM_SN_EUlS10_E1_NS1_11comp_targetILNS1_3genE9ELNS1_11target_archE1100ELNS1_3gpuE3ELNS1_3repE0EEENS1_36merge_oddeven_config_static_selectorELNS0_4arch9wavefront6targetE1EEEvSM_.kd
    .uniform_work_group_size: 1
    .uses_dynamic_stack: false
    .vgpr_count:     0
    .vgpr_spill_count: 0
    .wavefront_size: 64
  - .agpr_count:     0
    .args:
      - .offset:         0
        .size:           64
        .value_kind:     by_value
    .group_segment_fixed_size: 0
    .kernarg_segment_align: 8
    .kernarg_segment_size: 64
    .language:       OpenCL C
    .language_version:
      - 2
      - 0
    .max_flat_workgroup_size: 256
    .name:           _ZN7rocprim17ROCPRIM_400000_NS6detail17trampoline_kernelINS0_14default_configENS1_38merge_sort_block_merge_config_selectorIlNS0_10empty_typeEEEZZNS1_27merge_sort_block_merge_implIS3_PlPS5_mZN2at6native12_GLOBAL__N_124unique_dim_cuda_templateIhEESt5tupleIJNSA_6TensorESF_SF_EERKSF_lbbbEUlllE_EE10hipError_tT0_T1_T2_jT3_P12ihipStream_tbPNSt15iterator_traitsISL_E10value_typeEPNSR_ISM_E10value_typeEPSN_NS1_7vsmem_tEENKUlT_SL_SM_SN_E_clIS8_S8_S9_S9_EESK_S10_SL_SM_SN_EUlS10_E1_NS1_11comp_targetILNS1_3genE8ELNS1_11target_archE1030ELNS1_3gpuE2ELNS1_3repE0EEENS1_36merge_oddeven_config_static_selectorELNS0_4arch9wavefront6targetE1EEEvSM_
    .private_segment_fixed_size: 0
    .sgpr_count:     4
    .sgpr_spill_count: 0
    .symbol:         _ZN7rocprim17ROCPRIM_400000_NS6detail17trampoline_kernelINS0_14default_configENS1_38merge_sort_block_merge_config_selectorIlNS0_10empty_typeEEEZZNS1_27merge_sort_block_merge_implIS3_PlPS5_mZN2at6native12_GLOBAL__N_124unique_dim_cuda_templateIhEESt5tupleIJNSA_6TensorESF_SF_EERKSF_lbbbEUlllE_EE10hipError_tT0_T1_T2_jT3_P12ihipStream_tbPNSt15iterator_traitsISL_E10value_typeEPNSR_ISM_E10value_typeEPSN_NS1_7vsmem_tEENKUlT_SL_SM_SN_E_clIS8_S8_S9_S9_EESK_S10_SL_SM_SN_EUlS10_E1_NS1_11comp_targetILNS1_3genE8ELNS1_11target_archE1030ELNS1_3gpuE2ELNS1_3repE0EEENS1_36merge_oddeven_config_static_selectorELNS0_4arch9wavefront6targetE1EEEvSM_.kd
    .uniform_work_group_size: 1
    .uses_dynamic_stack: false
    .vgpr_count:     0
    .vgpr_spill_count: 0
    .wavefront_size: 64
  - .agpr_count:     0
    .args:
      - .offset:         0
        .size:           40
        .value_kind:     by_value
    .group_segment_fixed_size: 0
    .kernarg_segment_align: 8
    .kernarg_segment_size: 40
    .language:       OpenCL C
    .language_version:
      - 2
      - 0
    .max_flat_workgroup_size: 128
    .name:           _ZN7rocprim17ROCPRIM_400000_NS6detail17trampoline_kernelINS0_14default_configENS1_25transform_config_selectorIlLb1EEEZNS1_14transform_implILb1ES3_S5_PlS7_NS0_8identityIlEEEE10hipError_tT2_T3_mT4_P12ihipStream_tbEUlT_E_NS1_11comp_targetILNS1_3genE0ELNS1_11target_archE4294967295ELNS1_3gpuE0ELNS1_3repE0EEENS1_30default_config_static_selectorELNS0_4arch9wavefront6targetE1EEEvT1_
    .private_segment_fixed_size: 0
    .sgpr_count:     4
    .sgpr_spill_count: 0
    .symbol:         _ZN7rocprim17ROCPRIM_400000_NS6detail17trampoline_kernelINS0_14default_configENS1_25transform_config_selectorIlLb1EEEZNS1_14transform_implILb1ES3_S5_PlS7_NS0_8identityIlEEEE10hipError_tT2_T3_mT4_P12ihipStream_tbEUlT_E_NS1_11comp_targetILNS1_3genE0ELNS1_11target_archE4294967295ELNS1_3gpuE0ELNS1_3repE0EEENS1_30default_config_static_selectorELNS0_4arch9wavefront6targetE1EEEvT1_.kd
    .uniform_work_group_size: 1
    .uses_dynamic_stack: false
    .vgpr_count:     0
    .vgpr_spill_count: 0
    .wavefront_size: 64
  - .agpr_count:     0
    .args:
      - .offset:         0
        .size:           40
        .value_kind:     by_value
    .group_segment_fixed_size: 0
    .kernarg_segment_align: 8
    .kernarg_segment_size: 40
    .language:       OpenCL C
    .language_version:
      - 2
      - 0
    .max_flat_workgroup_size: 1024
    .name:           _ZN7rocprim17ROCPRIM_400000_NS6detail17trampoline_kernelINS0_14default_configENS1_25transform_config_selectorIlLb1EEEZNS1_14transform_implILb1ES3_S5_PlS7_NS0_8identityIlEEEE10hipError_tT2_T3_mT4_P12ihipStream_tbEUlT_E_NS1_11comp_targetILNS1_3genE10ELNS1_11target_archE1201ELNS1_3gpuE5ELNS1_3repE0EEENS1_30default_config_static_selectorELNS0_4arch9wavefront6targetE1EEEvT1_
    .private_segment_fixed_size: 0
    .sgpr_count:     4
    .sgpr_spill_count: 0
    .symbol:         _ZN7rocprim17ROCPRIM_400000_NS6detail17trampoline_kernelINS0_14default_configENS1_25transform_config_selectorIlLb1EEEZNS1_14transform_implILb1ES3_S5_PlS7_NS0_8identityIlEEEE10hipError_tT2_T3_mT4_P12ihipStream_tbEUlT_E_NS1_11comp_targetILNS1_3genE10ELNS1_11target_archE1201ELNS1_3gpuE5ELNS1_3repE0EEENS1_30default_config_static_selectorELNS0_4arch9wavefront6targetE1EEEvT1_.kd
    .uniform_work_group_size: 1
    .uses_dynamic_stack: false
    .vgpr_count:     0
    .vgpr_spill_count: 0
    .wavefront_size: 64
  - .agpr_count:     0
    .args:
      - .offset:         0
        .size:           40
        .value_kind:     by_value
    .group_segment_fixed_size: 0
    .kernarg_segment_align: 8
    .kernarg_segment_size: 40
    .language:       OpenCL C
    .language_version:
      - 2
      - 0
    .max_flat_workgroup_size: 512
    .name:           _ZN7rocprim17ROCPRIM_400000_NS6detail17trampoline_kernelINS0_14default_configENS1_25transform_config_selectorIlLb1EEEZNS1_14transform_implILb1ES3_S5_PlS7_NS0_8identityIlEEEE10hipError_tT2_T3_mT4_P12ihipStream_tbEUlT_E_NS1_11comp_targetILNS1_3genE5ELNS1_11target_archE942ELNS1_3gpuE9ELNS1_3repE0EEENS1_30default_config_static_selectorELNS0_4arch9wavefront6targetE1EEEvT1_
    .private_segment_fixed_size: 0
    .sgpr_count:     4
    .sgpr_spill_count: 0
    .symbol:         _ZN7rocprim17ROCPRIM_400000_NS6detail17trampoline_kernelINS0_14default_configENS1_25transform_config_selectorIlLb1EEEZNS1_14transform_implILb1ES3_S5_PlS7_NS0_8identityIlEEEE10hipError_tT2_T3_mT4_P12ihipStream_tbEUlT_E_NS1_11comp_targetILNS1_3genE5ELNS1_11target_archE942ELNS1_3gpuE9ELNS1_3repE0EEENS1_30default_config_static_selectorELNS0_4arch9wavefront6targetE1EEEvT1_.kd
    .uniform_work_group_size: 1
    .uses_dynamic_stack: false
    .vgpr_count:     0
    .vgpr_spill_count: 0
    .wavefront_size: 64
  - .agpr_count:     0
    .args:
      - .offset:         0
        .size:           40
        .value_kind:     by_value
      - .offset:         40
        .size:           4
        .value_kind:     hidden_block_count_x
      - .offset:         44
        .size:           4
        .value_kind:     hidden_block_count_y
      - .offset:         48
        .size:           4
        .value_kind:     hidden_block_count_z
      - .offset:         52
        .size:           2
        .value_kind:     hidden_group_size_x
      - .offset:         54
        .size:           2
        .value_kind:     hidden_group_size_y
      - .offset:         56
        .size:           2
        .value_kind:     hidden_group_size_z
      - .offset:         58
        .size:           2
        .value_kind:     hidden_remainder_x
      - .offset:         60
        .size:           2
        .value_kind:     hidden_remainder_y
      - .offset:         62
        .size:           2
        .value_kind:     hidden_remainder_z
      - .offset:         80
        .size:           8
        .value_kind:     hidden_global_offset_x
      - .offset:         88
        .size:           8
        .value_kind:     hidden_global_offset_y
      - .offset:         96
        .size:           8
        .value_kind:     hidden_global_offset_z
      - .offset:         104
        .size:           2
        .value_kind:     hidden_grid_dims
    .group_segment_fixed_size: 0
    .kernarg_segment_align: 8
    .kernarg_segment_size: 296
    .language:       OpenCL C
    .language_version:
      - 2
      - 0
    .max_flat_workgroup_size: 1024
    .name:           _ZN7rocprim17ROCPRIM_400000_NS6detail17trampoline_kernelINS0_14default_configENS1_25transform_config_selectorIlLb1EEEZNS1_14transform_implILb1ES3_S5_PlS7_NS0_8identityIlEEEE10hipError_tT2_T3_mT4_P12ihipStream_tbEUlT_E_NS1_11comp_targetILNS1_3genE4ELNS1_11target_archE910ELNS1_3gpuE8ELNS1_3repE0EEENS1_30default_config_static_selectorELNS0_4arch9wavefront6targetE1EEEvT1_
    .private_segment_fixed_size: 0
    .sgpr_count:     20
    .sgpr_spill_count: 0
    .symbol:         _ZN7rocprim17ROCPRIM_400000_NS6detail17trampoline_kernelINS0_14default_configENS1_25transform_config_selectorIlLb1EEEZNS1_14transform_implILb1ES3_S5_PlS7_NS0_8identityIlEEEE10hipError_tT2_T3_mT4_P12ihipStream_tbEUlT_E_NS1_11comp_targetILNS1_3genE4ELNS1_11target_archE910ELNS1_3gpuE8ELNS1_3repE0EEENS1_30default_config_static_selectorELNS0_4arch9wavefront6targetE1EEEvT1_.kd
    .uniform_work_group_size: 1
    .uses_dynamic_stack: false
    .vgpr_count:     7
    .vgpr_spill_count: 0
    .wavefront_size: 64
  - .agpr_count:     0
    .args:
      - .offset:         0
        .size:           40
        .value_kind:     by_value
    .group_segment_fixed_size: 0
    .kernarg_segment_align: 8
    .kernarg_segment_size: 40
    .language:       OpenCL C
    .language_version:
      - 2
      - 0
    .max_flat_workgroup_size: 128
    .name:           _ZN7rocprim17ROCPRIM_400000_NS6detail17trampoline_kernelINS0_14default_configENS1_25transform_config_selectorIlLb1EEEZNS1_14transform_implILb1ES3_S5_PlS7_NS0_8identityIlEEEE10hipError_tT2_T3_mT4_P12ihipStream_tbEUlT_E_NS1_11comp_targetILNS1_3genE3ELNS1_11target_archE908ELNS1_3gpuE7ELNS1_3repE0EEENS1_30default_config_static_selectorELNS0_4arch9wavefront6targetE1EEEvT1_
    .private_segment_fixed_size: 0
    .sgpr_count:     4
    .sgpr_spill_count: 0
    .symbol:         _ZN7rocprim17ROCPRIM_400000_NS6detail17trampoline_kernelINS0_14default_configENS1_25transform_config_selectorIlLb1EEEZNS1_14transform_implILb1ES3_S5_PlS7_NS0_8identityIlEEEE10hipError_tT2_T3_mT4_P12ihipStream_tbEUlT_E_NS1_11comp_targetILNS1_3genE3ELNS1_11target_archE908ELNS1_3gpuE7ELNS1_3repE0EEENS1_30default_config_static_selectorELNS0_4arch9wavefront6targetE1EEEvT1_.kd
    .uniform_work_group_size: 1
    .uses_dynamic_stack: false
    .vgpr_count:     0
    .vgpr_spill_count: 0
    .wavefront_size: 64
  - .agpr_count:     0
    .args:
      - .offset:         0
        .size:           40
        .value_kind:     by_value
    .group_segment_fixed_size: 0
    .kernarg_segment_align: 8
    .kernarg_segment_size: 40
    .language:       OpenCL C
    .language_version:
      - 2
      - 0
    .max_flat_workgroup_size: 512
    .name:           _ZN7rocprim17ROCPRIM_400000_NS6detail17trampoline_kernelINS0_14default_configENS1_25transform_config_selectorIlLb1EEEZNS1_14transform_implILb1ES3_S5_PlS7_NS0_8identityIlEEEE10hipError_tT2_T3_mT4_P12ihipStream_tbEUlT_E_NS1_11comp_targetILNS1_3genE2ELNS1_11target_archE906ELNS1_3gpuE6ELNS1_3repE0EEENS1_30default_config_static_selectorELNS0_4arch9wavefront6targetE1EEEvT1_
    .private_segment_fixed_size: 0
    .sgpr_count:     4
    .sgpr_spill_count: 0
    .symbol:         _ZN7rocprim17ROCPRIM_400000_NS6detail17trampoline_kernelINS0_14default_configENS1_25transform_config_selectorIlLb1EEEZNS1_14transform_implILb1ES3_S5_PlS7_NS0_8identityIlEEEE10hipError_tT2_T3_mT4_P12ihipStream_tbEUlT_E_NS1_11comp_targetILNS1_3genE2ELNS1_11target_archE906ELNS1_3gpuE6ELNS1_3repE0EEENS1_30default_config_static_selectorELNS0_4arch9wavefront6targetE1EEEvT1_.kd
    .uniform_work_group_size: 1
    .uses_dynamic_stack: false
    .vgpr_count:     0
    .vgpr_spill_count: 0
    .wavefront_size: 64
  - .agpr_count:     0
    .args:
      - .offset:         0
        .size:           40
        .value_kind:     by_value
    .group_segment_fixed_size: 0
    .kernarg_segment_align: 8
    .kernarg_segment_size: 40
    .language:       OpenCL C
    .language_version:
      - 2
      - 0
    .max_flat_workgroup_size: 1024
    .name:           _ZN7rocprim17ROCPRIM_400000_NS6detail17trampoline_kernelINS0_14default_configENS1_25transform_config_selectorIlLb1EEEZNS1_14transform_implILb1ES3_S5_PlS7_NS0_8identityIlEEEE10hipError_tT2_T3_mT4_P12ihipStream_tbEUlT_E_NS1_11comp_targetILNS1_3genE9ELNS1_11target_archE1100ELNS1_3gpuE3ELNS1_3repE0EEENS1_30default_config_static_selectorELNS0_4arch9wavefront6targetE1EEEvT1_
    .private_segment_fixed_size: 0
    .sgpr_count:     4
    .sgpr_spill_count: 0
    .symbol:         _ZN7rocprim17ROCPRIM_400000_NS6detail17trampoline_kernelINS0_14default_configENS1_25transform_config_selectorIlLb1EEEZNS1_14transform_implILb1ES3_S5_PlS7_NS0_8identityIlEEEE10hipError_tT2_T3_mT4_P12ihipStream_tbEUlT_E_NS1_11comp_targetILNS1_3genE9ELNS1_11target_archE1100ELNS1_3gpuE3ELNS1_3repE0EEENS1_30default_config_static_selectorELNS0_4arch9wavefront6targetE1EEEvT1_.kd
    .uniform_work_group_size: 1
    .uses_dynamic_stack: false
    .vgpr_count:     0
    .vgpr_spill_count: 0
    .wavefront_size: 64
  - .agpr_count:     0
    .args:
      - .offset:         0
        .size:           40
        .value_kind:     by_value
    .group_segment_fixed_size: 0
    .kernarg_segment_align: 8
    .kernarg_segment_size: 40
    .language:       OpenCL C
    .language_version:
      - 2
      - 0
    .max_flat_workgroup_size: 1024
    .name:           _ZN7rocprim17ROCPRIM_400000_NS6detail17trampoline_kernelINS0_14default_configENS1_25transform_config_selectorIlLb1EEEZNS1_14transform_implILb1ES3_S5_PlS7_NS0_8identityIlEEEE10hipError_tT2_T3_mT4_P12ihipStream_tbEUlT_E_NS1_11comp_targetILNS1_3genE8ELNS1_11target_archE1030ELNS1_3gpuE2ELNS1_3repE0EEENS1_30default_config_static_selectorELNS0_4arch9wavefront6targetE1EEEvT1_
    .private_segment_fixed_size: 0
    .sgpr_count:     4
    .sgpr_spill_count: 0
    .symbol:         _ZN7rocprim17ROCPRIM_400000_NS6detail17trampoline_kernelINS0_14default_configENS1_25transform_config_selectorIlLb1EEEZNS1_14transform_implILb1ES3_S5_PlS7_NS0_8identityIlEEEE10hipError_tT2_T3_mT4_P12ihipStream_tbEUlT_E_NS1_11comp_targetILNS1_3genE8ELNS1_11target_archE1030ELNS1_3gpuE2ELNS1_3repE0EEENS1_30default_config_static_selectorELNS0_4arch9wavefront6targetE1EEEvT1_.kd
    .uniform_work_group_size: 1
    .uses_dynamic_stack: false
    .vgpr_count:     0
    .vgpr_spill_count: 0
    .wavefront_size: 64
  - .agpr_count:     0
    .args:
      - .offset:         0
        .size:           40
        .value_kind:     by_value
    .group_segment_fixed_size: 0
    .kernarg_segment_align: 8
    .kernarg_segment_size: 40
    .language:       OpenCL C
    .language_version:
      - 2
      - 0
    .max_flat_workgroup_size: 128
    .name:           _ZN7rocprim17ROCPRIM_400000_NS6detail17trampoline_kernelINS0_14default_configENS1_25transform_config_selectorINS0_10empty_typeELb1EEEZNS1_14transform_implILb1ES3_S6_PS5_S8_NS0_8identityIS5_EEEE10hipError_tT2_T3_mT4_P12ihipStream_tbEUlT_E_NS1_11comp_targetILNS1_3genE0ELNS1_11target_archE4294967295ELNS1_3gpuE0ELNS1_3repE0EEENS1_30default_config_static_selectorELNS0_4arch9wavefront6targetE1EEEvT1_
    .private_segment_fixed_size: 0
    .sgpr_count:     4
    .sgpr_spill_count: 0
    .symbol:         _ZN7rocprim17ROCPRIM_400000_NS6detail17trampoline_kernelINS0_14default_configENS1_25transform_config_selectorINS0_10empty_typeELb1EEEZNS1_14transform_implILb1ES3_S6_PS5_S8_NS0_8identityIS5_EEEE10hipError_tT2_T3_mT4_P12ihipStream_tbEUlT_E_NS1_11comp_targetILNS1_3genE0ELNS1_11target_archE4294967295ELNS1_3gpuE0ELNS1_3repE0EEENS1_30default_config_static_selectorELNS0_4arch9wavefront6targetE1EEEvT1_.kd
    .uniform_work_group_size: 1
    .uses_dynamic_stack: false
    .vgpr_count:     0
    .vgpr_spill_count: 0
    .wavefront_size: 64
  - .agpr_count:     0
    .args:
      - .offset:         0
        .size:           40
        .value_kind:     by_value
    .group_segment_fixed_size: 0
    .kernarg_segment_align: 8
    .kernarg_segment_size: 40
    .language:       OpenCL C
    .language_version:
      - 2
      - 0
    .max_flat_workgroup_size: 1024
    .name:           _ZN7rocprim17ROCPRIM_400000_NS6detail17trampoline_kernelINS0_14default_configENS1_25transform_config_selectorINS0_10empty_typeELb1EEEZNS1_14transform_implILb1ES3_S6_PS5_S8_NS0_8identityIS5_EEEE10hipError_tT2_T3_mT4_P12ihipStream_tbEUlT_E_NS1_11comp_targetILNS1_3genE10ELNS1_11target_archE1201ELNS1_3gpuE5ELNS1_3repE0EEENS1_30default_config_static_selectorELNS0_4arch9wavefront6targetE1EEEvT1_
    .private_segment_fixed_size: 0
    .sgpr_count:     4
    .sgpr_spill_count: 0
    .symbol:         _ZN7rocprim17ROCPRIM_400000_NS6detail17trampoline_kernelINS0_14default_configENS1_25transform_config_selectorINS0_10empty_typeELb1EEEZNS1_14transform_implILb1ES3_S6_PS5_S8_NS0_8identityIS5_EEEE10hipError_tT2_T3_mT4_P12ihipStream_tbEUlT_E_NS1_11comp_targetILNS1_3genE10ELNS1_11target_archE1201ELNS1_3gpuE5ELNS1_3repE0EEENS1_30default_config_static_selectorELNS0_4arch9wavefront6targetE1EEEvT1_.kd
    .uniform_work_group_size: 1
    .uses_dynamic_stack: false
    .vgpr_count:     0
    .vgpr_spill_count: 0
    .wavefront_size: 64
  - .agpr_count:     0
    .args:
      - .offset:         0
        .size:           40
        .value_kind:     by_value
    .group_segment_fixed_size: 0
    .kernarg_segment_align: 8
    .kernarg_segment_size: 40
    .language:       OpenCL C
    .language_version:
      - 2
      - 0
    .max_flat_workgroup_size: 256
    .name:           _ZN7rocprim17ROCPRIM_400000_NS6detail17trampoline_kernelINS0_14default_configENS1_25transform_config_selectorINS0_10empty_typeELb1EEEZNS1_14transform_implILb1ES3_S6_PS5_S8_NS0_8identityIS5_EEEE10hipError_tT2_T3_mT4_P12ihipStream_tbEUlT_E_NS1_11comp_targetILNS1_3genE5ELNS1_11target_archE942ELNS1_3gpuE9ELNS1_3repE0EEENS1_30default_config_static_selectorELNS0_4arch9wavefront6targetE1EEEvT1_
    .private_segment_fixed_size: 0
    .sgpr_count:     4
    .sgpr_spill_count: 0
    .symbol:         _ZN7rocprim17ROCPRIM_400000_NS6detail17trampoline_kernelINS0_14default_configENS1_25transform_config_selectorINS0_10empty_typeELb1EEEZNS1_14transform_implILb1ES3_S6_PS5_S8_NS0_8identityIS5_EEEE10hipError_tT2_T3_mT4_P12ihipStream_tbEUlT_E_NS1_11comp_targetILNS1_3genE5ELNS1_11target_archE942ELNS1_3gpuE9ELNS1_3repE0EEENS1_30default_config_static_selectorELNS0_4arch9wavefront6targetE1EEEvT1_.kd
    .uniform_work_group_size: 1
    .uses_dynamic_stack: false
    .vgpr_count:     0
    .vgpr_spill_count: 0
    .wavefront_size: 64
  - .agpr_count:     0
    .args:
      - .offset:         0
        .size:           40
        .value_kind:     by_value
    .group_segment_fixed_size: 0
    .kernarg_segment_align: 8
    .kernarg_segment_size: 40
    .language:       OpenCL C
    .language_version:
      - 2
      - 0
    .max_flat_workgroup_size: 1024
    .name:           _ZN7rocprim17ROCPRIM_400000_NS6detail17trampoline_kernelINS0_14default_configENS1_25transform_config_selectorINS0_10empty_typeELb1EEEZNS1_14transform_implILb1ES3_S6_PS5_S8_NS0_8identityIS5_EEEE10hipError_tT2_T3_mT4_P12ihipStream_tbEUlT_E_NS1_11comp_targetILNS1_3genE4ELNS1_11target_archE910ELNS1_3gpuE8ELNS1_3repE0EEENS1_30default_config_static_selectorELNS0_4arch9wavefront6targetE1EEEvT1_
    .private_segment_fixed_size: 0
    .sgpr_count:     4
    .sgpr_spill_count: 0
    .symbol:         _ZN7rocprim17ROCPRIM_400000_NS6detail17trampoline_kernelINS0_14default_configENS1_25transform_config_selectorINS0_10empty_typeELb1EEEZNS1_14transform_implILb1ES3_S6_PS5_S8_NS0_8identityIS5_EEEE10hipError_tT2_T3_mT4_P12ihipStream_tbEUlT_E_NS1_11comp_targetILNS1_3genE4ELNS1_11target_archE910ELNS1_3gpuE8ELNS1_3repE0EEENS1_30default_config_static_selectorELNS0_4arch9wavefront6targetE1EEEvT1_.kd
    .uniform_work_group_size: 1
    .uses_dynamic_stack: false
    .vgpr_count:     0
    .vgpr_spill_count: 0
    .wavefront_size: 64
  - .agpr_count:     0
    .args:
      - .offset:         0
        .size:           40
        .value_kind:     by_value
    .group_segment_fixed_size: 0
    .kernarg_segment_align: 8
    .kernarg_segment_size: 40
    .language:       OpenCL C
    .language_version:
      - 2
      - 0
    .max_flat_workgroup_size: 128
    .name:           _ZN7rocprim17ROCPRIM_400000_NS6detail17trampoline_kernelINS0_14default_configENS1_25transform_config_selectorINS0_10empty_typeELb1EEEZNS1_14transform_implILb1ES3_S6_PS5_S8_NS0_8identityIS5_EEEE10hipError_tT2_T3_mT4_P12ihipStream_tbEUlT_E_NS1_11comp_targetILNS1_3genE3ELNS1_11target_archE908ELNS1_3gpuE7ELNS1_3repE0EEENS1_30default_config_static_selectorELNS0_4arch9wavefront6targetE1EEEvT1_
    .private_segment_fixed_size: 0
    .sgpr_count:     4
    .sgpr_spill_count: 0
    .symbol:         _ZN7rocprim17ROCPRIM_400000_NS6detail17trampoline_kernelINS0_14default_configENS1_25transform_config_selectorINS0_10empty_typeELb1EEEZNS1_14transform_implILb1ES3_S6_PS5_S8_NS0_8identityIS5_EEEE10hipError_tT2_T3_mT4_P12ihipStream_tbEUlT_E_NS1_11comp_targetILNS1_3genE3ELNS1_11target_archE908ELNS1_3gpuE7ELNS1_3repE0EEENS1_30default_config_static_selectorELNS0_4arch9wavefront6targetE1EEEvT1_.kd
    .uniform_work_group_size: 1
    .uses_dynamic_stack: false
    .vgpr_count:     0
    .vgpr_spill_count: 0
    .wavefront_size: 64
  - .agpr_count:     0
    .args:
      - .offset:         0
        .size:           40
        .value_kind:     by_value
    .group_segment_fixed_size: 0
    .kernarg_segment_align: 8
    .kernarg_segment_size: 40
    .language:       OpenCL C
    .language_version:
      - 2
      - 0
    .max_flat_workgroup_size: 512
    .name:           _ZN7rocprim17ROCPRIM_400000_NS6detail17trampoline_kernelINS0_14default_configENS1_25transform_config_selectorINS0_10empty_typeELb1EEEZNS1_14transform_implILb1ES3_S6_PS5_S8_NS0_8identityIS5_EEEE10hipError_tT2_T3_mT4_P12ihipStream_tbEUlT_E_NS1_11comp_targetILNS1_3genE2ELNS1_11target_archE906ELNS1_3gpuE6ELNS1_3repE0EEENS1_30default_config_static_selectorELNS0_4arch9wavefront6targetE1EEEvT1_
    .private_segment_fixed_size: 0
    .sgpr_count:     4
    .sgpr_spill_count: 0
    .symbol:         _ZN7rocprim17ROCPRIM_400000_NS6detail17trampoline_kernelINS0_14default_configENS1_25transform_config_selectorINS0_10empty_typeELb1EEEZNS1_14transform_implILb1ES3_S6_PS5_S8_NS0_8identityIS5_EEEE10hipError_tT2_T3_mT4_P12ihipStream_tbEUlT_E_NS1_11comp_targetILNS1_3genE2ELNS1_11target_archE906ELNS1_3gpuE6ELNS1_3repE0EEENS1_30default_config_static_selectorELNS0_4arch9wavefront6targetE1EEEvT1_.kd
    .uniform_work_group_size: 1
    .uses_dynamic_stack: false
    .vgpr_count:     0
    .vgpr_spill_count: 0
    .wavefront_size: 64
  - .agpr_count:     0
    .args:
      - .offset:         0
        .size:           40
        .value_kind:     by_value
    .group_segment_fixed_size: 0
    .kernarg_segment_align: 8
    .kernarg_segment_size: 40
    .language:       OpenCL C
    .language_version:
      - 2
      - 0
    .max_flat_workgroup_size: 1024
    .name:           _ZN7rocprim17ROCPRIM_400000_NS6detail17trampoline_kernelINS0_14default_configENS1_25transform_config_selectorINS0_10empty_typeELb1EEEZNS1_14transform_implILb1ES3_S6_PS5_S8_NS0_8identityIS5_EEEE10hipError_tT2_T3_mT4_P12ihipStream_tbEUlT_E_NS1_11comp_targetILNS1_3genE9ELNS1_11target_archE1100ELNS1_3gpuE3ELNS1_3repE0EEENS1_30default_config_static_selectorELNS0_4arch9wavefront6targetE1EEEvT1_
    .private_segment_fixed_size: 0
    .sgpr_count:     4
    .sgpr_spill_count: 0
    .symbol:         _ZN7rocprim17ROCPRIM_400000_NS6detail17trampoline_kernelINS0_14default_configENS1_25transform_config_selectorINS0_10empty_typeELb1EEEZNS1_14transform_implILb1ES3_S6_PS5_S8_NS0_8identityIS5_EEEE10hipError_tT2_T3_mT4_P12ihipStream_tbEUlT_E_NS1_11comp_targetILNS1_3genE9ELNS1_11target_archE1100ELNS1_3gpuE3ELNS1_3repE0EEENS1_30default_config_static_selectorELNS0_4arch9wavefront6targetE1EEEvT1_.kd
    .uniform_work_group_size: 1
    .uses_dynamic_stack: false
    .vgpr_count:     0
    .vgpr_spill_count: 0
    .wavefront_size: 64
  - .agpr_count:     0
    .args:
      - .offset:         0
        .size:           40
        .value_kind:     by_value
    .group_segment_fixed_size: 0
    .kernarg_segment_align: 8
    .kernarg_segment_size: 40
    .language:       OpenCL C
    .language_version:
      - 2
      - 0
    .max_flat_workgroup_size: 1024
    .name:           _ZN7rocprim17ROCPRIM_400000_NS6detail17trampoline_kernelINS0_14default_configENS1_25transform_config_selectorINS0_10empty_typeELb1EEEZNS1_14transform_implILb1ES3_S6_PS5_S8_NS0_8identityIS5_EEEE10hipError_tT2_T3_mT4_P12ihipStream_tbEUlT_E_NS1_11comp_targetILNS1_3genE8ELNS1_11target_archE1030ELNS1_3gpuE2ELNS1_3repE0EEENS1_30default_config_static_selectorELNS0_4arch9wavefront6targetE1EEEvT1_
    .private_segment_fixed_size: 0
    .sgpr_count:     4
    .sgpr_spill_count: 0
    .symbol:         _ZN7rocprim17ROCPRIM_400000_NS6detail17trampoline_kernelINS0_14default_configENS1_25transform_config_selectorINS0_10empty_typeELb1EEEZNS1_14transform_implILb1ES3_S6_PS5_S8_NS0_8identityIS5_EEEE10hipError_tT2_T3_mT4_P12ihipStream_tbEUlT_E_NS1_11comp_targetILNS1_3genE8ELNS1_11target_archE1030ELNS1_3gpuE2ELNS1_3repE0EEENS1_30default_config_static_selectorELNS0_4arch9wavefront6targetE1EEEvT1_.kd
    .uniform_work_group_size: 1
    .uses_dynamic_stack: false
    .vgpr_count:     0
    .vgpr_spill_count: 0
    .wavefront_size: 64
  - .agpr_count:     0
    .args:
      - .offset:         0
        .size:           64
        .value_kind:     by_value
    .group_segment_fixed_size: 0
    .kernarg_segment_align: 8
    .kernarg_segment_size: 64
    .language:       OpenCL C
    .language_version:
      - 2
      - 0
    .max_flat_workgroup_size: 128
    .name:           _ZN7rocprim17ROCPRIM_400000_NS6detail17trampoline_kernelINS0_14default_configENS1_35adjacent_difference_config_selectorILb0ElEEZNS1_24adjacent_difference_implIS3_Lb0ELb0EPlS7_ZN2at6native12_GLOBAL__N_124unique_dim_cuda_templateIhEESt5tupleIJNS8_6TensorESD_SD_EERKSD_lbbbEUlllE1_EE10hipError_tPvRmT2_T3_mT4_P12ihipStream_tbEUlT_E_NS1_11comp_targetILNS1_3genE0ELNS1_11target_archE4294967295ELNS1_3gpuE0ELNS1_3repE0EEENS1_30default_config_static_selectorELNS0_4arch9wavefront6targetE1EEEvT1_
    .private_segment_fixed_size: 0
    .sgpr_count:     4
    .sgpr_spill_count: 0
    .symbol:         _ZN7rocprim17ROCPRIM_400000_NS6detail17trampoline_kernelINS0_14default_configENS1_35adjacent_difference_config_selectorILb0ElEEZNS1_24adjacent_difference_implIS3_Lb0ELb0EPlS7_ZN2at6native12_GLOBAL__N_124unique_dim_cuda_templateIhEESt5tupleIJNS8_6TensorESD_SD_EERKSD_lbbbEUlllE1_EE10hipError_tPvRmT2_T3_mT4_P12ihipStream_tbEUlT_E_NS1_11comp_targetILNS1_3genE0ELNS1_11target_archE4294967295ELNS1_3gpuE0ELNS1_3repE0EEENS1_30default_config_static_selectorELNS0_4arch9wavefront6targetE1EEEvT1_.kd
    .uniform_work_group_size: 1
    .uses_dynamic_stack: false
    .vgpr_count:     0
    .vgpr_spill_count: 0
    .wavefront_size: 64
  - .agpr_count:     0
    .args:
      - .offset:         0
        .size:           64
        .value_kind:     by_value
    .group_segment_fixed_size: 0
    .kernarg_segment_align: 8
    .kernarg_segment_size: 64
    .language:       OpenCL C
    .language_version:
      - 2
      - 0
    .max_flat_workgroup_size: 128
    .name:           _ZN7rocprim17ROCPRIM_400000_NS6detail17trampoline_kernelINS0_14default_configENS1_35adjacent_difference_config_selectorILb0ElEEZNS1_24adjacent_difference_implIS3_Lb0ELb0EPlS7_ZN2at6native12_GLOBAL__N_124unique_dim_cuda_templateIhEESt5tupleIJNS8_6TensorESD_SD_EERKSD_lbbbEUlllE1_EE10hipError_tPvRmT2_T3_mT4_P12ihipStream_tbEUlT_E_NS1_11comp_targetILNS1_3genE10ELNS1_11target_archE1201ELNS1_3gpuE5ELNS1_3repE0EEENS1_30default_config_static_selectorELNS0_4arch9wavefront6targetE1EEEvT1_
    .private_segment_fixed_size: 0
    .sgpr_count:     4
    .sgpr_spill_count: 0
    .symbol:         _ZN7rocprim17ROCPRIM_400000_NS6detail17trampoline_kernelINS0_14default_configENS1_35adjacent_difference_config_selectorILb0ElEEZNS1_24adjacent_difference_implIS3_Lb0ELb0EPlS7_ZN2at6native12_GLOBAL__N_124unique_dim_cuda_templateIhEESt5tupleIJNS8_6TensorESD_SD_EERKSD_lbbbEUlllE1_EE10hipError_tPvRmT2_T3_mT4_P12ihipStream_tbEUlT_E_NS1_11comp_targetILNS1_3genE10ELNS1_11target_archE1201ELNS1_3gpuE5ELNS1_3repE0EEENS1_30default_config_static_selectorELNS0_4arch9wavefront6targetE1EEEvT1_.kd
    .uniform_work_group_size: 1
    .uses_dynamic_stack: false
    .vgpr_count:     0
    .vgpr_spill_count: 0
    .wavefront_size: 64
  - .agpr_count:     0
    .args:
      - .offset:         0
        .size:           64
        .value_kind:     by_value
    .group_segment_fixed_size: 0
    .kernarg_segment_align: 8
    .kernarg_segment_size: 64
    .language:       OpenCL C
    .language_version:
      - 2
      - 0
    .max_flat_workgroup_size: 64
    .name:           _ZN7rocprim17ROCPRIM_400000_NS6detail17trampoline_kernelINS0_14default_configENS1_35adjacent_difference_config_selectorILb0ElEEZNS1_24adjacent_difference_implIS3_Lb0ELb0EPlS7_ZN2at6native12_GLOBAL__N_124unique_dim_cuda_templateIhEESt5tupleIJNS8_6TensorESD_SD_EERKSD_lbbbEUlllE1_EE10hipError_tPvRmT2_T3_mT4_P12ihipStream_tbEUlT_E_NS1_11comp_targetILNS1_3genE5ELNS1_11target_archE942ELNS1_3gpuE9ELNS1_3repE0EEENS1_30default_config_static_selectorELNS0_4arch9wavefront6targetE1EEEvT1_
    .private_segment_fixed_size: 0
    .sgpr_count:     4
    .sgpr_spill_count: 0
    .symbol:         _ZN7rocprim17ROCPRIM_400000_NS6detail17trampoline_kernelINS0_14default_configENS1_35adjacent_difference_config_selectorILb0ElEEZNS1_24adjacent_difference_implIS3_Lb0ELb0EPlS7_ZN2at6native12_GLOBAL__N_124unique_dim_cuda_templateIhEESt5tupleIJNS8_6TensorESD_SD_EERKSD_lbbbEUlllE1_EE10hipError_tPvRmT2_T3_mT4_P12ihipStream_tbEUlT_E_NS1_11comp_targetILNS1_3genE5ELNS1_11target_archE942ELNS1_3gpuE9ELNS1_3repE0EEENS1_30default_config_static_selectorELNS0_4arch9wavefront6targetE1EEEvT1_.kd
    .uniform_work_group_size: 1
    .uses_dynamic_stack: false
    .vgpr_count:     0
    .vgpr_spill_count: 0
    .wavefront_size: 64
  - .agpr_count:     0
    .args:
      - .offset:         0
        .size:           64
        .value_kind:     by_value
    .group_segment_fixed_size: 4224
    .kernarg_segment_align: 8
    .kernarg_segment_size: 64
    .language:       OpenCL C
    .language_version:
      - 2
      - 0
    .max_flat_workgroup_size: 256
    .name:           _ZN7rocprim17ROCPRIM_400000_NS6detail17trampoline_kernelINS0_14default_configENS1_35adjacent_difference_config_selectorILb0ElEEZNS1_24adjacent_difference_implIS3_Lb0ELb0EPlS7_ZN2at6native12_GLOBAL__N_124unique_dim_cuda_templateIhEESt5tupleIJNS8_6TensorESD_SD_EERKSD_lbbbEUlllE1_EE10hipError_tPvRmT2_T3_mT4_P12ihipStream_tbEUlT_E_NS1_11comp_targetILNS1_3genE4ELNS1_11target_archE910ELNS1_3gpuE8ELNS1_3repE0EEENS1_30default_config_static_selectorELNS0_4arch9wavefront6targetE1EEEvT1_
    .private_segment_fixed_size: 0
    .sgpr_count:     42
    .sgpr_spill_count: 0
    .symbol:         _ZN7rocprim17ROCPRIM_400000_NS6detail17trampoline_kernelINS0_14default_configENS1_35adjacent_difference_config_selectorILb0ElEEZNS1_24adjacent_difference_implIS3_Lb0ELb0EPlS7_ZN2at6native12_GLOBAL__N_124unique_dim_cuda_templateIhEESt5tupleIJNS8_6TensorESD_SD_EERKSD_lbbbEUlllE1_EE10hipError_tPvRmT2_T3_mT4_P12ihipStream_tbEUlT_E_NS1_11comp_targetILNS1_3genE4ELNS1_11target_archE910ELNS1_3gpuE8ELNS1_3repE0EEENS1_30default_config_static_selectorELNS0_4arch9wavefront6targetE1EEEvT1_.kd
    .uniform_work_group_size: 1
    .uses_dynamic_stack: false
    .vgpr_count:     18
    .vgpr_spill_count: 0
    .wavefront_size: 64
  - .agpr_count:     0
    .args:
      - .offset:         0
        .size:           64
        .value_kind:     by_value
    .group_segment_fixed_size: 0
    .kernarg_segment_align: 8
    .kernarg_segment_size: 64
    .language:       OpenCL C
    .language_version:
      - 2
      - 0
    .max_flat_workgroup_size: 128
    .name:           _ZN7rocprim17ROCPRIM_400000_NS6detail17trampoline_kernelINS0_14default_configENS1_35adjacent_difference_config_selectorILb0ElEEZNS1_24adjacent_difference_implIS3_Lb0ELb0EPlS7_ZN2at6native12_GLOBAL__N_124unique_dim_cuda_templateIhEESt5tupleIJNS8_6TensorESD_SD_EERKSD_lbbbEUlllE1_EE10hipError_tPvRmT2_T3_mT4_P12ihipStream_tbEUlT_E_NS1_11comp_targetILNS1_3genE3ELNS1_11target_archE908ELNS1_3gpuE7ELNS1_3repE0EEENS1_30default_config_static_selectorELNS0_4arch9wavefront6targetE1EEEvT1_
    .private_segment_fixed_size: 0
    .sgpr_count:     4
    .sgpr_spill_count: 0
    .symbol:         _ZN7rocprim17ROCPRIM_400000_NS6detail17trampoline_kernelINS0_14default_configENS1_35adjacent_difference_config_selectorILb0ElEEZNS1_24adjacent_difference_implIS3_Lb0ELb0EPlS7_ZN2at6native12_GLOBAL__N_124unique_dim_cuda_templateIhEESt5tupleIJNS8_6TensorESD_SD_EERKSD_lbbbEUlllE1_EE10hipError_tPvRmT2_T3_mT4_P12ihipStream_tbEUlT_E_NS1_11comp_targetILNS1_3genE3ELNS1_11target_archE908ELNS1_3gpuE7ELNS1_3repE0EEENS1_30default_config_static_selectorELNS0_4arch9wavefront6targetE1EEEvT1_.kd
    .uniform_work_group_size: 1
    .uses_dynamic_stack: false
    .vgpr_count:     0
    .vgpr_spill_count: 0
    .wavefront_size: 64
  - .agpr_count:     0
    .args:
      - .offset:         0
        .size:           64
        .value_kind:     by_value
    .group_segment_fixed_size: 0
    .kernarg_segment_align: 8
    .kernarg_segment_size: 64
    .language:       OpenCL C
    .language_version:
      - 2
      - 0
    .max_flat_workgroup_size: 128
    .name:           _ZN7rocprim17ROCPRIM_400000_NS6detail17trampoline_kernelINS0_14default_configENS1_35adjacent_difference_config_selectorILb0ElEEZNS1_24adjacent_difference_implIS3_Lb0ELb0EPlS7_ZN2at6native12_GLOBAL__N_124unique_dim_cuda_templateIhEESt5tupleIJNS8_6TensorESD_SD_EERKSD_lbbbEUlllE1_EE10hipError_tPvRmT2_T3_mT4_P12ihipStream_tbEUlT_E_NS1_11comp_targetILNS1_3genE2ELNS1_11target_archE906ELNS1_3gpuE6ELNS1_3repE0EEENS1_30default_config_static_selectorELNS0_4arch9wavefront6targetE1EEEvT1_
    .private_segment_fixed_size: 0
    .sgpr_count:     4
    .sgpr_spill_count: 0
    .symbol:         _ZN7rocprim17ROCPRIM_400000_NS6detail17trampoline_kernelINS0_14default_configENS1_35adjacent_difference_config_selectorILb0ElEEZNS1_24adjacent_difference_implIS3_Lb0ELb0EPlS7_ZN2at6native12_GLOBAL__N_124unique_dim_cuda_templateIhEESt5tupleIJNS8_6TensorESD_SD_EERKSD_lbbbEUlllE1_EE10hipError_tPvRmT2_T3_mT4_P12ihipStream_tbEUlT_E_NS1_11comp_targetILNS1_3genE2ELNS1_11target_archE906ELNS1_3gpuE6ELNS1_3repE0EEENS1_30default_config_static_selectorELNS0_4arch9wavefront6targetE1EEEvT1_.kd
    .uniform_work_group_size: 1
    .uses_dynamic_stack: false
    .vgpr_count:     0
    .vgpr_spill_count: 0
    .wavefront_size: 64
  - .agpr_count:     0
    .args:
      - .offset:         0
        .size:           64
        .value_kind:     by_value
    .group_segment_fixed_size: 0
    .kernarg_segment_align: 8
    .kernarg_segment_size: 64
    .language:       OpenCL C
    .language_version:
      - 2
      - 0
    .max_flat_workgroup_size: 512
    .name:           _ZN7rocprim17ROCPRIM_400000_NS6detail17trampoline_kernelINS0_14default_configENS1_35adjacent_difference_config_selectorILb0ElEEZNS1_24adjacent_difference_implIS3_Lb0ELb0EPlS7_ZN2at6native12_GLOBAL__N_124unique_dim_cuda_templateIhEESt5tupleIJNS8_6TensorESD_SD_EERKSD_lbbbEUlllE1_EE10hipError_tPvRmT2_T3_mT4_P12ihipStream_tbEUlT_E_NS1_11comp_targetILNS1_3genE9ELNS1_11target_archE1100ELNS1_3gpuE3ELNS1_3repE0EEENS1_30default_config_static_selectorELNS0_4arch9wavefront6targetE1EEEvT1_
    .private_segment_fixed_size: 0
    .sgpr_count:     4
    .sgpr_spill_count: 0
    .symbol:         _ZN7rocprim17ROCPRIM_400000_NS6detail17trampoline_kernelINS0_14default_configENS1_35adjacent_difference_config_selectorILb0ElEEZNS1_24adjacent_difference_implIS3_Lb0ELb0EPlS7_ZN2at6native12_GLOBAL__N_124unique_dim_cuda_templateIhEESt5tupleIJNS8_6TensorESD_SD_EERKSD_lbbbEUlllE1_EE10hipError_tPvRmT2_T3_mT4_P12ihipStream_tbEUlT_E_NS1_11comp_targetILNS1_3genE9ELNS1_11target_archE1100ELNS1_3gpuE3ELNS1_3repE0EEENS1_30default_config_static_selectorELNS0_4arch9wavefront6targetE1EEEvT1_.kd
    .uniform_work_group_size: 1
    .uses_dynamic_stack: false
    .vgpr_count:     0
    .vgpr_spill_count: 0
    .wavefront_size: 64
  - .agpr_count:     0
    .args:
      - .offset:         0
        .size:           64
        .value_kind:     by_value
    .group_segment_fixed_size: 0
    .kernarg_segment_align: 8
    .kernarg_segment_size: 64
    .language:       OpenCL C
    .language_version:
      - 2
      - 0
    .max_flat_workgroup_size: 1024
    .name:           _ZN7rocprim17ROCPRIM_400000_NS6detail17trampoline_kernelINS0_14default_configENS1_35adjacent_difference_config_selectorILb0ElEEZNS1_24adjacent_difference_implIS3_Lb0ELb0EPlS7_ZN2at6native12_GLOBAL__N_124unique_dim_cuda_templateIhEESt5tupleIJNS8_6TensorESD_SD_EERKSD_lbbbEUlllE1_EE10hipError_tPvRmT2_T3_mT4_P12ihipStream_tbEUlT_E_NS1_11comp_targetILNS1_3genE8ELNS1_11target_archE1030ELNS1_3gpuE2ELNS1_3repE0EEENS1_30default_config_static_selectorELNS0_4arch9wavefront6targetE1EEEvT1_
    .private_segment_fixed_size: 0
    .sgpr_count:     4
    .sgpr_spill_count: 0
    .symbol:         _ZN7rocprim17ROCPRIM_400000_NS6detail17trampoline_kernelINS0_14default_configENS1_35adjacent_difference_config_selectorILb0ElEEZNS1_24adjacent_difference_implIS3_Lb0ELb0EPlS7_ZN2at6native12_GLOBAL__N_124unique_dim_cuda_templateIhEESt5tupleIJNS8_6TensorESD_SD_EERKSD_lbbbEUlllE1_EE10hipError_tPvRmT2_T3_mT4_P12ihipStream_tbEUlT_E_NS1_11comp_targetILNS1_3genE8ELNS1_11target_archE1030ELNS1_3gpuE2ELNS1_3repE0EEENS1_30default_config_static_selectorELNS0_4arch9wavefront6targetE1EEEvT1_.kd
    .uniform_work_group_size: 1
    .uses_dynamic_stack: false
    .vgpr_count:     0
    .vgpr_spill_count: 0
    .wavefront_size: 64
  - .agpr_count:     0
    .args:
      - .offset:         0
        .size:           56
        .value_kind:     by_value
    .group_segment_fixed_size: 0
    .kernarg_segment_align: 8
    .kernarg_segment_size: 56
    .language:       OpenCL C
    .language_version:
      - 2
      - 0
    .max_flat_workgroup_size: 128
    .name:           _ZN7rocprim17ROCPRIM_400000_NS6detail17trampoline_kernelINS0_14default_configENS1_25transform_config_selectorIlLb0EEEZNS1_14transform_implILb0ES3_S5_NS0_18transform_iteratorINS0_17counting_iteratorImlEEZNS1_24adjacent_difference_implIS3_Lb1ELb0EPlSB_ZN2at6native12_GLOBAL__N_124unique_dim_cuda_templateIhEESt5tupleIJNSC_6TensorESH_SH_EERKSH_lbbbEUlllE1_EE10hipError_tPvRmT2_T3_mT4_P12ihipStream_tbEUlmE_lEESB_NS0_8identityIvEEEESM_SP_SQ_mSR_ST_bEUlT_E_NS1_11comp_targetILNS1_3genE0ELNS1_11target_archE4294967295ELNS1_3gpuE0ELNS1_3repE0EEENS1_30default_config_static_selectorELNS0_4arch9wavefront6targetE1EEEvT1_
    .private_segment_fixed_size: 0
    .sgpr_count:     4
    .sgpr_spill_count: 0
    .symbol:         _ZN7rocprim17ROCPRIM_400000_NS6detail17trampoline_kernelINS0_14default_configENS1_25transform_config_selectorIlLb0EEEZNS1_14transform_implILb0ES3_S5_NS0_18transform_iteratorINS0_17counting_iteratorImlEEZNS1_24adjacent_difference_implIS3_Lb1ELb0EPlSB_ZN2at6native12_GLOBAL__N_124unique_dim_cuda_templateIhEESt5tupleIJNSC_6TensorESH_SH_EERKSH_lbbbEUlllE1_EE10hipError_tPvRmT2_T3_mT4_P12ihipStream_tbEUlmE_lEESB_NS0_8identityIvEEEESM_SP_SQ_mSR_ST_bEUlT_E_NS1_11comp_targetILNS1_3genE0ELNS1_11target_archE4294967295ELNS1_3gpuE0ELNS1_3repE0EEENS1_30default_config_static_selectorELNS0_4arch9wavefront6targetE1EEEvT1_.kd
    .uniform_work_group_size: 1
    .uses_dynamic_stack: false
    .vgpr_count:     0
    .vgpr_spill_count: 0
    .wavefront_size: 64
  - .agpr_count:     0
    .args:
      - .offset:         0
        .size:           56
        .value_kind:     by_value
    .group_segment_fixed_size: 0
    .kernarg_segment_align: 8
    .kernarg_segment_size: 56
    .language:       OpenCL C
    .language_version:
      - 2
      - 0
    .max_flat_workgroup_size: 512
    .name:           _ZN7rocprim17ROCPRIM_400000_NS6detail17trampoline_kernelINS0_14default_configENS1_25transform_config_selectorIlLb0EEEZNS1_14transform_implILb0ES3_S5_NS0_18transform_iteratorINS0_17counting_iteratorImlEEZNS1_24adjacent_difference_implIS3_Lb1ELb0EPlSB_ZN2at6native12_GLOBAL__N_124unique_dim_cuda_templateIhEESt5tupleIJNSC_6TensorESH_SH_EERKSH_lbbbEUlllE1_EE10hipError_tPvRmT2_T3_mT4_P12ihipStream_tbEUlmE_lEESB_NS0_8identityIvEEEESM_SP_SQ_mSR_ST_bEUlT_E_NS1_11comp_targetILNS1_3genE5ELNS1_11target_archE942ELNS1_3gpuE9ELNS1_3repE0EEENS1_30default_config_static_selectorELNS0_4arch9wavefront6targetE1EEEvT1_
    .private_segment_fixed_size: 0
    .sgpr_count:     4
    .sgpr_spill_count: 0
    .symbol:         _ZN7rocprim17ROCPRIM_400000_NS6detail17trampoline_kernelINS0_14default_configENS1_25transform_config_selectorIlLb0EEEZNS1_14transform_implILb0ES3_S5_NS0_18transform_iteratorINS0_17counting_iteratorImlEEZNS1_24adjacent_difference_implIS3_Lb1ELb0EPlSB_ZN2at6native12_GLOBAL__N_124unique_dim_cuda_templateIhEESt5tupleIJNSC_6TensorESH_SH_EERKSH_lbbbEUlllE1_EE10hipError_tPvRmT2_T3_mT4_P12ihipStream_tbEUlmE_lEESB_NS0_8identityIvEEEESM_SP_SQ_mSR_ST_bEUlT_E_NS1_11comp_targetILNS1_3genE5ELNS1_11target_archE942ELNS1_3gpuE9ELNS1_3repE0EEENS1_30default_config_static_selectorELNS0_4arch9wavefront6targetE1EEEvT1_.kd
    .uniform_work_group_size: 1
    .uses_dynamic_stack: false
    .vgpr_count:     0
    .vgpr_spill_count: 0
    .wavefront_size: 64
  - .agpr_count:     0
    .args:
      - .offset:         0
        .size:           56
        .value_kind:     by_value
      - .offset:         56
        .size:           4
        .value_kind:     hidden_block_count_x
      - .offset:         60
        .size:           4
        .value_kind:     hidden_block_count_y
      - .offset:         64
        .size:           4
        .value_kind:     hidden_block_count_z
      - .offset:         68
        .size:           2
        .value_kind:     hidden_group_size_x
      - .offset:         70
        .size:           2
        .value_kind:     hidden_group_size_y
      - .offset:         72
        .size:           2
        .value_kind:     hidden_group_size_z
      - .offset:         74
        .size:           2
        .value_kind:     hidden_remainder_x
      - .offset:         76
        .size:           2
        .value_kind:     hidden_remainder_y
      - .offset:         78
        .size:           2
        .value_kind:     hidden_remainder_z
      - .offset:         96
        .size:           8
        .value_kind:     hidden_global_offset_x
      - .offset:         104
        .size:           8
        .value_kind:     hidden_global_offset_y
      - .offset:         112
        .size:           8
        .value_kind:     hidden_global_offset_z
      - .offset:         120
        .size:           2
        .value_kind:     hidden_grid_dims
    .group_segment_fixed_size: 0
    .kernarg_segment_align: 8
    .kernarg_segment_size: 312
    .language:       OpenCL C
    .language_version:
      - 2
      - 0
    .max_flat_workgroup_size: 256
    .name:           _ZN7rocprim17ROCPRIM_400000_NS6detail17trampoline_kernelINS0_14default_configENS1_25transform_config_selectorIlLb0EEEZNS1_14transform_implILb0ES3_S5_NS0_18transform_iteratorINS0_17counting_iteratorImlEEZNS1_24adjacent_difference_implIS3_Lb1ELb0EPlSB_ZN2at6native12_GLOBAL__N_124unique_dim_cuda_templateIhEESt5tupleIJNSC_6TensorESH_SH_EERKSH_lbbbEUlllE1_EE10hipError_tPvRmT2_T3_mT4_P12ihipStream_tbEUlmE_lEESB_NS0_8identityIvEEEESM_SP_SQ_mSR_ST_bEUlT_E_NS1_11comp_targetILNS1_3genE4ELNS1_11target_archE910ELNS1_3gpuE8ELNS1_3repE0EEENS1_30default_config_static_selectorELNS0_4arch9wavefront6targetE1EEEvT1_
    .private_segment_fixed_size: 0
    .sgpr_count:     22
    .sgpr_spill_count: 0
    .symbol:         _ZN7rocprim17ROCPRIM_400000_NS6detail17trampoline_kernelINS0_14default_configENS1_25transform_config_selectorIlLb0EEEZNS1_14transform_implILb0ES3_S5_NS0_18transform_iteratorINS0_17counting_iteratorImlEEZNS1_24adjacent_difference_implIS3_Lb1ELb0EPlSB_ZN2at6native12_GLOBAL__N_124unique_dim_cuda_templateIhEESt5tupleIJNSC_6TensorESH_SH_EERKSH_lbbbEUlllE1_EE10hipError_tPvRmT2_T3_mT4_P12ihipStream_tbEUlmE_lEESB_NS0_8identityIvEEEESM_SP_SQ_mSR_ST_bEUlT_E_NS1_11comp_targetILNS1_3genE4ELNS1_11target_archE910ELNS1_3gpuE8ELNS1_3repE0EEENS1_30default_config_static_selectorELNS0_4arch9wavefront6targetE1EEEvT1_.kd
    .uniform_work_group_size: 1
    .uses_dynamic_stack: false
    .vgpr_count:     10
    .vgpr_spill_count: 0
    .wavefront_size: 64
  - .agpr_count:     0
    .args:
      - .offset:         0
        .size:           56
        .value_kind:     by_value
    .group_segment_fixed_size: 0
    .kernarg_segment_align: 8
    .kernarg_segment_size: 56
    .language:       OpenCL C
    .language_version:
      - 2
      - 0
    .max_flat_workgroup_size: 128
    .name:           _ZN7rocprim17ROCPRIM_400000_NS6detail17trampoline_kernelINS0_14default_configENS1_25transform_config_selectorIlLb0EEEZNS1_14transform_implILb0ES3_S5_NS0_18transform_iteratorINS0_17counting_iteratorImlEEZNS1_24adjacent_difference_implIS3_Lb1ELb0EPlSB_ZN2at6native12_GLOBAL__N_124unique_dim_cuda_templateIhEESt5tupleIJNSC_6TensorESH_SH_EERKSH_lbbbEUlllE1_EE10hipError_tPvRmT2_T3_mT4_P12ihipStream_tbEUlmE_lEESB_NS0_8identityIvEEEESM_SP_SQ_mSR_ST_bEUlT_E_NS1_11comp_targetILNS1_3genE3ELNS1_11target_archE908ELNS1_3gpuE7ELNS1_3repE0EEENS1_30default_config_static_selectorELNS0_4arch9wavefront6targetE1EEEvT1_
    .private_segment_fixed_size: 0
    .sgpr_count:     4
    .sgpr_spill_count: 0
    .symbol:         _ZN7rocprim17ROCPRIM_400000_NS6detail17trampoline_kernelINS0_14default_configENS1_25transform_config_selectorIlLb0EEEZNS1_14transform_implILb0ES3_S5_NS0_18transform_iteratorINS0_17counting_iteratorImlEEZNS1_24adjacent_difference_implIS3_Lb1ELb0EPlSB_ZN2at6native12_GLOBAL__N_124unique_dim_cuda_templateIhEESt5tupleIJNSC_6TensorESH_SH_EERKSH_lbbbEUlllE1_EE10hipError_tPvRmT2_T3_mT4_P12ihipStream_tbEUlmE_lEESB_NS0_8identityIvEEEESM_SP_SQ_mSR_ST_bEUlT_E_NS1_11comp_targetILNS1_3genE3ELNS1_11target_archE908ELNS1_3gpuE7ELNS1_3repE0EEENS1_30default_config_static_selectorELNS0_4arch9wavefront6targetE1EEEvT1_.kd
    .uniform_work_group_size: 1
    .uses_dynamic_stack: false
    .vgpr_count:     0
    .vgpr_spill_count: 0
    .wavefront_size: 64
  - .agpr_count:     0
    .args:
      - .offset:         0
        .size:           56
        .value_kind:     by_value
    .group_segment_fixed_size: 0
    .kernarg_segment_align: 8
    .kernarg_segment_size: 56
    .language:       OpenCL C
    .language_version:
      - 2
      - 0
    .max_flat_workgroup_size: 512
    .name:           _ZN7rocprim17ROCPRIM_400000_NS6detail17trampoline_kernelINS0_14default_configENS1_25transform_config_selectorIlLb0EEEZNS1_14transform_implILb0ES3_S5_NS0_18transform_iteratorINS0_17counting_iteratorImlEEZNS1_24adjacent_difference_implIS3_Lb1ELb0EPlSB_ZN2at6native12_GLOBAL__N_124unique_dim_cuda_templateIhEESt5tupleIJNSC_6TensorESH_SH_EERKSH_lbbbEUlllE1_EE10hipError_tPvRmT2_T3_mT4_P12ihipStream_tbEUlmE_lEESB_NS0_8identityIvEEEESM_SP_SQ_mSR_ST_bEUlT_E_NS1_11comp_targetILNS1_3genE2ELNS1_11target_archE906ELNS1_3gpuE6ELNS1_3repE0EEENS1_30default_config_static_selectorELNS0_4arch9wavefront6targetE1EEEvT1_
    .private_segment_fixed_size: 0
    .sgpr_count:     4
    .sgpr_spill_count: 0
    .symbol:         _ZN7rocprim17ROCPRIM_400000_NS6detail17trampoline_kernelINS0_14default_configENS1_25transform_config_selectorIlLb0EEEZNS1_14transform_implILb0ES3_S5_NS0_18transform_iteratorINS0_17counting_iteratorImlEEZNS1_24adjacent_difference_implIS3_Lb1ELb0EPlSB_ZN2at6native12_GLOBAL__N_124unique_dim_cuda_templateIhEESt5tupleIJNSC_6TensorESH_SH_EERKSH_lbbbEUlllE1_EE10hipError_tPvRmT2_T3_mT4_P12ihipStream_tbEUlmE_lEESB_NS0_8identityIvEEEESM_SP_SQ_mSR_ST_bEUlT_E_NS1_11comp_targetILNS1_3genE2ELNS1_11target_archE906ELNS1_3gpuE6ELNS1_3repE0EEENS1_30default_config_static_selectorELNS0_4arch9wavefront6targetE1EEEvT1_.kd
    .uniform_work_group_size: 1
    .uses_dynamic_stack: false
    .vgpr_count:     0
    .vgpr_spill_count: 0
    .wavefront_size: 64
  - .agpr_count:     0
    .args:
      - .offset:         0
        .size:           56
        .value_kind:     by_value
    .group_segment_fixed_size: 0
    .kernarg_segment_align: 8
    .kernarg_segment_size: 56
    .language:       OpenCL C
    .language_version:
      - 2
      - 0
    .max_flat_workgroup_size: 1024
    .name:           _ZN7rocprim17ROCPRIM_400000_NS6detail17trampoline_kernelINS0_14default_configENS1_25transform_config_selectorIlLb0EEEZNS1_14transform_implILb0ES3_S5_NS0_18transform_iteratorINS0_17counting_iteratorImlEEZNS1_24adjacent_difference_implIS3_Lb1ELb0EPlSB_ZN2at6native12_GLOBAL__N_124unique_dim_cuda_templateIhEESt5tupleIJNSC_6TensorESH_SH_EERKSH_lbbbEUlllE1_EE10hipError_tPvRmT2_T3_mT4_P12ihipStream_tbEUlmE_lEESB_NS0_8identityIvEEEESM_SP_SQ_mSR_ST_bEUlT_E_NS1_11comp_targetILNS1_3genE10ELNS1_11target_archE1201ELNS1_3gpuE5ELNS1_3repE0EEENS1_30default_config_static_selectorELNS0_4arch9wavefront6targetE1EEEvT1_
    .private_segment_fixed_size: 0
    .sgpr_count:     4
    .sgpr_spill_count: 0
    .symbol:         _ZN7rocprim17ROCPRIM_400000_NS6detail17trampoline_kernelINS0_14default_configENS1_25transform_config_selectorIlLb0EEEZNS1_14transform_implILb0ES3_S5_NS0_18transform_iteratorINS0_17counting_iteratorImlEEZNS1_24adjacent_difference_implIS3_Lb1ELb0EPlSB_ZN2at6native12_GLOBAL__N_124unique_dim_cuda_templateIhEESt5tupleIJNSC_6TensorESH_SH_EERKSH_lbbbEUlllE1_EE10hipError_tPvRmT2_T3_mT4_P12ihipStream_tbEUlmE_lEESB_NS0_8identityIvEEEESM_SP_SQ_mSR_ST_bEUlT_E_NS1_11comp_targetILNS1_3genE10ELNS1_11target_archE1201ELNS1_3gpuE5ELNS1_3repE0EEENS1_30default_config_static_selectorELNS0_4arch9wavefront6targetE1EEEvT1_.kd
    .uniform_work_group_size: 1
    .uses_dynamic_stack: false
    .vgpr_count:     0
    .vgpr_spill_count: 0
    .wavefront_size: 64
  - .agpr_count:     0
    .args:
      - .offset:         0
        .size:           56
        .value_kind:     by_value
    .group_segment_fixed_size: 0
    .kernarg_segment_align: 8
    .kernarg_segment_size: 56
    .language:       OpenCL C
    .language_version:
      - 2
      - 0
    .max_flat_workgroup_size: 512
    .name:           _ZN7rocprim17ROCPRIM_400000_NS6detail17trampoline_kernelINS0_14default_configENS1_25transform_config_selectorIlLb0EEEZNS1_14transform_implILb0ES3_S5_NS0_18transform_iteratorINS0_17counting_iteratorImlEEZNS1_24adjacent_difference_implIS3_Lb1ELb0EPlSB_ZN2at6native12_GLOBAL__N_124unique_dim_cuda_templateIhEESt5tupleIJNSC_6TensorESH_SH_EERKSH_lbbbEUlllE1_EE10hipError_tPvRmT2_T3_mT4_P12ihipStream_tbEUlmE_lEESB_NS0_8identityIvEEEESM_SP_SQ_mSR_ST_bEUlT_E_NS1_11comp_targetILNS1_3genE10ELNS1_11target_archE1200ELNS1_3gpuE4ELNS1_3repE0EEENS1_30default_config_static_selectorELNS0_4arch9wavefront6targetE1EEEvT1_
    .private_segment_fixed_size: 0
    .sgpr_count:     4
    .sgpr_spill_count: 0
    .symbol:         _ZN7rocprim17ROCPRIM_400000_NS6detail17trampoline_kernelINS0_14default_configENS1_25transform_config_selectorIlLb0EEEZNS1_14transform_implILb0ES3_S5_NS0_18transform_iteratorINS0_17counting_iteratorImlEEZNS1_24adjacent_difference_implIS3_Lb1ELb0EPlSB_ZN2at6native12_GLOBAL__N_124unique_dim_cuda_templateIhEESt5tupleIJNSC_6TensorESH_SH_EERKSH_lbbbEUlllE1_EE10hipError_tPvRmT2_T3_mT4_P12ihipStream_tbEUlmE_lEESB_NS0_8identityIvEEEESM_SP_SQ_mSR_ST_bEUlT_E_NS1_11comp_targetILNS1_3genE10ELNS1_11target_archE1200ELNS1_3gpuE4ELNS1_3repE0EEENS1_30default_config_static_selectorELNS0_4arch9wavefront6targetE1EEEvT1_.kd
    .uniform_work_group_size: 1
    .uses_dynamic_stack: false
    .vgpr_count:     0
    .vgpr_spill_count: 0
    .wavefront_size: 64
  - .agpr_count:     0
    .args:
      - .offset:         0
        .size:           56
        .value_kind:     by_value
    .group_segment_fixed_size: 0
    .kernarg_segment_align: 8
    .kernarg_segment_size: 56
    .language:       OpenCL C
    .language_version:
      - 2
      - 0
    .max_flat_workgroup_size: 512
    .name:           _ZN7rocprim17ROCPRIM_400000_NS6detail17trampoline_kernelINS0_14default_configENS1_25transform_config_selectorIlLb0EEEZNS1_14transform_implILb0ES3_S5_NS0_18transform_iteratorINS0_17counting_iteratorImlEEZNS1_24adjacent_difference_implIS3_Lb1ELb0EPlSB_ZN2at6native12_GLOBAL__N_124unique_dim_cuda_templateIhEESt5tupleIJNSC_6TensorESH_SH_EERKSH_lbbbEUlllE1_EE10hipError_tPvRmT2_T3_mT4_P12ihipStream_tbEUlmE_lEESB_NS0_8identityIvEEEESM_SP_SQ_mSR_ST_bEUlT_E_NS1_11comp_targetILNS1_3genE9ELNS1_11target_archE1100ELNS1_3gpuE3ELNS1_3repE0EEENS1_30default_config_static_selectorELNS0_4arch9wavefront6targetE1EEEvT1_
    .private_segment_fixed_size: 0
    .sgpr_count:     4
    .sgpr_spill_count: 0
    .symbol:         _ZN7rocprim17ROCPRIM_400000_NS6detail17trampoline_kernelINS0_14default_configENS1_25transform_config_selectorIlLb0EEEZNS1_14transform_implILb0ES3_S5_NS0_18transform_iteratorINS0_17counting_iteratorImlEEZNS1_24adjacent_difference_implIS3_Lb1ELb0EPlSB_ZN2at6native12_GLOBAL__N_124unique_dim_cuda_templateIhEESt5tupleIJNSC_6TensorESH_SH_EERKSH_lbbbEUlllE1_EE10hipError_tPvRmT2_T3_mT4_P12ihipStream_tbEUlmE_lEESB_NS0_8identityIvEEEESM_SP_SQ_mSR_ST_bEUlT_E_NS1_11comp_targetILNS1_3genE9ELNS1_11target_archE1100ELNS1_3gpuE3ELNS1_3repE0EEENS1_30default_config_static_selectorELNS0_4arch9wavefront6targetE1EEEvT1_.kd
    .uniform_work_group_size: 1
    .uses_dynamic_stack: false
    .vgpr_count:     0
    .vgpr_spill_count: 0
    .wavefront_size: 64
  - .agpr_count:     0
    .args:
      - .offset:         0
        .size:           56
        .value_kind:     by_value
    .group_segment_fixed_size: 0
    .kernarg_segment_align: 8
    .kernarg_segment_size: 56
    .language:       OpenCL C
    .language_version:
      - 2
      - 0
    .max_flat_workgroup_size: 512
    .name:           _ZN7rocprim17ROCPRIM_400000_NS6detail17trampoline_kernelINS0_14default_configENS1_25transform_config_selectorIlLb0EEEZNS1_14transform_implILb0ES3_S5_NS0_18transform_iteratorINS0_17counting_iteratorImlEEZNS1_24adjacent_difference_implIS3_Lb1ELb0EPlSB_ZN2at6native12_GLOBAL__N_124unique_dim_cuda_templateIhEESt5tupleIJNSC_6TensorESH_SH_EERKSH_lbbbEUlllE1_EE10hipError_tPvRmT2_T3_mT4_P12ihipStream_tbEUlmE_lEESB_NS0_8identityIvEEEESM_SP_SQ_mSR_ST_bEUlT_E_NS1_11comp_targetILNS1_3genE8ELNS1_11target_archE1030ELNS1_3gpuE2ELNS1_3repE0EEENS1_30default_config_static_selectorELNS0_4arch9wavefront6targetE1EEEvT1_
    .private_segment_fixed_size: 0
    .sgpr_count:     4
    .sgpr_spill_count: 0
    .symbol:         _ZN7rocprim17ROCPRIM_400000_NS6detail17trampoline_kernelINS0_14default_configENS1_25transform_config_selectorIlLb0EEEZNS1_14transform_implILb0ES3_S5_NS0_18transform_iteratorINS0_17counting_iteratorImlEEZNS1_24adjacent_difference_implIS3_Lb1ELb0EPlSB_ZN2at6native12_GLOBAL__N_124unique_dim_cuda_templateIhEESt5tupleIJNSC_6TensorESH_SH_EERKSH_lbbbEUlllE1_EE10hipError_tPvRmT2_T3_mT4_P12ihipStream_tbEUlmE_lEESB_NS0_8identityIvEEEESM_SP_SQ_mSR_ST_bEUlT_E_NS1_11comp_targetILNS1_3genE8ELNS1_11target_archE1030ELNS1_3gpuE2ELNS1_3repE0EEENS1_30default_config_static_selectorELNS0_4arch9wavefront6targetE1EEEvT1_.kd
    .uniform_work_group_size: 1
    .uses_dynamic_stack: false
    .vgpr_count:     0
    .vgpr_spill_count: 0
    .wavefront_size: 64
  - .agpr_count:     0
    .args:
      - .offset:         0
        .size:           64
        .value_kind:     by_value
    .group_segment_fixed_size: 0
    .kernarg_segment_align: 8
    .kernarg_segment_size: 64
    .language:       OpenCL C
    .language_version:
      - 2
      - 0
    .max_flat_workgroup_size: 512
    .name:           _ZN7rocprim17ROCPRIM_400000_NS6detail17trampoline_kernelINS0_14default_configENS1_35adjacent_difference_config_selectorILb1ElEEZNS1_24adjacent_difference_implIS3_Lb1ELb0EPlS7_ZN2at6native12_GLOBAL__N_124unique_dim_cuda_templateIhEESt5tupleIJNS8_6TensorESD_SD_EERKSD_lbbbEUlllE1_EE10hipError_tPvRmT2_T3_mT4_P12ihipStream_tbEUlT_E_NS1_11comp_targetILNS1_3genE0ELNS1_11target_archE4294967295ELNS1_3gpuE0ELNS1_3repE0EEENS1_30default_config_static_selectorELNS0_4arch9wavefront6targetE1EEEvT1_
    .private_segment_fixed_size: 0
    .sgpr_count:     4
    .sgpr_spill_count: 0
    .symbol:         _ZN7rocprim17ROCPRIM_400000_NS6detail17trampoline_kernelINS0_14default_configENS1_35adjacent_difference_config_selectorILb1ElEEZNS1_24adjacent_difference_implIS3_Lb1ELb0EPlS7_ZN2at6native12_GLOBAL__N_124unique_dim_cuda_templateIhEESt5tupleIJNS8_6TensorESD_SD_EERKSD_lbbbEUlllE1_EE10hipError_tPvRmT2_T3_mT4_P12ihipStream_tbEUlT_E_NS1_11comp_targetILNS1_3genE0ELNS1_11target_archE4294967295ELNS1_3gpuE0ELNS1_3repE0EEENS1_30default_config_static_selectorELNS0_4arch9wavefront6targetE1EEEvT1_.kd
    .uniform_work_group_size: 1
    .uses_dynamic_stack: false
    .vgpr_count:     0
    .vgpr_spill_count: 0
    .wavefront_size: 64
  - .agpr_count:     0
    .args:
      - .offset:         0
        .size:           64
        .value_kind:     by_value
    .group_segment_fixed_size: 0
    .kernarg_segment_align: 8
    .kernarg_segment_size: 64
    .language:       OpenCL C
    .language_version:
      - 2
      - 0
    .max_flat_workgroup_size: 32
    .name:           _ZN7rocprim17ROCPRIM_400000_NS6detail17trampoline_kernelINS0_14default_configENS1_35adjacent_difference_config_selectorILb1ElEEZNS1_24adjacent_difference_implIS3_Lb1ELb0EPlS7_ZN2at6native12_GLOBAL__N_124unique_dim_cuda_templateIhEESt5tupleIJNS8_6TensorESD_SD_EERKSD_lbbbEUlllE1_EE10hipError_tPvRmT2_T3_mT4_P12ihipStream_tbEUlT_E_NS1_11comp_targetILNS1_3genE10ELNS1_11target_archE1201ELNS1_3gpuE5ELNS1_3repE0EEENS1_30default_config_static_selectorELNS0_4arch9wavefront6targetE1EEEvT1_
    .private_segment_fixed_size: 0
    .sgpr_count:     4
    .sgpr_spill_count: 0
    .symbol:         _ZN7rocprim17ROCPRIM_400000_NS6detail17trampoline_kernelINS0_14default_configENS1_35adjacent_difference_config_selectorILb1ElEEZNS1_24adjacent_difference_implIS3_Lb1ELb0EPlS7_ZN2at6native12_GLOBAL__N_124unique_dim_cuda_templateIhEESt5tupleIJNS8_6TensorESD_SD_EERKSD_lbbbEUlllE1_EE10hipError_tPvRmT2_T3_mT4_P12ihipStream_tbEUlT_E_NS1_11comp_targetILNS1_3genE10ELNS1_11target_archE1201ELNS1_3gpuE5ELNS1_3repE0EEENS1_30default_config_static_selectorELNS0_4arch9wavefront6targetE1EEEvT1_.kd
    .uniform_work_group_size: 1
    .uses_dynamic_stack: false
    .vgpr_count:     0
    .vgpr_spill_count: 0
    .wavefront_size: 64
  - .agpr_count:     0
    .args:
      - .offset:         0
        .size:           64
        .value_kind:     by_value
    .group_segment_fixed_size: 0
    .kernarg_segment_align: 8
    .kernarg_segment_size: 64
    .language:       OpenCL C
    .language_version:
      - 2
      - 0
    .max_flat_workgroup_size: 256
    .name:           _ZN7rocprim17ROCPRIM_400000_NS6detail17trampoline_kernelINS0_14default_configENS1_35adjacent_difference_config_selectorILb1ElEEZNS1_24adjacent_difference_implIS3_Lb1ELb0EPlS7_ZN2at6native12_GLOBAL__N_124unique_dim_cuda_templateIhEESt5tupleIJNS8_6TensorESD_SD_EERKSD_lbbbEUlllE1_EE10hipError_tPvRmT2_T3_mT4_P12ihipStream_tbEUlT_E_NS1_11comp_targetILNS1_3genE5ELNS1_11target_archE942ELNS1_3gpuE9ELNS1_3repE0EEENS1_30default_config_static_selectorELNS0_4arch9wavefront6targetE1EEEvT1_
    .private_segment_fixed_size: 0
    .sgpr_count:     4
    .sgpr_spill_count: 0
    .symbol:         _ZN7rocprim17ROCPRIM_400000_NS6detail17trampoline_kernelINS0_14default_configENS1_35adjacent_difference_config_selectorILb1ElEEZNS1_24adjacent_difference_implIS3_Lb1ELb0EPlS7_ZN2at6native12_GLOBAL__N_124unique_dim_cuda_templateIhEESt5tupleIJNS8_6TensorESD_SD_EERKSD_lbbbEUlllE1_EE10hipError_tPvRmT2_T3_mT4_P12ihipStream_tbEUlT_E_NS1_11comp_targetILNS1_3genE5ELNS1_11target_archE942ELNS1_3gpuE9ELNS1_3repE0EEENS1_30default_config_static_selectorELNS0_4arch9wavefront6targetE1EEEvT1_.kd
    .uniform_work_group_size: 1
    .uses_dynamic_stack: false
    .vgpr_count:     0
    .vgpr_spill_count: 0
    .wavefront_size: 64
  - .agpr_count:     0
    .args:
      - .offset:         0
        .size:           64
        .value_kind:     by_value
    .group_segment_fixed_size: 8448
    .kernarg_segment_align: 8
    .kernarg_segment_size: 64
    .language:       OpenCL C
    .language_version:
      - 2
      - 0
    .max_flat_workgroup_size: 512
    .name:           _ZN7rocprim17ROCPRIM_400000_NS6detail17trampoline_kernelINS0_14default_configENS1_35adjacent_difference_config_selectorILb1ElEEZNS1_24adjacent_difference_implIS3_Lb1ELb0EPlS7_ZN2at6native12_GLOBAL__N_124unique_dim_cuda_templateIhEESt5tupleIJNS8_6TensorESD_SD_EERKSD_lbbbEUlllE1_EE10hipError_tPvRmT2_T3_mT4_P12ihipStream_tbEUlT_E_NS1_11comp_targetILNS1_3genE4ELNS1_11target_archE910ELNS1_3gpuE8ELNS1_3repE0EEENS1_30default_config_static_selectorELNS0_4arch9wavefront6targetE1EEEvT1_
    .private_segment_fixed_size: 0
    .sgpr_count:     42
    .sgpr_spill_count: 0
    .symbol:         _ZN7rocprim17ROCPRIM_400000_NS6detail17trampoline_kernelINS0_14default_configENS1_35adjacent_difference_config_selectorILb1ElEEZNS1_24adjacent_difference_implIS3_Lb1ELb0EPlS7_ZN2at6native12_GLOBAL__N_124unique_dim_cuda_templateIhEESt5tupleIJNS8_6TensorESD_SD_EERKSD_lbbbEUlllE1_EE10hipError_tPvRmT2_T3_mT4_P12ihipStream_tbEUlT_E_NS1_11comp_targetILNS1_3genE4ELNS1_11target_archE910ELNS1_3gpuE8ELNS1_3repE0EEENS1_30default_config_static_selectorELNS0_4arch9wavefront6targetE1EEEvT1_.kd
    .uniform_work_group_size: 1
    .uses_dynamic_stack: false
    .vgpr_count:     18
    .vgpr_spill_count: 0
    .wavefront_size: 64
  - .agpr_count:     0
    .args:
      - .offset:         0
        .size:           64
        .value_kind:     by_value
    .group_segment_fixed_size: 0
    .kernarg_segment_align: 8
    .kernarg_segment_size: 64
    .language:       OpenCL C
    .language_version:
      - 2
      - 0
    .max_flat_workgroup_size: 512
    .name:           _ZN7rocprim17ROCPRIM_400000_NS6detail17trampoline_kernelINS0_14default_configENS1_35adjacent_difference_config_selectorILb1ElEEZNS1_24adjacent_difference_implIS3_Lb1ELb0EPlS7_ZN2at6native12_GLOBAL__N_124unique_dim_cuda_templateIhEESt5tupleIJNS8_6TensorESD_SD_EERKSD_lbbbEUlllE1_EE10hipError_tPvRmT2_T3_mT4_P12ihipStream_tbEUlT_E_NS1_11comp_targetILNS1_3genE3ELNS1_11target_archE908ELNS1_3gpuE7ELNS1_3repE0EEENS1_30default_config_static_selectorELNS0_4arch9wavefront6targetE1EEEvT1_
    .private_segment_fixed_size: 0
    .sgpr_count:     4
    .sgpr_spill_count: 0
    .symbol:         _ZN7rocprim17ROCPRIM_400000_NS6detail17trampoline_kernelINS0_14default_configENS1_35adjacent_difference_config_selectorILb1ElEEZNS1_24adjacent_difference_implIS3_Lb1ELb0EPlS7_ZN2at6native12_GLOBAL__N_124unique_dim_cuda_templateIhEESt5tupleIJNS8_6TensorESD_SD_EERKSD_lbbbEUlllE1_EE10hipError_tPvRmT2_T3_mT4_P12ihipStream_tbEUlT_E_NS1_11comp_targetILNS1_3genE3ELNS1_11target_archE908ELNS1_3gpuE7ELNS1_3repE0EEENS1_30default_config_static_selectorELNS0_4arch9wavefront6targetE1EEEvT1_.kd
    .uniform_work_group_size: 1
    .uses_dynamic_stack: false
    .vgpr_count:     0
    .vgpr_spill_count: 0
    .wavefront_size: 64
  - .agpr_count:     0
    .args:
      - .offset:         0
        .size:           64
        .value_kind:     by_value
    .group_segment_fixed_size: 0
    .kernarg_segment_align: 8
    .kernarg_segment_size: 64
    .language:       OpenCL C
    .language_version:
      - 2
      - 0
    .max_flat_workgroup_size: 128
    .name:           _ZN7rocprim17ROCPRIM_400000_NS6detail17trampoline_kernelINS0_14default_configENS1_35adjacent_difference_config_selectorILb1ElEEZNS1_24adjacent_difference_implIS3_Lb1ELb0EPlS7_ZN2at6native12_GLOBAL__N_124unique_dim_cuda_templateIhEESt5tupleIJNS8_6TensorESD_SD_EERKSD_lbbbEUlllE1_EE10hipError_tPvRmT2_T3_mT4_P12ihipStream_tbEUlT_E_NS1_11comp_targetILNS1_3genE2ELNS1_11target_archE906ELNS1_3gpuE6ELNS1_3repE0EEENS1_30default_config_static_selectorELNS0_4arch9wavefront6targetE1EEEvT1_
    .private_segment_fixed_size: 0
    .sgpr_count:     4
    .sgpr_spill_count: 0
    .symbol:         _ZN7rocprim17ROCPRIM_400000_NS6detail17trampoline_kernelINS0_14default_configENS1_35adjacent_difference_config_selectorILb1ElEEZNS1_24adjacent_difference_implIS3_Lb1ELb0EPlS7_ZN2at6native12_GLOBAL__N_124unique_dim_cuda_templateIhEESt5tupleIJNS8_6TensorESD_SD_EERKSD_lbbbEUlllE1_EE10hipError_tPvRmT2_T3_mT4_P12ihipStream_tbEUlT_E_NS1_11comp_targetILNS1_3genE2ELNS1_11target_archE906ELNS1_3gpuE6ELNS1_3repE0EEENS1_30default_config_static_selectorELNS0_4arch9wavefront6targetE1EEEvT1_.kd
    .uniform_work_group_size: 1
    .uses_dynamic_stack: false
    .vgpr_count:     0
    .vgpr_spill_count: 0
    .wavefront_size: 64
  - .agpr_count:     0
    .args:
      - .offset:         0
        .size:           64
        .value_kind:     by_value
    .group_segment_fixed_size: 0
    .kernarg_segment_align: 8
    .kernarg_segment_size: 64
    .language:       OpenCL C
    .language_version:
      - 2
      - 0
    .max_flat_workgroup_size: 128
    .name:           _ZN7rocprim17ROCPRIM_400000_NS6detail17trampoline_kernelINS0_14default_configENS1_35adjacent_difference_config_selectorILb1ElEEZNS1_24adjacent_difference_implIS3_Lb1ELb0EPlS7_ZN2at6native12_GLOBAL__N_124unique_dim_cuda_templateIhEESt5tupleIJNS8_6TensorESD_SD_EERKSD_lbbbEUlllE1_EE10hipError_tPvRmT2_T3_mT4_P12ihipStream_tbEUlT_E_NS1_11comp_targetILNS1_3genE9ELNS1_11target_archE1100ELNS1_3gpuE3ELNS1_3repE0EEENS1_30default_config_static_selectorELNS0_4arch9wavefront6targetE1EEEvT1_
    .private_segment_fixed_size: 0
    .sgpr_count:     4
    .sgpr_spill_count: 0
    .symbol:         _ZN7rocprim17ROCPRIM_400000_NS6detail17trampoline_kernelINS0_14default_configENS1_35adjacent_difference_config_selectorILb1ElEEZNS1_24adjacent_difference_implIS3_Lb1ELb0EPlS7_ZN2at6native12_GLOBAL__N_124unique_dim_cuda_templateIhEESt5tupleIJNS8_6TensorESD_SD_EERKSD_lbbbEUlllE1_EE10hipError_tPvRmT2_T3_mT4_P12ihipStream_tbEUlT_E_NS1_11comp_targetILNS1_3genE9ELNS1_11target_archE1100ELNS1_3gpuE3ELNS1_3repE0EEENS1_30default_config_static_selectorELNS0_4arch9wavefront6targetE1EEEvT1_.kd
    .uniform_work_group_size: 1
    .uses_dynamic_stack: false
    .vgpr_count:     0
    .vgpr_spill_count: 0
    .wavefront_size: 64
  - .agpr_count:     0
    .args:
      - .offset:         0
        .size:           64
        .value_kind:     by_value
    .group_segment_fixed_size: 0
    .kernarg_segment_align: 8
    .kernarg_segment_size: 64
    .language:       OpenCL C
    .language_version:
      - 2
      - 0
    .max_flat_workgroup_size: 32
    .name:           _ZN7rocprim17ROCPRIM_400000_NS6detail17trampoline_kernelINS0_14default_configENS1_35adjacent_difference_config_selectorILb1ElEEZNS1_24adjacent_difference_implIS3_Lb1ELb0EPlS7_ZN2at6native12_GLOBAL__N_124unique_dim_cuda_templateIhEESt5tupleIJNS8_6TensorESD_SD_EERKSD_lbbbEUlllE1_EE10hipError_tPvRmT2_T3_mT4_P12ihipStream_tbEUlT_E_NS1_11comp_targetILNS1_3genE8ELNS1_11target_archE1030ELNS1_3gpuE2ELNS1_3repE0EEENS1_30default_config_static_selectorELNS0_4arch9wavefront6targetE1EEEvT1_
    .private_segment_fixed_size: 0
    .sgpr_count:     4
    .sgpr_spill_count: 0
    .symbol:         _ZN7rocprim17ROCPRIM_400000_NS6detail17trampoline_kernelINS0_14default_configENS1_35adjacent_difference_config_selectorILb1ElEEZNS1_24adjacent_difference_implIS3_Lb1ELb0EPlS7_ZN2at6native12_GLOBAL__N_124unique_dim_cuda_templateIhEESt5tupleIJNS8_6TensorESD_SD_EERKSD_lbbbEUlllE1_EE10hipError_tPvRmT2_T3_mT4_P12ihipStream_tbEUlT_E_NS1_11comp_targetILNS1_3genE8ELNS1_11target_archE1030ELNS1_3gpuE2ELNS1_3repE0EEENS1_30default_config_static_selectorELNS0_4arch9wavefront6targetE1EEEvT1_.kd
    .uniform_work_group_size: 1
    .uses_dynamic_stack: false
    .vgpr_count:     0
    .vgpr_spill_count: 0
    .wavefront_size: 64
  - .agpr_count:     0
    .args:
      - .address_space:  global
        .offset:         0
        .size:           8
        .value_kind:     global_buffer
      - .offset:         8
        .size:           4
        .value_kind:     by_value
      - .offset:         12
        .size:           1
        .value_kind:     by_value
      - .offset:         16
        .size:           4
        .value_kind:     by_value
      - .address_space:  global
        .offset:         24
        .size:           8
        .value_kind:     global_buffer
      - .offset:         32
        .size:           4
        .value_kind:     hidden_block_count_x
      - .offset:         36
        .size:           4
        .value_kind:     hidden_block_count_y
      - .offset:         40
        .size:           4
        .value_kind:     hidden_block_count_z
      - .offset:         44
        .size:           2
        .value_kind:     hidden_group_size_x
      - .offset:         46
        .size:           2
        .value_kind:     hidden_group_size_y
      - .offset:         48
        .size:           2
        .value_kind:     hidden_group_size_z
      - .offset:         50
        .size:           2
        .value_kind:     hidden_remainder_x
      - .offset:         52
        .size:           2
        .value_kind:     hidden_remainder_y
      - .offset:         54
        .size:           2
        .value_kind:     hidden_remainder_z
      - .offset:         72
        .size:           8
        .value_kind:     hidden_global_offset_x
      - .offset:         80
        .size:           8
        .value_kind:     hidden_global_offset_y
      - .offset:         88
        .size:           8
        .value_kind:     hidden_global_offset_z
      - .offset:         96
        .size:           2
        .value_kind:     hidden_grid_dims
    .group_segment_fixed_size: 0
    .kernarg_segment_align: 8
    .kernarg_segment_size: 288
    .language:       OpenCL C
    .language_version:
      - 2
      - 0
    .max_flat_workgroup_size: 256
    .name:           _ZN7rocprim17ROCPRIM_400000_NS6detail31init_lookback_scan_state_kernelINS1_19lookback_scan_stateIlLb0ELb1EEENS1_16block_id_wrapperIjLb0EEEEEvT_jT0_jPNS7_10value_typeE
    .private_segment_fixed_size: 0
    .sgpr_count:     17
    .sgpr_spill_count: 0
    .symbol:         _ZN7rocprim17ROCPRIM_400000_NS6detail31init_lookback_scan_state_kernelINS1_19lookback_scan_stateIlLb0ELb1EEENS1_16block_id_wrapperIjLb0EEEEEvT_jT0_jPNS7_10value_typeE.kd
    .uniform_work_group_size: 1
    .uses_dynamic_stack: false
    .vgpr_count:     10
    .vgpr_spill_count: 0
    .wavefront_size: 64
  - .agpr_count:     0
    .args:
      - .offset:         0
        .size:           104
        .value_kind:     by_value
    .group_segment_fixed_size: 0
    .kernarg_segment_align: 8
    .kernarg_segment_size: 104
    .language:       OpenCL C
    .language_version:
      - 2
      - 0
    .max_flat_workgroup_size: 256
    .name:           _ZN7rocprim17ROCPRIM_400000_NS6detail17trampoline_kernelINS0_14default_configENS1_20scan_config_selectorIlEEZZNS1_9scan_implILNS1_25lookback_scan_determinismE0ELb0ELb0ES3_PlS8_lN6thrust23THRUST_200600_302600_NS4plusIvEElEEDaPvRmT3_T4_T5_mT6_P12ihipStream_tbENKUlT_T0_E_clISt17integral_constantIbLb0EESQ_EEDaSL_SM_EUlSL_E_NS1_11comp_targetILNS1_3genE0ELNS1_11target_archE4294967295ELNS1_3gpuE0ELNS1_3repE0EEENS1_30default_config_static_selectorELNS0_4arch9wavefront6targetE1EEEvT1_
    .private_segment_fixed_size: 0
    .sgpr_count:     4
    .sgpr_spill_count: 0
    .symbol:         _ZN7rocprim17ROCPRIM_400000_NS6detail17trampoline_kernelINS0_14default_configENS1_20scan_config_selectorIlEEZZNS1_9scan_implILNS1_25lookback_scan_determinismE0ELb0ELb0ES3_PlS8_lN6thrust23THRUST_200600_302600_NS4plusIvEElEEDaPvRmT3_T4_T5_mT6_P12ihipStream_tbENKUlT_T0_E_clISt17integral_constantIbLb0EESQ_EEDaSL_SM_EUlSL_E_NS1_11comp_targetILNS1_3genE0ELNS1_11target_archE4294967295ELNS1_3gpuE0ELNS1_3repE0EEENS1_30default_config_static_selectorELNS0_4arch9wavefront6targetE1EEEvT1_.kd
    .uniform_work_group_size: 1
    .uses_dynamic_stack: false
    .vgpr_count:     0
    .vgpr_spill_count: 0
    .wavefront_size: 64
  - .agpr_count:     0
    .args:
      - .offset:         0
        .size:           104
        .value_kind:     by_value
    .group_segment_fixed_size: 0
    .kernarg_segment_align: 8
    .kernarg_segment_size: 104
    .language:       OpenCL C
    .language_version:
      - 2
      - 0
    .max_flat_workgroup_size: 256
    .name:           _ZN7rocprim17ROCPRIM_400000_NS6detail17trampoline_kernelINS0_14default_configENS1_20scan_config_selectorIlEEZZNS1_9scan_implILNS1_25lookback_scan_determinismE0ELb0ELb0ES3_PlS8_lN6thrust23THRUST_200600_302600_NS4plusIvEElEEDaPvRmT3_T4_T5_mT6_P12ihipStream_tbENKUlT_T0_E_clISt17integral_constantIbLb0EESQ_EEDaSL_SM_EUlSL_E_NS1_11comp_targetILNS1_3genE5ELNS1_11target_archE942ELNS1_3gpuE9ELNS1_3repE0EEENS1_30default_config_static_selectorELNS0_4arch9wavefront6targetE1EEEvT1_
    .private_segment_fixed_size: 0
    .sgpr_count:     4
    .sgpr_spill_count: 0
    .symbol:         _ZN7rocprim17ROCPRIM_400000_NS6detail17trampoline_kernelINS0_14default_configENS1_20scan_config_selectorIlEEZZNS1_9scan_implILNS1_25lookback_scan_determinismE0ELb0ELb0ES3_PlS8_lN6thrust23THRUST_200600_302600_NS4plusIvEElEEDaPvRmT3_T4_T5_mT6_P12ihipStream_tbENKUlT_T0_E_clISt17integral_constantIbLb0EESQ_EEDaSL_SM_EUlSL_E_NS1_11comp_targetILNS1_3genE5ELNS1_11target_archE942ELNS1_3gpuE9ELNS1_3repE0EEENS1_30default_config_static_selectorELNS0_4arch9wavefront6targetE1EEEvT1_.kd
    .uniform_work_group_size: 1
    .uses_dynamic_stack: false
    .vgpr_count:     0
    .vgpr_spill_count: 0
    .wavefront_size: 64
  - .agpr_count:     0
    .args:
      - .offset:         0
        .size:           104
        .value_kind:     by_value
    .group_segment_fixed_size: 7168
    .kernarg_segment_align: 8
    .kernarg_segment_size: 104
    .language:       OpenCL C
    .language_version:
      - 2
      - 0
    .max_flat_workgroup_size: 128
    .name:           _ZN7rocprim17ROCPRIM_400000_NS6detail17trampoline_kernelINS0_14default_configENS1_20scan_config_selectorIlEEZZNS1_9scan_implILNS1_25lookback_scan_determinismE0ELb0ELb0ES3_PlS8_lN6thrust23THRUST_200600_302600_NS4plusIvEElEEDaPvRmT3_T4_T5_mT6_P12ihipStream_tbENKUlT_T0_E_clISt17integral_constantIbLb0EESQ_EEDaSL_SM_EUlSL_E_NS1_11comp_targetILNS1_3genE4ELNS1_11target_archE910ELNS1_3gpuE8ELNS1_3repE0EEENS1_30default_config_static_selectorELNS0_4arch9wavefront6targetE1EEEvT1_
    .private_segment_fixed_size: 0
    .sgpr_count:     39
    .sgpr_spill_count: 0
    .symbol:         _ZN7rocprim17ROCPRIM_400000_NS6detail17trampoline_kernelINS0_14default_configENS1_20scan_config_selectorIlEEZZNS1_9scan_implILNS1_25lookback_scan_determinismE0ELb0ELb0ES3_PlS8_lN6thrust23THRUST_200600_302600_NS4plusIvEElEEDaPvRmT3_T4_T5_mT6_P12ihipStream_tbENKUlT_T0_E_clISt17integral_constantIbLb0EESQ_EEDaSL_SM_EUlSL_E_NS1_11comp_targetILNS1_3genE4ELNS1_11target_archE910ELNS1_3gpuE8ELNS1_3repE0EEENS1_30default_config_static_selectorELNS0_4arch9wavefront6targetE1EEEvT1_.kd
    .uniform_work_group_size: 1
    .uses_dynamic_stack: false
    .vgpr_count:     51
    .vgpr_spill_count: 0
    .wavefront_size: 64
  - .agpr_count:     0
    .args:
      - .offset:         0
        .size:           104
        .value_kind:     by_value
    .group_segment_fixed_size: 0
    .kernarg_segment_align: 8
    .kernarg_segment_size: 104
    .language:       OpenCL C
    .language_version:
      - 2
      - 0
    .max_flat_workgroup_size: 256
    .name:           _ZN7rocprim17ROCPRIM_400000_NS6detail17trampoline_kernelINS0_14default_configENS1_20scan_config_selectorIlEEZZNS1_9scan_implILNS1_25lookback_scan_determinismE0ELb0ELb0ES3_PlS8_lN6thrust23THRUST_200600_302600_NS4plusIvEElEEDaPvRmT3_T4_T5_mT6_P12ihipStream_tbENKUlT_T0_E_clISt17integral_constantIbLb0EESQ_EEDaSL_SM_EUlSL_E_NS1_11comp_targetILNS1_3genE3ELNS1_11target_archE908ELNS1_3gpuE7ELNS1_3repE0EEENS1_30default_config_static_selectorELNS0_4arch9wavefront6targetE1EEEvT1_
    .private_segment_fixed_size: 0
    .sgpr_count:     4
    .sgpr_spill_count: 0
    .symbol:         _ZN7rocprim17ROCPRIM_400000_NS6detail17trampoline_kernelINS0_14default_configENS1_20scan_config_selectorIlEEZZNS1_9scan_implILNS1_25lookback_scan_determinismE0ELb0ELb0ES3_PlS8_lN6thrust23THRUST_200600_302600_NS4plusIvEElEEDaPvRmT3_T4_T5_mT6_P12ihipStream_tbENKUlT_T0_E_clISt17integral_constantIbLb0EESQ_EEDaSL_SM_EUlSL_E_NS1_11comp_targetILNS1_3genE3ELNS1_11target_archE908ELNS1_3gpuE7ELNS1_3repE0EEENS1_30default_config_static_selectorELNS0_4arch9wavefront6targetE1EEEvT1_.kd
    .uniform_work_group_size: 1
    .uses_dynamic_stack: false
    .vgpr_count:     0
    .vgpr_spill_count: 0
    .wavefront_size: 64
  - .agpr_count:     0
    .args:
      - .offset:         0
        .size:           104
        .value_kind:     by_value
    .group_segment_fixed_size: 0
    .kernarg_segment_align: 8
    .kernarg_segment_size: 104
    .language:       OpenCL C
    .language_version:
      - 2
      - 0
    .max_flat_workgroup_size: 64
    .name:           _ZN7rocprim17ROCPRIM_400000_NS6detail17trampoline_kernelINS0_14default_configENS1_20scan_config_selectorIlEEZZNS1_9scan_implILNS1_25lookback_scan_determinismE0ELb0ELb0ES3_PlS8_lN6thrust23THRUST_200600_302600_NS4plusIvEElEEDaPvRmT3_T4_T5_mT6_P12ihipStream_tbENKUlT_T0_E_clISt17integral_constantIbLb0EESQ_EEDaSL_SM_EUlSL_E_NS1_11comp_targetILNS1_3genE2ELNS1_11target_archE906ELNS1_3gpuE6ELNS1_3repE0EEENS1_30default_config_static_selectorELNS0_4arch9wavefront6targetE1EEEvT1_
    .private_segment_fixed_size: 0
    .sgpr_count:     4
    .sgpr_spill_count: 0
    .symbol:         _ZN7rocprim17ROCPRIM_400000_NS6detail17trampoline_kernelINS0_14default_configENS1_20scan_config_selectorIlEEZZNS1_9scan_implILNS1_25lookback_scan_determinismE0ELb0ELb0ES3_PlS8_lN6thrust23THRUST_200600_302600_NS4plusIvEElEEDaPvRmT3_T4_T5_mT6_P12ihipStream_tbENKUlT_T0_E_clISt17integral_constantIbLb0EESQ_EEDaSL_SM_EUlSL_E_NS1_11comp_targetILNS1_3genE2ELNS1_11target_archE906ELNS1_3gpuE6ELNS1_3repE0EEENS1_30default_config_static_selectorELNS0_4arch9wavefront6targetE1EEEvT1_.kd
    .uniform_work_group_size: 1
    .uses_dynamic_stack: false
    .vgpr_count:     0
    .vgpr_spill_count: 0
    .wavefront_size: 64
  - .agpr_count:     0
    .args:
      - .offset:         0
        .size:           104
        .value_kind:     by_value
    .group_segment_fixed_size: 0
    .kernarg_segment_align: 8
    .kernarg_segment_size: 104
    .language:       OpenCL C
    .language_version:
      - 2
      - 0
    .max_flat_workgroup_size: 256
    .name:           _ZN7rocprim17ROCPRIM_400000_NS6detail17trampoline_kernelINS0_14default_configENS1_20scan_config_selectorIlEEZZNS1_9scan_implILNS1_25lookback_scan_determinismE0ELb0ELb0ES3_PlS8_lN6thrust23THRUST_200600_302600_NS4plusIvEElEEDaPvRmT3_T4_T5_mT6_P12ihipStream_tbENKUlT_T0_E_clISt17integral_constantIbLb0EESQ_EEDaSL_SM_EUlSL_E_NS1_11comp_targetILNS1_3genE10ELNS1_11target_archE1201ELNS1_3gpuE5ELNS1_3repE0EEENS1_30default_config_static_selectorELNS0_4arch9wavefront6targetE1EEEvT1_
    .private_segment_fixed_size: 0
    .sgpr_count:     4
    .sgpr_spill_count: 0
    .symbol:         _ZN7rocprim17ROCPRIM_400000_NS6detail17trampoline_kernelINS0_14default_configENS1_20scan_config_selectorIlEEZZNS1_9scan_implILNS1_25lookback_scan_determinismE0ELb0ELb0ES3_PlS8_lN6thrust23THRUST_200600_302600_NS4plusIvEElEEDaPvRmT3_T4_T5_mT6_P12ihipStream_tbENKUlT_T0_E_clISt17integral_constantIbLb0EESQ_EEDaSL_SM_EUlSL_E_NS1_11comp_targetILNS1_3genE10ELNS1_11target_archE1201ELNS1_3gpuE5ELNS1_3repE0EEENS1_30default_config_static_selectorELNS0_4arch9wavefront6targetE1EEEvT1_.kd
    .uniform_work_group_size: 1
    .uses_dynamic_stack: false
    .vgpr_count:     0
    .vgpr_spill_count: 0
    .wavefront_size: 64
  - .agpr_count:     0
    .args:
      - .offset:         0
        .size:           104
        .value_kind:     by_value
    .group_segment_fixed_size: 0
    .kernarg_segment_align: 8
    .kernarg_segment_size: 104
    .language:       OpenCL C
    .language_version:
      - 2
      - 0
    .max_flat_workgroup_size: 256
    .name:           _ZN7rocprim17ROCPRIM_400000_NS6detail17trampoline_kernelINS0_14default_configENS1_20scan_config_selectorIlEEZZNS1_9scan_implILNS1_25lookback_scan_determinismE0ELb0ELb0ES3_PlS8_lN6thrust23THRUST_200600_302600_NS4plusIvEElEEDaPvRmT3_T4_T5_mT6_P12ihipStream_tbENKUlT_T0_E_clISt17integral_constantIbLb0EESQ_EEDaSL_SM_EUlSL_E_NS1_11comp_targetILNS1_3genE10ELNS1_11target_archE1200ELNS1_3gpuE4ELNS1_3repE0EEENS1_30default_config_static_selectorELNS0_4arch9wavefront6targetE1EEEvT1_
    .private_segment_fixed_size: 0
    .sgpr_count:     4
    .sgpr_spill_count: 0
    .symbol:         _ZN7rocprim17ROCPRIM_400000_NS6detail17trampoline_kernelINS0_14default_configENS1_20scan_config_selectorIlEEZZNS1_9scan_implILNS1_25lookback_scan_determinismE0ELb0ELb0ES3_PlS8_lN6thrust23THRUST_200600_302600_NS4plusIvEElEEDaPvRmT3_T4_T5_mT6_P12ihipStream_tbENKUlT_T0_E_clISt17integral_constantIbLb0EESQ_EEDaSL_SM_EUlSL_E_NS1_11comp_targetILNS1_3genE10ELNS1_11target_archE1200ELNS1_3gpuE4ELNS1_3repE0EEENS1_30default_config_static_selectorELNS0_4arch9wavefront6targetE1EEEvT1_.kd
    .uniform_work_group_size: 1
    .uses_dynamic_stack: false
    .vgpr_count:     0
    .vgpr_spill_count: 0
    .wavefront_size: 64
  - .agpr_count:     0
    .args:
      - .offset:         0
        .size:           104
        .value_kind:     by_value
    .group_segment_fixed_size: 0
    .kernarg_segment_align: 8
    .kernarg_segment_size: 104
    .language:       OpenCL C
    .language_version:
      - 2
      - 0
    .max_flat_workgroup_size: 256
    .name:           _ZN7rocprim17ROCPRIM_400000_NS6detail17trampoline_kernelINS0_14default_configENS1_20scan_config_selectorIlEEZZNS1_9scan_implILNS1_25lookback_scan_determinismE0ELb0ELb0ES3_PlS8_lN6thrust23THRUST_200600_302600_NS4plusIvEElEEDaPvRmT3_T4_T5_mT6_P12ihipStream_tbENKUlT_T0_E_clISt17integral_constantIbLb0EESQ_EEDaSL_SM_EUlSL_E_NS1_11comp_targetILNS1_3genE9ELNS1_11target_archE1100ELNS1_3gpuE3ELNS1_3repE0EEENS1_30default_config_static_selectorELNS0_4arch9wavefront6targetE1EEEvT1_
    .private_segment_fixed_size: 0
    .sgpr_count:     4
    .sgpr_spill_count: 0
    .symbol:         _ZN7rocprim17ROCPRIM_400000_NS6detail17trampoline_kernelINS0_14default_configENS1_20scan_config_selectorIlEEZZNS1_9scan_implILNS1_25lookback_scan_determinismE0ELb0ELb0ES3_PlS8_lN6thrust23THRUST_200600_302600_NS4plusIvEElEEDaPvRmT3_T4_T5_mT6_P12ihipStream_tbENKUlT_T0_E_clISt17integral_constantIbLb0EESQ_EEDaSL_SM_EUlSL_E_NS1_11comp_targetILNS1_3genE9ELNS1_11target_archE1100ELNS1_3gpuE3ELNS1_3repE0EEENS1_30default_config_static_selectorELNS0_4arch9wavefront6targetE1EEEvT1_.kd
    .uniform_work_group_size: 1
    .uses_dynamic_stack: false
    .vgpr_count:     0
    .vgpr_spill_count: 0
    .wavefront_size: 64
  - .agpr_count:     0
    .args:
      - .offset:         0
        .size:           104
        .value_kind:     by_value
    .group_segment_fixed_size: 0
    .kernarg_segment_align: 8
    .kernarg_segment_size: 104
    .language:       OpenCL C
    .language_version:
      - 2
      - 0
    .max_flat_workgroup_size: 256
    .name:           _ZN7rocprim17ROCPRIM_400000_NS6detail17trampoline_kernelINS0_14default_configENS1_20scan_config_selectorIlEEZZNS1_9scan_implILNS1_25lookback_scan_determinismE0ELb0ELb0ES3_PlS8_lN6thrust23THRUST_200600_302600_NS4plusIvEElEEDaPvRmT3_T4_T5_mT6_P12ihipStream_tbENKUlT_T0_E_clISt17integral_constantIbLb0EESQ_EEDaSL_SM_EUlSL_E_NS1_11comp_targetILNS1_3genE8ELNS1_11target_archE1030ELNS1_3gpuE2ELNS1_3repE0EEENS1_30default_config_static_selectorELNS0_4arch9wavefront6targetE1EEEvT1_
    .private_segment_fixed_size: 0
    .sgpr_count:     4
    .sgpr_spill_count: 0
    .symbol:         _ZN7rocprim17ROCPRIM_400000_NS6detail17trampoline_kernelINS0_14default_configENS1_20scan_config_selectorIlEEZZNS1_9scan_implILNS1_25lookback_scan_determinismE0ELb0ELb0ES3_PlS8_lN6thrust23THRUST_200600_302600_NS4plusIvEElEEDaPvRmT3_T4_T5_mT6_P12ihipStream_tbENKUlT_T0_E_clISt17integral_constantIbLb0EESQ_EEDaSL_SM_EUlSL_E_NS1_11comp_targetILNS1_3genE8ELNS1_11target_archE1030ELNS1_3gpuE2ELNS1_3repE0EEENS1_30default_config_static_selectorELNS0_4arch9wavefront6targetE1EEEvT1_.kd
    .uniform_work_group_size: 1
    .uses_dynamic_stack: false
    .vgpr_count:     0
    .vgpr_spill_count: 0
    .wavefront_size: 64
  - .agpr_count:     0
    .args:
      - .offset:         0
        .size:           40
        .value_kind:     by_value
    .group_segment_fixed_size: 0
    .kernarg_segment_align: 8
    .kernarg_segment_size: 40
    .language:       OpenCL C
    .language_version:
      - 2
      - 0
    .max_flat_workgroup_size: 256
    .name:           _ZN7rocprim17ROCPRIM_400000_NS6detail17trampoline_kernelINS0_14default_configENS1_20scan_config_selectorIlEEZZNS1_9scan_implILNS1_25lookback_scan_determinismE0ELb0ELb0ES3_PlS8_lN6thrust23THRUST_200600_302600_NS4plusIvEElEEDaPvRmT3_T4_T5_mT6_P12ihipStream_tbENKUlT_T0_E_clISt17integral_constantIbLb0EESQ_EEDaSL_SM_EUlSL_E0_NS1_11comp_targetILNS1_3genE0ELNS1_11target_archE4294967295ELNS1_3gpuE0ELNS1_3repE0EEENS1_30default_config_static_selectorELNS0_4arch9wavefront6targetE1EEEvT1_
    .private_segment_fixed_size: 0
    .sgpr_count:     4
    .sgpr_spill_count: 0
    .symbol:         _ZN7rocprim17ROCPRIM_400000_NS6detail17trampoline_kernelINS0_14default_configENS1_20scan_config_selectorIlEEZZNS1_9scan_implILNS1_25lookback_scan_determinismE0ELb0ELb0ES3_PlS8_lN6thrust23THRUST_200600_302600_NS4plusIvEElEEDaPvRmT3_T4_T5_mT6_P12ihipStream_tbENKUlT_T0_E_clISt17integral_constantIbLb0EESQ_EEDaSL_SM_EUlSL_E0_NS1_11comp_targetILNS1_3genE0ELNS1_11target_archE4294967295ELNS1_3gpuE0ELNS1_3repE0EEENS1_30default_config_static_selectorELNS0_4arch9wavefront6targetE1EEEvT1_.kd
    .uniform_work_group_size: 1
    .uses_dynamic_stack: false
    .vgpr_count:     0
    .vgpr_spill_count: 0
    .wavefront_size: 64
  - .agpr_count:     0
    .args:
      - .offset:         0
        .size:           40
        .value_kind:     by_value
    .group_segment_fixed_size: 0
    .kernarg_segment_align: 8
    .kernarg_segment_size: 40
    .language:       OpenCL C
    .language_version:
      - 2
      - 0
    .max_flat_workgroup_size: 256
    .name:           _ZN7rocprim17ROCPRIM_400000_NS6detail17trampoline_kernelINS0_14default_configENS1_20scan_config_selectorIlEEZZNS1_9scan_implILNS1_25lookback_scan_determinismE0ELb0ELb0ES3_PlS8_lN6thrust23THRUST_200600_302600_NS4plusIvEElEEDaPvRmT3_T4_T5_mT6_P12ihipStream_tbENKUlT_T0_E_clISt17integral_constantIbLb0EESQ_EEDaSL_SM_EUlSL_E0_NS1_11comp_targetILNS1_3genE5ELNS1_11target_archE942ELNS1_3gpuE9ELNS1_3repE0EEENS1_30default_config_static_selectorELNS0_4arch9wavefront6targetE1EEEvT1_
    .private_segment_fixed_size: 0
    .sgpr_count:     4
    .sgpr_spill_count: 0
    .symbol:         _ZN7rocprim17ROCPRIM_400000_NS6detail17trampoline_kernelINS0_14default_configENS1_20scan_config_selectorIlEEZZNS1_9scan_implILNS1_25lookback_scan_determinismE0ELb0ELb0ES3_PlS8_lN6thrust23THRUST_200600_302600_NS4plusIvEElEEDaPvRmT3_T4_T5_mT6_P12ihipStream_tbENKUlT_T0_E_clISt17integral_constantIbLb0EESQ_EEDaSL_SM_EUlSL_E0_NS1_11comp_targetILNS1_3genE5ELNS1_11target_archE942ELNS1_3gpuE9ELNS1_3repE0EEENS1_30default_config_static_selectorELNS0_4arch9wavefront6targetE1EEEvT1_.kd
    .uniform_work_group_size: 1
    .uses_dynamic_stack: false
    .vgpr_count:     0
    .vgpr_spill_count: 0
    .wavefront_size: 64
  - .agpr_count:     0
    .args:
      - .offset:         0
        .size:           40
        .value_kind:     by_value
    .group_segment_fixed_size: 7168
    .kernarg_segment_align: 8
    .kernarg_segment_size: 40
    .language:       OpenCL C
    .language_version:
      - 2
      - 0
    .max_flat_workgroup_size: 128
    .name:           _ZN7rocprim17ROCPRIM_400000_NS6detail17trampoline_kernelINS0_14default_configENS1_20scan_config_selectorIlEEZZNS1_9scan_implILNS1_25lookback_scan_determinismE0ELb0ELb0ES3_PlS8_lN6thrust23THRUST_200600_302600_NS4plusIvEElEEDaPvRmT3_T4_T5_mT6_P12ihipStream_tbENKUlT_T0_E_clISt17integral_constantIbLb0EESQ_EEDaSL_SM_EUlSL_E0_NS1_11comp_targetILNS1_3genE4ELNS1_11target_archE910ELNS1_3gpuE8ELNS1_3repE0EEENS1_30default_config_static_selectorELNS0_4arch9wavefront6targetE1EEEvT1_
    .private_segment_fixed_size: 0
    .sgpr_count:     26
    .sgpr_spill_count: 0
    .symbol:         _ZN7rocprim17ROCPRIM_400000_NS6detail17trampoline_kernelINS0_14default_configENS1_20scan_config_selectorIlEEZZNS1_9scan_implILNS1_25lookback_scan_determinismE0ELb0ELb0ES3_PlS8_lN6thrust23THRUST_200600_302600_NS4plusIvEElEEDaPvRmT3_T4_T5_mT6_P12ihipStream_tbENKUlT_T0_E_clISt17integral_constantIbLb0EESQ_EEDaSL_SM_EUlSL_E0_NS1_11comp_targetILNS1_3genE4ELNS1_11target_archE910ELNS1_3gpuE8ELNS1_3repE0EEENS1_30default_config_static_selectorELNS0_4arch9wavefront6targetE1EEEvT1_.kd
    .uniform_work_group_size: 1
    .uses_dynamic_stack: false
    .vgpr_count:     41
    .vgpr_spill_count: 0
    .wavefront_size: 64
  - .agpr_count:     0
    .args:
      - .offset:         0
        .size:           40
        .value_kind:     by_value
    .group_segment_fixed_size: 0
    .kernarg_segment_align: 8
    .kernarg_segment_size: 40
    .language:       OpenCL C
    .language_version:
      - 2
      - 0
    .max_flat_workgroup_size: 256
    .name:           _ZN7rocprim17ROCPRIM_400000_NS6detail17trampoline_kernelINS0_14default_configENS1_20scan_config_selectorIlEEZZNS1_9scan_implILNS1_25lookback_scan_determinismE0ELb0ELb0ES3_PlS8_lN6thrust23THRUST_200600_302600_NS4plusIvEElEEDaPvRmT3_T4_T5_mT6_P12ihipStream_tbENKUlT_T0_E_clISt17integral_constantIbLb0EESQ_EEDaSL_SM_EUlSL_E0_NS1_11comp_targetILNS1_3genE3ELNS1_11target_archE908ELNS1_3gpuE7ELNS1_3repE0EEENS1_30default_config_static_selectorELNS0_4arch9wavefront6targetE1EEEvT1_
    .private_segment_fixed_size: 0
    .sgpr_count:     4
    .sgpr_spill_count: 0
    .symbol:         _ZN7rocprim17ROCPRIM_400000_NS6detail17trampoline_kernelINS0_14default_configENS1_20scan_config_selectorIlEEZZNS1_9scan_implILNS1_25lookback_scan_determinismE0ELb0ELb0ES3_PlS8_lN6thrust23THRUST_200600_302600_NS4plusIvEElEEDaPvRmT3_T4_T5_mT6_P12ihipStream_tbENKUlT_T0_E_clISt17integral_constantIbLb0EESQ_EEDaSL_SM_EUlSL_E0_NS1_11comp_targetILNS1_3genE3ELNS1_11target_archE908ELNS1_3gpuE7ELNS1_3repE0EEENS1_30default_config_static_selectorELNS0_4arch9wavefront6targetE1EEEvT1_.kd
    .uniform_work_group_size: 1
    .uses_dynamic_stack: false
    .vgpr_count:     0
    .vgpr_spill_count: 0
    .wavefront_size: 64
  - .agpr_count:     0
    .args:
      - .offset:         0
        .size:           40
        .value_kind:     by_value
    .group_segment_fixed_size: 0
    .kernarg_segment_align: 8
    .kernarg_segment_size: 40
    .language:       OpenCL C
    .language_version:
      - 2
      - 0
    .max_flat_workgroup_size: 64
    .name:           _ZN7rocprim17ROCPRIM_400000_NS6detail17trampoline_kernelINS0_14default_configENS1_20scan_config_selectorIlEEZZNS1_9scan_implILNS1_25lookback_scan_determinismE0ELb0ELb0ES3_PlS8_lN6thrust23THRUST_200600_302600_NS4plusIvEElEEDaPvRmT3_T4_T5_mT6_P12ihipStream_tbENKUlT_T0_E_clISt17integral_constantIbLb0EESQ_EEDaSL_SM_EUlSL_E0_NS1_11comp_targetILNS1_3genE2ELNS1_11target_archE906ELNS1_3gpuE6ELNS1_3repE0EEENS1_30default_config_static_selectorELNS0_4arch9wavefront6targetE1EEEvT1_
    .private_segment_fixed_size: 0
    .sgpr_count:     4
    .sgpr_spill_count: 0
    .symbol:         _ZN7rocprim17ROCPRIM_400000_NS6detail17trampoline_kernelINS0_14default_configENS1_20scan_config_selectorIlEEZZNS1_9scan_implILNS1_25lookback_scan_determinismE0ELb0ELb0ES3_PlS8_lN6thrust23THRUST_200600_302600_NS4plusIvEElEEDaPvRmT3_T4_T5_mT6_P12ihipStream_tbENKUlT_T0_E_clISt17integral_constantIbLb0EESQ_EEDaSL_SM_EUlSL_E0_NS1_11comp_targetILNS1_3genE2ELNS1_11target_archE906ELNS1_3gpuE6ELNS1_3repE0EEENS1_30default_config_static_selectorELNS0_4arch9wavefront6targetE1EEEvT1_.kd
    .uniform_work_group_size: 1
    .uses_dynamic_stack: false
    .vgpr_count:     0
    .vgpr_spill_count: 0
    .wavefront_size: 64
  - .agpr_count:     0
    .args:
      - .offset:         0
        .size:           40
        .value_kind:     by_value
    .group_segment_fixed_size: 0
    .kernarg_segment_align: 8
    .kernarg_segment_size: 40
    .language:       OpenCL C
    .language_version:
      - 2
      - 0
    .max_flat_workgroup_size: 256
    .name:           _ZN7rocprim17ROCPRIM_400000_NS6detail17trampoline_kernelINS0_14default_configENS1_20scan_config_selectorIlEEZZNS1_9scan_implILNS1_25lookback_scan_determinismE0ELb0ELb0ES3_PlS8_lN6thrust23THRUST_200600_302600_NS4plusIvEElEEDaPvRmT3_T4_T5_mT6_P12ihipStream_tbENKUlT_T0_E_clISt17integral_constantIbLb0EESQ_EEDaSL_SM_EUlSL_E0_NS1_11comp_targetILNS1_3genE10ELNS1_11target_archE1201ELNS1_3gpuE5ELNS1_3repE0EEENS1_30default_config_static_selectorELNS0_4arch9wavefront6targetE1EEEvT1_
    .private_segment_fixed_size: 0
    .sgpr_count:     4
    .sgpr_spill_count: 0
    .symbol:         _ZN7rocprim17ROCPRIM_400000_NS6detail17trampoline_kernelINS0_14default_configENS1_20scan_config_selectorIlEEZZNS1_9scan_implILNS1_25lookback_scan_determinismE0ELb0ELb0ES3_PlS8_lN6thrust23THRUST_200600_302600_NS4plusIvEElEEDaPvRmT3_T4_T5_mT6_P12ihipStream_tbENKUlT_T0_E_clISt17integral_constantIbLb0EESQ_EEDaSL_SM_EUlSL_E0_NS1_11comp_targetILNS1_3genE10ELNS1_11target_archE1201ELNS1_3gpuE5ELNS1_3repE0EEENS1_30default_config_static_selectorELNS0_4arch9wavefront6targetE1EEEvT1_.kd
    .uniform_work_group_size: 1
    .uses_dynamic_stack: false
    .vgpr_count:     0
    .vgpr_spill_count: 0
    .wavefront_size: 64
  - .agpr_count:     0
    .args:
      - .offset:         0
        .size:           40
        .value_kind:     by_value
    .group_segment_fixed_size: 0
    .kernarg_segment_align: 8
    .kernarg_segment_size: 40
    .language:       OpenCL C
    .language_version:
      - 2
      - 0
    .max_flat_workgroup_size: 256
    .name:           _ZN7rocprim17ROCPRIM_400000_NS6detail17trampoline_kernelINS0_14default_configENS1_20scan_config_selectorIlEEZZNS1_9scan_implILNS1_25lookback_scan_determinismE0ELb0ELb0ES3_PlS8_lN6thrust23THRUST_200600_302600_NS4plusIvEElEEDaPvRmT3_T4_T5_mT6_P12ihipStream_tbENKUlT_T0_E_clISt17integral_constantIbLb0EESQ_EEDaSL_SM_EUlSL_E0_NS1_11comp_targetILNS1_3genE10ELNS1_11target_archE1200ELNS1_3gpuE4ELNS1_3repE0EEENS1_30default_config_static_selectorELNS0_4arch9wavefront6targetE1EEEvT1_
    .private_segment_fixed_size: 0
    .sgpr_count:     4
    .sgpr_spill_count: 0
    .symbol:         _ZN7rocprim17ROCPRIM_400000_NS6detail17trampoline_kernelINS0_14default_configENS1_20scan_config_selectorIlEEZZNS1_9scan_implILNS1_25lookback_scan_determinismE0ELb0ELb0ES3_PlS8_lN6thrust23THRUST_200600_302600_NS4plusIvEElEEDaPvRmT3_T4_T5_mT6_P12ihipStream_tbENKUlT_T0_E_clISt17integral_constantIbLb0EESQ_EEDaSL_SM_EUlSL_E0_NS1_11comp_targetILNS1_3genE10ELNS1_11target_archE1200ELNS1_3gpuE4ELNS1_3repE0EEENS1_30default_config_static_selectorELNS0_4arch9wavefront6targetE1EEEvT1_.kd
    .uniform_work_group_size: 1
    .uses_dynamic_stack: false
    .vgpr_count:     0
    .vgpr_spill_count: 0
    .wavefront_size: 64
  - .agpr_count:     0
    .args:
      - .offset:         0
        .size:           40
        .value_kind:     by_value
    .group_segment_fixed_size: 0
    .kernarg_segment_align: 8
    .kernarg_segment_size: 40
    .language:       OpenCL C
    .language_version:
      - 2
      - 0
    .max_flat_workgroup_size: 256
    .name:           _ZN7rocprim17ROCPRIM_400000_NS6detail17trampoline_kernelINS0_14default_configENS1_20scan_config_selectorIlEEZZNS1_9scan_implILNS1_25lookback_scan_determinismE0ELb0ELb0ES3_PlS8_lN6thrust23THRUST_200600_302600_NS4plusIvEElEEDaPvRmT3_T4_T5_mT6_P12ihipStream_tbENKUlT_T0_E_clISt17integral_constantIbLb0EESQ_EEDaSL_SM_EUlSL_E0_NS1_11comp_targetILNS1_3genE9ELNS1_11target_archE1100ELNS1_3gpuE3ELNS1_3repE0EEENS1_30default_config_static_selectorELNS0_4arch9wavefront6targetE1EEEvT1_
    .private_segment_fixed_size: 0
    .sgpr_count:     4
    .sgpr_spill_count: 0
    .symbol:         _ZN7rocprim17ROCPRIM_400000_NS6detail17trampoline_kernelINS0_14default_configENS1_20scan_config_selectorIlEEZZNS1_9scan_implILNS1_25lookback_scan_determinismE0ELb0ELb0ES3_PlS8_lN6thrust23THRUST_200600_302600_NS4plusIvEElEEDaPvRmT3_T4_T5_mT6_P12ihipStream_tbENKUlT_T0_E_clISt17integral_constantIbLb0EESQ_EEDaSL_SM_EUlSL_E0_NS1_11comp_targetILNS1_3genE9ELNS1_11target_archE1100ELNS1_3gpuE3ELNS1_3repE0EEENS1_30default_config_static_selectorELNS0_4arch9wavefront6targetE1EEEvT1_.kd
    .uniform_work_group_size: 1
    .uses_dynamic_stack: false
    .vgpr_count:     0
    .vgpr_spill_count: 0
    .wavefront_size: 64
  - .agpr_count:     0
    .args:
      - .offset:         0
        .size:           40
        .value_kind:     by_value
    .group_segment_fixed_size: 0
    .kernarg_segment_align: 8
    .kernarg_segment_size: 40
    .language:       OpenCL C
    .language_version:
      - 2
      - 0
    .max_flat_workgroup_size: 256
    .name:           _ZN7rocprim17ROCPRIM_400000_NS6detail17trampoline_kernelINS0_14default_configENS1_20scan_config_selectorIlEEZZNS1_9scan_implILNS1_25lookback_scan_determinismE0ELb0ELb0ES3_PlS8_lN6thrust23THRUST_200600_302600_NS4plusIvEElEEDaPvRmT3_T4_T5_mT6_P12ihipStream_tbENKUlT_T0_E_clISt17integral_constantIbLb0EESQ_EEDaSL_SM_EUlSL_E0_NS1_11comp_targetILNS1_3genE8ELNS1_11target_archE1030ELNS1_3gpuE2ELNS1_3repE0EEENS1_30default_config_static_selectorELNS0_4arch9wavefront6targetE1EEEvT1_
    .private_segment_fixed_size: 0
    .sgpr_count:     4
    .sgpr_spill_count: 0
    .symbol:         _ZN7rocprim17ROCPRIM_400000_NS6detail17trampoline_kernelINS0_14default_configENS1_20scan_config_selectorIlEEZZNS1_9scan_implILNS1_25lookback_scan_determinismE0ELb0ELb0ES3_PlS8_lN6thrust23THRUST_200600_302600_NS4plusIvEElEEDaPvRmT3_T4_T5_mT6_P12ihipStream_tbENKUlT_T0_E_clISt17integral_constantIbLb0EESQ_EEDaSL_SM_EUlSL_E0_NS1_11comp_targetILNS1_3genE8ELNS1_11target_archE1030ELNS1_3gpuE2ELNS1_3repE0EEENS1_30default_config_static_selectorELNS0_4arch9wavefront6targetE1EEEvT1_.kd
    .uniform_work_group_size: 1
    .uses_dynamic_stack: false
    .vgpr_count:     0
    .vgpr_spill_count: 0
    .wavefront_size: 64
  - .agpr_count:     0
    .args:
      - .address_space:  global
        .offset:         0
        .size:           8
        .value_kind:     global_buffer
      - .offset:         8
        .size:           4
        .value_kind:     by_value
      - .address_space:  global
        .offset:         16
        .size:           8
        .value_kind:     global_buffer
      - .offset:         24
        .size:           4
        .value_kind:     by_value
      - .address_space:  global
        .offset:         32
        .size:           8
        .value_kind:     global_buffer
      - .offset:         40
        .size:           4
        .value_kind:     hidden_block_count_x
      - .offset:         44
        .size:           4
        .value_kind:     hidden_block_count_y
      - .offset:         48
        .size:           4
        .value_kind:     hidden_block_count_z
      - .offset:         52
        .size:           2
        .value_kind:     hidden_group_size_x
      - .offset:         54
        .size:           2
        .value_kind:     hidden_group_size_y
      - .offset:         56
        .size:           2
        .value_kind:     hidden_group_size_z
      - .offset:         58
        .size:           2
        .value_kind:     hidden_remainder_x
      - .offset:         60
        .size:           2
        .value_kind:     hidden_remainder_y
      - .offset:         62
        .size:           2
        .value_kind:     hidden_remainder_z
      - .offset:         80
        .size:           8
        .value_kind:     hidden_global_offset_x
      - .offset:         88
        .size:           8
        .value_kind:     hidden_global_offset_y
      - .offset:         96
        .size:           8
        .value_kind:     hidden_global_offset_z
      - .offset:         104
        .size:           2
        .value_kind:     hidden_grid_dims
    .group_segment_fixed_size: 0
    .kernarg_segment_align: 8
    .kernarg_segment_size: 296
    .language:       OpenCL C
    .language_version:
      - 2
      - 0
    .max_flat_workgroup_size: 256
    .name:           _ZN7rocprim17ROCPRIM_400000_NS6detail31init_lookback_scan_state_kernelINS1_19lookback_scan_stateIlLb1ELb1EEENS1_16block_id_wrapperIjLb1EEEEEvT_jT0_jPNS7_10value_typeE
    .private_segment_fixed_size: 0
    .sgpr_count:     20
    .sgpr_spill_count: 0
    .symbol:         _ZN7rocprim17ROCPRIM_400000_NS6detail31init_lookback_scan_state_kernelINS1_19lookback_scan_stateIlLb1ELb1EEENS1_16block_id_wrapperIjLb1EEEEEvT_jT0_jPNS7_10value_typeE.kd
    .uniform_work_group_size: 1
    .uses_dynamic_stack: false
    .vgpr_count:     10
    .vgpr_spill_count: 0
    .wavefront_size: 64
  - .agpr_count:     0
    .args:
      - .offset:         0
        .size:           104
        .value_kind:     by_value
    .group_segment_fixed_size: 0
    .kernarg_segment_align: 8
    .kernarg_segment_size: 104
    .language:       OpenCL C
    .language_version:
      - 2
      - 0
    .max_flat_workgroup_size: 256
    .name:           _ZN7rocprim17ROCPRIM_400000_NS6detail17trampoline_kernelINS0_14default_configENS1_20scan_config_selectorIlEEZZNS1_9scan_implILNS1_25lookback_scan_determinismE0ELb0ELb0ES3_PlS8_lN6thrust23THRUST_200600_302600_NS4plusIvEElEEDaPvRmT3_T4_T5_mT6_P12ihipStream_tbENKUlT_T0_E_clISt17integral_constantIbLb1EESQ_EEDaSL_SM_EUlSL_E_NS1_11comp_targetILNS1_3genE0ELNS1_11target_archE4294967295ELNS1_3gpuE0ELNS1_3repE0EEENS1_30default_config_static_selectorELNS0_4arch9wavefront6targetE1EEEvT1_
    .private_segment_fixed_size: 0
    .sgpr_count:     4
    .sgpr_spill_count: 0
    .symbol:         _ZN7rocprim17ROCPRIM_400000_NS6detail17trampoline_kernelINS0_14default_configENS1_20scan_config_selectorIlEEZZNS1_9scan_implILNS1_25lookback_scan_determinismE0ELb0ELb0ES3_PlS8_lN6thrust23THRUST_200600_302600_NS4plusIvEElEEDaPvRmT3_T4_T5_mT6_P12ihipStream_tbENKUlT_T0_E_clISt17integral_constantIbLb1EESQ_EEDaSL_SM_EUlSL_E_NS1_11comp_targetILNS1_3genE0ELNS1_11target_archE4294967295ELNS1_3gpuE0ELNS1_3repE0EEENS1_30default_config_static_selectorELNS0_4arch9wavefront6targetE1EEEvT1_.kd
    .uniform_work_group_size: 1
    .uses_dynamic_stack: false
    .vgpr_count:     0
    .vgpr_spill_count: 0
    .wavefront_size: 64
  - .agpr_count:     0
    .args:
      - .offset:         0
        .size:           104
        .value_kind:     by_value
    .group_segment_fixed_size: 0
    .kernarg_segment_align: 8
    .kernarg_segment_size: 104
    .language:       OpenCL C
    .language_version:
      - 2
      - 0
    .max_flat_workgroup_size: 256
    .name:           _ZN7rocprim17ROCPRIM_400000_NS6detail17trampoline_kernelINS0_14default_configENS1_20scan_config_selectorIlEEZZNS1_9scan_implILNS1_25lookback_scan_determinismE0ELb0ELb0ES3_PlS8_lN6thrust23THRUST_200600_302600_NS4plusIvEElEEDaPvRmT3_T4_T5_mT6_P12ihipStream_tbENKUlT_T0_E_clISt17integral_constantIbLb1EESQ_EEDaSL_SM_EUlSL_E_NS1_11comp_targetILNS1_3genE5ELNS1_11target_archE942ELNS1_3gpuE9ELNS1_3repE0EEENS1_30default_config_static_selectorELNS0_4arch9wavefront6targetE1EEEvT1_
    .private_segment_fixed_size: 0
    .sgpr_count:     4
    .sgpr_spill_count: 0
    .symbol:         _ZN7rocprim17ROCPRIM_400000_NS6detail17trampoline_kernelINS0_14default_configENS1_20scan_config_selectorIlEEZZNS1_9scan_implILNS1_25lookback_scan_determinismE0ELb0ELb0ES3_PlS8_lN6thrust23THRUST_200600_302600_NS4plusIvEElEEDaPvRmT3_T4_T5_mT6_P12ihipStream_tbENKUlT_T0_E_clISt17integral_constantIbLb1EESQ_EEDaSL_SM_EUlSL_E_NS1_11comp_targetILNS1_3genE5ELNS1_11target_archE942ELNS1_3gpuE9ELNS1_3repE0EEENS1_30default_config_static_selectorELNS0_4arch9wavefront6targetE1EEEvT1_.kd
    .uniform_work_group_size: 1
    .uses_dynamic_stack: false
    .vgpr_count:     0
    .vgpr_spill_count: 0
    .wavefront_size: 64
  - .agpr_count:     0
    .args:
      - .offset:         0
        .size:           104
        .value_kind:     by_value
    .group_segment_fixed_size: 7168
    .kernarg_segment_align: 8
    .kernarg_segment_size: 104
    .language:       OpenCL C
    .language_version:
      - 2
      - 0
    .max_flat_workgroup_size: 128
    .name:           _ZN7rocprim17ROCPRIM_400000_NS6detail17trampoline_kernelINS0_14default_configENS1_20scan_config_selectorIlEEZZNS1_9scan_implILNS1_25lookback_scan_determinismE0ELb0ELb0ES3_PlS8_lN6thrust23THRUST_200600_302600_NS4plusIvEElEEDaPvRmT3_T4_T5_mT6_P12ihipStream_tbENKUlT_T0_E_clISt17integral_constantIbLb1EESQ_EEDaSL_SM_EUlSL_E_NS1_11comp_targetILNS1_3genE4ELNS1_11target_archE910ELNS1_3gpuE8ELNS1_3repE0EEENS1_30default_config_static_selectorELNS0_4arch9wavefront6targetE1EEEvT1_
    .private_segment_fixed_size: 0
    .sgpr_count:     42
    .sgpr_spill_count: 0
    .symbol:         _ZN7rocprim17ROCPRIM_400000_NS6detail17trampoline_kernelINS0_14default_configENS1_20scan_config_selectorIlEEZZNS1_9scan_implILNS1_25lookback_scan_determinismE0ELb0ELb0ES3_PlS8_lN6thrust23THRUST_200600_302600_NS4plusIvEElEEDaPvRmT3_T4_T5_mT6_P12ihipStream_tbENKUlT_T0_E_clISt17integral_constantIbLb1EESQ_EEDaSL_SM_EUlSL_E_NS1_11comp_targetILNS1_3genE4ELNS1_11target_archE910ELNS1_3gpuE8ELNS1_3repE0EEENS1_30default_config_static_selectorELNS0_4arch9wavefront6targetE1EEEvT1_.kd
    .uniform_work_group_size: 1
    .uses_dynamic_stack: false
    .vgpr_count:     51
    .vgpr_spill_count: 0
    .wavefront_size: 64
  - .agpr_count:     0
    .args:
      - .offset:         0
        .size:           104
        .value_kind:     by_value
    .group_segment_fixed_size: 0
    .kernarg_segment_align: 8
    .kernarg_segment_size: 104
    .language:       OpenCL C
    .language_version:
      - 2
      - 0
    .max_flat_workgroup_size: 256
    .name:           _ZN7rocprim17ROCPRIM_400000_NS6detail17trampoline_kernelINS0_14default_configENS1_20scan_config_selectorIlEEZZNS1_9scan_implILNS1_25lookback_scan_determinismE0ELb0ELb0ES3_PlS8_lN6thrust23THRUST_200600_302600_NS4plusIvEElEEDaPvRmT3_T4_T5_mT6_P12ihipStream_tbENKUlT_T0_E_clISt17integral_constantIbLb1EESQ_EEDaSL_SM_EUlSL_E_NS1_11comp_targetILNS1_3genE3ELNS1_11target_archE908ELNS1_3gpuE7ELNS1_3repE0EEENS1_30default_config_static_selectorELNS0_4arch9wavefront6targetE1EEEvT1_
    .private_segment_fixed_size: 0
    .sgpr_count:     4
    .sgpr_spill_count: 0
    .symbol:         _ZN7rocprim17ROCPRIM_400000_NS6detail17trampoline_kernelINS0_14default_configENS1_20scan_config_selectorIlEEZZNS1_9scan_implILNS1_25lookback_scan_determinismE0ELb0ELb0ES3_PlS8_lN6thrust23THRUST_200600_302600_NS4plusIvEElEEDaPvRmT3_T4_T5_mT6_P12ihipStream_tbENKUlT_T0_E_clISt17integral_constantIbLb1EESQ_EEDaSL_SM_EUlSL_E_NS1_11comp_targetILNS1_3genE3ELNS1_11target_archE908ELNS1_3gpuE7ELNS1_3repE0EEENS1_30default_config_static_selectorELNS0_4arch9wavefront6targetE1EEEvT1_.kd
    .uniform_work_group_size: 1
    .uses_dynamic_stack: false
    .vgpr_count:     0
    .vgpr_spill_count: 0
    .wavefront_size: 64
  - .agpr_count:     0
    .args:
      - .offset:         0
        .size:           104
        .value_kind:     by_value
    .group_segment_fixed_size: 0
    .kernarg_segment_align: 8
    .kernarg_segment_size: 104
    .language:       OpenCL C
    .language_version:
      - 2
      - 0
    .max_flat_workgroup_size: 64
    .name:           _ZN7rocprim17ROCPRIM_400000_NS6detail17trampoline_kernelINS0_14default_configENS1_20scan_config_selectorIlEEZZNS1_9scan_implILNS1_25lookback_scan_determinismE0ELb0ELb0ES3_PlS8_lN6thrust23THRUST_200600_302600_NS4plusIvEElEEDaPvRmT3_T4_T5_mT6_P12ihipStream_tbENKUlT_T0_E_clISt17integral_constantIbLb1EESQ_EEDaSL_SM_EUlSL_E_NS1_11comp_targetILNS1_3genE2ELNS1_11target_archE906ELNS1_3gpuE6ELNS1_3repE0EEENS1_30default_config_static_selectorELNS0_4arch9wavefront6targetE1EEEvT1_
    .private_segment_fixed_size: 0
    .sgpr_count:     4
    .sgpr_spill_count: 0
    .symbol:         _ZN7rocprim17ROCPRIM_400000_NS6detail17trampoline_kernelINS0_14default_configENS1_20scan_config_selectorIlEEZZNS1_9scan_implILNS1_25lookback_scan_determinismE0ELb0ELb0ES3_PlS8_lN6thrust23THRUST_200600_302600_NS4plusIvEElEEDaPvRmT3_T4_T5_mT6_P12ihipStream_tbENKUlT_T0_E_clISt17integral_constantIbLb1EESQ_EEDaSL_SM_EUlSL_E_NS1_11comp_targetILNS1_3genE2ELNS1_11target_archE906ELNS1_3gpuE6ELNS1_3repE0EEENS1_30default_config_static_selectorELNS0_4arch9wavefront6targetE1EEEvT1_.kd
    .uniform_work_group_size: 1
    .uses_dynamic_stack: false
    .vgpr_count:     0
    .vgpr_spill_count: 0
    .wavefront_size: 64
  - .agpr_count:     0
    .args:
      - .offset:         0
        .size:           104
        .value_kind:     by_value
    .group_segment_fixed_size: 0
    .kernarg_segment_align: 8
    .kernarg_segment_size: 104
    .language:       OpenCL C
    .language_version:
      - 2
      - 0
    .max_flat_workgroup_size: 256
    .name:           _ZN7rocprim17ROCPRIM_400000_NS6detail17trampoline_kernelINS0_14default_configENS1_20scan_config_selectorIlEEZZNS1_9scan_implILNS1_25lookback_scan_determinismE0ELb0ELb0ES3_PlS8_lN6thrust23THRUST_200600_302600_NS4plusIvEElEEDaPvRmT3_T4_T5_mT6_P12ihipStream_tbENKUlT_T0_E_clISt17integral_constantIbLb1EESQ_EEDaSL_SM_EUlSL_E_NS1_11comp_targetILNS1_3genE10ELNS1_11target_archE1201ELNS1_3gpuE5ELNS1_3repE0EEENS1_30default_config_static_selectorELNS0_4arch9wavefront6targetE1EEEvT1_
    .private_segment_fixed_size: 0
    .sgpr_count:     4
    .sgpr_spill_count: 0
    .symbol:         _ZN7rocprim17ROCPRIM_400000_NS6detail17trampoline_kernelINS0_14default_configENS1_20scan_config_selectorIlEEZZNS1_9scan_implILNS1_25lookback_scan_determinismE0ELb0ELb0ES3_PlS8_lN6thrust23THRUST_200600_302600_NS4plusIvEElEEDaPvRmT3_T4_T5_mT6_P12ihipStream_tbENKUlT_T0_E_clISt17integral_constantIbLb1EESQ_EEDaSL_SM_EUlSL_E_NS1_11comp_targetILNS1_3genE10ELNS1_11target_archE1201ELNS1_3gpuE5ELNS1_3repE0EEENS1_30default_config_static_selectorELNS0_4arch9wavefront6targetE1EEEvT1_.kd
    .uniform_work_group_size: 1
    .uses_dynamic_stack: false
    .vgpr_count:     0
    .vgpr_spill_count: 0
    .wavefront_size: 64
  - .agpr_count:     0
    .args:
      - .offset:         0
        .size:           104
        .value_kind:     by_value
    .group_segment_fixed_size: 0
    .kernarg_segment_align: 8
    .kernarg_segment_size: 104
    .language:       OpenCL C
    .language_version:
      - 2
      - 0
    .max_flat_workgroup_size: 256
    .name:           _ZN7rocprim17ROCPRIM_400000_NS6detail17trampoline_kernelINS0_14default_configENS1_20scan_config_selectorIlEEZZNS1_9scan_implILNS1_25lookback_scan_determinismE0ELb0ELb0ES3_PlS8_lN6thrust23THRUST_200600_302600_NS4plusIvEElEEDaPvRmT3_T4_T5_mT6_P12ihipStream_tbENKUlT_T0_E_clISt17integral_constantIbLb1EESQ_EEDaSL_SM_EUlSL_E_NS1_11comp_targetILNS1_3genE10ELNS1_11target_archE1200ELNS1_3gpuE4ELNS1_3repE0EEENS1_30default_config_static_selectorELNS0_4arch9wavefront6targetE1EEEvT1_
    .private_segment_fixed_size: 0
    .sgpr_count:     4
    .sgpr_spill_count: 0
    .symbol:         _ZN7rocprim17ROCPRIM_400000_NS6detail17trampoline_kernelINS0_14default_configENS1_20scan_config_selectorIlEEZZNS1_9scan_implILNS1_25lookback_scan_determinismE0ELb0ELb0ES3_PlS8_lN6thrust23THRUST_200600_302600_NS4plusIvEElEEDaPvRmT3_T4_T5_mT6_P12ihipStream_tbENKUlT_T0_E_clISt17integral_constantIbLb1EESQ_EEDaSL_SM_EUlSL_E_NS1_11comp_targetILNS1_3genE10ELNS1_11target_archE1200ELNS1_3gpuE4ELNS1_3repE0EEENS1_30default_config_static_selectorELNS0_4arch9wavefront6targetE1EEEvT1_.kd
    .uniform_work_group_size: 1
    .uses_dynamic_stack: false
    .vgpr_count:     0
    .vgpr_spill_count: 0
    .wavefront_size: 64
  - .agpr_count:     0
    .args:
      - .offset:         0
        .size:           104
        .value_kind:     by_value
    .group_segment_fixed_size: 0
    .kernarg_segment_align: 8
    .kernarg_segment_size: 104
    .language:       OpenCL C
    .language_version:
      - 2
      - 0
    .max_flat_workgroup_size: 256
    .name:           _ZN7rocprim17ROCPRIM_400000_NS6detail17trampoline_kernelINS0_14default_configENS1_20scan_config_selectorIlEEZZNS1_9scan_implILNS1_25lookback_scan_determinismE0ELb0ELb0ES3_PlS8_lN6thrust23THRUST_200600_302600_NS4plusIvEElEEDaPvRmT3_T4_T5_mT6_P12ihipStream_tbENKUlT_T0_E_clISt17integral_constantIbLb1EESQ_EEDaSL_SM_EUlSL_E_NS1_11comp_targetILNS1_3genE9ELNS1_11target_archE1100ELNS1_3gpuE3ELNS1_3repE0EEENS1_30default_config_static_selectorELNS0_4arch9wavefront6targetE1EEEvT1_
    .private_segment_fixed_size: 0
    .sgpr_count:     4
    .sgpr_spill_count: 0
    .symbol:         _ZN7rocprim17ROCPRIM_400000_NS6detail17trampoline_kernelINS0_14default_configENS1_20scan_config_selectorIlEEZZNS1_9scan_implILNS1_25lookback_scan_determinismE0ELb0ELb0ES3_PlS8_lN6thrust23THRUST_200600_302600_NS4plusIvEElEEDaPvRmT3_T4_T5_mT6_P12ihipStream_tbENKUlT_T0_E_clISt17integral_constantIbLb1EESQ_EEDaSL_SM_EUlSL_E_NS1_11comp_targetILNS1_3genE9ELNS1_11target_archE1100ELNS1_3gpuE3ELNS1_3repE0EEENS1_30default_config_static_selectorELNS0_4arch9wavefront6targetE1EEEvT1_.kd
    .uniform_work_group_size: 1
    .uses_dynamic_stack: false
    .vgpr_count:     0
    .vgpr_spill_count: 0
    .wavefront_size: 64
  - .agpr_count:     0
    .args:
      - .offset:         0
        .size:           104
        .value_kind:     by_value
    .group_segment_fixed_size: 0
    .kernarg_segment_align: 8
    .kernarg_segment_size: 104
    .language:       OpenCL C
    .language_version:
      - 2
      - 0
    .max_flat_workgroup_size: 256
    .name:           _ZN7rocprim17ROCPRIM_400000_NS6detail17trampoline_kernelINS0_14default_configENS1_20scan_config_selectorIlEEZZNS1_9scan_implILNS1_25lookback_scan_determinismE0ELb0ELb0ES3_PlS8_lN6thrust23THRUST_200600_302600_NS4plusIvEElEEDaPvRmT3_T4_T5_mT6_P12ihipStream_tbENKUlT_T0_E_clISt17integral_constantIbLb1EESQ_EEDaSL_SM_EUlSL_E_NS1_11comp_targetILNS1_3genE8ELNS1_11target_archE1030ELNS1_3gpuE2ELNS1_3repE0EEENS1_30default_config_static_selectorELNS0_4arch9wavefront6targetE1EEEvT1_
    .private_segment_fixed_size: 0
    .sgpr_count:     4
    .sgpr_spill_count: 0
    .symbol:         _ZN7rocprim17ROCPRIM_400000_NS6detail17trampoline_kernelINS0_14default_configENS1_20scan_config_selectorIlEEZZNS1_9scan_implILNS1_25lookback_scan_determinismE0ELb0ELb0ES3_PlS8_lN6thrust23THRUST_200600_302600_NS4plusIvEElEEDaPvRmT3_T4_T5_mT6_P12ihipStream_tbENKUlT_T0_E_clISt17integral_constantIbLb1EESQ_EEDaSL_SM_EUlSL_E_NS1_11comp_targetILNS1_3genE8ELNS1_11target_archE1030ELNS1_3gpuE2ELNS1_3repE0EEENS1_30default_config_static_selectorELNS0_4arch9wavefront6targetE1EEEvT1_.kd
    .uniform_work_group_size: 1
    .uses_dynamic_stack: false
    .vgpr_count:     0
    .vgpr_spill_count: 0
    .wavefront_size: 64
  - .agpr_count:     0
    .args:
      - .offset:         0
        .size:           40
        .value_kind:     by_value
    .group_segment_fixed_size: 0
    .kernarg_segment_align: 8
    .kernarg_segment_size: 40
    .language:       OpenCL C
    .language_version:
      - 2
      - 0
    .max_flat_workgroup_size: 256
    .name:           _ZN7rocprim17ROCPRIM_400000_NS6detail17trampoline_kernelINS0_14default_configENS1_20scan_config_selectorIlEEZZNS1_9scan_implILNS1_25lookback_scan_determinismE0ELb0ELb0ES3_PlS8_lN6thrust23THRUST_200600_302600_NS4plusIvEElEEDaPvRmT3_T4_T5_mT6_P12ihipStream_tbENKUlT_T0_E_clISt17integral_constantIbLb1EESQ_EEDaSL_SM_EUlSL_E0_NS1_11comp_targetILNS1_3genE0ELNS1_11target_archE4294967295ELNS1_3gpuE0ELNS1_3repE0EEENS1_30default_config_static_selectorELNS0_4arch9wavefront6targetE1EEEvT1_
    .private_segment_fixed_size: 0
    .sgpr_count:     4
    .sgpr_spill_count: 0
    .symbol:         _ZN7rocprim17ROCPRIM_400000_NS6detail17trampoline_kernelINS0_14default_configENS1_20scan_config_selectorIlEEZZNS1_9scan_implILNS1_25lookback_scan_determinismE0ELb0ELb0ES3_PlS8_lN6thrust23THRUST_200600_302600_NS4plusIvEElEEDaPvRmT3_T4_T5_mT6_P12ihipStream_tbENKUlT_T0_E_clISt17integral_constantIbLb1EESQ_EEDaSL_SM_EUlSL_E0_NS1_11comp_targetILNS1_3genE0ELNS1_11target_archE4294967295ELNS1_3gpuE0ELNS1_3repE0EEENS1_30default_config_static_selectorELNS0_4arch9wavefront6targetE1EEEvT1_.kd
    .uniform_work_group_size: 1
    .uses_dynamic_stack: false
    .vgpr_count:     0
    .vgpr_spill_count: 0
    .wavefront_size: 64
  - .agpr_count:     0
    .args:
      - .offset:         0
        .size:           40
        .value_kind:     by_value
    .group_segment_fixed_size: 0
    .kernarg_segment_align: 8
    .kernarg_segment_size: 40
    .language:       OpenCL C
    .language_version:
      - 2
      - 0
    .max_flat_workgroup_size: 256
    .name:           _ZN7rocprim17ROCPRIM_400000_NS6detail17trampoline_kernelINS0_14default_configENS1_20scan_config_selectorIlEEZZNS1_9scan_implILNS1_25lookback_scan_determinismE0ELb0ELb0ES3_PlS8_lN6thrust23THRUST_200600_302600_NS4plusIvEElEEDaPvRmT3_T4_T5_mT6_P12ihipStream_tbENKUlT_T0_E_clISt17integral_constantIbLb1EESQ_EEDaSL_SM_EUlSL_E0_NS1_11comp_targetILNS1_3genE5ELNS1_11target_archE942ELNS1_3gpuE9ELNS1_3repE0EEENS1_30default_config_static_selectorELNS0_4arch9wavefront6targetE1EEEvT1_
    .private_segment_fixed_size: 0
    .sgpr_count:     4
    .sgpr_spill_count: 0
    .symbol:         _ZN7rocprim17ROCPRIM_400000_NS6detail17trampoline_kernelINS0_14default_configENS1_20scan_config_selectorIlEEZZNS1_9scan_implILNS1_25lookback_scan_determinismE0ELb0ELb0ES3_PlS8_lN6thrust23THRUST_200600_302600_NS4plusIvEElEEDaPvRmT3_T4_T5_mT6_P12ihipStream_tbENKUlT_T0_E_clISt17integral_constantIbLb1EESQ_EEDaSL_SM_EUlSL_E0_NS1_11comp_targetILNS1_3genE5ELNS1_11target_archE942ELNS1_3gpuE9ELNS1_3repE0EEENS1_30default_config_static_selectorELNS0_4arch9wavefront6targetE1EEEvT1_.kd
    .uniform_work_group_size: 1
    .uses_dynamic_stack: false
    .vgpr_count:     0
    .vgpr_spill_count: 0
    .wavefront_size: 64
  - .agpr_count:     0
    .args:
      - .offset:         0
        .size:           40
        .value_kind:     by_value
    .group_segment_fixed_size: 7168
    .kernarg_segment_align: 8
    .kernarg_segment_size: 40
    .language:       OpenCL C
    .language_version:
      - 2
      - 0
    .max_flat_workgroup_size: 128
    .name:           _ZN7rocprim17ROCPRIM_400000_NS6detail17trampoline_kernelINS0_14default_configENS1_20scan_config_selectorIlEEZZNS1_9scan_implILNS1_25lookback_scan_determinismE0ELb0ELb0ES3_PlS8_lN6thrust23THRUST_200600_302600_NS4plusIvEElEEDaPvRmT3_T4_T5_mT6_P12ihipStream_tbENKUlT_T0_E_clISt17integral_constantIbLb1EESQ_EEDaSL_SM_EUlSL_E0_NS1_11comp_targetILNS1_3genE4ELNS1_11target_archE910ELNS1_3gpuE8ELNS1_3repE0EEENS1_30default_config_static_selectorELNS0_4arch9wavefront6targetE1EEEvT1_
    .private_segment_fixed_size: 0
    .sgpr_count:     26
    .sgpr_spill_count: 0
    .symbol:         _ZN7rocprim17ROCPRIM_400000_NS6detail17trampoline_kernelINS0_14default_configENS1_20scan_config_selectorIlEEZZNS1_9scan_implILNS1_25lookback_scan_determinismE0ELb0ELb0ES3_PlS8_lN6thrust23THRUST_200600_302600_NS4plusIvEElEEDaPvRmT3_T4_T5_mT6_P12ihipStream_tbENKUlT_T0_E_clISt17integral_constantIbLb1EESQ_EEDaSL_SM_EUlSL_E0_NS1_11comp_targetILNS1_3genE4ELNS1_11target_archE910ELNS1_3gpuE8ELNS1_3repE0EEENS1_30default_config_static_selectorELNS0_4arch9wavefront6targetE1EEEvT1_.kd
    .uniform_work_group_size: 1
    .uses_dynamic_stack: false
    .vgpr_count:     41
    .vgpr_spill_count: 0
    .wavefront_size: 64
  - .agpr_count:     0
    .args:
      - .offset:         0
        .size:           40
        .value_kind:     by_value
    .group_segment_fixed_size: 0
    .kernarg_segment_align: 8
    .kernarg_segment_size: 40
    .language:       OpenCL C
    .language_version:
      - 2
      - 0
    .max_flat_workgroup_size: 256
    .name:           _ZN7rocprim17ROCPRIM_400000_NS6detail17trampoline_kernelINS0_14default_configENS1_20scan_config_selectorIlEEZZNS1_9scan_implILNS1_25lookback_scan_determinismE0ELb0ELb0ES3_PlS8_lN6thrust23THRUST_200600_302600_NS4plusIvEElEEDaPvRmT3_T4_T5_mT6_P12ihipStream_tbENKUlT_T0_E_clISt17integral_constantIbLb1EESQ_EEDaSL_SM_EUlSL_E0_NS1_11comp_targetILNS1_3genE3ELNS1_11target_archE908ELNS1_3gpuE7ELNS1_3repE0EEENS1_30default_config_static_selectorELNS0_4arch9wavefront6targetE1EEEvT1_
    .private_segment_fixed_size: 0
    .sgpr_count:     4
    .sgpr_spill_count: 0
    .symbol:         _ZN7rocprim17ROCPRIM_400000_NS6detail17trampoline_kernelINS0_14default_configENS1_20scan_config_selectorIlEEZZNS1_9scan_implILNS1_25lookback_scan_determinismE0ELb0ELb0ES3_PlS8_lN6thrust23THRUST_200600_302600_NS4plusIvEElEEDaPvRmT3_T4_T5_mT6_P12ihipStream_tbENKUlT_T0_E_clISt17integral_constantIbLb1EESQ_EEDaSL_SM_EUlSL_E0_NS1_11comp_targetILNS1_3genE3ELNS1_11target_archE908ELNS1_3gpuE7ELNS1_3repE0EEENS1_30default_config_static_selectorELNS0_4arch9wavefront6targetE1EEEvT1_.kd
    .uniform_work_group_size: 1
    .uses_dynamic_stack: false
    .vgpr_count:     0
    .vgpr_spill_count: 0
    .wavefront_size: 64
  - .agpr_count:     0
    .args:
      - .offset:         0
        .size:           40
        .value_kind:     by_value
    .group_segment_fixed_size: 0
    .kernarg_segment_align: 8
    .kernarg_segment_size: 40
    .language:       OpenCL C
    .language_version:
      - 2
      - 0
    .max_flat_workgroup_size: 64
    .name:           _ZN7rocprim17ROCPRIM_400000_NS6detail17trampoline_kernelINS0_14default_configENS1_20scan_config_selectorIlEEZZNS1_9scan_implILNS1_25lookback_scan_determinismE0ELb0ELb0ES3_PlS8_lN6thrust23THRUST_200600_302600_NS4plusIvEElEEDaPvRmT3_T4_T5_mT6_P12ihipStream_tbENKUlT_T0_E_clISt17integral_constantIbLb1EESQ_EEDaSL_SM_EUlSL_E0_NS1_11comp_targetILNS1_3genE2ELNS1_11target_archE906ELNS1_3gpuE6ELNS1_3repE0EEENS1_30default_config_static_selectorELNS0_4arch9wavefront6targetE1EEEvT1_
    .private_segment_fixed_size: 0
    .sgpr_count:     4
    .sgpr_spill_count: 0
    .symbol:         _ZN7rocprim17ROCPRIM_400000_NS6detail17trampoline_kernelINS0_14default_configENS1_20scan_config_selectorIlEEZZNS1_9scan_implILNS1_25lookback_scan_determinismE0ELb0ELb0ES3_PlS8_lN6thrust23THRUST_200600_302600_NS4plusIvEElEEDaPvRmT3_T4_T5_mT6_P12ihipStream_tbENKUlT_T0_E_clISt17integral_constantIbLb1EESQ_EEDaSL_SM_EUlSL_E0_NS1_11comp_targetILNS1_3genE2ELNS1_11target_archE906ELNS1_3gpuE6ELNS1_3repE0EEENS1_30default_config_static_selectorELNS0_4arch9wavefront6targetE1EEEvT1_.kd
    .uniform_work_group_size: 1
    .uses_dynamic_stack: false
    .vgpr_count:     0
    .vgpr_spill_count: 0
    .wavefront_size: 64
  - .agpr_count:     0
    .args:
      - .offset:         0
        .size:           40
        .value_kind:     by_value
    .group_segment_fixed_size: 0
    .kernarg_segment_align: 8
    .kernarg_segment_size: 40
    .language:       OpenCL C
    .language_version:
      - 2
      - 0
    .max_flat_workgroup_size: 256
    .name:           _ZN7rocprim17ROCPRIM_400000_NS6detail17trampoline_kernelINS0_14default_configENS1_20scan_config_selectorIlEEZZNS1_9scan_implILNS1_25lookback_scan_determinismE0ELb0ELb0ES3_PlS8_lN6thrust23THRUST_200600_302600_NS4plusIvEElEEDaPvRmT3_T4_T5_mT6_P12ihipStream_tbENKUlT_T0_E_clISt17integral_constantIbLb1EESQ_EEDaSL_SM_EUlSL_E0_NS1_11comp_targetILNS1_3genE10ELNS1_11target_archE1201ELNS1_3gpuE5ELNS1_3repE0EEENS1_30default_config_static_selectorELNS0_4arch9wavefront6targetE1EEEvT1_
    .private_segment_fixed_size: 0
    .sgpr_count:     4
    .sgpr_spill_count: 0
    .symbol:         _ZN7rocprim17ROCPRIM_400000_NS6detail17trampoline_kernelINS0_14default_configENS1_20scan_config_selectorIlEEZZNS1_9scan_implILNS1_25lookback_scan_determinismE0ELb0ELb0ES3_PlS8_lN6thrust23THRUST_200600_302600_NS4plusIvEElEEDaPvRmT3_T4_T5_mT6_P12ihipStream_tbENKUlT_T0_E_clISt17integral_constantIbLb1EESQ_EEDaSL_SM_EUlSL_E0_NS1_11comp_targetILNS1_3genE10ELNS1_11target_archE1201ELNS1_3gpuE5ELNS1_3repE0EEENS1_30default_config_static_selectorELNS0_4arch9wavefront6targetE1EEEvT1_.kd
    .uniform_work_group_size: 1
    .uses_dynamic_stack: false
    .vgpr_count:     0
    .vgpr_spill_count: 0
    .wavefront_size: 64
  - .agpr_count:     0
    .args:
      - .offset:         0
        .size:           40
        .value_kind:     by_value
    .group_segment_fixed_size: 0
    .kernarg_segment_align: 8
    .kernarg_segment_size: 40
    .language:       OpenCL C
    .language_version:
      - 2
      - 0
    .max_flat_workgroup_size: 256
    .name:           _ZN7rocprim17ROCPRIM_400000_NS6detail17trampoline_kernelINS0_14default_configENS1_20scan_config_selectorIlEEZZNS1_9scan_implILNS1_25lookback_scan_determinismE0ELb0ELb0ES3_PlS8_lN6thrust23THRUST_200600_302600_NS4plusIvEElEEDaPvRmT3_T4_T5_mT6_P12ihipStream_tbENKUlT_T0_E_clISt17integral_constantIbLb1EESQ_EEDaSL_SM_EUlSL_E0_NS1_11comp_targetILNS1_3genE10ELNS1_11target_archE1200ELNS1_3gpuE4ELNS1_3repE0EEENS1_30default_config_static_selectorELNS0_4arch9wavefront6targetE1EEEvT1_
    .private_segment_fixed_size: 0
    .sgpr_count:     4
    .sgpr_spill_count: 0
    .symbol:         _ZN7rocprim17ROCPRIM_400000_NS6detail17trampoline_kernelINS0_14default_configENS1_20scan_config_selectorIlEEZZNS1_9scan_implILNS1_25lookback_scan_determinismE0ELb0ELb0ES3_PlS8_lN6thrust23THRUST_200600_302600_NS4plusIvEElEEDaPvRmT3_T4_T5_mT6_P12ihipStream_tbENKUlT_T0_E_clISt17integral_constantIbLb1EESQ_EEDaSL_SM_EUlSL_E0_NS1_11comp_targetILNS1_3genE10ELNS1_11target_archE1200ELNS1_3gpuE4ELNS1_3repE0EEENS1_30default_config_static_selectorELNS0_4arch9wavefront6targetE1EEEvT1_.kd
    .uniform_work_group_size: 1
    .uses_dynamic_stack: false
    .vgpr_count:     0
    .vgpr_spill_count: 0
    .wavefront_size: 64
  - .agpr_count:     0
    .args:
      - .offset:         0
        .size:           40
        .value_kind:     by_value
    .group_segment_fixed_size: 0
    .kernarg_segment_align: 8
    .kernarg_segment_size: 40
    .language:       OpenCL C
    .language_version:
      - 2
      - 0
    .max_flat_workgroup_size: 256
    .name:           _ZN7rocprim17ROCPRIM_400000_NS6detail17trampoline_kernelINS0_14default_configENS1_20scan_config_selectorIlEEZZNS1_9scan_implILNS1_25lookback_scan_determinismE0ELb0ELb0ES3_PlS8_lN6thrust23THRUST_200600_302600_NS4plusIvEElEEDaPvRmT3_T4_T5_mT6_P12ihipStream_tbENKUlT_T0_E_clISt17integral_constantIbLb1EESQ_EEDaSL_SM_EUlSL_E0_NS1_11comp_targetILNS1_3genE9ELNS1_11target_archE1100ELNS1_3gpuE3ELNS1_3repE0EEENS1_30default_config_static_selectorELNS0_4arch9wavefront6targetE1EEEvT1_
    .private_segment_fixed_size: 0
    .sgpr_count:     4
    .sgpr_spill_count: 0
    .symbol:         _ZN7rocprim17ROCPRIM_400000_NS6detail17trampoline_kernelINS0_14default_configENS1_20scan_config_selectorIlEEZZNS1_9scan_implILNS1_25lookback_scan_determinismE0ELb0ELb0ES3_PlS8_lN6thrust23THRUST_200600_302600_NS4plusIvEElEEDaPvRmT3_T4_T5_mT6_P12ihipStream_tbENKUlT_T0_E_clISt17integral_constantIbLb1EESQ_EEDaSL_SM_EUlSL_E0_NS1_11comp_targetILNS1_3genE9ELNS1_11target_archE1100ELNS1_3gpuE3ELNS1_3repE0EEENS1_30default_config_static_selectorELNS0_4arch9wavefront6targetE1EEEvT1_.kd
    .uniform_work_group_size: 1
    .uses_dynamic_stack: false
    .vgpr_count:     0
    .vgpr_spill_count: 0
    .wavefront_size: 64
  - .agpr_count:     0
    .args:
      - .offset:         0
        .size:           40
        .value_kind:     by_value
    .group_segment_fixed_size: 0
    .kernarg_segment_align: 8
    .kernarg_segment_size: 40
    .language:       OpenCL C
    .language_version:
      - 2
      - 0
    .max_flat_workgroup_size: 256
    .name:           _ZN7rocprim17ROCPRIM_400000_NS6detail17trampoline_kernelINS0_14default_configENS1_20scan_config_selectorIlEEZZNS1_9scan_implILNS1_25lookback_scan_determinismE0ELb0ELb0ES3_PlS8_lN6thrust23THRUST_200600_302600_NS4plusIvEElEEDaPvRmT3_T4_T5_mT6_P12ihipStream_tbENKUlT_T0_E_clISt17integral_constantIbLb1EESQ_EEDaSL_SM_EUlSL_E0_NS1_11comp_targetILNS1_3genE8ELNS1_11target_archE1030ELNS1_3gpuE2ELNS1_3repE0EEENS1_30default_config_static_selectorELNS0_4arch9wavefront6targetE1EEEvT1_
    .private_segment_fixed_size: 0
    .sgpr_count:     4
    .sgpr_spill_count: 0
    .symbol:         _ZN7rocprim17ROCPRIM_400000_NS6detail17trampoline_kernelINS0_14default_configENS1_20scan_config_selectorIlEEZZNS1_9scan_implILNS1_25lookback_scan_determinismE0ELb0ELb0ES3_PlS8_lN6thrust23THRUST_200600_302600_NS4plusIvEElEEDaPvRmT3_T4_T5_mT6_P12ihipStream_tbENKUlT_T0_E_clISt17integral_constantIbLb1EESQ_EEDaSL_SM_EUlSL_E0_NS1_11comp_targetILNS1_3genE8ELNS1_11target_archE1030ELNS1_3gpuE2ELNS1_3repE0EEENS1_30default_config_static_selectorELNS0_4arch9wavefront6targetE1EEEvT1_.kd
    .uniform_work_group_size: 1
    .uses_dynamic_stack: false
    .vgpr_count:     0
    .vgpr_spill_count: 0
    .wavefront_size: 64
  - .agpr_count:     0
    .args:
      - .address_space:  global
        .offset:         0
        .size:           8
        .value_kind:     global_buffer
      - .offset:         8
        .size:           4
        .value_kind:     by_value
      - .offset:         12
        .size:           1
        .value_kind:     by_value
      - .offset:         16
        .size:           4
        .value_kind:     by_value
      - .address_space:  global
        .offset:         24
        .size:           8
        .value_kind:     global_buffer
      - .offset:         32
        .size:           4
        .value_kind:     hidden_block_count_x
      - .offset:         36
        .size:           4
        .value_kind:     hidden_block_count_y
      - .offset:         40
        .size:           4
        .value_kind:     hidden_block_count_z
      - .offset:         44
        .size:           2
        .value_kind:     hidden_group_size_x
      - .offset:         46
        .size:           2
        .value_kind:     hidden_group_size_y
      - .offset:         48
        .size:           2
        .value_kind:     hidden_group_size_z
      - .offset:         50
        .size:           2
        .value_kind:     hidden_remainder_x
      - .offset:         52
        .size:           2
        .value_kind:     hidden_remainder_y
      - .offset:         54
        .size:           2
        .value_kind:     hidden_remainder_z
      - .offset:         72
        .size:           8
        .value_kind:     hidden_global_offset_x
      - .offset:         80
        .size:           8
        .value_kind:     hidden_global_offset_y
      - .offset:         88
        .size:           8
        .value_kind:     hidden_global_offset_z
      - .offset:         96
        .size:           2
        .value_kind:     hidden_grid_dims
    .group_segment_fixed_size: 0
    .kernarg_segment_align: 8
    .kernarg_segment_size: 288
    .language:       OpenCL C
    .language_version:
      - 2
      - 0
    .max_flat_workgroup_size: 256
    .name:           _ZN7rocprim17ROCPRIM_400000_NS6detail31init_lookback_scan_state_kernelINS1_19lookback_scan_stateIlLb1ELb1EEENS1_16block_id_wrapperIjLb0EEEEEvT_jT0_jPNS7_10value_typeE
    .private_segment_fixed_size: 0
    .sgpr_count:     18
    .sgpr_spill_count: 0
    .symbol:         _ZN7rocprim17ROCPRIM_400000_NS6detail31init_lookback_scan_state_kernelINS1_19lookback_scan_stateIlLb1ELb1EEENS1_16block_id_wrapperIjLb0EEEEEvT_jT0_jPNS7_10value_typeE.kd
    .uniform_work_group_size: 1
    .uses_dynamic_stack: false
    .vgpr_count:     10
    .vgpr_spill_count: 0
    .wavefront_size: 64
  - .agpr_count:     0
    .args:
      - .offset:         0
        .size:           104
        .value_kind:     by_value
    .group_segment_fixed_size: 0
    .kernarg_segment_align: 8
    .kernarg_segment_size: 104
    .language:       OpenCL C
    .language_version:
      - 2
      - 0
    .max_flat_workgroup_size: 256
    .name:           _ZN7rocprim17ROCPRIM_400000_NS6detail17trampoline_kernelINS0_14default_configENS1_20scan_config_selectorIlEEZZNS1_9scan_implILNS1_25lookback_scan_determinismE0ELb0ELb0ES3_PlS8_lN6thrust23THRUST_200600_302600_NS4plusIvEElEEDaPvRmT3_T4_T5_mT6_P12ihipStream_tbENKUlT_T0_E_clISt17integral_constantIbLb1EESP_IbLb0EEEEDaSL_SM_EUlSL_E_NS1_11comp_targetILNS1_3genE0ELNS1_11target_archE4294967295ELNS1_3gpuE0ELNS1_3repE0EEENS1_30default_config_static_selectorELNS0_4arch9wavefront6targetE1EEEvT1_
    .private_segment_fixed_size: 0
    .sgpr_count:     4
    .sgpr_spill_count: 0
    .symbol:         _ZN7rocprim17ROCPRIM_400000_NS6detail17trampoline_kernelINS0_14default_configENS1_20scan_config_selectorIlEEZZNS1_9scan_implILNS1_25lookback_scan_determinismE0ELb0ELb0ES3_PlS8_lN6thrust23THRUST_200600_302600_NS4plusIvEElEEDaPvRmT3_T4_T5_mT6_P12ihipStream_tbENKUlT_T0_E_clISt17integral_constantIbLb1EESP_IbLb0EEEEDaSL_SM_EUlSL_E_NS1_11comp_targetILNS1_3genE0ELNS1_11target_archE4294967295ELNS1_3gpuE0ELNS1_3repE0EEENS1_30default_config_static_selectorELNS0_4arch9wavefront6targetE1EEEvT1_.kd
    .uniform_work_group_size: 1
    .uses_dynamic_stack: false
    .vgpr_count:     0
    .vgpr_spill_count: 0
    .wavefront_size: 64
  - .agpr_count:     0
    .args:
      - .offset:         0
        .size:           104
        .value_kind:     by_value
    .group_segment_fixed_size: 0
    .kernarg_segment_align: 8
    .kernarg_segment_size: 104
    .language:       OpenCL C
    .language_version:
      - 2
      - 0
    .max_flat_workgroup_size: 256
    .name:           _ZN7rocprim17ROCPRIM_400000_NS6detail17trampoline_kernelINS0_14default_configENS1_20scan_config_selectorIlEEZZNS1_9scan_implILNS1_25lookback_scan_determinismE0ELb0ELb0ES3_PlS8_lN6thrust23THRUST_200600_302600_NS4plusIvEElEEDaPvRmT3_T4_T5_mT6_P12ihipStream_tbENKUlT_T0_E_clISt17integral_constantIbLb1EESP_IbLb0EEEEDaSL_SM_EUlSL_E_NS1_11comp_targetILNS1_3genE5ELNS1_11target_archE942ELNS1_3gpuE9ELNS1_3repE0EEENS1_30default_config_static_selectorELNS0_4arch9wavefront6targetE1EEEvT1_
    .private_segment_fixed_size: 0
    .sgpr_count:     4
    .sgpr_spill_count: 0
    .symbol:         _ZN7rocprim17ROCPRIM_400000_NS6detail17trampoline_kernelINS0_14default_configENS1_20scan_config_selectorIlEEZZNS1_9scan_implILNS1_25lookback_scan_determinismE0ELb0ELb0ES3_PlS8_lN6thrust23THRUST_200600_302600_NS4plusIvEElEEDaPvRmT3_T4_T5_mT6_P12ihipStream_tbENKUlT_T0_E_clISt17integral_constantIbLb1EESP_IbLb0EEEEDaSL_SM_EUlSL_E_NS1_11comp_targetILNS1_3genE5ELNS1_11target_archE942ELNS1_3gpuE9ELNS1_3repE0EEENS1_30default_config_static_selectorELNS0_4arch9wavefront6targetE1EEEvT1_.kd
    .uniform_work_group_size: 1
    .uses_dynamic_stack: false
    .vgpr_count:     0
    .vgpr_spill_count: 0
    .wavefront_size: 64
  - .agpr_count:     0
    .args:
      - .offset:         0
        .size:           104
        .value_kind:     by_value
    .group_segment_fixed_size: 7168
    .kernarg_segment_align: 8
    .kernarg_segment_size: 104
    .language:       OpenCL C
    .language_version:
      - 2
      - 0
    .max_flat_workgroup_size: 128
    .name:           _ZN7rocprim17ROCPRIM_400000_NS6detail17trampoline_kernelINS0_14default_configENS1_20scan_config_selectorIlEEZZNS1_9scan_implILNS1_25lookback_scan_determinismE0ELb0ELb0ES3_PlS8_lN6thrust23THRUST_200600_302600_NS4plusIvEElEEDaPvRmT3_T4_T5_mT6_P12ihipStream_tbENKUlT_T0_E_clISt17integral_constantIbLb1EESP_IbLb0EEEEDaSL_SM_EUlSL_E_NS1_11comp_targetILNS1_3genE4ELNS1_11target_archE910ELNS1_3gpuE8ELNS1_3repE0EEENS1_30default_config_static_selectorELNS0_4arch9wavefront6targetE1EEEvT1_
    .private_segment_fixed_size: 0
    .sgpr_count:     39
    .sgpr_spill_count: 0
    .symbol:         _ZN7rocprim17ROCPRIM_400000_NS6detail17trampoline_kernelINS0_14default_configENS1_20scan_config_selectorIlEEZZNS1_9scan_implILNS1_25lookback_scan_determinismE0ELb0ELb0ES3_PlS8_lN6thrust23THRUST_200600_302600_NS4plusIvEElEEDaPvRmT3_T4_T5_mT6_P12ihipStream_tbENKUlT_T0_E_clISt17integral_constantIbLb1EESP_IbLb0EEEEDaSL_SM_EUlSL_E_NS1_11comp_targetILNS1_3genE4ELNS1_11target_archE910ELNS1_3gpuE8ELNS1_3repE0EEENS1_30default_config_static_selectorELNS0_4arch9wavefront6targetE1EEEvT1_.kd
    .uniform_work_group_size: 1
    .uses_dynamic_stack: false
    .vgpr_count:     51
    .vgpr_spill_count: 0
    .wavefront_size: 64
  - .agpr_count:     0
    .args:
      - .offset:         0
        .size:           104
        .value_kind:     by_value
    .group_segment_fixed_size: 0
    .kernarg_segment_align: 8
    .kernarg_segment_size: 104
    .language:       OpenCL C
    .language_version:
      - 2
      - 0
    .max_flat_workgroup_size: 256
    .name:           _ZN7rocprim17ROCPRIM_400000_NS6detail17trampoline_kernelINS0_14default_configENS1_20scan_config_selectorIlEEZZNS1_9scan_implILNS1_25lookback_scan_determinismE0ELb0ELb0ES3_PlS8_lN6thrust23THRUST_200600_302600_NS4plusIvEElEEDaPvRmT3_T4_T5_mT6_P12ihipStream_tbENKUlT_T0_E_clISt17integral_constantIbLb1EESP_IbLb0EEEEDaSL_SM_EUlSL_E_NS1_11comp_targetILNS1_3genE3ELNS1_11target_archE908ELNS1_3gpuE7ELNS1_3repE0EEENS1_30default_config_static_selectorELNS0_4arch9wavefront6targetE1EEEvT1_
    .private_segment_fixed_size: 0
    .sgpr_count:     4
    .sgpr_spill_count: 0
    .symbol:         _ZN7rocprim17ROCPRIM_400000_NS6detail17trampoline_kernelINS0_14default_configENS1_20scan_config_selectorIlEEZZNS1_9scan_implILNS1_25lookback_scan_determinismE0ELb0ELb0ES3_PlS8_lN6thrust23THRUST_200600_302600_NS4plusIvEElEEDaPvRmT3_T4_T5_mT6_P12ihipStream_tbENKUlT_T0_E_clISt17integral_constantIbLb1EESP_IbLb0EEEEDaSL_SM_EUlSL_E_NS1_11comp_targetILNS1_3genE3ELNS1_11target_archE908ELNS1_3gpuE7ELNS1_3repE0EEENS1_30default_config_static_selectorELNS0_4arch9wavefront6targetE1EEEvT1_.kd
    .uniform_work_group_size: 1
    .uses_dynamic_stack: false
    .vgpr_count:     0
    .vgpr_spill_count: 0
    .wavefront_size: 64
  - .agpr_count:     0
    .args:
      - .offset:         0
        .size:           104
        .value_kind:     by_value
    .group_segment_fixed_size: 0
    .kernarg_segment_align: 8
    .kernarg_segment_size: 104
    .language:       OpenCL C
    .language_version:
      - 2
      - 0
    .max_flat_workgroup_size: 64
    .name:           _ZN7rocprim17ROCPRIM_400000_NS6detail17trampoline_kernelINS0_14default_configENS1_20scan_config_selectorIlEEZZNS1_9scan_implILNS1_25lookback_scan_determinismE0ELb0ELb0ES3_PlS8_lN6thrust23THRUST_200600_302600_NS4plusIvEElEEDaPvRmT3_T4_T5_mT6_P12ihipStream_tbENKUlT_T0_E_clISt17integral_constantIbLb1EESP_IbLb0EEEEDaSL_SM_EUlSL_E_NS1_11comp_targetILNS1_3genE2ELNS1_11target_archE906ELNS1_3gpuE6ELNS1_3repE0EEENS1_30default_config_static_selectorELNS0_4arch9wavefront6targetE1EEEvT1_
    .private_segment_fixed_size: 0
    .sgpr_count:     4
    .sgpr_spill_count: 0
    .symbol:         _ZN7rocprim17ROCPRIM_400000_NS6detail17trampoline_kernelINS0_14default_configENS1_20scan_config_selectorIlEEZZNS1_9scan_implILNS1_25lookback_scan_determinismE0ELb0ELb0ES3_PlS8_lN6thrust23THRUST_200600_302600_NS4plusIvEElEEDaPvRmT3_T4_T5_mT6_P12ihipStream_tbENKUlT_T0_E_clISt17integral_constantIbLb1EESP_IbLb0EEEEDaSL_SM_EUlSL_E_NS1_11comp_targetILNS1_3genE2ELNS1_11target_archE906ELNS1_3gpuE6ELNS1_3repE0EEENS1_30default_config_static_selectorELNS0_4arch9wavefront6targetE1EEEvT1_.kd
    .uniform_work_group_size: 1
    .uses_dynamic_stack: false
    .vgpr_count:     0
    .vgpr_spill_count: 0
    .wavefront_size: 64
  - .agpr_count:     0
    .args:
      - .offset:         0
        .size:           104
        .value_kind:     by_value
    .group_segment_fixed_size: 0
    .kernarg_segment_align: 8
    .kernarg_segment_size: 104
    .language:       OpenCL C
    .language_version:
      - 2
      - 0
    .max_flat_workgroup_size: 256
    .name:           _ZN7rocprim17ROCPRIM_400000_NS6detail17trampoline_kernelINS0_14default_configENS1_20scan_config_selectorIlEEZZNS1_9scan_implILNS1_25lookback_scan_determinismE0ELb0ELb0ES3_PlS8_lN6thrust23THRUST_200600_302600_NS4plusIvEElEEDaPvRmT3_T4_T5_mT6_P12ihipStream_tbENKUlT_T0_E_clISt17integral_constantIbLb1EESP_IbLb0EEEEDaSL_SM_EUlSL_E_NS1_11comp_targetILNS1_3genE10ELNS1_11target_archE1201ELNS1_3gpuE5ELNS1_3repE0EEENS1_30default_config_static_selectorELNS0_4arch9wavefront6targetE1EEEvT1_
    .private_segment_fixed_size: 0
    .sgpr_count:     4
    .sgpr_spill_count: 0
    .symbol:         _ZN7rocprim17ROCPRIM_400000_NS6detail17trampoline_kernelINS0_14default_configENS1_20scan_config_selectorIlEEZZNS1_9scan_implILNS1_25lookback_scan_determinismE0ELb0ELb0ES3_PlS8_lN6thrust23THRUST_200600_302600_NS4plusIvEElEEDaPvRmT3_T4_T5_mT6_P12ihipStream_tbENKUlT_T0_E_clISt17integral_constantIbLb1EESP_IbLb0EEEEDaSL_SM_EUlSL_E_NS1_11comp_targetILNS1_3genE10ELNS1_11target_archE1201ELNS1_3gpuE5ELNS1_3repE0EEENS1_30default_config_static_selectorELNS0_4arch9wavefront6targetE1EEEvT1_.kd
    .uniform_work_group_size: 1
    .uses_dynamic_stack: false
    .vgpr_count:     0
    .vgpr_spill_count: 0
    .wavefront_size: 64
  - .agpr_count:     0
    .args:
      - .offset:         0
        .size:           104
        .value_kind:     by_value
    .group_segment_fixed_size: 0
    .kernarg_segment_align: 8
    .kernarg_segment_size: 104
    .language:       OpenCL C
    .language_version:
      - 2
      - 0
    .max_flat_workgroup_size: 256
    .name:           _ZN7rocprim17ROCPRIM_400000_NS6detail17trampoline_kernelINS0_14default_configENS1_20scan_config_selectorIlEEZZNS1_9scan_implILNS1_25lookback_scan_determinismE0ELb0ELb0ES3_PlS8_lN6thrust23THRUST_200600_302600_NS4plusIvEElEEDaPvRmT3_T4_T5_mT6_P12ihipStream_tbENKUlT_T0_E_clISt17integral_constantIbLb1EESP_IbLb0EEEEDaSL_SM_EUlSL_E_NS1_11comp_targetILNS1_3genE10ELNS1_11target_archE1200ELNS1_3gpuE4ELNS1_3repE0EEENS1_30default_config_static_selectorELNS0_4arch9wavefront6targetE1EEEvT1_
    .private_segment_fixed_size: 0
    .sgpr_count:     4
    .sgpr_spill_count: 0
    .symbol:         _ZN7rocprim17ROCPRIM_400000_NS6detail17trampoline_kernelINS0_14default_configENS1_20scan_config_selectorIlEEZZNS1_9scan_implILNS1_25lookback_scan_determinismE0ELb0ELb0ES3_PlS8_lN6thrust23THRUST_200600_302600_NS4plusIvEElEEDaPvRmT3_T4_T5_mT6_P12ihipStream_tbENKUlT_T0_E_clISt17integral_constantIbLb1EESP_IbLb0EEEEDaSL_SM_EUlSL_E_NS1_11comp_targetILNS1_3genE10ELNS1_11target_archE1200ELNS1_3gpuE4ELNS1_3repE0EEENS1_30default_config_static_selectorELNS0_4arch9wavefront6targetE1EEEvT1_.kd
    .uniform_work_group_size: 1
    .uses_dynamic_stack: false
    .vgpr_count:     0
    .vgpr_spill_count: 0
    .wavefront_size: 64
  - .agpr_count:     0
    .args:
      - .offset:         0
        .size:           104
        .value_kind:     by_value
    .group_segment_fixed_size: 0
    .kernarg_segment_align: 8
    .kernarg_segment_size: 104
    .language:       OpenCL C
    .language_version:
      - 2
      - 0
    .max_flat_workgroup_size: 256
    .name:           _ZN7rocprim17ROCPRIM_400000_NS6detail17trampoline_kernelINS0_14default_configENS1_20scan_config_selectorIlEEZZNS1_9scan_implILNS1_25lookback_scan_determinismE0ELb0ELb0ES3_PlS8_lN6thrust23THRUST_200600_302600_NS4plusIvEElEEDaPvRmT3_T4_T5_mT6_P12ihipStream_tbENKUlT_T0_E_clISt17integral_constantIbLb1EESP_IbLb0EEEEDaSL_SM_EUlSL_E_NS1_11comp_targetILNS1_3genE9ELNS1_11target_archE1100ELNS1_3gpuE3ELNS1_3repE0EEENS1_30default_config_static_selectorELNS0_4arch9wavefront6targetE1EEEvT1_
    .private_segment_fixed_size: 0
    .sgpr_count:     4
    .sgpr_spill_count: 0
    .symbol:         _ZN7rocprim17ROCPRIM_400000_NS6detail17trampoline_kernelINS0_14default_configENS1_20scan_config_selectorIlEEZZNS1_9scan_implILNS1_25lookback_scan_determinismE0ELb0ELb0ES3_PlS8_lN6thrust23THRUST_200600_302600_NS4plusIvEElEEDaPvRmT3_T4_T5_mT6_P12ihipStream_tbENKUlT_T0_E_clISt17integral_constantIbLb1EESP_IbLb0EEEEDaSL_SM_EUlSL_E_NS1_11comp_targetILNS1_3genE9ELNS1_11target_archE1100ELNS1_3gpuE3ELNS1_3repE0EEENS1_30default_config_static_selectorELNS0_4arch9wavefront6targetE1EEEvT1_.kd
    .uniform_work_group_size: 1
    .uses_dynamic_stack: false
    .vgpr_count:     0
    .vgpr_spill_count: 0
    .wavefront_size: 64
  - .agpr_count:     0
    .args:
      - .offset:         0
        .size:           104
        .value_kind:     by_value
    .group_segment_fixed_size: 0
    .kernarg_segment_align: 8
    .kernarg_segment_size: 104
    .language:       OpenCL C
    .language_version:
      - 2
      - 0
    .max_flat_workgroup_size: 256
    .name:           _ZN7rocprim17ROCPRIM_400000_NS6detail17trampoline_kernelINS0_14default_configENS1_20scan_config_selectorIlEEZZNS1_9scan_implILNS1_25lookback_scan_determinismE0ELb0ELb0ES3_PlS8_lN6thrust23THRUST_200600_302600_NS4plusIvEElEEDaPvRmT3_T4_T5_mT6_P12ihipStream_tbENKUlT_T0_E_clISt17integral_constantIbLb1EESP_IbLb0EEEEDaSL_SM_EUlSL_E_NS1_11comp_targetILNS1_3genE8ELNS1_11target_archE1030ELNS1_3gpuE2ELNS1_3repE0EEENS1_30default_config_static_selectorELNS0_4arch9wavefront6targetE1EEEvT1_
    .private_segment_fixed_size: 0
    .sgpr_count:     4
    .sgpr_spill_count: 0
    .symbol:         _ZN7rocprim17ROCPRIM_400000_NS6detail17trampoline_kernelINS0_14default_configENS1_20scan_config_selectorIlEEZZNS1_9scan_implILNS1_25lookback_scan_determinismE0ELb0ELb0ES3_PlS8_lN6thrust23THRUST_200600_302600_NS4plusIvEElEEDaPvRmT3_T4_T5_mT6_P12ihipStream_tbENKUlT_T0_E_clISt17integral_constantIbLb1EESP_IbLb0EEEEDaSL_SM_EUlSL_E_NS1_11comp_targetILNS1_3genE8ELNS1_11target_archE1030ELNS1_3gpuE2ELNS1_3repE0EEENS1_30default_config_static_selectorELNS0_4arch9wavefront6targetE1EEEvT1_.kd
    .uniform_work_group_size: 1
    .uses_dynamic_stack: false
    .vgpr_count:     0
    .vgpr_spill_count: 0
    .wavefront_size: 64
  - .agpr_count:     0
    .args:
      - .offset:         0
        .size:           40
        .value_kind:     by_value
    .group_segment_fixed_size: 0
    .kernarg_segment_align: 8
    .kernarg_segment_size: 40
    .language:       OpenCL C
    .language_version:
      - 2
      - 0
    .max_flat_workgroup_size: 256
    .name:           _ZN7rocprim17ROCPRIM_400000_NS6detail17trampoline_kernelINS0_14default_configENS1_20scan_config_selectorIlEEZZNS1_9scan_implILNS1_25lookback_scan_determinismE0ELb0ELb0ES3_PlS8_lN6thrust23THRUST_200600_302600_NS4plusIvEElEEDaPvRmT3_T4_T5_mT6_P12ihipStream_tbENKUlT_T0_E_clISt17integral_constantIbLb1EESP_IbLb0EEEEDaSL_SM_EUlSL_E0_NS1_11comp_targetILNS1_3genE0ELNS1_11target_archE4294967295ELNS1_3gpuE0ELNS1_3repE0EEENS1_30default_config_static_selectorELNS0_4arch9wavefront6targetE1EEEvT1_
    .private_segment_fixed_size: 0
    .sgpr_count:     4
    .sgpr_spill_count: 0
    .symbol:         _ZN7rocprim17ROCPRIM_400000_NS6detail17trampoline_kernelINS0_14default_configENS1_20scan_config_selectorIlEEZZNS1_9scan_implILNS1_25lookback_scan_determinismE0ELb0ELb0ES3_PlS8_lN6thrust23THRUST_200600_302600_NS4plusIvEElEEDaPvRmT3_T4_T5_mT6_P12ihipStream_tbENKUlT_T0_E_clISt17integral_constantIbLb1EESP_IbLb0EEEEDaSL_SM_EUlSL_E0_NS1_11comp_targetILNS1_3genE0ELNS1_11target_archE4294967295ELNS1_3gpuE0ELNS1_3repE0EEENS1_30default_config_static_selectorELNS0_4arch9wavefront6targetE1EEEvT1_.kd
    .uniform_work_group_size: 1
    .uses_dynamic_stack: false
    .vgpr_count:     0
    .vgpr_spill_count: 0
    .wavefront_size: 64
  - .agpr_count:     0
    .args:
      - .offset:         0
        .size:           40
        .value_kind:     by_value
    .group_segment_fixed_size: 0
    .kernarg_segment_align: 8
    .kernarg_segment_size: 40
    .language:       OpenCL C
    .language_version:
      - 2
      - 0
    .max_flat_workgroup_size: 256
    .name:           _ZN7rocprim17ROCPRIM_400000_NS6detail17trampoline_kernelINS0_14default_configENS1_20scan_config_selectorIlEEZZNS1_9scan_implILNS1_25lookback_scan_determinismE0ELb0ELb0ES3_PlS8_lN6thrust23THRUST_200600_302600_NS4plusIvEElEEDaPvRmT3_T4_T5_mT6_P12ihipStream_tbENKUlT_T0_E_clISt17integral_constantIbLb1EESP_IbLb0EEEEDaSL_SM_EUlSL_E0_NS1_11comp_targetILNS1_3genE5ELNS1_11target_archE942ELNS1_3gpuE9ELNS1_3repE0EEENS1_30default_config_static_selectorELNS0_4arch9wavefront6targetE1EEEvT1_
    .private_segment_fixed_size: 0
    .sgpr_count:     4
    .sgpr_spill_count: 0
    .symbol:         _ZN7rocprim17ROCPRIM_400000_NS6detail17trampoline_kernelINS0_14default_configENS1_20scan_config_selectorIlEEZZNS1_9scan_implILNS1_25lookback_scan_determinismE0ELb0ELb0ES3_PlS8_lN6thrust23THRUST_200600_302600_NS4plusIvEElEEDaPvRmT3_T4_T5_mT6_P12ihipStream_tbENKUlT_T0_E_clISt17integral_constantIbLb1EESP_IbLb0EEEEDaSL_SM_EUlSL_E0_NS1_11comp_targetILNS1_3genE5ELNS1_11target_archE942ELNS1_3gpuE9ELNS1_3repE0EEENS1_30default_config_static_selectorELNS0_4arch9wavefront6targetE1EEEvT1_.kd
    .uniform_work_group_size: 1
    .uses_dynamic_stack: false
    .vgpr_count:     0
    .vgpr_spill_count: 0
    .wavefront_size: 64
  - .agpr_count:     0
    .args:
      - .offset:         0
        .size:           40
        .value_kind:     by_value
    .group_segment_fixed_size: 7168
    .kernarg_segment_align: 8
    .kernarg_segment_size: 40
    .language:       OpenCL C
    .language_version:
      - 2
      - 0
    .max_flat_workgroup_size: 128
    .name:           _ZN7rocprim17ROCPRIM_400000_NS6detail17trampoline_kernelINS0_14default_configENS1_20scan_config_selectorIlEEZZNS1_9scan_implILNS1_25lookback_scan_determinismE0ELb0ELb0ES3_PlS8_lN6thrust23THRUST_200600_302600_NS4plusIvEElEEDaPvRmT3_T4_T5_mT6_P12ihipStream_tbENKUlT_T0_E_clISt17integral_constantIbLb1EESP_IbLb0EEEEDaSL_SM_EUlSL_E0_NS1_11comp_targetILNS1_3genE4ELNS1_11target_archE910ELNS1_3gpuE8ELNS1_3repE0EEENS1_30default_config_static_selectorELNS0_4arch9wavefront6targetE1EEEvT1_
    .private_segment_fixed_size: 0
    .sgpr_count:     26
    .sgpr_spill_count: 0
    .symbol:         _ZN7rocprim17ROCPRIM_400000_NS6detail17trampoline_kernelINS0_14default_configENS1_20scan_config_selectorIlEEZZNS1_9scan_implILNS1_25lookback_scan_determinismE0ELb0ELb0ES3_PlS8_lN6thrust23THRUST_200600_302600_NS4plusIvEElEEDaPvRmT3_T4_T5_mT6_P12ihipStream_tbENKUlT_T0_E_clISt17integral_constantIbLb1EESP_IbLb0EEEEDaSL_SM_EUlSL_E0_NS1_11comp_targetILNS1_3genE4ELNS1_11target_archE910ELNS1_3gpuE8ELNS1_3repE0EEENS1_30default_config_static_selectorELNS0_4arch9wavefront6targetE1EEEvT1_.kd
    .uniform_work_group_size: 1
    .uses_dynamic_stack: false
    .vgpr_count:     41
    .vgpr_spill_count: 0
    .wavefront_size: 64
  - .agpr_count:     0
    .args:
      - .offset:         0
        .size:           40
        .value_kind:     by_value
    .group_segment_fixed_size: 0
    .kernarg_segment_align: 8
    .kernarg_segment_size: 40
    .language:       OpenCL C
    .language_version:
      - 2
      - 0
    .max_flat_workgroup_size: 256
    .name:           _ZN7rocprim17ROCPRIM_400000_NS6detail17trampoline_kernelINS0_14default_configENS1_20scan_config_selectorIlEEZZNS1_9scan_implILNS1_25lookback_scan_determinismE0ELb0ELb0ES3_PlS8_lN6thrust23THRUST_200600_302600_NS4plusIvEElEEDaPvRmT3_T4_T5_mT6_P12ihipStream_tbENKUlT_T0_E_clISt17integral_constantIbLb1EESP_IbLb0EEEEDaSL_SM_EUlSL_E0_NS1_11comp_targetILNS1_3genE3ELNS1_11target_archE908ELNS1_3gpuE7ELNS1_3repE0EEENS1_30default_config_static_selectorELNS0_4arch9wavefront6targetE1EEEvT1_
    .private_segment_fixed_size: 0
    .sgpr_count:     4
    .sgpr_spill_count: 0
    .symbol:         _ZN7rocprim17ROCPRIM_400000_NS6detail17trampoline_kernelINS0_14default_configENS1_20scan_config_selectorIlEEZZNS1_9scan_implILNS1_25lookback_scan_determinismE0ELb0ELb0ES3_PlS8_lN6thrust23THRUST_200600_302600_NS4plusIvEElEEDaPvRmT3_T4_T5_mT6_P12ihipStream_tbENKUlT_T0_E_clISt17integral_constantIbLb1EESP_IbLb0EEEEDaSL_SM_EUlSL_E0_NS1_11comp_targetILNS1_3genE3ELNS1_11target_archE908ELNS1_3gpuE7ELNS1_3repE0EEENS1_30default_config_static_selectorELNS0_4arch9wavefront6targetE1EEEvT1_.kd
    .uniform_work_group_size: 1
    .uses_dynamic_stack: false
    .vgpr_count:     0
    .vgpr_spill_count: 0
    .wavefront_size: 64
  - .agpr_count:     0
    .args:
      - .offset:         0
        .size:           40
        .value_kind:     by_value
    .group_segment_fixed_size: 0
    .kernarg_segment_align: 8
    .kernarg_segment_size: 40
    .language:       OpenCL C
    .language_version:
      - 2
      - 0
    .max_flat_workgroup_size: 64
    .name:           _ZN7rocprim17ROCPRIM_400000_NS6detail17trampoline_kernelINS0_14default_configENS1_20scan_config_selectorIlEEZZNS1_9scan_implILNS1_25lookback_scan_determinismE0ELb0ELb0ES3_PlS8_lN6thrust23THRUST_200600_302600_NS4plusIvEElEEDaPvRmT3_T4_T5_mT6_P12ihipStream_tbENKUlT_T0_E_clISt17integral_constantIbLb1EESP_IbLb0EEEEDaSL_SM_EUlSL_E0_NS1_11comp_targetILNS1_3genE2ELNS1_11target_archE906ELNS1_3gpuE6ELNS1_3repE0EEENS1_30default_config_static_selectorELNS0_4arch9wavefront6targetE1EEEvT1_
    .private_segment_fixed_size: 0
    .sgpr_count:     4
    .sgpr_spill_count: 0
    .symbol:         _ZN7rocprim17ROCPRIM_400000_NS6detail17trampoline_kernelINS0_14default_configENS1_20scan_config_selectorIlEEZZNS1_9scan_implILNS1_25lookback_scan_determinismE0ELb0ELb0ES3_PlS8_lN6thrust23THRUST_200600_302600_NS4plusIvEElEEDaPvRmT3_T4_T5_mT6_P12ihipStream_tbENKUlT_T0_E_clISt17integral_constantIbLb1EESP_IbLb0EEEEDaSL_SM_EUlSL_E0_NS1_11comp_targetILNS1_3genE2ELNS1_11target_archE906ELNS1_3gpuE6ELNS1_3repE0EEENS1_30default_config_static_selectorELNS0_4arch9wavefront6targetE1EEEvT1_.kd
    .uniform_work_group_size: 1
    .uses_dynamic_stack: false
    .vgpr_count:     0
    .vgpr_spill_count: 0
    .wavefront_size: 64
  - .agpr_count:     0
    .args:
      - .offset:         0
        .size:           40
        .value_kind:     by_value
    .group_segment_fixed_size: 0
    .kernarg_segment_align: 8
    .kernarg_segment_size: 40
    .language:       OpenCL C
    .language_version:
      - 2
      - 0
    .max_flat_workgroup_size: 256
    .name:           _ZN7rocprim17ROCPRIM_400000_NS6detail17trampoline_kernelINS0_14default_configENS1_20scan_config_selectorIlEEZZNS1_9scan_implILNS1_25lookback_scan_determinismE0ELb0ELb0ES3_PlS8_lN6thrust23THRUST_200600_302600_NS4plusIvEElEEDaPvRmT3_T4_T5_mT6_P12ihipStream_tbENKUlT_T0_E_clISt17integral_constantIbLb1EESP_IbLb0EEEEDaSL_SM_EUlSL_E0_NS1_11comp_targetILNS1_3genE10ELNS1_11target_archE1201ELNS1_3gpuE5ELNS1_3repE0EEENS1_30default_config_static_selectorELNS0_4arch9wavefront6targetE1EEEvT1_
    .private_segment_fixed_size: 0
    .sgpr_count:     4
    .sgpr_spill_count: 0
    .symbol:         _ZN7rocprim17ROCPRIM_400000_NS6detail17trampoline_kernelINS0_14default_configENS1_20scan_config_selectorIlEEZZNS1_9scan_implILNS1_25lookback_scan_determinismE0ELb0ELb0ES3_PlS8_lN6thrust23THRUST_200600_302600_NS4plusIvEElEEDaPvRmT3_T4_T5_mT6_P12ihipStream_tbENKUlT_T0_E_clISt17integral_constantIbLb1EESP_IbLb0EEEEDaSL_SM_EUlSL_E0_NS1_11comp_targetILNS1_3genE10ELNS1_11target_archE1201ELNS1_3gpuE5ELNS1_3repE0EEENS1_30default_config_static_selectorELNS0_4arch9wavefront6targetE1EEEvT1_.kd
    .uniform_work_group_size: 1
    .uses_dynamic_stack: false
    .vgpr_count:     0
    .vgpr_spill_count: 0
    .wavefront_size: 64
  - .agpr_count:     0
    .args:
      - .offset:         0
        .size:           40
        .value_kind:     by_value
    .group_segment_fixed_size: 0
    .kernarg_segment_align: 8
    .kernarg_segment_size: 40
    .language:       OpenCL C
    .language_version:
      - 2
      - 0
    .max_flat_workgroup_size: 256
    .name:           _ZN7rocprim17ROCPRIM_400000_NS6detail17trampoline_kernelINS0_14default_configENS1_20scan_config_selectorIlEEZZNS1_9scan_implILNS1_25lookback_scan_determinismE0ELb0ELb0ES3_PlS8_lN6thrust23THRUST_200600_302600_NS4plusIvEElEEDaPvRmT3_T4_T5_mT6_P12ihipStream_tbENKUlT_T0_E_clISt17integral_constantIbLb1EESP_IbLb0EEEEDaSL_SM_EUlSL_E0_NS1_11comp_targetILNS1_3genE10ELNS1_11target_archE1200ELNS1_3gpuE4ELNS1_3repE0EEENS1_30default_config_static_selectorELNS0_4arch9wavefront6targetE1EEEvT1_
    .private_segment_fixed_size: 0
    .sgpr_count:     4
    .sgpr_spill_count: 0
    .symbol:         _ZN7rocprim17ROCPRIM_400000_NS6detail17trampoline_kernelINS0_14default_configENS1_20scan_config_selectorIlEEZZNS1_9scan_implILNS1_25lookback_scan_determinismE0ELb0ELb0ES3_PlS8_lN6thrust23THRUST_200600_302600_NS4plusIvEElEEDaPvRmT3_T4_T5_mT6_P12ihipStream_tbENKUlT_T0_E_clISt17integral_constantIbLb1EESP_IbLb0EEEEDaSL_SM_EUlSL_E0_NS1_11comp_targetILNS1_3genE10ELNS1_11target_archE1200ELNS1_3gpuE4ELNS1_3repE0EEENS1_30default_config_static_selectorELNS0_4arch9wavefront6targetE1EEEvT1_.kd
    .uniform_work_group_size: 1
    .uses_dynamic_stack: false
    .vgpr_count:     0
    .vgpr_spill_count: 0
    .wavefront_size: 64
  - .agpr_count:     0
    .args:
      - .offset:         0
        .size:           40
        .value_kind:     by_value
    .group_segment_fixed_size: 0
    .kernarg_segment_align: 8
    .kernarg_segment_size: 40
    .language:       OpenCL C
    .language_version:
      - 2
      - 0
    .max_flat_workgroup_size: 256
    .name:           _ZN7rocprim17ROCPRIM_400000_NS6detail17trampoline_kernelINS0_14default_configENS1_20scan_config_selectorIlEEZZNS1_9scan_implILNS1_25lookback_scan_determinismE0ELb0ELb0ES3_PlS8_lN6thrust23THRUST_200600_302600_NS4plusIvEElEEDaPvRmT3_T4_T5_mT6_P12ihipStream_tbENKUlT_T0_E_clISt17integral_constantIbLb1EESP_IbLb0EEEEDaSL_SM_EUlSL_E0_NS1_11comp_targetILNS1_3genE9ELNS1_11target_archE1100ELNS1_3gpuE3ELNS1_3repE0EEENS1_30default_config_static_selectorELNS0_4arch9wavefront6targetE1EEEvT1_
    .private_segment_fixed_size: 0
    .sgpr_count:     4
    .sgpr_spill_count: 0
    .symbol:         _ZN7rocprim17ROCPRIM_400000_NS6detail17trampoline_kernelINS0_14default_configENS1_20scan_config_selectorIlEEZZNS1_9scan_implILNS1_25lookback_scan_determinismE0ELb0ELb0ES3_PlS8_lN6thrust23THRUST_200600_302600_NS4plusIvEElEEDaPvRmT3_T4_T5_mT6_P12ihipStream_tbENKUlT_T0_E_clISt17integral_constantIbLb1EESP_IbLb0EEEEDaSL_SM_EUlSL_E0_NS1_11comp_targetILNS1_3genE9ELNS1_11target_archE1100ELNS1_3gpuE3ELNS1_3repE0EEENS1_30default_config_static_selectorELNS0_4arch9wavefront6targetE1EEEvT1_.kd
    .uniform_work_group_size: 1
    .uses_dynamic_stack: false
    .vgpr_count:     0
    .vgpr_spill_count: 0
    .wavefront_size: 64
  - .agpr_count:     0
    .args:
      - .offset:         0
        .size:           40
        .value_kind:     by_value
    .group_segment_fixed_size: 0
    .kernarg_segment_align: 8
    .kernarg_segment_size: 40
    .language:       OpenCL C
    .language_version:
      - 2
      - 0
    .max_flat_workgroup_size: 256
    .name:           _ZN7rocprim17ROCPRIM_400000_NS6detail17trampoline_kernelINS0_14default_configENS1_20scan_config_selectorIlEEZZNS1_9scan_implILNS1_25lookback_scan_determinismE0ELb0ELb0ES3_PlS8_lN6thrust23THRUST_200600_302600_NS4plusIvEElEEDaPvRmT3_T4_T5_mT6_P12ihipStream_tbENKUlT_T0_E_clISt17integral_constantIbLb1EESP_IbLb0EEEEDaSL_SM_EUlSL_E0_NS1_11comp_targetILNS1_3genE8ELNS1_11target_archE1030ELNS1_3gpuE2ELNS1_3repE0EEENS1_30default_config_static_selectorELNS0_4arch9wavefront6targetE1EEEvT1_
    .private_segment_fixed_size: 0
    .sgpr_count:     4
    .sgpr_spill_count: 0
    .symbol:         _ZN7rocprim17ROCPRIM_400000_NS6detail17trampoline_kernelINS0_14default_configENS1_20scan_config_selectorIlEEZZNS1_9scan_implILNS1_25lookback_scan_determinismE0ELb0ELb0ES3_PlS8_lN6thrust23THRUST_200600_302600_NS4plusIvEElEEDaPvRmT3_T4_T5_mT6_P12ihipStream_tbENKUlT_T0_E_clISt17integral_constantIbLb1EESP_IbLb0EEEEDaSL_SM_EUlSL_E0_NS1_11comp_targetILNS1_3genE8ELNS1_11target_archE1030ELNS1_3gpuE2ELNS1_3repE0EEENS1_30default_config_static_selectorELNS0_4arch9wavefront6targetE1EEEvT1_.kd
    .uniform_work_group_size: 1
    .uses_dynamic_stack: false
    .vgpr_count:     0
    .vgpr_spill_count: 0
    .wavefront_size: 64
  - .agpr_count:     0
    .args:
      - .address_space:  global
        .offset:         0
        .size:           8
        .value_kind:     global_buffer
      - .offset:         8
        .size:           4
        .value_kind:     by_value
      - .address_space:  global
        .offset:         16
        .size:           8
        .value_kind:     global_buffer
      - .offset:         24
        .size:           4
        .value_kind:     by_value
      - .address_space:  global
        .offset:         32
        .size:           8
        .value_kind:     global_buffer
      - .offset:         40
        .size:           4
        .value_kind:     hidden_block_count_x
      - .offset:         44
        .size:           4
        .value_kind:     hidden_block_count_y
      - .offset:         48
        .size:           4
        .value_kind:     hidden_block_count_z
      - .offset:         52
        .size:           2
        .value_kind:     hidden_group_size_x
      - .offset:         54
        .size:           2
        .value_kind:     hidden_group_size_y
      - .offset:         56
        .size:           2
        .value_kind:     hidden_group_size_z
      - .offset:         58
        .size:           2
        .value_kind:     hidden_remainder_x
      - .offset:         60
        .size:           2
        .value_kind:     hidden_remainder_y
      - .offset:         62
        .size:           2
        .value_kind:     hidden_remainder_z
      - .offset:         80
        .size:           8
        .value_kind:     hidden_global_offset_x
      - .offset:         88
        .size:           8
        .value_kind:     hidden_global_offset_y
      - .offset:         96
        .size:           8
        .value_kind:     hidden_global_offset_z
      - .offset:         104
        .size:           2
        .value_kind:     hidden_grid_dims
    .group_segment_fixed_size: 0
    .kernarg_segment_align: 8
    .kernarg_segment_size: 296
    .language:       OpenCL C
    .language_version:
      - 2
      - 0
    .max_flat_workgroup_size: 256
    .name:           _ZN7rocprim17ROCPRIM_400000_NS6detail31init_lookback_scan_state_kernelINS1_19lookback_scan_stateIlLb0ELb1EEENS1_16block_id_wrapperIjLb1EEEEEvT_jT0_jPNS7_10value_typeE
    .private_segment_fixed_size: 0
    .sgpr_count:     19
    .sgpr_spill_count: 0
    .symbol:         _ZN7rocprim17ROCPRIM_400000_NS6detail31init_lookback_scan_state_kernelINS1_19lookback_scan_stateIlLb0ELb1EEENS1_16block_id_wrapperIjLb1EEEEEvT_jT0_jPNS7_10value_typeE.kd
    .uniform_work_group_size: 1
    .uses_dynamic_stack: false
    .vgpr_count:     10
    .vgpr_spill_count: 0
    .wavefront_size: 64
  - .agpr_count:     0
    .args:
      - .offset:         0
        .size:           104
        .value_kind:     by_value
    .group_segment_fixed_size: 0
    .kernarg_segment_align: 8
    .kernarg_segment_size: 104
    .language:       OpenCL C
    .language_version:
      - 2
      - 0
    .max_flat_workgroup_size: 256
    .name:           _ZN7rocprim17ROCPRIM_400000_NS6detail17trampoline_kernelINS0_14default_configENS1_20scan_config_selectorIlEEZZNS1_9scan_implILNS1_25lookback_scan_determinismE0ELb0ELb0ES3_PlS8_lN6thrust23THRUST_200600_302600_NS4plusIvEElEEDaPvRmT3_T4_T5_mT6_P12ihipStream_tbENKUlT_T0_E_clISt17integral_constantIbLb0EESP_IbLb1EEEEDaSL_SM_EUlSL_E_NS1_11comp_targetILNS1_3genE0ELNS1_11target_archE4294967295ELNS1_3gpuE0ELNS1_3repE0EEENS1_30default_config_static_selectorELNS0_4arch9wavefront6targetE1EEEvT1_
    .private_segment_fixed_size: 0
    .sgpr_count:     4
    .sgpr_spill_count: 0
    .symbol:         _ZN7rocprim17ROCPRIM_400000_NS6detail17trampoline_kernelINS0_14default_configENS1_20scan_config_selectorIlEEZZNS1_9scan_implILNS1_25lookback_scan_determinismE0ELb0ELb0ES3_PlS8_lN6thrust23THRUST_200600_302600_NS4plusIvEElEEDaPvRmT3_T4_T5_mT6_P12ihipStream_tbENKUlT_T0_E_clISt17integral_constantIbLb0EESP_IbLb1EEEEDaSL_SM_EUlSL_E_NS1_11comp_targetILNS1_3genE0ELNS1_11target_archE4294967295ELNS1_3gpuE0ELNS1_3repE0EEENS1_30default_config_static_selectorELNS0_4arch9wavefront6targetE1EEEvT1_.kd
    .uniform_work_group_size: 1
    .uses_dynamic_stack: false
    .vgpr_count:     0
    .vgpr_spill_count: 0
    .wavefront_size: 64
  - .agpr_count:     0
    .args:
      - .offset:         0
        .size:           104
        .value_kind:     by_value
    .group_segment_fixed_size: 0
    .kernarg_segment_align: 8
    .kernarg_segment_size: 104
    .language:       OpenCL C
    .language_version:
      - 2
      - 0
    .max_flat_workgroup_size: 256
    .name:           _ZN7rocprim17ROCPRIM_400000_NS6detail17trampoline_kernelINS0_14default_configENS1_20scan_config_selectorIlEEZZNS1_9scan_implILNS1_25lookback_scan_determinismE0ELb0ELb0ES3_PlS8_lN6thrust23THRUST_200600_302600_NS4plusIvEElEEDaPvRmT3_T4_T5_mT6_P12ihipStream_tbENKUlT_T0_E_clISt17integral_constantIbLb0EESP_IbLb1EEEEDaSL_SM_EUlSL_E_NS1_11comp_targetILNS1_3genE5ELNS1_11target_archE942ELNS1_3gpuE9ELNS1_3repE0EEENS1_30default_config_static_selectorELNS0_4arch9wavefront6targetE1EEEvT1_
    .private_segment_fixed_size: 0
    .sgpr_count:     4
    .sgpr_spill_count: 0
    .symbol:         _ZN7rocprim17ROCPRIM_400000_NS6detail17trampoline_kernelINS0_14default_configENS1_20scan_config_selectorIlEEZZNS1_9scan_implILNS1_25lookback_scan_determinismE0ELb0ELb0ES3_PlS8_lN6thrust23THRUST_200600_302600_NS4plusIvEElEEDaPvRmT3_T4_T5_mT6_P12ihipStream_tbENKUlT_T0_E_clISt17integral_constantIbLb0EESP_IbLb1EEEEDaSL_SM_EUlSL_E_NS1_11comp_targetILNS1_3genE5ELNS1_11target_archE942ELNS1_3gpuE9ELNS1_3repE0EEENS1_30default_config_static_selectorELNS0_4arch9wavefront6targetE1EEEvT1_.kd
    .uniform_work_group_size: 1
    .uses_dynamic_stack: false
    .vgpr_count:     0
    .vgpr_spill_count: 0
    .wavefront_size: 64
  - .agpr_count:     0
    .args:
      - .offset:         0
        .size:           104
        .value_kind:     by_value
    .group_segment_fixed_size: 7168
    .kernarg_segment_align: 8
    .kernarg_segment_size: 104
    .language:       OpenCL C
    .language_version:
      - 2
      - 0
    .max_flat_workgroup_size: 128
    .name:           _ZN7rocprim17ROCPRIM_400000_NS6detail17trampoline_kernelINS0_14default_configENS1_20scan_config_selectorIlEEZZNS1_9scan_implILNS1_25lookback_scan_determinismE0ELb0ELb0ES3_PlS8_lN6thrust23THRUST_200600_302600_NS4plusIvEElEEDaPvRmT3_T4_T5_mT6_P12ihipStream_tbENKUlT_T0_E_clISt17integral_constantIbLb0EESP_IbLb1EEEEDaSL_SM_EUlSL_E_NS1_11comp_targetILNS1_3genE4ELNS1_11target_archE910ELNS1_3gpuE8ELNS1_3repE0EEENS1_30default_config_static_selectorELNS0_4arch9wavefront6targetE1EEEvT1_
    .private_segment_fixed_size: 0
    .sgpr_count:     40
    .sgpr_spill_count: 0
    .symbol:         _ZN7rocprim17ROCPRIM_400000_NS6detail17trampoline_kernelINS0_14default_configENS1_20scan_config_selectorIlEEZZNS1_9scan_implILNS1_25lookback_scan_determinismE0ELb0ELb0ES3_PlS8_lN6thrust23THRUST_200600_302600_NS4plusIvEElEEDaPvRmT3_T4_T5_mT6_P12ihipStream_tbENKUlT_T0_E_clISt17integral_constantIbLb0EESP_IbLb1EEEEDaSL_SM_EUlSL_E_NS1_11comp_targetILNS1_3genE4ELNS1_11target_archE910ELNS1_3gpuE8ELNS1_3repE0EEENS1_30default_config_static_selectorELNS0_4arch9wavefront6targetE1EEEvT1_.kd
    .uniform_work_group_size: 1
    .uses_dynamic_stack: false
    .vgpr_count:     51
    .vgpr_spill_count: 0
    .wavefront_size: 64
  - .agpr_count:     0
    .args:
      - .offset:         0
        .size:           104
        .value_kind:     by_value
    .group_segment_fixed_size: 0
    .kernarg_segment_align: 8
    .kernarg_segment_size: 104
    .language:       OpenCL C
    .language_version:
      - 2
      - 0
    .max_flat_workgroup_size: 256
    .name:           _ZN7rocprim17ROCPRIM_400000_NS6detail17trampoline_kernelINS0_14default_configENS1_20scan_config_selectorIlEEZZNS1_9scan_implILNS1_25lookback_scan_determinismE0ELb0ELb0ES3_PlS8_lN6thrust23THRUST_200600_302600_NS4plusIvEElEEDaPvRmT3_T4_T5_mT6_P12ihipStream_tbENKUlT_T0_E_clISt17integral_constantIbLb0EESP_IbLb1EEEEDaSL_SM_EUlSL_E_NS1_11comp_targetILNS1_3genE3ELNS1_11target_archE908ELNS1_3gpuE7ELNS1_3repE0EEENS1_30default_config_static_selectorELNS0_4arch9wavefront6targetE1EEEvT1_
    .private_segment_fixed_size: 0
    .sgpr_count:     4
    .sgpr_spill_count: 0
    .symbol:         _ZN7rocprim17ROCPRIM_400000_NS6detail17trampoline_kernelINS0_14default_configENS1_20scan_config_selectorIlEEZZNS1_9scan_implILNS1_25lookback_scan_determinismE0ELb0ELb0ES3_PlS8_lN6thrust23THRUST_200600_302600_NS4plusIvEElEEDaPvRmT3_T4_T5_mT6_P12ihipStream_tbENKUlT_T0_E_clISt17integral_constantIbLb0EESP_IbLb1EEEEDaSL_SM_EUlSL_E_NS1_11comp_targetILNS1_3genE3ELNS1_11target_archE908ELNS1_3gpuE7ELNS1_3repE0EEENS1_30default_config_static_selectorELNS0_4arch9wavefront6targetE1EEEvT1_.kd
    .uniform_work_group_size: 1
    .uses_dynamic_stack: false
    .vgpr_count:     0
    .vgpr_spill_count: 0
    .wavefront_size: 64
  - .agpr_count:     0
    .args:
      - .offset:         0
        .size:           104
        .value_kind:     by_value
    .group_segment_fixed_size: 0
    .kernarg_segment_align: 8
    .kernarg_segment_size: 104
    .language:       OpenCL C
    .language_version:
      - 2
      - 0
    .max_flat_workgroup_size: 64
    .name:           _ZN7rocprim17ROCPRIM_400000_NS6detail17trampoline_kernelINS0_14default_configENS1_20scan_config_selectorIlEEZZNS1_9scan_implILNS1_25lookback_scan_determinismE0ELb0ELb0ES3_PlS8_lN6thrust23THRUST_200600_302600_NS4plusIvEElEEDaPvRmT3_T4_T5_mT6_P12ihipStream_tbENKUlT_T0_E_clISt17integral_constantIbLb0EESP_IbLb1EEEEDaSL_SM_EUlSL_E_NS1_11comp_targetILNS1_3genE2ELNS1_11target_archE906ELNS1_3gpuE6ELNS1_3repE0EEENS1_30default_config_static_selectorELNS0_4arch9wavefront6targetE1EEEvT1_
    .private_segment_fixed_size: 0
    .sgpr_count:     4
    .sgpr_spill_count: 0
    .symbol:         _ZN7rocprim17ROCPRIM_400000_NS6detail17trampoline_kernelINS0_14default_configENS1_20scan_config_selectorIlEEZZNS1_9scan_implILNS1_25lookback_scan_determinismE0ELb0ELb0ES3_PlS8_lN6thrust23THRUST_200600_302600_NS4plusIvEElEEDaPvRmT3_T4_T5_mT6_P12ihipStream_tbENKUlT_T0_E_clISt17integral_constantIbLb0EESP_IbLb1EEEEDaSL_SM_EUlSL_E_NS1_11comp_targetILNS1_3genE2ELNS1_11target_archE906ELNS1_3gpuE6ELNS1_3repE0EEENS1_30default_config_static_selectorELNS0_4arch9wavefront6targetE1EEEvT1_.kd
    .uniform_work_group_size: 1
    .uses_dynamic_stack: false
    .vgpr_count:     0
    .vgpr_spill_count: 0
    .wavefront_size: 64
  - .agpr_count:     0
    .args:
      - .offset:         0
        .size:           104
        .value_kind:     by_value
    .group_segment_fixed_size: 0
    .kernarg_segment_align: 8
    .kernarg_segment_size: 104
    .language:       OpenCL C
    .language_version:
      - 2
      - 0
    .max_flat_workgroup_size: 256
    .name:           _ZN7rocprim17ROCPRIM_400000_NS6detail17trampoline_kernelINS0_14default_configENS1_20scan_config_selectorIlEEZZNS1_9scan_implILNS1_25lookback_scan_determinismE0ELb0ELb0ES3_PlS8_lN6thrust23THRUST_200600_302600_NS4plusIvEElEEDaPvRmT3_T4_T5_mT6_P12ihipStream_tbENKUlT_T0_E_clISt17integral_constantIbLb0EESP_IbLb1EEEEDaSL_SM_EUlSL_E_NS1_11comp_targetILNS1_3genE10ELNS1_11target_archE1201ELNS1_3gpuE5ELNS1_3repE0EEENS1_30default_config_static_selectorELNS0_4arch9wavefront6targetE1EEEvT1_
    .private_segment_fixed_size: 0
    .sgpr_count:     4
    .sgpr_spill_count: 0
    .symbol:         _ZN7rocprim17ROCPRIM_400000_NS6detail17trampoline_kernelINS0_14default_configENS1_20scan_config_selectorIlEEZZNS1_9scan_implILNS1_25lookback_scan_determinismE0ELb0ELb0ES3_PlS8_lN6thrust23THRUST_200600_302600_NS4plusIvEElEEDaPvRmT3_T4_T5_mT6_P12ihipStream_tbENKUlT_T0_E_clISt17integral_constantIbLb0EESP_IbLb1EEEEDaSL_SM_EUlSL_E_NS1_11comp_targetILNS1_3genE10ELNS1_11target_archE1201ELNS1_3gpuE5ELNS1_3repE0EEENS1_30default_config_static_selectorELNS0_4arch9wavefront6targetE1EEEvT1_.kd
    .uniform_work_group_size: 1
    .uses_dynamic_stack: false
    .vgpr_count:     0
    .vgpr_spill_count: 0
    .wavefront_size: 64
  - .agpr_count:     0
    .args:
      - .offset:         0
        .size:           104
        .value_kind:     by_value
    .group_segment_fixed_size: 0
    .kernarg_segment_align: 8
    .kernarg_segment_size: 104
    .language:       OpenCL C
    .language_version:
      - 2
      - 0
    .max_flat_workgroup_size: 256
    .name:           _ZN7rocprim17ROCPRIM_400000_NS6detail17trampoline_kernelINS0_14default_configENS1_20scan_config_selectorIlEEZZNS1_9scan_implILNS1_25lookback_scan_determinismE0ELb0ELb0ES3_PlS8_lN6thrust23THRUST_200600_302600_NS4plusIvEElEEDaPvRmT3_T4_T5_mT6_P12ihipStream_tbENKUlT_T0_E_clISt17integral_constantIbLb0EESP_IbLb1EEEEDaSL_SM_EUlSL_E_NS1_11comp_targetILNS1_3genE10ELNS1_11target_archE1200ELNS1_3gpuE4ELNS1_3repE0EEENS1_30default_config_static_selectorELNS0_4arch9wavefront6targetE1EEEvT1_
    .private_segment_fixed_size: 0
    .sgpr_count:     4
    .sgpr_spill_count: 0
    .symbol:         _ZN7rocprim17ROCPRIM_400000_NS6detail17trampoline_kernelINS0_14default_configENS1_20scan_config_selectorIlEEZZNS1_9scan_implILNS1_25lookback_scan_determinismE0ELb0ELb0ES3_PlS8_lN6thrust23THRUST_200600_302600_NS4plusIvEElEEDaPvRmT3_T4_T5_mT6_P12ihipStream_tbENKUlT_T0_E_clISt17integral_constantIbLb0EESP_IbLb1EEEEDaSL_SM_EUlSL_E_NS1_11comp_targetILNS1_3genE10ELNS1_11target_archE1200ELNS1_3gpuE4ELNS1_3repE0EEENS1_30default_config_static_selectorELNS0_4arch9wavefront6targetE1EEEvT1_.kd
    .uniform_work_group_size: 1
    .uses_dynamic_stack: false
    .vgpr_count:     0
    .vgpr_spill_count: 0
    .wavefront_size: 64
  - .agpr_count:     0
    .args:
      - .offset:         0
        .size:           104
        .value_kind:     by_value
    .group_segment_fixed_size: 0
    .kernarg_segment_align: 8
    .kernarg_segment_size: 104
    .language:       OpenCL C
    .language_version:
      - 2
      - 0
    .max_flat_workgroup_size: 256
    .name:           _ZN7rocprim17ROCPRIM_400000_NS6detail17trampoline_kernelINS0_14default_configENS1_20scan_config_selectorIlEEZZNS1_9scan_implILNS1_25lookback_scan_determinismE0ELb0ELb0ES3_PlS8_lN6thrust23THRUST_200600_302600_NS4plusIvEElEEDaPvRmT3_T4_T5_mT6_P12ihipStream_tbENKUlT_T0_E_clISt17integral_constantIbLb0EESP_IbLb1EEEEDaSL_SM_EUlSL_E_NS1_11comp_targetILNS1_3genE9ELNS1_11target_archE1100ELNS1_3gpuE3ELNS1_3repE0EEENS1_30default_config_static_selectorELNS0_4arch9wavefront6targetE1EEEvT1_
    .private_segment_fixed_size: 0
    .sgpr_count:     4
    .sgpr_spill_count: 0
    .symbol:         _ZN7rocprim17ROCPRIM_400000_NS6detail17trampoline_kernelINS0_14default_configENS1_20scan_config_selectorIlEEZZNS1_9scan_implILNS1_25lookback_scan_determinismE0ELb0ELb0ES3_PlS8_lN6thrust23THRUST_200600_302600_NS4plusIvEElEEDaPvRmT3_T4_T5_mT6_P12ihipStream_tbENKUlT_T0_E_clISt17integral_constantIbLb0EESP_IbLb1EEEEDaSL_SM_EUlSL_E_NS1_11comp_targetILNS1_3genE9ELNS1_11target_archE1100ELNS1_3gpuE3ELNS1_3repE0EEENS1_30default_config_static_selectorELNS0_4arch9wavefront6targetE1EEEvT1_.kd
    .uniform_work_group_size: 1
    .uses_dynamic_stack: false
    .vgpr_count:     0
    .vgpr_spill_count: 0
    .wavefront_size: 64
  - .agpr_count:     0
    .args:
      - .offset:         0
        .size:           104
        .value_kind:     by_value
    .group_segment_fixed_size: 0
    .kernarg_segment_align: 8
    .kernarg_segment_size: 104
    .language:       OpenCL C
    .language_version:
      - 2
      - 0
    .max_flat_workgroup_size: 256
    .name:           _ZN7rocprim17ROCPRIM_400000_NS6detail17trampoline_kernelINS0_14default_configENS1_20scan_config_selectorIlEEZZNS1_9scan_implILNS1_25lookback_scan_determinismE0ELb0ELb0ES3_PlS8_lN6thrust23THRUST_200600_302600_NS4plusIvEElEEDaPvRmT3_T4_T5_mT6_P12ihipStream_tbENKUlT_T0_E_clISt17integral_constantIbLb0EESP_IbLb1EEEEDaSL_SM_EUlSL_E_NS1_11comp_targetILNS1_3genE8ELNS1_11target_archE1030ELNS1_3gpuE2ELNS1_3repE0EEENS1_30default_config_static_selectorELNS0_4arch9wavefront6targetE1EEEvT1_
    .private_segment_fixed_size: 0
    .sgpr_count:     4
    .sgpr_spill_count: 0
    .symbol:         _ZN7rocprim17ROCPRIM_400000_NS6detail17trampoline_kernelINS0_14default_configENS1_20scan_config_selectorIlEEZZNS1_9scan_implILNS1_25lookback_scan_determinismE0ELb0ELb0ES3_PlS8_lN6thrust23THRUST_200600_302600_NS4plusIvEElEEDaPvRmT3_T4_T5_mT6_P12ihipStream_tbENKUlT_T0_E_clISt17integral_constantIbLb0EESP_IbLb1EEEEDaSL_SM_EUlSL_E_NS1_11comp_targetILNS1_3genE8ELNS1_11target_archE1030ELNS1_3gpuE2ELNS1_3repE0EEENS1_30default_config_static_selectorELNS0_4arch9wavefront6targetE1EEEvT1_.kd
    .uniform_work_group_size: 1
    .uses_dynamic_stack: false
    .vgpr_count:     0
    .vgpr_spill_count: 0
    .wavefront_size: 64
  - .agpr_count:     0
    .args:
      - .offset:         0
        .size:           40
        .value_kind:     by_value
    .group_segment_fixed_size: 0
    .kernarg_segment_align: 8
    .kernarg_segment_size: 40
    .language:       OpenCL C
    .language_version:
      - 2
      - 0
    .max_flat_workgroup_size: 256
    .name:           _ZN7rocprim17ROCPRIM_400000_NS6detail17trampoline_kernelINS0_14default_configENS1_20scan_config_selectorIlEEZZNS1_9scan_implILNS1_25lookback_scan_determinismE0ELb0ELb0ES3_PlS8_lN6thrust23THRUST_200600_302600_NS4plusIvEElEEDaPvRmT3_T4_T5_mT6_P12ihipStream_tbENKUlT_T0_E_clISt17integral_constantIbLb0EESP_IbLb1EEEEDaSL_SM_EUlSL_E0_NS1_11comp_targetILNS1_3genE0ELNS1_11target_archE4294967295ELNS1_3gpuE0ELNS1_3repE0EEENS1_30default_config_static_selectorELNS0_4arch9wavefront6targetE1EEEvT1_
    .private_segment_fixed_size: 0
    .sgpr_count:     4
    .sgpr_spill_count: 0
    .symbol:         _ZN7rocprim17ROCPRIM_400000_NS6detail17trampoline_kernelINS0_14default_configENS1_20scan_config_selectorIlEEZZNS1_9scan_implILNS1_25lookback_scan_determinismE0ELb0ELb0ES3_PlS8_lN6thrust23THRUST_200600_302600_NS4plusIvEElEEDaPvRmT3_T4_T5_mT6_P12ihipStream_tbENKUlT_T0_E_clISt17integral_constantIbLb0EESP_IbLb1EEEEDaSL_SM_EUlSL_E0_NS1_11comp_targetILNS1_3genE0ELNS1_11target_archE4294967295ELNS1_3gpuE0ELNS1_3repE0EEENS1_30default_config_static_selectorELNS0_4arch9wavefront6targetE1EEEvT1_.kd
    .uniform_work_group_size: 1
    .uses_dynamic_stack: false
    .vgpr_count:     0
    .vgpr_spill_count: 0
    .wavefront_size: 64
  - .agpr_count:     0
    .args:
      - .offset:         0
        .size:           40
        .value_kind:     by_value
    .group_segment_fixed_size: 0
    .kernarg_segment_align: 8
    .kernarg_segment_size: 40
    .language:       OpenCL C
    .language_version:
      - 2
      - 0
    .max_flat_workgroup_size: 256
    .name:           _ZN7rocprim17ROCPRIM_400000_NS6detail17trampoline_kernelINS0_14default_configENS1_20scan_config_selectorIlEEZZNS1_9scan_implILNS1_25lookback_scan_determinismE0ELb0ELb0ES3_PlS8_lN6thrust23THRUST_200600_302600_NS4plusIvEElEEDaPvRmT3_T4_T5_mT6_P12ihipStream_tbENKUlT_T0_E_clISt17integral_constantIbLb0EESP_IbLb1EEEEDaSL_SM_EUlSL_E0_NS1_11comp_targetILNS1_3genE5ELNS1_11target_archE942ELNS1_3gpuE9ELNS1_3repE0EEENS1_30default_config_static_selectorELNS0_4arch9wavefront6targetE1EEEvT1_
    .private_segment_fixed_size: 0
    .sgpr_count:     4
    .sgpr_spill_count: 0
    .symbol:         _ZN7rocprim17ROCPRIM_400000_NS6detail17trampoline_kernelINS0_14default_configENS1_20scan_config_selectorIlEEZZNS1_9scan_implILNS1_25lookback_scan_determinismE0ELb0ELb0ES3_PlS8_lN6thrust23THRUST_200600_302600_NS4plusIvEElEEDaPvRmT3_T4_T5_mT6_P12ihipStream_tbENKUlT_T0_E_clISt17integral_constantIbLb0EESP_IbLb1EEEEDaSL_SM_EUlSL_E0_NS1_11comp_targetILNS1_3genE5ELNS1_11target_archE942ELNS1_3gpuE9ELNS1_3repE0EEENS1_30default_config_static_selectorELNS0_4arch9wavefront6targetE1EEEvT1_.kd
    .uniform_work_group_size: 1
    .uses_dynamic_stack: false
    .vgpr_count:     0
    .vgpr_spill_count: 0
    .wavefront_size: 64
  - .agpr_count:     0
    .args:
      - .offset:         0
        .size:           40
        .value_kind:     by_value
    .group_segment_fixed_size: 7168
    .kernarg_segment_align: 8
    .kernarg_segment_size: 40
    .language:       OpenCL C
    .language_version:
      - 2
      - 0
    .max_flat_workgroup_size: 128
    .name:           _ZN7rocprim17ROCPRIM_400000_NS6detail17trampoline_kernelINS0_14default_configENS1_20scan_config_selectorIlEEZZNS1_9scan_implILNS1_25lookback_scan_determinismE0ELb0ELb0ES3_PlS8_lN6thrust23THRUST_200600_302600_NS4plusIvEElEEDaPvRmT3_T4_T5_mT6_P12ihipStream_tbENKUlT_T0_E_clISt17integral_constantIbLb0EESP_IbLb1EEEEDaSL_SM_EUlSL_E0_NS1_11comp_targetILNS1_3genE4ELNS1_11target_archE910ELNS1_3gpuE8ELNS1_3repE0EEENS1_30default_config_static_selectorELNS0_4arch9wavefront6targetE1EEEvT1_
    .private_segment_fixed_size: 0
    .sgpr_count:     26
    .sgpr_spill_count: 0
    .symbol:         _ZN7rocprim17ROCPRIM_400000_NS6detail17trampoline_kernelINS0_14default_configENS1_20scan_config_selectorIlEEZZNS1_9scan_implILNS1_25lookback_scan_determinismE0ELb0ELb0ES3_PlS8_lN6thrust23THRUST_200600_302600_NS4plusIvEElEEDaPvRmT3_T4_T5_mT6_P12ihipStream_tbENKUlT_T0_E_clISt17integral_constantIbLb0EESP_IbLb1EEEEDaSL_SM_EUlSL_E0_NS1_11comp_targetILNS1_3genE4ELNS1_11target_archE910ELNS1_3gpuE8ELNS1_3repE0EEENS1_30default_config_static_selectorELNS0_4arch9wavefront6targetE1EEEvT1_.kd
    .uniform_work_group_size: 1
    .uses_dynamic_stack: false
    .vgpr_count:     41
    .vgpr_spill_count: 0
    .wavefront_size: 64
  - .agpr_count:     0
    .args:
      - .offset:         0
        .size:           40
        .value_kind:     by_value
    .group_segment_fixed_size: 0
    .kernarg_segment_align: 8
    .kernarg_segment_size: 40
    .language:       OpenCL C
    .language_version:
      - 2
      - 0
    .max_flat_workgroup_size: 256
    .name:           _ZN7rocprim17ROCPRIM_400000_NS6detail17trampoline_kernelINS0_14default_configENS1_20scan_config_selectorIlEEZZNS1_9scan_implILNS1_25lookback_scan_determinismE0ELb0ELb0ES3_PlS8_lN6thrust23THRUST_200600_302600_NS4plusIvEElEEDaPvRmT3_T4_T5_mT6_P12ihipStream_tbENKUlT_T0_E_clISt17integral_constantIbLb0EESP_IbLb1EEEEDaSL_SM_EUlSL_E0_NS1_11comp_targetILNS1_3genE3ELNS1_11target_archE908ELNS1_3gpuE7ELNS1_3repE0EEENS1_30default_config_static_selectorELNS0_4arch9wavefront6targetE1EEEvT1_
    .private_segment_fixed_size: 0
    .sgpr_count:     4
    .sgpr_spill_count: 0
    .symbol:         _ZN7rocprim17ROCPRIM_400000_NS6detail17trampoline_kernelINS0_14default_configENS1_20scan_config_selectorIlEEZZNS1_9scan_implILNS1_25lookback_scan_determinismE0ELb0ELb0ES3_PlS8_lN6thrust23THRUST_200600_302600_NS4plusIvEElEEDaPvRmT3_T4_T5_mT6_P12ihipStream_tbENKUlT_T0_E_clISt17integral_constantIbLb0EESP_IbLb1EEEEDaSL_SM_EUlSL_E0_NS1_11comp_targetILNS1_3genE3ELNS1_11target_archE908ELNS1_3gpuE7ELNS1_3repE0EEENS1_30default_config_static_selectorELNS0_4arch9wavefront6targetE1EEEvT1_.kd
    .uniform_work_group_size: 1
    .uses_dynamic_stack: false
    .vgpr_count:     0
    .vgpr_spill_count: 0
    .wavefront_size: 64
  - .agpr_count:     0
    .args:
      - .offset:         0
        .size:           40
        .value_kind:     by_value
    .group_segment_fixed_size: 0
    .kernarg_segment_align: 8
    .kernarg_segment_size: 40
    .language:       OpenCL C
    .language_version:
      - 2
      - 0
    .max_flat_workgroup_size: 64
    .name:           _ZN7rocprim17ROCPRIM_400000_NS6detail17trampoline_kernelINS0_14default_configENS1_20scan_config_selectorIlEEZZNS1_9scan_implILNS1_25lookback_scan_determinismE0ELb0ELb0ES3_PlS8_lN6thrust23THRUST_200600_302600_NS4plusIvEElEEDaPvRmT3_T4_T5_mT6_P12ihipStream_tbENKUlT_T0_E_clISt17integral_constantIbLb0EESP_IbLb1EEEEDaSL_SM_EUlSL_E0_NS1_11comp_targetILNS1_3genE2ELNS1_11target_archE906ELNS1_3gpuE6ELNS1_3repE0EEENS1_30default_config_static_selectorELNS0_4arch9wavefront6targetE1EEEvT1_
    .private_segment_fixed_size: 0
    .sgpr_count:     4
    .sgpr_spill_count: 0
    .symbol:         _ZN7rocprim17ROCPRIM_400000_NS6detail17trampoline_kernelINS0_14default_configENS1_20scan_config_selectorIlEEZZNS1_9scan_implILNS1_25lookback_scan_determinismE0ELb0ELb0ES3_PlS8_lN6thrust23THRUST_200600_302600_NS4plusIvEElEEDaPvRmT3_T4_T5_mT6_P12ihipStream_tbENKUlT_T0_E_clISt17integral_constantIbLb0EESP_IbLb1EEEEDaSL_SM_EUlSL_E0_NS1_11comp_targetILNS1_3genE2ELNS1_11target_archE906ELNS1_3gpuE6ELNS1_3repE0EEENS1_30default_config_static_selectorELNS0_4arch9wavefront6targetE1EEEvT1_.kd
    .uniform_work_group_size: 1
    .uses_dynamic_stack: false
    .vgpr_count:     0
    .vgpr_spill_count: 0
    .wavefront_size: 64
  - .agpr_count:     0
    .args:
      - .offset:         0
        .size:           40
        .value_kind:     by_value
    .group_segment_fixed_size: 0
    .kernarg_segment_align: 8
    .kernarg_segment_size: 40
    .language:       OpenCL C
    .language_version:
      - 2
      - 0
    .max_flat_workgroup_size: 256
    .name:           _ZN7rocprim17ROCPRIM_400000_NS6detail17trampoline_kernelINS0_14default_configENS1_20scan_config_selectorIlEEZZNS1_9scan_implILNS1_25lookback_scan_determinismE0ELb0ELb0ES3_PlS8_lN6thrust23THRUST_200600_302600_NS4plusIvEElEEDaPvRmT3_T4_T5_mT6_P12ihipStream_tbENKUlT_T0_E_clISt17integral_constantIbLb0EESP_IbLb1EEEEDaSL_SM_EUlSL_E0_NS1_11comp_targetILNS1_3genE10ELNS1_11target_archE1201ELNS1_3gpuE5ELNS1_3repE0EEENS1_30default_config_static_selectorELNS0_4arch9wavefront6targetE1EEEvT1_
    .private_segment_fixed_size: 0
    .sgpr_count:     4
    .sgpr_spill_count: 0
    .symbol:         _ZN7rocprim17ROCPRIM_400000_NS6detail17trampoline_kernelINS0_14default_configENS1_20scan_config_selectorIlEEZZNS1_9scan_implILNS1_25lookback_scan_determinismE0ELb0ELb0ES3_PlS8_lN6thrust23THRUST_200600_302600_NS4plusIvEElEEDaPvRmT3_T4_T5_mT6_P12ihipStream_tbENKUlT_T0_E_clISt17integral_constantIbLb0EESP_IbLb1EEEEDaSL_SM_EUlSL_E0_NS1_11comp_targetILNS1_3genE10ELNS1_11target_archE1201ELNS1_3gpuE5ELNS1_3repE0EEENS1_30default_config_static_selectorELNS0_4arch9wavefront6targetE1EEEvT1_.kd
    .uniform_work_group_size: 1
    .uses_dynamic_stack: false
    .vgpr_count:     0
    .vgpr_spill_count: 0
    .wavefront_size: 64
  - .agpr_count:     0
    .args:
      - .offset:         0
        .size:           40
        .value_kind:     by_value
    .group_segment_fixed_size: 0
    .kernarg_segment_align: 8
    .kernarg_segment_size: 40
    .language:       OpenCL C
    .language_version:
      - 2
      - 0
    .max_flat_workgroup_size: 256
    .name:           _ZN7rocprim17ROCPRIM_400000_NS6detail17trampoline_kernelINS0_14default_configENS1_20scan_config_selectorIlEEZZNS1_9scan_implILNS1_25lookback_scan_determinismE0ELb0ELb0ES3_PlS8_lN6thrust23THRUST_200600_302600_NS4plusIvEElEEDaPvRmT3_T4_T5_mT6_P12ihipStream_tbENKUlT_T0_E_clISt17integral_constantIbLb0EESP_IbLb1EEEEDaSL_SM_EUlSL_E0_NS1_11comp_targetILNS1_3genE10ELNS1_11target_archE1200ELNS1_3gpuE4ELNS1_3repE0EEENS1_30default_config_static_selectorELNS0_4arch9wavefront6targetE1EEEvT1_
    .private_segment_fixed_size: 0
    .sgpr_count:     4
    .sgpr_spill_count: 0
    .symbol:         _ZN7rocprim17ROCPRIM_400000_NS6detail17trampoline_kernelINS0_14default_configENS1_20scan_config_selectorIlEEZZNS1_9scan_implILNS1_25lookback_scan_determinismE0ELb0ELb0ES3_PlS8_lN6thrust23THRUST_200600_302600_NS4plusIvEElEEDaPvRmT3_T4_T5_mT6_P12ihipStream_tbENKUlT_T0_E_clISt17integral_constantIbLb0EESP_IbLb1EEEEDaSL_SM_EUlSL_E0_NS1_11comp_targetILNS1_3genE10ELNS1_11target_archE1200ELNS1_3gpuE4ELNS1_3repE0EEENS1_30default_config_static_selectorELNS0_4arch9wavefront6targetE1EEEvT1_.kd
    .uniform_work_group_size: 1
    .uses_dynamic_stack: false
    .vgpr_count:     0
    .vgpr_spill_count: 0
    .wavefront_size: 64
  - .agpr_count:     0
    .args:
      - .offset:         0
        .size:           40
        .value_kind:     by_value
    .group_segment_fixed_size: 0
    .kernarg_segment_align: 8
    .kernarg_segment_size: 40
    .language:       OpenCL C
    .language_version:
      - 2
      - 0
    .max_flat_workgroup_size: 256
    .name:           _ZN7rocprim17ROCPRIM_400000_NS6detail17trampoline_kernelINS0_14default_configENS1_20scan_config_selectorIlEEZZNS1_9scan_implILNS1_25lookback_scan_determinismE0ELb0ELb0ES3_PlS8_lN6thrust23THRUST_200600_302600_NS4plusIvEElEEDaPvRmT3_T4_T5_mT6_P12ihipStream_tbENKUlT_T0_E_clISt17integral_constantIbLb0EESP_IbLb1EEEEDaSL_SM_EUlSL_E0_NS1_11comp_targetILNS1_3genE9ELNS1_11target_archE1100ELNS1_3gpuE3ELNS1_3repE0EEENS1_30default_config_static_selectorELNS0_4arch9wavefront6targetE1EEEvT1_
    .private_segment_fixed_size: 0
    .sgpr_count:     4
    .sgpr_spill_count: 0
    .symbol:         _ZN7rocprim17ROCPRIM_400000_NS6detail17trampoline_kernelINS0_14default_configENS1_20scan_config_selectorIlEEZZNS1_9scan_implILNS1_25lookback_scan_determinismE0ELb0ELb0ES3_PlS8_lN6thrust23THRUST_200600_302600_NS4plusIvEElEEDaPvRmT3_T4_T5_mT6_P12ihipStream_tbENKUlT_T0_E_clISt17integral_constantIbLb0EESP_IbLb1EEEEDaSL_SM_EUlSL_E0_NS1_11comp_targetILNS1_3genE9ELNS1_11target_archE1100ELNS1_3gpuE3ELNS1_3repE0EEENS1_30default_config_static_selectorELNS0_4arch9wavefront6targetE1EEEvT1_.kd
    .uniform_work_group_size: 1
    .uses_dynamic_stack: false
    .vgpr_count:     0
    .vgpr_spill_count: 0
    .wavefront_size: 64
  - .agpr_count:     0
    .args:
      - .offset:         0
        .size:           40
        .value_kind:     by_value
    .group_segment_fixed_size: 0
    .kernarg_segment_align: 8
    .kernarg_segment_size: 40
    .language:       OpenCL C
    .language_version:
      - 2
      - 0
    .max_flat_workgroup_size: 256
    .name:           _ZN7rocprim17ROCPRIM_400000_NS6detail17trampoline_kernelINS0_14default_configENS1_20scan_config_selectorIlEEZZNS1_9scan_implILNS1_25lookback_scan_determinismE0ELb0ELb0ES3_PlS8_lN6thrust23THRUST_200600_302600_NS4plusIvEElEEDaPvRmT3_T4_T5_mT6_P12ihipStream_tbENKUlT_T0_E_clISt17integral_constantIbLb0EESP_IbLb1EEEEDaSL_SM_EUlSL_E0_NS1_11comp_targetILNS1_3genE8ELNS1_11target_archE1030ELNS1_3gpuE2ELNS1_3repE0EEENS1_30default_config_static_selectorELNS0_4arch9wavefront6targetE1EEEvT1_
    .private_segment_fixed_size: 0
    .sgpr_count:     4
    .sgpr_spill_count: 0
    .symbol:         _ZN7rocprim17ROCPRIM_400000_NS6detail17trampoline_kernelINS0_14default_configENS1_20scan_config_selectorIlEEZZNS1_9scan_implILNS1_25lookback_scan_determinismE0ELb0ELb0ES3_PlS8_lN6thrust23THRUST_200600_302600_NS4plusIvEElEEDaPvRmT3_T4_T5_mT6_P12ihipStream_tbENKUlT_T0_E_clISt17integral_constantIbLb0EESP_IbLb1EEEEDaSL_SM_EUlSL_E0_NS1_11comp_targetILNS1_3genE8ELNS1_11target_archE1030ELNS1_3gpuE2ELNS1_3repE0EEENS1_30default_config_static_selectorELNS0_4arch9wavefront6targetE1EEEvT1_.kd
    .uniform_work_group_size: 1
    .uses_dynamic_stack: false
    .vgpr_count:     0
    .vgpr_spill_count: 0
    .wavefront_size: 64
  - .agpr_count:     0
    .args:
      - .offset:         0
        .size:           32
        .value_kind:     by_value
      - .offset:         32
        .size:           8
        .value_kind:     by_value
      - .offset:         40
        .size:           8
        .value_kind:     by_value
    .group_segment_fixed_size: 0
    .kernarg_segment_align: 8
    .kernarg_segment_size: 48
    .language:       OpenCL C
    .language_version:
      - 2
      - 0
    .max_flat_workgroup_size: 256
    .name:           _ZN6thrust23THRUST_200600_302600_NS11hip_rocprim14__parallel_for6kernelILj256ENS1_11__transform17unary_transform_fIPlNS0_20permutation_iteratorIS6_PKlEENS4_14no_stencil_tagENS1_8identityENS4_21always_true_predicateEEElLj1EEEvT0_T1_SG_
    .private_segment_fixed_size: 0
    .sgpr_count:     16
    .sgpr_spill_count: 0
    .symbol:         _ZN6thrust23THRUST_200600_302600_NS11hip_rocprim14__parallel_for6kernelILj256ENS1_11__transform17unary_transform_fIPlNS0_20permutation_iteratorIS6_PKlEENS4_14no_stencil_tagENS1_8identityENS4_21always_true_predicateEEElLj1EEEvT0_T1_SG_.kd
    .uniform_work_group_size: 1
    .uses_dynamic_stack: false
    .vgpr_count:     5
    .vgpr_spill_count: 0
    .wavefront_size: 64
  - .agpr_count:     0
    .args:
      - .address_space:  global
        .offset:         0
        .size:           8
        .value_kind:     global_buffer
      - .offset:         8
        .size:           4
        .value_kind:     by_value
      - .offset:         12
        .size:           1
        .value_kind:     by_value
      - .offset:         16
        .size:           4
        .value_kind:     by_value
      - .address_space:  global
        .offset:         24
        .size:           8
        .value_kind:     global_buffer
      - .offset:         32
        .size:           4
        .value_kind:     hidden_block_count_x
      - .offset:         36
        .size:           4
        .value_kind:     hidden_block_count_y
      - .offset:         40
        .size:           4
        .value_kind:     hidden_block_count_z
      - .offset:         44
        .size:           2
        .value_kind:     hidden_group_size_x
      - .offset:         46
        .size:           2
        .value_kind:     hidden_group_size_y
      - .offset:         48
        .size:           2
        .value_kind:     hidden_group_size_z
      - .offset:         50
        .size:           2
        .value_kind:     hidden_remainder_x
      - .offset:         52
        .size:           2
        .value_kind:     hidden_remainder_y
      - .offset:         54
        .size:           2
        .value_kind:     hidden_remainder_z
      - .offset:         72
        .size:           8
        .value_kind:     hidden_global_offset_x
      - .offset:         80
        .size:           8
        .value_kind:     hidden_global_offset_y
      - .offset:         88
        .size:           8
        .value_kind:     hidden_global_offset_z
      - .offset:         96
        .size:           2
        .value_kind:     hidden_grid_dims
    .group_segment_fixed_size: 0
    .kernarg_segment_align: 8
    .kernarg_segment_size: 288
    .language:       OpenCL C
    .language_version:
      - 2
      - 0
    .max_flat_workgroup_size: 256
    .name:           _ZN7rocprim17ROCPRIM_400000_NS6detail31init_lookback_scan_state_kernelINS1_19lookback_scan_stateIjLb0ELb1EEENS1_16block_id_wrapperIjLb0EEEEEvT_jT0_jPNS7_10value_typeE
    .private_segment_fixed_size: 0
    .sgpr_count:     13
    .sgpr_spill_count: 0
    .symbol:         _ZN7rocprim17ROCPRIM_400000_NS6detail31init_lookback_scan_state_kernelINS1_19lookback_scan_stateIjLb0ELb1EEENS1_16block_id_wrapperIjLb0EEEEEvT_jT0_jPNS7_10value_typeE.kd
    .uniform_work_group_size: 1
    .uses_dynamic_stack: false
    .vgpr_count:     6
    .vgpr_spill_count: 0
    .wavefront_size: 64
  - .agpr_count:     0
    .args:
      - .offset:         0
        .size:           120
        .value_kind:     by_value
    .group_segment_fixed_size: 0
    .kernarg_segment_align: 8
    .kernarg_segment_size: 120
    .language:       OpenCL C
    .language_version:
      - 2
      - 0
    .max_flat_workgroup_size: 512
    .name:           _ZN7rocprim17ROCPRIM_400000_NS6detail17trampoline_kernelINS0_14default_configENS1_25partition_config_selectorILNS1_17partition_subalgoE8ElNS0_10empty_typeEbEEZZNS1_14partition_implILS5_8ELb0ES3_jPlPS6_PKS6_NS0_5tupleIJS9_S6_EEENSD_IJSA_SA_EEENS0_18inequality_wrapperIZN2at6native12_GLOBAL__N_124unique_dim_cuda_templateIhEESt5tupleIJNSH_6TensorESM_SM_EERKSM_lbbbEUlllE0_EEPmJS6_EEE10hipError_tPvRmT3_T4_T5_T6_T7_T9_mT8_P12ihipStream_tbDpT10_ENKUlT_T0_E_clISt17integral_constantIbLb0EES1C_EEDaS17_S18_EUlS17_E_NS1_11comp_targetILNS1_3genE0ELNS1_11target_archE4294967295ELNS1_3gpuE0ELNS1_3repE0EEENS1_30default_config_static_selectorELNS0_4arch9wavefront6targetE1EEEvT1_
    .private_segment_fixed_size: 0
    .sgpr_count:     4
    .sgpr_spill_count: 0
    .symbol:         _ZN7rocprim17ROCPRIM_400000_NS6detail17trampoline_kernelINS0_14default_configENS1_25partition_config_selectorILNS1_17partition_subalgoE8ElNS0_10empty_typeEbEEZZNS1_14partition_implILS5_8ELb0ES3_jPlPS6_PKS6_NS0_5tupleIJS9_S6_EEENSD_IJSA_SA_EEENS0_18inequality_wrapperIZN2at6native12_GLOBAL__N_124unique_dim_cuda_templateIhEESt5tupleIJNSH_6TensorESM_SM_EERKSM_lbbbEUlllE0_EEPmJS6_EEE10hipError_tPvRmT3_T4_T5_T6_T7_T9_mT8_P12ihipStream_tbDpT10_ENKUlT_T0_E_clISt17integral_constantIbLb0EES1C_EEDaS17_S18_EUlS17_E_NS1_11comp_targetILNS1_3genE0ELNS1_11target_archE4294967295ELNS1_3gpuE0ELNS1_3repE0EEENS1_30default_config_static_selectorELNS0_4arch9wavefront6targetE1EEEvT1_.kd
    .uniform_work_group_size: 1
    .uses_dynamic_stack: false
    .vgpr_count:     0
    .vgpr_spill_count: 0
    .wavefront_size: 64
  - .agpr_count:     0
    .args:
      - .offset:         0
        .size:           120
        .value_kind:     by_value
    .group_segment_fixed_size: 0
    .kernarg_segment_align: 8
    .kernarg_segment_size: 120
    .language:       OpenCL C
    .language_version:
      - 2
      - 0
    .max_flat_workgroup_size: 512
    .name:           _ZN7rocprim17ROCPRIM_400000_NS6detail17trampoline_kernelINS0_14default_configENS1_25partition_config_selectorILNS1_17partition_subalgoE8ElNS0_10empty_typeEbEEZZNS1_14partition_implILS5_8ELb0ES3_jPlPS6_PKS6_NS0_5tupleIJS9_S6_EEENSD_IJSA_SA_EEENS0_18inequality_wrapperIZN2at6native12_GLOBAL__N_124unique_dim_cuda_templateIhEESt5tupleIJNSH_6TensorESM_SM_EERKSM_lbbbEUlllE0_EEPmJS6_EEE10hipError_tPvRmT3_T4_T5_T6_T7_T9_mT8_P12ihipStream_tbDpT10_ENKUlT_T0_E_clISt17integral_constantIbLb0EES1C_EEDaS17_S18_EUlS17_E_NS1_11comp_targetILNS1_3genE5ELNS1_11target_archE942ELNS1_3gpuE9ELNS1_3repE0EEENS1_30default_config_static_selectorELNS0_4arch9wavefront6targetE1EEEvT1_
    .private_segment_fixed_size: 0
    .sgpr_count:     4
    .sgpr_spill_count: 0
    .symbol:         _ZN7rocprim17ROCPRIM_400000_NS6detail17trampoline_kernelINS0_14default_configENS1_25partition_config_selectorILNS1_17partition_subalgoE8ElNS0_10empty_typeEbEEZZNS1_14partition_implILS5_8ELb0ES3_jPlPS6_PKS6_NS0_5tupleIJS9_S6_EEENSD_IJSA_SA_EEENS0_18inequality_wrapperIZN2at6native12_GLOBAL__N_124unique_dim_cuda_templateIhEESt5tupleIJNSH_6TensorESM_SM_EERKSM_lbbbEUlllE0_EEPmJS6_EEE10hipError_tPvRmT3_T4_T5_T6_T7_T9_mT8_P12ihipStream_tbDpT10_ENKUlT_T0_E_clISt17integral_constantIbLb0EES1C_EEDaS17_S18_EUlS17_E_NS1_11comp_targetILNS1_3genE5ELNS1_11target_archE942ELNS1_3gpuE9ELNS1_3repE0EEENS1_30default_config_static_selectorELNS0_4arch9wavefront6targetE1EEEvT1_.kd
    .uniform_work_group_size: 1
    .uses_dynamic_stack: false
    .vgpr_count:     0
    .vgpr_spill_count: 0
    .wavefront_size: 64
  - .agpr_count:     0
    .args:
      - .offset:         0
        .size:           120
        .value_kind:     by_value
    .group_segment_fixed_size: 10252
    .kernarg_segment_align: 8
    .kernarg_segment_size: 120
    .language:       OpenCL C
    .language_version:
      - 2
      - 0
    .max_flat_workgroup_size: 256
    .name:           _ZN7rocprim17ROCPRIM_400000_NS6detail17trampoline_kernelINS0_14default_configENS1_25partition_config_selectorILNS1_17partition_subalgoE8ElNS0_10empty_typeEbEEZZNS1_14partition_implILS5_8ELb0ES3_jPlPS6_PKS6_NS0_5tupleIJS9_S6_EEENSD_IJSA_SA_EEENS0_18inequality_wrapperIZN2at6native12_GLOBAL__N_124unique_dim_cuda_templateIhEESt5tupleIJNSH_6TensorESM_SM_EERKSM_lbbbEUlllE0_EEPmJS6_EEE10hipError_tPvRmT3_T4_T5_T6_T7_T9_mT8_P12ihipStream_tbDpT10_ENKUlT_T0_E_clISt17integral_constantIbLb0EES1C_EEDaS17_S18_EUlS17_E_NS1_11comp_targetILNS1_3genE4ELNS1_11target_archE910ELNS1_3gpuE8ELNS1_3repE0EEENS1_30default_config_static_selectorELNS0_4arch9wavefront6targetE1EEEvT1_
    .private_segment_fixed_size: 0
    .sgpr_count:     52
    .sgpr_spill_count: 0
    .symbol:         _ZN7rocprim17ROCPRIM_400000_NS6detail17trampoline_kernelINS0_14default_configENS1_25partition_config_selectorILNS1_17partition_subalgoE8ElNS0_10empty_typeEbEEZZNS1_14partition_implILS5_8ELb0ES3_jPlPS6_PKS6_NS0_5tupleIJS9_S6_EEENSD_IJSA_SA_EEENS0_18inequality_wrapperIZN2at6native12_GLOBAL__N_124unique_dim_cuda_templateIhEESt5tupleIJNSH_6TensorESM_SM_EERKSM_lbbbEUlllE0_EEPmJS6_EEE10hipError_tPvRmT3_T4_T5_T6_T7_T9_mT8_P12ihipStream_tbDpT10_ENKUlT_T0_E_clISt17integral_constantIbLb0EES1C_EEDaS17_S18_EUlS17_E_NS1_11comp_targetILNS1_3genE4ELNS1_11target_archE910ELNS1_3gpuE8ELNS1_3repE0EEENS1_30default_config_static_selectorELNS0_4arch9wavefront6targetE1EEEvT1_.kd
    .uniform_work_group_size: 1
    .uses_dynamic_stack: false
    .vgpr_count:     46
    .vgpr_spill_count: 0
    .wavefront_size: 64
  - .agpr_count:     0
    .args:
      - .offset:         0
        .size:           120
        .value_kind:     by_value
    .group_segment_fixed_size: 0
    .kernarg_segment_align: 8
    .kernarg_segment_size: 120
    .language:       OpenCL C
    .language_version:
      - 2
      - 0
    .max_flat_workgroup_size: 512
    .name:           _ZN7rocprim17ROCPRIM_400000_NS6detail17trampoline_kernelINS0_14default_configENS1_25partition_config_selectorILNS1_17partition_subalgoE8ElNS0_10empty_typeEbEEZZNS1_14partition_implILS5_8ELb0ES3_jPlPS6_PKS6_NS0_5tupleIJS9_S6_EEENSD_IJSA_SA_EEENS0_18inequality_wrapperIZN2at6native12_GLOBAL__N_124unique_dim_cuda_templateIhEESt5tupleIJNSH_6TensorESM_SM_EERKSM_lbbbEUlllE0_EEPmJS6_EEE10hipError_tPvRmT3_T4_T5_T6_T7_T9_mT8_P12ihipStream_tbDpT10_ENKUlT_T0_E_clISt17integral_constantIbLb0EES1C_EEDaS17_S18_EUlS17_E_NS1_11comp_targetILNS1_3genE3ELNS1_11target_archE908ELNS1_3gpuE7ELNS1_3repE0EEENS1_30default_config_static_selectorELNS0_4arch9wavefront6targetE1EEEvT1_
    .private_segment_fixed_size: 0
    .sgpr_count:     4
    .sgpr_spill_count: 0
    .symbol:         _ZN7rocprim17ROCPRIM_400000_NS6detail17trampoline_kernelINS0_14default_configENS1_25partition_config_selectorILNS1_17partition_subalgoE8ElNS0_10empty_typeEbEEZZNS1_14partition_implILS5_8ELb0ES3_jPlPS6_PKS6_NS0_5tupleIJS9_S6_EEENSD_IJSA_SA_EEENS0_18inequality_wrapperIZN2at6native12_GLOBAL__N_124unique_dim_cuda_templateIhEESt5tupleIJNSH_6TensorESM_SM_EERKSM_lbbbEUlllE0_EEPmJS6_EEE10hipError_tPvRmT3_T4_T5_T6_T7_T9_mT8_P12ihipStream_tbDpT10_ENKUlT_T0_E_clISt17integral_constantIbLb0EES1C_EEDaS17_S18_EUlS17_E_NS1_11comp_targetILNS1_3genE3ELNS1_11target_archE908ELNS1_3gpuE7ELNS1_3repE0EEENS1_30default_config_static_selectorELNS0_4arch9wavefront6targetE1EEEvT1_.kd
    .uniform_work_group_size: 1
    .uses_dynamic_stack: false
    .vgpr_count:     0
    .vgpr_spill_count: 0
    .wavefront_size: 64
  - .agpr_count:     0
    .args:
      - .offset:         0
        .size:           120
        .value_kind:     by_value
    .group_segment_fixed_size: 0
    .kernarg_segment_align: 8
    .kernarg_segment_size: 120
    .language:       OpenCL C
    .language_version:
      - 2
      - 0
    .max_flat_workgroup_size: 256
    .name:           _ZN7rocprim17ROCPRIM_400000_NS6detail17trampoline_kernelINS0_14default_configENS1_25partition_config_selectorILNS1_17partition_subalgoE8ElNS0_10empty_typeEbEEZZNS1_14partition_implILS5_8ELb0ES3_jPlPS6_PKS6_NS0_5tupleIJS9_S6_EEENSD_IJSA_SA_EEENS0_18inequality_wrapperIZN2at6native12_GLOBAL__N_124unique_dim_cuda_templateIhEESt5tupleIJNSH_6TensorESM_SM_EERKSM_lbbbEUlllE0_EEPmJS6_EEE10hipError_tPvRmT3_T4_T5_T6_T7_T9_mT8_P12ihipStream_tbDpT10_ENKUlT_T0_E_clISt17integral_constantIbLb0EES1C_EEDaS17_S18_EUlS17_E_NS1_11comp_targetILNS1_3genE2ELNS1_11target_archE906ELNS1_3gpuE6ELNS1_3repE0EEENS1_30default_config_static_selectorELNS0_4arch9wavefront6targetE1EEEvT1_
    .private_segment_fixed_size: 0
    .sgpr_count:     4
    .sgpr_spill_count: 0
    .symbol:         _ZN7rocprim17ROCPRIM_400000_NS6detail17trampoline_kernelINS0_14default_configENS1_25partition_config_selectorILNS1_17partition_subalgoE8ElNS0_10empty_typeEbEEZZNS1_14partition_implILS5_8ELb0ES3_jPlPS6_PKS6_NS0_5tupleIJS9_S6_EEENSD_IJSA_SA_EEENS0_18inequality_wrapperIZN2at6native12_GLOBAL__N_124unique_dim_cuda_templateIhEESt5tupleIJNSH_6TensorESM_SM_EERKSM_lbbbEUlllE0_EEPmJS6_EEE10hipError_tPvRmT3_T4_T5_T6_T7_T9_mT8_P12ihipStream_tbDpT10_ENKUlT_T0_E_clISt17integral_constantIbLb0EES1C_EEDaS17_S18_EUlS17_E_NS1_11comp_targetILNS1_3genE2ELNS1_11target_archE906ELNS1_3gpuE6ELNS1_3repE0EEENS1_30default_config_static_selectorELNS0_4arch9wavefront6targetE1EEEvT1_.kd
    .uniform_work_group_size: 1
    .uses_dynamic_stack: false
    .vgpr_count:     0
    .vgpr_spill_count: 0
    .wavefront_size: 64
  - .agpr_count:     0
    .args:
      - .offset:         0
        .size:           120
        .value_kind:     by_value
    .group_segment_fixed_size: 0
    .kernarg_segment_align: 8
    .kernarg_segment_size: 120
    .language:       OpenCL C
    .language_version:
      - 2
      - 0
    .max_flat_workgroup_size: 384
    .name:           _ZN7rocprim17ROCPRIM_400000_NS6detail17trampoline_kernelINS0_14default_configENS1_25partition_config_selectorILNS1_17partition_subalgoE8ElNS0_10empty_typeEbEEZZNS1_14partition_implILS5_8ELb0ES3_jPlPS6_PKS6_NS0_5tupleIJS9_S6_EEENSD_IJSA_SA_EEENS0_18inequality_wrapperIZN2at6native12_GLOBAL__N_124unique_dim_cuda_templateIhEESt5tupleIJNSH_6TensorESM_SM_EERKSM_lbbbEUlllE0_EEPmJS6_EEE10hipError_tPvRmT3_T4_T5_T6_T7_T9_mT8_P12ihipStream_tbDpT10_ENKUlT_T0_E_clISt17integral_constantIbLb0EES1C_EEDaS17_S18_EUlS17_E_NS1_11comp_targetILNS1_3genE10ELNS1_11target_archE1200ELNS1_3gpuE4ELNS1_3repE0EEENS1_30default_config_static_selectorELNS0_4arch9wavefront6targetE1EEEvT1_
    .private_segment_fixed_size: 0
    .sgpr_count:     4
    .sgpr_spill_count: 0
    .symbol:         _ZN7rocprim17ROCPRIM_400000_NS6detail17trampoline_kernelINS0_14default_configENS1_25partition_config_selectorILNS1_17partition_subalgoE8ElNS0_10empty_typeEbEEZZNS1_14partition_implILS5_8ELb0ES3_jPlPS6_PKS6_NS0_5tupleIJS9_S6_EEENSD_IJSA_SA_EEENS0_18inequality_wrapperIZN2at6native12_GLOBAL__N_124unique_dim_cuda_templateIhEESt5tupleIJNSH_6TensorESM_SM_EERKSM_lbbbEUlllE0_EEPmJS6_EEE10hipError_tPvRmT3_T4_T5_T6_T7_T9_mT8_P12ihipStream_tbDpT10_ENKUlT_T0_E_clISt17integral_constantIbLb0EES1C_EEDaS17_S18_EUlS17_E_NS1_11comp_targetILNS1_3genE10ELNS1_11target_archE1200ELNS1_3gpuE4ELNS1_3repE0EEENS1_30default_config_static_selectorELNS0_4arch9wavefront6targetE1EEEvT1_.kd
    .uniform_work_group_size: 1
    .uses_dynamic_stack: false
    .vgpr_count:     0
    .vgpr_spill_count: 0
    .wavefront_size: 64
  - .agpr_count:     0
    .args:
      - .offset:         0
        .size:           120
        .value_kind:     by_value
    .group_segment_fixed_size: 0
    .kernarg_segment_align: 8
    .kernarg_segment_size: 120
    .language:       OpenCL C
    .language_version:
      - 2
      - 0
    .max_flat_workgroup_size: 512
    .name:           _ZN7rocprim17ROCPRIM_400000_NS6detail17trampoline_kernelINS0_14default_configENS1_25partition_config_selectorILNS1_17partition_subalgoE8ElNS0_10empty_typeEbEEZZNS1_14partition_implILS5_8ELb0ES3_jPlPS6_PKS6_NS0_5tupleIJS9_S6_EEENSD_IJSA_SA_EEENS0_18inequality_wrapperIZN2at6native12_GLOBAL__N_124unique_dim_cuda_templateIhEESt5tupleIJNSH_6TensorESM_SM_EERKSM_lbbbEUlllE0_EEPmJS6_EEE10hipError_tPvRmT3_T4_T5_T6_T7_T9_mT8_P12ihipStream_tbDpT10_ENKUlT_T0_E_clISt17integral_constantIbLb0EES1C_EEDaS17_S18_EUlS17_E_NS1_11comp_targetILNS1_3genE9ELNS1_11target_archE1100ELNS1_3gpuE3ELNS1_3repE0EEENS1_30default_config_static_selectorELNS0_4arch9wavefront6targetE1EEEvT1_
    .private_segment_fixed_size: 0
    .sgpr_count:     4
    .sgpr_spill_count: 0
    .symbol:         _ZN7rocprim17ROCPRIM_400000_NS6detail17trampoline_kernelINS0_14default_configENS1_25partition_config_selectorILNS1_17partition_subalgoE8ElNS0_10empty_typeEbEEZZNS1_14partition_implILS5_8ELb0ES3_jPlPS6_PKS6_NS0_5tupleIJS9_S6_EEENSD_IJSA_SA_EEENS0_18inequality_wrapperIZN2at6native12_GLOBAL__N_124unique_dim_cuda_templateIhEESt5tupleIJNSH_6TensorESM_SM_EERKSM_lbbbEUlllE0_EEPmJS6_EEE10hipError_tPvRmT3_T4_T5_T6_T7_T9_mT8_P12ihipStream_tbDpT10_ENKUlT_T0_E_clISt17integral_constantIbLb0EES1C_EEDaS17_S18_EUlS17_E_NS1_11comp_targetILNS1_3genE9ELNS1_11target_archE1100ELNS1_3gpuE3ELNS1_3repE0EEENS1_30default_config_static_selectorELNS0_4arch9wavefront6targetE1EEEvT1_.kd
    .uniform_work_group_size: 1
    .uses_dynamic_stack: false
    .vgpr_count:     0
    .vgpr_spill_count: 0
    .wavefront_size: 64
  - .agpr_count:     0
    .args:
      - .offset:         0
        .size:           120
        .value_kind:     by_value
    .group_segment_fixed_size: 0
    .kernarg_segment_align: 8
    .kernarg_segment_size: 120
    .language:       OpenCL C
    .language_version:
      - 2
      - 0
    .max_flat_workgroup_size: 512
    .name:           _ZN7rocprim17ROCPRIM_400000_NS6detail17trampoline_kernelINS0_14default_configENS1_25partition_config_selectorILNS1_17partition_subalgoE8ElNS0_10empty_typeEbEEZZNS1_14partition_implILS5_8ELb0ES3_jPlPS6_PKS6_NS0_5tupleIJS9_S6_EEENSD_IJSA_SA_EEENS0_18inequality_wrapperIZN2at6native12_GLOBAL__N_124unique_dim_cuda_templateIhEESt5tupleIJNSH_6TensorESM_SM_EERKSM_lbbbEUlllE0_EEPmJS6_EEE10hipError_tPvRmT3_T4_T5_T6_T7_T9_mT8_P12ihipStream_tbDpT10_ENKUlT_T0_E_clISt17integral_constantIbLb0EES1C_EEDaS17_S18_EUlS17_E_NS1_11comp_targetILNS1_3genE8ELNS1_11target_archE1030ELNS1_3gpuE2ELNS1_3repE0EEENS1_30default_config_static_selectorELNS0_4arch9wavefront6targetE1EEEvT1_
    .private_segment_fixed_size: 0
    .sgpr_count:     4
    .sgpr_spill_count: 0
    .symbol:         _ZN7rocprim17ROCPRIM_400000_NS6detail17trampoline_kernelINS0_14default_configENS1_25partition_config_selectorILNS1_17partition_subalgoE8ElNS0_10empty_typeEbEEZZNS1_14partition_implILS5_8ELb0ES3_jPlPS6_PKS6_NS0_5tupleIJS9_S6_EEENSD_IJSA_SA_EEENS0_18inequality_wrapperIZN2at6native12_GLOBAL__N_124unique_dim_cuda_templateIhEESt5tupleIJNSH_6TensorESM_SM_EERKSM_lbbbEUlllE0_EEPmJS6_EEE10hipError_tPvRmT3_T4_T5_T6_T7_T9_mT8_P12ihipStream_tbDpT10_ENKUlT_T0_E_clISt17integral_constantIbLb0EES1C_EEDaS17_S18_EUlS17_E_NS1_11comp_targetILNS1_3genE8ELNS1_11target_archE1030ELNS1_3gpuE2ELNS1_3repE0EEENS1_30default_config_static_selectorELNS0_4arch9wavefront6targetE1EEEvT1_.kd
    .uniform_work_group_size: 1
    .uses_dynamic_stack: false
    .vgpr_count:     0
    .vgpr_spill_count: 0
    .wavefront_size: 64
  - .agpr_count:     0
    .args:
      - .offset:         0
        .size:           40
        .value_kind:     by_value
    .group_segment_fixed_size: 0
    .kernarg_segment_align: 8
    .kernarg_segment_size: 40
    .language:       OpenCL C
    .language_version:
      - 2
      - 0
    .max_flat_workgroup_size: 128
    .name:           _ZN7rocprim17ROCPRIM_400000_NS6detail17trampoline_kernelINS0_14default_configENS1_25transform_config_selectorImLb1EEEZNS1_14transform_implILb1ES3_S5_PmS7_NS0_8identityIvEEEE10hipError_tT2_T3_mT4_P12ihipStream_tbEUlT_E_NS1_11comp_targetILNS1_3genE0ELNS1_11target_archE4294967295ELNS1_3gpuE0ELNS1_3repE0EEENS1_30default_config_static_selectorELNS0_4arch9wavefront6targetE1EEEvT1_
    .private_segment_fixed_size: 0
    .sgpr_count:     4
    .sgpr_spill_count: 0
    .symbol:         _ZN7rocprim17ROCPRIM_400000_NS6detail17trampoline_kernelINS0_14default_configENS1_25transform_config_selectorImLb1EEEZNS1_14transform_implILb1ES3_S5_PmS7_NS0_8identityIvEEEE10hipError_tT2_T3_mT4_P12ihipStream_tbEUlT_E_NS1_11comp_targetILNS1_3genE0ELNS1_11target_archE4294967295ELNS1_3gpuE0ELNS1_3repE0EEENS1_30default_config_static_selectorELNS0_4arch9wavefront6targetE1EEEvT1_.kd
    .uniform_work_group_size: 1
    .uses_dynamic_stack: false
    .vgpr_count:     0
    .vgpr_spill_count: 0
    .wavefront_size: 64
  - .agpr_count:     0
    .args:
      - .offset:         0
        .size:           40
        .value_kind:     by_value
    .group_segment_fixed_size: 0
    .kernarg_segment_align: 8
    .kernarg_segment_size: 40
    .language:       OpenCL C
    .language_version:
      - 2
      - 0
    .max_flat_workgroup_size: 1024
    .name:           _ZN7rocprim17ROCPRIM_400000_NS6detail17trampoline_kernelINS0_14default_configENS1_25transform_config_selectorImLb1EEEZNS1_14transform_implILb1ES3_S5_PmS7_NS0_8identityIvEEEE10hipError_tT2_T3_mT4_P12ihipStream_tbEUlT_E_NS1_11comp_targetILNS1_3genE10ELNS1_11target_archE1201ELNS1_3gpuE5ELNS1_3repE0EEENS1_30default_config_static_selectorELNS0_4arch9wavefront6targetE1EEEvT1_
    .private_segment_fixed_size: 0
    .sgpr_count:     4
    .sgpr_spill_count: 0
    .symbol:         _ZN7rocprim17ROCPRIM_400000_NS6detail17trampoline_kernelINS0_14default_configENS1_25transform_config_selectorImLb1EEEZNS1_14transform_implILb1ES3_S5_PmS7_NS0_8identityIvEEEE10hipError_tT2_T3_mT4_P12ihipStream_tbEUlT_E_NS1_11comp_targetILNS1_3genE10ELNS1_11target_archE1201ELNS1_3gpuE5ELNS1_3repE0EEENS1_30default_config_static_selectorELNS0_4arch9wavefront6targetE1EEEvT1_.kd
    .uniform_work_group_size: 1
    .uses_dynamic_stack: false
    .vgpr_count:     0
    .vgpr_spill_count: 0
    .wavefront_size: 64
  - .agpr_count:     0
    .args:
      - .offset:         0
        .size:           40
        .value_kind:     by_value
    .group_segment_fixed_size: 0
    .kernarg_segment_align: 8
    .kernarg_segment_size: 40
    .language:       OpenCL C
    .language_version:
      - 2
      - 0
    .max_flat_workgroup_size: 512
    .name:           _ZN7rocprim17ROCPRIM_400000_NS6detail17trampoline_kernelINS0_14default_configENS1_25transform_config_selectorImLb1EEEZNS1_14transform_implILb1ES3_S5_PmS7_NS0_8identityIvEEEE10hipError_tT2_T3_mT4_P12ihipStream_tbEUlT_E_NS1_11comp_targetILNS1_3genE5ELNS1_11target_archE942ELNS1_3gpuE9ELNS1_3repE0EEENS1_30default_config_static_selectorELNS0_4arch9wavefront6targetE1EEEvT1_
    .private_segment_fixed_size: 0
    .sgpr_count:     4
    .sgpr_spill_count: 0
    .symbol:         _ZN7rocprim17ROCPRIM_400000_NS6detail17trampoline_kernelINS0_14default_configENS1_25transform_config_selectorImLb1EEEZNS1_14transform_implILb1ES3_S5_PmS7_NS0_8identityIvEEEE10hipError_tT2_T3_mT4_P12ihipStream_tbEUlT_E_NS1_11comp_targetILNS1_3genE5ELNS1_11target_archE942ELNS1_3gpuE9ELNS1_3repE0EEENS1_30default_config_static_selectorELNS0_4arch9wavefront6targetE1EEEvT1_.kd
    .uniform_work_group_size: 1
    .uses_dynamic_stack: false
    .vgpr_count:     0
    .vgpr_spill_count: 0
    .wavefront_size: 64
  - .agpr_count:     0
    .args:
      - .offset:         0
        .size:           40
        .value_kind:     by_value
      - .offset:         40
        .size:           4
        .value_kind:     hidden_block_count_x
      - .offset:         44
        .size:           4
        .value_kind:     hidden_block_count_y
      - .offset:         48
        .size:           4
        .value_kind:     hidden_block_count_z
      - .offset:         52
        .size:           2
        .value_kind:     hidden_group_size_x
      - .offset:         54
        .size:           2
        .value_kind:     hidden_group_size_y
      - .offset:         56
        .size:           2
        .value_kind:     hidden_group_size_z
      - .offset:         58
        .size:           2
        .value_kind:     hidden_remainder_x
      - .offset:         60
        .size:           2
        .value_kind:     hidden_remainder_y
      - .offset:         62
        .size:           2
        .value_kind:     hidden_remainder_z
      - .offset:         80
        .size:           8
        .value_kind:     hidden_global_offset_x
      - .offset:         88
        .size:           8
        .value_kind:     hidden_global_offset_y
      - .offset:         96
        .size:           8
        .value_kind:     hidden_global_offset_z
      - .offset:         104
        .size:           2
        .value_kind:     hidden_grid_dims
    .group_segment_fixed_size: 0
    .kernarg_segment_align: 8
    .kernarg_segment_size: 296
    .language:       OpenCL C
    .language_version:
      - 2
      - 0
    .max_flat_workgroup_size: 1024
    .name:           _ZN7rocprim17ROCPRIM_400000_NS6detail17trampoline_kernelINS0_14default_configENS1_25transform_config_selectorImLb1EEEZNS1_14transform_implILb1ES3_S5_PmS7_NS0_8identityIvEEEE10hipError_tT2_T3_mT4_P12ihipStream_tbEUlT_E_NS1_11comp_targetILNS1_3genE4ELNS1_11target_archE910ELNS1_3gpuE8ELNS1_3repE0EEENS1_30default_config_static_selectorELNS0_4arch9wavefront6targetE1EEEvT1_
    .private_segment_fixed_size: 0
    .sgpr_count:     20
    .sgpr_spill_count: 0
    .symbol:         _ZN7rocprim17ROCPRIM_400000_NS6detail17trampoline_kernelINS0_14default_configENS1_25transform_config_selectorImLb1EEEZNS1_14transform_implILb1ES3_S5_PmS7_NS0_8identityIvEEEE10hipError_tT2_T3_mT4_P12ihipStream_tbEUlT_E_NS1_11comp_targetILNS1_3genE4ELNS1_11target_archE910ELNS1_3gpuE8ELNS1_3repE0EEENS1_30default_config_static_selectorELNS0_4arch9wavefront6targetE1EEEvT1_.kd
    .uniform_work_group_size: 1
    .uses_dynamic_stack: false
    .vgpr_count:     7
    .vgpr_spill_count: 0
    .wavefront_size: 64
  - .agpr_count:     0
    .args:
      - .offset:         0
        .size:           40
        .value_kind:     by_value
    .group_segment_fixed_size: 0
    .kernarg_segment_align: 8
    .kernarg_segment_size: 40
    .language:       OpenCL C
    .language_version:
      - 2
      - 0
    .max_flat_workgroup_size: 128
    .name:           _ZN7rocprim17ROCPRIM_400000_NS6detail17trampoline_kernelINS0_14default_configENS1_25transform_config_selectorImLb1EEEZNS1_14transform_implILb1ES3_S5_PmS7_NS0_8identityIvEEEE10hipError_tT2_T3_mT4_P12ihipStream_tbEUlT_E_NS1_11comp_targetILNS1_3genE3ELNS1_11target_archE908ELNS1_3gpuE7ELNS1_3repE0EEENS1_30default_config_static_selectorELNS0_4arch9wavefront6targetE1EEEvT1_
    .private_segment_fixed_size: 0
    .sgpr_count:     4
    .sgpr_spill_count: 0
    .symbol:         _ZN7rocprim17ROCPRIM_400000_NS6detail17trampoline_kernelINS0_14default_configENS1_25transform_config_selectorImLb1EEEZNS1_14transform_implILb1ES3_S5_PmS7_NS0_8identityIvEEEE10hipError_tT2_T3_mT4_P12ihipStream_tbEUlT_E_NS1_11comp_targetILNS1_3genE3ELNS1_11target_archE908ELNS1_3gpuE7ELNS1_3repE0EEENS1_30default_config_static_selectorELNS0_4arch9wavefront6targetE1EEEvT1_.kd
    .uniform_work_group_size: 1
    .uses_dynamic_stack: false
    .vgpr_count:     0
    .vgpr_spill_count: 0
    .wavefront_size: 64
  - .agpr_count:     0
    .args:
      - .offset:         0
        .size:           40
        .value_kind:     by_value
    .group_segment_fixed_size: 0
    .kernarg_segment_align: 8
    .kernarg_segment_size: 40
    .language:       OpenCL C
    .language_version:
      - 2
      - 0
    .max_flat_workgroup_size: 512
    .name:           _ZN7rocprim17ROCPRIM_400000_NS6detail17trampoline_kernelINS0_14default_configENS1_25transform_config_selectorImLb1EEEZNS1_14transform_implILb1ES3_S5_PmS7_NS0_8identityIvEEEE10hipError_tT2_T3_mT4_P12ihipStream_tbEUlT_E_NS1_11comp_targetILNS1_3genE2ELNS1_11target_archE906ELNS1_3gpuE6ELNS1_3repE0EEENS1_30default_config_static_selectorELNS0_4arch9wavefront6targetE1EEEvT1_
    .private_segment_fixed_size: 0
    .sgpr_count:     4
    .sgpr_spill_count: 0
    .symbol:         _ZN7rocprim17ROCPRIM_400000_NS6detail17trampoline_kernelINS0_14default_configENS1_25transform_config_selectorImLb1EEEZNS1_14transform_implILb1ES3_S5_PmS7_NS0_8identityIvEEEE10hipError_tT2_T3_mT4_P12ihipStream_tbEUlT_E_NS1_11comp_targetILNS1_3genE2ELNS1_11target_archE906ELNS1_3gpuE6ELNS1_3repE0EEENS1_30default_config_static_selectorELNS0_4arch9wavefront6targetE1EEEvT1_.kd
    .uniform_work_group_size: 1
    .uses_dynamic_stack: false
    .vgpr_count:     0
    .vgpr_spill_count: 0
    .wavefront_size: 64
  - .agpr_count:     0
    .args:
      - .offset:         0
        .size:           40
        .value_kind:     by_value
    .group_segment_fixed_size: 0
    .kernarg_segment_align: 8
    .kernarg_segment_size: 40
    .language:       OpenCL C
    .language_version:
      - 2
      - 0
    .max_flat_workgroup_size: 1024
    .name:           _ZN7rocprim17ROCPRIM_400000_NS6detail17trampoline_kernelINS0_14default_configENS1_25transform_config_selectorImLb1EEEZNS1_14transform_implILb1ES3_S5_PmS7_NS0_8identityIvEEEE10hipError_tT2_T3_mT4_P12ihipStream_tbEUlT_E_NS1_11comp_targetILNS1_3genE9ELNS1_11target_archE1100ELNS1_3gpuE3ELNS1_3repE0EEENS1_30default_config_static_selectorELNS0_4arch9wavefront6targetE1EEEvT1_
    .private_segment_fixed_size: 0
    .sgpr_count:     4
    .sgpr_spill_count: 0
    .symbol:         _ZN7rocprim17ROCPRIM_400000_NS6detail17trampoline_kernelINS0_14default_configENS1_25transform_config_selectorImLb1EEEZNS1_14transform_implILb1ES3_S5_PmS7_NS0_8identityIvEEEE10hipError_tT2_T3_mT4_P12ihipStream_tbEUlT_E_NS1_11comp_targetILNS1_3genE9ELNS1_11target_archE1100ELNS1_3gpuE3ELNS1_3repE0EEENS1_30default_config_static_selectorELNS0_4arch9wavefront6targetE1EEEvT1_.kd
    .uniform_work_group_size: 1
    .uses_dynamic_stack: false
    .vgpr_count:     0
    .vgpr_spill_count: 0
    .wavefront_size: 64
  - .agpr_count:     0
    .args:
      - .offset:         0
        .size:           40
        .value_kind:     by_value
    .group_segment_fixed_size: 0
    .kernarg_segment_align: 8
    .kernarg_segment_size: 40
    .language:       OpenCL C
    .language_version:
      - 2
      - 0
    .max_flat_workgroup_size: 1024
    .name:           _ZN7rocprim17ROCPRIM_400000_NS6detail17trampoline_kernelINS0_14default_configENS1_25transform_config_selectorImLb1EEEZNS1_14transform_implILb1ES3_S5_PmS7_NS0_8identityIvEEEE10hipError_tT2_T3_mT4_P12ihipStream_tbEUlT_E_NS1_11comp_targetILNS1_3genE8ELNS1_11target_archE1030ELNS1_3gpuE2ELNS1_3repE0EEENS1_30default_config_static_selectorELNS0_4arch9wavefront6targetE1EEEvT1_
    .private_segment_fixed_size: 0
    .sgpr_count:     4
    .sgpr_spill_count: 0
    .symbol:         _ZN7rocprim17ROCPRIM_400000_NS6detail17trampoline_kernelINS0_14default_configENS1_25transform_config_selectorImLb1EEEZNS1_14transform_implILb1ES3_S5_PmS7_NS0_8identityIvEEEE10hipError_tT2_T3_mT4_P12ihipStream_tbEUlT_E_NS1_11comp_targetILNS1_3genE8ELNS1_11target_archE1030ELNS1_3gpuE2ELNS1_3repE0EEENS1_30default_config_static_selectorELNS0_4arch9wavefront6targetE1EEEvT1_.kd
    .uniform_work_group_size: 1
    .uses_dynamic_stack: false
    .vgpr_count:     0
    .vgpr_spill_count: 0
    .wavefront_size: 64
  - .agpr_count:     0
    .args:
      - .address_space:  global
        .offset:         0
        .size:           8
        .value_kind:     global_buffer
      - .offset:         8
        .size:           4
        .value_kind:     by_value
      - .address_space:  global
        .offset:         16
        .size:           8
        .value_kind:     global_buffer
      - .offset:         24
        .size:           4
        .value_kind:     by_value
      - .address_space:  global
        .offset:         32
        .size:           8
        .value_kind:     global_buffer
      - .offset:         40
        .size:           4
        .value_kind:     hidden_block_count_x
      - .offset:         44
        .size:           4
        .value_kind:     hidden_block_count_y
      - .offset:         48
        .size:           4
        .value_kind:     hidden_block_count_z
      - .offset:         52
        .size:           2
        .value_kind:     hidden_group_size_x
      - .offset:         54
        .size:           2
        .value_kind:     hidden_group_size_y
      - .offset:         56
        .size:           2
        .value_kind:     hidden_group_size_z
      - .offset:         58
        .size:           2
        .value_kind:     hidden_remainder_x
      - .offset:         60
        .size:           2
        .value_kind:     hidden_remainder_y
      - .offset:         62
        .size:           2
        .value_kind:     hidden_remainder_z
      - .offset:         80
        .size:           8
        .value_kind:     hidden_global_offset_x
      - .offset:         88
        .size:           8
        .value_kind:     hidden_global_offset_y
      - .offset:         96
        .size:           8
        .value_kind:     hidden_global_offset_z
      - .offset:         104
        .size:           2
        .value_kind:     hidden_grid_dims
    .group_segment_fixed_size: 0
    .kernarg_segment_align: 8
    .kernarg_segment_size: 296
    .language:       OpenCL C
    .language_version:
      - 2
      - 0
    .max_flat_workgroup_size: 256
    .name:           _ZN7rocprim17ROCPRIM_400000_NS6detail31init_lookback_scan_state_kernelINS1_19lookback_scan_stateIjLb1ELb1EEENS1_16block_id_wrapperIjLb1EEEEEvT_jT0_jPNS7_10value_typeE
    .private_segment_fixed_size: 0
    .sgpr_count:     18
    .sgpr_spill_count: 0
    .symbol:         _ZN7rocprim17ROCPRIM_400000_NS6detail31init_lookback_scan_state_kernelINS1_19lookback_scan_stateIjLb1ELb1EEENS1_16block_id_wrapperIjLb1EEEEEvT_jT0_jPNS7_10value_typeE.kd
    .uniform_work_group_size: 1
    .uses_dynamic_stack: false
    .vgpr_count:     6
    .vgpr_spill_count: 0
    .wavefront_size: 64
  - .agpr_count:     0
    .args:
      - .offset:         0
        .size:           136
        .value_kind:     by_value
    .group_segment_fixed_size: 0
    .kernarg_segment_align: 8
    .kernarg_segment_size: 136
    .language:       OpenCL C
    .language_version:
      - 2
      - 0
    .max_flat_workgroup_size: 512
    .name:           _ZN7rocprim17ROCPRIM_400000_NS6detail17trampoline_kernelINS0_14default_configENS1_25partition_config_selectorILNS1_17partition_subalgoE8ElNS0_10empty_typeEbEEZZNS1_14partition_implILS5_8ELb0ES3_jPlPS6_PKS6_NS0_5tupleIJS9_S6_EEENSD_IJSA_SA_EEENS0_18inequality_wrapperIZN2at6native12_GLOBAL__N_124unique_dim_cuda_templateIhEESt5tupleIJNSH_6TensorESM_SM_EERKSM_lbbbEUlllE0_EEPmJS6_EEE10hipError_tPvRmT3_T4_T5_T6_T7_T9_mT8_P12ihipStream_tbDpT10_ENKUlT_T0_E_clISt17integral_constantIbLb1EES1C_EEDaS17_S18_EUlS17_E_NS1_11comp_targetILNS1_3genE0ELNS1_11target_archE4294967295ELNS1_3gpuE0ELNS1_3repE0EEENS1_30default_config_static_selectorELNS0_4arch9wavefront6targetE1EEEvT1_
    .private_segment_fixed_size: 0
    .sgpr_count:     4
    .sgpr_spill_count: 0
    .symbol:         _ZN7rocprim17ROCPRIM_400000_NS6detail17trampoline_kernelINS0_14default_configENS1_25partition_config_selectorILNS1_17partition_subalgoE8ElNS0_10empty_typeEbEEZZNS1_14partition_implILS5_8ELb0ES3_jPlPS6_PKS6_NS0_5tupleIJS9_S6_EEENSD_IJSA_SA_EEENS0_18inequality_wrapperIZN2at6native12_GLOBAL__N_124unique_dim_cuda_templateIhEESt5tupleIJNSH_6TensorESM_SM_EERKSM_lbbbEUlllE0_EEPmJS6_EEE10hipError_tPvRmT3_T4_T5_T6_T7_T9_mT8_P12ihipStream_tbDpT10_ENKUlT_T0_E_clISt17integral_constantIbLb1EES1C_EEDaS17_S18_EUlS17_E_NS1_11comp_targetILNS1_3genE0ELNS1_11target_archE4294967295ELNS1_3gpuE0ELNS1_3repE0EEENS1_30default_config_static_selectorELNS0_4arch9wavefront6targetE1EEEvT1_.kd
    .uniform_work_group_size: 1
    .uses_dynamic_stack: false
    .vgpr_count:     0
    .vgpr_spill_count: 0
    .wavefront_size: 64
  - .agpr_count:     0
    .args:
      - .offset:         0
        .size:           136
        .value_kind:     by_value
    .group_segment_fixed_size: 0
    .kernarg_segment_align: 8
    .kernarg_segment_size: 136
    .language:       OpenCL C
    .language_version:
      - 2
      - 0
    .max_flat_workgroup_size: 512
    .name:           _ZN7rocprim17ROCPRIM_400000_NS6detail17trampoline_kernelINS0_14default_configENS1_25partition_config_selectorILNS1_17partition_subalgoE8ElNS0_10empty_typeEbEEZZNS1_14partition_implILS5_8ELb0ES3_jPlPS6_PKS6_NS0_5tupleIJS9_S6_EEENSD_IJSA_SA_EEENS0_18inequality_wrapperIZN2at6native12_GLOBAL__N_124unique_dim_cuda_templateIhEESt5tupleIJNSH_6TensorESM_SM_EERKSM_lbbbEUlllE0_EEPmJS6_EEE10hipError_tPvRmT3_T4_T5_T6_T7_T9_mT8_P12ihipStream_tbDpT10_ENKUlT_T0_E_clISt17integral_constantIbLb1EES1C_EEDaS17_S18_EUlS17_E_NS1_11comp_targetILNS1_3genE5ELNS1_11target_archE942ELNS1_3gpuE9ELNS1_3repE0EEENS1_30default_config_static_selectorELNS0_4arch9wavefront6targetE1EEEvT1_
    .private_segment_fixed_size: 0
    .sgpr_count:     4
    .sgpr_spill_count: 0
    .symbol:         _ZN7rocprim17ROCPRIM_400000_NS6detail17trampoline_kernelINS0_14default_configENS1_25partition_config_selectorILNS1_17partition_subalgoE8ElNS0_10empty_typeEbEEZZNS1_14partition_implILS5_8ELb0ES3_jPlPS6_PKS6_NS0_5tupleIJS9_S6_EEENSD_IJSA_SA_EEENS0_18inequality_wrapperIZN2at6native12_GLOBAL__N_124unique_dim_cuda_templateIhEESt5tupleIJNSH_6TensorESM_SM_EERKSM_lbbbEUlllE0_EEPmJS6_EEE10hipError_tPvRmT3_T4_T5_T6_T7_T9_mT8_P12ihipStream_tbDpT10_ENKUlT_T0_E_clISt17integral_constantIbLb1EES1C_EEDaS17_S18_EUlS17_E_NS1_11comp_targetILNS1_3genE5ELNS1_11target_archE942ELNS1_3gpuE9ELNS1_3repE0EEENS1_30default_config_static_selectorELNS0_4arch9wavefront6targetE1EEEvT1_.kd
    .uniform_work_group_size: 1
    .uses_dynamic_stack: false
    .vgpr_count:     0
    .vgpr_spill_count: 0
    .wavefront_size: 64
  - .agpr_count:     0
    .args:
      - .offset:         0
        .size:           136
        .value_kind:     by_value
    .group_segment_fixed_size: 10252
    .kernarg_segment_align: 8
    .kernarg_segment_size: 136
    .language:       OpenCL C
    .language_version:
      - 2
      - 0
    .max_flat_workgroup_size: 256
    .name:           _ZN7rocprim17ROCPRIM_400000_NS6detail17trampoline_kernelINS0_14default_configENS1_25partition_config_selectorILNS1_17partition_subalgoE8ElNS0_10empty_typeEbEEZZNS1_14partition_implILS5_8ELb0ES3_jPlPS6_PKS6_NS0_5tupleIJS9_S6_EEENSD_IJSA_SA_EEENS0_18inequality_wrapperIZN2at6native12_GLOBAL__N_124unique_dim_cuda_templateIhEESt5tupleIJNSH_6TensorESM_SM_EERKSM_lbbbEUlllE0_EEPmJS6_EEE10hipError_tPvRmT3_T4_T5_T6_T7_T9_mT8_P12ihipStream_tbDpT10_ENKUlT_T0_E_clISt17integral_constantIbLb1EES1C_EEDaS17_S18_EUlS17_E_NS1_11comp_targetILNS1_3genE4ELNS1_11target_archE910ELNS1_3gpuE8ELNS1_3repE0EEENS1_30default_config_static_selectorELNS0_4arch9wavefront6targetE1EEEvT1_
    .private_segment_fixed_size: 0
    .sgpr_count:     56
    .sgpr_spill_count: 0
    .symbol:         _ZN7rocprim17ROCPRIM_400000_NS6detail17trampoline_kernelINS0_14default_configENS1_25partition_config_selectorILNS1_17partition_subalgoE8ElNS0_10empty_typeEbEEZZNS1_14partition_implILS5_8ELb0ES3_jPlPS6_PKS6_NS0_5tupleIJS9_S6_EEENSD_IJSA_SA_EEENS0_18inequality_wrapperIZN2at6native12_GLOBAL__N_124unique_dim_cuda_templateIhEESt5tupleIJNSH_6TensorESM_SM_EERKSM_lbbbEUlllE0_EEPmJS6_EEE10hipError_tPvRmT3_T4_T5_T6_T7_T9_mT8_P12ihipStream_tbDpT10_ENKUlT_T0_E_clISt17integral_constantIbLb1EES1C_EEDaS17_S18_EUlS17_E_NS1_11comp_targetILNS1_3genE4ELNS1_11target_archE910ELNS1_3gpuE8ELNS1_3repE0EEENS1_30default_config_static_selectorELNS0_4arch9wavefront6targetE1EEEvT1_.kd
    .uniform_work_group_size: 1
    .uses_dynamic_stack: false
    .vgpr_count:     46
    .vgpr_spill_count: 0
    .wavefront_size: 64
  - .agpr_count:     0
    .args:
      - .offset:         0
        .size:           136
        .value_kind:     by_value
    .group_segment_fixed_size: 0
    .kernarg_segment_align: 8
    .kernarg_segment_size: 136
    .language:       OpenCL C
    .language_version:
      - 2
      - 0
    .max_flat_workgroup_size: 512
    .name:           _ZN7rocprim17ROCPRIM_400000_NS6detail17trampoline_kernelINS0_14default_configENS1_25partition_config_selectorILNS1_17partition_subalgoE8ElNS0_10empty_typeEbEEZZNS1_14partition_implILS5_8ELb0ES3_jPlPS6_PKS6_NS0_5tupleIJS9_S6_EEENSD_IJSA_SA_EEENS0_18inequality_wrapperIZN2at6native12_GLOBAL__N_124unique_dim_cuda_templateIhEESt5tupleIJNSH_6TensorESM_SM_EERKSM_lbbbEUlllE0_EEPmJS6_EEE10hipError_tPvRmT3_T4_T5_T6_T7_T9_mT8_P12ihipStream_tbDpT10_ENKUlT_T0_E_clISt17integral_constantIbLb1EES1C_EEDaS17_S18_EUlS17_E_NS1_11comp_targetILNS1_3genE3ELNS1_11target_archE908ELNS1_3gpuE7ELNS1_3repE0EEENS1_30default_config_static_selectorELNS0_4arch9wavefront6targetE1EEEvT1_
    .private_segment_fixed_size: 0
    .sgpr_count:     4
    .sgpr_spill_count: 0
    .symbol:         _ZN7rocprim17ROCPRIM_400000_NS6detail17trampoline_kernelINS0_14default_configENS1_25partition_config_selectorILNS1_17partition_subalgoE8ElNS0_10empty_typeEbEEZZNS1_14partition_implILS5_8ELb0ES3_jPlPS6_PKS6_NS0_5tupleIJS9_S6_EEENSD_IJSA_SA_EEENS0_18inequality_wrapperIZN2at6native12_GLOBAL__N_124unique_dim_cuda_templateIhEESt5tupleIJNSH_6TensorESM_SM_EERKSM_lbbbEUlllE0_EEPmJS6_EEE10hipError_tPvRmT3_T4_T5_T6_T7_T9_mT8_P12ihipStream_tbDpT10_ENKUlT_T0_E_clISt17integral_constantIbLb1EES1C_EEDaS17_S18_EUlS17_E_NS1_11comp_targetILNS1_3genE3ELNS1_11target_archE908ELNS1_3gpuE7ELNS1_3repE0EEENS1_30default_config_static_selectorELNS0_4arch9wavefront6targetE1EEEvT1_.kd
    .uniform_work_group_size: 1
    .uses_dynamic_stack: false
    .vgpr_count:     0
    .vgpr_spill_count: 0
    .wavefront_size: 64
  - .agpr_count:     0
    .args:
      - .offset:         0
        .size:           136
        .value_kind:     by_value
    .group_segment_fixed_size: 0
    .kernarg_segment_align: 8
    .kernarg_segment_size: 136
    .language:       OpenCL C
    .language_version:
      - 2
      - 0
    .max_flat_workgroup_size: 256
    .name:           _ZN7rocprim17ROCPRIM_400000_NS6detail17trampoline_kernelINS0_14default_configENS1_25partition_config_selectorILNS1_17partition_subalgoE8ElNS0_10empty_typeEbEEZZNS1_14partition_implILS5_8ELb0ES3_jPlPS6_PKS6_NS0_5tupleIJS9_S6_EEENSD_IJSA_SA_EEENS0_18inequality_wrapperIZN2at6native12_GLOBAL__N_124unique_dim_cuda_templateIhEESt5tupleIJNSH_6TensorESM_SM_EERKSM_lbbbEUlllE0_EEPmJS6_EEE10hipError_tPvRmT3_T4_T5_T6_T7_T9_mT8_P12ihipStream_tbDpT10_ENKUlT_T0_E_clISt17integral_constantIbLb1EES1C_EEDaS17_S18_EUlS17_E_NS1_11comp_targetILNS1_3genE2ELNS1_11target_archE906ELNS1_3gpuE6ELNS1_3repE0EEENS1_30default_config_static_selectorELNS0_4arch9wavefront6targetE1EEEvT1_
    .private_segment_fixed_size: 0
    .sgpr_count:     4
    .sgpr_spill_count: 0
    .symbol:         _ZN7rocprim17ROCPRIM_400000_NS6detail17trampoline_kernelINS0_14default_configENS1_25partition_config_selectorILNS1_17partition_subalgoE8ElNS0_10empty_typeEbEEZZNS1_14partition_implILS5_8ELb0ES3_jPlPS6_PKS6_NS0_5tupleIJS9_S6_EEENSD_IJSA_SA_EEENS0_18inequality_wrapperIZN2at6native12_GLOBAL__N_124unique_dim_cuda_templateIhEESt5tupleIJNSH_6TensorESM_SM_EERKSM_lbbbEUlllE0_EEPmJS6_EEE10hipError_tPvRmT3_T4_T5_T6_T7_T9_mT8_P12ihipStream_tbDpT10_ENKUlT_T0_E_clISt17integral_constantIbLb1EES1C_EEDaS17_S18_EUlS17_E_NS1_11comp_targetILNS1_3genE2ELNS1_11target_archE906ELNS1_3gpuE6ELNS1_3repE0EEENS1_30default_config_static_selectorELNS0_4arch9wavefront6targetE1EEEvT1_.kd
    .uniform_work_group_size: 1
    .uses_dynamic_stack: false
    .vgpr_count:     0
    .vgpr_spill_count: 0
    .wavefront_size: 64
  - .agpr_count:     0
    .args:
      - .offset:         0
        .size:           136
        .value_kind:     by_value
    .group_segment_fixed_size: 0
    .kernarg_segment_align: 8
    .kernarg_segment_size: 136
    .language:       OpenCL C
    .language_version:
      - 2
      - 0
    .max_flat_workgroup_size: 384
    .name:           _ZN7rocprim17ROCPRIM_400000_NS6detail17trampoline_kernelINS0_14default_configENS1_25partition_config_selectorILNS1_17partition_subalgoE8ElNS0_10empty_typeEbEEZZNS1_14partition_implILS5_8ELb0ES3_jPlPS6_PKS6_NS0_5tupleIJS9_S6_EEENSD_IJSA_SA_EEENS0_18inequality_wrapperIZN2at6native12_GLOBAL__N_124unique_dim_cuda_templateIhEESt5tupleIJNSH_6TensorESM_SM_EERKSM_lbbbEUlllE0_EEPmJS6_EEE10hipError_tPvRmT3_T4_T5_T6_T7_T9_mT8_P12ihipStream_tbDpT10_ENKUlT_T0_E_clISt17integral_constantIbLb1EES1C_EEDaS17_S18_EUlS17_E_NS1_11comp_targetILNS1_3genE10ELNS1_11target_archE1200ELNS1_3gpuE4ELNS1_3repE0EEENS1_30default_config_static_selectorELNS0_4arch9wavefront6targetE1EEEvT1_
    .private_segment_fixed_size: 0
    .sgpr_count:     4
    .sgpr_spill_count: 0
    .symbol:         _ZN7rocprim17ROCPRIM_400000_NS6detail17trampoline_kernelINS0_14default_configENS1_25partition_config_selectorILNS1_17partition_subalgoE8ElNS0_10empty_typeEbEEZZNS1_14partition_implILS5_8ELb0ES3_jPlPS6_PKS6_NS0_5tupleIJS9_S6_EEENSD_IJSA_SA_EEENS0_18inequality_wrapperIZN2at6native12_GLOBAL__N_124unique_dim_cuda_templateIhEESt5tupleIJNSH_6TensorESM_SM_EERKSM_lbbbEUlllE0_EEPmJS6_EEE10hipError_tPvRmT3_T4_T5_T6_T7_T9_mT8_P12ihipStream_tbDpT10_ENKUlT_T0_E_clISt17integral_constantIbLb1EES1C_EEDaS17_S18_EUlS17_E_NS1_11comp_targetILNS1_3genE10ELNS1_11target_archE1200ELNS1_3gpuE4ELNS1_3repE0EEENS1_30default_config_static_selectorELNS0_4arch9wavefront6targetE1EEEvT1_.kd
    .uniform_work_group_size: 1
    .uses_dynamic_stack: false
    .vgpr_count:     0
    .vgpr_spill_count: 0
    .wavefront_size: 64
  - .agpr_count:     0
    .args:
      - .offset:         0
        .size:           136
        .value_kind:     by_value
    .group_segment_fixed_size: 0
    .kernarg_segment_align: 8
    .kernarg_segment_size: 136
    .language:       OpenCL C
    .language_version:
      - 2
      - 0
    .max_flat_workgroup_size: 512
    .name:           _ZN7rocprim17ROCPRIM_400000_NS6detail17trampoline_kernelINS0_14default_configENS1_25partition_config_selectorILNS1_17partition_subalgoE8ElNS0_10empty_typeEbEEZZNS1_14partition_implILS5_8ELb0ES3_jPlPS6_PKS6_NS0_5tupleIJS9_S6_EEENSD_IJSA_SA_EEENS0_18inequality_wrapperIZN2at6native12_GLOBAL__N_124unique_dim_cuda_templateIhEESt5tupleIJNSH_6TensorESM_SM_EERKSM_lbbbEUlllE0_EEPmJS6_EEE10hipError_tPvRmT3_T4_T5_T6_T7_T9_mT8_P12ihipStream_tbDpT10_ENKUlT_T0_E_clISt17integral_constantIbLb1EES1C_EEDaS17_S18_EUlS17_E_NS1_11comp_targetILNS1_3genE9ELNS1_11target_archE1100ELNS1_3gpuE3ELNS1_3repE0EEENS1_30default_config_static_selectorELNS0_4arch9wavefront6targetE1EEEvT1_
    .private_segment_fixed_size: 0
    .sgpr_count:     4
    .sgpr_spill_count: 0
    .symbol:         _ZN7rocprim17ROCPRIM_400000_NS6detail17trampoline_kernelINS0_14default_configENS1_25partition_config_selectorILNS1_17partition_subalgoE8ElNS0_10empty_typeEbEEZZNS1_14partition_implILS5_8ELb0ES3_jPlPS6_PKS6_NS0_5tupleIJS9_S6_EEENSD_IJSA_SA_EEENS0_18inequality_wrapperIZN2at6native12_GLOBAL__N_124unique_dim_cuda_templateIhEESt5tupleIJNSH_6TensorESM_SM_EERKSM_lbbbEUlllE0_EEPmJS6_EEE10hipError_tPvRmT3_T4_T5_T6_T7_T9_mT8_P12ihipStream_tbDpT10_ENKUlT_T0_E_clISt17integral_constantIbLb1EES1C_EEDaS17_S18_EUlS17_E_NS1_11comp_targetILNS1_3genE9ELNS1_11target_archE1100ELNS1_3gpuE3ELNS1_3repE0EEENS1_30default_config_static_selectorELNS0_4arch9wavefront6targetE1EEEvT1_.kd
    .uniform_work_group_size: 1
    .uses_dynamic_stack: false
    .vgpr_count:     0
    .vgpr_spill_count: 0
    .wavefront_size: 64
  - .agpr_count:     0
    .args:
      - .offset:         0
        .size:           136
        .value_kind:     by_value
    .group_segment_fixed_size: 0
    .kernarg_segment_align: 8
    .kernarg_segment_size: 136
    .language:       OpenCL C
    .language_version:
      - 2
      - 0
    .max_flat_workgroup_size: 512
    .name:           _ZN7rocprim17ROCPRIM_400000_NS6detail17trampoline_kernelINS0_14default_configENS1_25partition_config_selectorILNS1_17partition_subalgoE8ElNS0_10empty_typeEbEEZZNS1_14partition_implILS5_8ELb0ES3_jPlPS6_PKS6_NS0_5tupleIJS9_S6_EEENSD_IJSA_SA_EEENS0_18inequality_wrapperIZN2at6native12_GLOBAL__N_124unique_dim_cuda_templateIhEESt5tupleIJNSH_6TensorESM_SM_EERKSM_lbbbEUlllE0_EEPmJS6_EEE10hipError_tPvRmT3_T4_T5_T6_T7_T9_mT8_P12ihipStream_tbDpT10_ENKUlT_T0_E_clISt17integral_constantIbLb1EES1C_EEDaS17_S18_EUlS17_E_NS1_11comp_targetILNS1_3genE8ELNS1_11target_archE1030ELNS1_3gpuE2ELNS1_3repE0EEENS1_30default_config_static_selectorELNS0_4arch9wavefront6targetE1EEEvT1_
    .private_segment_fixed_size: 0
    .sgpr_count:     4
    .sgpr_spill_count: 0
    .symbol:         _ZN7rocprim17ROCPRIM_400000_NS6detail17trampoline_kernelINS0_14default_configENS1_25partition_config_selectorILNS1_17partition_subalgoE8ElNS0_10empty_typeEbEEZZNS1_14partition_implILS5_8ELb0ES3_jPlPS6_PKS6_NS0_5tupleIJS9_S6_EEENSD_IJSA_SA_EEENS0_18inequality_wrapperIZN2at6native12_GLOBAL__N_124unique_dim_cuda_templateIhEESt5tupleIJNSH_6TensorESM_SM_EERKSM_lbbbEUlllE0_EEPmJS6_EEE10hipError_tPvRmT3_T4_T5_T6_T7_T9_mT8_P12ihipStream_tbDpT10_ENKUlT_T0_E_clISt17integral_constantIbLb1EES1C_EEDaS17_S18_EUlS17_E_NS1_11comp_targetILNS1_3genE8ELNS1_11target_archE1030ELNS1_3gpuE2ELNS1_3repE0EEENS1_30default_config_static_selectorELNS0_4arch9wavefront6targetE1EEEvT1_.kd
    .uniform_work_group_size: 1
    .uses_dynamic_stack: false
    .vgpr_count:     0
    .vgpr_spill_count: 0
    .wavefront_size: 64
  - .agpr_count:     0
    .args:
      - .address_space:  global
        .offset:         0
        .size:           8
        .value_kind:     global_buffer
      - .offset:         8
        .size:           4
        .value_kind:     by_value
      - .offset:         12
        .size:           1
        .value_kind:     by_value
      - .offset:         16
        .size:           4
        .value_kind:     by_value
      - .address_space:  global
        .offset:         24
        .size:           8
        .value_kind:     global_buffer
      - .offset:         32
        .size:           4
        .value_kind:     hidden_block_count_x
      - .offset:         36
        .size:           4
        .value_kind:     hidden_block_count_y
      - .offset:         40
        .size:           4
        .value_kind:     hidden_block_count_z
      - .offset:         44
        .size:           2
        .value_kind:     hidden_group_size_x
      - .offset:         46
        .size:           2
        .value_kind:     hidden_group_size_y
      - .offset:         48
        .size:           2
        .value_kind:     hidden_group_size_z
      - .offset:         50
        .size:           2
        .value_kind:     hidden_remainder_x
      - .offset:         52
        .size:           2
        .value_kind:     hidden_remainder_y
      - .offset:         54
        .size:           2
        .value_kind:     hidden_remainder_z
      - .offset:         72
        .size:           8
        .value_kind:     hidden_global_offset_x
      - .offset:         80
        .size:           8
        .value_kind:     hidden_global_offset_y
      - .offset:         88
        .size:           8
        .value_kind:     hidden_global_offset_z
      - .offset:         96
        .size:           2
        .value_kind:     hidden_grid_dims
    .group_segment_fixed_size: 0
    .kernarg_segment_align: 8
    .kernarg_segment_size: 288
    .language:       OpenCL C
    .language_version:
      - 2
      - 0
    .max_flat_workgroup_size: 256
    .name:           _ZN7rocprim17ROCPRIM_400000_NS6detail31init_lookback_scan_state_kernelINS1_19lookback_scan_stateIjLb1ELb1EEENS1_16block_id_wrapperIjLb0EEEEEvT_jT0_jPNS7_10value_typeE
    .private_segment_fixed_size: 0
    .sgpr_count:     16
    .sgpr_spill_count: 0
    .symbol:         _ZN7rocprim17ROCPRIM_400000_NS6detail31init_lookback_scan_state_kernelINS1_19lookback_scan_stateIjLb1ELb1EEENS1_16block_id_wrapperIjLb0EEEEEvT_jT0_jPNS7_10value_typeE.kd
    .uniform_work_group_size: 1
    .uses_dynamic_stack: false
    .vgpr_count:     6
    .vgpr_spill_count: 0
    .wavefront_size: 64
  - .agpr_count:     0
    .args:
      - .offset:         0
        .size:           120
        .value_kind:     by_value
    .group_segment_fixed_size: 0
    .kernarg_segment_align: 8
    .kernarg_segment_size: 120
    .language:       OpenCL C
    .language_version:
      - 2
      - 0
    .max_flat_workgroup_size: 512
    .name:           _ZN7rocprim17ROCPRIM_400000_NS6detail17trampoline_kernelINS0_14default_configENS1_25partition_config_selectorILNS1_17partition_subalgoE8ElNS0_10empty_typeEbEEZZNS1_14partition_implILS5_8ELb0ES3_jPlPS6_PKS6_NS0_5tupleIJS9_S6_EEENSD_IJSA_SA_EEENS0_18inequality_wrapperIZN2at6native12_GLOBAL__N_124unique_dim_cuda_templateIhEESt5tupleIJNSH_6TensorESM_SM_EERKSM_lbbbEUlllE0_EEPmJS6_EEE10hipError_tPvRmT3_T4_T5_T6_T7_T9_mT8_P12ihipStream_tbDpT10_ENKUlT_T0_E_clISt17integral_constantIbLb1EES1B_IbLb0EEEEDaS17_S18_EUlS17_E_NS1_11comp_targetILNS1_3genE0ELNS1_11target_archE4294967295ELNS1_3gpuE0ELNS1_3repE0EEENS1_30default_config_static_selectorELNS0_4arch9wavefront6targetE1EEEvT1_
    .private_segment_fixed_size: 0
    .sgpr_count:     4
    .sgpr_spill_count: 0
    .symbol:         _ZN7rocprim17ROCPRIM_400000_NS6detail17trampoline_kernelINS0_14default_configENS1_25partition_config_selectorILNS1_17partition_subalgoE8ElNS0_10empty_typeEbEEZZNS1_14partition_implILS5_8ELb0ES3_jPlPS6_PKS6_NS0_5tupleIJS9_S6_EEENSD_IJSA_SA_EEENS0_18inequality_wrapperIZN2at6native12_GLOBAL__N_124unique_dim_cuda_templateIhEESt5tupleIJNSH_6TensorESM_SM_EERKSM_lbbbEUlllE0_EEPmJS6_EEE10hipError_tPvRmT3_T4_T5_T6_T7_T9_mT8_P12ihipStream_tbDpT10_ENKUlT_T0_E_clISt17integral_constantIbLb1EES1B_IbLb0EEEEDaS17_S18_EUlS17_E_NS1_11comp_targetILNS1_3genE0ELNS1_11target_archE4294967295ELNS1_3gpuE0ELNS1_3repE0EEENS1_30default_config_static_selectorELNS0_4arch9wavefront6targetE1EEEvT1_.kd
    .uniform_work_group_size: 1
    .uses_dynamic_stack: false
    .vgpr_count:     0
    .vgpr_spill_count: 0
    .wavefront_size: 64
  - .agpr_count:     0
    .args:
      - .offset:         0
        .size:           120
        .value_kind:     by_value
    .group_segment_fixed_size: 0
    .kernarg_segment_align: 8
    .kernarg_segment_size: 120
    .language:       OpenCL C
    .language_version:
      - 2
      - 0
    .max_flat_workgroup_size: 512
    .name:           _ZN7rocprim17ROCPRIM_400000_NS6detail17trampoline_kernelINS0_14default_configENS1_25partition_config_selectorILNS1_17partition_subalgoE8ElNS0_10empty_typeEbEEZZNS1_14partition_implILS5_8ELb0ES3_jPlPS6_PKS6_NS0_5tupleIJS9_S6_EEENSD_IJSA_SA_EEENS0_18inequality_wrapperIZN2at6native12_GLOBAL__N_124unique_dim_cuda_templateIhEESt5tupleIJNSH_6TensorESM_SM_EERKSM_lbbbEUlllE0_EEPmJS6_EEE10hipError_tPvRmT3_T4_T5_T6_T7_T9_mT8_P12ihipStream_tbDpT10_ENKUlT_T0_E_clISt17integral_constantIbLb1EES1B_IbLb0EEEEDaS17_S18_EUlS17_E_NS1_11comp_targetILNS1_3genE5ELNS1_11target_archE942ELNS1_3gpuE9ELNS1_3repE0EEENS1_30default_config_static_selectorELNS0_4arch9wavefront6targetE1EEEvT1_
    .private_segment_fixed_size: 0
    .sgpr_count:     4
    .sgpr_spill_count: 0
    .symbol:         _ZN7rocprim17ROCPRIM_400000_NS6detail17trampoline_kernelINS0_14default_configENS1_25partition_config_selectorILNS1_17partition_subalgoE8ElNS0_10empty_typeEbEEZZNS1_14partition_implILS5_8ELb0ES3_jPlPS6_PKS6_NS0_5tupleIJS9_S6_EEENSD_IJSA_SA_EEENS0_18inequality_wrapperIZN2at6native12_GLOBAL__N_124unique_dim_cuda_templateIhEESt5tupleIJNSH_6TensorESM_SM_EERKSM_lbbbEUlllE0_EEPmJS6_EEE10hipError_tPvRmT3_T4_T5_T6_T7_T9_mT8_P12ihipStream_tbDpT10_ENKUlT_T0_E_clISt17integral_constantIbLb1EES1B_IbLb0EEEEDaS17_S18_EUlS17_E_NS1_11comp_targetILNS1_3genE5ELNS1_11target_archE942ELNS1_3gpuE9ELNS1_3repE0EEENS1_30default_config_static_selectorELNS0_4arch9wavefront6targetE1EEEvT1_.kd
    .uniform_work_group_size: 1
    .uses_dynamic_stack: false
    .vgpr_count:     0
    .vgpr_spill_count: 0
    .wavefront_size: 64
  - .agpr_count:     0
    .args:
      - .offset:         0
        .size:           120
        .value_kind:     by_value
    .group_segment_fixed_size: 10252
    .kernarg_segment_align: 8
    .kernarg_segment_size: 120
    .language:       OpenCL C
    .language_version:
      - 2
      - 0
    .max_flat_workgroup_size: 256
    .name:           _ZN7rocprim17ROCPRIM_400000_NS6detail17trampoline_kernelINS0_14default_configENS1_25partition_config_selectorILNS1_17partition_subalgoE8ElNS0_10empty_typeEbEEZZNS1_14partition_implILS5_8ELb0ES3_jPlPS6_PKS6_NS0_5tupleIJS9_S6_EEENSD_IJSA_SA_EEENS0_18inequality_wrapperIZN2at6native12_GLOBAL__N_124unique_dim_cuda_templateIhEESt5tupleIJNSH_6TensorESM_SM_EERKSM_lbbbEUlllE0_EEPmJS6_EEE10hipError_tPvRmT3_T4_T5_T6_T7_T9_mT8_P12ihipStream_tbDpT10_ENKUlT_T0_E_clISt17integral_constantIbLb1EES1B_IbLb0EEEEDaS17_S18_EUlS17_E_NS1_11comp_targetILNS1_3genE4ELNS1_11target_archE910ELNS1_3gpuE8ELNS1_3repE0EEENS1_30default_config_static_selectorELNS0_4arch9wavefront6targetE1EEEvT1_
    .private_segment_fixed_size: 0
    .sgpr_count:     52
    .sgpr_spill_count: 0
    .symbol:         _ZN7rocprim17ROCPRIM_400000_NS6detail17trampoline_kernelINS0_14default_configENS1_25partition_config_selectorILNS1_17partition_subalgoE8ElNS0_10empty_typeEbEEZZNS1_14partition_implILS5_8ELb0ES3_jPlPS6_PKS6_NS0_5tupleIJS9_S6_EEENSD_IJSA_SA_EEENS0_18inequality_wrapperIZN2at6native12_GLOBAL__N_124unique_dim_cuda_templateIhEESt5tupleIJNSH_6TensorESM_SM_EERKSM_lbbbEUlllE0_EEPmJS6_EEE10hipError_tPvRmT3_T4_T5_T6_T7_T9_mT8_P12ihipStream_tbDpT10_ENKUlT_T0_E_clISt17integral_constantIbLb1EES1B_IbLb0EEEEDaS17_S18_EUlS17_E_NS1_11comp_targetILNS1_3genE4ELNS1_11target_archE910ELNS1_3gpuE8ELNS1_3repE0EEENS1_30default_config_static_selectorELNS0_4arch9wavefront6targetE1EEEvT1_.kd
    .uniform_work_group_size: 1
    .uses_dynamic_stack: false
    .vgpr_count:     46
    .vgpr_spill_count: 0
    .wavefront_size: 64
  - .agpr_count:     0
    .args:
      - .offset:         0
        .size:           120
        .value_kind:     by_value
    .group_segment_fixed_size: 0
    .kernarg_segment_align: 8
    .kernarg_segment_size: 120
    .language:       OpenCL C
    .language_version:
      - 2
      - 0
    .max_flat_workgroup_size: 512
    .name:           _ZN7rocprim17ROCPRIM_400000_NS6detail17trampoline_kernelINS0_14default_configENS1_25partition_config_selectorILNS1_17partition_subalgoE8ElNS0_10empty_typeEbEEZZNS1_14partition_implILS5_8ELb0ES3_jPlPS6_PKS6_NS0_5tupleIJS9_S6_EEENSD_IJSA_SA_EEENS0_18inequality_wrapperIZN2at6native12_GLOBAL__N_124unique_dim_cuda_templateIhEESt5tupleIJNSH_6TensorESM_SM_EERKSM_lbbbEUlllE0_EEPmJS6_EEE10hipError_tPvRmT3_T4_T5_T6_T7_T9_mT8_P12ihipStream_tbDpT10_ENKUlT_T0_E_clISt17integral_constantIbLb1EES1B_IbLb0EEEEDaS17_S18_EUlS17_E_NS1_11comp_targetILNS1_3genE3ELNS1_11target_archE908ELNS1_3gpuE7ELNS1_3repE0EEENS1_30default_config_static_selectorELNS0_4arch9wavefront6targetE1EEEvT1_
    .private_segment_fixed_size: 0
    .sgpr_count:     4
    .sgpr_spill_count: 0
    .symbol:         _ZN7rocprim17ROCPRIM_400000_NS6detail17trampoline_kernelINS0_14default_configENS1_25partition_config_selectorILNS1_17partition_subalgoE8ElNS0_10empty_typeEbEEZZNS1_14partition_implILS5_8ELb0ES3_jPlPS6_PKS6_NS0_5tupleIJS9_S6_EEENSD_IJSA_SA_EEENS0_18inequality_wrapperIZN2at6native12_GLOBAL__N_124unique_dim_cuda_templateIhEESt5tupleIJNSH_6TensorESM_SM_EERKSM_lbbbEUlllE0_EEPmJS6_EEE10hipError_tPvRmT3_T4_T5_T6_T7_T9_mT8_P12ihipStream_tbDpT10_ENKUlT_T0_E_clISt17integral_constantIbLb1EES1B_IbLb0EEEEDaS17_S18_EUlS17_E_NS1_11comp_targetILNS1_3genE3ELNS1_11target_archE908ELNS1_3gpuE7ELNS1_3repE0EEENS1_30default_config_static_selectorELNS0_4arch9wavefront6targetE1EEEvT1_.kd
    .uniform_work_group_size: 1
    .uses_dynamic_stack: false
    .vgpr_count:     0
    .vgpr_spill_count: 0
    .wavefront_size: 64
  - .agpr_count:     0
    .args:
      - .offset:         0
        .size:           120
        .value_kind:     by_value
    .group_segment_fixed_size: 0
    .kernarg_segment_align: 8
    .kernarg_segment_size: 120
    .language:       OpenCL C
    .language_version:
      - 2
      - 0
    .max_flat_workgroup_size: 256
    .name:           _ZN7rocprim17ROCPRIM_400000_NS6detail17trampoline_kernelINS0_14default_configENS1_25partition_config_selectorILNS1_17partition_subalgoE8ElNS0_10empty_typeEbEEZZNS1_14partition_implILS5_8ELb0ES3_jPlPS6_PKS6_NS0_5tupleIJS9_S6_EEENSD_IJSA_SA_EEENS0_18inequality_wrapperIZN2at6native12_GLOBAL__N_124unique_dim_cuda_templateIhEESt5tupleIJNSH_6TensorESM_SM_EERKSM_lbbbEUlllE0_EEPmJS6_EEE10hipError_tPvRmT3_T4_T5_T6_T7_T9_mT8_P12ihipStream_tbDpT10_ENKUlT_T0_E_clISt17integral_constantIbLb1EES1B_IbLb0EEEEDaS17_S18_EUlS17_E_NS1_11comp_targetILNS1_3genE2ELNS1_11target_archE906ELNS1_3gpuE6ELNS1_3repE0EEENS1_30default_config_static_selectorELNS0_4arch9wavefront6targetE1EEEvT1_
    .private_segment_fixed_size: 0
    .sgpr_count:     4
    .sgpr_spill_count: 0
    .symbol:         _ZN7rocprim17ROCPRIM_400000_NS6detail17trampoline_kernelINS0_14default_configENS1_25partition_config_selectorILNS1_17partition_subalgoE8ElNS0_10empty_typeEbEEZZNS1_14partition_implILS5_8ELb0ES3_jPlPS6_PKS6_NS0_5tupleIJS9_S6_EEENSD_IJSA_SA_EEENS0_18inequality_wrapperIZN2at6native12_GLOBAL__N_124unique_dim_cuda_templateIhEESt5tupleIJNSH_6TensorESM_SM_EERKSM_lbbbEUlllE0_EEPmJS6_EEE10hipError_tPvRmT3_T4_T5_T6_T7_T9_mT8_P12ihipStream_tbDpT10_ENKUlT_T0_E_clISt17integral_constantIbLb1EES1B_IbLb0EEEEDaS17_S18_EUlS17_E_NS1_11comp_targetILNS1_3genE2ELNS1_11target_archE906ELNS1_3gpuE6ELNS1_3repE0EEENS1_30default_config_static_selectorELNS0_4arch9wavefront6targetE1EEEvT1_.kd
    .uniform_work_group_size: 1
    .uses_dynamic_stack: false
    .vgpr_count:     0
    .vgpr_spill_count: 0
    .wavefront_size: 64
  - .agpr_count:     0
    .args:
      - .offset:         0
        .size:           120
        .value_kind:     by_value
    .group_segment_fixed_size: 0
    .kernarg_segment_align: 8
    .kernarg_segment_size: 120
    .language:       OpenCL C
    .language_version:
      - 2
      - 0
    .max_flat_workgroup_size: 384
    .name:           _ZN7rocprim17ROCPRIM_400000_NS6detail17trampoline_kernelINS0_14default_configENS1_25partition_config_selectorILNS1_17partition_subalgoE8ElNS0_10empty_typeEbEEZZNS1_14partition_implILS5_8ELb0ES3_jPlPS6_PKS6_NS0_5tupleIJS9_S6_EEENSD_IJSA_SA_EEENS0_18inequality_wrapperIZN2at6native12_GLOBAL__N_124unique_dim_cuda_templateIhEESt5tupleIJNSH_6TensorESM_SM_EERKSM_lbbbEUlllE0_EEPmJS6_EEE10hipError_tPvRmT3_T4_T5_T6_T7_T9_mT8_P12ihipStream_tbDpT10_ENKUlT_T0_E_clISt17integral_constantIbLb1EES1B_IbLb0EEEEDaS17_S18_EUlS17_E_NS1_11comp_targetILNS1_3genE10ELNS1_11target_archE1200ELNS1_3gpuE4ELNS1_3repE0EEENS1_30default_config_static_selectorELNS0_4arch9wavefront6targetE1EEEvT1_
    .private_segment_fixed_size: 0
    .sgpr_count:     4
    .sgpr_spill_count: 0
    .symbol:         _ZN7rocprim17ROCPRIM_400000_NS6detail17trampoline_kernelINS0_14default_configENS1_25partition_config_selectorILNS1_17partition_subalgoE8ElNS0_10empty_typeEbEEZZNS1_14partition_implILS5_8ELb0ES3_jPlPS6_PKS6_NS0_5tupleIJS9_S6_EEENSD_IJSA_SA_EEENS0_18inequality_wrapperIZN2at6native12_GLOBAL__N_124unique_dim_cuda_templateIhEESt5tupleIJNSH_6TensorESM_SM_EERKSM_lbbbEUlllE0_EEPmJS6_EEE10hipError_tPvRmT3_T4_T5_T6_T7_T9_mT8_P12ihipStream_tbDpT10_ENKUlT_T0_E_clISt17integral_constantIbLb1EES1B_IbLb0EEEEDaS17_S18_EUlS17_E_NS1_11comp_targetILNS1_3genE10ELNS1_11target_archE1200ELNS1_3gpuE4ELNS1_3repE0EEENS1_30default_config_static_selectorELNS0_4arch9wavefront6targetE1EEEvT1_.kd
    .uniform_work_group_size: 1
    .uses_dynamic_stack: false
    .vgpr_count:     0
    .vgpr_spill_count: 0
    .wavefront_size: 64
  - .agpr_count:     0
    .args:
      - .offset:         0
        .size:           120
        .value_kind:     by_value
    .group_segment_fixed_size: 0
    .kernarg_segment_align: 8
    .kernarg_segment_size: 120
    .language:       OpenCL C
    .language_version:
      - 2
      - 0
    .max_flat_workgroup_size: 512
    .name:           _ZN7rocprim17ROCPRIM_400000_NS6detail17trampoline_kernelINS0_14default_configENS1_25partition_config_selectorILNS1_17partition_subalgoE8ElNS0_10empty_typeEbEEZZNS1_14partition_implILS5_8ELb0ES3_jPlPS6_PKS6_NS0_5tupleIJS9_S6_EEENSD_IJSA_SA_EEENS0_18inequality_wrapperIZN2at6native12_GLOBAL__N_124unique_dim_cuda_templateIhEESt5tupleIJNSH_6TensorESM_SM_EERKSM_lbbbEUlllE0_EEPmJS6_EEE10hipError_tPvRmT3_T4_T5_T6_T7_T9_mT8_P12ihipStream_tbDpT10_ENKUlT_T0_E_clISt17integral_constantIbLb1EES1B_IbLb0EEEEDaS17_S18_EUlS17_E_NS1_11comp_targetILNS1_3genE9ELNS1_11target_archE1100ELNS1_3gpuE3ELNS1_3repE0EEENS1_30default_config_static_selectorELNS0_4arch9wavefront6targetE1EEEvT1_
    .private_segment_fixed_size: 0
    .sgpr_count:     4
    .sgpr_spill_count: 0
    .symbol:         _ZN7rocprim17ROCPRIM_400000_NS6detail17trampoline_kernelINS0_14default_configENS1_25partition_config_selectorILNS1_17partition_subalgoE8ElNS0_10empty_typeEbEEZZNS1_14partition_implILS5_8ELb0ES3_jPlPS6_PKS6_NS0_5tupleIJS9_S6_EEENSD_IJSA_SA_EEENS0_18inequality_wrapperIZN2at6native12_GLOBAL__N_124unique_dim_cuda_templateIhEESt5tupleIJNSH_6TensorESM_SM_EERKSM_lbbbEUlllE0_EEPmJS6_EEE10hipError_tPvRmT3_T4_T5_T6_T7_T9_mT8_P12ihipStream_tbDpT10_ENKUlT_T0_E_clISt17integral_constantIbLb1EES1B_IbLb0EEEEDaS17_S18_EUlS17_E_NS1_11comp_targetILNS1_3genE9ELNS1_11target_archE1100ELNS1_3gpuE3ELNS1_3repE0EEENS1_30default_config_static_selectorELNS0_4arch9wavefront6targetE1EEEvT1_.kd
    .uniform_work_group_size: 1
    .uses_dynamic_stack: false
    .vgpr_count:     0
    .vgpr_spill_count: 0
    .wavefront_size: 64
  - .agpr_count:     0
    .args:
      - .offset:         0
        .size:           120
        .value_kind:     by_value
    .group_segment_fixed_size: 0
    .kernarg_segment_align: 8
    .kernarg_segment_size: 120
    .language:       OpenCL C
    .language_version:
      - 2
      - 0
    .max_flat_workgroup_size: 512
    .name:           _ZN7rocprim17ROCPRIM_400000_NS6detail17trampoline_kernelINS0_14default_configENS1_25partition_config_selectorILNS1_17partition_subalgoE8ElNS0_10empty_typeEbEEZZNS1_14partition_implILS5_8ELb0ES3_jPlPS6_PKS6_NS0_5tupleIJS9_S6_EEENSD_IJSA_SA_EEENS0_18inequality_wrapperIZN2at6native12_GLOBAL__N_124unique_dim_cuda_templateIhEESt5tupleIJNSH_6TensorESM_SM_EERKSM_lbbbEUlllE0_EEPmJS6_EEE10hipError_tPvRmT3_T4_T5_T6_T7_T9_mT8_P12ihipStream_tbDpT10_ENKUlT_T0_E_clISt17integral_constantIbLb1EES1B_IbLb0EEEEDaS17_S18_EUlS17_E_NS1_11comp_targetILNS1_3genE8ELNS1_11target_archE1030ELNS1_3gpuE2ELNS1_3repE0EEENS1_30default_config_static_selectorELNS0_4arch9wavefront6targetE1EEEvT1_
    .private_segment_fixed_size: 0
    .sgpr_count:     4
    .sgpr_spill_count: 0
    .symbol:         _ZN7rocprim17ROCPRIM_400000_NS6detail17trampoline_kernelINS0_14default_configENS1_25partition_config_selectorILNS1_17partition_subalgoE8ElNS0_10empty_typeEbEEZZNS1_14partition_implILS5_8ELb0ES3_jPlPS6_PKS6_NS0_5tupleIJS9_S6_EEENSD_IJSA_SA_EEENS0_18inequality_wrapperIZN2at6native12_GLOBAL__N_124unique_dim_cuda_templateIhEESt5tupleIJNSH_6TensorESM_SM_EERKSM_lbbbEUlllE0_EEPmJS6_EEE10hipError_tPvRmT3_T4_T5_T6_T7_T9_mT8_P12ihipStream_tbDpT10_ENKUlT_T0_E_clISt17integral_constantIbLb1EES1B_IbLb0EEEEDaS17_S18_EUlS17_E_NS1_11comp_targetILNS1_3genE8ELNS1_11target_archE1030ELNS1_3gpuE2ELNS1_3repE0EEENS1_30default_config_static_selectorELNS0_4arch9wavefront6targetE1EEEvT1_.kd
    .uniform_work_group_size: 1
    .uses_dynamic_stack: false
    .vgpr_count:     0
    .vgpr_spill_count: 0
    .wavefront_size: 64
  - .agpr_count:     0
    .args:
      - .address_space:  global
        .offset:         0
        .size:           8
        .value_kind:     global_buffer
      - .offset:         8
        .size:           4
        .value_kind:     by_value
      - .address_space:  global
        .offset:         16
        .size:           8
        .value_kind:     global_buffer
      - .offset:         24
        .size:           4
        .value_kind:     by_value
      - .address_space:  global
        .offset:         32
        .size:           8
        .value_kind:     global_buffer
      - .offset:         40
        .size:           4
        .value_kind:     hidden_block_count_x
      - .offset:         44
        .size:           4
        .value_kind:     hidden_block_count_y
      - .offset:         48
        .size:           4
        .value_kind:     hidden_block_count_z
      - .offset:         52
        .size:           2
        .value_kind:     hidden_group_size_x
      - .offset:         54
        .size:           2
        .value_kind:     hidden_group_size_y
      - .offset:         56
        .size:           2
        .value_kind:     hidden_group_size_z
      - .offset:         58
        .size:           2
        .value_kind:     hidden_remainder_x
      - .offset:         60
        .size:           2
        .value_kind:     hidden_remainder_y
      - .offset:         62
        .size:           2
        .value_kind:     hidden_remainder_z
      - .offset:         80
        .size:           8
        .value_kind:     hidden_global_offset_x
      - .offset:         88
        .size:           8
        .value_kind:     hidden_global_offset_y
      - .offset:         96
        .size:           8
        .value_kind:     hidden_global_offset_z
      - .offset:         104
        .size:           2
        .value_kind:     hidden_grid_dims
    .group_segment_fixed_size: 0
    .kernarg_segment_align: 8
    .kernarg_segment_size: 296
    .language:       OpenCL C
    .language_version:
      - 2
      - 0
    .max_flat_workgroup_size: 256
    .name:           _ZN7rocprim17ROCPRIM_400000_NS6detail31init_lookback_scan_state_kernelINS1_19lookback_scan_stateIjLb0ELb1EEENS1_16block_id_wrapperIjLb1EEEEEvT_jT0_jPNS7_10value_typeE
    .private_segment_fixed_size: 0
    .sgpr_count:     15
    .sgpr_spill_count: 0
    .symbol:         _ZN7rocprim17ROCPRIM_400000_NS6detail31init_lookback_scan_state_kernelINS1_19lookback_scan_stateIjLb0ELb1EEENS1_16block_id_wrapperIjLb1EEEEEvT_jT0_jPNS7_10value_typeE.kd
    .uniform_work_group_size: 1
    .uses_dynamic_stack: false
    .vgpr_count:     6
    .vgpr_spill_count: 0
    .wavefront_size: 64
  - .agpr_count:     0
    .args:
      - .offset:         0
        .size:           136
        .value_kind:     by_value
    .group_segment_fixed_size: 0
    .kernarg_segment_align: 8
    .kernarg_segment_size: 136
    .language:       OpenCL C
    .language_version:
      - 2
      - 0
    .max_flat_workgroup_size: 512
    .name:           _ZN7rocprim17ROCPRIM_400000_NS6detail17trampoline_kernelINS0_14default_configENS1_25partition_config_selectorILNS1_17partition_subalgoE8ElNS0_10empty_typeEbEEZZNS1_14partition_implILS5_8ELb0ES3_jPlPS6_PKS6_NS0_5tupleIJS9_S6_EEENSD_IJSA_SA_EEENS0_18inequality_wrapperIZN2at6native12_GLOBAL__N_124unique_dim_cuda_templateIhEESt5tupleIJNSH_6TensorESM_SM_EERKSM_lbbbEUlllE0_EEPmJS6_EEE10hipError_tPvRmT3_T4_T5_T6_T7_T9_mT8_P12ihipStream_tbDpT10_ENKUlT_T0_E_clISt17integral_constantIbLb0EES1B_IbLb1EEEEDaS17_S18_EUlS17_E_NS1_11comp_targetILNS1_3genE0ELNS1_11target_archE4294967295ELNS1_3gpuE0ELNS1_3repE0EEENS1_30default_config_static_selectorELNS0_4arch9wavefront6targetE1EEEvT1_
    .private_segment_fixed_size: 0
    .sgpr_count:     4
    .sgpr_spill_count: 0
    .symbol:         _ZN7rocprim17ROCPRIM_400000_NS6detail17trampoline_kernelINS0_14default_configENS1_25partition_config_selectorILNS1_17partition_subalgoE8ElNS0_10empty_typeEbEEZZNS1_14partition_implILS5_8ELb0ES3_jPlPS6_PKS6_NS0_5tupleIJS9_S6_EEENSD_IJSA_SA_EEENS0_18inequality_wrapperIZN2at6native12_GLOBAL__N_124unique_dim_cuda_templateIhEESt5tupleIJNSH_6TensorESM_SM_EERKSM_lbbbEUlllE0_EEPmJS6_EEE10hipError_tPvRmT3_T4_T5_T6_T7_T9_mT8_P12ihipStream_tbDpT10_ENKUlT_T0_E_clISt17integral_constantIbLb0EES1B_IbLb1EEEEDaS17_S18_EUlS17_E_NS1_11comp_targetILNS1_3genE0ELNS1_11target_archE4294967295ELNS1_3gpuE0ELNS1_3repE0EEENS1_30default_config_static_selectorELNS0_4arch9wavefront6targetE1EEEvT1_.kd
    .uniform_work_group_size: 1
    .uses_dynamic_stack: false
    .vgpr_count:     0
    .vgpr_spill_count: 0
    .wavefront_size: 64
  - .agpr_count:     0
    .args:
      - .offset:         0
        .size:           136
        .value_kind:     by_value
    .group_segment_fixed_size: 0
    .kernarg_segment_align: 8
    .kernarg_segment_size: 136
    .language:       OpenCL C
    .language_version:
      - 2
      - 0
    .max_flat_workgroup_size: 512
    .name:           _ZN7rocprim17ROCPRIM_400000_NS6detail17trampoline_kernelINS0_14default_configENS1_25partition_config_selectorILNS1_17partition_subalgoE8ElNS0_10empty_typeEbEEZZNS1_14partition_implILS5_8ELb0ES3_jPlPS6_PKS6_NS0_5tupleIJS9_S6_EEENSD_IJSA_SA_EEENS0_18inequality_wrapperIZN2at6native12_GLOBAL__N_124unique_dim_cuda_templateIhEESt5tupleIJNSH_6TensorESM_SM_EERKSM_lbbbEUlllE0_EEPmJS6_EEE10hipError_tPvRmT3_T4_T5_T6_T7_T9_mT8_P12ihipStream_tbDpT10_ENKUlT_T0_E_clISt17integral_constantIbLb0EES1B_IbLb1EEEEDaS17_S18_EUlS17_E_NS1_11comp_targetILNS1_3genE5ELNS1_11target_archE942ELNS1_3gpuE9ELNS1_3repE0EEENS1_30default_config_static_selectorELNS0_4arch9wavefront6targetE1EEEvT1_
    .private_segment_fixed_size: 0
    .sgpr_count:     4
    .sgpr_spill_count: 0
    .symbol:         _ZN7rocprim17ROCPRIM_400000_NS6detail17trampoline_kernelINS0_14default_configENS1_25partition_config_selectorILNS1_17partition_subalgoE8ElNS0_10empty_typeEbEEZZNS1_14partition_implILS5_8ELb0ES3_jPlPS6_PKS6_NS0_5tupleIJS9_S6_EEENSD_IJSA_SA_EEENS0_18inequality_wrapperIZN2at6native12_GLOBAL__N_124unique_dim_cuda_templateIhEESt5tupleIJNSH_6TensorESM_SM_EERKSM_lbbbEUlllE0_EEPmJS6_EEE10hipError_tPvRmT3_T4_T5_T6_T7_T9_mT8_P12ihipStream_tbDpT10_ENKUlT_T0_E_clISt17integral_constantIbLb0EES1B_IbLb1EEEEDaS17_S18_EUlS17_E_NS1_11comp_targetILNS1_3genE5ELNS1_11target_archE942ELNS1_3gpuE9ELNS1_3repE0EEENS1_30default_config_static_selectorELNS0_4arch9wavefront6targetE1EEEvT1_.kd
    .uniform_work_group_size: 1
    .uses_dynamic_stack: false
    .vgpr_count:     0
    .vgpr_spill_count: 0
    .wavefront_size: 64
  - .agpr_count:     0
    .args:
      - .offset:         0
        .size:           136
        .value_kind:     by_value
    .group_segment_fixed_size: 10252
    .kernarg_segment_align: 8
    .kernarg_segment_size: 136
    .language:       OpenCL C
    .language_version:
      - 2
      - 0
    .max_flat_workgroup_size: 256
    .name:           _ZN7rocprim17ROCPRIM_400000_NS6detail17trampoline_kernelINS0_14default_configENS1_25partition_config_selectorILNS1_17partition_subalgoE8ElNS0_10empty_typeEbEEZZNS1_14partition_implILS5_8ELb0ES3_jPlPS6_PKS6_NS0_5tupleIJS9_S6_EEENSD_IJSA_SA_EEENS0_18inequality_wrapperIZN2at6native12_GLOBAL__N_124unique_dim_cuda_templateIhEESt5tupleIJNSH_6TensorESM_SM_EERKSM_lbbbEUlllE0_EEPmJS6_EEE10hipError_tPvRmT3_T4_T5_T6_T7_T9_mT8_P12ihipStream_tbDpT10_ENKUlT_T0_E_clISt17integral_constantIbLb0EES1B_IbLb1EEEEDaS17_S18_EUlS17_E_NS1_11comp_targetILNS1_3genE4ELNS1_11target_archE910ELNS1_3gpuE8ELNS1_3repE0EEENS1_30default_config_static_selectorELNS0_4arch9wavefront6targetE1EEEvT1_
    .private_segment_fixed_size: 0
    .sgpr_count:     56
    .sgpr_spill_count: 0
    .symbol:         _ZN7rocprim17ROCPRIM_400000_NS6detail17trampoline_kernelINS0_14default_configENS1_25partition_config_selectorILNS1_17partition_subalgoE8ElNS0_10empty_typeEbEEZZNS1_14partition_implILS5_8ELb0ES3_jPlPS6_PKS6_NS0_5tupleIJS9_S6_EEENSD_IJSA_SA_EEENS0_18inequality_wrapperIZN2at6native12_GLOBAL__N_124unique_dim_cuda_templateIhEESt5tupleIJNSH_6TensorESM_SM_EERKSM_lbbbEUlllE0_EEPmJS6_EEE10hipError_tPvRmT3_T4_T5_T6_T7_T9_mT8_P12ihipStream_tbDpT10_ENKUlT_T0_E_clISt17integral_constantIbLb0EES1B_IbLb1EEEEDaS17_S18_EUlS17_E_NS1_11comp_targetILNS1_3genE4ELNS1_11target_archE910ELNS1_3gpuE8ELNS1_3repE0EEENS1_30default_config_static_selectorELNS0_4arch9wavefront6targetE1EEEvT1_.kd
    .uniform_work_group_size: 1
    .uses_dynamic_stack: false
    .vgpr_count:     46
    .vgpr_spill_count: 0
    .wavefront_size: 64
  - .agpr_count:     0
    .args:
      - .offset:         0
        .size:           136
        .value_kind:     by_value
    .group_segment_fixed_size: 0
    .kernarg_segment_align: 8
    .kernarg_segment_size: 136
    .language:       OpenCL C
    .language_version:
      - 2
      - 0
    .max_flat_workgroup_size: 512
    .name:           _ZN7rocprim17ROCPRIM_400000_NS6detail17trampoline_kernelINS0_14default_configENS1_25partition_config_selectorILNS1_17partition_subalgoE8ElNS0_10empty_typeEbEEZZNS1_14partition_implILS5_8ELb0ES3_jPlPS6_PKS6_NS0_5tupleIJS9_S6_EEENSD_IJSA_SA_EEENS0_18inequality_wrapperIZN2at6native12_GLOBAL__N_124unique_dim_cuda_templateIhEESt5tupleIJNSH_6TensorESM_SM_EERKSM_lbbbEUlllE0_EEPmJS6_EEE10hipError_tPvRmT3_T4_T5_T6_T7_T9_mT8_P12ihipStream_tbDpT10_ENKUlT_T0_E_clISt17integral_constantIbLb0EES1B_IbLb1EEEEDaS17_S18_EUlS17_E_NS1_11comp_targetILNS1_3genE3ELNS1_11target_archE908ELNS1_3gpuE7ELNS1_3repE0EEENS1_30default_config_static_selectorELNS0_4arch9wavefront6targetE1EEEvT1_
    .private_segment_fixed_size: 0
    .sgpr_count:     4
    .sgpr_spill_count: 0
    .symbol:         _ZN7rocprim17ROCPRIM_400000_NS6detail17trampoline_kernelINS0_14default_configENS1_25partition_config_selectorILNS1_17partition_subalgoE8ElNS0_10empty_typeEbEEZZNS1_14partition_implILS5_8ELb0ES3_jPlPS6_PKS6_NS0_5tupleIJS9_S6_EEENSD_IJSA_SA_EEENS0_18inequality_wrapperIZN2at6native12_GLOBAL__N_124unique_dim_cuda_templateIhEESt5tupleIJNSH_6TensorESM_SM_EERKSM_lbbbEUlllE0_EEPmJS6_EEE10hipError_tPvRmT3_T4_T5_T6_T7_T9_mT8_P12ihipStream_tbDpT10_ENKUlT_T0_E_clISt17integral_constantIbLb0EES1B_IbLb1EEEEDaS17_S18_EUlS17_E_NS1_11comp_targetILNS1_3genE3ELNS1_11target_archE908ELNS1_3gpuE7ELNS1_3repE0EEENS1_30default_config_static_selectorELNS0_4arch9wavefront6targetE1EEEvT1_.kd
    .uniform_work_group_size: 1
    .uses_dynamic_stack: false
    .vgpr_count:     0
    .vgpr_spill_count: 0
    .wavefront_size: 64
  - .agpr_count:     0
    .args:
      - .offset:         0
        .size:           136
        .value_kind:     by_value
    .group_segment_fixed_size: 0
    .kernarg_segment_align: 8
    .kernarg_segment_size: 136
    .language:       OpenCL C
    .language_version:
      - 2
      - 0
    .max_flat_workgroup_size: 256
    .name:           _ZN7rocprim17ROCPRIM_400000_NS6detail17trampoline_kernelINS0_14default_configENS1_25partition_config_selectorILNS1_17partition_subalgoE8ElNS0_10empty_typeEbEEZZNS1_14partition_implILS5_8ELb0ES3_jPlPS6_PKS6_NS0_5tupleIJS9_S6_EEENSD_IJSA_SA_EEENS0_18inequality_wrapperIZN2at6native12_GLOBAL__N_124unique_dim_cuda_templateIhEESt5tupleIJNSH_6TensorESM_SM_EERKSM_lbbbEUlllE0_EEPmJS6_EEE10hipError_tPvRmT3_T4_T5_T6_T7_T9_mT8_P12ihipStream_tbDpT10_ENKUlT_T0_E_clISt17integral_constantIbLb0EES1B_IbLb1EEEEDaS17_S18_EUlS17_E_NS1_11comp_targetILNS1_3genE2ELNS1_11target_archE906ELNS1_3gpuE6ELNS1_3repE0EEENS1_30default_config_static_selectorELNS0_4arch9wavefront6targetE1EEEvT1_
    .private_segment_fixed_size: 0
    .sgpr_count:     4
    .sgpr_spill_count: 0
    .symbol:         _ZN7rocprim17ROCPRIM_400000_NS6detail17trampoline_kernelINS0_14default_configENS1_25partition_config_selectorILNS1_17partition_subalgoE8ElNS0_10empty_typeEbEEZZNS1_14partition_implILS5_8ELb0ES3_jPlPS6_PKS6_NS0_5tupleIJS9_S6_EEENSD_IJSA_SA_EEENS0_18inequality_wrapperIZN2at6native12_GLOBAL__N_124unique_dim_cuda_templateIhEESt5tupleIJNSH_6TensorESM_SM_EERKSM_lbbbEUlllE0_EEPmJS6_EEE10hipError_tPvRmT3_T4_T5_T6_T7_T9_mT8_P12ihipStream_tbDpT10_ENKUlT_T0_E_clISt17integral_constantIbLb0EES1B_IbLb1EEEEDaS17_S18_EUlS17_E_NS1_11comp_targetILNS1_3genE2ELNS1_11target_archE906ELNS1_3gpuE6ELNS1_3repE0EEENS1_30default_config_static_selectorELNS0_4arch9wavefront6targetE1EEEvT1_.kd
    .uniform_work_group_size: 1
    .uses_dynamic_stack: false
    .vgpr_count:     0
    .vgpr_spill_count: 0
    .wavefront_size: 64
  - .agpr_count:     0
    .args:
      - .offset:         0
        .size:           136
        .value_kind:     by_value
    .group_segment_fixed_size: 0
    .kernarg_segment_align: 8
    .kernarg_segment_size: 136
    .language:       OpenCL C
    .language_version:
      - 2
      - 0
    .max_flat_workgroup_size: 384
    .name:           _ZN7rocprim17ROCPRIM_400000_NS6detail17trampoline_kernelINS0_14default_configENS1_25partition_config_selectorILNS1_17partition_subalgoE8ElNS0_10empty_typeEbEEZZNS1_14partition_implILS5_8ELb0ES3_jPlPS6_PKS6_NS0_5tupleIJS9_S6_EEENSD_IJSA_SA_EEENS0_18inequality_wrapperIZN2at6native12_GLOBAL__N_124unique_dim_cuda_templateIhEESt5tupleIJNSH_6TensorESM_SM_EERKSM_lbbbEUlllE0_EEPmJS6_EEE10hipError_tPvRmT3_T4_T5_T6_T7_T9_mT8_P12ihipStream_tbDpT10_ENKUlT_T0_E_clISt17integral_constantIbLb0EES1B_IbLb1EEEEDaS17_S18_EUlS17_E_NS1_11comp_targetILNS1_3genE10ELNS1_11target_archE1200ELNS1_3gpuE4ELNS1_3repE0EEENS1_30default_config_static_selectorELNS0_4arch9wavefront6targetE1EEEvT1_
    .private_segment_fixed_size: 0
    .sgpr_count:     4
    .sgpr_spill_count: 0
    .symbol:         _ZN7rocprim17ROCPRIM_400000_NS6detail17trampoline_kernelINS0_14default_configENS1_25partition_config_selectorILNS1_17partition_subalgoE8ElNS0_10empty_typeEbEEZZNS1_14partition_implILS5_8ELb0ES3_jPlPS6_PKS6_NS0_5tupleIJS9_S6_EEENSD_IJSA_SA_EEENS0_18inequality_wrapperIZN2at6native12_GLOBAL__N_124unique_dim_cuda_templateIhEESt5tupleIJNSH_6TensorESM_SM_EERKSM_lbbbEUlllE0_EEPmJS6_EEE10hipError_tPvRmT3_T4_T5_T6_T7_T9_mT8_P12ihipStream_tbDpT10_ENKUlT_T0_E_clISt17integral_constantIbLb0EES1B_IbLb1EEEEDaS17_S18_EUlS17_E_NS1_11comp_targetILNS1_3genE10ELNS1_11target_archE1200ELNS1_3gpuE4ELNS1_3repE0EEENS1_30default_config_static_selectorELNS0_4arch9wavefront6targetE1EEEvT1_.kd
    .uniform_work_group_size: 1
    .uses_dynamic_stack: false
    .vgpr_count:     0
    .vgpr_spill_count: 0
    .wavefront_size: 64
  - .agpr_count:     0
    .args:
      - .offset:         0
        .size:           136
        .value_kind:     by_value
    .group_segment_fixed_size: 0
    .kernarg_segment_align: 8
    .kernarg_segment_size: 136
    .language:       OpenCL C
    .language_version:
      - 2
      - 0
    .max_flat_workgroup_size: 512
    .name:           _ZN7rocprim17ROCPRIM_400000_NS6detail17trampoline_kernelINS0_14default_configENS1_25partition_config_selectorILNS1_17partition_subalgoE8ElNS0_10empty_typeEbEEZZNS1_14partition_implILS5_8ELb0ES3_jPlPS6_PKS6_NS0_5tupleIJS9_S6_EEENSD_IJSA_SA_EEENS0_18inequality_wrapperIZN2at6native12_GLOBAL__N_124unique_dim_cuda_templateIhEESt5tupleIJNSH_6TensorESM_SM_EERKSM_lbbbEUlllE0_EEPmJS6_EEE10hipError_tPvRmT3_T4_T5_T6_T7_T9_mT8_P12ihipStream_tbDpT10_ENKUlT_T0_E_clISt17integral_constantIbLb0EES1B_IbLb1EEEEDaS17_S18_EUlS17_E_NS1_11comp_targetILNS1_3genE9ELNS1_11target_archE1100ELNS1_3gpuE3ELNS1_3repE0EEENS1_30default_config_static_selectorELNS0_4arch9wavefront6targetE1EEEvT1_
    .private_segment_fixed_size: 0
    .sgpr_count:     4
    .sgpr_spill_count: 0
    .symbol:         _ZN7rocprim17ROCPRIM_400000_NS6detail17trampoline_kernelINS0_14default_configENS1_25partition_config_selectorILNS1_17partition_subalgoE8ElNS0_10empty_typeEbEEZZNS1_14partition_implILS5_8ELb0ES3_jPlPS6_PKS6_NS0_5tupleIJS9_S6_EEENSD_IJSA_SA_EEENS0_18inequality_wrapperIZN2at6native12_GLOBAL__N_124unique_dim_cuda_templateIhEESt5tupleIJNSH_6TensorESM_SM_EERKSM_lbbbEUlllE0_EEPmJS6_EEE10hipError_tPvRmT3_T4_T5_T6_T7_T9_mT8_P12ihipStream_tbDpT10_ENKUlT_T0_E_clISt17integral_constantIbLb0EES1B_IbLb1EEEEDaS17_S18_EUlS17_E_NS1_11comp_targetILNS1_3genE9ELNS1_11target_archE1100ELNS1_3gpuE3ELNS1_3repE0EEENS1_30default_config_static_selectorELNS0_4arch9wavefront6targetE1EEEvT1_.kd
    .uniform_work_group_size: 1
    .uses_dynamic_stack: false
    .vgpr_count:     0
    .vgpr_spill_count: 0
    .wavefront_size: 64
  - .agpr_count:     0
    .args:
      - .offset:         0
        .size:           136
        .value_kind:     by_value
    .group_segment_fixed_size: 0
    .kernarg_segment_align: 8
    .kernarg_segment_size: 136
    .language:       OpenCL C
    .language_version:
      - 2
      - 0
    .max_flat_workgroup_size: 512
    .name:           _ZN7rocprim17ROCPRIM_400000_NS6detail17trampoline_kernelINS0_14default_configENS1_25partition_config_selectorILNS1_17partition_subalgoE8ElNS0_10empty_typeEbEEZZNS1_14partition_implILS5_8ELb0ES3_jPlPS6_PKS6_NS0_5tupleIJS9_S6_EEENSD_IJSA_SA_EEENS0_18inequality_wrapperIZN2at6native12_GLOBAL__N_124unique_dim_cuda_templateIhEESt5tupleIJNSH_6TensorESM_SM_EERKSM_lbbbEUlllE0_EEPmJS6_EEE10hipError_tPvRmT3_T4_T5_T6_T7_T9_mT8_P12ihipStream_tbDpT10_ENKUlT_T0_E_clISt17integral_constantIbLb0EES1B_IbLb1EEEEDaS17_S18_EUlS17_E_NS1_11comp_targetILNS1_3genE8ELNS1_11target_archE1030ELNS1_3gpuE2ELNS1_3repE0EEENS1_30default_config_static_selectorELNS0_4arch9wavefront6targetE1EEEvT1_
    .private_segment_fixed_size: 0
    .sgpr_count:     4
    .sgpr_spill_count: 0
    .symbol:         _ZN7rocprim17ROCPRIM_400000_NS6detail17trampoline_kernelINS0_14default_configENS1_25partition_config_selectorILNS1_17partition_subalgoE8ElNS0_10empty_typeEbEEZZNS1_14partition_implILS5_8ELb0ES3_jPlPS6_PKS6_NS0_5tupleIJS9_S6_EEENSD_IJSA_SA_EEENS0_18inequality_wrapperIZN2at6native12_GLOBAL__N_124unique_dim_cuda_templateIhEESt5tupleIJNSH_6TensorESM_SM_EERKSM_lbbbEUlllE0_EEPmJS6_EEE10hipError_tPvRmT3_T4_T5_T6_T7_T9_mT8_P12ihipStream_tbDpT10_ENKUlT_T0_E_clISt17integral_constantIbLb0EES1B_IbLb1EEEEDaS17_S18_EUlS17_E_NS1_11comp_targetILNS1_3genE8ELNS1_11target_archE1030ELNS1_3gpuE2ELNS1_3repE0EEENS1_30default_config_static_selectorELNS0_4arch9wavefront6targetE1EEEvT1_.kd
    .uniform_work_group_size: 1
    .uses_dynamic_stack: false
    .vgpr_count:     0
    .vgpr_spill_count: 0
    .wavefront_size: 64
  - .agpr_count:     0
    .args:
      - .offset:         0
        .size:           120
        .value_kind:     by_value
    .group_segment_fixed_size: 0
    .kernarg_segment_align: 8
    .kernarg_segment_size: 120
    .language:       OpenCL C
    .language_version:
      - 2
      - 0
    .max_flat_workgroup_size: 128
    .name:           _ZN7rocprim17ROCPRIM_400000_NS6detail17trampoline_kernelINS0_14default_configENS1_25partition_config_selectorILNS1_17partition_subalgoE9EllbEEZZNS1_14partition_implILS5_9ELb0ES3_jPlS8_PNS0_10empty_typeENS0_5tupleIJS8_S9_EEENSB_IJS8_SA_EEENS0_18inequality_wrapperIZN2at6native12_GLOBAL__N_124unique_dim_cuda_templateIhEESt5tupleIJNSF_6TensorESK_SK_EERKSK_lbbbEUlllE0_EEPmJS9_EEE10hipError_tPvRmT3_T4_T5_T6_T7_T9_mT8_P12ihipStream_tbDpT10_ENKUlT_T0_E_clISt17integral_constantIbLb0EES1A_EEDaS15_S16_EUlS15_E_NS1_11comp_targetILNS1_3genE0ELNS1_11target_archE4294967295ELNS1_3gpuE0ELNS1_3repE0EEENS1_30default_config_static_selectorELNS0_4arch9wavefront6targetE1EEEvT1_
    .private_segment_fixed_size: 0
    .sgpr_count:     4
    .sgpr_spill_count: 0
    .symbol:         _ZN7rocprim17ROCPRIM_400000_NS6detail17trampoline_kernelINS0_14default_configENS1_25partition_config_selectorILNS1_17partition_subalgoE9EllbEEZZNS1_14partition_implILS5_9ELb0ES3_jPlS8_PNS0_10empty_typeENS0_5tupleIJS8_S9_EEENSB_IJS8_SA_EEENS0_18inequality_wrapperIZN2at6native12_GLOBAL__N_124unique_dim_cuda_templateIhEESt5tupleIJNSF_6TensorESK_SK_EERKSK_lbbbEUlllE0_EEPmJS9_EEE10hipError_tPvRmT3_T4_T5_T6_T7_T9_mT8_P12ihipStream_tbDpT10_ENKUlT_T0_E_clISt17integral_constantIbLb0EES1A_EEDaS15_S16_EUlS15_E_NS1_11comp_targetILNS1_3genE0ELNS1_11target_archE4294967295ELNS1_3gpuE0ELNS1_3repE0EEENS1_30default_config_static_selectorELNS0_4arch9wavefront6targetE1EEEvT1_.kd
    .uniform_work_group_size: 1
    .uses_dynamic_stack: false
    .vgpr_count:     0
    .vgpr_spill_count: 0
    .wavefront_size: 64
  - .agpr_count:     0
    .args:
      - .offset:         0
        .size:           120
        .value_kind:     by_value
    .group_segment_fixed_size: 0
    .kernarg_segment_align: 8
    .kernarg_segment_size: 120
    .language:       OpenCL C
    .language_version:
      - 2
      - 0
    .max_flat_workgroup_size: 512
    .name:           _ZN7rocprim17ROCPRIM_400000_NS6detail17trampoline_kernelINS0_14default_configENS1_25partition_config_selectorILNS1_17partition_subalgoE9EllbEEZZNS1_14partition_implILS5_9ELb0ES3_jPlS8_PNS0_10empty_typeENS0_5tupleIJS8_S9_EEENSB_IJS8_SA_EEENS0_18inequality_wrapperIZN2at6native12_GLOBAL__N_124unique_dim_cuda_templateIhEESt5tupleIJNSF_6TensorESK_SK_EERKSK_lbbbEUlllE0_EEPmJS9_EEE10hipError_tPvRmT3_T4_T5_T6_T7_T9_mT8_P12ihipStream_tbDpT10_ENKUlT_T0_E_clISt17integral_constantIbLb0EES1A_EEDaS15_S16_EUlS15_E_NS1_11comp_targetILNS1_3genE5ELNS1_11target_archE942ELNS1_3gpuE9ELNS1_3repE0EEENS1_30default_config_static_selectorELNS0_4arch9wavefront6targetE1EEEvT1_
    .private_segment_fixed_size: 0
    .sgpr_count:     4
    .sgpr_spill_count: 0
    .symbol:         _ZN7rocprim17ROCPRIM_400000_NS6detail17trampoline_kernelINS0_14default_configENS1_25partition_config_selectorILNS1_17partition_subalgoE9EllbEEZZNS1_14partition_implILS5_9ELb0ES3_jPlS8_PNS0_10empty_typeENS0_5tupleIJS8_S9_EEENSB_IJS8_SA_EEENS0_18inequality_wrapperIZN2at6native12_GLOBAL__N_124unique_dim_cuda_templateIhEESt5tupleIJNSF_6TensorESK_SK_EERKSK_lbbbEUlllE0_EEPmJS9_EEE10hipError_tPvRmT3_T4_T5_T6_T7_T9_mT8_P12ihipStream_tbDpT10_ENKUlT_T0_E_clISt17integral_constantIbLb0EES1A_EEDaS15_S16_EUlS15_E_NS1_11comp_targetILNS1_3genE5ELNS1_11target_archE942ELNS1_3gpuE9ELNS1_3repE0EEENS1_30default_config_static_selectorELNS0_4arch9wavefront6targetE1EEEvT1_.kd
    .uniform_work_group_size: 1
    .uses_dynamic_stack: false
    .vgpr_count:     0
    .vgpr_spill_count: 0
    .wavefront_size: 64
  - .agpr_count:     0
    .args:
      - .offset:         0
        .size:           120
        .value_kind:     by_value
    .group_segment_fixed_size: 4236
    .kernarg_segment_align: 8
    .kernarg_segment_size: 120
    .language:       OpenCL C
    .language_version:
      - 2
      - 0
    .max_flat_workgroup_size: 128
    .name:           _ZN7rocprim17ROCPRIM_400000_NS6detail17trampoline_kernelINS0_14default_configENS1_25partition_config_selectorILNS1_17partition_subalgoE9EllbEEZZNS1_14partition_implILS5_9ELb0ES3_jPlS8_PNS0_10empty_typeENS0_5tupleIJS8_S9_EEENSB_IJS8_SA_EEENS0_18inequality_wrapperIZN2at6native12_GLOBAL__N_124unique_dim_cuda_templateIhEESt5tupleIJNSF_6TensorESK_SK_EERKSK_lbbbEUlllE0_EEPmJS9_EEE10hipError_tPvRmT3_T4_T5_T6_T7_T9_mT8_P12ihipStream_tbDpT10_ENKUlT_T0_E_clISt17integral_constantIbLb0EES1A_EEDaS15_S16_EUlS15_E_NS1_11comp_targetILNS1_3genE4ELNS1_11target_archE910ELNS1_3gpuE8ELNS1_3repE0EEENS1_30default_config_static_selectorELNS0_4arch9wavefront6targetE1EEEvT1_
    .private_segment_fixed_size: 0
    .sgpr_count:     50
    .sgpr_spill_count: 0
    .symbol:         _ZN7rocprim17ROCPRIM_400000_NS6detail17trampoline_kernelINS0_14default_configENS1_25partition_config_selectorILNS1_17partition_subalgoE9EllbEEZZNS1_14partition_implILS5_9ELb0ES3_jPlS8_PNS0_10empty_typeENS0_5tupleIJS8_S9_EEENSB_IJS8_SA_EEENS0_18inequality_wrapperIZN2at6native12_GLOBAL__N_124unique_dim_cuda_templateIhEESt5tupleIJNSF_6TensorESK_SK_EERKSK_lbbbEUlllE0_EEPmJS9_EEE10hipError_tPvRmT3_T4_T5_T6_T7_T9_mT8_P12ihipStream_tbDpT10_ENKUlT_T0_E_clISt17integral_constantIbLb0EES1A_EEDaS15_S16_EUlS15_E_NS1_11comp_targetILNS1_3genE4ELNS1_11target_archE910ELNS1_3gpuE8ELNS1_3repE0EEENS1_30default_config_static_selectorELNS0_4arch9wavefront6targetE1EEEvT1_.kd
    .uniform_work_group_size: 1
    .uses_dynamic_stack: false
    .vgpr_count:     50
    .vgpr_spill_count: 0
    .wavefront_size: 64
  - .agpr_count:     0
    .args:
      - .offset:         0
        .size:           120
        .value_kind:     by_value
    .group_segment_fixed_size: 0
    .kernarg_segment_align: 8
    .kernarg_segment_size: 120
    .language:       OpenCL C
    .language_version:
      - 2
      - 0
    .max_flat_workgroup_size: 128
    .name:           _ZN7rocprim17ROCPRIM_400000_NS6detail17trampoline_kernelINS0_14default_configENS1_25partition_config_selectorILNS1_17partition_subalgoE9EllbEEZZNS1_14partition_implILS5_9ELb0ES3_jPlS8_PNS0_10empty_typeENS0_5tupleIJS8_S9_EEENSB_IJS8_SA_EEENS0_18inequality_wrapperIZN2at6native12_GLOBAL__N_124unique_dim_cuda_templateIhEESt5tupleIJNSF_6TensorESK_SK_EERKSK_lbbbEUlllE0_EEPmJS9_EEE10hipError_tPvRmT3_T4_T5_T6_T7_T9_mT8_P12ihipStream_tbDpT10_ENKUlT_T0_E_clISt17integral_constantIbLb0EES1A_EEDaS15_S16_EUlS15_E_NS1_11comp_targetILNS1_3genE3ELNS1_11target_archE908ELNS1_3gpuE7ELNS1_3repE0EEENS1_30default_config_static_selectorELNS0_4arch9wavefront6targetE1EEEvT1_
    .private_segment_fixed_size: 0
    .sgpr_count:     4
    .sgpr_spill_count: 0
    .symbol:         _ZN7rocprim17ROCPRIM_400000_NS6detail17trampoline_kernelINS0_14default_configENS1_25partition_config_selectorILNS1_17partition_subalgoE9EllbEEZZNS1_14partition_implILS5_9ELb0ES3_jPlS8_PNS0_10empty_typeENS0_5tupleIJS8_S9_EEENSB_IJS8_SA_EEENS0_18inequality_wrapperIZN2at6native12_GLOBAL__N_124unique_dim_cuda_templateIhEESt5tupleIJNSF_6TensorESK_SK_EERKSK_lbbbEUlllE0_EEPmJS9_EEE10hipError_tPvRmT3_T4_T5_T6_T7_T9_mT8_P12ihipStream_tbDpT10_ENKUlT_T0_E_clISt17integral_constantIbLb0EES1A_EEDaS15_S16_EUlS15_E_NS1_11comp_targetILNS1_3genE3ELNS1_11target_archE908ELNS1_3gpuE7ELNS1_3repE0EEENS1_30default_config_static_selectorELNS0_4arch9wavefront6targetE1EEEvT1_.kd
    .uniform_work_group_size: 1
    .uses_dynamic_stack: false
    .vgpr_count:     0
    .vgpr_spill_count: 0
    .wavefront_size: 64
  - .agpr_count:     0
    .args:
      - .offset:         0
        .size:           120
        .value_kind:     by_value
    .group_segment_fixed_size: 0
    .kernarg_segment_align: 8
    .kernarg_segment_size: 120
    .language:       OpenCL C
    .language_version:
      - 2
      - 0
    .max_flat_workgroup_size: 192
    .name:           _ZN7rocprim17ROCPRIM_400000_NS6detail17trampoline_kernelINS0_14default_configENS1_25partition_config_selectorILNS1_17partition_subalgoE9EllbEEZZNS1_14partition_implILS5_9ELb0ES3_jPlS8_PNS0_10empty_typeENS0_5tupleIJS8_S9_EEENSB_IJS8_SA_EEENS0_18inequality_wrapperIZN2at6native12_GLOBAL__N_124unique_dim_cuda_templateIhEESt5tupleIJNSF_6TensorESK_SK_EERKSK_lbbbEUlllE0_EEPmJS9_EEE10hipError_tPvRmT3_T4_T5_T6_T7_T9_mT8_P12ihipStream_tbDpT10_ENKUlT_T0_E_clISt17integral_constantIbLb0EES1A_EEDaS15_S16_EUlS15_E_NS1_11comp_targetILNS1_3genE2ELNS1_11target_archE906ELNS1_3gpuE6ELNS1_3repE0EEENS1_30default_config_static_selectorELNS0_4arch9wavefront6targetE1EEEvT1_
    .private_segment_fixed_size: 0
    .sgpr_count:     4
    .sgpr_spill_count: 0
    .symbol:         _ZN7rocprim17ROCPRIM_400000_NS6detail17trampoline_kernelINS0_14default_configENS1_25partition_config_selectorILNS1_17partition_subalgoE9EllbEEZZNS1_14partition_implILS5_9ELb0ES3_jPlS8_PNS0_10empty_typeENS0_5tupleIJS8_S9_EEENSB_IJS8_SA_EEENS0_18inequality_wrapperIZN2at6native12_GLOBAL__N_124unique_dim_cuda_templateIhEESt5tupleIJNSF_6TensorESK_SK_EERKSK_lbbbEUlllE0_EEPmJS9_EEE10hipError_tPvRmT3_T4_T5_T6_T7_T9_mT8_P12ihipStream_tbDpT10_ENKUlT_T0_E_clISt17integral_constantIbLb0EES1A_EEDaS15_S16_EUlS15_E_NS1_11comp_targetILNS1_3genE2ELNS1_11target_archE906ELNS1_3gpuE6ELNS1_3repE0EEENS1_30default_config_static_selectorELNS0_4arch9wavefront6targetE1EEEvT1_.kd
    .uniform_work_group_size: 1
    .uses_dynamic_stack: false
    .vgpr_count:     0
    .vgpr_spill_count: 0
    .wavefront_size: 64
  - .agpr_count:     0
    .args:
      - .offset:         0
        .size:           120
        .value_kind:     by_value
    .group_segment_fixed_size: 0
    .kernarg_segment_align: 8
    .kernarg_segment_size: 120
    .language:       OpenCL C
    .language_version:
      - 2
      - 0
    .max_flat_workgroup_size: 384
    .name:           _ZN7rocprim17ROCPRIM_400000_NS6detail17trampoline_kernelINS0_14default_configENS1_25partition_config_selectorILNS1_17partition_subalgoE9EllbEEZZNS1_14partition_implILS5_9ELb0ES3_jPlS8_PNS0_10empty_typeENS0_5tupleIJS8_S9_EEENSB_IJS8_SA_EEENS0_18inequality_wrapperIZN2at6native12_GLOBAL__N_124unique_dim_cuda_templateIhEESt5tupleIJNSF_6TensorESK_SK_EERKSK_lbbbEUlllE0_EEPmJS9_EEE10hipError_tPvRmT3_T4_T5_T6_T7_T9_mT8_P12ihipStream_tbDpT10_ENKUlT_T0_E_clISt17integral_constantIbLb0EES1A_EEDaS15_S16_EUlS15_E_NS1_11comp_targetILNS1_3genE10ELNS1_11target_archE1200ELNS1_3gpuE4ELNS1_3repE0EEENS1_30default_config_static_selectorELNS0_4arch9wavefront6targetE1EEEvT1_
    .private_segment_fixed_size: 0
    .sgpr_count:     4
    .sgpr_spill_count: 0
    .symbol:         _ZN7rocprim17ROCPRIM_400000_NS6detail17trampoline_kernelINS0_14default_configENS1_25partition_config_selectorILNS1_17partition_subalgoE9EllbEEZZNS1_14partition_implILS5_9ELb0ES3_jPlS8_PNS0_10empty_typeENS0_5tupleIJS8_S9_EEENSB_IJS8_SA_EEENS0_18inequality_wrapperIZN2at6native12_GLOBAL__N_124unique_dim_cuda_templateIhEESt5tupleIJNSF_6TensorESK_SK_EERKSK_lbbbEUlllE0_EEPmJS9_EEE10hipError_tPvRmT3_T4_T5_T6_T7_T9_mT8_P12ihipStream_tbDpT10_ENKUlT_T0_E_clISt17integral_constantIbLb0EES1A_EEDaS15_S16_EUlS15_E_NS1_11comp_targetILNS1_3genE10ELNS1_11target_archE1200ELNS1_3gpuE4ELNS1_3repE0EEENS1_30default_config_static_selectorELNS0_4arch9wavefront6targetE1EEEvT1_.kd
    .uniform_work_group_size: 1
    .uses_dynamic_stack: false
    .vgpr_count:     0
    .vgpr_spill_count: 0
    .wavefront_size: 64
  - .agpr_count:     0
    .args:
      - .offset:         0
        .size:           120
        .value_kind:     by_value
    .group_segment_fixed_size: 0
    .kernarg_segment_align: 8
    .kernarg_segment_size: 120
    .language:       OpenCL C
    .language_version:
      - 2
      - 0
    .max_flat_workgroup_size: 512
    .name:           _ZN7rocprim17ROCPRIM_400000_NS6detail17trampoline_kernelINS0_14default_configENS1_25partition_config_selectorILNS1_17partition_subalgoE9EllbEEZZNS1_14partition_implILS5_9ELb0ES3_jPlS8_PNS0_10empty_typeENS0_5tupleIJS8_S9_EEENSB_IJS8_SA_EEENS0_18inequality_wrapperIZN2at6native12_GLOBAL__N_124unique_dim_cuda_templateIhEESt5tupleIJNSF_6TensorESK_SK_EERKSK_lbbbEUlllE0_EEPmJS9_EEE10hipError_tPvRmT3_T4_T5_T6_T7_T9_mT8_P12ihipStream_tbDpT10_ENKUlT_T0_E_clISt17integral_constantIbLb0EES1A_EEDaS15_S16_EUlS15_E_NS1_11comp_targetILNS1_3genE9ELNS1_11target_archE1100ELNS1_3gpuE3ELNS1_3repE0EEENS1_30default_config_static_selectorELNS0_4arch9wavefront6targetE1EEEvT1_
    .private_segment_fixed_size: 0
    .sgpr_count:     4
    .sgpr_spill_count: 0
    .symbol:         _ZN7rocprim17ROCPRIM_400000_NS6detail17trampoline_kernelINS0_14default_configENS1_25partition_config_selectorILNS1_17partition_subalgoE9EllbEEZZNS1_14partition_implILS5_9ELb0ES3_jPlS8_PNS0_10empty_typeENS0_5tupleIJS8_S9_EEENSB_IJS8_SA_EEENS0_18inequality_wrapperIZN2at6native12_GLOBAL__N_124unique_dim_cuda_templateIhEESt5tupleIJNSF_6TensorESK_SK_EERKSK_lbbbEUlllE0_EEPmJS9_EEE10hipError_tPvRmT3_T4_T5_T6_T7_T9_mT8_P12ihipStream_tbDpT10_ENKUlT_T0_E_clISt17integral_constantIbLb0EES1A_EEDaS15_S16_EUlS15_E_NS1_11comp_targetILNS1_3genE9ELNS1_11target_archE1100ELNS1_3gpuE3ELNS1_3repE0EEENS1_30default_config_static_selectorELNS0_4arch9wavefront6targetE1EEEvT1_.kd
    .uniform_work_group_size: 1
    .uses_dynamic_stack: false
    .vgpr_count:     0
    .vgpr_spill_count: 0
    .wavefront_size: 64
  - .agpr_count:     0
    .args:
      - .offset:         0
        .size:           120
        .value_kind:     by_value
    .group_segment_fixed_size: 0
    .kernarg_segment_align: 8
    .kernarg_segment_size: 120
    .language:       OpenCL C
    .language_version:
      - 2
      - 0
    .max_flat_workgroup_size: 512
    .name:           _ZN7rocprim17ROCPRIM_400000_NS6detail17trampoline_kernelINS0_14default_configENS1_25partition_config_selectorILNS1_17partition_subalgoE9EllbEEZZNS1_14partition_implILS5_9ELb0ES3_jPlS8_PNS0_10empty_typeENS0_5tupleIJS8_S9_EEENSB_IJS8_SA_EEENS0_18inequality_wrapperIZN2at6native12_GLOBAL__N_124unique_dim_cuda_templateIhEESt5tupleIJNSF_6TensorESK_SK_EERKSK_lbbbEUlllE0_EEPmJS9_EEE10hipError_tPvRmT3_T4_T5_T6_T7_T9_mT8_P12ihipStream_tbDpT10_ENKUlT_T0_E_clISt17integral_constantIbLb0EES1A_EEDaS15_S16_EUlS15_E_NS1_11comp_targetILNS1_3genE8ELNS1_11target_archE1030ELNS1_3gpuE2ELNS1_3repE0EEENS1_30default_config_static_selectorELNS0_4arch9wavefront6targetE1EEEvT1_
    .private_segment_fixed_size: 0
    .sgpr_count:     4
    .sgpr_spill_count: 0
    .symbol:         _ZN7rocprim17ROCPRIM_400000_NS6detail17trampoline_kernelINS0_14default_configENS1_25partition_config_selectorILNS1_17partition_subalgoE9EllbEEZZNS1_14partition_implILS5_9ELb0ES3_jPlS8_PNS0_10empty_typeENS0_5tupleIJS8_S9_EEENSB_IJS8_SA_EEENS0_18inequality_wrapperIZN2at6native12_GLOBAL__N_124unique_dim_cuda_templateIhEESt5tupleIJNSF_6TensorESK_SK_EERKSK_lbbbEUlllE0_EEPmJS9_EEE10hipError_tPvRmT3_T4_T5_T6_T7_T9_mT8_P12ihipStream_tbDpT10_ENKUlT_T0_E_clISt17integral_constantIbLb0EES1A_EEDaS15_S16_EUlS15_E_NS1_11comp_targetILNS1_3genE8ELNS1_11target_archE1030ELNS1_3gpuE2ELNS1_3repE0EEENS1_30default_config_static_selectorELNS0_4arch9wavefront6targetE1EEEvT1_.kd
    .uniform_work_group_size: 1
    .uses_dynamic_stack: false
    .vgpr_count:     0
    .vgpr_spill_count: 0
    .wavefront_size: 64
  - .agpr_count:     0
    .args:
      - .offset:         0
        .size:           136
        .value_kind:     by_value
    .group_segment_fixed_size: 0
    .kernarg_segment_align: 8
    .kernarg_segment_size: 136
    .language:       OpenCL C
    .language_version:
      - 2
      - 0
    .max_flat_workgroup_size: 128
    .name:           _ZN7rocprim17ROCPRIM_400000_NS6detail17trampoline_kernelINS0_14default_configENS1_25partition_config_selectorILNS1_17partition_subalgoE9EllbEEZZNS1_14partition_implILS5_9ELb0ES3_jPlS8_PNS0_10empty_typeENS0_5tupleIJS8_S9_EEENSB_IJS8_SA_EEENS0_18inequality_wrapperIZN2at6native12_GLOBAL__N_124unique_dim_cuda_templateIhEESt5tupleIJNSF_6TensorESK_SK_EERKSK_lbbbEUlllE0_EEPmJS9_EEE10hipError_tPvRmT3_T4_T5_T6_T7_T9_mT8_P12ihipStream_tbDpT10_ENKUlT_T0_E_clISt17integral_constantIbLb1EES1A_EEDaS15_S16_EUlS15_E_NS1_11comp_targetILNS1_3genE0ELNS1_11target_archE4294967295ELNS1_3gpuE0ELNS1_3repE0EEENS1_30default_config_static_selectorELNS0_4arch9wavefront6targetE1EEEvT1_
    .private_segment_fixed_size: 0
    .sgpr_count:     4
    .sgpr_spill_count: 0
    .symbol:         _ZN7rocprim17ROCPRIM_400000_NS6detail17trampoline_kernelINS0_14default_configENS1_25partition_config_selectorILNS1_17partition_subalgoE9EllbEEZZNS1_14partition_implILS5_9ELb0ES3_jPlS8_PNS0_10empty_typeENS0_5tupleIJS8_S9_EEENSB_IJS8_SA_EEENS0_18inequality_wrapperIZN2at6native12_GLOBAL__N_124unique_dim_cuda_templateIhEESt5tupleIJNSF_6TensorESK_SK_EERKSK_lbbbEUlllE0_EEPmJS9_EEE10hipError_tPvRmT3_T4_T5_T6_T7_T9_mT8_P12ihipStream_tbDpT10_ENKUlT_T0_E_clISt17integral_constantIbLb1EES1A_EEDaS15_S16_EUlS15_E_NS1_11comp_targetILNS1_3genE0ELNS1_11target_archE4294967295ELNS1_3gpuE0ELNS1_3repE0EEENS1_30default_config_static_selectorELNS0_4arch9wavefront6targetE1EEEvT1_.kd
    .uniform_work_group_size: 1
    .uses_dynamic_stack: false
    .vgpr_count:     0
    .vgpr_spill_count: 0
    .wavefront_size: 64
  - .agpr_count:     0
    .args:
      - .offset:         0
        .size:           136
        .value_kind:     by_value
    .group_segment_fixed_size: 0
    .kernarg_segment_align: 8
    .kernarg_segment_size: 136
    .language:       OpenCL C
    .language_version:
      - 2
      - 0
    .max_flat_workgroup_size: 512
    .name:           _ZN7rocprim17ROCPRIM_400000_NS6detail17trampoline_kernelINS0_14default_configENS1_25partition_config_selectorILNS1_17partition_subalgoE9EllbEEZZNS1_14partition_implILS5_9ELb0ES3_jPlS8_PNS0_10empty_typeENS0_5tupleIJS8_S9_EEENSB_IJS8_SA_EEENS0_18inequality_wrapperIZN2at6native12_GLOBAL__N_124unique_dim_cuda_templateIhEESt5tupleIJNSF_6TensorESK_SK_EERKSK_lbbbEUlllE0_EEPmJS9_EEE10hipError_tPvRmT3_T4_T5_T6_T7_T9_mT8_P12ihipStream_tbDpT10_ENKUlT_T0_E_clISt17integral_constantIbLb1EES1A_EEDaS15_S16_EUlS15_E_NS1_11comp_targetILNS1_3genE5ELNS1_11target_archE942ELNS1_3gpuE9ELNS1_3repE0EEENS1_30default_config_static_selectorELNS0_4arch9wavefront6targetE1EEEvT1_
    .private_segment_fixed_size: 0
    .sgpr_count:     4
    .sgpr_spill_count: 0
    .symbol:         _ZN7rocprim17ROCPRIM_400000_NS6detail17trampoline_kernelINS0_14default_configENS1_25partition_config_selectorILNS1_17partition_subalgoE9EllbEEZZNS1_14partition_implILS5_9ELb0ES3_jPlS8_PNS0_10empty_typeENS0_5tupleIJS8_S9_EEENSB_IJS8_SA_EEENS0_18inequality_wrapperIZN2at6native12_GLOBAL__N_124unique_dim_cuda_templateIhEESt5tupleIJNSF_6TensorESK_SK_EERKSK_lbbbEUlllE0_EEPmJS9_EEE10hipError_tPvRmT3_T4_T5_T6_T7_T9_mT8_P12ihipStream_tbDpT10_ENKUlT_T0_E_clISt17integral_constantIbLb1EES1A_EEDaS15_S16_EUlS15_E_NS1_11comp_targetILNS1_3genE5ELNS1_11target_archE942ELNS1_3gpuE9ELNS1_3repE0EEENS1_30default_config_static_selectorELNS0_4arch9wavefront6targetE1EEEvT1_.kd
    .uniform_work_group_size: 1
    .uses_dynamic_stack: false
    .vgpr_count:     0
    .vgpr_spill_count: 0
    .wavefront_size: 64
  - .agpr_count:     0
    .args:
      - .offset:         0
        .size:           136
        .value_kind:     by_value
    .group_segment_fixed_size: 4236
    .kernarg_segment_align: 8
    .kernarg_segment_size: 136
    .language:       OpenCL C
    .language_version:
      - 2
      - 0
    .max_flat_workgroup_size: 128
    .name:           _ZN7rocprim17ROCPRIM_400000_NS6detail17trampoline_kernelINS0_14default_configENS1_25partition_config_selectorILNS1_17partition_subalgoE9EllbEEZZNS1_14partition_implILS5_9ELb0ES3_jPlS8_PNS0_10empty_typeENS0_5tupleIJS8_S9_EEENSB_IJS8_SA_EEENS0_18inequality_wrapperIZN2at6native12_GLOBAL__N_124unique_dim_cuda_templateIhEESt5tupleIJNSF_6TensorESK_SK_EERKSK_lbbbEUlllE0_EEPmJS9_EEE10hipError_tPvRmT3_T4_T5_T6_T7_T9_mT8_P12ihipStream_tbDpT10_ENKUlT_T0_E_clISt17integral_constantIbLb1EES1A_EEDaS15_S16_EUlS15_E_NS1_11comp_targetILNS1_3genE4ELNS1_11target_archE910ELNS1_3gpuE8ELNS1_3repE0EEENS1_30default_config_static_selectorELNS0_4arch9wavefront6targetE1EEEvT1_
    .private_segment_fixed_size: 0
    .sgpr_count:     56
    .sgpr_spill_count: 0
    .symbol:         _ZN7rocprim17ROCPRIM_400000_NS6detail17trampoline_kernelINS0_14default_configENS1_25partition_config_selectorILNS1_17partition_subalgoE9EllbEEZZNS1_14partition_implILS5_9ELb0ES3_jPlS8_PNS0_10empty_typeENS0_5tupleIJS8_S9_EEENSB_IJS8_SA_EEENS0_18inequality_wrapperIZN2at6native12_GLOBAL__N_124unique_dim_cuda_templateIhEESt5tupleIJNSF_6TensorESK_SK_EERKSK_lbbbEUlllE0_EEPmJS9_EEE10hipError_tPvRmT3_T4_T5_T6_T7_T9_mT8_P12ihipStream_tbDpT10_ENKUlT_T0_E_clISt17integral_constantIbLb1EES1A_EEDaS15_S16_EUlS15_E_NS1_11comp_targetILNS1_3genE4ELNS1_11target_archE910ELNS1_3gpuE8ELNS1_3repE0EEENS1_30default_config_static_selectorELNS0_4arch9wavefront6targetE1EEEvT1_.kd
    .uniform_work_group_size: 1
    .uses_dynamic_stack: false
    .vgpr_count:     50
    .vgpr_spill_count: 0
    .wavefront_size: 64
  - .agpr_count:     0
    .args:
      - .offset:         0
        .size:           136
        .value_kind:     by_value
    .group_segment_fixed_size: 0
    .kernarg_segment_align: 8
    .kernarg_segment_size: 136
    .language:       OpenCL C
    .language_version:
      - 2
      - 0
    .max_flat_workgroup_size: 128
    .name:           _ZN7rocprim17ROCPRIM_400000_NS6detail17trampoline_kernelINS0_14default_configENS1_25partition_config_selectorILNS1_17partition_subalgoE9EllbEEZZNS1_14partition_implILS5_9ELb0ES3_jPlS8_PNS0_10empty_typeENS0_5tupleIJS8_S9_EEENSB_IJS8_SA_EEENS0_18inequality_wrapperIZN2at6native12_GLOBAL__N_124unique_dim_cuda_templateIhEESt5tupleIJNSF_6TensorESK_SK_EERKSK_lbbbEUlllE0_EEPmJS9_EEE10hipError_tPvRmT3_T4_T5_T6_T7_T9_mT8_P12ihipStream_tbDpT10_ENKUlT_T0_E_clISt17integral_constantIbLb1EES1A_EEDaS15_S16_EUlS15_E_NS1_11comp_targetILNS1_3genE3ELNS1_11target_archE908ELNS1_3gpuE7ELNS1_3repE0EEENS1_30default_config_static_selectorELNS0_4arch9wavefront6targetE1EEEvT1_
    .private_segment_fixed_size: 0
    .sgpr_count:     4
    .sgpr_spill_count: 0
    .symbol:         _ZN7rocprim17ROCPRIM_400000_NS6detail17trampoline_kernelINS0_14default_configENS1_25partition_config_selectorILNS1_17partition_subalgoE9EllbEEZZNS1_14partition_implILS5_9ELb0ES3_jPlS8_PNS0_10empty_typeENS0_5tupleIJS8_S9_EEENSB_IJS8_SA_EEENS0_18inequality_wrapperIZN2at6native12_GLOBAL__N_124unique_dim_cuda_templateIhEESt5tupleIJNSF_6TensorESK_SK_EERKSK_lbbbEUlllE0_EEPmJS9_EEE10hipError_tPvRmT3_T4_T5_T6_T7_T9_mT8_P12ihipStream_tbDpT10_ENKUlT_T0_E_clISt17integral_constantIbLb1EES1A_EEDaS15_S16_EUlS15_E_NS1_11comp_targetILNS1_3genE3ELNS1_11target_archE908ELNS1_3gpuE7ELNS1_3repE0EEENS1_30default_config_static_selectorELNS0_4arch9wavefront6targetE1EEEvT1_.kd
    .uniform_work_group_size: 1
    .uses_dynamic_stack: false
    .vgpr_count:     0
    .vgpr_spill_count: 0
    .wavefront_size: 64
  - .agpr_count:     0
    .args:
      - .offset:         0
        .size:           136
        .value_kind:     by_value
    .group_segment_fixed_size: 0
    .kernarg_segment_align: 8
    .kernarg_segment_size: 136
    .language:       OpenCL C
    .language_version:
      - 2
      - 0
    .max_flat_workgroup_size: 192
    .name:           _ZN7rocprim17ROCPRIM_400000_NS6detail17trampoline_kernelINS0_14default_configENS1_25partition_config_selectorILNS1_17partition_subalgoE9EllbEEZZNS1_14partition_implILS5_9ELb0ES3_jPlS8_PNS0_10empty_typeENS0_5tupleIJS8_S9_EEENSB_IJS8_SA_EEENS0_18inequality_wrapperIZN2at6native12_GLOBAL__N_124unique_dim_cuda_templateIhEESt5tupleIJNSF_6TensorESK_SK_EERKSK_lbbbEUlllE0_EEPmJS9_EEE10hipError_tPvRmT3_T4_T5_T6_T7_T9_mT8_P12ihipStream_tbDpT10_ENKUlT_T0_E_clISt17integral_constantIbLb1EES1A_EEDaS15_S16_EUlS15_E_NS1_11comp_targetILNS1_3genE2ELNS1_11target_archE906ELNS1_3gpuE6ELNS1_3repE0EEENS1_30default_config_static_selectorELNS0_4arch9wavefront6targetE1EEEvT1_
    .private_segment_fixed_size: 0
    .sgpr_count:     4
    .sgpr_spill_count: 0
    .symbol:         _ZN7rocprim17ROCPRIM_400000_NS6detail17trampoline_kernelINS0_14default_configENS1_25partition_config_selectorILNS1_17partition_subalgoE9EllbEEZZNS1_14partition_implILS5_9ELb0ES3_jPlS8_PNS0_10empty_typeENS0_5tupleIJS8_S9_EEENSB_IJS8_SA_EEENS0_18inequality_wrapperIZN2at6native12_GLOBAL__N_124unique_dim_cuda_templateIhEESt5tupleIJNSF_6TensorESK_SK_EERKSK_lbbbEUlllE0_EEPmJS9_EEE10hipError_tPvRmT3_T4_T5_T6_T7_T9_mT8_P12ihipStream_tbDpT10_ENKUlT_T0_E_clISt17integral_constantIbLb1EES1A_EEDaS15_S16_EUlS15_E_NS1_11comp_targetILNS1_3genE2ELNS1_11target_archE906ELNS1_3gpuE6ELNS1_3repE0EEENS1_30default_config_static_selectorELNS0_4arch9wavefront6targetE1EEEvT1_.kd
    .uniform_work_group_size: 1
    .uses_dynamic_stack: false
    .vgpr_count:     0
    .vgpr_spill_count: 0
    .wavefront_size: 64
  - .agpr_count:     0
    .args:
      - .offset:         0
        .size:           136
        .value_kind:     by_value
    .group_segment_fixed_size: 0
    .kernarg_segment_align: 8
    .kernarg_segment_size: 136
    .language:       OpenCL C
    .language_version:
      - 2
      - 0
    .max_flat_workgroup_size: 384
    .name:           _ZN7rocprim17ROCPRIM_400000_NS6detail17trampoline_kernelINS0_14default_configENS1_25partition_config_selectorILNS1_17partition_subalgoE9EllbEEZZNS1_14partition_implILS5_9ELb0ES3_jPlS8_PNS0_10empty_typeENS0_5tupleIJS8_S9_EEENSB_IJS8_SA_EEENS0_18inequality_wrapperIZN2at6native12_GLOBAL__N_124unique_dim_cuda_templateIhEESt5tupleIJNSF_6TensorESK_SK_EERKSK_lbbbEUlllE0_EEPmJS9_EEE10hipError_tPvRmT3_T4_T5_T6_T7_T9_mT8_P12ihipStream_tbDpT10_ENKUlT_T0_E_clISt17integral_constantIbLb1EES1A_EEDaS15_S16_EUlS15_E_NS1_11comp_targetILNS1_3genE10ELNS1_11target_archE1200ELNS1_3gpuE4ELNS1_3repE0EEENS1_30default_config_static_selectorELNS0_4arch9wavefront6targetE1EEEvT1_
    .private_segment_fixed_size: 0
    .sgpr_count:     4
    .sgpr_spill_count: 0
    .symbol:         _ZN7rocprim17ROCPRIM_400000_NS6detail17trampoline_kernelINS0_14default_configENS1_25partition_config_selectorILNS1_17partition_subalgoE9EllbEEZZNS1_14partition_implILS5_9ELb0ES3_jPlS8_PNS0_10empty_typeENS0_5tupleIJS8_S9_EEENSB_IJS8_SA_EEENS0_18inequality_wrapperIZN2at6native12_GLOBAL__N_124unique_dim_cuda_templateIhEESt5tupleIJNSF_6TensorESK_SK_EERKSK_lbbbEUlllE0_EEPmJS9_EEE10hipError_tPvRmT3_T4_T5_T6_T7_T9_mT8_P12ihipStream_tbDpT10_ENKUlT_T0_E_clISt17integral_constantIbLb1EES1A_EEDaS15_S16_EUlS15_E_NS1_11comp_targetILNS1_3genE10ELNS1_11target_archE1200ELNS1_3gpuE4ELNS1_3repE0EEENS1_30default_config_static_selectorELNS0_4arch9wavefront6targetE1EEEvT1_.kd
    .uniform_work_group_size: 1
    .uses_dynamic_stack: false
    .vgpr_count:     0
    .vgpr_spill_count: 0
    .wavefront_size: 64
  - .agpr_count:     0
    .args:
      - .offset:         0
        .size:           136
        .value_kind:     by_value
    .group_segment_fixed_size: 0
    .kernarg_segment_align: 8
    .kernarg_segment_size: 136
    .language:       OpenCL C
    .language_version:
      - 2
      - 0
    .max_flat_workgroup_size: 512
    .name:           _ZN7rocprim17ROCPRIM_400000_NS6detail17trampoline_kernelINS0_14default_configENS1_25partition_config_selectorILNS1_17partition_subalgoE9EllbEEZZNS1_14partition_implILS5_9ELb0ES3_jPlS8_PNS0_10empty_typeENS0_5tupleIJS8_S9_EEENSB_IJS8_SA_EEENS0_18inequality_wrapperIZN2at6native12_GLOBAL__N_124unique_dim_cuda_templateIhEESt5tupleIJNSF_6TensorESK_SK_EERKSK_lbbbEUlllE0_EEPmJS9_EEE10hipError_tPvRmT3_T4_T5_T6_T7_T9_mT8_P12ihipStream_tbDpT10_ENKUlT_T0_E_clISt17integral_constantIbLb1EES1A_EEDaS15_S16_EUlS15_E_NS1_11comp_targetILNS1_3genE9ELNS1_11target_archE1100ELNS1_3gpuE3ELNS1_3repE0EEENS1_30default_config_static_selectorELNS0_4arch9wavefront6targetE1EEEvT1_
    .private_segment_fixed_size: 0
    .sgpr_count:     4
    .sgpr_spill_count: 0
    .symbol:         _ZN7rocprim17ROCPRIM_400000_NS6detail17trampoline_kernelINS0_14default_configENS1_25partition_config_selectorILNS1_17partition_subalgoE9EllbEEZZNS1_14partition_implILS5_9ELb0ES3_jPlS8_PNS0_10empty_typeENS0_5tupleIJS8_S9_EEENSB_IJS8_SA_EEENS0_18inequality_wrapperIZN2at6native12_GLOBAL__N_124unique_dim_cuda_templateIhEESt5tupleIJNSF_6TensorESK_SK_EERKSK_lbbbEUlllE0_EEPmJS9_EEE10hipError_tPvRmT3_T4_T5_T6_T7_T9_mT8_P12ihipStream_tbDpT10_ENKUlT_T0_E_clISt17integral_constantIbLb1EES1A_EEDaS15_S16_EUlS15_E_NS1_11comp_targetILNS1_3genE9ELNS1_11target_archE1100ELNS1_3gpuE3ELNS1_3repE0EEENS1_30default_config_static_selectorELNS0_4arch9wavefront6targetE1EEEvT1_.kd
    .uniform_work_group_size: 1
    .uses_dynamic_stack: false
    .vgpr_count:     0
    .vgpr_spill_count: 0
    .wavefront_size: 64
  - .agpr_count:     0
    .args:
      - .offset:         0
        .size:           136
        .value_kind:     by_value
    .group_segment_fixed_size: 0
    .kernarg_segment_align: 8
    .kernarg_segment_size: 136
    .language:       OpenCL C
    .language_version:
      - 2
      - 0
    .max_flat_workgroup_size: 512
    .name:           _ZN7rocprim17ROCPRIM_400000_NS6detail17trampoline_kernelINS0_14default_configENS1_25partition_config_selectorILNS1_17partition_subalgoE9EllbEEZZNS1_14partition_implILS5_9ELb0ES3_jPlS8_PNS0_10empty_typeENS0_5tupleIJS8_S9_EEENSB_IJS8_SA_EEENS0_18inequality_wrapperIZN2at6native12_GLOBAL__N_124unique_dim_cuda_templateIhEESt5tupleIJNSF_6TensorESK_SK_EERKSK_lbbbEUlllE0_EEPmJS9_EEE10hipError_tPvRmT3_T4_T5_T6_T7_T9_mT8_P12ihipStream_tbDpT10_ENKUlT_T0_E_clISt17integral_constantIbLb1EES1A_EEDaS15_S16_EUlS15_E_NS1_11comp_targetILNS1_3genE8ELNS1_11target_archE1030ELNS1_3gpuE2ELNS1_3repE0EEENS1_30default_config_static_selectorELNS0_4arch9wavefront6targetE1EEEvT1_
    .private_segment_fixed_size: 0
    .sgpr_count:     4
    .sgpr_spill_count: 0
    .symbol:         _ZN7rocprim17ROCPRIM_400000_NS6detail17trampoline_kernelINS0_14default_configENS1_25partition_config_selectorILNS1_17partition_subalgoE9EllbEEZZNS1_14partition_implILS5_9ELb0ES3_jPlS8_PNS0_10empty_typeENS0_5tupleIJS8_S9_EEENSB_IJS8_SA_EEENS0_18inequality_wrapperIZN2at6native12_GLOBAL__N_124unique_dim_cuda_templateIhEESt5tupleIJNSF_6TensorESK_SK_EERKSK_lbbbEUlllE0_EEPmJS9_EEE10hipError_tPvRmT3_T4_T5_T6_T7_T9_mT8_P12ihipStream_tbDpT10_ENKUlT_T0_E_clISt17integral_constantIbLb1EES1A_EEDaS15_S16_EUlS15_E_NS1_11comp_targetILNS1_3genE8ELNS1_11target_archE1030ELNS1_3gpuE2ELNS1_3repE0EEENS1_30default_config_static_selectorELNS0_4arch9wavefront6targetE1EEEvT1_.kd
    .uniform_work_group_size: 1
    .uses_dynamic_stack: false
    .vgpr_count:     0
    .vgpr_spill_count: 0
    .wavefront_size: 64
  - .agpr_count:     0
    .args:
      - .offset:         0
        .size:           120
        .value_kind:     by_value
    .group_segment_fixed_size: 0
    .kernarg_segment_align: 8
    .kernarg_segment_size: 120
    .language:       OpenCL C
    .language_version:
      - 2
      - 0
    .max_flat_workgroup_size: 128
    .name:           _ZN7rocprim17ROCPRIM_400000_NS6detail17trampoline_kernelINS0_14default_configENS1_25partition_config_selectorILNS1_17partition_subalgoE9EllbEEZZNS1_14partition_implILS5_9ELb0ES3_jPlS8_PNS0_10empty_typeENS0_5tupleIJS8_S9_EEENSB_IJS8_SA_EEENS0_18inequality_wrapperIZN2at6native12_GLOBAL__N_124unique_dim_cuda_templateIhEESt5tupleIJNSF_6TensorESK_SK_EERKSK_lbbbEUlllE0_EEPmJS9_EEE10hipError_tPvRmT3_T4_T5_T6_T7_T9_mT8_P12ihipStream_tbDpT10_ENKUlT_T0_E_clISt17integral_constantIbLb1EES19_IbLb0EEEEDaS15_S16_EUlS15_E_NS1_11comp_targetILNS1_3genE0ELNS1_11target_archE4294967295ELNS1_3gpuE0ELNS1_3repE0EEENS1_30default_config_static_selectorELNS0_4arch9wavefront6targetE1EEEvT1_
    .private_segment_fixed_size: 0
    .sgpr_count:     4
    .sgpr_spill_count: 0
    .symbol:         _ZN7rocprim17ROCPRIM_400000_NS6detail17trampoline_kernelINS0_14default_configENS1_25partition_config_selectorILNS1_17partition_subalgoE9EllbEEZZNS1_14partition_implILS5_9ELb0ES3_jPlS8_PNS0_10empty_typeENS0_5tupleIJS8_S9_EEENSB_IJS8_SA_EEENS0_18inequality_wrapperIZN2at6native12_GLOBAL__N_124unique_dim_cuda_templateIhEESt5tupleIJNSF_6TensorESK_SK_EERKSK_lbbbEUlllE0_EEPmJS9_EEE10hipError_tPvRmT3_T4_T5_T6_T7_T9_mT8_P12ihipStream_tbDpT10_ENKUlT_T0_E_clISt17integral_constantIbLb1EES19_IbLb0EEEEDaS15_S16_EUlS15_E_NS1_11comp_targetILNS1_3genE0ELNS1_11target_archE4294967295ELNS1_3gpuE0ELNS1_3repE0EEENS1_30default_config_static_selectorELNS0_4arch9wavefront6targetE1EEEvT1_.kd
    .uniform_work_group_size: 1
    .uses_dynamic_stack: false
    .vgpr_count:     0
    .vgpr_spill_count: 0
    .wavefront_size: 64
  - .agpr_count:     0
    .args:
      - .offset:         0
        .size:           120
        .value_kind:     by_value
    .group_segment_fixed_size: 0
    .kernarg_segment_align: 8
    .kernarg_segment_size: 120
    .language:       OpenCL C
    .language_version:
      - 2
      - 0
    .max_flat_workgroup_size: 512
    .name:           _ZN7rocprim17ROCPRIM_400000_NS6detail17trampoline_kernelINS0_14default_configENS1_25partition_config_selectorILNS1_17partition_subalgoE9EllbEEZZNS1_14partition_implILS5_9ELb0ES3_jPlS8_PNS0_10empty_typeENS0_5tupleIJS8_S9_EEENSB_IJS8_SA_EEENS0_18inequality_wrapperIZN2at6native12_GLOBAL__N_124unique_dim_cuda_templateIhEESt5tupleIJNSF_6TensorESK_SK_EERKSK_lbbbEUlllE0_EEPmJS9_EEE10hipError_tPvRmT3_T4_T5_T6_T7_T9_mT8_P12ihipStream_tbDpT10_ENKUlT_T0_E_clISt17integral_constantIbLb1EES19_IbLb0EEEEDaS15_S16_EUlS15_E_NS1_11comp_targetILNS1_3genE5ELNS1_11target_archE942ELNS1_3gpuE9ELNS1_3repE0EEENS1_30default_config_static_selectorELNS0_4arch9wavefront6targetE1EEEvT1_
    .private_segment_fixed_size: 0
    .sgpr_count:     4
    .sgpr_spill_count: 0
    .symbol:         _ZN7rocprim17ROCPRIM_400000_NS6detail17trampoline_kernelINS0_14default_configENS1_25partition_config_selectorILNS1_17partition_subalgoE9EllbEEZZNS1_14partition_implILS5_9ELb0ES3_jPlS8_PNS0_10empty_typeENS0_5tupleIJS8_S9_EEENSB_IJS8_SA_EEENS0_18inequality_wrapperIZN2at6native12_GLOBAL__N_124unique_dim_cuda_templateIhEESt5tupleIJNSF_6TensorESK_SK_EERKSK_lbbbEUlllE0_EEPmJS9_EEE10hipError_tPvRmT3_T4_T5_T6_T7_T9_mT8_P12ihipStream_tbDpT10_ENKUlT_T0_E_clISt17integral_constantIbLb1EES19_IbLb0EEEEDaS15_S16_EUlS15_E_NS1_11comp_targetILNS1_3genE5ELNS1_11target_archE942ELNS1_3gpuE9ELNS1_3repE0EEENS1_30default_config_static_selectorELNS0_4arch9wavefront6targetE1EEEvT1_.kd
    .uniform_work_group_size: 1
    .uses_dynamic_stack: false
    .vgpr_count:     0
    .vgpr_spill_count: 0
    .wavefront_size: 64
  - .agpr_count:     0
    .args:
      - .offset:         0
        .size:           120
        .value_kind:     by_value
    .group_segment_fixed_size: 4236
    .kernarg_segment_align: 8
    .kernarg_segment_size: 120
    .language:       OpenCL C
    .language_version:
      - 2
      - 0
    .max_flat_workgroup_size: 128
    .name:           _ZN7rocprim17ROCPRIM_400000_NS6detail17trampoline_kernelINS0_14default_configENS1_25partition_config_selectorILNS1_17partition_subalgoE9EllbEEZZNS1_14partition_implILS5_9ELb0ES3_jPlS8_PNS0_10empty_typeENS0_5tupleIJS8_S9_EEENSB_IJS8_SA_EEENS0_18inequality_wrapperIZN2at6native12_GLOBAL__N_124unique_dim_cuda_templateIhEESt5tupleIJNSF_6TensorESK_SK_EERKSK_lbbbEUlllE0_EEPmJS9_EEE10hipError_tPvRmT3_T4_T5_T6_T7_T9_mT8_P12ihipStream_tbDpT10_ENKUlT_T0_E_clISt17integral_constantIbLb1EES19_IbLb0EEEEDaS15_S16_EUlS15_E_NS1_11comp_targetILNS1_3genE4ELNS1_11target_archE910ELNS1_3gpuE8ELNS1_3repE0EEENS1_30default_config_static_selectorELNS0_4arch9wavefront6targetE1EEEvT1_
    .private_segment_fixed_size: 0
    .sgpr_count:     50
    .sgpr_spill_count: 0
    .symbol:         _ZN7rocprim17ROCPRIM_400000_NS6detail17trampoline_kernelINS0_14default_configENS1_25partition_config_selectorILNS1_17partition_subalgoE9EllbEEZZNS1_14partition_implILS5_9ELb0ES3_jPlS8_PNS0_10empty_typeENS0_5tupleIJS8_S9_EEENSB_IJS8_SA_EEENS0_18inequality_wrapperIZN2at6native12_GLOBAL__N_124unique_dim_cuda_templateIhEESt5tupleIJNSF_6TensorESK_SK_EERKSK_lbbbEUlllE0_EEPmJS9_EEE10hipError_tPvRmT3_T4_T5_T6_T7_T9_mT8_P12ihipStream_tbDpT10_ENKUlT_T0_E_clISt17integral_constantIbLb1EES19_IbLb0EEEEDaS15_S16_EUlS15_E_NS1_11comp_targetILNS1_3genE4ELNS1_11target_archE910ELNS1_3gpuE8ELNS1_3repE0EEENS1_30default_config_static_selectorELNS0_4arch9wavefront6targetE1EEEvT1_.kd
    .uniform_work_group_size: 1
    .uses_dynamic_stack: false
    .vgpr_count:     50
    .vgpr_spill_count: 0
    .wavefront_size: 64
  - .agpr_count:     0
    .args:
      - .offset:         0
        .size:           120
        .value_kind:     by_value
    .group_segment_fixed_size: 0
    .kernarg_segment_align: 8
    .kernarg_segment_size: 120
    .language:       OpenCL C
    .language_version:
      - 2
      - 0
    .max_flat_workgroup_size: 128
    .name:           _ZN7rocprim17ROCPRIM_400000_NS6detail17trampoline_kernelINS0_14default_configENS1_25partition_config_selectorILNS1_17partition_subalgoE9EllbEEZZNS1_14partition_implILS5_9ELb0ES3_jPlS8_PNS0_10empty_typeENS0_5tupleIJS8_S9_EEENSB_IJS8_SA_EEENS0_18inequality_wrapperIZN2at6native12_GLOBAL__N_124unique_dim_cuda_templateIhEESt5tupleIJNSF_6TensorESK_SK_EERKSK_lbbbEUlllE0_EEPmJS9_EEE10hipError_tPvRmT3_T4_T5_T6_T7_T9_mT8_P12ihipStream_tbDpT10_ENKUlT_T0_E_clISt17integral_constantIbLb1EES19_IbLb0EEEEDaS15_S16_EUlS15_E_NS1_11comp_targetILNS1_3genE3ELNS1_11target_archE908ELNS1_3gpuE7ELNS1_3repE0EEENS1_30default_config_static_selectorELNS0_4arch9wavefront6targetE1EEEvT1_
    .private_segment_fixed_size: 0
    .sgpr_count:     4
    .sgpr_spill_count: 0
    .symbol:         _ZN7rocprim17ROCPRIM_400000_NS6detail17trampoline_kernelINS0_14default_configENS1_25partition_config_selectorILNS1_17partition_subalgoE9EllbEEZZNS1_14partition_implILS5_9ELb0ES3_jPlS8_PNS0_10empty_typeENS0_5tupleIJS8_S9_EEENSB_IJS8_SA_EEENS0_18inequality_wrapperIZN2at6native12_GLOBAL__N_124unique_dim_cuda_templateIhEESt5tupleIJNSF_6TensorESK_SK_EERKSK_lbbbEUlllE0_EEPmJS9_EEE10hipError_tPvRmT3_T4_T5_T6_T7_T9_mT8_P12ihipStream_tbDpT10_ENKUlT_T0_E_clISt17integral_constantIbLb1EES19_IbLb0EEEEDaS15_S16_EUlS15_E_NS1_11comp_targetILNS1_3genE3ELNS1_11target_archE908ELNS1_3gpuE7ELNS1_3repE0EEENS1_30default_config_static_selectorELNS0_4arch9wavefront6targetE1EEEvT1_.kd
    .uniform_work_group_size: 1
    .uses_dynamic_stack: false
    .vgpr_count:     0
    .vgpr_spill_count: 0
    .wavefront_size: 64
  - .agpr_count:     0
    .args:
      - .offset:         0
        .size:           120
        .value_kind:     by_value
    .group_segment_fixed_size: 0
    .kernarg_segment_align: 8
    .kernarg_segment_size: 120
    .language:       OpenCL C
    .language_version:
      - 2
      - 0
    .max_flat_workgroup_size: 192
    .name:           _ZN7rocprim17ROCPRIM_400000_NS6detail17trampoline_kernelINS0_14default_configENS1_25partition_config_selectorILNS1_17partition_subalgoE9EllbEEZZNS1_14partition_implILS5_9ELb0ES3_jPlS8_PNS0_10empty_typeENS0_5tupleIJS8_S9_EEENSB_IJS8_SA_EEENS0_18inequality_wrapperIZN2at6native12_GLOBAL__N_124unique_dim_cuda_templateIhEESt5tupleIJNSF_6TensorESK_SK_EERKSK_lbbbEUlllE0_EEPmJS9_EEE10hipError_tPvRmT3_T4_T5_T6_T7_T9_mT8_P12ihipStream_tbDpT10_ENKUlT_T0_E_clISt17integral_constantIbLb1EES19_IbLb0EEEEDaS15_S16_EUlS15_E_NS1_11comp_targetILNS1_3genE2ELNS1_11target_archE906ELNS1_3gpuE6ELNS1_3repE0EEENS1_30default_config_static_selectorELNS0_4arch9wavefront6targetE1EEEvT1_
    .private_segment_fixed_size: 0
    .sgpr_count:     4
    .sgpr_spill_count: 0
    .symbol:         _ZN7rocprim17ROCPRIM_400000_NS6detail17trampoline_kernelINS0_14default_configENS1_25partition_config_selectorILNS1_17partition_subalgoE9EllbEEZZNS1_14partition_implILS5_9ELb0ES3_jPlS8_PNS0_10empty_typeENS0_5tupleIJS8_S9_EEENSB_IJS8_SA_EEENS0_18inequality_wrapperIZN2at6native12_GLOBAL__N_124unique_dim_cuda_templateIhEESt5tupleIJNSF_6TensorESK_SK_EERKSK_lbbbEUlllE0_EEPmJS9_EEE10hipError_tPvRmT3_T4_T5_T6_T7_T9_mT8_P12ihipStream_tbDpT10_ENKUlT_T0_E_clISt17integral_constantIbLb1EES19_IbLb0EEEEDaS15_S16_EUlS15_E_NS1_11comp_targetILNS1_3genE2ELNS1_11target_archE906ELNS1_3gpuE6ELNS1_3repE0EEENS1_30default_config_static_selectorELNS0_4arch9wavefront6targetE1EEEvT1_.kd
    .uniform_work_group_size: 1
    .uses_dynamic_stack: false
    .vgpr_count:     0
    .vgpr_spill_count: 0
    .wavefront_size: 64
  - .agpr_count:     0
    .args:
      - .offset:         0
        .size:           120
        .value_kind:     by_value
    .group_segment_fixed_size: 0
    .kernarg_segment_align: 8
    .kernarg_segment_size: 120
    .language:       OpenCL C
    .language_version:
      - 2
      - 0
    .max_flat_workgroup_size: 384
    .name:           _ZN7rocprim17ROCPRIM_400000_NS6detail17trampoline_kernelINS0_14default_configENS1_25partition_config_selectorILNS1_17partition_subalgoE9EllbEEZZNS1_14partition_implILS5_9ELb0ES3_jPlS8_PNS0_10empty_typeENS0_5tupleIJS8_S9_EEENSB_IJS8_SA_EEENS0_18inequality_wrapperIZN2at6native12_GLOBAL__N_124unique_dim_cuda_templateIhEESt5tupleIJNSF_6TensorESK_SK_EERKSK_lbbbEUlllE0_EEPmJS9_EEE10hipError_tPvRmT3_T4_T5_T6_T7_T9_mT8_P12ihipStream_tbDpT10_ENKUlT_T0_E_clISt17integral_constantIbLb1EES19_IbLb0EEEEDaS15_S16_EUlS15_E_NS1_11comp_targetILNS1_3genE10ELNS1_11target_archE1200ELNS1_3gpuE4ELNS1_3repE0EEENS1_30default_config_static_selectorELNS0_4arch9wavefront6targetE1EEEvT1_
    .private_segment_fixed_size: 0
    .sgpr_count:     4
    .sgpr_spill_count: 0
    .symbol:         _ZN7rocprim17ROCPRIM_400000_NS6detail17trampoline_kernelINS0_14default_configENS1_25partition_config_selectorILNS1_17partition_subalgoE9EllbEEZZNS1_14partition_implILS5_9ELb0ES3_jPlS8_PNS0_10empty_typeENS0_5tupleIJS8_S9_EEENSB_IJS8_SA_EEENS0_18inequality_wrapperIZN2at6native12_GLOBAL__N_124unique_dim_cuda_templateIhEESt5tupleIJNSF_6TensorESK_SK_EERKSK_lbbbEUlllE0_EEPmJS9_EEE10hipError_tPvRmT3_T4_T5_T6_T7_T9_mT8_P12ihipStream_tbDpT10_ENKUlT_T0_E_clISt17integral_constantIbLb1EES19_IbLb0EEEEDaS15_S16_EUlS15_E_NS1_11comp_targetILNS1_3genE10ELNS1_11target_archE1200ELNS1_3gpuE4ELNS1_3repE0EEENS1_30default_config_static_selectorELNS0_4arch9wavefront6targetE1EEEvT1_.kd
    .uniform_work_group_size: 1
    .uses_dynamic_stack: false
    .vgpr_count:     0
    .vgpr_spill_count: 0
    .wavefront_size: 64
  - .agpr_count:     0
    .args:
      - .offset:         0
        .size:           120
        .value_kind:     by_value
    .group_segment_fixed_size: 0
    .kernarg_segment_align: 8
    .kernarg_segment_size: 120
    .language:       OpenCL C
    .language_version:
      - 2
      - 0
    .max_flat_workgroup_size: 512
    .name:           _ZN7rocprim17ROCPRIM_400000_NS6detail17trampoline_kernelINS0_14default_configENS1_25partition_config_selectorILNS1_17partition_subalgoE9EllbEEZZNS1_14partition_implILS5_9ELb0ES3_jPlS8_PNS0_10empty_typeENS0_5tupleIJS8_S9_EEENSB_IJS8_SA_EEENS0_18inequality_wrapperIZN2at6native12_GLOBAL__N_124unique_dim_cuda_templateIhEESt5tupleIJNSF_6TensorESK_SK_EERKSK_lbbbEUlllE0_EEPmJS9_EEE10hipError_tPvRmT3_T4_T5_T6_T7_T9_mT8_P12ihipStream_tbDpT10_ENKUlT_T0_E_clISt17integral_constantIbLb1EES19_IbLb0EEEEDaS15_S16_EUlS15_E_NS1_11comp_targetILNS1_3genE9ELNS1_11target_archE1100ELNS1_3gpuE3ELNS1_3repE0EEENS1_30default_config_static_selectorELNS0_4arch9wavefront6targetE1EEEvT1_
    .private_segment_fixed_size: 0
    .sgpr_count:     4
    .sgpr_spill_count: 0
    .symbol:         _ZN7rocprim17ROCPRIM_400000_NS6detail17trampoline_kernelINS0_14default_configENS1_25partition_config_selectorILNS1_17partition_subalgoE9EllbEEZZNS1_14partition_implILS5_9ELb0ES3_jPlS8_PNS0_10empty_typeENS0_5tupleIJS8_S9_EEENSB_IJS8_SA_EEENS0_18inequality_wrapperIZN2at6native12_GLOBAL__N_124unique_dim_cuda_templateIhEESt5tupleIJNSF_6TensorESK_SK_EERKSK_lbbbEUlllE0_EEPmJS9_EEE10hipError_tPvRmT3_T4_T5_T6_T7_T9_mT8_P12ihipStream_tbDpT10_ENKUlT_T0_E_clISt17integral_constantIbLb1EES19_IbLb0EEEEDaS15_S16_EUlS15_E_NS1_11comp_targetILNS1_3genE9ELNS1_11target_archE1100ELNS1_3gpuE3ELNS1_3repE0EEENS1_30default_config_static_selectorELNS0_4arch9wavefront6targetE1EEEvT1_.kd
    .uniform_work_group_size: 1
    .uses_dynamic_stack: false
    .vgpr_count:     0
    .vgpr_spill_count: 0
    .wavefront_size: 64
  - .agpr_count:     0
    .args:
      - .offset:         0
        .size:           120
        .value_kind:     by_value
    .group_segment_fixed_size: 0
    .kernarg_segment_align: 8
    .kernarg_segment_size: 120
    .language:       OpenCL C
    .language_version:
      - 2
      - 0
    .max_flat_workgroup_size: 512
    .name:           _ZN7rocprim17ROCPRIM_400000_NS6detail17trampoline_kernelINS0_14default_configENS1_25partition_config_selectorILNS1_17partition_subalgoE9EllbEEZZNS1_14partition_implILS5_9ELb0ES3_jPlS8_PNS0_10empty_typeENS0_5tupleIJS8_S9_EEENSB_IJS8_SA_EEENS0_18inequality_wrapperIZN2at6native12_GLOBAL__N_124unique_dim_cuda_templateIhEESt5tupleIJNSF_6TensorESK_SK_EERKSK_lbbbEUlllE0_EEPmJS9_EEE10hipError_tPvRmT3_T4_T5_T6_T7_T9_mT8_P12ihipStream_tbDpT10_ENKUlT_T0_E_clISt17integral_constantIbLb1EES19_IbLb0EEEEDaS15_S16_EUlS15_E_NS1_11comp_targetILNS1_3genE8ELNS1_11target_archE1030ELNS1_3gpuE2ELNS1_3repE0EEENS1_30default_config_static_selectorELNS0_4arch9wavefront6targetE1EEEvT1_
    .private_segment_fixed_size: 0
    .sgpr_count:     4
    .sgpr_spill_count: 0
    .symbol:         _ZN7rocprim17ROCPRIM_400000_NS6detail17trampoline_kernelINS0_14default_configENS1_25partition_config_selectorILNS1_17partition_subalgoE9EllbEEZZNS1_14partition_implILS5_9ELb0ES3_jPlS8_PNS0_10empty_typeENS0_5tupleIJS8_S9_EEENSB_IJS8_SA_EEENS0_18inequality_wrapperIZN2at6native12_GLOBAL__N_124unique_dim_cuda_templateIhEESt5tupleIJNSF_6TensorESK_SK_EERKSK_lbbbEUlllE0_EEPmJS9_EEE10hipError_tPvRmT3_T4_T5_T6_T7_T9_mT8_P12ihipStream_tbDpT10_ENKUlT_T0_E_clISt17integral_constantIbLb1EES19_IbLb0EEEEDaS15_S16_EUlS15_E_NS1_11comp_targetILNS1_3genE8ELNS1_11target_archE1030ELNS1_3gpuE2ELNS1_3repE0EEENS1_30default_config_static_selectorELNS0_4arch9wavefront6targetE1EEEvT1_.kd
    .uniform_work_group_size: 1
    .uses_dynamic_stack: false
    .vgpr_count:     0
    .vgpr_spill_count: 0
    .wavefront_size: 64
  - .agpr_count:     0
    .args:
      - .offset:         0
        .size:           136
        .value_kind:     by_value
    .group_segment_fixed_size: 0
    .kernarg_segment_align: 8
    .kernarg_segment_size: 136
    .language:       OpenCL C
    .language_version:
      - 2
      - 0
    .max_flat_workgroup_size: 128
    .name:           _ZN7rocprim17ROCPRIM_400000_NS6detail17trampoline_kernelINS0_14default_configENS1_25partition_config_selectorILNS1_17partition_subalgoE9EllbEEZZNS1_14partition_implILS5_9ELb0ES3_jPlS8_PNS0_10empty_typeENS0_5tupleIJS8_S9_EEENSB_IJS8_SA_EEENS0_18inequality_wrapperIZN2at6native12_GLOBAL__N_124unique_dim_cuda_templateIhEESt5tupleIJNSF_6TensorESK_SK_EERKSK_lbbbEUlllE0_EEPmJS9_EEE10hipError_tPvRmT3_T4_T5_T6_T7_T9_mT8_P12ihipStream_tbDpT10_ENKUlT_T0_E_clISt17integral_constantIbLb0EES19_IbLb1EEEEDaS15_S16_EUlS15_E_NS1_11comp_targetILNS1_3genE0ELNS1_11target_archE4294967295ELNS1_3gpuE0ELNS1_3repE0EEENS1_30default_config_static_selectorELNS0_4arch9wavefront6targetE1EEEvT1_
    .private_segment_fixed_size: 0
    .sgpr_count:     4
    .sgpr_spill_count: 0
    .symbol:         _ZN7rocprim17ROCPRIM_400000_NS6detail17trampoline_kernelINS0_14default_configENS1_25partition_config_selectorILNS1_17partition_subalgoE9EllbEEZZNS1_14partition_implILS5_9ELb0ES3_jPlS8_PNS0_10empty_typeENS0_5tupleIJS8_S9_EEENSB_IJS8_SA_EEENS0_18inequality_wrapperIZN2at6native12_GLOBAL__N_124unique_dim_cuda_templateIhEESt5tupleIJNSF_6TensorESK_SK_EERKSK_lbbbEUlllE0_EEPmJS9_EEE10hipError_tPvRmT3_T4_T5_T6_T7_T9_mT8_P12ihipStream_tbDpT10_ENKUlT_T0_E_clISt17integral_constantIbLb0EES19_IbLb1EEEEDaS15_S16_EUlS15_E_NS1_11comp_targetILNS1_3genE0ELNS1_11target_archE4294967295ELNS1_3gpuE0ELNS1_3repE0EEENS1_30default_config_static_selectorELNS0_4arch9wavefront6targetE1EEEvT1_.kd
    .uniform_work_group_size: 1
    .uses_dynamic_stack: false
    .vgpr_count:     0
    .vgpr_spill_count: 0
    .wavefront_size: 64
  - .agpr_count:     0
    .args:
      - .offset:         0
        .size:           136
        .value_kind:     by_value
    .group_segment_fixed_size: 0
    .kernarg_segment_align: 8
    .kernarg_segment_size: 136
    .language:       OpenCL C
    .language_version:
      - 2
      - 0
    .max_flat_workgroup_size: 512
    .name:           _ZN7rocprim17ROCPRIM_400000_NS6detail17trampoline_kernelINS0_14default_configENS1_25partition_config_selectorILNS1_17partition_subalgoE9EllbEEZZNS1_14partition_implILS5_9ELb0ES3_jPlS8_PNS0_10empty_typeENS0_5tupleIJS8_S9_EEENSB_IJS8_SA_EEENS0_18inequality_wrapperIZN2at6native12_GLOBAL__N_124unique_dim_cuda_templateIhEESt5tupleIJNSF_6TensorESK_SK_EERKSK_lbbbEUlllE0_EEPmJS9_EEE10hipError_tPvRmT3_T4_T5_T6_T7_T9_mT8_P12ihipStream_tbDpT10_ENKUlT_T0_E_clISt17integral_constantIbLb0EES19_IbLb1EEEEDaS15_S16_EUlS15_E_NS1_11comp_targetILNS1_3genE5ELNS1_11target_archE942ELNS1_3gpuE9ELNS1_3repE0EEENS1_30default_config_static_selectorELNS0_4arch9wavefront6targetE1EEEvT1_
    .private_segment_fixed_size: 0
    .sgpr_count:     4
    .sgpr_spill_count: 0
    .symbol:         _ZN7rocprim17ROCPRIM_400000_NS6detail17trampoline_kernelINS0_14default_configENS1_25partition_config_selectorILNS1_17partition_subalgoE9EllbEEZZNS1_14partition_implILS5_9ELb0ES3_jPlS8_PNS0_10empty_typeENS0_5tupleIJS8_S9_EEENSB_IJS8_SA_EEENS0_18inequality_wrapperIZN2at6native12_GLOBAL__N_124unique_dim_cuda_templateIhEESt5tupleIJNSF_6TensorESK_SK_EERKSK_lbbbEUlllE0_EEPmJS9_EEE10hipError_tPvRmT3_T4_T5_T6_T7_T9_mT8_P12ihipStream_tbDpT10_ENKUlT_T0_E_clISt17integral_constantIbLb0EES19_IbLb1EEEEDaS15_S16_EUlS15_E_NS1_11comp_targetILNS1_3genE5ELNS1_11target_archE942ELNS1_3gpuE9ELNS1_3repE0EEENS1_30default_config_static_selectorELNS0_4arch9wavefront6targetE1EEEvT1_.kd
    .uniform_work_group_size: 1
    .uses_dynamic_stack: false
    .vgpr_count:     0
    .vgpr_spill_count: 0
    .wavefront_size: 64
  - .agpr_count:     0
    .args:
      - .offset:         0
        .size:           136
        .value_kind:     by_value
    .group_segment_fixed_size: 4236
    .kernarg_segment_align: 8
    .kernarg_segment_size: 136
    .language:       OpenCL C
    .language_version:
      - 2
      - 0
    .max_flat_workgroup_size: 128
    .name:           _ZN7rocprim17ROCPRIM_400000_NS6detail17trampoline_kernelINS0_14default_configENS1_25partition_config_selectorILNS1_17partition_subalgoE9EllbEEZZNS1_14partition_implILS5_9ELb0ES3_jPlS8_PNS0_10empty_typeENS0_5tupleIJS8_S9_EEENSB_IJS8_SA_EEENS0_18inequality_wrapperIZN2at6native12_GLOBAL__N_124unique_dim_cuda_templateIhEESt5tupleIJNSF_6TensorESK_SK_EERKSK_lbbbEUlllE0_EEPmJS9_EEE10hipError_tPvRmT3_T4_T5_T6_T7_T9_mT8_P12ihipStream_tbDpT10_ENKUlT_T0_E_clISt17integral_constantIbLb0EES19_IbLb1EEEEDaS15_S16_EUlS15_E_NS1_11comp_targetILNS1_3genE4ELNS1_11target_archE910ELNS1_3gpuE8ELNS1_3repE0EEENS1_30default_config_static_selectorELNS0_4arch9wavefront6targetE1EEEvT1_
    .private_segment_fixed_size: 0
    .sgpr_count:     56
    .sgpr_spill_count: 0
    .symbol:         _ZN7rocprim17ROCPRIM_400000_NS6detail17trampoline_kernelINS0_14default_configENS1_25partition_config_selectorILNS1_17partition_subalgoE9EllbEEZZNS1_14partition_implILS5_9ELb0ES3_jPlS8_PNS0_10empty_typeENS0_5tupleIJS8_S9_EEENSB_IJS8_SA_EEENS0_18inequality_wrapperIZN2at6native12_GLOBAL__N_124unique_dim_cuda_templateIhEESt5tupleIJNSF_6TensorESK_SK_EERKSK_lbbbEUlllE0_EEPmJS9_EEE10hipError_tPvRmT3_T4_T5_T6_T7_T9_mT8_P12ihipStream_tbDpT10_ENKUlT_T0_E_clISt17integral_constantIbLb0EES19_IbLb1EEEEDaS15_S16_EUlS15_E_NS1_11comp_targetILNS1_3genE4ELNS1_11target_archE910ELNS1_3gpuE8ELNS1_3repE0EEENS1_30default_config_static_selectorELNS0_4arch9wavefront6targetE1EEEvT1_.kd
    .uniform_work_group_size: 1
    .uses_dynamic_stack: false
    .vgpr_count:     50
    .vgpr_spill_count: 0
    .wavefront_size: 64
  - .agpr_count:     0
    .args:
      - .offset:         0
        .size:           136
        .value_kind:     by_value
    .group_segment_fixed_size: 0
    .kernarg_segment_align: 8
    .kernarg_segment_size: 136
    .language:       OpenCL C
    .language_version:
      - 2
      - 0
    .max_flat_workgroup_size: 128
    .name:           _ZN7rocprim17ROCPRIM_400000_NS6detail17trampoline_kernelINS0_14default_configENS1_25partition_config_selectorILNS1_17partition_subalgoE9EllbEEZZNS1_14partition_implILS5_9ELb0ES3_jPlS8_PNS0_10empty_typeENS0_5tupleIJS8_S9_EEENSB_IJS8_SA_EEENS0_18inequality_wrapperIZN2at6native12_GLOBAL__N_124unique_dim_cuda_templateIhEESt5tupleIJNSF_6TensorESK_SK_EERKSK_lbbbEUlllE0_EEPmJS9_EEE10hipError_tPvRmT3_T4_T5_T6_T7_T9_mT8_P12ihipStream_tbDpT10_ENKUlT_T0_E_clISt17integral_constantIbLb0EES19_IbLb1EEEEDaS15_S16_EUlS15_E_NS1_11comp_targetILNS1_3genE3ELNS1_11target_archE908ELNS1_3gpuE7ELNS1_3repE0EEENS1_30default_config_static_selectorELNS0_4arch9wavefront6targetE1EEEvT1_
    .private_segment_fixed_size: 0
    .sgpr_count:     4
    .sgpr_spill_count: 0
    .symbol:         _ZN7rocprim17ROCPRIM_400000_NS6detail17trampoline_kernelINS0_14default_configENS1_25partition_config_selectorILNS1_17partition_subalgoE9EllbEEZZNS1_14partition_implILS5_9ELb0ES3_jPlS8_PNS0_10empty_typeENS0_5tupleIJS8_S9_EEENSB_IJS8_SA_EEENS0_18inequality_wrapperIZN2at6native12_GLOBAL__N_124unique_dim_cuda_templateIhEESt5tupleIJNSF_6TensorESK_SK_EERKSK_lbbbEUlllE0_EEPmJS9_EEE10hipError_tPvRmT3_T4_T5_T6_T7_T9_mT8_P12ihipStream_tbDpT10_ENKUlT_T0_E_clISt17integral_constantIbLb0EES19_IbLb1EEEEDaS15_S16_EUlS15_E_NS1_11comp_targetILNS1_3genE3ELNS1_11target_archE908ELNS1_3gpuE7ELNS1_3repE0EEENS1_30default_config_static_selectorELNS0_4arch9wavefront6targetE1EEEvT1_.kd
    .uniform_work_group_size: 1
    .uses_dynamic_stack: false
    .vgpr_count:     0
    .vgpr_spill_count: 0
    .wavefront_size: 64
  - .agpr_count:     0
    .args:
      - .offset:         0
        .size:           136
        .value_kind:     by_value
    .group_segment_fixed_size: 0
    .kernarg_segment_align: 8
    .kernarg_segment_size: 136
    .language:       OpenCL C
    .language_version:
      - 2
      - 0
    .max_flat_workgroup_size: 192
    .name:           _ZN7rocprim17ROCPRIM_400000_NS6detail17trampoline_kernelINS0_14default_configENS1_25partition_config_selectorILNS1_17partition_subalgoE9EllbEEZZNS1_14partition_implILS5_9ELb0ES3_jPlS8_PNS0_10empty_typeENS0_5tupleIJS8_S9_EEENSB_IJS8_SA_EEENS0_18inequality_wrapperIZN2at6native12_GLOBAL__N_124unique_dim_cuda_templateIhEESt5tupleIJNSF_6TensorESK_SK_EERKSK_lbbbEUlllE0_EEPmJS9_EEE10hipError_tPvRmT3_T4_T5_T6_T7_T9_mT8_P12ihipStream_tbDpT10_ENKUlT_T0_E_clISt17integral_constantIbLb0EES19_IbLb1EEEEDaS15_S16_EUlS15_E_NS1_11comp_targetILNS1_3genE2ELNS1_11target_archE906ELNS1_3gpuE6ELNS1_3repE0EEENS1_30default_config_static_selectorELNS0_4arch9wavefront6targetE1EEEvT1_
    .private_segment_fixed_size: 0
    .sgpr_count:     4
    .sgpr_spill_count: 0
    .symbol:         _ZN7rocprim17ROCPRIM_400000_NS6detail17trampoline_kernelINS0_14default_configENS1_25partition_config_selectorILNS1_17partition_subalgoE9EllbEEZZNS1_14partition_implILS5_9ELb0ES3_jPlS8_PNS0_10empty_typeENS0_5tupleIJS8_S9_EEENSB_IJS8_SA_EEENS0_18inequality_wrapperIZN2at6native12_GLOBAL__N_124unique_dim_cuda_templateIhEESt5tupleIJNSF_6TensorESK_SK_EERKSK_lbbbEUlllE0_EEPmJS9_EEE10hipError_tPvRmT3_T4_T5_T6_T7_T9_mT8_P12ihipStream_tbDpT10_ENKUlT_T0_E_clISt17integral_constantIbLb0EES19_IbLb1EEEEDaS15_S16_EUlS15_E_NS1_11comp_targetILNS1_3genE2ELNS1_11target_archE906ELNS1_3gpuE6ELNS1_3repE0EEENS1_30default_config_static_selectorELNS0_4arch9wavefront6targetE1EEEvT1_.kd
    .uniform_work_group_size: 1
    .uses_dynamic_stack: false
    .vgpr_count:     0
    .vgpr_spill_count: 0
    .wavefront_size: 64
  - .agpr_count:     0
    .args:
      - .offset:         0
        .size:           136
        .value_kind:     by_value
    .group_segment_fixed_size: 0
    .kernarg_segment_align: 8
    .kernarg_segment_size: 136
    .language:       OpenCL C
    .language_version:
      - 2
      - 0
    .max_flat_workgroup_size: 384
    .name:           _ZN7rocprim17ROCPRIM_400000_NS6detail17trampoline_kernelINS0_14default_configENS1_25partition_config_selectorILNS1_17partition_subalgoE9EllbEEZZNS1_14partition_implILS5_9ELb0ES3_jPlS8_PNS0_10empty_typeENS0_5tupleIJS8_S9_EEENSB_IJS8_SA_EEENS0_18inequality_wrapperIZN2at6native12_GLOBAL__N_124unique_dim_cuda_templateIhEESt5tupleIJNSF_6TensorESK_SK_EERKSK_lbbbEUlllE0_EEPmJS9_EEE10hipError_tPvRmT3_T4_T5_T6_T7_T9_mT8_P12ihipStream_tbDpT10_ENKUlT_T0_E_clISt17integral_constantIbLb0EES19_IbLb1EEEEDaS15_S16_EUlS15_E_NS1_11comp_targetILNS1_3genE10ELNS1_11target_archE1200ELNS1_3gpuE4ELNS1_3repE0EEENS1_30default_config_static_selectorELNS0_4arch9wavefront6targetE1EEEvT1_
    .private_segment_fixed_size: 0
    .sgpr_count:     4
    .sgpr_spill_count: 0
    .symbol:         _ZN7rocprim17ROCPRIM_400000_NS6detail17trampoline_kernelINS0_14default_configENS1_25partition_config_selectorILNS1_17partition_subalgoE9EllbEEZZNS1_14partition_implILS5_9ELb0ES3_jPlS8_PNS0_10empty_typeENS0_5tupleIJS8_S9_EEENSB_IJS8_SA_EEENS0_18inequality_wrapperIZN2at6native12_GLOBAL__N_124unique_dim_cuda_templateIhEESt5tupleIJNSF_6TensorESK_SK_EERKSK_lbbbEUlllE0_EEPmJS9_EEE10hipError_tPvRmT3_T4_T5_T6_T7_T9_mT8_P12ihipStream_tbDpT10_ENKUlT_T0_E_clISt17integral_constantIbLb0EES19_IbLb1EEEEDaS15_S16_EUlS15_E_NS1_11comp_targetILNS1_3genE10ELNS1_11target_archE1200ELNS1_3gpuE4ELNS1_3repE0EEENS1_30default_config_static_selectorELNS0_4arch9wavefront6targetE1EEEvT1_.kd
    .uniform_work_group_size: 1
    .uses_dynamic_stack: false
    .vgpr_count:     0
    .vgpr_spill_count: 0
    .wavefront_size: 64
  - .agpr_count:     0
    .args:
      - .offset:         0
        .size:           136
        .value_kind:     by_value
    .group_segment_fixed_size: 0
    .kernarg_segment_align: 8
    .kernarg_segment_size: 136
    .language:       OpenCL C
    .language_version:
      - 2
      - 0
    .max_flat_workgroup_size: 512
    .name:           _ZN7rocprim17ROCPRIM_400000_NS6detail17trampoline_kernelINS0_14default_configENS1_25partition_config_selectorILNS1_17partition_subalgoE9EllbEEZZNS1_14partition_implILS5_9ELb0ES3_jPlS8_PNS0_10empty_typeENS0_5tupleIJS8_S9_EEENSB_IJS8_SA_EEENS0_18inequality_wrapperIZN2at6native12_GLOBAL__N_124unique_dim_cuda_templateIhEESt5tupleIJNSF_6TensorESK_SK_EERKSK_lbbbEUlllE0_EEPmJS9_EEE10hipError_tPvRmT3_T4_T5_T6_T7_T9_mT8_P12ihipStream_tbDpT10_ENKUlT_T0_E_clISt17integral_constantIbLb0EES19_IbLb1EEEEDaS15_S16_EUlS15_E_NS1_11comp_targetILNS1_3genE9ELNS1_11target_archE1100ELNS1_3gpuE3ELNS1_3repE0EEENS1_30default_config_static_selectorELNS0_4arch9wavefront6targetE1EEEvT1_
    .private_segment_fixed_size: 0
    .sgpr_count:     4
    .sgpr_spill_count: 0
    .symbol:         _ZN7rocprim17ROCPRIM_400000_NS6detail17trampoline_kernelINS0_14default_configENS1_25partition_config_selectorILNS1_17partition_subalgoE9EllbEEZZNS1_14partition_implILS5_9ELb0ES3_jPlS8_PNS0_10empty_typeENS0_5tupleIJS8_S9_EEENSB_IJS8_SA_EEENS0_18inequality_wrapperIZN2at6native12_GLOBAL__N_124unique_dim_cuda_templateIhEESt5tupleIJNSF_6TensorESK_SK_EERKSK_lbbbEUlllE0_EEPmJS9_EEE10hipError_tPvRmT3_T4_T5_T6_T7_T9_mT8_P12ihipStream_tbDpT10_ENKUlT_T0_E_clISt17integral_constantIbLb0EES19_IbLb1EEEEDaS15_S16_EUlS15_E_NS1_11comp_targetILNS1_3genE9ELNS1_11target_archE1100ELNS1_3gpuE3ELNS1_3repE0EEENS1_30default_config_static_selectorELNS0_4arch9wavefront6targetE1EEEvT1_.kd
    .uniform_work_group_size: 1
    .uses_dynamic_stack: false
    .vgpr_count:     0
    .vgpr_spill_count: 0
    .wavefront_size: 64
  - .agpr_count:     0
    .args:
      - .offset:         0
        .size:           136
        .value_kind:     by_value
    .group_segment_fixed_size: 0
    .kernarg_segment_align: 8
    .kernarg_segment_size: 136
    .language:       OpenCL C
    .language_version:
      - 2
      - 0
    .max_flat_workgroup_size: 512
    .name:           _ZN7rocprim17ROCPRIM_400000_NS6detail17trampoline_kernelINS0_14default_configENS1_25partition_config_selectorILNS1_17partition_subalgoE9EllbEEZZNS1_14partition_implILS5_9ELb0ES3_jPlS8_PNS0_10empty_typeENS0_5tupleIJS8_S9_EEENSB_IJS8_SA_EEENS0_18inequality_wrapperIZN2at6native12_GLOBAL__N_124unique_dim_cuda_templateIhEESt5tupleIJNSF_6TensorESK_SK_EERKSK_lbbbEUlllE0_EEPmJS9_EEE10hipError_tPvRmT3_T4_T5_T6_T7_T9_mT8_P12ihipStream_tbDpT10_ENKUlT_T0_E_clISt17integral_constantIbLb0EES19_IbLb1EEEEDaS15_S16_EUlS15_E_NS1_11comp_targetILNS1_3genE8ELNS1_11target_archE1030ELNS1_3gpuE2ELNS1_3repE0EEENS1_30default_config_static_selectorELNS0_4arch9wavefront6targetE1EEEvT1_
    .private_segment_fixed_size: 0
    .sgpr_count:     4
    .sgpr_spill_count: 0
    .symbol:         _ZN7rocprim17ROCPRIM_400000_NS6detail17trampoline_kernelINS0_14default_configENS1_25partition_config_selectorILNS1_17partition_subalgoE9EllbEEZZNS1_14partition_implILS5_9ELb0ES3_jPlS8_PNS0_10empty_typeENS0_5tupleIJS8_S9_EEENSB_IJS8_SA_EEENS0_18inequality_wrapperIZN2at6native12_GLOBAL__N_124unique_dim_cuda_templateIhEESt5tupleIJNSF_6TensorESK_SK_EERKSK_lbbbEUlllE0_EEPmJS9_EEE10hipError_tPvRmT3_T4_T5_T6_T7_T9_mT8_P12ihipStream_tbDpT10_ENKUlT_T0_E_clISt17integral_constantIbLb0EES19_IbLb1EEEEDaS15_S16_EUlS15_E_NS1_11comp_targetILNS1_3genE8ELNS1_11target_archE1030ELNS1_3gpuE2ELNS1_3repE0EEENS1_30default_config_static_selectorELNS0_4arch9wavefront6targetE1EEEvT1_.kd
    .uniform_work_group_size: 1
    .uses_dynamic_stack: false
    .vgpr_count:     0
    .vgpr_spill_count: 0
    .wavefront_size: 64
  - .agpr_count:     0
    .args:
      - .offset:         0
        .size:           56
        .value_kind:     by_value
    .group_segment_fixed_size: 0
    .kernarg_segment_align: 8
    .kernarg_segment_size: 56
    .language:       OpenCL C
    .language_version:
      - 2
      - 0
    .max_flat_workgroup_size: 128
    .name:           _ZN7rocprim17ROCPRIM_400000_NS6detail17trampoline_kernelINS0_14default_configENS1_35adjacent_difference_config_selectorILb0ElEEZNS1_24adjacent_difference_implIS3_Lb0ELb0EPlS7_N6thrust23THRUST_200600_302600_NS5minusIlEEEE10hipError_tPvRmT2_T3_mT4_P12ihipStream_tbEUlT_E_NS1_11comp_targetILNS1_3genE0ELNS1_11target_archE4294967295ELNS1_3gpuE0ELNS1_3repE0EEENS1_30default_config_static_selectorELNS0_4arch9wavefront6targetE1EEEvT1_
    .private_segment_fixed_size: 0
    .sgpr_count:     4
    .sgpr_spill_count: 0
    .symbol:         _ZN7rocprim17ROCPRIM_400000_NS6detail17trampoline_kernelINS0_14default_configENS1_35adjacent_difference_config_selectorILb0ElEEZNS1_24adjacent_difference_implIS3_Lb0ELb0EPlS7_N6thrust23THRUST_200600_302600_NS5minusIlEEEE10hipError_tPvRmT2_T3_mT4_P12ihipStream_tbEUlT_E_NS1_11comp_targetILNS1_3genE0ELNS1_11target_archE4294967295ELNS1_3gpuE0ELNS1_3repE0EEENS1_30default_config_static_selectorELNS0_4arch9wavefront6targetE1EEEvT1_.kd
    .uniform_work_group_size: 1
    .uses_dynamic_stack: false
    .vgpr_count:     0
    .vgpr_spill_count: 0
    .wavefront_size: 64
  - .agpr_count:     0
    .args:
      - .offset:         0
        .size:           56
        .value_kind:     by_value
    .group_segment_fixed_size: 0
    .kernarg_segment_align: 8
    .kernarg_segment_size: 56
    .language:       OpenCL C
    .language_version:
      - 2
      - 0
    .max_flat_workgroup_size: 128
    .name:           _ZN7rocprim17ROCPRIM_400000_NS6detail17trampoline_kernelINS0_14default_configENS1_35adjacent_difference_config_selectorILb0ElEEZNS1_24adjacent_difference_implIS3_Lb0ELb0EPlS7_N6thrust23THRUST_200600_302600_NS5minusIlEEEE10hipError_tPvRmT2_T3_mT4_P12ihipStream_tbEUlT_E_NS1_11comp_targetILNS1_3genE10ELNS1_11target_archE1201ELNS1_3gpuE5ELNS1_3repE0EEENS1_30default_config_static_selectorELNS0_4arch9wavefront6targetE1EEEvT1_
    .private_segment_fixed_size: 0
    .sgpr_count:     4
    .sgpr_spill_count: 0
    .symbol:         _ZN7rocprim17ROCPRIM_400000_NS6detail17trampoline_kernelINS0_14default_configENS1_35adjacent_difference_config_selectorILb0ElEEZNS1_24adjacent_difference_implIS3_Lb0ELb0EPlS7_N6thrust23THRUST_200600_302600_NS5minusIlEEEE10hipError_tPvRmT2_T3_mT4_P12ihipStream_tbEUlT_E_NS1_11comp_targetILNS1_3genE10ELNS1_11target_archE1201ELNS1_3gpuE5ELNS1_3repE0EEENS1_30default_config_static_selectorELNS0_4arch9wavefront6targetE1EEEvT1_.kd
    .uniform_work_group_size: 1
    .uses_dynamic_stack: false
    .vgpr_count:     0
    .vgpr_spill_count: 0
    .wavefront_size: 64
  - .agpr_count:     0
    .args:
      - .offset:         0
        .size:           56
        .value_kind:     by_value
    .group_segment_fixed_size: 0
    .kernarg_segment_align: 8
    .kernarg_segment_size: 56
    .language:       OpenCL C
    .language_version:
      - 2
      - 0
    .max_flat_workgroup_size: 64
    .name:           _ZN7rocprim17ROCPRIM_400000_NS6detail17trampoline_kernelINS0_14default_configENS1_35adjacent_difference_config_selectorILb0ElEEZNS1_24adjacent_difference_implIS3_Lb0ELb0EPlS7_N6thrust23THRUST_200600_302600_NS5minusIlEEEE10hipError_tPvRmT2_T3_mT4_P12ihipStream_tbEUlT_E_NS1_11comp_targetILNS1_3genE5ELNS1_11target_archE942ELNS1_3gpuE9ELNS1_3repE0EEENS1_30default_config_static_selectorELNS0_4arch9wavefront6targetE1EEEvT1_
    .private_segment_fixed_size: 0
    .sgpr_count:     4
    .sgpr_spill_count: 0
    .symbol:         _ZN7rocprim17ROCPRIM_400000_NS6detail17trampoline_kernelINS0_14default_configENS1_35adjacent_difference_config_selectorILb0ElEEZNS1_24adjacent_difference_implIS3_Lb0ELb0EPlS7_N6thrust23THRUST_200600_302600_NS5minusIlEEEE10hipError_tPvRmT2_T3_mT4_P12ihipStream_tbEUlT_E_NS1_11comp_targetILNS1_3genE5ELNS1_11target_archE942ELNS1_3gpuE9ELNS1_3repE0EEENS1_30default_config_static_selectorELNS0_4arch9wavefront6targetE1EEEvT1_.kd
    .uniform_work_group_size: 1
    .uses_dynamic_stack: false
    .vgpr_count:     0
    .vgpr_spill_count: 0
    .wavefront_size: 64
  - .agpr_count:     0
    .args:
      - .offset:         0
        .size:           56
        .value_kind:     by_value
    .group_segment_fixed_size: 4224
    .kernarg_segment_align: 8
    .kernarg_segment_size: 56
    .language:       OpenCL C
    .language_version:
      - 2
      - 0
    .max_flat_workgroup_size: 256
    .name:           _ZN7rocprim17ROCPRIM_400000_NS6detail17trampoline_kernelINS0_14default_configENS1_35adjacent_difference_config_selectorILb0ElEEZNS1_24adjacent_difference_implIS3_Lb0ELb0EPlS7_N6thrust23THRUST_200600_302600_NS5minusIlEEEE10hipError_tPvRmT2_T3_mT4_P12ihipStream_tbEUlT_E_NS1_11comp_targetILNS1_3genE4ELNS1_11target_archE910ELNS1_3gpuE8ELNS1_3repE0EEENS1_30default_config_static_selectorELNS0_4arch9wavefront6targetE1EEEvT1_
    .private_segment_fixed_size: 0
    .sgpr_count:     26
    .sgpr_spill_count: 0
    .symbol:         _ZN7rocprim17ROCPRIM_400000_NS6detail17trampoline_kernelINS0_14default_configENS1_35adjacent_difference_config_selectorILb0ElEEZNS1_24adjacent_difference_implIS3_Lb0ELb0EPlS7_N6thrust23THRUST_200600_302600_NS5minusIlEEEE10hipError_tPvRmT2_T3_mT4_P12ihipStream_tbEUlT_E_NS1_11comp_targetILNS1_3genE4ELNS1_11target_archE910ELNS1_3gpuE8ELNS1_3repE0EEENS1_30default_config_static_selectorELNS0_4arch9wavefront6targetE1EEEvT1_.kd
    .uniform_work_group_size: 1
    .uses_dynamic_stack: false
    .vgpr_count:     14
    .vgpr_spill_count: 0
    .wavefront_size: 64
  - .agpr_count:     0
    .args:
      - .offset:         0
        .size:           56
        .value_kind:     by_value
    .group_segment_fixed_size: 0
    .kernarg_segment_align: 8
    .kernarg_segment_size: 56
    .language:       OpenCL C
    .language_version:
      - 2
      - 0
    .max_flat_workgroup_size: 128
    .name:           _ZN7rocprim17ROCPRIM_400000_NS6detail17trampoline_kernelINS0_14default_configENS1_35adjacent_difference_config_selectorILb0ElEEZNS1_24adjacent_difference_implIS3_Lb0ELb0EPlS7_N6thrust23THRUST_200600_302600_NS5minusIlEEEE10hipError_tPvRmT2_T3_mT4_P12ihipStream_tbEUlT_E_NS1_11comp_targetILNS1_3genE3ELNS1_11target_archE908ELNS1_3gpuE7ELNS1_3repE0EEENS1_30default_config_static_selectorELNS0_4arch9wavefront6targetE1EEEvT1_
    .private_segment_fixed_size: 0
    .sgpr_count:     4
    .sgpr_spill_count: 0
    .symbol:         _ZN7rocprim17ROCPRIM_400000_NS6detail17trampoline_kernelINS0_14default_configENS1_35adjacent_difference_config_selectorILb0ElEEZNS1_24adjacent_difference_implIS3_Lb0ELb0EPlS7_N6thrust23THRUST_200600_302600_NS5minusIlEEEE10hipError_tPvRmT2_T3_mT4_P12ihipStream_tbEUlT_E_NS1_11comp_targetILNS1_3genE3ELNS1_11target_archE908ELNS1_3gpuE7ELNS1_3repE0EEENS1_30default_config_static_selectorELNS0_4arch9wavefront6targetE1EEEvT1_.kd
    .uniform_work_group_size: 1
    .uses_dynamic_stack: false
    .vgpr_count:     0
    .vgpr_spill_count: 0
    .wavefront_size: 64
  - .agpr_count:     0
    .args:
      - .offset:         0
        .size:           56
        .value_kind:     by_value
    .group_segment_fixed_size: 0
    .kernarg_segment_align: 8
    .kernarg_segment_size: 56
    .language:       OpenCL C
    .language_version:
      - 2
      - 0
    .max_flat_workgroup_size: 128
    .name:           _ZN7rocprim17ROCPRIM_400000_NS6detail17trampoline_kernelINS0_14default_configENS1_35adjacent_difference_config_selectorILb0ElEEZNS1_24adjacent_difference_implIS3_Lb0ELb0EPlS7_N6thrust23THRUST_200600_302600_NS5minusIlEEEE10hipError_tPvRmT2_T3_mT4_P12ihipStream_tbEUlT_E_NS1_11comp_targetILNS1_3genE2ELNS1_11target_archE906ELNS1_3gpuE6ELNS1_3repE0EEENS1_30default_config_static_selectorELNS0_4arch9wavefront6targetE1EEEvT1_
    .private_segment_fixed_size: 0
    .sgpr_count:     4
    .sgpr_spill_count: 0
    .symbol:         _ZN7rocprim17ROCPRIM_400000_NS6detail17trampoline_kernelINS0_14default_configENS1_35adjacent_difference_config_selectorILb0ElEEZNS1_24adjacent_difference_implIS3_Lb0ELb0EPlS7_N6thrust23THRUST_200600_302600_NS5minusIlEEEE10hipError_tPvRmT2_T3_mT4_P12ihipStream_tbEUlT_E_NS1_11comp_targetILNS1_3genE2ELNS1_11target_archE906ELNS1_3gpuE6ELNS1_3repE0EEENS1_30default_config_static_selectorELNS0_4arch9wavefront6targetE1EEEvT1_.kd
    .uniform_work_group_size: 1
    .uses_dynamic_stack: false
    .vgpr_count:     0
    .vgpr_spill_count: 0
    .wavefront_size: 64
  - .agpr_count:     0
    .args:
      - .offset:         0
        .size:           56
        .value_kind:     by_value
    .group_segment_fixed_size: 0
    .kernarg_segment_align: 8
    .kernarg_segment_size: 56
    .language:       OpenCL C
    .language_version:
      - 2
      - 0
    .max_flat_workgroup_size: 512
    .name:           _ZN7rocprim17ROCPRIM_400000_NS6detail17trampoline_kernelINS0_14default_configENS1_35adjacent_difference_config_selectorILb0ElEEZNS1_24adjacent_difference_implIS3_Lb0ELb0EPlS7_N6thrust23THRUST_200600_302600_NS5minusIlEEEE10hipError_tPvRmT2_T3_mT4_P12ihipStream_tbEUlT_E_NS1_11comp_targetILNS1_3genE9ELNS1_11target_archE1100ELNS1_3gpuE3ELNS1_3repE0EEENS1_30default_config_static_selectorELNS0_4arch9wavefront6targetE1EEEvT1_
    .private_segment_fixed_size: 0
    .sgpr_count:     4
    .sgpr_spill_count: 0
    .symbol:         _ZN7rocprim17ROCPRIM_400000_NS6detail17trampoline_kernelINS0_14default_configENS1_35adjacent_difference_config_selectorILb0ElEEZNS1_24adjacent_difference_implIS3_Lb0ELb0EPlS7_N6thrust23THRUST_200600_302600_NS5minusIlEEEE10hipError_tPvRmT2_T3_mT4_P12ihipStream_tbEUlT_E_NS1_11comp_targetILNS1_3genE9ELNS1_11target_archE1100ELNS1_3gpuE3ELNS1_3repE0EEENS1_30default_config_static_selectorELNS0_4arch9wavefront6targetE1EEEvT1_.kd
    .uniform_work_group_size: 1
    .uses_dynamic_stack: false
    .vgpr_count:     0
    .vgpr_spill_count: 0
    .wavefront_size: 64
  - .agpr_count:     0
    .args:
      - .offset:         0
        .size:           56
        .value_kind:     by_value
    .group_segment_fixed_size: 0
    .kernarg_segment_align: 8
    .kernarg_segment_size: 56
    .language:       OpenCL C
    .language_version:
      - 2
      - 0
    .max_flat_workgroup_size: 1024
    .name:           _ZN7rocprim17ROCPRIM_400000_NS6detail17trampoline_kernelINS0_14default_configENS1_35adjacent_difference_config_selectorILb0ElEEZNS1_24adjacent_difference_implIS3_Lb0ELb0EPlS7_N6thrust23THRUST_200600_302600_NS5minusIlEEEE10hipError_tPvRmT2_T3_mT4_P12ihipStream_tbEUlT_E_NS1_11comp_targetILNS1_3genE8ELNS1_11target_archE1030ELNS1_3gpuE2ELNS1_3repE0EEENS1_30default_config_static_selectorELNS0_4arch9wavefront6targetE1EEEvT1_
    .private_segment_fixed_size: 0
    .sgpr_count:     4
    .sgpr_spill_count: 0
    .symbol:         _ZN7rocprim17ROCPRIM_400000_NS6detail17trampoline_kernelINS0_14default_configENS1_35adjacent_difference_config_selectorILb0ElEEZNS1_24adjacent_difference_implIS3_Lb0ELb0EPlS7_N6thrust23THRUST_200600_302600_NS5minusIlEEEE10hipError_tPvRmT2_T3_mT4_P12ihipStream_tbEUlT_E_NS1_11comp_targetILNS1_3genE8ELNS1_11target_archE1030ELNS1_3gpuE2ELNS1_3repE0EEENS1_30default_config_static_selectorELNS0_4arch9wavefront6targetE1EEEvT1_.kd
    .uniform_work_group_size: 1
    .uses_dynamic_stack: false
    .vgpr_count:     0
    .vgpr_spill_count: 0
    .wavefront_size: 64
  - .agpr_count:     0
    .args:
      - .offset:         0
        .size:           56
        .value_kind:     by_value
    .group_segment_fixed_size: 0
    .kernarg_segment_align: 8
    .kernarg_segment_size: 56
    .language:       OpenCL C
    .language_version:
      - 2
      - 0
    .max_flat_workgroup_size: 128
    .name:           _ZN7rocprim17ROCPRIM_400000_NS6detail17trampoline_kernelINS0_14default_configENS1_25transform_config_selectorIlLb0EEEZNS1_14transform_implILb0ES3_S5_NS0_18transform_iteratorINS0_17counting_iteratorImlEEZNS1_24adjacent_difference_implIS3_Lb1ELb0EPlSB_N6thrust23THRUST_200600_302600_NS5minusIlEEEE10hipError_tPvRmT2_T3_mT4_P12ihipStream_tbEUlmE_lEESB_NS0_8identityIvEEEESG_SJ_SK_mSL_SN_bEUlT_E_NS1_11comp_targetILNS1_3genE0ELNS1_11target_archE4294967295ELNS1_3gpuE0ELNS1_3repE0EEENS1_30default_config_static_selectorELNS0_4arch9wavefront6targetE1EEEvT1_
    .private_segment_fixed_size: 0
    .sgpr_count:     4
    .sgpr_spill_count: 0
    .symbol:         _ZN7rocprim17ROCPRIM_400000_NS6detail17trampoline_kernelINS0_14default_configENS1_25transform_config_selectorIlLb0EEEZNS1_14transform_implILb0ES3_S5_NS0_18transform_iteratorINS0_17counting_iteratorImlEEZNS1_24adjacent_difference_implIS3_Lb1ELb0EPlSB_N6thrust23THRUST_200600_302600_NS5minusIlEEEE10hipError_tPvRmT2_T3_mT4_P12ihipStream_tbEUlmE_lEESB_NS0_8identityIvEEEESG_SJ_SK_mSL_SN_bEUlT_E_NS1_11comp_targetILNS1_3genE0ELNS1_11target_archE4294967295ELNS1_3gpuE0ELNS1_3repE0EEENS1_30default_config_static_selectorELNS0_4arch9wavefront6targetE1EEEvT1_.kd
    .uniform_work_group_size: 1
    .uses_dynamic_stack: false
    .vgpr_count:     0
    .vgpr_spill_count: 0
    .wavefront_size: 64
  - .agpr_count:     0
    .args:
      - .offset:         0
        .size:           56
        .value_kind:     by_value
    .group_segment_fixed_size: 0
    .kernarg_segment_align: 8
    .kernarg_segment_size: 56
    .language:       OpenCL C
    .language_version:
      - 2
      - 0
    .max_flat_workgroup_size: 512
    .name:           _ZN7rocprim17ROCPRIM_400000_NS6detail17trampoline_kernelINS0_14default_configENS1_25transform_config_selectorIlLb0EEEZNS1_14transform_implILb0ES3_S5_NS0_18transform_iteratorINS0_17counting_iteratorImlEEZNS1_24adjacent_difference_implIS3_Lb1ELb0EPlSB_N6thrust23THRUST_200600_302600_NS5minusIlEEEE10hipError_tPvRmT2_T3_mT4_P12ihipStream_tbEUlmE_lEESB_NS0_8identityIvEEEESG_SJ_SK_mSL_SN_bEUlT_E_NS1_11comp_targetILNS1_3genE5ELNS1_11target_archE942ELNS1_3gpuE9ELNS1_3repE0EEENS1_30default_config_static_selectorELNS0_4arch9wavefront6targetE1EEEvT1_
    .private_segment_fixed_size: 0
    .sgpr_count:     4
    .sgpr_spill_count: 0
    .symbol:         _ZN7rocprim17ROCPRIM_400000_NS6detail17trampoline_kernelINS0_14default_configENS1_25transform_config_selectorIlLb0EEEZNS1_14transform_implILb0ES3_S5_NS0_18transform_iteratorINS0_17counting_iteratorImlEEZNS1_24adjacent_difference_implIS3_Lb1ELb0EPlSB_N6thrust23THRUST_200600_302600_NS5minusIlEEEE10hipError_tPvRmT2_T3_mT4_P12ihipStream_tbEUlmE_lEESB_NS0_8identityIvEEEESG_SJ_SK_mSL_SN_bEUlT_E_NS1_11comp_targetILNS1_3genE5ELNS1_11target_archE942ELNS1_3gpuE9ELNS1_3repE0EEENS1_30default_config_static_selectorELNS0_4arch9wavefront6targetE1EEEvT1_.kd
    .uniform_work_group_size: 1
    .uses_dynamic_stack: false
    .vgpr_count:     0
    .vgpr_spill_count: 0
    .wavefront_size: 64
  - .agpr_count:     0
    .args:
      - .offset:         0
        .size:           56
        .value_kind:     by_value
      - .offset:         56
        .size:           4
        .value_kind:     hidden_block_count_x
      - .offset:         60
        .size:           4
        .value_kind:     hidden_block_count_y
      - .offset:         64
        .size:           4
        .value_kind:     hidden_block_count_z
      - .offset:         68
        .size:           2
        .value_kind:     hidden_group_size_x
      - .offset:         70
        .size:           2
        .value_kind:     hidden_group_size_y
      - .offset:         72
        .size:           2
        .value_kind:     hidden_group_size_z
      - .offset:         74
        .size:           2
        .value_kind:     hidden_remainder_x
      - .offset:         76
        .size:           2
        .value_kind:     hidden_remainder_y
      - .offset:         78
        .size:           2
        .value_kind:     hidden_remainder_z
      - .offset:         96
        .size:           8
        .value_kind:     hidden_global_offset_x
      - .offset:         104
        .size:           8
        .value_kind:     hidden_global_offset_y
      - .offset:         112
        .size:           8
        .value_kind:     hidden_global_offset_z
      - .offset:         120
        .size:           2
        .value_kind:     hidden_grid_dims
    .group_segment_fixed_size: 0
    .kernarg_segment_align: 8
    .kernarg_segment_size: 312
    .language:       OpenCL C
    .language_version:
      - 2
      - 0
    .max_flat_workgroup_size: 256
    .name:           _ZN7rocprim17ROCPRIM_400000_NS6detail17trampoline_kernelINS0_14default_configENS1_25transform_config_selectorIlLb0EEEZNS1_14transform_implILb0ES3_S5_NS0_18transform_iteratorINS0_17counting_iteratorImlEEZNS1_24adjacent_difference_implIS3_Lb1ELb0EPlSB_N6thrust23THRUST_200600_302600_NS5minusIlEEEE10hipError_tPvRmT2_T3_mT4_P12ihipStream_tbEUlmE_lEESB_NS0_8identityIvEEEESG_SJ_SK_mSL_SN_bEUlT_E_NS1_11comp_targetILNS1_3genE4ELNS1_11target_archE910ELNS1_3gpuE8ELNS1_3repE0EEENS1_30default_config_static_selectorELNS0_4arch9wavefront6targetE1EEEvT1_
    .private_segment_fixed_size: 0
    .sgpr_count:     22
    .sgpr_spill_count: 0
    .symbol:         _ZN7rocprim17ROCPRIM_400000_NS6detail17trampoline_kernelINS0_14default_configENS1_25transform_config_selectorIlLb0EEEZNS1_14transform_implILb0ES3_S5_NS0_18transform_iteratorINS0_17counting_iteratorImlEEZNS1_24adjacent_difference_implIS3_Lb1ELb0EPlSB_N6thrust23THRUST_200600_302600_NS5minusIlEEEE10hipError_tPvRmT2_T3_mT4_P12ihipStream_tbEUlmE_lEESB_NS0_8identityIvEEEESG_SJ_SK_mSL_SN_bEUlT_E_NS1_11comp_targetILNS1_3genE4ELNS1_11target_archE910ELNS1_3gpuE8ELNS1_3repE0EEENS1_30default_config_static_selectorELNS0_4arch9wavefront6targetE1EEEvT1_.kd
    .uniform_work_group_size: 1
    .uses_dynamic_stack: false
    .vgpr_count:     10
    .vgpr_spill_count: 0
    .wavefront_size: 64
  - .agpr_count:     0
    .args:
      - .offset:         0
        .size:           56
        .value_kind:     by_value
    .group_segment_fixed_size: 0
    .kernarg_segment_align: 8
    .kernarg_segment_size: 56
    .language:       OpenCL C
    .language_version:
      - 2
      - 0
    .max_flat_workgroup_size: 128
    .name:           _ZN7rocprim17ROCPRIM_400000_NS6detail17trampoline_kernelINS0_14default_configENS1_25transform_config_selectorIlLb0EEEZNS1_14transform_implILb0ES3_S5_NS0_18transform_iteratorINS0_17counting_iteratorImlEEZNS1_24adjacent_difference_implIS3_Lb1ELb0EPlSB_N6thrust23THRUST_200600_302600_NS5minusIlEEEE10hipError_tPvRmT2_T3_mT4_P12ihipStream_tbEUlmE_lEESB_NS0_8identityIvEEEESG_SJ_SK_mSL_SN_bEUlT_E_NS1_11comp_targetILNS1_3genE3ELNS1_11target_archE908ELNS1_3gpuE7ELNS1_3repE0EEENS1_30default_config_static_selectorELNS0_4arch9wavefront6targetE1EEEvT1_
    .private_segment_fixed_size: 0
    .sgpr_count:     4
    .sgpr_spill_count: 0
    .symbol:         _ZN7rocprim17ROCPRIM_400000_NS6detail17trampoline_kernelINS0_14default_configENS1_25transform_config_selectorIlLb0EEEZNS1_14transform_implILb0ES3_S5_NS0_18transform_iteratorINS0_17counting_iteratorImlEEZNS1_24adjacent_difference_implIS3_Lb1ELb0EPlSB_N6thrust23THRUST_200600_302600_NS5minusIlEEEE10hipError_tPvRmT2_T3_mT4_P12ihipStream_tbEUlmE_lEESB_NS0_8identityIvEEEESG_SJ_SK_mSL_SN_bEUlT_E_NS1_11comp_targetILNS1_3genE3ELNS1_11target_archE908ELNS1_3gpuE7ELNS1_3repE0EEENS1_30default_config_static_selectorELNS0_4arch9wavefront6targetE1EEEvT1_.kd
    .uniform_work_group_size: 1
    .uses_dynamic_stack: false
    .vgpr_count:     0
    .vgpr_spill_count: 0
    .wavefront_size: 64
  - .agpr_count:     0
    .args:
      - .offset:         0
        .size:           56
        .value_kind:     by_value
    .group_segment_fixed_size: 0
    .kernarg_segment_align: 8
    .kernarg_segment_size: 56
    .language:       OpenCL C
    .language_version:
      - 2
      - 0
    .max_flat_workgroup_size: 512
    .name:           _ZN7rocprim17ROCPRIM_400000_NS6detail17trampoline_kernelINS0_14default_configENS1_25transform_config_selectorIlLb0EEEZNS1_14transform_implILb0ES3_S5_NS0_18transform_iteratorINS0_17counting_iteratorImlEEZNS1_24adjacent_difference_implIS3_Lb1ELb0EPlSB_N6thrust23THRUST_200600_302600_NS5minusIlEEEE10hipError_tPvRmT2_T3_mT4_P12ihipStream_tbEUlmE_lEESB_NS0_8identityIvEEEESG_SJ_SK_mSL_SN_bEUlT_E_NS1_11comp_targetILNS1_3genE2ELNS1_11target_archE906ELNS1_3gpuE6ELNS1_3repE0EEENS1_30default_config_static_selectorELNS0_4arch9wavefront6targetE1EEEvT1_
    .private_segment_fixed_size: 0
    .sgpr_count:     4
    .sgpr_spill_count: 0
    .symbol:         _ZN7rocprim17ROCPRIM_400000_NS6detail17trampoline_kernelINS0_14default_configENS1_25transform_config_selectorIlLb0EEEZNS1_14transform_implILb0ES3_S5_NS0_18transform_iteratorINS0_17counting_iteratorImlEEZNS1_24adjacent_difference_implIS3_Lb1ELb0EPlSB_N6thrust23THRUST_200600_302600_NS5minusIlEEEE10hipError_tPvRmT2_T3_mT4_P12ihipStream_tbEUlmE_lEESB_NS0_8identityIvEEEESG_SJ_SK_mSL_SN_bEUlT_E_NS1_11comp_targetILNS1_3genE2ELNS1_11target_archE906ELNS1_3gpuE6ELNS1_3repE0EEENS1_30default_config_static_selectorELNS0_4arch9wavefront6targetE1EEEvT1_.kd
    .uniform_work_group_size: 1
    .uses_dynamic_stack: false
    .vgpr_count:     0
    .vgpr_spill_count: 0
    .wavefront_size: 64
  - .agpr_count:     0
    .args:
      - .offset:         0
        .size:           56
        .value_kind:     by_value
    .group_segment_fixed_size: 0
    .kernarg_segment_align: 8
    .kernarg_segment_size: 56
    .language:       OpenCL C
    .language_version:
      - 2
      - 0
    .max_flat_workgroup_size: 1024
    .name:           _ZN7rocprim17ROCPRIM_400000_NS6detail17trampoline_kernelINS0_14default_configENS1_25transform_config_selectorIlLb0EEEZNS1_14transform_implILb0ES3_S5_NS0_18transform_iteratorINS0_17counting_iteratorImlEEZNS1_24adjacent_difference_implIS3_Lb1ELb0EPlSB_N6thrust23THRUST_200600_302600_NS5minusIlEEEE10hipError_tPvRmT2_T3_mT4_P12ihipStream_tbEUlmE_lEESB_NS0_8identityIvEEEESG_SJ_SK_mSL_SN_bEUlT_E_NS1_11comp_targetILNS1_3genE10ELNS1_11target_archE1201ELNS1_3gpuE5ELNS1_3repE0EEENS1_30default_config_static_selectorELNS0_4arch9wavefront6targetE1EEEvT1_
    .private_segment_fixed_size: 0
    .sgpr_count:     4
    .sgpr_spill_count: 0
    .symbol:         _ZN7rocprim17ROCPRIM_400000_NS6detail17trampoline_kernelINS0_14default_configENS1_25transform_config_selectorIlLb0EEEZNS1_14transform_implILb0ES3_S5_NS0_18transform_iteratorINS0_17counting_iteratorImlEEZNS1_24adjacent_difference_implIS3_Lb1ELb0EPlSB_N6thrust23THRUST_200600_302600_NS5minusIlEEEE10hipError_tPvRmT2_T3_mT4_P12ihipStream_tbEUlmE_lEESB_NS0_8identityIvEEEESG_SJ_SK_mSL_SN_bEUlT_E_NS1_11comp_targetILNS1_3genE10ELNS1_11target_archE1201ELNS1_3gpuE5ELNS1_3repE0EEENS1_30default_config_static_selectorELNS0_4arch9wavefront6targetE1EEEvT1_.kd
    .uniform_work_group_size: 1
    .uses_dynamic_stack: false
    .vgpr_count:     0
    .vgpr_spill_count: 0
    .wavefront_size: 64
  - .agpr_count:     0
    .args:
      - .offset:         0
        .size:           56
        .value_kind:     by_value
    .group_segment_fixed_size: 0
    .kernarg_segment_align: 8
    .kernarg_segment_size: 56
    .language:       OpenCL C
    .language_version:
      - 2
      - 0
    .max_flat_workgroup_size: 512
    .name:           _ZN7rocprim17ROCPRIM_400000_NS6detail17trampoline_kernelINS0_14default_configENS1_25transform_config_selectorIlLb0EEEZNS1_14transform_implILb0ES3_S5_NS0_18transform_iteratorINS0_17counting_iteratorImlEEZNS1_24adjacent_difference_implIS3_Lb1ELb0EPlSB_N6thrust23THRUST_200600_302600_NS5minusIlEEEE10hipError_tPvRmT2_T3_mT4_P12ihipStream_tbEUlmE_lEESB_NS0_8identityIvEEEESG_SJ_SK_mSL_SN_bEUlT_E_NS1_11comp_targetILNS1_3genE10ELNS1_11target_archE1200ELNS1_3gpuE4ELNS1_3repE0EEENS1_30default_config_static_selectorELNS0_4arch9wavefront6targetE1EEEvT1_
    .private_segment_fixed_size: 0
    .sgpr_count:     4
    .sgpr_spill_count: 0
    .symbol:         _ZN7rocprim17ROCPRIM_400000_NS6detail17trampoline_kernelINS0_14default_configENS1_25transform_config_selectorIlLb0EEEZNS1_14transform_implILb0ES3_S5_NS0_18transform_iteratorINS0_17counting_iteratorImlEEZNS1_24adjacent_difference_implIS3_Lb1ELb0EPlSB_N6thrust23THRUST_200600_302600_NS5minusIlEEEE10hipError_tPvRmT2_T3_mT4_P12ihipStream_tbEUlmE_lEESB_NS0_8identityIvEEEESG_SJ_SK_mSL_SN_bEUlT_E_NS1_11comp_targetILNS1_3genE10ELNS1_11target_archE1200ELNS1_3gpuE4ELNS1_3repE0EEENS1_30default_config_static_selectorELNS0_4arch9wavefront6targetE1EEEvT1_.kd
    .uniform_work_group_size: 1
    .uses_dynamic_stack: false
    .vgpr_count:     0
    .vgpr_spill_count: 0
    .wavefront_size: 64
  - .agpr_count:     0
    .args:
      - .offset:         0
        .size:           56
        .value_kind:     by_value
    .group_segment_fixed_size: 0
    .kernarg_segment_align: 8
    .kernarg_segment_size: 56
    .language:       OpenCL C
    .language_version:
      - 2
      - 0
    .max_flat_workgroup_size: 512
    .name:           _ZN7rocprim17ROCPRIM_400000_NS6detail17trampoline_kernelINS0_14default_configENS1_25transform_config_selectorIlLb0EEEZNS1_14transform_implILb0ES3_S5_NS0_18transform_iteratorINS0_17counting_iteratorImlEEZNS1_24adjacent_difference_implIS3_Lb1ELb0EPlSB_N6thrust23THRUST_200600_302600_NS5minusIlEEEE10hipError_tPvRmT2_T3_mT4_P12ihipStream_tbEUlmE_lEESB_NS0_8identityIvEEEESG_SJ_SK_mSL_SN_bEUlT_E_NS1_11comp_targetILNS1_3genE9ELNS1_11target_archE1100ELNS1_3gpuE3ELNS1_3repE0EEENS1_30default_config_static_selectorELNS0_4arch9wavefront6targetE1EEEvT1_
    .private_segment_fixed_size: 0
    .sgpr_count:     4
    .sgpr_spill_count: 0
    .symbol:         _ZN7rocprim17ROCPRIM_400000_NS6detail17trampoline_kernelINS0_14default_configENS1_25transform_config_selectorIlLb0EEEZNS1_14transform_implILb0ES3_S5_NS0_18transform_iteratorINS0_17counting_iteratorImlEEZNS1_24adjacent_difference_implIS3_Lb1ELb0EPlSB_N6thrust23THRUST_200600_302600_NS5minusIlEEEE10hipError_tPvRmT2_T3_mT4_P12ihipStream_tbEUlmE_lEESB_NS0_8identityIvEEEESG_SJ_SK_mSL_SN_bEUlT_E_NS1_11comp_targetILNS1_3genE9ELNS1_11target_archE1100ELNS1_3gpuE3ELNS1_3repE0EEENS1_30default_config_static_selectorELNS0_4arch9wavefront6targetE1EEEvT1_.kd
    .uniform_work_group_size: 1
    .uses_dynamic_stack: false
    .vgpr_count:     0
    .vgpr_spill_count: 0
    .wavefront_size: 64
  - .agpr_count:     0
    .args:
      - .offset:         0
        .size:           56
        .value_kind:     by_value
    .group_segment_fixed_size: 0
    .kernarg_segment_align: 8
    .kernarg_segment_size: 56
    .language:       OpenCL C
    .language_version:
      - 2
      - 0
    .max_flat_workgroup_size: 512
    .name:           _ZN7rocprim17ROCPRIM_400000_NS6detail17trampoline_kernelINS0_14default_configENS1_25transform_config_selectorIlLb0EEEZNS1_14transform_implILb0ES3_S5_NS0_18transform_iteratorINS0_17counting_iteratorImlEEZNS1_24adjacent_difference_implIS3_Lb1ELb0EPlSB_N6thrust23THRUST_200600_302600_NS5minusIlEEEE10hipError_tPvRmT2_T3_mT4_P12ihipStream_tbEUlmE_lEESB_NS0_8identityIvEEEESG_SJ_SK_mSL_SN_bEUlT_E_NS1_11comp_targetILNS1_3genE8ELNS1_11target_archE1030ELNS1_3gpuE2ELNS1_3repE0EEENS1_30default_config_static_selectorELNS0_4arch9wavefront6targetE1EEEvT1_
    .private_segment_fixed_size: 0
    .sgpr_count:     4
    .sgpr_spill_count: 0
    .symbol:         _ZN7rocprim17ROCPRIM_400000_NS6detail17trampoline_kernelINS0_14default_configENS1_25transform_config_selectorIlLb0EEEZNS1_14transform_implILb0ES3_S5_NS0_18transform_iteratorINS0_17counting_iteratorImlEEZNS1_24adjacent_difference_implIS3_Lb1ELb0EPlSB_N6thrust23THRUST_200600_302600_NS5minusIlEEEE10hipError_tPvRmT2_T3_mT4_P12ihipStream_tbEUlmE_lEESB_NS0_8identityIvEEEESG_SJ_SK_mSL_SN_bEUlT_E_NS1_11comp_targetILNS1_3genE8ELNS1_11target_archE1030ELNS1_3gpuE2ELNS1_3repE0EEENS1_30default_config_static_selectorELNS0_4arch9wavefront6targetE1EEEvT1_.kd
    .uniform_work_group_size: 1
    .uses_dynamic_stack: false
    .vgpr_count:     0
    .vgpr_spill_count: 0
    .wavefront_size: 64
  - .agpr_count:     0
    .args:
      - .offset:         0
        .size:           56
        .value_kind:     by_value
    .group_segment_fixed_size: 0
    .kernarg_segment_align: 8
    .kernarg_segment_size: 56
    .language:       OpenCL C
    .language_version:
      - 2
      - 0
    .max_flat_workgroup_size: 512
    .name:           _ZN7rocprim17ROCPRIM_400000_NS6detail17trampoline_kernelINS0_14default_configENS1_35adjacent_difference_config_selectorILb1ElEEZNS1_24adjacent_difference_implIS3_Lb1ELb0EPlS7_N6thrust23THRUST_200600_302600_NS5minusIlEEEE10hipError_tPvRmT2_T3_mT4_P12ihipStream_tbEUlT_E_NS1_11comp_targetILNS1_3genE0ELNS1_11target_archE4294967295ELNS1_3gpuE0ELNS1_3repE0EEENS1_30default_config_static_selectorELNS0_4arch9wavefront6targetE1EEEvT1_
    .private_segment_fixed_size: 0
    .sgpr_count:     4
    .sgpr_spill_count: 0
    .symbol:         _ZN7rocprim17ROCPRIM_400000_NS6detail17trampoline_kernelINS0_14default_configENS1_35adjacent_difference_config_selectorILb1ElEEZNS1_24adjacent_difference_implIS3_Lb1ELb0EPlS7_N6thrust23THRUST_200600_302600_NS5minusIlEEEE10hipError_tPvRmT2_T3_mT4_P12ihipStream_tbEUlT_E_NS1_11comp_targetILNS1_3genE0ELNS1_11target_archE4294967295ELNS1_3gpuE0ELNS1_3repE0EEENS1_30default_config_static_selectorELNS0_4arch9wavefront6targetE1EEEvT1_.kd
    .uniform_work_group_size: 1
    .uses_dynamic_stack: false
    .vgpr_count:     0
    .vgpr_spill_count: 0
    .wavefront_size: 64
  - .agpr_count:     0
    .args:
      - .offset:         0
        .size:           56
        .value_kind:     by_value
    .group_segment_fixed_size: 0
    .kernarg_segment_align: 8
    .kernarg_segment_size: 56
    .language:       OpenCL C
    .language_version:
      - 2
      - 0
    .max_flat_workgroup_size: 32
    .name:           _ZN7rocprim17ROCPRIM_400000_NS6detail17trampoline_kernelINS0_14default_configENS1_35adjacent_difference_config_selectorILb1ElEEZNS1_24adjacent_difference_implIS3_Lb1ELb0EPlS7_N6thrust23THRUST_200600_302600_NS5minusIlEEEE10hipError_tPvRmT2_T3_mT4_P12ihipStream_tbEUlT_E_NS1_11comp_targetILNS1_3genE10ELNS1_11target_archE1201ELNS1_3gpuE5ELNS1_3repE0EEENS1_30default_config_static_selectorELNS0_4arch9wavefront6targetE1EEEvT1_
    .private_segment_fixed_size: 0
    .sgpr_count:     4
    .sgpr_spill_count: 0
    .symbol:         _ZN7rocprim17ROCPRIM_400000_NS6detail17trampoline_kernelINS0_14default_configENS1_35adjacent_difference_config_selectorILb1ElEEZNS1_24adjacent_difference_implIS3_Lb1ELb0EPlS7_N6thrust23THRUST_200600_302600_NS5minusIlEEEE10hipError_tPvRmT2_T3_mT4_P12ihipStream_tbEUlT_E_NS1_11comp_targetILNS1_3genE10ELNS1_11target_archE1201ELNS1_3gpuE5ELNS1_3repE0EEENS1_30default_config_static_selectorELNS0_4arch9wavefront6targetE1EEEvT1_.kd
    .uniform_work_group_size: 1
    .uses_dynamic_stack: false
    .vgpr_count:     0
    .vgpr_spill_count: 0
    .wavefront_size: 64
  - .agpr_count:     0
    .args:
      - .offset:         0
        .size:           56
        .value_kind:     by_value
    .group_segment_fixed_size: 0
    .kernarg_segment_align: 8
    .kernarg_segment_size: 56
    .language:       OpenCL C
    .language_version:
      - 2
      - 0
    .max_flat_workgroup_size: 256
    .name:           _ZN7rocprim17ROCPRIM_400000_NS6detail17trampoline_kernelINS0_14default_configENS1_35adjacent_difference_config_selectorILb1ElEEZNS1_24adjacent_difference_implIS3_Lb1ELb0EPlS7_N6thrust23THRUST_200600_302600_NS5minusIlEEEE10hipError_tPvRmT2_T3_mT4_P12ihipStream_tbEUlT_E_NS1_11comp_targetILNS1_3genE5ELNS1_11target_archE942ELNS1_3gpuE9ELNS1_3repE0EEENS1_30default_config_static_selectorELNS0_4arch9wavefront6targetE1EEEvT1_
    .private_segment_fixed_size: 0
    .sgpr_count:     4
    .sgpr_spill_count: 0
    .symbol:         _ZN7rocprim17ROCPRIM_400000_NS6detail17trampoline_kernelINS0_14default_configENS1_35adjacent_difference_config_selectorILb1ElEEZNS1_24adjacent_difference_implIS3_Lb1ELb0EPlS7_N6thrust23THRUST_200600_302600_NS5minusIlEEEE10hipError_tPvRmT2_T3_mT4_P12ihipStream_tbEUlT_E_NS1_11comp_targetILNS1_3genE5ELNS1_11target_archE942ELNS1_3gpuE9ELNS1_3repE0EEENS1_30default_config_static_selectorELNS0_4arch9wavefront6targetE1EEEvT1_.kd
    .uniform_work_group_size: 1
    .uses_dynamic_stack: false
    .vgpr_count:     0
    .vgpr_spill_count: 0
    .wavefront_size: 64
  - .agpr_count:     0
    .args:
      - .offset:         0
        .size:           56
        .value_kind:     by_value
    .group_segment_fixed_size: 8448
    .kernarg_segment_align: 8
    .kernarg_segment_size: 56
    .language:       OpenCL C
    .language_version:
      - 2
      - 0
    .max_flat_workgroup_size: 512
    .name:           _ZN7rocprim17ROCPRIM_400000_NS6detail17trampoline_kernelINS0_14default_configENS1_35adjacent_difference_config_selectorILb1ElEEZNS1_24adjacent_difference_implIS3_Lb1ELb0EPlS7_N6thrust23THRUST_200600_302600_NS5minusIlEEEE10hipError_tPvRmT2_T3_mT4_P12ihipStream_tbEUlT_E_NS1_11comp_targetILNS1_3genE4ELNS1_11target_archE910ELNS1_3gpuE8ELNS1_3repE0EEENS1_30default_config_static_selectorELNS0_4arch9wavefront6targetE1EEEvT1_
    .private_segment_fixed_size: 0
    .sgpr_count:     32
    .sgpr_spill_count: 0
    .symbol:         _ZN7rocprim17ROCPRIM_400000_NS6detail17trampoline_kernelINS0_14default_configENS1_35adjacent_difference_config_selectorILb1ElEEZNS1_24adjacent_difference_implIS3_Lb1ELb0EPlS7_N6thrust23THRUST_200600_302600_NS5minusIlEEEE10hipError_tPvRmT2_T3_mT4_P12ihipStream_tbEUlT_E_NS1_11comp_targetILNS1_3genE4ELNS1_11target_archE910ELNS1_3gpuE8ELNS1_3repE0EEENS1_30default_config_static_selectorELNS0_4arch9wavefront6targetE1EEEvT1_.kd
    .uniform_work_group_size: 1
    .uses_dynamic_stack: false
    .vgpr_count:     14
    .vgpr_spill_count: 0
    .wavefront_size: 64
  - .agpr_count:     0
    .args:
      - .offset:         0
        .size:           56
        .value_kind:     by_value
    .group_segment_fixed_size: 0
    .kernarg_segment_align: 8
    .kernarg_segment_size: 56
    .language:       OpenCL C
    .language_version:
      - 2
      - 0
    .max_flat_workgroup_size: 512
    .name:           _ZN7rocprim17ROCPRIM_400000_NS6detail17trampoline_kernelINS0_14default_configENS1_35adjacent_difference_config_selectorILb1ElEEZNS1_24adjacent_difference_implIS3_Lb1ELb0EPlS7_N6thrust23THRUST_200600_302600_NS5minusIlEEEE10hipError_tPvRmT2_T3_mT4_P12ihipStream_tbEUlT_E_NS1_11comp_targetILNS1_3genE3ELNS1_11target_archE908ELNS1_3gpuE7ELNS1_3repE0EEENS1_30default_config_static_selectorELNS0_4arch9wavefront6targetE1EEEvT1_
    .private_segment_fixed_size: 0
    .sgpr_count:     4
    .sgpr_spill_count: 0
    .symbol:         _ZN7rocprim17ROCPRIM_400000_NS6detail17trampoline_kernelINS0_14default_configENS1_35adjacent_difference_config_selectorILb1ElEEZNS1_24adjacent_difference_implIS3_Lb1ELb0EPlS7_N6thrust23THRUST_200600_302600_NS5minusIlEEEE10hipError_tPvRmT2_T3_mT4_P12ihipStream_tbEUlT_E_NS1_11comp_targetILNS1_3genE3ELNS1_11target_archE908ELNS1_3gpuE7ELNS1_3repE0EEENS1_30default_config_static_selectorELNS0_4arch9wavefront6targetE1EEEvT1_.kd
    .uniform_work_group_size: 1
    .uses_dynamic_stack: false
    .vgpr_count:     0
    .vgpr_spill_count: 0
    .wavefront_size: 64
  - .agpr_count:     0
    .args:
      - .offset:         0
        .size:           56
        .value_kind:     by_value
    .group_segment_fixed_size: 0
    .kernarg_segment_align: 8
    .kernarg_segment_size: 56
    .language:       OpenCL C
    .language_version:
      - 2
      - 0
    .max_flat_workgroup_size: 128
    .name:           _ZN7rocprim17ROCPRIM_400000_NS6detail17trampoline_kernelINS0_14default_configENS1_35adjacent_difference_config_selectorILb1ElEEZNS1_24adjacent_difference_implIS3_Lb1ELb0EPlS7_N6thrust23THRUST_200600_302600_NS5minusIlEEEE10hipError_tPvRmT2_T3_mT4_P12ihipStream_tbEUlT_E_NS1_11comp_targetILNS1_3genE2ELNS1_11target_archE906ELNS1_3gpuE6ELNS1_3repE0EEENS1_30default_config_static_selectorELNS0_4arch9wavefront6targetE1EEEvT1_
    .private_segment_fixed_size: 0
    .sgpr_count:     4
    .sgpr_spill_count: 0
    .symbol:         _ZN7rocprim17ROCPRIM_400000_NS6detail17trampoline_kernelINS0_14default_configENS1_35adjacent_difference_config_selectorILb1ElEEZNS1_24adjacent_difference_implIS3_Lb1ELb0EPlS7_N6thrust23THRUST_200600_302600_NS5minusIlEEEE10hipError_tPvRmT2_T3_mT4_P12ihipStream_tbEUlT_E_NS1_11comp_targetILNS1_3genE2ELNS1_11target_archE906ELNS1_3gpuE6ELNS1_3repE0EEENS1_30default_config_static_selectorELNS0_4arch9wavefront6targetE1EEEvT1_.kd
    .uniform_work_group_size: 1
    .uses_dynamic_stack: false
    .vgpr_count:     0
    .vgpr_spill_count: 0
    .wavefront_size: 64
  - .agpr_count:     0
    .args:
      - .offset:         0
        .size:           56
        .value_kind:     by_value
    .group_segment_fixed_size: 0
    .kernarg_segment_align: 8
    .kernarg_segment_size: 56
    .language:       OpenCL C
    .language_version:
      - 2
      - 0
    .max_flat_workgroup_size: 128
    .name:           _ZN7rocprim17ROCPRIM_400000_NS6detail17trampoline_kernelINS0_14default_configENS1_35adjacent_difference_config_selectorILb1ElEEZNS1_24adjacent_difference_implIS3_Lb1ELb0EPlS7_N6thrust23THRUST_200600_302600_NS5minusIlEEEE10hipError_tPvRmT2_T3_mT4_P12ihipStream_tbEUlT_E_NS1_11comp_targetILNS1_3genE9ELNS1_11target_archE1100ELNS1_3gpuE3ELNS1_3repE0EEENS1_30default_config_static_selectorELNS0_4arch9wavefront6targetE1EEEvT1_
    .private_segment_fixed_size: 0
    .sgpr_count:     4
    .sgpr_spill_count: 0
    .symbol:         _ZN7rocprim17ROCPRIM_400000_NS6detail17trampoline_kernelINS0_14default_configENS1_35adjacent_difference_config_selectorILb1ElEEZNS1_24adjacent_difference_implIS3_Lb1ELb0EPlS7_N6thrust23THRUST_200600_302600_NS5minusIlEEEE10hipError_tPvRmT2_T3_mT4_P12ihipStream_tbEUlT_E_NS1_11comp_targetILNS1_3genE9ELNS1_11target_archE1100ELNS1_3gpuE3ELNS1_3repE0EEENS1_30default_config_static_selectorELNS0_4arch9wavefront6targetE1EEEvT1_.kd
    .uniform_work_group_size: 1
    .uses_dynamic_stack: false
    .vgpr_count:     0
    .vgpr_spill_count: 0
    .wavefront_size: 64
  - .agpr_count:     0
    .args:
      - .offset:         0
        .size:           56
        .value_kind:     by_value
    .group_segment_fixed_size: 0
    .kernarg_segment_align: 8
    .kernarg_segment_size: 56
    .language:       OpenCL C
    .language_version:
      - 2
      - 0
    .max_flat_workgroup_size: 32
    .name:           _ZN7rocprim17ROCPRIM_400000_NS6detail17trampoline_kernelINS0_14default_configENS1_35adjacent_difference_config_selectorILb1ElEEZNS1_24adjacent_difference_implIS3_Lb1ELb0EPlS7_N6thrust23THRUST_200600_302600_NS5minusIlEEEE10hipError_tPvRmT2_T3_mT4_P12ihipStream_tbEUlT_E_NS1_11comp_targetILNS1_3genE8ELNS1_11target_archE1030ELNS1_3gpuE2ELNS1_3repE0EEENS1_30default_config_static_selectorELNS0_4arch9wavefront6targetE1EEEvT1_
    .private_segment_fixed_size: 0
    .sgpr_count:     4
    .sgpr_spill_count: 0
    .symbol:         _ZN7rocprim17ROCPRIM_400000_NS6detail17trampoline_kernelINS0_14default_configENS1_35adjacent_difference_config_selectorILb1ElEEZNS1_24adjacent_difference_implIS3_Lb1ELb0EPlS7_N6thrust23THRUST_200600_302600_NS5minusIlEEEE10hipError_tPvRmT2_T3_mT4_P12ihipStream_tbEUlT_E_NS1_11comp_targetILNS1_3genE8ELNS1_11target_archE1030ELNS1_3gpuE2ELNS1_3repE0EEENS1_30default_config_static_selectorELNS0_4arch9wavefront6targetE1EEEvT1_.kd
    .uniform_work_group_size: 1
    .uses_dynamic_stack: false
    .vgpr_count:     0
    .vgpr_spill_count: 0
    .wavefront_size: 64
  - .agpr_count:     0
    .args:
      - .offset:         0
        .size:           72
        .value_kind:     by_value
    .group_segment_fixed_size: 0
    .kernarg_segment_align: 8
    .kernarg_segment_size: 72
    .language:       OpenCL C
    .language_version:
      - 2
      - 0
    .max_flat_workgroup_size: 256
    .name:           _ZN7rocprim17ROCPRIM_400000_NS6detail17trampoline_kernelINS0_14default_configENS1_37merge_sort_block_sort_config_selectorIlNS0_10empty_typeEEEZNS1_21merge_sort_block_sortIS3_PlS8_PS5_S9_ZN2at6native12_GLOBAL__N_124unique_dim_cuda_templateIaEESt5tupleIJNSA_6TensorESF_SF_EERKSF_lbbbEUlllE_EE10hipError_tT0_T1_T2_T3_mRjT4_P12ihipStream_tbNS1_7vsmem_tEEUlT_E_NS1_11comp_targetILNS1_3genE0ELNS1_11target_archE4294967295ELNS1_3gpuE0ELNS1_3repE0EEENS1_30default_config_static_selectorELNS0_4arch9wavefront6targetE1EEEvSM_
    .private_segment_fixed_size: 0
    .sgpr_count:     4
    .sgpr_spill_count: 0
    .symbol:         _ZN7rocprim17ROCPRIM_400000_NS6detail17trampoline_kernelINS0_14default_configENS1_37merge_sort_block_sort_config_selectorIlNS0_10empty_typeEEEZNS1_21merge_sort_block_sortIS3_PlS8_PS5_S9_ZN2at6native12_GLOBAL__N_124unique_dim_cuda_templateIaEESt5tupleIJNSA_6TensorESF_SF_EERKSF_lbbbEUlllE_EE10hipError_tT0_T1_T2_T3_mRjT4_P12ihipStream_tbNS1_7vsmem_tEEUlT_E_NS1_11comp_targetILNS1_3genE0ELNS1_11target_archE4294967295ELNS1_3gpuE0ELNS1_3repE0EEENS1_30default_config_static_selectorELNS0_4arch9wavefront6targetE1EEEvSM_.kd
    .uniform_work_group_size: 1
    .uses_dynamic_stack: false
    .vgpr_count:     0
    .vgpr_spill_count: 0
    .wavefront_size: 64
  - .agpr_count:     0
    .args:
      - .offset:         0
        .size:           72
        .value_kind:     by_value
    .group_segment_fixed_size: 0
    .kernarg_segment_align: 8
    .kernarg_segment_size: 72
    .language:       OpenCL C
    .language_version:
      - 2
      - 0
    .max_flat_workgroup_size: 256
    .name:           _ZN7rocprim17ROCPRIM_400000_NS6detail17trampoline_kernelINS0_14default_configENS1_37merge_sort_block_sort_config_selectorIlNS0_10empty_typeEEEZNS1_21merge_sort_block_sortIS3_PlS8_PS5_S9_ZN2at6native12_GLOBAL__N_124unique_dim_cuda_templateIaEESt5tupleIJNSA_6TensorESF_SF_EERKSF_lbbbEUlllE_EE10hipError_tT0_T1_T2_T3_mRjT4_P12ihipStream_tbNS1_7vsmem_tEEUlT_E_NS1_11comp_targetILNS1_3genE5ELNS1_11target_archE942ELNS1_3gpuE9ELNS1_3repE0EEENS1_30default_config_static_selectorELNS0_4arch9wavefront6targetE1EEEvSM_
    .private_segment_fixed_size: 0
    .sgpr_count:     4
    .sgpr_spill_count: 0
    .symbol:         _ZN7rocprim17ROCPRIM_400000_NS6detail17trampoline_kernelINS0_14default_configENS1_37merge_sort_block_sort_config_selectorIlNS0_10empty_typeEEEZNS1_21merge_sort_block_sortIS3_PlS8_PS5_S9_ZN2at6native12_GLOBAL__N_124unique_dim_cuda_templateIaEESt5tupleIJNSA_6TensorESF_SF_EERKSF_lbbbEUlllE_EE10hipError_tT0_T1_T2_T3_mRjT4_P12ihipStream_tbNS1_7vsmem_tEEUlT_E_NS1_11comp_targetILNS1_3genE5ELNS1_11target_archE942ELNS1_3gpuE9ELNS1_3repE0EEENS1_30default_config_static_selectorELNS0_4arch9wavefront6targetE1EEEvSM_.kd
    .uniform_work_group_size: 1
    .uses_dynamic_stack: false
    .vgpr_count:     0
    .vgpr_spill_count: 0
    .wavefront_size: 64
  - .agpr_count:     0
    .args:
      - .offset:         0
        .size:           72
        .value_kind:     by_value
      - .offset:         72
        .size:           4
        .value_kind:     hidden_block_count_x
      - .offset:         76
        .size:           4
        .value_kind:     hidden_block_count_y
      - .offset:         80
        .size:           4
        .value_kind:     hidden_block_count_z
      - .offset:         84
        .size:           2
        .value_kind:     hidden_group_size_x
      - .offset:         86
        .size:           2
        .value_kind:     hidden_group_size_y
      - .offset:         88
        .size:           2
        .value_kind:     hidden_group_size_z
      - .offset:         90
        .size:           2
        .value_kind:     hidden_remainder_x
      - .offset:         92
        .size:           2
        .value_kind:     hidden_remainder_y
      - .offset:         94
        .size:           2
        .value_kind:     hidden_remainder_z
      - .offset:         112
        .size:           8
        .value_kind:     hidden_global_offset_x
      - .offset:         120
        .size:           8
        .value_kind:     hidden_global_offset_y
      - .offset:         128
        .size:           8
        .value_kind:     hidden_global_offset_z
      - .offset:         136
        .size:           2
        .value_kind:     hidden_grid_dims
    .group_segment_fixed_size: 8448
    .kernarg_segment_align: 8
    .kernarg_segment_size: 328
    .language:       OpenCL C
    .language_version:
      - 2
      - 0
    .max_flat_workgroup_size: 256
    .name:           _ZN7rocprim17ROCPRIM_400000_NS6detail17trampoline_kernelINS0_14default_configENS1_37merge_sort_block_sort_config_selectorIlNS0_10empty_typeEEEZNS1_21merge_sort_block_sortIS3_PlS8_PS5_S9_ZN2at6native12_GLOBAL__N_124unique_dim_cuda_templateIaEESt5tupleIJNSA_6TensorESF_SF_EERKSF_lbbbEUlllE_EE10hipError_tT0_T1_T2_T3_mRjT4_P12ihipStream_tbNS1_7vsmem_tEEUlT_E_NS1_11comp_targetILNS1_3genE4ELNS1_11target_archE910ELNS1_3gpuE8ELNS1_3repE0EEENS1_30default_config_static_selectorELNS0_4arch9wavefront6targetE1EEEvSM_
    .private_segment_fixed_size: 0
    .sgpr_count:     58
    .sgpr_spill_count: 0
    .symbol:         _ZN7rocprim17ROCPRIM_400000_NS6detail17trampoline_kernelINS0_14default_configENS1_37merge_sort_block_sort_config_selectorIlNS0_10empty_typeEEEZNS1_21merge_sort_block_sortIS3_PlS8_PS5_S9_ZN2at6native12_GLOBAL__N_124unique_dim_cuda_templateIaEESt5tupleIJNSA_6TensorESF_SF_EERKSF_lbbbEUlllE_EE10hipError_tT0_T1_T2_T3_mRjT4_P12ihipStream_tbNS1_7vsmem_tEEUlT_E_NS1_11comp_targetILNS1_3genE4ELNS1_11target_archE910ELNS1_3gpuE8ELNS1_3repE0EEENS1_30default_config_static_selectorELNS0_4arch9wavefront6targetE1EEEvSM_.kd
    .uniform_work_group_size: 1
    .uses_dynamic_stack: false
    .vgpr_count:     46
    .vgpr_spill_count: 0
    .wavefront_size: 64
  - .agpr_count:     0
    .args:
      - .offset:         0
        .size:           72
        .value_kind:     by_value
    .group_segment_fixed_size: 0
    .kernarg_segment_align: 8
    .kernarg_segment_size: 72
    .language:       OpenCL C
    .language_version:
      - 2
      - 0
    .max_flat_workgroup_size: 256
    .name:           _ZN7rocprim17ROCPRIM_400000_NS6detail17trampoline_kernelINS0_14default_configENS1_37merge_sort_block_sort_config_selectorIlNS0_10empty_typeEEEZNS1_21merge_sort_block_sortIS3_PlS8_PS5_S9_ZN2at6native12_GLOBAL__N_124unique_dim_cuda_templateIaEESt5tupleIJNSA_6TensorESF_SF_EERKSF_lbbbEUlllE_EE10hipError_tT0_T1_T2_T3_mRjT4_P12ihipStream_tbNS1_7vsmem_tEEUlT_E_NS1_11comp_targetILNS1_3genE3ELNS1_11target_archE908ELNS1_3gpuE7ELNS1_3repE0EEENS1_30default_config_static_selectorELNS0_4arch9wavefront6targetE1EEEvSM_
    .private_segment_fixed_size: 0
    .sgpr_count:     4
    .sgpr_spill_count: 0
    .symbol:         _ZN7rocprim17ROCPRIM_400000_NS6detail17trampoline_kernelINS0_14default_configENS1_37merge_sort_block_sort_config_selectorIlNS0_10empty_typeEEEZNS1_21merge_sort_block_sortIS3_PlS8_PS5_S9_ZN2at6native12_GLOBAL__N_124unique_dim_cuda_templateIaEESt5tupleIJNSA_6TensorESF_SF_EERKSF_lbbbEUlllE_EE10hipError_tT0_T1_T2_T3_mRjT4_P12ihipStream_tbNS1_7vsmem_tEEUlT_E_NS1_11comp_targetILNS1_3genE3ELNS1_11target_archE908ELNS1_3gpuE7ELNS1_3repE0EEENS1_30default_config_static_selectorELNS0_4arch9wavefront6targetE1EEEvSM_.kd
    .uniform_work_group_size: 1
    .uses_dynamic_stack: false
    .vgpr_count:     0
    .vgpr_spill_count: 0
    .wavefront_size: 64
  - .agpr_count:     0
    .args:
      - .offset:         0
        .size:           72
        .value_kind:     by_value
    .group_segment_fixed_size: 0
    .kernarg_segment_align: 8
    .kernarg_segment_size: 72
    .language:       OpenCL C
    .language_version:
      - 2
      - 0
    .max_flat_workgroup_size: 256
    .name:           _ZN7rocprim17ROCPRIM_400000_NS6detail17trampoline_kernelINS0_14default_configENS1_37merge_sort_block_sort_config_selectorIlNS0_10empty_typeEEEZNS1_21merge_sort_block_sortIS3_PlS8_PS5_S9_ZN2at6native12_GLOBAL__N_124unique_dim_cuda_templateIaEESt5tupleIJNSA_6TensorESF_SF_EERKSF_lbbbEUlllE_EE10hipError_tT0_T1_T2_T3_mRjT4_P12ihipStream_tbNS1_7vsmem_tEEUlT_E_NS1_11comp_targetILNS1_3genE2ELNS1_11target_archE906ELNS1_3gpuE6ELNS1_3repE0EEENS1_30default_config_static_selectorELNS0_4arch9wavefront6targetE1EEEvSM_
    .private_segment_fixed_size: 0
    .sgpr_count:     4
    .sgpr_spill_count: 0
    .symbol:         _ZN7rocprim17ROCPRIM_400000_NS6detail17trampoline_kernelINS0_14default_configENS1_37merge_sort_block_sort_config_selectorIlNS0_10empty_typeEEEZNS1_21merge_sort_block_sortIS3_PlS8_PS5_S9_ZN2at6native12_GLOBAL__N_124unique_dim_cuda_templateIaEESt5tupleIJNSA_6TensorESF_SF_EERKSF_lbbbEUlllE_EE10hipError_tT0_T1_T2_T3_mRjT4_P12ihipStream_tbNS1_7vsmem_tEEUlT_E_NS1_11comp_targetILNS1_3genE2ELNS1_11target_archE906ELNS1_3gpuE6ELNS1_3repE0EEENS1_30default_config_static_selectorELNS0_4arch9wavefront6targetE1EEEvSM_.kd
    .uniform_work_group_size: 1
    .uses_dynamic_stack: false
    .vgpr_count:     0
    .vgpr_spill_count: 0
    .wavefront_size: 64
  - .agpr_count:     0
    .args:
      - .offset:         0
        .size:           72
        .value_kind:     by_value
    .group_segment_fixed_size: 0
    .kernarg_segment_align: 8
    .kernarg_segment_size: 72
    .language:       OpenCL C
    .language_version:
      - 2
      - 0
    .max_flat_workgroup_size: 256
    .name:           _ZN7rocprim17ROCPRIM_400000_NS6detail17trampoline_kernelINS0_14default_configENS1_37merge_sort_block_sort_config_selectorIlNS0_10empty_typeEEEZNS1_21merge_sort_block_sortIS3_PlS8_PS5_S9_ZN2at6native12_GLOBAL__N_124unique_dim_cuda_templateIaEESt5tupleIJNSA_6TensorESF_SF_EERKSF_lbbbEUlllE_EE10hipError_tT0_T1_T2_T3_mRjT4_P12ihipStream_tbNS1_7vsmem_tEEUlT_E_NS1_11comp_targetILNS1_3genE10ELNS1_11target_archE1201ELNS1_3gpuE5ELNS1_3repE0EEENS1_30default_config_static_selectorELNS0_4arch9wavefront6targetE1EEEvSM_
    .private_segment_fixed_size: 0
    .sgpr_count:     4
    .sgpr_spill_count: 0
    .symbol:         _ZN7rocprim17ROCPRIM_400000_NS6detail17trampoline_kernelINS0_14default_configENS1_37merge_sort_block_sort_config_selectorIlNS0_10empty_typeEEEZNS1_21merge_sort_block_sortIS3_PlS8_PS5_S9_ZN2at6native12_GLOBAL__N_124unique_dim_cuda_templateIaEESt5tupleIJNSA_6TensorESF_SF_EERKSF_lbbbEUlllE_EE10hipError_tT0_T1_T2_T3_mRjT4_P12ihipStream_tbNS1_7vsmem_tEEUlT_E_NS1_11comp_targetILNS1_3genE10ELNS1_11target_archE1201ELNS1_3gpuE5ELNS1_3repE0EEENS1_30default_config_static_selectorELNS0_4arch9wavefront6targetE1EEEvSM_.kd
    .uniform_work_group_size: 1
    .uses_dynamic_stack: false
    .vgpr_count:     0
    .vgpr_spill_count: 0
    .wavefront_size: 64
  - .agpr_count:     0
    .args:
      - .offset:         0
        .size:           72
        .value_kind:     by_value
    .group_segment_fixed_size: 0
    .kernarg_segment_align: 8
    .kernarg_segment_size: 72
    .language:       OpenCL C
    .language_version:
      - 2
      - 0
    .max_flat_workgroup_size: 512
    .name:           _ZN7rocprim17ROCPRIM_400000_NS6detail17trampoline_kernelINS0_14default_configENS1_37merge_sort_block_sort_config_selectorIlNS0_10empty_typeEEEZNS1_21merge_sort_block_sortIS3_PlS8_PS5_S9_ZN2at6native12_GLOBAL__N_124unique_dim_cuda_templateIaEESt5tupleIJNSA_6TensorESF_SF_EERKSF_lbbbEUlllE_EE10hipError_tT0_T1_T2_T3_mRjT4_P12ihipStream_tbNS1_7vsmem_tEEUlT_E_NS1_11comp_targetILNS1_3genE10ELNS1_11target_archE1200ELNS1_3gpuE4ELNS1_3repE0EEENS1_30default_config_static_selectorELNS0_4arch9wavefront6targetE1EEEvSM_
    .private_segment_fixed_size: 0
    .sgpr_count:     4
    .sgpr_spill_count: 0
    .symbol:         _ZN7rocprim17ROCPRIM_400000_NS6detail17trampoline_kernelINS0_14default_configENS1_37merge_sort_block_sort_config_selectorIlNS0_10empty_typeEEEZNS1_21merge_sort_block_sortIS3_PlS8_PS5_S9_ZN2at6native12_GLOBAL__N_124unique_dim_cuda_templateIaEESt5tupleIJNSA_6TensorESF_SF_EERKSF_lbbbEUlllE_EE10hipError_tT0_T1_T2_T3_mRjT4_P12ihipStream_tbNS1_7vsmem_tEEUlT_E_NS1_11comp_targetILNS1_3genE10ELNS1_11target_archE1200ELNS1_3gpuE4ELNS1_3repE0EEENS1_30default_config_static_selectorELNS0_4arch9wavefront6targetE1EEEvSM_.kd
    .uniform_work_group_size: 1
    .uses_dynamic_stack: false
    .vgpr_count:     0
    .vgpr_spill_count: 0
    .wavefront_size: 64
  - .agpr_count:     0
    .args:
      - .offset:         0
        .size:           72
        .value_kind:     by_value
    .group_segment_fixed_size: 0
    .kernarg_segment_align: 8
    .kernarg_segment_size: 72
    .language:       OpenCL C
    .language_version:
      - 2
      - 0
    .max_flat_workgroup_size: 256
    .name:           _ZN7rocprim17ROCPRIM_400000_NS6detail17trampoline_kernelINS0_14default_configENS1_37merge_sort_block_sort_config_selectorIlNS0_10empty_typeEEEZNS1_21merge_sort_block_sortIS3_PlS8_PS5_S9_ZN2at6native12_GLOBAL__N_124unique_dim_cuda_templateIaEESt5tupleIJNSA_6TensorESF_SF_EERKSF_lbbbEUlllE_EE10hipError_tT0_T1_T2_T3_mRjT4_P12ihipStream_tbNS1_7vsmem_tEEUlT_E_NS1_11comp_targetILNS1_3genE9ELNS1_11target_archE1100ELNS1_3gpuE3ELNS1_3repE0EEENS1_30default_config_static_selectorELNS0_4arch9wavefront6targetE1EEEvSM_
    .private_segment_fixed_size: 0
    .sgpr_count:     4
    .sgpr_spill_count: 0
    .symbol:         _ZN7rocprim17ROCPRIM_400000_NS6detail17trampoline_kernelINS0_14default_configENS1_37merge_sort_block_sort_config_selectorIlNS0_10empty_typeEEEZNS1_21merge_sort_block_sortIS3_PlS8_PS5_S9_ZN2at6native12_GLOBAL__N_124unique_dim_cuda_templateIaEESt5tupleIJNSA_6TensorESF_SF_EERKSF_lbbbEUlllE_EE10hipError_tT0_T1_T2_T3_mRjT4_P12ihipStream_tbNS1_7vsmem_tEEUlT_E_NS1_11comp_targetILNS1_3genE9ELNS1_11target_archE1100ELNS1_3gpuE3ELNS1_3repE0EEENS1_30default_config_static_selectorELNS0_4arch9wavefront6targetE1EEEvSM_.kd
    .uniform_work_group_size: 1
    .uses_dynamic_stack: false
    .vgpr_count:     0
    .vgpr_spill_count: 0
    .wavefront_size: 64
  - .agpr_count:     0
    .args:
      - .offset:         0
        .size:           72
        .value_kind:     by_value
    .group_segment_fixed_size: 0
    .kernarg_segment_align: 8
    .kernarg_segment_size: 72
    .language:       OpenCL C
    .language_version:
      - 2
      - 0
    .max_flat_workgroup_size: 256
    .name:           _ZN7rocprim17ROCPRIM_400000_NS6detail17trampoline_kernelINS0_14default_configENS1_37merge_sort_block_sort_config_selectorIlNS0_10empty_typeEEEZNS1_21merge_sort_block_sortIS3_PlS8_PS5_S9_ZN2at6native12_GLOBAL__N_124unique_dim_cuda_templateIaEESt5tupleIJNSA_6TensorESF_SF_EERKSF_lbbbEUlllE_EE10hipError_tT0_T1_T2_T3_mRjT4_P12ihipStream_tbNS1_7vsmem_tEEUlT_E_NS1_11comp_targetILNS1_3genE8ELNS1_11target_archE1030ELNS1_3gpuE2ELNS1_3repE0EEENS1_30default_config_static_selectorELNS0_4arch9wavefront6targetE1EEEvSM_
    .private_segment_fixed_size: 0
    .sgpr_count:     4
    .sgpr_spill_count: 0
    .symbol:         _ZN7rocprim17ROCPRIM_400000_NS6detail17trampoline_kernelINS0_14default_configENS1_37merge_sort_block_sort_config_selectorIlNS0_10empty_typeEEEZNS1_21merge_sort_block_sortIS3_PlS8_PS5_S9_ZN2at6native12_GLOBAL__N_124unique_dim_cuda_templateIaEESt5tupleIJNSA_6TensorESF_SF_EERKSF_lbbbEUlllE_EE10hipError_tT0_T1_T2_T3_mRjT4_P12ihipStream_tbNS1_7vsmem_tEEUlT_E_NS1_11comp_targetILNS1_3genE8ELNS1_11target_archE1030ELNS1_3gpuE2ELNS1_3repE0EEENS1_30default_config_static_selectorELNS0_4arch9wavefront6targetE1EEEvSM_.kd
    .uniform_work_group_size: 1
    .uses_dynamic_stack: false
    .vgpr_count:     0
    .vgpr_spill_count: 0
    .wavefront_size: 64
  - .agpr_count:     0
    .args:
      - .offset:         0
        .size:           56
        .value_kind:     by_value
    .group_segment_fixed_size: 0
    .kernarg_segment_align: 8
    .kernarg_segment_size: 56
    .language:       OpenCL C
    .language_version:
      - 2
      - 0
    .max_flat_workgroup_size: 128
    .name:           _ZN7rocprim17ROCPRIM_400000_NS6detail17trampoline_kernelINS0_14default_configENS1_38merge_sort_block_merge_config_selectorIlNS0_10empty_typeEEEZZNS1_27merge_sort_block_merge_implIS3_PlPS5_mZN2at6native12_GLOBAL__N_124unique_dim_cuda_templateIaEESt5tupleIJNSA_6TensorESF_SF_EERKSF_lbbbEUlllE_EE10hipError_tT0_T1_T2_jT3_P12ihipStream_tbPNSt15iterator_traitsISL_E10value_typeEPNSR_ISM_E10value_typeEPSN_NS1_7vsmem_tEENKUlT_SL_SM_SN_E_clIS8_S8_S9_S9_EESK_S10_SL_SM_SN_EUlS10_E_NS1_11comp_targetILNS1_3genE0ELNS1_11target_archE4294967295ELNS1_3gpuE0ELNS1_3repE0EEENS1_48merge_mergepath_partition_config_static_selectorELNS0_4arch9wavefront6targetE1EEEvSM_
    .private_segment_fixed_size: 0
    .sgpr_count:     4
    .sgpr_spill_count: 0
    .symbol:         _ZN7rocprim17ROCPRIM_400000_NS6detail17trampoline_kernelINS0_14default_configENS1_38merge_sort_block_merge_config_selectorIlNS0_10empty_typeEEEZZNS1_27merge_sort_block_merge_implIS3_PlPS5_mZN2at6native12_GLOBAL__N_124unique_dim_cuda_templateIaEESt5tupleIJNSA_6TensorESF_SF_EERKSF_lbbbEUlllE_EE10hipError_tT0_T1_T2_jT3_P12ihipStream_tbPNSt15iterator_traitsISL_E10value_typeEPNSR_ISM_E10value_typeEPSN_NS1_7vsmem_tEENKUlT_SL_SM_SN_E_clIS8_S8_S9_S9_EESK_S10_SL_SM_SN_EUlS10_E_NS1_11comp_targetILNS1_3genE0ELNS1_11target_archE4294967295ELNS1_3gpuE0ELNS1_3repE0EEENS1_48merge_mergepath_partition_config_static_selectorELNS0_4arch9wavefront6targetE1EEEvSM_.kd
    .uniform_work_group_size: 1
    .uses_dynamic_stack: false
    .vgpr_count:     0
    .vgpr_spill_count: 0
    .wavefront_size: 64
  - .agpr_count:     0
    .args:
      - .offset:         0
        .size:           56
        .value_kind:     by_value
    .group_segment_fixed_size: 0
    .kernarg_segment_align: 8
    .kernarg_segment_size: 56
    .language:       OpenCL C
    .language_version:
      - 2
      - 0
    .max_flat_workgroup_size: 128
    .name:           _ZN7rocprim17ROCPRIM_400000_NS6detail17trampoline_kernelINS0_14default_configENS1_38merge_sort_block_merge_config_selectorIlNS0_10empty_typeEEEZZNS1_27merge_sort_block_merge_implIS3_PlPS5_mZN2at6native12_GLOBAL__N_124unique_dim_cuda_templateIaEESt5tupleIJNSA_6TensorESF_SF_EERKSF_lbbbEUlllE_EE10hipError_tT0_T1_T2_jT3_P12ihipStream_tbPNSt15iterator_traitsISL_E10value_typeEPNSR_ISM_E10value_typeEPSN_NS1_7vsmem_tEENKUlT_SL_SM_SN_E_clIS8_S8_S9_S9_EESK_S10_SL_SM_SN_EUlS10_E_NS1_11comp_targetILNS1_3genE10ELNS1_11target_archE1201ELNS1_3gpuE5ELNS1_3repE0EEENS1_48merge_mergepath_partition_config_static_selectorELNS0_4arch9wavefront6targetE1EEEvSM_
    .private_segment_fixed_size: 0
    .sgpr_count:     4
    .sgpr_spill_count: 0
    .symbol:         _ZN7rocprim17ROCPRIM_400000_NS6detail17trampoline_kernelINS0_14default_configENS1_38merge_sort_block_merge_config_selectorIlNS0_10empty_typeEEEZZNS1_27merge_sort_block_merge_implIS3_PlPS5_mZN2at6native12_GLOBAL__N_124unique_dim_cuda_templateIaEESt5tupleIJNSA_6TensorESF_SF_EERKSF_lbbbEUlllE_EE10hipError_tT0_T1_T2_jT3_P12ihipStream_tbPNSt15iterator_traitsISL_E10value_typeEPNSR_ISM_E10value_typeEPSN_NS1_7vsmem_tEENKUlT_SL_SM_SN_E_clIS8_S8_S9_S9_EESK_S10_SL_SM_SN_EUlS10_E_NS1_11comp_targetILNS1_3genE10ELNS1_11target_archE1201ELNS1_3gpuE5ELNS1_3repE0EEENS1_48merge_mergepath_partition_config_static_selectorELNS0_4arch9wavefront6targetE1EEEvSM_.kd
    .uniform_work_group_size: 1
    .uses_dynamic_stack: false
    .vgpr_count:     0
    .vgpr_spill_count: 0
    .wavefront_size: 64
  - .agpr_count:     0
    .args:
      - .offset:         0
        .size:           56
        .value_kind:     by_value
    .group_segment_fixed_size: 0
    .kernarg_segment_align: 8
    .kernarg_segment_size: 56
    .language:       OpenCL C
    .language_version:
      - 2
      - 0
    .max_flat_workgroup_size: 128
    .name:           _ZN7rocprim17ROCPRIM_400000_NS6detail17trampoline_kernelINS0_14default_configENS1_38merge_sort_block_merge_config_selectorIlNS0_10empty_typeEEEZZNS1_27merge_sort_block_merge_implIS3_PlPS5_mZN2at6native12_GLOBAL__N_124unique_dim_cuda_templateIaEESt5tupleIJNSA_6TensorESF_SF_EERKSF_lbbbEUlllE_EE10hipError_tT0_T1_T2_jT3_P12ihipStream_tbPNSt15iterator_traitsISL_E10value_typeEPNSR_ISM_E10value_typeEPSN_NS1_7vsmem_tEENKUlT_SL_SM_SN_E_clIS8_S8_S9_S9_EESK_S10_SL_SM_SN_EUlS10_E_NS1_11comp_targetILNS1_3genE5ELNS1_11target_archE942ELNS1_3gpuE9ELNS1_3repE0EEENS1_48merge_mergepath_partition_config_static_selectorELNS0_4arch9wavefront6targetE1EEEvSM_
    .private_segment_fixed_size: 0
    .sgpr_count:     4
    .sgpr_spill_count: 0
    .symbol:         _ZN7rocprim17ROCPRIM_400000_NS6detail17trampoline_kernelINS0_14default_configENS1_38merge_sort_block_merge_config_selectorIlNS0_10empty_typeEEEZZNS1_27merge_sort_block_merge_implIS3_PlPS5_mZN2at6native12_GLOBAL__N_124unique_dim_cuda_templateIaEESt5tupleIJNSA_6TensorESF_SF_EERKSF_lbbbEUlllE_EE10hipError_tT0_T1_T2_jT3_P12ihipStream_tbPNSt15iterator_traitsISL_E10value_typeEPNSR_ISM_E10value_typeEPSN_NS1_7vsmem_tEENKUlT_SL_SM_SN_E_clIS8_S8_S9_S9_EESK_S10_SL_SM_SN_EUlS10_E_NS1_11comp_targetILNS1_3genE5ELNS1_11target_archE942ELNS1_3gpuE9ELNS1_3repE0EEENS1_48merge_mergepath_partition_config_static_selectorELNS0_4arch9wavefront6targetE1EEEvSM_.kd
    .uniform_work_group_size: 1
    .uses_dynamic_stack: false
    .vgpr_count:     0
    .vgpr_spill_count: 0
    .wavefront_size: 64
  - .agpr_count:     0
    .args:
      - .offset:         0
        .size:           56
        .value_kind:     by_value
    .group_segment_fixed_size: 0
    .kernarg_segment_align: 8
    .kernarg_segment_size: 56
    .language:       OpenCL C
    .language_version:
      - 2
      - 0
    .max_flat_workgroup_size: 128
    .name:           _ZN7rocprim17ROCPRIM_400000_NS6detail17trampoline_kernelINS0_14default_configENS1_38merge_sort_block_merge_config_selectorIlNS0_10empty_typeEEEZZNS1_27merge_sort_block_merge_implIS3_PlPS5_mZN2at6native12_GLOBAL__N_124unique_dim_cuda_templateIaEESt5tupleIJNSA_6TensorESF_SF_EERKSF_lbbbEUlllE_EE10hipError_tT0_T1_T2_jT3_P12ihipStream_tbPNSt15iterator_traitsISL_E10value_typeEPNSR_ISM_E10value_typeEPSN_NS1_7vsmem_tEENKUlT_SL_SM_SN_E_clIS8_S8_S9_S9_EESK_S10_SL_SM_SN_EUlS10_E_NS1_11comp_targetILNS1_3genE4ELNS1_11target_archE910ELNS1_3gpuE8ELNS1_3repE0EEENS1_48merge_mergepath_partition_config_static_selectorELNS0_4arch9wavefront6targetE1EEEvSM_
    .private_segment_fixed_size: 0
    .sgpr_count:     36
    .sgpr_spill_count: 0
    .symbol:         _ZN7rocprim17ROCPRIM_400000_NS6detail17trampoline_kernelINS0_14default_configENS1_38merge_sort_block_merge_config_selectorIlNS0_10empty_typeEEEZZNS1_27merge_sort_block_merge_implIS3_PlPS5_mZN2at6native12_GLOBAL__N_124unique_dim_cuda_templateIaEESt5tupleIJNSA_6TensorESF_SF_EERKSF_lbbbEUlllE_EE10hipError_tT0_T1_T2_jT3_P12ihipStream_tbPNSt15iterator_traitsISL_E10value_typeEPNSR_ISM_E10value_typeEPSN_NS1_7vsmem_tEENKUlT_SL_SM_SN_E_clIS8_S8_S9_S9_EESK_S10_SL_SM_SN_EUlS10_E_NS1_11comp_targetILNS1_3genE4ELNS1_11target_archE910ELNS1_3gpuE8ELNS1_3repE0EEENS1_48merge_mergepath_partition_config_static_selectorELNS0_4arch9wavefront6targetE1EEEvSM_.kd
    .uniform_work_group_size: 1
    .uses_dynamic_stack: false
    .vgpr_count:     23
    .vgpr_spill_count: 0
    .wavefront_size: 64
  - .agpr_count:     0
    .args:
      - .offset:         0
        .size:           56
        .value_kind:     by_value
    .group_segment_fixed_size: 0
    .kernarg_segment_align: 8
    .kernarg_segment_size: 56
    .language:       OpenCL C
    .language_version:
      - 2
      - 0
    .max_flat_workgroup_size: 128
    .name:           _ZN7rocprim17ROCPRIM_400000_NS6detail17trampoline_kernelINS0_14default_configENS1_38merge_sort_block_merge_config_selectorIlNS0_10empty_typeEEEZZNS1_27merge_sort_block_merge_implIS3_PlPS5_mZN2at6native12_GLOBAL__N_124unique_dim_cuda_templateIaEESt5tupleIJNSA_6TensorESF_SF_EERKSF_lbbbEUlllE_EE10hipError_tT0_T1_T2_jT3_P12ihipStream_tbPNSt15iterator_traitsISL_E10value_typeEPNSR_ISM_E10value_typeEPSN_NS1_7vsmem_tEENKUlT_SL_SM_SN_E_clIS8_S8_S9_S9_EESK_S10_SL_SM_SN_EUlS10_E_NS1_11comp_targetILNS1_3genE3ELNS1_11target_archE908ELNS1_3gpuE7ELNS1_3repE0EEENS1_48merge_mergepath_partition_config_static_selectorELNS0_4arch9wavefront6targetE1EEEvSM_
    .private_segment_fixed_size: 0
    .sgpr_count:     4
    .sgpr_spill_count: 0
    .symbol:         _ZN7rocprim17ROCPRIM_400000_NS6detail17trampoline_kernelINS0_14default_configENS1_38merge_sort_block_merge_config_selectorIlNS0_10empty_typeEEEZZNS1_27merge_sort_block_merge_implIS3_PlPS5_mZN2at6native12_GLOBAL__N_124unique_dim_cuda_templateIaEESt5tupleIJNSA_6TensorESF_SF_EERKSF_lbbbEUlllE_EE10hipError_tT0_T1_T2_jT3_P12ihipStream_tbPNSt15iterator_traitsISL_E10value_typeEPNSR_ISM_E10value_typeEPSN_NS1_7vsmem_tEENKUlT_SL_SM_SN_E_clIS8_S8_S9_S9_EESK_S10_SL_SM_SN_EUlS10_E_NS1_11comp_targetILNS1_3genE3ELNS1_11target_archE908ELNS1_3gpuE7ELNS1_3repE0EEENS1_48merge_mergepath_partition_config_static_selectorELNS0_4arch9wavefront6targetE1EEEvSM_.kd
    .uniform_work_group_size: 1
    .uses_dynamic_stack: false
    .vgpr_count:     0
    .vgpr_spill_count: 0
    .wavefront_size: 64
  - .agpr_count:     0
    .args:
      - .offset:         0
        .size:           56
        .value_kind:     by_value
    .group_segment_fixed_size: 0
    .kernarg_segment_align: 8
    .kernarg_segment_size: 56
    .language:       OpenCL C
    .language_version:
      - 2
      - 0
    .max_flat_workgroup_size: 128
    .name:           _ZN7rocprim17ROCPRIM_400000_NS6detail17trampoline_kernelINS0_14default_configENS1_38merge_sort_block_merge_config_selectorIlNS0_10empty_typeEEEZZNS1_27merge_sort_block_merge_implIS3_PlPS5_mZN2at6native12_GLOBAL__N_124unique_dim_cuda_templateIaEESt5tupleIJNSA_6TensorESF_SF_EERKSF_lbbbEUlllE_EE10hipError_tT0_T1_T2_jT3_P12ihipStream_tbPNSt15iterator_traitsISL_E10value_typeEPNSR_ISM_E10value_typeEPSN_NS1_7vsmem_tEENKUlT_SL_SM_SN_E_clIS8_S8_S9_S9_EESK_S10_SL_SM_SN_EUlS10_E_NS1_11comp_targetILNS1_3genE2ELNS1_11target_archE906ELNS1_3gpuE6ELNS1_3repE0EEENS1_48merge_mergepath_partition_config_static_selectorELNS0_4arch9wavefront6targetE1EEEvSM_
    .private_segment_fixed_size: 0
    .sgpr_count:     4
    .sgpr_spill_count: 0
    .symbol:         _ZN7rocprim17ROCPRIM_400000_NS6detail17trampoline_kernelINS0_14default_configENS1_38merge_sort_block_merge_config_selectorIlNS0_10empty_typeEEEZZNS1_27merge_sort_block_merge_implIS3_PlPS5_mZN2at6native12_GLOBAL__N_124unique_dim_cuda_templateIaEESt5tupleIJNSA_6TensorESF_SF_EERKSF_lbbbEUlllE_EE10hipError_tT0_T1_T2_jT3_P12ihipStream_tbPNSt15iterator_traitsISL_E10value_typeEPNSR_ISM_E10value_typeEPSN_NS1_7vsmem_tEENKUlT_SL_SM_SN_E_clIS8_S8_S9_S9_EESK_S10_SL_SM_SN_EUlS10_E_NS1_11comp_targetILNS1_3genE2ELNS1_11target_archE906ELNS1_3gpuE6ELNS1_3repE0EEENS1_48merge_mergepath_partition_config_static_selectorELNS0_4arch9wavefront6targetE1EEEvSM_.kd
    .uniform_work_group_size: 1
    .uses_dynamic_stack: false
    .vgpr_count:     0
    .vgpr_spill_count: 0
    .wavefront_size: 64
  - .agpr_count:     0
    .args:
      - .offset:         0
        .size:           56
        .value_kind:     by_value
    .group_segment_fixed_size: 0
    .kernarg_segment_align: 8
    .kernarg_segment_size: 56
    .language:       OpenCL C
    .language_version:
      - 2
      - 0
    .max_flat_workgroup_size: 128
    .name:           _ZN7rocprim17ROCPRIM_400000_NS6detail17trampoline_kernelINS0_14default_configENS1_38merge_sort_block_merge_config_selectorIlNS0_10empty_typeEEEZZNS1_27merge_sort_block_merge_implIS3_PlPS5_mZN2at6native12_GLOBAL__N_124unique_dim_cuda_templateIaEESt5tupleIJNSA_6TensorESF_SF_EERKSF_lbbbEUlllE_EE10hipError_tT0_T1_T2_jT3_P12ihipStream_tbPNSt15iterator_traitsISL_E10value_typeEPNSR_ISM_E10value_typeEPSN_NS1_7vsmem_tEENKUlT_SL_SM_SN_E_clIS8_S8_S9_S9_EESK_S10_SL_SM_SN_EUlS10_E_NS1_11comp_targetILNS1_3genE9ELNS1_11target_archE1100ELNS1_3gpuE3ELNS1_3repE0EEENS1_48merge_mergepath_partition_config_static_selectorELNS0_4arch9wavefront6targetE1EEEvSM_
    .private_segment_fixed_size: 0
    .sgpr_count:     4
    .sgpr_spill_count: 0
    .symbol:         _ZN7rocprim17ROCPRIM_400000_NS6detail17trampoline_kernelINS0_14default_configENS1_38merge_sort_block_merge_config_selectorIlNS0_10empty_typeEEEZZNS1_27merge_sort_block_merge_implIS3_PlPS5_mZN2at6native12_GLOBAL__N_124unique_dim_cuda_templateIaEESt5tupleIJNSA_6TensorESF_SF_EERKSF_lbbbEUlllE_EE10hipError_tT0_T1_T2_jT3_P12ihipStream_tbPNSt15iterator_traitsISL_E10value_typeEPNSR_ISM_E10value_typeEPSN_NS1_7vsmem_tEENKUlT_SL_SM_SN_E_clIS8_S8_S9_S9_EESK_S10_SL_SM_SN_EUlS10_E_NS1_11comp_targetILNS1_3genE9ELNS1_11target_archE1100ELNS1_3gpuE3ELNS1_3repE0EEENS1_48merge_mergepath_partition_config_static_selectorELNS0_4arch9wavefront6targetE1EEEvSM_.kd
    .uniform_work_group_size: 1
    .uses_dynamic_stack: false
    .vgpr_count:     0
    .vgpr_spill_count: 0
    .wavefront_size: 64
  - .agpr_count:     0
    .args:
      - .offset:         0
        .size:           56
        .value_kind:     by_value
    .group_segment_fixed_size: 0
    .kernarg_segment_align: 8
    .kernarg_segment_size: 56
    .language:       OpenCL C
    .language_version:
      - 2
      - 0
    .max_flat_workgroup_size: 128
    .name:           _ZN7rocprim17ROCPRIM_400000_NS6detail17trampoline_kernelINS0_14default_configENS1_38merge_sort_block_merge_config_selectorIlNS0_10empty_typeEEEZZNS1_27merge_sort_block_merge_implIS3_PlPS5_mZN2at6native12_GLOBAL__N_124unique_dim_cuda_templateIaEESt5tupleIJNSA_6TensorESF_SF_EERKSF_lbbbEUlllE_EE10hipError_tT0_T1_T2_jT3_P12ihipStream_tbPNSt15iterator_traitsISL_E10value_typeEPNSR_ISM_E10value_typeEPSN_NS1_7vsmem_tEENKUlT_SL_SM_SN_E_clIS8_S8_S9_S9_EESK_S10_SL_SM_SN_EUlS10_E_NS1_11comp_targetILNS1_3genE8ELNS1_11target_archE1030ELNS1_3gpuE2ELNS1_3repE0EEENS1_48merge_mergepath_partition_config_static_selectorELNS0_4arch9wavefront6targetE1EEEvSM_
    .private_segment_fixed_size: 0
    .sgpr_count:     4
    .sgpr_spill_count: 0
    .symbol:         _ZN7rocprim17ROCPRIM_400000_NS6detail17trampoline_kernelINS0_14default_configENS1_38merge_sort_block_merge_config_selectorIlNS0_10empty_typeEEEZZNS1_27merge_sort_block_merge_implIS3_PlPS5_mZN2at6native12_GLOBAL__N_124unique_dim_cuda_templateIaEESt5tupleIJNSA_6TensorESF_SF_EERKSF_lbbbEUlllE_EE10hipError_tT0_T1_T2_jT3_P12ihipStream_tbPNSt15iterator_traitsISL_E10value_typeEPNSR_ISM_E10value_typeEPSN_NS1_7vsmem_tEENKUlT_SL_SM_SN_E_clIS8_S8_S9_S9_EESK_S10_SL_SM_SN_EUlS10_E_NS1_11comp_targetILNS1_3genE8ELNS1_11target_archE1030ELNS1_3gpuE2ELNS1_3repE0EEENS1_48merge_mergepath_partition_config_static_selectorELNS0_4arch9wavefront6targetE1EEEvSM_.kd
    .uniform_work_group_size: 1
    .uses_dynamic_stack: false
    .vgpr_count:     0
    .vgpr_spill_count: 0
    .wavefront_size: 64
  - .agpr_count:     0
    .args:
      - .offset:         0
        .size:           88
        .value_kind:     by_value
    .group_segment_fixed_size: 0
    .kernarg_segment_align: 8
    .kernarg_segment_size: 88
    .language:       OpenCL C
    .language_version:
      - 2
      - 0
    .max_flat_workgroup_size: 128
    .name:           _ZN7rocprim17ROCPRIM_400000_NS6detail17trampoline_kernelINS0_14default_configENS1_38merge_sort_block_merge_config_selectorIlNS0_10empty_typeEEEZZNS1_27merge_sort_block_merge_implIS3_PlPS5_mZN2at6native12_GLOBAL__N_124unique_dim_cuda_templateIaEESt5tupleIJNSA_6TensorESF_SF_EERKSF_lbbbEUlllE_EE10hipError_tT0_T1_T2_jT3_P12ihipStream_tbPNSt15iterator_traitsISL_E10value_typeEPNSR_ISM_E10value_typeEPSN_NS1_7vsmem_tEENKUlT_SL_SM_SN_E_clIS8_S8_S9_S9_EESK_S10_SL_SM_SN_EUlS10_E0_NS1_11comp_targetILNS1_3genE0ELNS1_11target_archE4294967295ELNS1_3gpuE0ELNS1_3repE0EEENS1_38merge_mergepath_config_static_selectorELNS0_4arch9wavefront6targetE1EEEvSM_
    .private_segment_fixed_size: 0
    .sgpr_count:     4
    .sgpr_spill_count: 0
    .symbol:         _ZN7rocprim17ROCPRIM_400000_NS6detail17trampoline_kernelINS0_14default_configENS1_38merge_sort_block_merge_config_selectorIlNS0_10empty_typeEEEZZNS1_27merge_sort_block_merge_implIS3_PlPS5_mZN2at6native12_GLOBAL__N_124unique_dim_cuda_templateIaEESt5tupleIJNSA_6TensorESF_SF_EERKSF_lbbbEUlllE_EE10hipError_tT0_T1_T2_jT3_P12ihipStream_tbPNSt15iterator_traitsISL_E10value_typeEPNSR_ISM_E10value_typeEPSN_NS1_7vsmem_tEENKUlT_SL_SM_SN_E_clIS8_S8_S9_S9_EESK_S10_SL_SM_SN_EUlS10_E0_NS1_11comp_targetILNS1_3genE0ELNS1_11target_archE4294967295ELNS1_3gpuE0ELNS1_3repE0EEENS1_38merge_mergepath_config_static_selectorELNS0_4arch9wavefront6targetE1EEEvSM_.kd
    .uniform_work_group_size: 1
    .uses_dynamic_stack: false
    .vgpr_count:     0
    .vgpr_spill_count: 0
    .wavefront_size: 64
  - .agpr_count:     0
    .args:
      - .offset:         0
        .size:           88
        .value_kind:     by_value
    .group_segment_fixed_size: 0
    .kernarg_segment_align: 8
    .kernarg_segment_size: 88
    .language:       OpenCL C
    .language_version:
      - 2
      - 0
    .max_flat_workgroup_size: 512
    .name:           _ZN7rocprim17ROCPRIM_400000_NS6detail17trampoline_kernelINS0_14default_configENS1_38merge_sort_block_merge_config_selectorIlNS0_10empty_typeEEEZZNS1_27merge_sort_block_merge_implIS3_PlPS5_mZN2at6native12_GLOBAL__N_124unique_dim_cuda_templateIaEESt5tupleIJNSA_6TensorESF_SF_EERKSF_lbbbEUlllE_EE10hipError_tT0_T1_T2_jT3_P12ihipStream_tbPNSt15iterator_traitsISL_E10value_typeEPNSR_ISM_E10value_typeEPSN_NS1_7vsmem_tEENKUlT_SL_SM_SN_E_clIS8_S8_S9_S9_EESK_S10_SL_SM_SN_EUlS10_E0_NS1_11comp_targetILNS1_3genE10ELNS1_11target_archE1201ELNS1_3gpuE5ELNS1_3repE0EEENS1_38merge_mergepath_config_static_selectorELNS0_4arch9wavefront6targetE1EEEvSM_
    .private_segment_fixed_size: 0
    .sgpr_count:     4
    .sgpr_spill_count: 0
    .symbol:         _ZN7rocprim17ROCPRIM_400000_NS6detail17trampoline_kernelINS0_14default_configENS1_38merge_sort_block_merge_config_selectorIlNS0_10empty_typeEEEZZNS1_27merge_sort_block_merge_implIS3_PlPS5_mZN2at6native12_GLOBAL__N_124unique_dim_cuda_templateIaEESt5tupleIJNSA_6TensorESF_SF_EERKSF_lbbbEUlllE_EE10hipError_tT0_T1_T2_jT3_P12ihipStream_tbPNSt15iterator_traitsISL_E10value_typeEPNSR_ISM_E10value_typeEPSN_NS1_7vsmem_tEENKUlT_SL_SM_SN_E_clIS8_S8_S9_S9_EESK_S10_SL_SM_SN_EUlS10_E0_NS1_11comp_targetILNS1_3genE10ELNS1_11target_archE1201ELNS1_3gpuE5ELNS1_3repE0EEENS1_38merge_mergepath_config_static_selectorELNS0_4arch9wavefront6targetE1EEEvSM_.kd
    .uniform_work_group_size: 1
    .uses_dynamic_stack: false
    .vgpr_count:     0
    .vgpr_spill_count: 0
    .wavefront_size: 64
  - .agpr_count:     0
    .args:
      - .offset:         0
        .size:           88
        .value_kind:     by_value
    .group_segment_fixed_size: 0
    .kernarg_segment_align: 8
    .kernarg_segment_size: 88
    .language:       OpenCL C
    .language_version:
      - 2
      - 0
    .max_flat_workgroup_size: 128
    .name:           _ZN7rocprim17ROCPRIM_400000_NS6detail17trampoline_kernelINS0_14default_configENS1_38merge_sort_block_merge_config_selectorIlNS0_10empty_typeEEEZZNS1_27merge_sort_block_merge_implIS3_PlPS5_mZN2at6native12_GLOBAL__N_124unique_dim_cuda_templateIaEESt5tupleIJNSA_6TensorESF_SF_EERKSF_lbbbEUlllE_EE10hipError_tT0_T1_T2_jT3_P12ihipStream_tbPNSt15iterator_traitsISL_E10value_typeEPNSR_ISM_E10value_typeEPSN_NS1_7vsmem_tEENKUlT_SL_SM_SN_E_clIS8_S8_S9_S9_EESK_S10_SL_SM_SN_EUlS10_E0_NS1_11comp_targetILNS1_3genE5ELNS1_11target_archE942ELNS1_3gpuE9ELNS1_3repE0EEENS1_38merge_mergepath_config_static_selectorELNS0_4arch9wavefront6targetE1EEEvSM_
    .private_segment_fixed_size: 0
    .sgpr_count:     4
    .sgpr_spill_count: 0
    .symbol:         _ZN7rocprim17ROCPRIM_400000_NS6detail17trampoline_kernelINS0_14default_configENS1_38merge_sort_block_merge_config_selectorIlNS0_10empty_typeEEEZZNS1_27merge_sort_block_merge_implIS3_PlPS5_mZN2at6native12_GLOBAL__N_124unique_dim_cuda_templateIaEESt5tupleIJNSA_6TensorESF_SF_EERKSF_lbbbEUlllE_EE10hipError_tT0_T1_T2_jT3_P12ihipStream_tbPNSt15iterator_traitsISL_E10value_typeEPNSR_ISM_E10value_typeEPSN_NS1_7vsmem_tEENKUlT_SL_SM_SN_E_clIS8_S8_S9_S9_EESK_S10_SL_SM_SN_EUlS10_E0_NS1_11comp_targetILNS1_3genE5ELNS1_11target_archE942ELNS1_3gpuE9ELNS1_3repE0EEENS1_38merge_mergepath_config_static_selectorELNS0_4arch9wavefront6targetE1EEEvSM_.kd
    .uniform_work_group_size: 1
    .uses_dynamic_stack: false
    .vgpr_count:     0
    .vgpr_spill_count: 0
    .wavefront_size: 64
  - .agpr_count:     0
    .args:
      - .offset:         0
        .size:           88
        .value_kind:     by_value
      - .offset:         88
        .size:           4
        .value_kind:     hidden_block_count_x
      - .offset:         92
        .size:           4
        .value_kind:     hidden_block_count_y
      - .offset:         96
        .size:           4
        .value_kind:     hidden_block_count_z
      - .offset:         100
        .size:           2
        .value_kind:     hidden_group_size_x
      - .offset:         102
        .size:           2
        .value_kind:     hidden_group_size_y
      - .offset:         104
        .size:           2
        .value_kind:     hidden_group_size_z
      - .offset:         106
        .size:           2
        .value_kind:     hidden_remainder_x
      - .offset:         108
        .size:           2
        .value_kind:     hidden_remainder_y
      - .offset:         110
        .size:           2
        .value_kind:     hidden_remainder_z
      - .offset:         128
        .size:           8
        .value_kind:     hidden_global_offset_x
      - .offset:         136
        .size:           8
        .value_kind:     hidden_global_offset_y
      - .offset:         144
        .size:           8
        .value_kind:     hidden_global_offset_z
      - .offset:         152
        .size:           2
        .value_kind:     hidden_grid_dims
    .group_segment_fixed_size: 8448
    .kernarg_segment_align: 8
    .kernarg_segment_size: 344
    .language:       OpenCL C
    .language_version:
      - 2
      - 0
    .max_flat_workgroup_size: 256
    .name:           _ZN7rocprim17ROCPRIM_400000_NS6detail17trampoline_kernelINS0_14default_configENS1_38merge_sort_block_merge_config_selectorIlNS0_10empty_typeEEEZZNS1_27merge_sort_block_merge_implIS3_PlPS5_mZN2at6native12_GLOBAL__N_124unique_dim_cuda_templateIaEESt5tupleIJNSA_6TensorESF_SF_EERKSF_lbbbEUlllE_EE10hipError_tT0_T1_T2_jT3_P12ihipStream_tbPNSt15iterator_traitsISL_E10value_typeEPNSR_ISM_E10value_typeEPSN_NS1_7vsmem_tEENKUlT_SL_SM_SN_E_clIS8_S8_S9_S9_EESK_S10_SL_SM_SN_EUlS10_E0_NS1_11comp_targetILNS1_3genE4ELNS1_11target_archE910ELNS1_3gpuE8ELNS1_3repE0EEENS1_38merge_mergepath_config_static_selectorELNS0_4arch9wavefront6targetE1EEEvSM_
    .private_segment_fixed_size: 0
    .sgpr_count:     50
    .sgpr_spill_count: 0
    .symbol:         _ZN7rocprim17ROCPRIM_400000_NS6detail17trampoline_kernelINS0_14default_configENS1_38merge_sort_block_merge_config_selectorIlNS0_10empty_typeEEEZZNS1_27merge_sort_block_merge_implIS3_PlPS5_mZN2at6native12_GLOBAL__N_124unique_dim_cuda_templateIaEESt5tupleIJNSA_6TensorESF_SF_EERKSF_lbbbEUlllE_EE10hipError_tT0_T1_T2_jT3_P12ihipStream_tbPNSt15iterator_traitsISL_E10value_typeEPNSR_ISM_E10value_typeEPSN_NS1_7vsmem_tEENKUlT_SL_SM_SN_E_clIS8_S8_S9_S9_EESK_S10_SL_SM_SN_EUlS10_E0_NS1_11comp_targetILNS1_3genE4ELNS1_11target_archE910ELNS1_3gpuE8ELNS1_3repE0EEENS1_38merge_mergepath_config_static_selectorELNS0_4arch9wavefront6targetE1EEEvSM_.kd
    .uniform_work_group_size: 1
    .uses_dynamic_stack: false
    .vgpr_count:     24
    .vgpr_spill_count: 0
    .wavefront_size: 64
  - .agpr_count:     0
    .args:
      - .offset:         0
        .size:           88
        .value_kind:     by_value
    .group_segment_fixed_size: 0
    .kernarg_segment_align: 8
    .kernarg_segment_size: 88
    .language:       OpenCL C
    .language_version:
      - 2
      - 0
    .max_flat_workgroup_size: 128
    .name:           _ZN7rocprim17ROCPRIM_400000_NS6detail17trampoline_kernelINS0_14default_configENS1_38merge_sort_block_merge_config_selectorIlNS0_10empty_typeEEEZZNS1_27merge_sort_block_merge_implIS3_PlPS5_mZN2at6native12_GLOBAL__N_124unique_dim_cuda_templateIaEESt5tupleIJNSA_6TensorESF_SF_EERKSF_lbbbEUlllE_EE10hipError_tT0_T1_T2_jT3_P12ihipStream_tbPNSt15iterator_traitsISL_E10value_typeEPNSR_ISM_E10value_typeEPSN_NS1_7vsmem_tEENKUlT_SL_SM_SN_E_clIS8_S8_S9_S9_EESK_S10_SL_SM_SN_EUlS10_E0_NS1_11comp_targetILNS1_3genE3ELNS1_11target_archE908ELNS1_3gpuE7ELNS1_3repE0EEENS1_38merge_mergepath_config_static_selectorELNS0_4arch9wavefront6targetE1EEEvSM_
    .private_segment_fixed_size: 0
    .sgpr_count:     4
    .sgpr_spill_count: 0
    .symbol:         _ZN7rocprim17ROCPRIM_400000_NS6detail17trampoline_kernelINS0_14default_configENS1_38merge_sort_block_merge_config_selectorIlNS0_10empty_typeEEEZZNS1_27merge_sort_block_merge_implIS3_PlPS5_mZN2at6native12_GLOBAL__N_124unique_dim_cuda_templateIaEESt5tupleIJNSA_6TensorESF_SF_EERKSF_lbbbEUlllE_EE10hipError_tT0_T1_T2_jT3_P12ihipStream_tbPNSt15iterator_traitsISL_E10value_typeEPNSR_ISM_E10value_typeEPSN_NS1_7vsmem_tEENKUlT_SL_SM_SN_E_clIS8_S8_S9_S9_EESK_S10_SL_SM_SN_EUlS10_E0_NS1_11comp_targetILNS1_3genE3ELNS1_11target_archE908ELNS1_3gpuE7ELNS1_3repE0EEENS1_38merge_mergepath_config_static_selectorELNS0_4arch9wavefront6targetE1EEEvSM_.kd
    .uniform_work_group_size: 1
    .uses_dynamic_stack: false
    .vgpr_count:     0
    .vgpr_spill_count: 0
    .wavefront_size: 64
  - .agpr_count:     0
    .args:
      - .offset:         0
        .size:           88
        .value_kind:     by_value
    .group_segment_fixed_size: 0
    .kernarg_segment_align: 8
    .kernarg_segment_size: 88
    .language:       OpenCL C
    .language_version:
      - 2
      - 0
    .max_flat_workgroup_size: 256
    .name:           _ZN7rocprim17ROCPRIM_400000_NS6detail17trampoline_kernelINS0_14default_configENS1_38merge_sort_block_merge_config_selectorIlNS0_10empty_typeEEEZZNS1_27merge_sort_block_merge_implIS3_PlPS5_mZN2at6native12_GLOBAL__N_124unique_dim_cuda_templateIaEESt5tupleIJNSA_6TensorESF_SF_EERKSF_lbbbEUlllE_EE10hipError_tT0_T1_T2_jT3_P12ihipStream_tbPNSt15iterator_traitsISL_E10value_typeEPNSR_ISM_E10value_typeEPSN_NS1_7vsmem_tEENKUlT_SL_SM_SN_E_clIS8_S8_S9_S9_EESK_S10_SL_SM_SN_EUlS10_E0_NS1_11comp_targetILNS1_3genE2ELNS1_11target_archE906ELNS1_3gpuE6ELNS1_3repE0EEENS1_38merge_mergepath_config_static_selectorELNS0_4arch9wavefront6targetE1EEEvSM_
    .private_segment_fixed_size: 0
    .sgpr_count:     4
    .sgpr_spill_count: 0
    .symbol:         _ZN7rocprim17ROCPRIM_400000_NS6detail17trampoline_kernelINS0_14default_configENS1_38merge_sort_block_merge_config_selectorIlNS0_10empty_typeEEEZZNS1_27merge_sort_block_merge_implIS3_PlPS5_mZN2at6native12_GLOBAL__N_124unique_dim_cuda_templateIaEESt5tupleIJNSA_6TensorESF_SF_EERKSF_lbbbEUlllE_EE10hipError_tT0_T1_T2_jT3_P12ihipStream_tbPNSt15iterator_traitsISL_E10value_typeEPNSR_ISM_E10value_typeEPSN_NS1_7vsmem_tEENKUlT_SL_SM_SN_E_clIS8_S8_S9_S9_EESK_S10_SL_SM_SN_EUlS10_E0_NS1_11comp_targetILNS1_3genE2ELNS1_11target_archE906ELNS1_3gpuE6ELNS1_3repE0EEENS1_38merge_mergepath_config_static_selectorELNS0_4arch9wavefront6targetE1EEEvSM_.kd
    .uniform_work_group_size: 1
    .uses_dynamic_stack: false
    .vgpr_count:     0
    .vgpr_spill_count: 0
    .wavefront_size: 64
  - .agpr_count:     0
    .args:
      - .offset:         0
        .size:           88
        .value_kind:     by_value
    .group_segment_fixed_size: 0
    .kernarg_segment_align: 8
    .kernarg_segment_size: 88
    .language:       OpenCL C
    .language_version:
      - 2
      - 0
    .max_flat_workgroup_size: 512
    .name:           _ZN7rocprim17ROCPRIM_400000_NS6detail17trampoline_kernelINS0_14default_configENS1_38merge_sort_block_merge_config_selectorIlNS0_10empty_typeEEEZZNS1_27merge_sort_block_merge_implIS3_PlPS5_mZN2at6native12_GLOBAL__N_124unique_dim_cuda_templateIaEESt5tupleIJNSA_6TensorESF_SF_EERKSF_lbbbEUlllE_EE10hipError_tT0_T1_T2_jT3_P12ihipStream_tbPNSt15iterator_traitsISL_E10value_typeEPNSR_ISM_E10value_typeEPSN_NS1_7vsmem_tEENKUlT_SL_SM_SN_E_clIS8_S8_S9_S9_EESK_S10_SL_SM_SN_EUlS10_E0_NS1_11comp_targetILNS1_3genE9ELNS1_11target_archE1100ELNS1_3gpuE3ELNS1_3repE0EEENS1_38merge_mergepath_config_static_selectorELNS0_4arch9wavefront6targetE1EEEvSM_
    .private_segment_fixed_size: 0
    .sgpr_count:     4
    .sgpr_spill_count: 0
    .symbol:         _ZN7rocprim17ROCPRIM_400000_NS6detail17trampoline_kernelINS0_14default_configENS1_38merge_sort_block_merge_config_selectorIlNS0_10empty_typeEEEZZNS1_27merge_sort_block_merge_implIS3_PlPS5_mZN2at6native12_GLOBAL__N_124unique_dim_cuda_templateIaEESt5tupleIJNSA_6TensorESF_SF_EERKSF_lbbbEUlllE_EE10hipError_tT0_T1_T2_jT3_P12ihipStream_tbPNSt15iterator_traitsISL_E10value_typeEPNSR_ISM_E10value_typeEPSN_NS1_7vsmem_tEENKUlT_SL_SM_SN_E_clIS8_S8_S9_S9_EESK_S10_SL_SM_SN_EUlS10_E0_NS1_11comp_targetILNS1_3genE9ELNS1_11target_archE1100ELNS1_3gpuE3ELNS1_3repE0EEENS1_38merge_mergepath_config_static_selectorELNS0_4arch9wavefront6targetE1EEEvSM_.kd
    .uniform_work_group_size: 1
    .uses_dynamic_stack: false
    .vgpr_count:     0
    .vgpr_spill_count: 0
    .wavefront_size: 64
  - .agpr_count:     0
    .args:
      - .offset:         0
        .size:           88
        .value_kind:     by_value
    .group_segment_fixed_size: 0
    .kernarg_segment_align: 8
    .kernarg_segment_size: 88
    .language:       OpenCL C
    .language_version:
      - 2
      - 0
    .max_flat_workgroup_size: 1024
    .name:           _ZN7rocprim17ROCPRIM_400000_NS6detail17trampoline_kernelINS0_14default_configENS1_38merge_sort_block_merge_config_selectorIlNS0_10empty_typeEEEZZNS1_27merge_sort_block_merge_implIS3_PlPS5_mZN2at6native12_GLOBAL__N_124unique_dim_cuda_templateIaEESt5tupleIJNSA_6TensorESF_SF_EERKSF_lbbbEUlllE_EE10hipError_tT0_T1_T2_jT3_P12ihipStream_tbPNSt15iterator_traitsISL_E10value_typeEPNSR_ISM_E10value_typeEPSN_NS1_7vsmem_tEENKUlT_SL_SM_SN_E_clIS8_S8_S9_S9_EESK_S10_SL_SM_SN_EUlS10_E0_NS1_11comp_targetILNS1_3genE8ELNS1_11target_archE1030ELNS1_3gpuE2ELNS1_3repE0EEENS1_38merge_mergepath_config_static_selectorELNS0_4arch9wavefront6targetE1EEEvSM_
    .private_segment_fixed_size: 0
    .sgpr_count:     4
    .sgpr_spill_count: 0
    .symbol:         _ZN7rocprim17ROCPRIM_400000_NS6detail17trampoline_kernelINS0_14default_configENS1_38merge_sort_block_merge_config_selectorIlNS0_10empty_typeEEEZZNS1_27merge_sort_block_merge_implIS3_PlPS5_mZN2at6native12_GLOBAL__N_124unique_dim_cuda_templateIaEESt5tupleIJNSA_6TensorESF_SF_EERKSF_lbbbEUlllE_EE10hipError_tT0_T1_T2_jT3_P12ihipStream_tbPNSt15iterator_traitsISL_E10value_typeEPNSR_ISM_E10value_typeEPSN_NS1_7vsmem_tEENKUlT_SL_SM_SN_E_clIS8_S8_S9_S9_EESK_S10_SL_SM_SN_EUlS10_E0_NS1_11comp_targetILNS1_3genE8ELNS1_11target_archE1030ELNS1_3gpuE2ELNS1_3repE0EEENS1_38merge_mergepath_config_static_selectorELNS0_4arch9wavefront6targetE1EEEvSM_.kd
    .uniform_work_group_size: 1
    .uses_dynamic_stack: false
    .vgpr_count:     0
    .vgpr_spill_count: 0
    .wavefront_size: 64
  - .agpr_count:     0
    .args:
      - .offset:         0
        .size:           64
        .value_kind:     by_value
    .group_segment_fixed_size: 0
    .kernarg_segment_align: 8
    .kernarg_segment_size: 64
    .language:       OpenCL C
    .language_version:
      - 2
      - 0
    .max_flat_workgroup_size: 256
    .name:           _ZN7rocprim17ROCPRIM_400000_NS6detail17trampoline_kernelINS0_14default_configENS1_38merge_sort_block_merge_config_selectorIlNS0_10empty_typeEEEZZNS1_27merge_sort_block_merge_implIS3_PlPS5_mZN2at6native12_GLOBAL__N_124unique_dim_cuda_templateIaEESt5tupleIJNSA_6TensorESF_SF_EERKSF_lbbbEUlllE_EE10hipError_tT0_T1_T2_jT3_P12ihipStream_tbPNSt15iterator_traitsISL_E10value_typeEPNSR_ISM_E10value_typeEPSN_NS1_7vsmem_tEENKUlT_SL_SM_SN_E_clIS8_S8_S9_S9_EESK_S10_SL_SM_SN_EUlS10_E1_NS1_11comp_targetILNS1_3genE0ELNS1_11target_archE4294967295ELNS1_3gpuE0ELNS1_3repE0EEENS1_36merge_oddeven_config_static_selectorELNS0_4arch9wavefront6targetE1EEEvSM_
    .private_segment_fixed_size: 0
    .sgpr_count:     4
    .sgpr_spill_count: 0
    .symbol:         _ZN7rocprim17ROCPRIM_400000_NS6detail17trampoline_kernelINS0_14default_configENS1_38merge_sort_block_merge_config_selectorIlNS0_10empty_typeEEEZZNS1_27merge_sort_block_merge_implIS3_PlPS5_mZN2at6native12_GLOBAL__N_124unique_dim_cuda_templateIaEESt5tupleIJNSA_6TensorESF_SF_EERKSF_lbbbEUlllE_EE10hipError_tT0_T1_T2_jT3_P12ihipStream_tbPNSt15iterator_traitsISL_E10value_typeEPNSR_ISM_E10value_typeEPSN_NS1_7vsmem_tEENKUlT_SL_SM_SN_E_clIS8_S8_S9_S9_EESK_S10_SL_SM_SN_EUlS10_E1_NS1_11comp_targetILNS1_3genE0ELNS1_11target_archE4294967295ELNS1_3gpuE0ELNS1_3repE0EEENS1_36merge_oddeven_config_static_selectorELNS0_4arch9wavefront6targetE1EEEvSM_.kd
    .uniform_work_group_size: 1
    .uses_dynamic_stack: false
    .vgpr_count:     0
    .vgpr_spill_count: 0
    .wavefront_size: 64
  - .agpr_count:     0
    .args:
      - .offset:         0
        .size:           64
        .value_kind:     by_value
    .group_segment_fixed_size: 0
    .kernarg_segment_align: 8
    .kernarg_segment_size: 64
    .language:       OpenCL C
    .language_version:
      - 2
      - 0
    .max_flat_workgroup_size: 256
    .name:           _ZN7rocprim17ROCPRIM_400000_NS6detail17trampoline_kernelINS0_14default_configENS1_38merge_sort_block_merge_config_selectorIlNS0_10empty_typeEEEZZNS1_27merge_sort_block_merge_implIS3_PlPS5_mZN2at6native12_GLOBAL__N_124unique_dim_cuda_templateIaEESt5tupleIJNSA_6TensorESF_SF_EERKSF_lbbbEUlllE_EE10hipError_tT0_T1_T2_jT3_P12ihipStream_tbPNSt15iterator_traitsISL_E10value_typeEPNSR_ISM_E10value_typeEPSN_NS1_7vsmem_tEENKUlT_SL_SM_SN_E_clIS8_S8_S9_S9_EESK_S10_SL_SM_SN_EUlS10_E1_NS1_11comp_targetILNS1_3genE10ELNS1_11target_archE1201ELNS1_3gpuE5ELNS1_3repE0EEENS1_36merge_oddeven_config_static_selectorELNS0_4arch9wavefront6targetE1EEEvSM_
    .private_segment_fixed_size: 0
    .sgpr_count:     4
    .sgpr_spill_count: 0
    .symbol:         _ZN7rocprim17ROCPRIM_400000_NS6detail17trampoline_kernelINS0_14default_configENS1_38merge_sort_block_merge_config_selectorIlNS0_10empty_typeEEEZZNS1_27merge_sort_block_merge_implIS3_PlPS5_mZN2at6native12_GLOBAL__N_124unique_dim_cuda_templateIaEESt5tupleIJNSA_6TensorESF_SF_EERKSF_lbbbEUlllE_EE10hipError_tT0_T1_T2_jT3_P12ihipStream_tbPNSt15iterator_traitsISL_E10value_typeEPNSR_ISM_E10value_typeEPSN_NS1_7vsmem_tEENKUlT_SL_SM_SN_E_clIS8_S8_S9_S9_EESK_S10_SL_SM_SN_EUlS10_E1_NS1_11comp_targetILNS1_3genE10ELNS1_11target_archE1201ELNS1_3gpuE5ELNS1_3repE0EEENS1_36merge_oddeven_config_static_selectorELNS0_4arch9wavefront6targetE1EEEvSM_.kd
    .uniform_work_group_size: 1
    .uses_dynamic_stack: false
    .vgpr_count:     0
    .vgpr_spill_count: 0
    .wavefront_size: 64
  - .agpr_count:     0
    .args:
      - .offset:         0
        .size:           64
        .value_kind:     by_value
    .group_segment_fixed_size: 0
    .kernarg_segment_align: 8
    .kernarg_segment_size: 64
    .language:       OpenCL C
    .language_version:
      - 2
      - 0
    .max_flat_workgroup_size: 256
    .name:           _ZN7rocprim17ROCPRIM_400000_NS6detail17trampoline_kernelINS0_14default_configENS1_38merge_sort_block_merge_config_selectorIlNS0_10empty_typeEEEZZNS1_27merge_sort_block_merge_implIS3_PlPS5_mZN2at6native12_GLOBAL__N_124unique_dim_cuda_templateIaEESt5tupleIJNSA_6TensorESF_SF_EERKSF_lbbbEUlllE_EE10hipError_tT0_T1_T2_jT3_P12ihipStream_tbPNSt15iterator_traitsISL_E10value_typeEPNSR_ISM_E10value_typeEPSN_NS1_7vsmem_tEENKUlT_SL_SM_SN_E_clIS8_S8_S9_S9_EESK_S10_SL_SM_SN_EUlS10_E1_NS1_11comp_targetILNS1_3genE5ELNS1_11target_archE942ELNS1_3gpuE9ELNS1_3repE0EEENS1_36merge_oddeven_config_static_selectorELNS0_4arch9wavefront6targetE1EEEvSM_
    .private_segment_fixed_size: 0
    .sgpr_count:     4
    .sgpr_spill_count: 0
    .symbol:         _ZN7rocprim17ROCPRIM_400000_NS6detail17trampoline_kernelINS0_14default_configENS1_38merge_sort_block_merge_config_selectorIlNS0_10empty_typeEEEZZNS1_27merge_sort_block_merge_implIS3_PlPS5_mZN2at6native12_GLOBAL__N_124unique_dim_cuda_templateIaEESt5tupleIJNSA_6TensorESF_SF_EERKSF_lbbbEUlllE_EE10hipError_tT0_T1_T2_jT3_P12ihipStream_tbPNSt15iterator_traitsISL_E10value_typeEPNSR_ISM_E10value_typeEPSN_NS1_7vsmem_tEENKUlT_SL_SM_SN_E_clIS8_S8_S9_S9_EESK_S10_SL_SM_SN_EUlS10_E1_NS1_11comp_targetILNS1_3genE5ELNS1_11target_archE942ELNS1_3gpuE9ELNS1_3repE0EEENS1_36merge_oddeven_config_static_selectorELNS0_4arch9wavefront6targetE1EEEvSM_.kd
    .uniform_work_group_size: 1
    .uses_dynamic_stack: false
    .vgpr_count:     0
    .vgpr_spill_count: 0
    .wavefront_size: 64
  - .agpr_count:     0
    .args:
      - .offset:         0
        .size:           64
        .value_kind:     by_value
    .group_segment_fixed_size: 0
    .kernarg_segment_align: 8
    .kernarg_segment_size: 64
    .language:       OpenCL C
    .language_version:
      - 2
      - 0
    .max_flat_workgroup_size: 256
    .name:           _ZN7rocprim17ROCPRIM_400000_NS6detail17trampoline_kernelINS0_14default_configENS1_38merge_sort_block_merge_config_selectorIlNS0_10empty_typeEEEZZNS1_27merge_sort_block_merge_implIS3_PlPS5_mZN2at6native12_GLOBAL__N_124unique_dim_cuda_templateIaEESt5tupleIJNSA_6TensorESF_SF_EERKSF_lbbbEUlllE_EE10hipError_tT0_T1_T2_jT3_P12ihipStream_tbPNSt15iterator_traitsISL_E10value_typeEPNSR_ISM_E10value_typeEPSN_NS1_7vsmem_tEENKUlT_SL_SM_SN_E_clIS8_S8_S9_S9_EESK_S10_SL_SM_SN_EUlS10_E1_NS1_11comp_targetILNS1_3genE4ELNS1_11target_archE910ELNS1_3gpuE8ELNS1_3repE0EEENS1_36merge_oddeven_config_static_selectorELNS0_4arch9wavefront6targetE1EEEvSM_
    .private_segment_fixed_size: 0
    .sgpr_count:     48
    .sgpr_spill_count: 0
    .symbol:         _ZN7rocprim17ROCPRIM_400000_NS6detail17trampoline_kernelINS0_14default_configENS1_38merge_sort_block_merge_config_selectorIlNS0_10empty_typeEEEZZNS1_27merge_sort_block_merge_implIS3_PlPS5_mZN2at6native12_GLOBAL__N_124unique_dim_cuda_templateIaEESt5tupleIJNSA_6TensorESF_SF_EERKSF_lbbbEUlllE_EE10hipError_tT0_T1_T2_jT3_P12ihipStream_tbPNSt15iterator_traitsISL_E10value_typeEPNSR_ISM_E10value_typeEPSN_NS1_7vsmem_tEENKUlT_SL_SM_SN_E_clIS8_S8_S9_S9_EESK_S10_SL_SM_SN_EUlS10_E1_NS1_11comp_targetILNS1_3genE4ELNS1_11target_archE910ELNS1_3gpuE8ELNS1_3repE0EEENS1_36merge_oddeven_config_static_selectorELNS0_4arch9wavefront6targetE1EEEvSM_.kd
    .uniform_work_group_size: 1
    .uses_dynamic_stack: false
    .vgpr_count:     20
    .vgpr_spill_count: 0
    .wavefront_size: 64
  - .agpr_count:     0
    .args:
      - .offset:         0
        .size:           64
        .value_kind:     by_value
    .group_segment_fixed_size: 0
    .kernarg_segment_align: 8
    .kernarg_segment_size: 64
    .language:       OpenCL C
    .language_version:
      - 2
      - 0
    .max_flat_workgroup_size: 256
    .name:           _ZN7rocprim17ROCPRIM_400000_NS6detail17trampoline_kernelINS0_14default_configENS1_38merge_sort_block_merge_config_selectorIlNS0_10empty_typeEEEZZNS1_27merge_sort_block_merge_implIS3_PlPS5_mZN2at6native12_GLOBAL__N_124unique_dim_cuda_templateIaEESt5tupleIJNSA_6TensorESF_SF_EERKSF_lbbbEUlllE_EE10hipError_tT0_T1_T2_jT3_P12ihipStream_tbPNSt15iterator_traitsISL_E10value_typeEPNSR_ISM_E10value_typeEPSN_NS1_7vsmem_tEENKUlT_SL_SM_SN_E_clIS8_S8_S9_S9_EESK_S10_SL_SM_SN_EUlS10_E1_NS1_11comp_targetILNS1_3genE3ELNS1_11target_archE908ELNS1_3gpuE7ELNS1_3repE0EEENS1_36merge_oddeven_config_static_selectorELNS0_4arch9wavefront6targetE1EEEvSM_
    .private_segment_fixed_size: 0
    .sgpr_count:     4
    .sgpr_spill_count: 0
    .symbol:         _ZN7rocprim17ROCPRIM_400000_NS6detail17trampoline_kernelINS0_14default_configENS1_38merge_sort_block_merge_config_selectorIlNS0_10empty_typeEEEZZNS1_27merge_sort_block_merge_implIS3_PlPS5_mZN2at6native12_GLOBAL__N_124unique_dim_cuda_templateIaEESt5tupleIJNSA_6TensorESF_SF_EERKSF_lbbbEUlllE_EE10hipError_tT0_T1_T2_jT3_P12ihipStream_tbPNSt15iterator_traitsISL_E10value_typeEPNSR_ISM_E10value_typeEPSN_NS1_7vsmem_tEENKUlT_SL_SM_SN_E_clIS8_S8_S9_S9_EESK_S10_SL_SM_SN_EUlS10_E1_NS1_11comp_targetILNS1_3genE3ELNS1_11target_archE908ELNS1_3gpuE7ELNS1_3repE0EEENS1_36merge_oddeven_config_static_selectorELNS0_4arch9wavefront6targetE1EEEvSM_.kd
    .uniform_work_group_size: 1
    .uses_dynamic_stack: false
    .vgpr_count:     0
    .vgpr_spill_count: 0
    .wavefront_size: 64
  - .agpr_count:     0
    .args:
      - .offset:         0
        .size:           64
        .value_kind:     by_value
    .group_segment_fixed_size: 0
    .kernarg_segment_align: 8
    .kernarg_segment_size: 64
    .language:       OpenCL C
    .language_version:
      - 2
      - 0
    .max_flat_workgroup_size: 256
    .name:           _ZN7rocprim17ROCPRIM_400000_NS6detail17trampoline_kernelINS0_14default_configENS1_38merge_sort_block_merge_config_selectorIlNS0_10empty_typeEEEZZNS1_27merge_sort_block_merge_implIS3_PlPS5_mZN2at6native12_GLOBAL__N_124unique_dim_cuda_templateIaEESt5tupleIJNSA_6TensorESF_SF_EERKSF_lbbbEUlllE_EE10hipError_tT0_T1_T2_jT3_P12ihipStream_tbPNSt15iterator_traitsISL_E10value_typeEPNSR_ISM_E10value_typeEPSN_NS1_7vsmem_tEENKUlT_SL_SM_SN_E_clIS8_S8_S9_S9_EESK_S10_SL_SM_SN_EUlS10_E1_NS1_11comp_targetILNS1_3genE2ELNS1_11target_archE906ELNS1_3gpuE6ELNS1_3repE0EEENS1_36merge_oddeven_config_static_selectorELNS0_4arch9wavefront6targetE1EEEvSM_
    .private_segment_fixed_size: 0
    .sgpr_count:     4
    .sgpr_spill_count: 0
    .symbol:         _ZN7rocprim17ROCPRIM_400000_NS6detail17trampoline_kernelINS0_14default_configENS1_38merge_sort_block_merge_config_selectorIlNS0_10empty_typeEEEZZNS1_27merge_sort_block_merge_implIS3_PlPS5_mZN2at6native12_GLOBAL__N_124unique_dim_cuda_templateIaEESt5tupleIJNSA_6TensorESF_SF_EERKSF_lbbbEUlllE_EE10hipError_tT0_T1_T2_jT3_P12ihipStream_tbPNSt15iterator_traitsISL_E10value_typeEPNSR_ISM_E10value_typeEPSN_NS1_7vsmem_tEENKUlT_SL_SM_SN_E_clIS8_S8_S9_S9_EESK_S10_SL_SM_SN_EUlS10_E1_NS1_11comp_targetILNS1_3genE2ELNS1_11target_archE906ELNS1_3gpuE6ELNS1_3repE0EEENS1_36merge_oddeven_config_static_selectorELNS0_4arch9wavefront6targetE1EEEvSM_.kd
    .uniform_work_group_size: 1
    .uses_dynamic_stack: false
    .vgpr_count:     0
    .vgpr_spill_count: 0
    .wavefront_size: 64
  - .agpr_count:     0
    .args:
      - .offset:         0
        .size:           64
        .value_kind:     by_value
    .group_segment_fixed_size: 0
    .kernarg_segment_align: 8
    .kernarg_segment_size: 64
    .language:       OpenCL C
    .language_version:
      - 2
      - 0
    .max_flat_workgroup_size: 256
    .name:           _ZN7rocprim17ROCPRIM_400000_NS6detail17trampoline_kernelINS0_14default_configENS1_38merge_sort_block_merge_config_selectorIlNS0_10empty_typeEEEZZNS1_27merge_sort_block_merge_implIS3_PlPS5_mZN2at6native12_GLOBAL__N_124unique_dim_cuda_templateIaEESt5tupleIJNSA_6TensorESF_SF_EERKSF_lbbbEUlllE_EE10hipError_tT0_T1_T2_jT3_P12ihipStream_tbPNSt15iterator_traitsISL_E10value_typeEPNSR_ISM_E10value_typeEPSN_NS1_7vsmem_tEENKUlT_SL_SM_SN_E_clIS8_S8_S9_S9_EESK_S10_SL_SM_SN_EUlS10_E1_NS1_11comp_targetILNS1_3genE9ELNS1_11target_archE1100ELNS1_3gpuE3ELNS1_3repE0EEENS1_36merge_oddeven_config_static_selectorELNS0_4arch9wavefront6targetE1EEEvSM_
    .private_segment_fixed_size: 0
    .sgpr_count:     4
    .sgpr_spill_count: 0
    .symbol:         _ZN7rocprim17ROCPRIM_400000_NS6detail17trampoline_kernelINS0_14default_configENS1_38merge_sort_block_merge_config_selectorIlNS0_10empty_typeEEEZZNS1_27merge_sort_block_merge_implIS3_PlPS5_mZN2at6native12_GLOBAL__N_124unique_dim_cuda_templateIaEESt5tupleIJNSA_6TensorESF_SF_EERKSF_lbbbEUlllE_EE10hipError_tT0_T1_T2_jT3_P12ihipStream_tbPNSt15iterator_traitsISL_E10value_typeEPNSR_ISM_E10value_typeEPSN_NS1_7vsmem_tEENKUlT_SL_SM_SN_E_clIS8_S8_S9_S9_EESK_S10_SL_SM_SN_EUlS10_E1_NS1_11comp_targetILNS1_3genE9ELNS1_11target_archE1100ELNS1_3gpuE3ELNS1_3repE0EEENS1_36merge_oddeven_config_static_selectorELNS0_4arch9wavefront6targetE1EEEvSM_.kd
    .uniform_work_group_size: 1
    .uses_dynamic_stack: false
    .vgpr_count:     0
    .vgpr_spill_count: 0
    .wavefront_size: 64
  - .agpr_count:     0
    .args:
      - .offset:         0
        .size:           64
        .value_kind:     by_value
    .group_segment_fixed_size: 0
    .kernarg_segment_align: 8
    .kernarg_segment_size: 64
    .language:       OpenCL C
    .language_version:
      - 2
      - 0
    .max_flat_workgroup_size: 256
    .name:           _ZN7rocprim17ROCPRIM_400000_NS6detail17trampoline_kernelINS0_14default_configENS1_38merge_sort_block_merge_config_selectorIlNS0_10empty_typeEEEZZNS1_27merge_sort_block_merge_implIS3_PlPS5_mZN2at6native12_GLOBAL__N_124unique_dim_cuda_templateIaEESt5tupleIJNSA_6TensorESF_SF_EERKSF_lbbbEUlllE_EE10hipError_tT0_T1_T2_jT3_P12ihipStream_tbPNSt15iterator_traitsISL_E10value_typeEPNSR_ISM_E10value_typeEPSN_NS1_7vsmem_tEENKUlT_SL_SM_SN_E_clIS8_S8_S9_S9_EESK_S10_SL_SM_SN_EUlS10_E1_NS1_11comp_targetILNS1_3genE8ELNS1_11target_archE1030ELNS1_3gpuE2ELNS1_3repE0EEENS1_36merge_oddeven_config_static_selectorELNS0_4arch9wavefront6targetE1EEEvSM_
    .private_segment_fixed_size: 0
    .sgpr_count:     4
    .sgpr_spill_count: 0
    .symbol:         _ZN7rocprim17ROCPRIM_400000_NS6detail17trampoline_kernelINS0_14default_configENS1_38merge_sort_block_merge_config_selectorIlNS0_10empty_typeEEEZZNS1_27merge_sort_block_merge_implIS3_PlPS5_mZN2at6native12_GLOBAL__N_124unique_dim_cuda_templateIaEESt5tupleIJNSA_6TensorESF_SF_EERKSF_lbbbEUlllE_EE10hipError_tT0_T1_T2_jT3_P12ihipStream_tbPNSt15iterator_traitsISL_E10value_typeEPNSR_ISM_E10value_typeEPSN_NS1_7vsmem_tEENKUlT_SL_SM_SN_E_clIS8_S8_S9_S9_EESK_S10_SL_SM_SN_EUlS10_E1_NS1_11comp_targetILNS1_3genE8ELNS1_11target_archE1030ELNS1_3gpuE2ELNS1_3repE0EEENS1_36merge_oddeven_config_static_selectorELNS0_4arch9wavefront6targetE1EEEvSM_.kd
    .uniform_work_group_size: 1
    .uses_dynamic_stack: false
    .vgpr_count:     0
    .vgpr_spill_count: 0
    .wavefront_size: 64
  - .agpr_count:     0
    .args:
      - .offset:         0
        .size:           64
        .value_kind:     by_value
    .group_segment_fixed_size: 0
    .kernarg_segment_align: 8
    .kernarg_segment_size: 64
    .language:       OpenCL C
    .language_version:
      - 2
      - 0
    .max_flat_workgroup_size: 128
    .name:           _ZN7rocprim17ROCPRIM_400000_NS6detail17trampoline_kernelINS0_14default_configENS1_35adjacent_difference_config_selectorILb0ElEEZNS1_24adjacent_difference_implIS3_Lb0ELb0EPlS7_ZN2at6native12_GLOBAL__N_124unique_dim_cuda_templateIaEESt5tupleIJNS8_6TensorESD_SD_EERKSD_lbbbEUlllE1_EE10hipError_tPvRmT2_T3_mT4_P12ihipStream_tbEUlT_E_NS1_11comp_targetILNS1_3genE0ELNS1_11target_archE4294967295ELNS1_3gpuE0ELNS1_3repE0EEENS1_30default_config_static_selectorELNS0_4arch9wavefront6targetE1EEEvT1_
    .private_segment_fixed_size: 0
    .sgpr_count:     4
    .sgpr_spill_count: 0
    .symbol:         _ZN7rocprim17ROCPRIM_400000_NS6detail17trampoline_kernelINS0_14default_configENS1_35adjacent_difference_config_selectorILb0ElEEZNS1_24adjacent_difference_implIS3_Lb0ELb0EPlS7_ZN2at6native12_GLOBAL__N_124unique_dim_cuda_templateIaEESt5tupleIJNS8_6TensorESD_SD_EERKSD_lbbbEUlllE1_EE10hipError_tPvRmT2_T3_mT4_P12ihipStream_tbEUlT_E_NS1_11comp_targetILNS1_3genE0ELNS1_11target_archE4294967295ELNS1_3gpuE0ELNS1_3repE0EEENS1_30default_config_static_selectorELNS0_4arch9wavefront6targetE1EEEvT1_.kd
    .uniform_work_group_size: 1
    .uses_dynamic_stack: false
    .vgpr_count:     0
    .vgpr_spill_count: 0
    .wavefront_size: 64
  - .agpr_count:     0
    .args:
      - .offset:         0
        .size:           64
        .value_kind:     by_value
    .group_segment_fixed_size: 0
    .kernarg_segment_align: 8
    .kernarg_segment_size: 64
    .language:       OpenCL C
    .language_version:
      - 2
      - 0
    .max_flat_workgroup_size: 128
    .name:           _ZN7rocprim17ROCPRIM_400000_NS6detail17trampoline_kernelINS0_14default_configENS1_35adjacent_difference_config_selectorILb0ElEEZNS1_24adjacent_difference_implIS3_Lb0ELb0EPlS7_ZN2at6native12_GLOBAL__N_124unique_dim_cuda_templateIaEESt5tupleIJNS8_6TensorESD_SD_EERKSD_lbbbEUlllE1_EE10hipError_tPvRmT2_T3_mT4_P12ihipStream_tbEUlT_E_NS1_11comp_targetILNS1_3genE10ELNS1_11target_archE1201ELNS1_3gpuE5ELNS1_3repE0EEENS1_30default_config_static_selectorELNS0_4arch9wavefront6targetE1EEEvT1_
    .private_segment_fixed_size: 0
    .sgpr_count:     4
    .sgpr_spill_count: 0
    .symbol:         _ZN7rocprim17ROCPRIM_400000_NS6detail17trampoline_kernelINS0_14default_configENS1_35adjacent_difference_config_selectorILb0ElEEZNS1_24adjacent_difference_implIS3_Lb0ELb0EPlS7_ZN2at6native12_GLOBAL__N_124unique_dim_cuda_templateIaEESt5tupleIJNS8_6TensorESD_SD_EERKSD_lbbbEUlllE1_EE10hipError_tPvRmT2_T3_mT4_P12ihipStream_tbEUlT_E_NS1_11comp_targetILNS1_3genE10ELNS1_11target_archE1201ELNS1_3gpuE5ELNS1_3repE0EEENS1_30default_config_static_selectorELNS0_4arch9wavefront6targetE1EEEvT1_.kd
    .uniform_work_group_size: 1
    .uses_dynamic_stack: false
    .vgpr_count:     0
    .vgpr_spill_count: 0
    .wavefront_size: 64
  - .agpr_count:     0
    .args:
      - .offset:         0
        .size:           64
        .value_kind:     by_value
    .group_segment_fixed_size: 0
    .kernarg_segment_align: 8
    .kernarg_segment_size: 64
    .language:       OpenCL C
    .language_version:
      - 2
      - 0
    .max_flat_workgroup_size: 64
    .name:           _ZN7rocprim17ROCPRIM_400000_NS6detail17trampoline_kernelINS0_14default_configENS1_35adjacent_difference_config_selectorILb0ElEEZNS1_24adjacent_difference_implIS3_Lb0ELb0EPlS7_ZN2at6native12_GLOBAL__N_124unique_dim_cuda_templateIaEESt5tupleIJNS8_6TensorESD_SD_EERKSD_lbbbEUlllE1_EE10hipError_tPvRmT2_T3_mT4_P12ihipStream_tbEUlT_E_NS1_11comp_targetILNS1_3genE5ELNS1_11target_archE942ELNS1_3gpuE9ELNS1_3repE0EEENS1_30default_config_static_selectorELNS0_4arch9wavefront6targetE1EEEvT1_
    .private_segment_fixed_size: 0
    .sgpr_count:     4
    .sgpr_spill_count: 0
    .symbol:         _ZN7rocprim17ROCPRIM_400000_NS6detail17trampoline_kernelINS0_14default_configENS1_35adjacent_difference_config_selectorILb0ElEEZNS1_24adjacent_difference_implIS3_Lb0ELb0EPlS7_ZN2at6native12_GLOBAL__N_124unique_dim_cuda_templateIaEESt5tupleIJNS8_6TensorESD_SD_EERKSD_lbbbEUlllE1_EE10hipError_tPvRmT2_T3_mT4_P12ihipStream_tbEUlT_E_NS1_11comp_targetILNS1_3genE5ELNS1_11target_archE942ELNS1_3gpuE9ELNS1_3repE0EEENS1_30default_config_static_selectorELNS0_4arch9wavefront6targetE1EEEvT1_.kd
    .uniform_work_group_size: 1
    .uses_dynamic_stack: false
    .vgpr_count:     0
    .vgpr_spill_count: 0
    .wavefront_size: 64
  - .agpr_count:     0
    .args:
      - .offset:         0
        .size:           64
        .value_kind:     by_value
    .group_segment_fixed_size: 4224
    .kernarg_segment_align: 8
    .kernarg_segment_size: 64
    .language:       OpenCL C
    .language_version:
      - 2
      - 0
    .max_flat_workgroup_size: 256
    .name:           _ZN7rocprim17ROCPRIM_400000_NS6detail17trampoline_kernelINS0_14default_configENS1_35adjacent_difference_config_selectorILb0ElEEZNS1_24adjacent_difference_implIS3_Lb0ELb0EPlS7_ZN2at6native12_GLOBAL__N_124unique_dim_cuda_templateIaEESt5tupleIJNS8_6TensorESD_SD_EERKSD_lbbbEUlllE1_EE10hipError_tPvRmT2_T3_mT4_P12ihipStream_tbEUlT_E_NS1_11comp_targetILNS1_3genE4ELNS1_11target_archE910ELNS1_3gpuE8ELNS1_3repE0EEENS1_30default_config_static_selectorELNS0_4arch9wavefront6targetE1EEEvT1_
    .private_segment_fixed_size: 0
    .sgpr_count:     42
    .sgpr_spill_count: 0
    .symbol:         _ZN7rocprim17ROCPRIM_400000_NS6detail17trampoline_kernelINS0_14default_configENS1_35adjacent_difference_config_selectorILb0ElEEZNS1_24adjacent_difference_implIS3_Lb0ELb0EPlS7_ZN2at6native12_GLOBAL__N_124unique_dim_cuda_templateIaEESt5tupleIJNS8_6TensorESD_SD_EERKSD_lbbbEUlllE1_EE10hipError_tPvRmT2_T3_mT4_P12ihipStream_tbEUlT_E_NS1_11comp_targetILNS1_3genE4ELNS1_11target_archE910ELNS1_3gpuE8ELNS1_3repE0EEENS1_30default_config_static_selectorELNS0_4arch9wavefront6targetE1EEEvT1_.kd
    .uniform_work_group_size: 1
    .uses_dynamic_stack: false
    .vgpr_count:     18
    .vgpr_spill_count: 0
    .wavefront_size: 64
  - .agpr_count:     0
    .args:
      - .offset:         0
        .size:           64
        .value_kind:     by_value
    .group_segment_fixed_size: 0
    .kernarg_segment_align: 8
    .kernarg_segment_size: 64
    .language:       OpenCL C
    .language_version:
      - 2
      - 0
    .max_flat_workgroup_size: 128
    .name:           _ZN7rocprim17ROCPRIM_400000_NS6detail17trampoline_kernelINS0_14default_configENS1_35adjacent_difference_config_selectorILb0ElEEZNS1_24adjacent_difference_implIS3_Lb0ELb0EPlS7_ZN2at6native12_GLOBAL__N_124unique_dim_cuda_templateIaEESt5tupleIJNS8_6TensorESD_SD_EERKSD_lbbbEUlllE1_EE10hipError_tPvRmT2_T3_mT4_P12ihipStream_tbEUlT_E_NS1_11comp_targetILNS1_3genE3ELNS1_11target_archE908ELNS1_3gpuE7ELNS1_3repE0EEENS1_30default_config_static_selectorELNS0_4arch9wavefront6targetE1EEEvT1_
    .private_segment_fixed_size: 0
    .sgpr_count:     4
    .sgpr_spill_count: 0
    .symbol:         _ZN7rocprim17ROCPRIM_400000_NS6detail17trampoline_kernelINS0_14default_configENS1_35adjacent_difference_config_selectorILb0ElEEZNS1_24adjacent_difference_implIS3_Lb0ELb0EPlS7_ZN2at6native12_GLOBAL__N_124unique_dim_cuda_templateIaEESt5tupleIJNS8_6TensorESD_SD_EERKSD_lbbbEUlllE1_EE10hipError_tPvRmT2_T3_mT4_P12ihipStream_tbEUlT_E_NS1_11comp_targetILNS1_3genE3ELNS1_11target_archE908ELNS1_3gpuE7ELNS1_3repE0EEENS1_30default_config_static_selectorELNS0_4arch9wavefront6targetE1EEEvT1_.kd
    .uniform_work_group_size: 1
    .uses_dynamic_stack: false
    .vgpr_count:     0
    .vgpr_spill_count: 0
    .wavefront_size: 64
  - .agpr_count:     0
    .args:
      - .offset:         0
        .size:           64
        .value_kind:     by_value
    .group_segment_fixed_size: 0
    .kernarg_segment_align: 8
    .kernarg_segment_size: 64
    .language:       OpenCL C
    .language_version:
      - 2
      - 0
    .max_flat_workgroup_size: 128
    .name:           _ZN7rocprim17ROCPRIM_400000_NS6detail17trampoline_kernelINS0_14default_configENS1_35adjacent_difference_config_selectorILb0ElEEZNS1_24adjacent_difference_implIS3_Lb0ELb0EPlS7_ZN2at6native12_GLOBAL__N_124unique_dim_cuda_templateIaEESt5tupleIJNS8_6TensorESD_SD_EERKSD_lbbbEUlllE1_EE10hipError_tPvRmT2_T3_mT4_P12ihipStream_tbEUlT_E_NS1_11comp_targetILNS1_3genE2ELNS1_11target_archE906ELNS1_3gpuE6ELNS1_3repE0EEENS1_30default_config_static_selectorELNS0_4arch9wavefront6targetE1EEEvT1_
    .private_segment_fixed_size: 0
    .sgpr_count:     4
    .sgpr_spill_count: 0
    .symbol:         _ZN7rocprim17ROCPRIM_400000_NS6detail17trampoline_kernelINS0_14default_configENS1_35adjacent_difference_config_selectorILb0ElEEZNS1_24adjacent_difference_implIS3_Lb0ELb0EPlS7_ZN2at6native12_GLOBAL__N_124unique_dim_cuda_templateIaEESt5tupleIJNS8_6TensorESD_SD_EERKSD_lbbbEUlllE1_EE10hipError_tPvRmT2_T3_mT4_P12ihipStream_tbEUlT_E_NS1_11comp_targetILNS1_3genE2ELNS1_11target_archE906ELNS1_3gpuE6ELNS1_3repE0EEENS1_30default_config_static_selectorELNS0_4arch9wavefront6targetE1EEEvT1_.kd
    .uniform_work_group_size: 1
    .uses_dynamic_stack: false
    .vgpr_count:     0
    .vgpr_spill_count: 0
    .wavefront_size: 64
  - .agpr_count:     0
    .args:
      - .offset:         0
        .size:           64
        .value_kind:     by_value
    .group_segment_fixed_size: 0
    .kernarg_segment_align: 8
    .kernarg_segment_size: 64
    .language:       OpenCL C
    .language_version:
      - 2
      - 0
    .max_flat_workgroup_size: 512
    .name:           _ZN7rocprim17ROCPRIM_400000_NS6detail17trampoline_kernelINS0_14default_configENS1_35adjacent_difference_config_selectorILb0ElEEZNS1_24adjacent_difference_implIS3_Lb0ELb0EPlS7_ZN2at6native12_GLOBAL__N_124unique_dim_cuda_templateIaEESt5tupleIJNS8_6TensorESD_SD_EERKSD_lbbbEUlllE1_EE10hipError_tPvRmT2_T3_mT4_P12ihipStream_tbEUlT_E_NS1_11comp_targetILNS1_3genE9ELNS1_11target_archE1100ELNS1_3gpuE3ELNS1_3repE0EEENS1_30default_config_static_selectorELNS0_4arch9wavefront6targetE1EEEvT1_
    .private_segment_fixed_size: 0
    .sgpr_count:     4
    .sgpr_spill_count: 0
    .symbol:         _ZN7rocprim17ROCPRIM_400000_NS6detail17trampoline_kernelINS0_14default_configENS1_35adjacent_difference_config_selectorILb0ElEEZNS1_24adjacent_difference_implIS3_Lb0ELb0EPlS7_ZN2at6native12_GLOBAL__N_124unique_dim_cuda_templateIaEESt5tupleIJNS8_6TensorESD_SD_EERKSD_lbbbEUlllE1_EE10hipError_tPvRmT2_T3_mT4_P12ihipStream_tbEUlT_E_NS1_11comp_targetILNS1_3genE9ELNS1_11target_archE1100ELNS1_3gpuE3ELNS1_3repE0EEENS1_30default_config_static_selectorELNS0_4arch9wavefront6targetE1EEEvT1_.kd
    .uniform_work_group_size: 1
    .uses_dynamic_stack: false
    .vgpr_count:     0
    .vgpr_spill_count: 0
    .wavefront_size: 64
  - .agpr_count:     0
    .args:
      - .offset:         0
        .size:           64
        .value_kind:     by_value
    .group_segment_fixed_size: 0
    .kernarg_segment_align: 8
    .kernarg_segment_size: 64
    .language:       OpenCL C
    .language_version:
      - 2
      - 0
    .max_flat_workgroup_size: 1024
    .name:           _ZN7rocprim17ROCPRIM_400000_NS6detail17trampoline_kernelINS0_14default_configENS1_35adjacent_difference_config_selectorILb0ElEEZNS1_24adjacent_difference_implIS3_Lb0ELb0EPlS7_ZN2at6native12_GLOBAL__N_124unique_dim_cuda_templateIaEESt5tupleIJNS8_6TensorESD_SD_EERKSD_lbbbEUlllE1_EE10hipError_tPvRmT2_T3_mT4_P12ihipStream_tbEUlT_E_NS1_11comp_targetILNS1_3genE8ELNS1_11target_archE1030ELNS1_3gpuE2ELNS1_3repE0EEENS1_30default_config_static_selectorELNS0_4arch9wavefront6targetE1EEEvT1_
    .private_segment_fixed_size: 0
    .sgpr_count:     4
    .sgpr_spill_count: 0
    .symbol:         _ZN7rocprim17ROCPRIM_400000_NS6detail17trampoline_kernelINS0_14default_configENS1_35adjacent_difference_config_selectorILb0ElEEZNS1_24adjacent_difference_implIS3_Lb0ELb0EPlS7_ZN2at6native12_GLOBAL__N_124unique_dim_cuda_templateIaEESt5tupleIJNS8_6TensorESD_SD_EERKSD_lbbbEUlllE1_EE10hipError_tPvRmT2_T3_mT4_P12ihipStream_tbEUlT_E_NS1_11comp_targetILNS1_3genE8ELNS1_11target_archE1030ELNS1_3gpuE2ELNS1_3repE0EEENS1_30default_config_static_selectorELNS0_4arch9wavefront6targetE1EEEvT1_.kd
    .uniform_work_group_size: 1
    .uses_dynamic_stack: false
    .vgpr_count:     0
    .vgpr_spill_count: 0
    .wavefront_size: 64
  - .agpr_count:     0
    .args:
      - .offset:         0
        .size:           56
        .value_kind:     by_value
    .group_segment_fixed_size: 0
    .kernarg_segment_align: 8
    .kernarg_segment_size: 56
    .language:       OpenCL C
    .language_version:
      - 2
      - 0
    .max_flat_workgroup_size: 128
    .name:           _ZN7rocprim17ROCPRIM_400000_NS6detail17trampoline_kernelINS0_14default_configENS1_25transform_config_selectorIlLb0EEEZNS1_14transform_implILb0ES3_S5_NS0_18transform_iteratorINS0_17counting_iteratorImlEEZNS1_24adjacent_difference_implIS3_Lb1ELb0EPlSB_ZN2at6native12_GLOBAL__N_124unique_dim_cuda_templateIaEESt5tupleIJNSC_6TensorESH_SH_EERKSH_lbbbEUlllE1_EE10hipError_tPvRmT2_T3_mT4_P12ihipStream_tbEUlmE_lEESB_NS0_8identityIvEEEESM_SP_SQ_mSR_ST_bEUlT_E_NS1_11comp_targetILNS1_3genE0ELNS1_11target_archE4294967295ELNS1_3gpuE0ELNS1_3repE0EEENS1_30default_config_static_selectorELNS0_4arch9wavefront6targetE1EEEvT1_
    .private_segment_fixed_size: 0
    .sgpr_count:     4
    .sgpr_spill_count: 0
    .symbol:         _ZN7rocprim17ROCPRIM_400000_NS6detail17trampoline_kernelINS0_14default_configENS1_25transform_config_selectorIlLb0EEEZNS1_14transform_implILb0ES3_S5_NS0_18transform_iteratorINS0_17counting_iteratorImlEEZNS1_24adjacent_difference_implIS3_Lb1ELb0EPlSB_ZN2at6native12_GLOBAL__N_124unique_dim_cuda_templateIaEESt5tupleIJNSC_6TensorESH_SH_EERKSH_lbbbEUlllE1_EE10hipError_tPvRmT2_T3_mT4_P12ihipStream_tbEUlmE_lEESB_NS0_8identityIvEEEESM_SP_SQ_mSR_ST_bEUlT_E_NS1_11comp_targetILNS1_3genE0ELNS1_11target_archE4294967295ELNS1_3gpuE0ELNS1_3repE0EEENS1_30default_config_static_selectorELNS0_4arch9wavefront6targetE1EEEvT1_.kd
    .uniform_work_group_size: 1
    .uses_dynamic_stack: false
    .vgpr_count:     0
    .vgpr_spill_count: 0
    .wavefront_size: 64
  - .agpr_count:     0
    .args:
      - .offset:         0
        .size:           56
        .value_kind:     by_value
    .group_segment_fixed_size: 0
    .kernarg_segment_align: 8
    .kernarg_segment_size: 56
    .language:       OpenCL C
    .language_version:
      - 2
      - 0
    .max_flat_workgroup_size: 512
    .name:           _ZN7rocprim17ROCPRIM_400000_NS6detail17trampoline_kernelINS0_14default_configENS1_25transform_config_selectorIlLb0EEEZNS1_14transform_implILb0ES3_S5_NS0_18transform_iteratorINS0_17counting_iteratorImlEEZNS1_24adjacent_difference_implIS3_Lb1ELb0EPlSB_ZN2at6native12_GLOBAL__N_124unique_dim_cuda_templateIaEESt5tupleIJNSC_6TensorESH_SH_EERKSH_lbbbEUlllE1_EE10hipError_tPvRmT2_T3_mT4_P12ihipStream_tbEUlmE_lEESB_NS0_8identityIvEEEESM_SP_SQ_mSR_ST_bEUlT_E_NS1_11comp_targetILNS1_3genE5ELNS1_11target_archE942ELNS1_3gpuE9ELNS1_3repE0EEENS1_30default_config_static_selectorELNS0_4arch9wavefront6targetE1EEEvT1_
    .private_segment_fixed_size: 0
    .sgpr_count:     4
    .sgpr_spill_count: 0
    .symbol:         _ZN7rocprim17ROCPRIM_400000_NS6detail17trampoline_kernelINS0_14default_configENS1_25transform_config_selectorIlLb0EEEZNS1_14transform_implILb0ES3_S5_NS0_18transform_iteratorINS0_17counting_iteratorImlEEZNS1_24adjacent_difference_implIS3_Lb1ELb0EPlSB_ZN2at6native12_GLOBAL__N_124unique_dim_cuda_templateIaEESt5tupleIJNSC_6TensorESH_SH_EERKSH_lbbbEUlllE1_EE10hipError_tPvRmT2_T3_mT4_P12ihipStream_tbEUlmE_lEESB_NS0_8identityIvEEEESM_SP_SQ_mSR_ST_bEUlT_E_NS1_11comp_targetILNS1_3genE5ELNS1_11target_archE942ELNS1_3gpuE9ELNS1_3repE0EEENS1_30default_config_static_selectorELNS0_4arch9wavefront6targetE1EEEvT1_.kd
    .uniform_work_group_size: 1
    .uses_dynamic_stack: false
    .vgpr_count:     0
    .vgpr_spill_count: 0
    .wavefront_size: 64
  - .agpr_count:     0
    .args:
      - .offset:         0
        .size:           56
        .value_kind:     by_value
      - .offset:         56
        .size:           4
        .value_kind:     hidden_block_count_x
      - .offset:         60
        .size:           4
        .value_kind:     hidden_block_count_y
      - .offset:         64
        .size:           4
        .value_kind:     hidden_block_count_z
      - .offset:         68
        .size:           2
        .value_kind:     hidden_group_size_x
      - .offset:         70
        .size:           2
        .value_kind:     hidden_group_size_y
      - .offset:         72
        .size:           2
        .value_kind:     hidden_group_size_z
      - .offset:         74
        .size:           2
        .value_kind:     hidden_remainder_x
      - .offset:         76
        .size:           2
        .value_kind:     hidden_remainder_y
      - .offset:         78
        .size:           2
        .value_kind:     hidden_remainder_z
      - .offset:         96
        .size:           8
        .value_kind:     hidden_global_offset_x
      - .offset:         104
        .size:           8
        .value_kind:     hidden_global_offset_y
      - .offset:         112
        .size:           8
        .value_kind:     hidden_global_offset_z
      - .offset:         120
        .size:           2
        .value_kind:     hidden_grid_dims
    .group_segment_fixed_size: 0
    .kernarg_segment_align: 8
    .kernarg_segment_size: 312
    .language:       OpenCL C
    .language_version:
      - 2
      - 0
    .max_flat_workgroup_size: 256
    .name:           _ZN7rocprim17ROCPRIM_400000_NS6detail17trampoline_kernelINS0_14default_configENS1_25transform_config_selectorIlLb0EEEZNS1_14transform_implILb0ES3_S5_NS0_18transform_iteratorINS0_17counting_iteratorImlEEZNS1_24adjacent_difference_implIS3_Lb1ELb0EPlSB_ZN2at6native12_GLOBAL__N_124unique_dim_cuda_templateIaEESt5tupleIJNSC_6TensorESH_SH_EERKSH_lbbbEUlllE1_EE10hipError_tPvRmT2_T3_mT4_P12ihipStream_tbEUlmE_lEESB_NS0_8identityIvEEEESM_SP_SQ_mSR_ST_bEUlT_E_NS1_11comp_targetILNS1_3genE4ELNS1_11target_archE910ELNS1_3gpuE8ELNS1_3repE0EEENS1_30default_config_static_selectorELNS0_4arch9wavefront6targetE1EEEvT1_
    .private_segment_fixed_size: 0
    .sgpr_count:     22
    .sgpr_spill_count: 0
    .symbol:         _ZN7rocprim17ROCPRIM_400000_NS6detail17trampoline_kernelINS0_14default_configENS1_25transform_config_selectorIlLb0EEEZNS1_14transform_implILb0ES3_S5_NS0_18transform_iteratorINS0_17counting_iteratorImlEEZNS1_24adjacent_difference_implIS3_Lb1ELb0EPlSB_ZN2at6native12_GLOBAL__N_124unique_dim_cuda_templateIaEESt5tupleIJNSC_6TensorESH_SH_EERKSH_lbbbEUlllE1_EE10hipError_tPvRmT2_T3_mT4_P12ihipStream_tbEUlmE_lEESB_NS0_8identityIvEEEESM_SP_SQ_mSR_ST_bEUlT_E_NS1_11comp_targetILNS1_3genE4ELNS1_11target_archE910ELNS1_3gpuE8ELNS1_3repE0EEENS1_30default_config_static_selectorELNS0_4arch9wavefront6targetE1EEEvT1_.kd
    .uniform_work_group_size: 1
    .uses_dynamic_stack: false
    .vgpr_count:     10
    .vgpr_spill_count: 0
    .wavefront_size: 64
  - .agpr_count:     0
    .args:
      - .offset:         0
        .size:           56
        .value_kind:     by_value
    .group_segment_fixed_size: 0
    .kernarg_segment_align: 8
    .kernarg_segment_size: 56
    .language:       OpenCL C
    .language_version:
      - 2
      - 0
    .max_flat_workgroup_size: 128
    .name:           _ZN7rocprim17ROCPRIM_400000_NS6detail17trampoline_kernelINS0_14default_configENS1_25transform_config_selectorIlLb0EEEZNS1_14transform_implILb0ES3_S5_NS0_18transform_iteratorINS0_17counting_iteratorImlEEZNS1_24adjacent_difference_implIS3_Lb1ELb0EPlSB_ZN2at6native12_GLOBAL__N_124unique_dim_cuda_templateIaEESt5tupleIJNSC_6TensorESH_SH_EERKSH_lbbbEUlllE1_EE10hipError_tPvRmT2_T3_mT4_P12ihipStream_tbEUlmE_lEESB_NS0_8identityIvEEEESM_SP_SQ_mSR_ST_bEUlT_E_NS1_11comp_targetILNS1_3genE3ELNS1_11target_archE908ELNS1_3gpuE7ELNS1_3repE0EEENS1_30default_config_static_selectorELNS0_4arch9wavefront6targetE1EEEvT1_
    .private_segment_fixed_size: 0
    .sgpr_count:     4
    .sgpr_spill_count: 0
    .symbol:         _ZN7rocprim17ROCPRIM_400000_NS6detail17trampoline_kernelINS0_14default_configENS1_25transform_config_selectorIlLb0EEEZNS1_14transform_implILb0ES3_S5_NS0_18transform_iteratorINS0_17counting_iteratorImlEEZNS1_24adjacent_difference_implIS3_Lb1ELb0EPlSB_ZN2at6native12_GLOBAL__N_124unique_dim_cuda_templateIaEESt5tupleIJNSC_6TensorESH_SH_EERKSH_lbbbEUlllE1_EE10hipError_tPvRmT2_T3_mT4_P12ihipStream_tbEUlmE_lEESB_NS0_8identityIvEEEESM_SP_SQ_mSR_ST_bEUlT_E_NS1_11comp_targetILNS1_3genE3ELNS1_11target_archE908ELNS1_3gpuE7ELNS1_3repE0EEENS1_30default_config_static_selectorELNS0_4arch9wavefront6targetE1EEEvT1_.kd
    .uniform_work_group_size: 1
    .uses_dynamic_stack: false
    .vgpr_count:     0
    .vgpr_spill_count: 0
    .wavefront_size: 64
  - .agpr_count:     0
    .args:
      - .offset:         0
        .size:           56
        .value_kind:     by_value
    .group_segment_fixed_size: 0
    .kernarg_segment_align: 8
    .kernarg_segment_size: 56
    .language:       OpenCL C
    .language_version:
      - 2
      - 0
    .max_flat_workgroup_size: 512
    .name:           _ZN7rocprim17ROCPRIM_400000_NS6detail17trampoline_kernelINS0_14default_configENS1_25transform_config_selectorIlLb0EEEZNS1_14transform_implILb0ES3_S5_NS0_18transform_iteratorINS0_17counting_iteratorImlEEZNS1_24adjacent_difference_implIS3_Lb1ELb0EPlSB_ZN2at6native12_GLOBAL__N_124unique_dim_cuda_templateIaEESt5tupleIJNSC_6TensorESH_SH_EERKSH_lbbbEUlllE1_EE10hipError_tPvRmT2_T3_mT4_P12ihipStream_tbEUlmE_lEESB_NS0_8identityIvEEEESM_SP_SQ_mSR_ST_bEUlT_E_NS1_11comp_targetILNS1_3genE2ELNS1_11target_archE906ELNS1_3gpuE6ELNS1_3repE0EEENS1_30default_config_static_selectorELNS0_4arch9wavefront6targetE1EEEvT1_
    .private_segment_fixed_size: 0
    .sgpr_count:     4
    .sgpr_spill_count: 0
    .symbol:         _ZN7rocprim17ROCPRIM_400000_NS6detail17trampoline_kernelINS0_14default_configENS1_25transform_config_selectorIlLb0EEEZNS1_14transform_implILb0ES3_S5_NS0_18transform_iteratorINS0_17counting_iteratorImlEEZNS1_24adjacent_difference_implIS3_Lb1ELb0EPlSB_ZN2at6native12_GLOBAL__N_124unique_dim_cuda_templateIaEESt5tupleIJNSC_6TensorESH_SH_EERKSH_lbbbEUlllE1_EE10hipError_tPvRmT2_T3_mT4_P12ihipStream_tbEUlmE_lEESB_NS0_8identityIvEEEESM_SP_SQ_mSR_ST_bEUlT_E_NS1_11comp_targetILNS1_3genE2ELNS1_11target_archE906ELNS1_3gpuE6ELNS1_3repE0EEENS1_30default_config_static_selectorELNS0_4arch9wavefront6targetE1EEEvT1_.kd
    .uniform_work_group_size: 1
    .uses_dynamic_stack: false
    .vgpr_count:     0
    .vgpr_spill_count: 0
    .wavefront_size: 64
  - .agpr_count:     0
    .args:
      - .offset:         0
        .size:           56
        .value_kind:     by_value
    .group_segment_fixed_size: 0
    .kernarg_segment_align: 8
    .kernarg_segment_size: 56
    .language:       OpenCL C
    .language_version:
      - 2
      - 0
    .max_flat_workgroup_size: 1024
    .name:           _ZN7rocprim17ROCPRIM_400000_NS6detail17trampoline_kernelINS0_14default_configENS1_25transform_config_selectorIlLb0EEEZNS1_14transform_implILb0ES3_S5_NS0_18transform_iteratorINS0_17counting_iteratorImlEEZNS1_24adjacent_difference_implIS3_Lb1ELb0EPlSB_ZN2at6native12_GLOBAL__N_124unique_dim_cuda_templateIaEESt5tupleIJNSC_6TensorESH_SH_EERKSH_lbbbEUlllE1_EE10hipError_tPvRmT2_T3_mT4_P12ihipStream_tbEUlmE_lEESB_NS0_8identityIvEEEESM_SP_SQ_mSR_ST_bEUlT_E_NS1_11comp_targetILNS1_3genE10ELNS1_11target_archE1201ELNS1_3gpuE5ELNS1_3repE0EEENS1_30default_config_static_selectorELNS0_4arch9wavefront6targetE1EEEvT1_
    .private_segment_fixed_size: 0
    .sgpr_count:     4
    .sgpr_spill_count: 0
    .symbol:         _ZN7rocprim17ROCPRIM_400000_NS6detail17trampoline_kernelINS0_14default_configENS1_25transform_config_selectorIlLb0EEEZNS1_14transform_implILb0ES3_S5_NS0_18transform_iteratorINS0_17counting_iteratorImlEEZNS1_24adjacent_difference_implIS3_Lb1ELb0EPlSB_ZN2at6native12_GLOBAL__N_124unique_dim_cuda_templateIaEESt5tupleIJNSC_6TensorESH_SH_EERKSH_lbbbEUlllE1_EE10hipError_tPvRmT2_T3_mT4_P12ihipStream_tbEUlmE_lEESB_NS0_8identityIvEEEESM_SP_SQ_mSR_ST_bEUlT_E_NS1_11comp_targetILNS1_3genE10ELNS1_11target_archE1201ELNS1_3gpuE5ELNS1_3repE0EEENS1_30default_config_static_selectorELNS0_4arch9wavefront6targetE1EEEvT1_.kd
    .uniform_work_group_size: 1
    .uses_dynamic_stack: false
    .vgpr_count:     0
    .vgpr_spill_count: 0
    .wavefront_size: 64
  - .agpr_count:     0
    .args:
      - .offset:         0
        .size:           56
        .value_kind:     by_value
    .group_segment_fixed_size: 0
    .kernarg_segment_align: 8
    .kernarg_segment_size: 56
    .language:       OpenCL C
    .language_version:
      - 2
      - 0
    .max_flat_workgroup_size: 512
    .name:           _ZN7rocprim17ROCPRIM_400000_NS6detail17trampoline_kernelINS0_14default_configENS1_25transform_config_selectorIlLb0EEEZNS1_14transform_implILb0ES3_S5_NS0_18transform_iteratorINS0_17counting_iteratorImlEEZNS1_24adjacent_difference_implIS3_Lb1ELb0EPlSB_ZN2at6native12_GLOBAL__N_124unique_dim_cuda_templateIaEESt5tupleIJNSC_6TensorESH_SH_EERKSH_lbbbEUlllE1_EE10hipError_tPvRmT2_T3_mT4_P12ihipStream_tbEUlmE_lEESB_NS0_8identityIvEEEESM_SP_SQ_mSR_ST_bEUlT_E_NS1_11comp_targetILNS1_3genE10ELNS1_11target_archE1200ELNS1_3gpuE4ELNS1_3repE0EEENS1_30default_config_static_selectorELNS0_4arch9wavefront6targetE1EEEvT1_
    .private_segment_fixed_size: 0
    .sgpr_count:     4
    .sgpr_spill_count: 0
    .symbol:         _ZN7rocprim17ROCPRIM_400000_NS6detail17trampoline_kernelINS0_14default_configENS1_25transform_config_selectorIlLb0EEEZNS1_14transform_implILb0ES3_S5_NS0_18transform_iteratorINS0_17counting_iteratorImlEEZNS1_24adjacent_difference_implIS3_Lb1ELb0EPlSB_ZN2at6native12_GLOBAL__N_124unique_dim_cuda_templateIaEESt5tupleIJNSC_6TensorESH_SH_EERKSH_lbbbEUlllE1_EE10hipError_tPvRmT2_T3_mT4_P12ihipStream_tbEUlmE_lEESB_NS0_8identityIvEEEESM_SP_SQ_mSR_ST_bEUlT_E_NS1_11comp_targetILNS1_3genE10ELNS1_11target_archE1200ELNS1_3gpuE4ELNS1_3repE0EEENS1_30default_config_static_selectorELNS0_4arch9wavefront6targetE1EEEvT1_.kd
    .uniform_work_group_size: 1
    .uses_dynamic_stack: false
    .vgpr_count:     0
    .vgpr_spill_count: 0
    .wavefront_size: 64
  - .agpr_count:     0
    .args:
      - .offset:         0
        .size:           56
        .value_kind:     by_value
    .group_segment_fixed_size: 0
    .kernarg_segment_align: 8
    .kernarg_segment_size: 56
    .language:       OpenCL C
    .language_version:
      - 2
      - 0
    .max_flat_workgroup_size: 512
    .name:           _ZN7rocprim17ROCPRIM_400000_NS6detail17trampoline_kernelINS0_14default_configENS1_25transform_config_selectorIlLb0EEEZNS1_14transform_implILb0ES3_S5_NS0_18transform_iteratorINS0_17counting_iteratorImlEEZNS1_24adjacent_difference_implIS3_Lb1ELb0EPlSB_ZN2at6native12_GLOBAL__N_124unique_dim_cuda_templateIaEESt5tupleIJNSC_6TensorESH_SH_EERKSH_lbbbEUlllE1_EE10hipError_tPvRmT2_T3_mT4_P12ihipStream_tbEUlmE_lEESB_NS0_8identityIvEEEESM_SP_SQ_mSR_ST_bEUlT_E_NS1_11comp_targetILNS1_3genE9ELNS1_11target_archE1100ELNS1_3gpuE3ELNS1_3repE0EEENS1_30default_config_static_selectorELNS0_4arch9wavefront6targetE1EEEvT1_
    .private_segment_fixed_size: 0
    .sgpr_count:     4
    .sgpr_spill_count: 0
    .symbol:         _ZN7rocprim17ROCPRIM_400000_NS6detail17trampoline_kernelINS0_14default_configENS1_25transform_config_selectorIlLb0EEEZNS1_14transform_implILb0ES3_S5_NS0_18transform_iteratorINS0_17counting_iteratorImlEEZNS1_24adjacent_difference_implIS3_Lb1ELb0EPlSB_ZN2at6native12_GLOBAL__N_124unique_dim_cuda_templateIaEESt5tupleIJNSC_6TensorESH_SH_EERKSH_lbbbEUlllE1_EE10hipError_tPvRmT2_T3_mT4_P12ihipStream_tbEUlmE_lEESB_NS0_8identityIvEEEESM_SP_SQ_mSR_ST_bEUlT_E_NS1_11comp_targetILNS1_3genE9ELNS1_11target_archE1100ELNS1_3gpuE3ELNS1_3repE0EEENS1_30default_config_static_selectorELNS0_4arch9wavefront6targetE1EEEvT1_.kd
    .uniform_work_group_size: 1
    .uses_dynamic_stack: false
    .vgpr_count:     0
    .vgpr_spill_count: 0
    .wavefront_size: 64
  - .agpr_count:     0
    .args:
      - .offset:         0
        .size:           56
        .value_kind:     by_value
    .group_segment_fixed_size: 0
    .kernarg_segment_align: 8
    .kernarg_segment_size: 56
    .language:       OpenCL C
    .language_version:
      - 2
      - 0
    .max_flat_workgroup_size: 512
    .name:           _ZN7rocprim17ROCPRIM_400000_NS6detail17trampoline_kernelINS0_14default_configENS1_25transform_config_selectorIlLb0EEEZNS1_14transform_implILb0ES3_S5_NS0_18transform_iteratorINS0_17counting_iteratorImlEEZNS1_24adjacent_difference_implIS3_Lb1ELb0EPlSB_ZN2at6native12_GLOBAL__N_124unique_dim_cuda_templateIaEESt5tupleIJNSC_6TensorESH_SH_EERKSH_lbbbEUlllE1_EE10hipError_tPvRmT2_T3_mT4_P12ihipStream_tbEUlmE_lEESB_NS0_8identityIvEEEESM_SP_SQ_mSR_ST_bEUlT_E_NS1_11comp_targetILNS1_3genE8ELNS1_11target_archE1030ELNS1_3gpuE2ELNS1_3repE0EEENS1_30default_config_static_selectorELNS0_4arch9wavefront6targetE1EEEvT1_
    .private_segment_fixed_size: 0
    .sgpr_count:     4
    .sgpr_spill_count: 0
    .symbol:         _ZN7rocprim17ROCPRIM_400000_NS6detail17trampoline_kernelINS0_14default_configENS1_25transform_config_selectorIlLb0EEEZNS1_14transform_implILb0ES3_S5_NS0_18transform_iteratorINS0_17counting_iteratorImlEEZNS1_24adjacent_difference_implIS3_Lb1ELb0EPlSB_ZN2at6native12_GLOBAL__N_124unique_dim_cuda_templateIaEESt5tupleIJNSC_6TensorESH_SH_EERKSH_lbbbEUlllE1_EE10hipError_tPvRmT2_T3_mT4_P12ihipStream_tbEUlmE_lEESB_NS0_8identityIvEEEESM_SP_SQ_mSR_ST_bEUlT_E_NS1_11comp_targetILNS1_3genE8ELNS1_11target_archE1030ELNS1_3gpuE2ELNS1_3repE0EEENS1_30default_config_static_selectorELNS0_4arch9wavefront6targetE1EEEvT1_.kd
    .uniform_work_group_size: 1
    .uses_dynamic_stack: false
    .vgpr_count:     0
    .vgpr_spill_count: 0
    .wavefront_size: 64
  - .agpr_count:     0
    .args:
      - .offset:         0
        .size:           64
        .value_kind:     by_value
    .group_segment_fixed_size: 0
    .kernarg_segment_align: 8
    .kernarg_segment_size: 64
    .language:       OpenCL C
    .language_version:
      - 2
      - 0
    .max_flat_workgroup_size: 512
    .name:           _ZN7rocprim17ROCPRIM_400000_NS6detail17trampoline_kernelINS0_14default_configENS1_35adjacent_difference_config_selectorILb1ElEEZNS1_24adjacent_difference_implIS3_Lb1ELb0EPlS7_ZN2at6native12_GLOBAL__N_124unique_dim_cuda_templateIaEESt5tupleIJNS8_6TensorESD_SD_EERKSD_lbbbEUlllE1_EE10hipError_tPvRmT2_T3_mT4_P12ihipStream_tbEUlT_E_NS1_11comp_targetILNS1_3genE0ELNS1_11target_archE4294967295ELNS1_3gpuE0ELNS1_3repE0EEENS1_30default_config_static_selectorELNS0_4arch9wavefront6targetE1EEEvT1_
    .private_segment_fixed_size: 0
    .sgpr_count:     4
    .sgpr_spill_count: 0
    .symbol:         _ZN7rocprim17ROCPRIM_400000_NS6detail17trampoline_kernelINS0_14default_configENS1_35adjacent_difference_config_selectorILb1ElEEZNS1_24adjacent_difference_implIS3_Lb1ELb0EPlS7_ZN2at6native12_GLOBAL__N_124unique_dim_cuda_templateIaEESt5tupleIJNS8_6TensorESD_SD_EERKSD_lbbbEUlllE1_EE10hipError_tPvRmT2_T3_mT4_P12ihipStream_tbEUlT_E_NS1_11comp_targetILNS1_3genE0ELNS1_11target_archE4294967295ELNS1_3gpuE0ELNS1_3repE0EEENS1_30default_config_static_selectorELNS0_4arch9wavefront6targetE1EEEvT1_.kd
    .uniform_work_group_size: 1
    .uses_dynamic_stack: false
    .vgpr_count:     0
    .vgpr_spill_count: 0
    .wavefront_size: 64
  - .agpr_count:     0
    .args:
      - .offset:         0
        .size:           64
        .value_kind:     by_value
    .group_segment_fixed_size: 0
    .kernarg_segment_align: 8
    .kernarg_segment_size: 64
    .language:       OpenCL C
    .language_version:
      - 2
      - 0
    .max_flat_workgroup_size: 32
    .name:           _ZN7rocprim17ROCPRIM_400000_NS6detail17trampoline_kernelINS0_14default_configENS1_35adjacent_difference_config_selectorILb1ElEEZNS1_24adjacent_difference_implIS3_Lb1ELb0EPlS7_ZN2at6native12_GLOBAL__N_124unique_dim_cuda_templateIaEESt5tupleIJNS8_6TensorESD_SD_EERKSD_lbbbEUlllE1_EE10hipError_tPvRmT2_T3_mT4_P12ihipStream_tbEUlT_E_NS1_11comp_targetILNS1_3genE10ELNS1_11target_archE1201ELNS1_3gpuE5ELNS1_3repE0EEENS1_30default_config_static_selectorELNS0_4arch9wavefront6targetE1EEEvT1_
    .private_segment_fixed_size: 0
    .sgpr_count:     4
    .sgpr_spill_count: 0
    .symbol:         _ZN7rocprim17ROCPRIM_400000_NS6detail17trampoline_kernelINS0_14default_configENS1_35adjacent_difference_config_selectorILb1ElEEZNS1_24adjacent_difference_implIS3_Lb1ELb0EPlS7_ZN2at6native12_GLOBAL__N_124unique_dim_cuda_templateIaEESt5tupleIJNS8_6TensorESD_SD_EERKSD_lbbbEUlllE1_EE10hipError_tPvRmT2_T3_mT4_P12ihipStream_tbEUlT_E_NS1_11comp_targetILNS1_3genE10ELNS1_11target_archE1201ELNS1_3gpuE5ELNS1_3repE0EEENS1_30default_config_static_selectorELNS0_4arch9wavefront6targetE1EEEvT1_.kd
    .uniform_work_group_size: 1
    .uses_dynamic_stack: false
    .vgpr_count:     0
    .vgpr_spill_count: 0
    .wavefront_size: 64
  - .agpr_count:     0
    .args:
      - .offset:         0
        .size:           64
        .value_kind:     by_value
    .group_segment_fixed_size: 0
    .kernarg_segment_align: 8
    .kernarg_segment_size: 64
    .language:       OpenCL C
    .language_version:
      - 2
      - 0
    .max_flat_workgroup_size: 256
    .name:           _ZN7rocprim17ROCPRIM_400000_NS6detail17trampoline_kernelINS0_14default_configENS1_35adjacent_difference_config_selectorILb1ElEEZNS1_24adjacent_difference_implIS3_Lb1ELb0EPlS7_ZN2at6native12_GLOBAL__N_124unique_dim_cuda_templateIaEESt5tupleIJNS8_6TensorESD_SD_EERKSD_lbbbEUlllE1_EE10hipError_tPvRmT2_T3_mT4_P12ihipStream_tbEUlT_E_NS1_11comp_targetILNS1_3genE5ELNS1_11target_archE942ELNS1_3gpuE9ELNS1_3repE0EEENS1_30default_config_static_selectorELNS0_4arch9wavefront6targetE1EEEvT1_
    .private_segment_fixed_size: 0
    .sgpr_count:     4
    .sgpr_spill_count: 0
    .symbol:         _ZN7rocprim17ROCPRIM_400000_NS6detail17trampoline_kernelINS0_14default_configENS1_35adjacent_difference_config_selectorILb1ElEEZNS1_24adjacent_difference_implIS3_Lb1ELb0EPlS7_ZN2at6native12_GLOBAL__N_124unique_dim_cuda_templateIaEESt5tupleIJNS8_6TensorESD_SD_EERKSD_lbbbEUlllE1_EE10hipError_tPvRmT2_T3_mT4_P12ihipStream_tbEUlT_E_NS1_11comp_targetILNS1_3genE5ELNS1_11target_archE942ELNS1_3gpuE9ELNS1_3repE0EEENS1_30default_config_static_selectorELNS0_4arch9wavefront6targetE1EEEvT1_.kd
    .uniform_work_group_size: 1
    .uses_dynamic_stack: false
    .vgpr_count:     0
    .vgpr_spill_count: 0
    .wavefront_size: 64
  - .agpr_count:     0
    .args:
      - .offset:         0
        .size:           64
        .value_kind:     by_value
    .group_segment_fixed_size: 8448
    .kernarg_segment_align: 8
    .kernarg_segment_size: 64
    .language:       OpenCL C
    .language_version:
      - 2
      - 0
    .max_flat_workgroup_size: 512
    .name:           _ZN7rocprim17ROCPRIM_400000_NS6detail17trampoline_kernelINS0_14default_configENS1_35adjacent_difference_config_selectorILb1ElEEZNS1_24adjacent_difference_implIS3_Lb1ELb0EPlS7_ZN2at6native12_GLOBAL__N_124unique_dim_cuda_templateIaEESt5tupleIJNS8_6TensorESD_SD_EERKSD_lbbbEUlllE1_EE10hipError_tPvRmT2_T3_mT4_P12ihipStream_tbEUlT_E_NS1_11comp_targetILNS1_3genE4ELNS1_11target_archE910ELNS1_3gpuE8ELNS1_3repE0EEENS1_30default_config_static_selectorELNS0_4arch9wavefront6targetE1EEEvT1_
    .private_segment_fixed_size: 0
    .sgpr_count:     42
    .sgpr_spill_count: 0
    .symbol:         _ZN7rocprim17ROCPRIM_400000_NS6detail17trampoline_kernelINS0_14default_configENS1_35adjacent_difference_config_selectorILb1ElEEZNS1_24adjacent_difference_implIS3_Lb1ELb0EPlS7_ZN2at6native12_GLOBAL__N_124unique_dim_cuda_templateIaEESt5tupleIJNS8_6TensorESD_SD_EERKSD_lbbbEUlllE1_EE10hipError_tPvRmT2_T3_mT4_P12ihipStream_tbEUlT_E_NS1_11comp_targetILNS1_3genE4ELNS1_11target_archE910ELNS1_3gpuE8ELNS1_3repE0EEENS1_30default_config_static_selectorELNS0_4arch9wavefront6targetE1EEEvT1_.kd
    .uniform_work_group_size: 1
    .uses_dynamic_stack: false
    .vgpr_count:     18
    .vgpr_spill_count: 0
    .wavefront_size: 64
  - .agpr_count:     0
    .args:
      - .offset:         0
        .size:           64
        .value_kind:     by_value
    .group_segment_fixed_size: 0
    .kernarg_segment_align: 8
    .kernarg_segment_size: 64
    .language:       OpenCL C
    .language_version:
      - 2
      - 0
    .max_flat_workgroup_size: 512
    .name:           _ZN7rocprim17ROCPRIM_400000_NS6detail17trampoline_kernelINS0_14default_configENS1_35adjacent_difference_config_selectorILb1ElEEZNS1_24adjacent_difference_implIS3_Lb1ELb0EPlS7_ZN2at6native12_GLOBAL__N_124unique_dim_cuda_templateIaEESt5tupleIJNS8_6TensorESD_SD_EERKSD_lbbbEUlllE1_EE10hipError_tPvRmT2_T3_mT4_P12ihipStream_tbEUlT_E_NS1_11comp_targetILNS1_3genE3ELNS1_11target_archE908ELNS1_3gpuE7ELNS1_3repE0EEENS1_30default_config_static_selectorELNS0_4arch9wavefront6targetE1EEEvT1_
    .private_segment_fixed_size: 0
    .sgpr_count:     4
    .sgpr_spill_count: 0
    .symbol:         _ZN7rocprim17ROCPRIM_400000_NS6detail17trampoline_kernelINS0_14default_configENS1_35adjacent_difference_config_selectorILb1ElEEZNS1_24adjacent_difference_implIS3_Lb1ELb0EPlS7_ZN2at6native12_GLOBAL__N_124unique_dim_cuda_templateIaEESt5tupleIJNS8_6TensorESD_SD_EERKSD_lbbbEUlllE1_EE10hipError_tPvRmT2_T3_mT4_P12ihipStream_tbEUlT_E_NS1_11comp_targetILNS1_3genE3ELNS1_11target_archE908ELNS1_3gpuE7ELNS1_3repE0EEENS1_30default_config_static_selectorELNS0_4arch9wavefront6targetE1EEEvT1_.kd
    .uniform_work_group_size: 1
    .uses_dynamic_stack: false
    .vgpr_count:     0
    .vgpr_spill_count: 0
    .wavefront_size: 64
  - .agpr_count:     0
    .args:
      - .offset:         0
        .size:           64
        .value_kind:     by_value
    .group_segment_fixed_size: 0
    .kernarg_segment_align: 8
    .kernarg_segment_size: 64
    .language:       OpenCL C
    .language_version:
      - 2
      - 0
    .max_flat_workgroup_size: 128
    .name:           _ZN7rocprim17ROCPRIM_400000_NS6detail17trampoline_kernelINS0_14default_configENS1_35adjacent_difference_config_selectorILb1ElEEZNS1_24adjacent_difference_implIS3_Lb1ELb0EPlS7_ZN2at6native12_GLOBAL__N_124unique_dim_cuda_templateIaEESt5tupleIJNS8_6TensorESD_SD_EERKSD_lbbbEUlllE1_EE10hipError_tPvRmT2_T3_mT4_P12ihipStream_tbEUlT_E_NS1_11comp_targetILNS1_3genE2ELNS1_11target_archE906ELNS1_3gpuE6ELNS1_3repE0EEENS1_30default_config_static_selectorELNS0_4arch9wavefront6targetE1EEEvT1_
    .private_segment_fixed_size: 0
    .sgpr_count:     4
    .sgpr_spill_count: 0
    .symbol:         _ZN7rocprim17ROCPRIM_400000_NS6detail17trampoline_kernelINS0_14default_configENS1_35adjacent_difference_config_selectorILb1ElEEZNS1_24adjacent_difference_implIS3_Lb1ELb0EPlS7_ZN2at6native12_GLOBAL__N_124unique_dim_cuda_templateIaEESt5tupleIJNS8_6TensorESD_SD_EERKSD_lbbbEUlllE1_EE10hipError_tPvRmT2_T3_mT4_P12ihipStream_tbEUlT_E_NS1_11comp_targetILNS1_3genE2ELNS1_11target_archE906ELNS1_3gpuE6ELNS1_3repE0EEENS1_30default_config_static_selectorELNS0_4arch9wavefront6targetE1EEEvT1_.kd
    .uniform_work_group_size: 1
    .uses_dynamic_stack: false
    .vgpr_count:     0
    .vgpr_spill_count: 0
    .wavefront_size: 64
  - .agpr_count:     0
    .args:
      - .offset:         0
        .size:           64
        .value_kind:     by_value
    .group_segment_fixed_size: 0
    .kernarg_segment_align: 8
    .kernarg_segment_size: 64
    .language:       OpenCL C
    .language_version:
      - 2
      - 0
    .max_flat_workgroup_size: 128
    .name:           _ZN7rocprim17ROCPRIM_400000_NS6detail17trampoline_kernelINS0_14default_configENS1_35adjacent_difference_config_selectorILb1ElEEZNS1_24adjacent_difference_implIS3_Lb1ELb0EPlS7_ZN2at6native12_GLOBAL__N_124unique_dim_cuda_templateIaEESt5tupleIJNS8_6TensorESD_SD_EERKSD_lbbbEUlllE1_EE10hipError_tPvRmT2_T3_mT4_P12ihipStream_tbEUlT_E_NS1_11comp_targetILNS1_3genE9ELNS1_11target_archE1100ELNS1_3gpuE3ELNS1_3repE0EEENS1_30default_config_static_selectorELNS0_4arch9wavefront6targetE1EEEvT1_
    .private_segment_fixed_size: 0
    .sgpr_count:     4
    .sgpr_spill_count: 0
    .symbol:         _ZN7rocprim17ROCPRIM_400000_NS6detail17trampoline_kernelINS0_14default_configENS1_35adjacent_difference_config_selectorILb1ElEEZNS1_24adjacent_difference_implIS3_Lb1ELb0EPlS7_ZN2at6native12_GLOBAL__N_124unique_dim_cuda_templateIaEESt5tupleIJNS8_6TensorESD_SD_EERKSD_lbbbEUlllE1_EE10hipError_tPvRmT2_T3_mT4_P12ihipStream_tbEUlT_E_NS1_11comp_targetILNS1_3genE9ELNS1_11target_archE1100ELNS1_3gpuE3ELNS1_3repE0EEENS1_30default_config_static_selectorELNS0_4arch9wavefront6targetE1EEEvT1_.kd
    .uniform_work_group_size: 1
    .uses_dynamic_stack: false
    .vgpr_count:     0
    .vgpr_spill_count: 0
    .wavefront_size: 64
  - .agpr_count:     0
    .args:
      - .offset:         0
        .size:           64
        .value_kind:     by_value
    .group_segment_fixed_size: 0
    .kernarg_segment_align: 8
    .kernarg_segment_size: 64
    .language:       OpenCL C
    .language_version:
      - 2
      - 0
    .max_flat_workgroup_size: 32
    .name:           _ZN7rocprim17ROCPRIM_400000_NS6detail17trampoline_kernelINS0_14default_configENS1_35adjacent_difference_config_selectorILb1ElEEZNS1_24adjacent_difference_implIS3_Lb1ELb0EPlS7_ZN2at6native12_GLOBAL__N_124unique_dim_cuda_templateIaEESt5tupleIJNS8_6TensorESD_SD_EERKSD_lbbbEUlllE1_EE10hipError_tPvRmT2_T3_mT4_P12ihipStream_tbEUlT_E_NS1_11comp_targetILNS1_3genE8ELNS1_11target_archE1030ELNS1_3gpuE2ELNS1_3repE0EEENS1_30default_config_static_selectorELNS0_4arch9wavefront6targetE1EEEvT1_
    .private_segment_fixed_size: 0
    .sgpr_count:     4
    .sgpr_spill_count: 0
    .symbol:         _ZN7rocprim17ROCPRIM_400000_NS6detail17trampoline_kernelINS0_14default_configENS1_35adjacent_difference_config_selectorILb1ElEEZNS1_24adjacent_difference_implIS3_Lb1ELb0EPlS7_ZN2at6native12_GLOBAL__N_124unique_dim_cuda_templateIaEESt5tupleIJNS8_6TensorESD_SD_EERKSD_lbbbEUlllE1_EE10hipError_tPvRmT2_T3_mT4_P12ihipStream_tbEUlT_E_NS1_11comp_targetILNS1_3genE8ELNS1_11target_archE1030ELNS1_3gpuE2ELNS1_3repE0EEENS1_30default_config_static_selectorELNS0_4arch9wavefront6targetE1EEEvT1_.kd
    .uniform_work_group_size: 1
    .uses_dynamic_stack: false
    .vgpr_count:     0
    .vgpr_spill_count: 0
    .wavefront_size: 64
  - .agpr_count:     0
    .args:
      - .offset:         0
        .size:           120
        .value_kind:     by_value
    .group_segment_fixed_size: 0
    .kernarg_segment_align: 8
    .kernarg_segment_size: 120
    .language:       OpenCL C
    .language_version:
      - 2
      - 0
    .max_flat_workgroup_size: 512
    .name:           _ZN7rocprim17ROCPRIM_400000_NS6detail17trampoline_kernelINS0_14default_configENS1_25partition_config_selectorILNS1_17partition_subalgoE8ElNS0_10empty_typeEbEEZZNS1_14partition_implILS5_8ELb0ES3_jPlPS6_PKS6_NS0_5tupleIJS9_S6_EEENSD_IJSA_SA_EEENS0_18inequality_wrapperIZN2at6native12_GLOBAL__N_124unique_dim_cuda_templateIaEESt5tupleIJNSH_6TensorESM_SM_EERKSM_lbbbEUlllE0_EEPmJS6_EEE10hipError_tPvRmT3_T4_T5_T6_T7_T9_mT8_P12ihipStream_tbDpT10_ENKUlT_T0_E_clISt17integral_constantIbLb0EES1C_EEDaS17_S18_EUlS17_E_NS1_11comp_targetILNS1_3genE0ELNS1_11target_archE4294967295ELNS1_3gpuE0ELNS1_3repE0EEENS1_30default_config_static_selectorELNS0_4arch9wavefront6targetE1EEEvT1_
    .private_segment_fixed_size: 0
    .sgpr_count:     4
    .sgpr_spill_count: 0
    .symbol:         _ZN7rocprim17ROCPRIM_400000_NS6detail17trampoline_kernelINS0_14default_configENS1_25partition_config_selectorILNS1_17partition_subalgoE8ElNS0_10empty_typeEbEEZZNS1_14partition_implILS5_8ELb0ES3_jPlPS6_PKS6_NS0_5tupleIJS9_S6_EEENSD_IJSA_SA_EEENS0_18inequality_wrapperIZN2at6native12_GLOBAL__N_124unique_dim_cuda_templateIaEESt5tupleIJNSH_6TensorESM_SM_EERKSM_lbbbEUlllE0_EEPmJS6_EEE10hipError_tPvRmT3_T4_T5_T6_T7_T9_mT8_P12ihipStream_tbDpT10_ENKUlT_T0_E_clISt17integral_constantIbLb0EES1C_EEDaS17_S18_EUlS17_E_NS1_11comp_targetILNS1_3genE0ELNS1_11target_archE4294967295ELNS1_3gpuE0ELNS1_3repE0EEENS1_30default_config_static_selectorELNS0_4arch9wavefront6targetE1EEEvT1_.kd
    .uniform_work_group_size: 1
    .uses_dynamic_stack: false
    .vgpr_count:     0
    .vgpr_spill_count: 0
    .wavefront_size: 64
  - .agpr_count:     0
    .args:
      - .offset:         0
        .size:           120
        .value_kind:     by_value
    .group_segment_fixed_size: 0
    .kernarg_segment_align: 8
    .kernarg_segment_size: 120
    .language:       OpenCL C
    .language_version:
      - 2
      - 0
    .max_flat_workgroup_size: 512
    .name:           _ZN7rocprim17ROCPRIM_400000_NS6detail17trampoline_kernelINS0_14default_configENS1_25partition_config_selectorILNS1_17partition_subalgoE8ElNS0_10empty_typeEbEEZZNS1_14partition_implILS5_8ELb0ES3_jPlPS6_PKS6_NS0_5tupleIJS9_S6_EEENSD_IJSA_SA_EEENS0_18inequality_wrapperIZN2at6native12_GLOBAL__N_124unique_dim_cuda_templateIaEESt5tupleIJNSH_6TensorESM_SM_EERKSM_lbbbEUlllE0_EEPmJS6_EEE10hipError_tPvRmT3_T4_T5_T6_T7_T9_mT8_P12ihipStream_tbDpT10_ENKUlT_T0_E_clISt17integral_constantIbLb0EES1C_EEDaS17_S18_EUlS17_E_NS1_11comp_targetILNS1_3genE5ELNS1_11target_archE942ELNS1_3gpuE9ELNS1_3repE0EEENS1_30default_config_static_selectorELNS0_4arch9wavefront6targetE1EEEvT1_
    .private_segment_fixed_size: 0
    .sgpr_count:     4
    .sgpr_spill_count: 0
    .symbol:         _ZN7rocprim17ROCPRIM_400000_NS6detail17trampoline_kernelINS0_14default_configENS1_25partition_config_selectorILNS1_17partition_subalgoE8ElNS0_10empty_typeEbEEZZNS1_14partition_implILS5_8ELb0ES3_jPlPS6_PKS6_NS0_5tupleIJS9_S6_EEENSD_IJSA_SA_EEENS0_18inequality_wrapperIZN2at6native12_GLOBAL__N_124unique_dim_cuda_templateIaEESt5tupleIJNSH_6TensorESM_SM_EERKSM_lbbbEUlllE0_EEPmJS6_EEE10hipError_tPvRmT3_T4_T5_T6_T7_T9_mT8_P12ihipStream_tbDpT10_ENKUlT_T0_E_clISt17integral_constantIbLb0EES1C_EEDaS17_S18_EUlS17_E_NS1_11comp_targetILNS1_3genE5ELNS1_11target_archE942ELNS1_3gpuE9ELNS1_3repE0EEENS1_30default_config_static_selectorELNS0_4arch9wavefront6targetE1EEEvT1_.kd
    .uniform_work_group_size: 1
    .uses_dynamic_stack: false
    .vgpr_count:     0
    .vgpr_spill_count: 0
    .wavefront_size: 64
  - .agpr_count:     0
    .args:
      - .offset:         0
        .size:           120
        .value_kind:     by_value
    .group_segment_fixed_size: 10252
    .kernarg_segment_align: 8
    .kernarg_segment_size: 120
    .language:       OpenCL C
    .language_version:
      - 2
      - 0
    .max_flat_workgroup_size: 256
    .name:           _ZN7rocprim17ROCPRIM_400000_NS6detail17trampoline_kernelINS0_14default_configENS1_25partition_config_selectorILNS1_17partition_subalgoE8ElNS0_10empty_typeEbEEZZNS1_14partition_implILS5_8ELb0ES3_jPlPS6_PKS6_NS0_5tupleIJS9_S6_EEENSD_IJSA_SA_EEENS0_18inequality_wrapperIZN2at6native12_GLOBAL__N_124unique_dim_cuda_templateIaEESt5tupleIJNSH_6TensorESM_SM_EERKSM_lbbbEUlllE0_EEPmJS6_EEE10hipError_tPvRmT3_T4_T5_T6_T7_T9_mT8_P12ihipStream_tbDpT10_ENKUlT_T0_E_clISt17integral_constantIbLb0EES1C_EEDaS17_S18_EUlS17_E_NS1_11comp_targetILNS1_3genE4ELNS1_11target_archE910ELNS1_3gpuE8ELNS1_3repE0EEENS1_30default_config_static_selectorELNS0_4arch9wavefront6targetE1EEEvT1_
    .private_segment_fixed_size: 0
    .sgpr_count:     52
    .sgpr_spill_count: 0
    .symbol:         _ZN7rocprim17ROCPRIM_400000_NS6detail17trampoline_kernelINS0_14default_configENS1_25partition_config_selectorILNS1_17partition_subalgoE8ElNS0_10empty_typeEbEEZZNS1_14partition_implILS5_8ELb0ES3_jPlPS6_PKS6_NS0_5tupleIJS9_S6_EEENSD_IJSA_SA_EEENS0_18inequality_wrapperIZN2at6native12_GLOBAL__N_124unique_dim_cuda_templateIaEESt5tupleIJNSH_6TensorESM_SM_EERKSM_lbbbEUlllE0_EEPmJS6_EEE10hipError_tPvRmT3_T4_T5_T6_T7_T9_mT8_P12ihipStream_tbDpT10_ENKUlT_T0_E_clISt17integral_constantIbLb0EES1C_EEDaS17_S18_EUlS17_E_NS1_11comp_targetILNS1_3genE4ELNS1_11target_archE910ELNS1_3gpuE8ELNS1_3repE0EEENS1_30default_config_static_selectorELNS0_4arch9wavefront6targetE1EEEvT1_.kd
    .uniform_work_group_size: 1
    .uses_dynamic_stack: false
    .vgpr_count:     46
    .vgpr_spill_count: 0
    .wavefront_size: 64
  - .agpr_count:     0
    .args:
      - .offset:         0
        .size:           120
        .value_kind:     by_value
    .group_segment_fixed_size: 0
    .kernarg_segment_align: 8
    .kernarg_segment_size: 120
    .language:       OpenCL C
    .language_version:
      - 2
      - 0
    .max_flat_workgroup_size: 512
    .name:           _ZN7rocprim17ROCPRIM_400000_NS6detail17trampoline_kernelINS0_14default_configENS1_25partition_config_selectorILNS1_17partition_subalgoE8ElNS0_10empty_typeEbEEZZNS1_14partition_implILS5_8ELb0ES3_jPlPS6_PKS6_NS0_5tupleIJS9_S6_EEENSD_IJSA_SA_EEENS0_18inequality_wrapperIZN2at6native12_GLOBAL__N_124unique_dim_cuda_templateIaEESt5tupleIJNSH_6TensorESM_SM_EERKSM_lbbbEUlllE0_EEPmJS6_EEE10hipError_tPvRmT3_T4_T5_T6_T7_T9_mT8_P12ihipStream_tbDpT10_ENKUlT_T0_E_clISt17integral_constantIbLb0EES1C_EEDaS17_S18_EUlS17_E_NS1_11comp_targetILNS1_3genE3ELNS1_11target_archE908ELNS1_3gpuE7ELNS1_3repE0EEENS1_30default_config_static_selectorELNS0_4arch9wavefront6targetE1EEEvT1_
    .private_segment_fixed_size: 0
    .sgpr_count:     4
    .sgpr_spill_count: 0
    .symbol:         _ZN7rocprim17ROCPRIM_400000_NS6detail17trampoline_kernelINS0_14default_configENS1_25partition_config_selectorILNS1_17partition_subalgoE8ElNS0_10empty_typeEbEEZZNS1_14partition_implILS5_8ELb0ES3_jPlPS6_PKS6_NS0_5tupleIJS9_S6_EEENSD_IJSA_SA_EEENS0_18inequality_wrapperIZN2at6native12_GLOBAL__N_124unique_dim_cuda_templateIaEESt5tupleIJNSH_6TensorESM_SM_EERKSM_lbbbEUlllE0_EEPmJS6_EEE10hipError_tPvRmT3_T4_T5_T6_T7_T9_mT8_P12ihipStream_tbDpT10_ENKUlT_T0_E_clISt17integral_constantIbLb0EES1C_EEDaS17_S18_EUlS17_E_NS1_11comp_targetILNS1_3genE3ELNS1_11target_archE908ELNS1_3gpuE7ELNS1_3repE0EEENS1_30default_config_static_selectorELNS0_4arch9wavefront6targetE1EEEvT1_.kd
    .uniform_work_group_size: 1
    .uses_dynamic_stack: false
    .vgpr_count:     0
    .vgpr_spill_count: 0
    .wavefront_size: 64
  - .agpr_count:     0
    .args:
      - .offset:         0
        .size:           120
        .value_kind:     by_value
    .group_segment_fixed_size: 0
    .kernarg_segment_align: 8
    .kernarg_segment_size: 120
    .language:       OpenCL C
    .language_version:
      - 2
      - 0
    .max_flat_workgroup_size: 256
    .name:           _ZN7rocprim17ROCPRIM_400000_NS6detail17trampoline_kernelINS0_14default_configENS1_25partition_config_selectorILNS1_17partition_subalgoE8ElNS0_10empty_typeEbEEZZNS1_14partition_implILS5_8ELb0ES3_jPlPS6_PKS6_NS0_5tupleIJS9_S6_EEENSD_IJSA_SA_EEENS0_18inequality_wrapperIZN2at6native12_GLOBAL__N_124unique_dim_cuda_templateIaEESt5tupleIJNSH_6TensorESM_SM_EERKSM_lbbbEUlllE0_EEPmJS6_EEE10hipError_tPvRmT3_T4_T5_T6_T7_T9_mT8_P12ihipStream_tbDpT10_ENKUlT_T0_E_clISt17integral_constantIbLb0EES1C_EEDaS17_S18_EUlS17_E_NS1_11comp_targetILNS1_3genE2ELNS1_11target_archE906ELNS1_3gpuE6ELNS1_3repE0EEENS1_30default_config_static_selectorELNS0_4arch9wavefront6targetE1EEEvT1_
    .private_segment_fixed_size: 0
    .sgpr_count:     4
    .sgpr_spill_count: 0
    .symbol:         _ZN7rocprim17ROCPRIM_400000_NS6detail17trampoline_kernelINS0_14default_configENS1_25partition_config_selectorILNS1_17partition_subalgoE8ElNS0_10empty_typeEbEEZZNS1_14partition_implILS5_8ELb0ES3_jPlPS6_PKS6_NS0_5tupleIJS9_S6_EEENSD_IJSA_SA_EEENS0_18inequality_wrapperIZN2at6native12_GLOBAL__N_124unique_dim_cuda_templateIaEESt5tupleIJNSH_6TensorESM_SM_EERKSM_lbbbEUlllE0_EEPmJS6_EEE10hipError_tPvRmT3_T4_T5_T6_T7_T9_mT8_P12ihipStream_tbDpT10_ENKUlT_T0_E_clISt17integral_constantIbLb0EES1C_EEDaS17_S18_EUlS17_E_NS1_11comp_targetILNS1_3genE2ELNS1_11target_archE906ELNS1_3gpuE6ELNS1_3repE0EEENS1_30default_config_static_selectorELNS0_4arch9wavefront6targetE1EEEvT1_.kd
    .uniform_work_group_size: 1
    .uses_dynamic_stack: false
    .vgpr_count:     0
    .vgpr_spill_count: 0
    .wavefront_size: 64
  - .agpr_count:     0
    .args:
      - .offset:         0
        .size:           120
        .value_kind:     by_value
    .group_segment_fixed_size: 0
    .kernarg_segment_align: 8
    .kernarg_segment_size: 120
    .language:       OpenCL C
    .language_version:
      - 2
      - 0
    .max_flat_workgroup_size: 384
    .name:           _ZN7rocprim17ROCPRIM_400000_NS6detail17trampoline_kernelINS0_14default_configENS1_25partition_config_selectorILNS1_17partition_subalgoE8ElNS0_10empty_typeEbEEZZNS1_14partition_implILS5_8ELb0ES3_jPlPS6_PKS6_NS0_5tupleIJS9_S6_EEENSD_IJSA_SA_EEENS0_18inequality_wrapperIZN2at6native12_GLOBAL__N_124unique_dim_cuda_templateIaEESt5tupleIJNSH_6TensorESM_SM_EERKSM_lbbbEUlllE0_EEPmJS6_EEE10hipError_tPvRmT3_T4_T5_T6_T7_T9_mT8_P12ihipStream_tbDpT10_ENKUlT_T0_E_clISt17integral_constantIbLb0EES1C_EEDaS17_S18_EUlS17_E_NS1_11comp_targetILNS1_3genE10ELNS1_11target_archE1200ELNS1_3gpuE4ELNS1_3repE0EEENS1_30default_config_static_selectorELNS0_4arch9wavefront6targetE1EEEvT1_
    .private_segment_fixed_size: 0
    .sgpr_count:     4
    .sgpr_spill_count: 0
    .symbol:         _ZN7rocprim17ROCPRIM_400000_NS6detail17trampoline_kernelINS0_14default_configENS1_25partition_config_selectorILNS1_17partition_subalgoE8ElNS0_10empty_typeEbEEZZNS1_14partition_implILS5_8ELb0ES3_jPlPS6_PKS6_NS0_5tupleIJS9_S6_EEENSD_IJSA_SA_EEENS0_18inequality_wrapperIZN2at6native12_GLOBAL__N_124unique_dim_cuda_templateIaEESt5tupleIJNSH_6TensorESM_SM_EERKSM_lbbbEUlllE0_EEPmJS6_EEE10hipError_tPvRmT3_T4_T5_T6_T7_T9_mT8_P12ihipStream_tbDpT10_ENKUlT_T0_E_clISt17integral_constantIbLb0EES1C_EEDaS17_S18_EUlS17_E_NS1_11comp_targetILNS1_3genE10ELNS1_11target_archE1200ELNS1_3gpuE4ELNS1_3repE0EEENS1_30default_config_static_selectorELNS0_4arch9wavefront6targetE1EEEvT1_.kd
    .uniform_work_group_size: 1
    .uses_dynamic_stack: false
    .vgpr_count:     0
    .vgpr_spill_count: 0
    .wavefront_size: 64
  - .agpr_count:     0
    .args:
      - .offset:         0
        .size:           120
        .value_kind:     by_value
    .group_segment_fixed_size: 0
    .kernarg_segment_align: 8
    .kernarg_segment_size: 120
    .language:       OpenCL C
    .language_version:
      - 2
      - 0
    .max_flat_workgroup_size: 512
    .name:           _ZN7rocprim17ROCPRIM_400000_NS6detail17trampoline_kernelINS0_14default_configENS1_25partition_config_selectorILNS1_17partition_subalgoE8ElNS0_10empty_typeEbEEZZNS1_14partition_implILS5_8ELb0ES3_jPlPS6_PKS6_NS0_5tupleIJS9_S6_EEENSD_IJSA_SA_EEENS0_18inequality_wrapperIZN2at6native12_GLOBAL__N_124unique_dim_cuda_templateIaEESt5tupleIJNSH_6TensorESM_SM_EERKSM_lbbbEUlllE0_EEPmJS6_EEE10hipError_tPvRmT3_T4_T5_T6_T7_T9_mT8_P12ihipStream_tbDpT10_ENKUlT_T0_E_clISt17integral_constantIbLb0EES1C_EEDaS17_S18_EUlS17_E_NS1_11comp_targetILNS1_3genE9ELNS1_11target_archE1100ELNS1_3gpuE3ELNS1_3repE0EEENS1_30default_config_static_selectorELNS0_4arch9wavefront6targetE1EEEvT1_
    .private_segment_fixed_size: 0
    .sgpr_count:     4
    .sgpr_spill_count: 0
    .symbol:         _ZN7rocprim17ROCPRIM_400000_NS6detail17trampoline_kernelINS0_14default_configENS1_25partition_config_selectorILNS1_17partition_subalgoE8ElNS0_10empty_typeEbEEZZNS1_14partition_implILS5_8ELb0ES3_jPlPS6_PKS6_NS0_5tupleIJS9_S6_EEENSD_IJSA_SA_EEENS0_18inequality_wrapperIZN2at6native12_GLOBAL__N_124unique_dim_cuda_templateIaEESt5tupleIJNSH_6TensorESM_SM_EERKSM_lbbbEUlllE0_EEPmJS6_EEE10hipError_tPvRmT3_T4_T5_T6_T7_T9_mT8_P12ihipStream_tbDpT10_ENKUlT_T0_E_clISt17integral_constantIbLb0EES1C_EEDaS17_S18_EUlS17_E_NS1_11comp_targetILNS1_3genE9ELNS1_11target_archE1100ELNS1_3gpuE3ELNS1_3repE0EEENS1_30default_config_static_selectorELNS0_4arch9wavefront6targetE1EEEvT1_.kd
    .uniform_work_group_size: 1
    .uses_dynamic_stack: false
    .vgpr_count:     0
    .vgpr_spill_count: 0
    .wavefront_size: 64
  - .agpr_count:     0
    .args:
      - .offset:         0
        .size:           120
        .value_kind:     by_value
    .group_segment_fixed_size: 0
    .kernarg_segment_align: 8
    .kernarg_segment_size: 120
    .language:       OpenCL C
    .language_version:
      - 2
      - 0
    .max_flat_workgroup_size: 512
    .name:           _ZN7rocprim17ROCPRIM_400000_NS6detail17trampoline_kernelINS0_14default_configENS1_25partition_config_selectorILNS1_17partition_subalgoE8ElNS0_10empty_typeEbEEZZNS1_14partition_implILS5_8ELb0ES3_jPlPS6_PKS6_NS0_5tupleIJS9_S6_EEENSD_IJSA_SA_EEENS0_18inequality_wrapperIZN2at6native12_GLOBAL__N_124unique_dim_cuda_templateIaEESt5tupleIJNSH_6TensorESM_SM_EERKSM_lbbbEUlllE0_EEPmJS6_EEE10hipError_tPvRmT3_T4_T5_T6_T7_T9_mT8_P12ihipStream_tbDpT10_ENKUlT_T0_E_clISt17integral_constantIbLb0EES1C_EEDaS17_S18_EUlS17_E_NS1_11comp_targetILNS1_3genE8ELNS1_11target_archE1030ELNS1_3gpuE2ELNS1_3repE0EEENS1_30default_config_static_selectorELNS0_4arch9wavefront6targetE1EEEvT1_
    .private_segment_fixed_size: 0
    .sgpr_count:     4
    .sgpr_spill_count: 0
    .symbol:         _ZN7rocprim17ROCPRIM_400000_NS6detail17trampoline_kernelINS0_14default_configENS1_25partition_config_selectorILNS1_17partition_subalgoE8ElNS0_10empty_typeEbEEZZNS1_14partition_implILS5_8ELb0ES3_jPlPS6_PKS6_NS0_5tupleIJS9_S6_EEENSD_IJSA_SA_EEENS0_18inequality_wrapperIZN2at6native12_GLOBAL__N_124unique_dim_cuda_templateIaEESt5tupleIJNSH_6TensorESM_SM_EERKSM_lbbbEUlllE0_EEPmJS6_EEE10hipError_tPvRmT3_T4_T5_T6_T7_T9_mT8_P12ihipStream_tbDpT10_ENKUlT_T0_E_clISt17integral_constantIbLb0EES1C_EEDaS17_S18_EUlS17_E_NS1_11comp_targetILNS1_3genE8ELNS1_11target_archE1030ELNS1_3gpuE2ELNS1_3repE0EEENS1_30default_config_static_selectorELNS0_4arch9wavefront6targetE1EEEvT1_.kd
    .uniform_work_group_size: 1
    .uses_dynamic_stack: false
    .vgpr_count:     0
    .vgpr_spill_count: 0
    .wavefront_size: 64
  - .agpr_count:     0
    .args:
      - .offset:         0
        .size:           136
        .value_kind:     by_value
    .group_segment_fixed_size: 0
    .kernarg_segment_align: 8
    .kernarg_segment_size: 136
    .language:       OpenCL C
    .language_version:
      - 2
      - 0
    .max_flat_workgroup_size: 512
    .name:           _ZN7rocprim17ROCPRIM_400000_NS6detail17trampoline_kernelINS0_14default_configENS1_25partition_config_selectorILNS1_17partition_subalgoE8ElNS0_10empty_typeEbEEZZNS1_14partition_implILS5_8ELb0ES3_jPlPS6_PKS6_NS0_5tupleIJS9_S6_EEENSD_IJSA_SA_EEENS0_18inequality_wrapperIZN2at6native12_GLOBAL__N_124unique_dim_cuda_templateIaEESt5tupleIJNSH_6TensorESM_SM_EERKSM_lbbbEUlllE0_EEPmJS6_EEE10hipError_tPvRmT3_T4_T5_T6_T7_T9_mT8_P12ihipStream_tbDpT10_ENKUlT_T0_E_clISt17integral_constantIbLb1EES1C_EEDaS17_S18_EUlS17_E_NS1_11comp_targetILNS1_3genE0ELNS1_11target_archE4294967295ELNS1_3gpuE0ELNS1_3repE0EEENS1_30default_config_static_selectorELNS0_4arch9wavefront6targetE1EEEvT1_
    .private_segment_fixed_size: 0
    .sgpr_count:     4
    .sgpr_spill_count: 0
    .symbol:         _ZN7rocprim17ROCPRIM_400000_NS6detail17trampoline_kernelINS0_14default_configENS1_25partition_config_selectorILNS1_17partition_subalgoE8ElNS0_10empty_typeEbEEZZNS1_14partition_implILS5_8ELb0ES3_jPlPS6_PKS6_NS0_5tupleIJS9_S6_EEENSD_IJSA_SA_EEENS0_18inequality_wrapperIZN2at6native12_GLOBAL__N_124unique_dim_cuda_templateIaEESt5tupleIJNSH_6TensorESM_SM_EERKSM_lbbbEUlllE0_EEPmJS6_EEE10hipError_tPvRmT3_T4_T5_T6_T7_T9_mT8_P12ihipStream_tbDpT10_ENKUlT_T0_E_clISt17integral_constantIbLb1EES1C_EEDaS17_S18_EUlS17_E_NS1_11comp_targetILNS1_3genE0ELNS1_11target_archE4294967295ELNS1_3gpuE0ELNS1_3repE0EEENS1_30default_config_static_selectorELNS0_4arch9wavefront6targetE1EEEvT1_.kd
    .uniform_work_group_size: 1
    .uses_dynamic_stack: false
    .vgpr_count:     0
    .vgpr_spill_count: 0
    .wavefront_size: 64
  - .agpr_count:     0
    .args:
      - .offset:         0
        .size:           136
        .value_kind:     by_value
    .group_segment_fixed_size: 0
    .kernarg_segment_align: 8
    .kernarg_segment_size: 136
    .language:       OpenCL C
    .language_version:
      - 2
      - 0
    .max_flat_workgroup_size: 512
    .name:           _ZN7rocprim17ROCPRIM_400000_NS6detail17trampoline_kernelINS0_14default_configENS1_25partition_config_selectorILNS1_17partition_subalgoE8ElNS0_10empty_typeEbEEZZNS1_14partition_implILS5_8ELb0ES3_jPlPS6_PKS6_NS0_5tupleIJS9_S6_EEENSD_IJSA_SA_EEENS0_18inequality_wrapperIZN2at6native12_GLOBAL__N_124unique_dim_cuda_templateIaEESt5tupleIJNSH_6TensorESM_SM_EERKSM_lbbbEUlllE0_EEPmJS6_EEE10hipError_tPvRmT3_T4_T5_T6_T7_T9_mT8_P12ihipStream_tbDpT10_ENKUlT_T0_E_clISt17integral_constantIbLb1EES1C_EEDaS17_S18_EUlS17_E_NS1_11comp_targetILNS1_3genE5ELNS1_11target_archE942ELNS1_3gpuE9ELNS1_3repE0EEENS1_30default_config_static_selectorELNS0_4arch9wavefront6targetE1EEEvT1_
    .private_segment_fixed_size: 0
    .sgpr_count:     4
    .sgpr_spill_count: 0
    .symbol:         _ZN7rocprim17ROCPRIM_400000_NS6detail17trampoline_kernelINS0_14default_configENS1_25partition_config_selectorILNS1_17partition_subalgoE8ElNS0_10empty_typeEbEEZZNS1_14partition_implILS5_8ELb0ES3_jPlPS6_PKS6_NS0_5tupleIJS9_S6_EEENSD_IJSA_SA_EEENS0_18inequality_wrapperIZN2at6native12_GLOBAL__N_124unique_dim_cuda_templateIaEESt5tupleIJNSH_6TensorESM_SM_EERKSM_lbbbEUlllE0_EEPmJS6_EEE10hipError_tPvRmT3_T4_T5_T6_T7_T9_mT8_P12ihipStream_tbDpT10_ENKUlT_T0_E_clISt17integral_constantIbLb1EES1C_EEDaS17_S18_EUlS17_E_NS1_11comp_targetILNS1_3genE5ELNS1_11target_archE942ELNS1_3gpuE9ELNS1_3repE0EEENS1_30default_config_static_selectorELNS0_4arch9wavefront6targetE1EEEvT1_.kd
    .uniform_work_group_size: 1
    .uses_dynamic_stack: false
    .vgpr_count:     0
    .vgpr_spill_count: 0
    .wavefront_size: 64
  - .agpr_count:     0
    .args:
      - .offset:         0
        .size:           136
        .value_kind:     by_value
    .group_segment_fixed_size: 10252
    .kernarg_segment_align: 8
    .kernarg_segment_size: 136
    .language:       OpenCL C
    .language_version:
      - 2
      - 0
    .max_flat_workgroup_size: 256
    .name:           _ZN7rocprim17ROCPRIM_400000_NS6detail17trampoline_kernelINS0_14default_configENS1_25partition_config_selectorILNS1_17partition_subalgoE8ElNS0_10empty_typeEbEEZZNS1_14partition_implILS5_8ELb0ES3_jPlPS6_PKS6_NS0_5tupleIJS9_S6_EEENSD_IJSA_SA_EEENS0_18inequality_wrapperIZN2at6native12_GLOBAL__N_124unique_dim_cuda_templateIaEESt5tupleIJNSH_6TensorESM_SM_EERKSM_lbbbEUlllE0_EEPmJS6_EEE10hipError_tPvRmT3_T4_T5_T6_T7_T9_mT8_P12ihipStream_tbDpT10_ENKUlT_T0_E_clISt17integral_constantIbLb1EES1C_EEDaS17_S18_EUlS17_E_NS1_11comp_targetILNS1_3genE4ELNS1_11target_archE910ELNS1_3gpuE8ELNS1_3repE0EEENS1_30default_config_static_selectorELNS0_4arch9wavefront6targetE1EEEvT1_
    .private_segment_fixed_size: 0
    .sgpr_count:     56
    .sgpr_spill_count: 0
    .symbol:         _ZN7rocprim17ROCPRIM_400000_NS6detail17trampoline_kernelINS0_14default_configENS1_25partition_config_selectorILNS1_17partition_subalgoE8ElNS0_10empty_typeEbEEZZNS1_14partition_implILS5_8ELb0ES3_jPlPS6_PKS6_NS0_5tupleIJS9_S6_EEENSD_IJSA_SA_EEENS0_18inequality_wrapperIZN2at6native12_GLOBAL__N_124unique_dim_cuda_templateIaEESt5tupleIJNSH_6TensorESM_SM_EERKSM_lbbbEUlllE0_EEPmJS6_EEE10hipError_tPvRmT3_T4_T5_T6_T7_T9_mT8_P12ihipStream_tbDpT10_ENKUlT_T0_E_clISt17integral_constantIbLb1EES1C_EEDaS17_S18_EUlS17_E_NS1_11comp_targetILNS1_3genE4ELNS1_11target_archE910ELNS1_3gpuE8ELNS1_3repE0EEENS1_30default_config_static_selectorELNS0_4arch9wavefront6targetE1EEEvT1_.kd
    .uniform_work_group_size: 1
    .uses_dynamic_stack: false
    .vgpr_count:     46
    .vgpr_spill_count: 0
    .wavefront_size: 64
  - .agpr_count:     0
    .args:
      - .offset:         0
        .size:           136
        .value_kind:     by_value
    .group_segment_fixed_size: 0
    .kernarg_segment_align: 8
    .kernarg_segment_size: 136
    .language:       OpenCL C
    .language_version:
      - 2
      - 0
    .max_flat_workgroup_size: 512
    .name:           _ZN7rocprim17ROCPRIM_400000_NS6detail17trampoline_kernelINS0_14default_configENS1_25partition_config_selectorILNS1_17partition_subalgoE8ElNS0_10empty_typeEbEEZZNS1_14partition_implILS5_8ELb0ES3_jPlPS6_PKS6_NS0_5tupleIJS9_S6_EEENSD_IJSA_SA_EEENS0_18inequality_wrapperIZN2at6native12_GLOBAL__N_124unique_dim_cuda_templateIaEESt5tupleIJNSH_6TensorESM_SM_EERKSM_lbbbEUlllE0_EEPmJS6_EEE10hipError_tPvRmT3_T4_T5_T6_T7_T9_mT8_P12ihipStream_tbDpT10_ENKUlT_T0_E_clISt17integral_constantIbLb1EES1C_EEDaS17_S18_EUlS17_E_NS1_11comp_targetILNS1_3genE3ELNS1_11target_archE908ELNS1_3gpuE7ELNS1_3repE0EEENS1_30default_config_static_selectorELNS0_4arch9wavefront6targetE1EEEvT1_
    .private_segment_fixed_size: 0
    .sgpr_count:     4
    .sgpr_spill_count: 0
    .symbol:         _ZN7rocprim17ROCPRIM_400000_NS6detail17trampoline_kernelINS0_14default_configENS1_25partition_config_selectorILNS1_17partition_subalgoE8ElNS0_10empty_typeEbEEZZNS1_14partition_implILS5_8ELb0ES3_jPlPS6_PKS6_NS0_5tupleIJS9_S6_EEENSD_IJSA_SA_EEENS0_18inequality_wrapperIZN2at6native12_GLOBAL__N_124unique_dim_cuda_templateIaEESt5tupleIJNSH_6TensorESM_SM_EERKSM_lbbbEUlllE0_EEPmJS6_EEE10hipError_tPvRmT3_T4_T5_T6_T7_T9_mT8_P12ihipStream_tbDpT10_ENKUlT_T0_E_clISt17integral_constantIbLb1EES1C_EEDaS17_S18_EUlS17_E_NS1_11comp_targetILNS1_3genE3ELNS1_11target_archE908ELNS1_3gpuE7ELNS1_3repE0EEENS1_30default_config_static_selectorELNS0_4arch9wavefront6targetE1EEEvT1_.kd
    .uniform_work_group_size: 1
    .uses_dynamic_stack: false
    .vgpr_count:     0
    .vgpr_spill_count: 0
    .wavefront_size: 64
  - .agpr_count:     0
    .args:
      - .offset:         0
        .size:           136
        .value_kind:     by_value
    .group_segment_fixed_size: 0
    .kernarg_segment_align: 8
    .kernarg_segment_size: 136
    .language:       OpenCL C
    .language_version:
      - 2
      - 0
    .max_flat_workgroup_size: 256
    .name:           _ZN7rocprim17ROCPRIM_400000_NS6detail17trampoline_kernelINS0_14default_configENS1_25partition_config_selectorILNS1_17partition_subalgoE8ElNS0_10empty_typeEbEEZZNS1_14partition_implILS5_8ELb0ES3_jPlPS6_PKS6_NS0_5tupleIJS9_S6_EEENSD_IJSA_SA_EEENS0_18inequality_wrapperIZN2at6native12_GLOBAL__N_124unique_dim_cuda_templateIaEESt5tupleIJNSH_6TensorESM_SM_EERKSM_lbbbEUlllE0_EEPmJS6_EEE10hipError_tPvRmT3_T4_T5_T6_T7_T9_mT8_P12ihipStream_tbDpT10_ENKUlT_T0_E_clISt17integral_constantIbLb1EES1C_EEDaS17_S18_EUlS17_E_NS1_11comp_targetILNS1_3genE2ELNS1_11target_archE906ELNS1_3gpuE6ELNS1_3repE0EEENS1_30default_config_static_selectorELNS0_4arch9wavefront6targetE1EEEvT1_
    .private_segment_fixed_size: 0
    .sgpr_count:     4
    .sgpr_spill_count: 0
    .symbol:         _ZN7rocprim17ROCPRIM_400000_NS6detail17trampoline_kernelINS0_14default_configENS1_25partition_config_selectorILNS1_17partition_subalgoE8ElNS0_10empty_typeEbEEZZNS1_14partition_implILS5_8ELb0ES3_jPlPS6_PKS6_NS0_5tupleIJS9_S6_EEENSD_IJSA_SA_EEENS0_18inequality_wrapperIZN2at6native12_GLOBAL__N_124unique_dim_cuda_templateIaEESt5tupleIJNSH_6TensorESM_SM_EERKSM_lbbbEUlllE0_EEPmJS6_EEE10hipError_tPvRmT3_T4_T5_T6_T7_T9_mT8_P12ihipStream_tbDpT10_ENKUlT_T0_E_clISt17integral_constantIbLb1EES1C_EEDaS17_S18_EUlS17_E_NS1_11comp_targetILNS1_3genE2ELNS1_11target_archE906ELNS1_3gpuE6ELNS1_3repE0EEENS1_30default_config_static_selectorELNS0_4arch9wavefront6targetE1EEEvT1_.kd
    .uniform_work_group_size: 1
    .uses_dynamic_stack: false
    .vgpr_count:     0
    .vgpr_spill_count: 0
    .wavefront_size: 64
  - .agpr_count:     0
    .args:
      - .offset:         0
        .size:           136
        .value_kind:     by_value
    .group_segment_fixed_size: 0
    .kernarg_segment_align: 8
    .kernarg_segment_size: 136
    .language:       OpenCL C
    .language_version:
      - 2
      - 0
    .max_flat_workgroup_size: 384
    .name:           _ZN7rocprim17ROCPRIM_400000_NS6detail17trampoline_kernelINS0_14default_configENS1_25partition_config_selectorILNS1_17partition_subalgoE8ElNS0_10empty_typeEbEEZZNS1_14partition_implILS5_8ELb0ES3_jPlPS6_PKS6_NS0_5tupleIJS9_S6_EEENSD_IJSA_SA_EEENS0_18inequality_wrapperIZN2at6native12_GLOBAL__N_124unique_dim_cuda_templateIaEESt5tupleIJNSH_6TensorESM_SM_EERKSM_lbbbEUlllE0_EEPmJS6_EEE10hipError_tPvRmT3_T4_T5_T6_T7_T9_mT8_P12ihipStream_tbDpT10_ENKUlT_T0_E_clISt17integral_constantIbLb1EES1C_EEDaS17_S18_EUlS17_E_NS1_11comp_targetILNS1_3genE10ELNS1_11target_archE1200ELNS1_3gpuE4ELNS1_3repE0EEENS1_30default_config_static_selectorELNS0_4arch9wavefront6targetE1EEEvT1_
    .private_segment_fixed_size: 0
    .sgpr_count:     4
    .sgpr_spill_count: 0
    .symbol:         _ZN7rocprim17ROCPRIM_400000_NS6detail17trampoline_kernelINS0_14default_configENS1_25partition_config_selectorILNS1_17partition_subalgoE8ElNS0_10empty_typeEbEEZZNS1_14partition_implILS5_8ELb0ES3_jPlPS6_PKS6_NS0_5tupleIJS9_S6_EEENSD_IJSA_SA_EEENS0_18inequality_wrapperIZN2at6native12_GLOBAL__N_124unique_dim_cuda_templateIaEESt5tupleIJNSH_6TensorESM_SM_EERKSM_lbbbEUlllE0_EEPmJS6_EEE10hipError_tPvRmT3_T4_T5_T6_T7_T9_mT8_P12ihipStream_tbDpT10_ENKUlT_T0_E_clISt17integral_constantIbLb1EES1C_EEDaS17_S18_EUlS17_E_NS1_11comp_targetILNS1_3genE10ELNS1_11target_archE1200ELNS1_3gpuE4ELNS1_3repE0EEENS1_30default_config_static_selectorELNS0_4arch9wavefront6targetE1EEEvT1_.kd
    .uniform_work_group_size: 1
    .uses_dynamic_stack: false
    .vgpr_count:     0
    .vgpr_spill_count: 0
    .wavefront_size: 64
  - .agpr_count:     0
    .args:
      - .offset:         0
        .size:           136
        .value_kind:     by_value
    .group_segment_fixed_size: 0
    .kernarg_segment_align: 8
    .kernarg_segment_size: 136
    .language:       OpenCL C
    .language_version:
      - 2
      - 0
    .max_flat_workgroup_size: 512
    .name:           _ZN7rocprim17ROCPRIM_400000_NS6detail17trampoline_kernelINS0_14default_configENS1_25partition_config_selectorILNS1_17partition_subalgoE8ElNS0_10empty_typeEbEEZZNS1_14partition_implILS5_8ELb0ES3_jPlPS6_PKS6_NS0_5tupleIJS9_S6_EEENSD_IJSA_SA_EEENS0_18inequality_wrapperIZN2at6native12_GLOBAL__N_124unique_dim_cuda_templateIaEESt5tupleIJNSH_6TensorESM_SM_EERKSM_lbbbEUlllE0_EEPmJS6_EEE10hipError_tPvRmT3_T4_T5_T6_T7_T9_mT8_P12ihipStream_tbDpT10_ENKUlT_T0_E_clISt17integral_constantIbLb1EES1C_EEDaS17_S18_EUlS17_E_NS1_11comp_targetILNS1_3genE9ELNS1_11target_archE1100ELNS1_3gpuE3ELNS1_3repE0EEENS1_30default_config_static_selectorELNS0_4arch9wavefront6targetE1EEEvT1_
    .private_segment_fixed_size: 0
    .sgpr_count:     4
    .sgpr_spill_count: 0
    .symbol:         _ZN7rocprim17ROCPRIM_400000_NS6detail17trampoline_kernelINS0_14default_configENS1_25partition_config_selectorILNS1_17partition_subalgoE8ElNS0_10empty_typeEbEEZZNS1_14partition_implILS5_8ELb0ES3_jPlPS6_PKS6_NS0_5tupleIJS9_S6_EEENSD_IJSA_SA_EEENS0_18inequality_wrapperIZN2at6native12_GLOBAL__N_124unique_dim_cuda_templateIaEESt5tupleIJNSH_6TensorESM_SM_EERKSM_lbbbEUlllE0_EEPmJS6_EEE10hipError_tPvRmT3_T4_T5_T6_T7_T9_mT8_P12ihipStream_tbDpT10_ENKUlT_T0_E_clISt17integral_constantIbLb1EES1C_EEDaS17_S18_EUlS17_E_NS1_11comp_targetILNS1_3genE9ELNS1_11target_archE1100ELNS1_3gpuE3ELNS1_3repE0EEENS1_30default_config_static_selectorELNS0_4arch9wavefront6targetE1EEEvT1_.kd
    .uniform_work_group_size: 1
    .uses_dynamic_stack: false
    .vgpr_count:     0
    .vgpr_spill_count: 0
    .wavefront_size: 64
  - .agpr_count:     0
    .args:
      - .offset:         0
        .size:           136
        .value_kind:     by_value
    .group_segment_fixed_size: 0
    .kernarg_segment_align: 8
    .kernarg_segment_size: 136
    .language:       OpenCL C
    .language_version:
      - 2
      - 0
    .max_flat_workgroup_size: 512
    .name:           _ZN7rocprim17ROCPRIM_400000_NS6detail17trampoline_kernelINS0_14default_configENS1_25partition_config_selectorILNS1_17partition_subalgoE8ElNS0_10empty_typeEbEEZZNS1_14partition_implILS5_8ELb0ES3_jPlPS6_PKS6_NS0_5tupleIJS9_S6_EEENSD_IJSA_SA_EEENS0_18inequality_wrapperIZN2at6native12_GLOBAL__N_124unique_dim_cuda_templateIaEESt5tupleIJNSH_6TensorESM_SM_EERKSM_lbbbEUlllE0_EEPmJS6_EEE10hipError_tPvRmT3_T4_T5_T6_T7_T9_mT8_P12ihipStream_tbDpT10_ENKUlT_T0_E_clISt17integral_constantIbLb1EES1C_EEDaS17_S18_EUlS17_E_NS1_11comp_targetILNS1_3genE8ELNS1_11target_archE1030ELNS1_3gpuE2ELNS1_3repE0EEENS1_30default_config_static_selectorELNS0_4arch9wavefront6targetE1EEEvT1_
    .private_segment_fixed_size: 0
    .sgpr_count:     4
    .sgpr_spill_count: 0
    .symbol:         _ZN7rocprim17ROCPRIM_400000_NS6detail17trampoline_kernelINS0_14default_configENS1_25partition_config_selectorILNS1_17partition_subalgoE8ElNS0_10empty_typeEbEEZZNS1_14partition_implILS5_8ELb0ES3_jPlPS6_PKS6_NS0_5tupleIJS9_S6_EEENSD_IJSA_SA_EEENS0_18inequality_wrapperIZN2at6native12_GLOBAL__N_124unique_dim_cuda_templateIaEESt5tupleIJNSH_6TensorESM_SM_EERKSM_lbbbEUlllE0_EEPmJS6_EEE10hipError_tPvRmT3_T4_T5_T6_T7_T9_mT8_P12ihipStream_tbDpT10_ENKUlT_T0_E_clISt17integral_constantIbLb1EES1C_EEDaS17_S18_EUlS17_E_NS1_11comp_targetILNS1_3genE8ELNS1_11target_archE1030ELNS1_3gpuE2ELNS1_3repE0EEENS1_30default_config_static_selectorELNS0_4arch9wavefront6targetE1EEEvT1_.kd
    .uniform_work_group_size: 1
    .uses_dynamic_stack: false
    .vgpr_count:     0
    .vgpr_spill_count: 0
    .wavefront_size: 64
  - .agpr_count:     0
    .args:
      - .offset:         0
        .size:           120
        .value_kind:     by_value
    .group_segment_fixed_size: 0
    .kernarg_segment_align: 8
    .kernarg_segment_size: 120
    .language:       OpenCL C
    .language_version:
      - 2
      - 0
    .max_flat_workgroup_size: 512
    .name:           _ZN7rocprim17ROCPRIM_400000_NS6detail17trampoline_kernelINS0_14default_configENS1_25partition_config_selectorILNS1_17partition_subalgoE8ElNS0_10empty_typeEbEEZZNS1_14partition_implILS5_8ELb0ES3_jPlPS6_PKS6_NS0_5tupleIJS9_S6_EEENSD_IJSA_SA_EEENS0_18inequality_wrapperIZN2at6native12_GLOBAL__N_124unique_dim_cuda_templateIaEESt5tupleIJNSH_6TensorESM_SM_EERKSM_lbbbEUlllE0_EEPmJS6_EEE10hipError_tPvRmT3_T4_T5_T6_T7_T9_mT8_P12ihipStream_tbDpT10_ENKUlT_T0_E_clISt17integral_constantIbLb1EES1B_IbLb0EEEEDaS17_S18_EUlS17_E_NS1_11comp_targetILNS1_3genE0ELNS1_11target_archE4294967295ELNS1_3gpuE0ELNS1_3repE0EEENS1_30default_config_static_selectorELNS0_4arch9wavefront6targetE1EEEvT1_
    .private_segment_fixed_size: 0
    .sgpr_count:     4
    .sgpr_spill_count: 0
    .symbol:         _ZN7rocprim17ROCPRIM_400000_NS6detail17trampoline_kernelINS0_14default_configENS1_25partition_config_selectorILNS1_17partition_subalgoE8ElNS0_10empty_typeEbEEZZNS1_14partition_implILS5_8ELb0ES3_jPlPS6_PKS6_NS0_5tupleIJS9_S6_EEENSD_IJSA_SA_EEENS0_18inequality_wrapperIZN2at6native12_GLOBAL__N_124unique_dim_cuda_templateIaEESt5tupleIJNSH_6TensorESM_SM_EERKSM_lbbbEUlllE0_EEPmJS6_EEE10hipError_tPvRmT3_T4_T5_T6_T7_T9_mT8_P12ihipStream_tbDpT10_ENKUlT_T0_E_clISt17integral_constantIbLb1EES1B_IbLb0EEEEDaS17_S18_EUlS17_E_NS1_11comp_targetILNS1_3genE0ELNS1_11target_archE4294967295ELNS1_3gpuE0ELNS1_3repE0EEENS1_30default_config_static_selectorELNS0_4arch9wavefront6targetE1EEEvT1_.kd
    .uniform_work_group_size: 1
    .uses_dynamic_stack: false
    .vgpr_count:     0
    .vgpr_spill_count: 0
    .wavefront_size: 64
  - .agpr_count:     0
    .args:
      - .offset:         0
        .size:           120
        .value_kind:     by_value
    .group_segment_fixed_size: 0
    .kernarg_segment_align: 8
    .kernarg_segment_size: 120
    .language:       OpenCL C
    .language_version:
      - 2
      - 0
    .max_flat_workgroup_size: 512
    .name:           _ZN7rocprim17ROCPRIM_400000_NS6detail17trampoline_kernelINS0_14default_configENS1_25partition_config_selectorILNS1_17partition_subalgoE8ElNS0_10empty_typeEbEEZZNS1_14partition_implILS5_8ELb0ES3_jPlPS6_PKS6_NS0_5tupleIJS9_S6_EEENSD_IJSA_SA_EEENS0_18inequality_wrapperIZN2at6native12_GLOBAL__N_124unique_dim_cuda_templateIaEESt5tupleIJNSH_6TensorESM_SM_EERKSM_lbbbEUlllE0_EEPmJS6_EEE10hipError_tPvRmT3_T4_T5_T6_T7_T9_mT8_P12ihipStream_tbDpT10_ENKUlT_T0_E_clISt17integral_constantIbLb1EES1B_IbLb0EEEEDaS17_S18_EUlS17_E_NS1_11comp_targetILNS1_3genE5ELNS1_11target_archE942ELNS1_3gpuE9ELNS1_3repE0EEENS1_30default_config_static_selectorELNS0_4arch9wavefront6targetE1EEEvT1_
    .private_segment_fixed_size: 0
    .sgpr_count:     4
    .sgpr_spill_count: 0
    .symbol:         _ZN7rocprim17ROCPRIM_400000_NS6detail17trampoline_kernelINS0_14default_configENS1_25partition_config_selectorILNS1_17partition_subalgoE8ElNS0_10empty_typeEbEEZZNS1_14partition_implILS5_8ELb0ES3_jPlPS6_PKS6_NS0_5tupleIJS9_S6_EEENSD_IJSA_SA_EEENS0_18inequality_wrapperIZN2at6native12_GLOBAL__N_124unique_dim_cuda_templateIaEESt5tupleIJNSH_6TensorESM_SM_EERKSM_lbbbEUlllE0_EEPmJS6_EEE10hipError_tPvRmT3_T4_T5_T6_T7_T9_mT8_P12ihipStream_tbDpT10_ENKUlT_T0_E_clISt17integral_constantIbLb1EES1B_IbLb0EEEEDaS17_S18_EUlS17_E_NS1_11comp_targetILNS1_3genE5ELNS1_11target_archE942ELNS1_3gpuE9ELNS1_3repE0EEENS1_30default_config_static_selectorELNS0_4arch9wavefront6targetE1EEEvT1_.kd
    .uniform_work_group_size: 1
    .uses_dynamic_stack: false
    .vgpr_count:     0
    .vgpr_spill_count: 0
    .wavefront_size: 64
  - .agpr_count:     0
    .args:
      - .offset:         0
        .size:           120
        .value_kind:     by_value
    .group_segment_fixed_size: 10252
    .kernarg_segment_align: 8
    .kernarg_segment_size: 120
    .language:       OpenCL C
    .language_version:
      - 2
      - 0
    .max_flat_workgroup_size: 256
    .name:           _ZN7rocprim17ROCPRIM_400000_NS6detail17trampoline_kernelINS0_14default_configENS1_25partition_config_selectorILNS1_17partition_subalgoE8ElNS0_10empty_typeEbEEZZNS1_14partition_implILS5_8ELb0ES3_jPlPS6_PKS6_NS0_5tupleIJS9_S6_EEENSD_IJSA_SA_EEENS0_18inequality_wrapperIZN2at6native12_GLOBAL__N_124unique_dim_cuda_templateIaEESt5tupleIJNSH_6TensorESM_SM_EERKSM_lbbbEUlllE0_EEPmJS6_EEE10hipError_tPvRmT3_T4_T5_T6_T7_T9_mT8_P12ihipStream_tbDpT10_ENKUlT_T0_E_clISt17integral_constantIbLb1EES1B_IbLb0EEEEDaS17_S18_EUlS17_E_NS1_11comp_targetILNS1_3genE4ELNS1_11target_archE910ELNS1_3gpuE8ELNS1_3repE0EEENS1_30default_config_static_selectorELNS0_4arch9wavefront6targetE1EEEvT1_
    .private_segment_fixed_size: 0
    .sgpr_count:     52
    .sgpr_spill_count: 0
    .symbol:         _ZN7rocprim17ROCPRIM_400000_NS6detail17trampoline_kernelINS0_14default_configENS1_25partition_config_selectorILNS1_17partition_subalgoE8ElNS0_10empty_typeEbEEZZNS1_14partition_implILS5_8ELb0ES3_jPlPS6_PKS6_NS0_5tupleIJS9_S6_EEENSD_IJSA_SA_EEENS0_18inequality_wrapperIZN2at6native12_GLOBAL__N_124unique_dim_cuda_templateIaEESt5tupleIJNSH_6TensorESM_SM_EERKSM_lbbbEUlllE0_EEPmJS6_EEE10hipError_tPvRmT3_T4_T5_T6_T7_T9_mT8_P12ihipStream_tbDpT10_ENKUlT_T0_E_clISt17integral_constantIbLb1EES1B_IbLb0EEEEDaS17_S18_EUlS17_E_NS1_11comp_targetILNS1_3genE4ELNS1_11target_archE910ELNS1_3gpuE8ELNS1_3repE0EEENS1_30default_config_static_selectorELNS0_4arch9wavefront6targetE1EEEvT1_.kd
    .uniform_work_group_size: 1
    .uses_dynamic_stack: false
    .vgpr_count:     46
    .vgpr_spill_count: 0
    .wavefront_size: 64
  - .agpr_count:     0
    .args:
      - .offset:         0
        .size:           120
        .value_kind:     by_value
    .group_segment_fixed_size: 0
    .kernarg_segment_align: 8
    .kernarg_segment_size: 120
    .language:       OpenCL C
    .language_version:
      - 2
      - 0
    .max_flat_workgroup_size: 512
    .name:           _ZN7rocprim17ROCPRIM_400000_NS6detail17trampoline_kernelINS0_14default_configENS1_25partition_config_selectorILNS1_17partition_subalgoE8ElNS0_10empty_typeEbEEZZNS1_14partition_implILS5_8ELb0ES3_jPlPS6_PKS6_NS0_5tupleIJS9_S6_EEENSD_IJSA_SA_EEENS0_18inequality_wrapperIZN2at6native12_GLOBAL__N_124unique_dim_cuda_templateIaEESt5tupleIJNSH_6TensorESM_SM_EERKSM_lbbbEUlllE0_EEPmJS6_EEE10hipError_tPvRmT3_T4_T5_T6_T7_T9_mT8_P12ihipStream_tbDpT10_ENKUlT_T0_E_clISt17integral_constantIbLb1EES1B_IbLb0EEEEDaS17_S18_EUlS17_E_NS1_11comp_targetILNS1_3genE3ELNS1_11target_archE908ELNS1_3gpuE7ELNS1_3repE0EEENS1_30default_config_static_selectorELNS0_4arch9wavefront6targetE1EEEvT1_
    .private_segment_fixed_size: 0
    .sgpr_count:     4
    .sgpr_spill_count: 0
    .symbol:         _ZN7rocprim17ROCPRIM_400000_NS6detail17trampoline_kernelINS0_14default_configENS1_25partition_config_selectorILNS1_17partition_subalgoE8ElNS0_10empty_typeEbEEZZNS1_14partition_implILS5_8ELb0ES3_jPlPS6_PKS6_NS0_5tupleIJS9_S6_EEENSD_IJSA_SA_EEENS0_18inequality_wrapperIZN2at6native12_GLOBAL__N_124unique_dim_cuda_templateIaEESt5tupleIJNSH_6TensorESM_SM_EERKSM_lbbbEUlllE0_EEPmJS6_EEE10hipError_tPvRmT3_T4_T5_T6_T7_T9_mT8_P12ihipStream_tbDpT10_ENKUlT_T0_E_clISt17integral_constantIbLb1EES1B_IbLb0EEEEDaS17_S18_EUlS17_E_NS1_11comp_targetILNS1_3genE3ELNS1_11target_archE908ELNS1_3gpuE7ELNS1_3repE0EEENS1_30default_config_static_selectorELNS0_4arch9wavefront6targetE1EEEvT1_.kd
    .uniform_work_group_size: 1
    .uses_dynamic_stack: false
    .vgpr_count:     0
    .vgpr_spill_count: 0
    .wavefront_size: 64
  - .agpr_count:     0
    .args:
      - .offset:         0
        .size:           120
        .value_kind:     by_value
    .group_segment_fixed_size: 0
    .kernarg_segment_align: 8
    .kernarg_segment_size: 120
    .language:       OpenCL C
    .language_version:
      - 2
      - 0
    .max_flat_workgroup_size: 256
    .name:           _ZN7rocprim17ROCPRIM_400000_NS6detail17trampoline_kernelINS0_14default_configENS1_25partition_config_selectorILNS1_17partition_subalgoE8ElNS0_10empty_typeEbEEZZNS1_14partition_implILS5_8ELb0ES3_jPlPS6_PKS6_NS0_5tupleIJS9_S6_EEENSD_IJSA_SA_EEENS0_18inequality_wrapperIZN2at6native12_GLOBAL__N_124unique_dim_cuda_templateIaEESt5tupleIJNSH_6TensorESM_SM_EERKSM_lbbbEUlllE0_EEPmJS6_EEE10hipError_tPvRmT3_T4_T5_T6_T7_T9_mT8_P12ihipStream_tbDpT10_ENKUlT_T0_E_clISt17integral_constantIbLb1EES1B_IbLb0EEEEDaS17_S18_EUlS17_E_NS1_11comp_targetILNS1_3genE2ELNS1_11target_archE906ELNS1_3gpuE6ELNS1_3repE0EEENS1_30default_config_static_selectorELNS0_4arch9wavefront6targetE1EEEvT1_
    .private_segment_fixed_size: 0
    .sgpr_count:     4
    .sgpr_spill_count: 0
    .symbol:         _ZN7rocprim17ROCPRIM_400000_NS6detail17trampoline_kernelINS0_14default_configENS1_25partition_config_selectorILNS1_17partition_subalgoE8ElNS0_10empty_typeEbEEZZNS1_14partition_implILS5_8ELb0ES3_jPlPS6_PKS6_NS0_5tupleIJS9_S6_EEENSD_IJSA_SA_EEENS0_18inequality_wrapperIZN2at6native12_GLOBAL__N_124unique_dim_cuda_templateIaEESt5tupleIJNSH_6TensorESM_SM_EERKSM_lbbbEUlllE0_EEPmJS6_EEE10hipError_tPvRmT3_T4_T5_T6_T7_T9_mT8_P12ihipStream_tbDpT10_ENKUlT_T0_E_clISt17integral_constantIbLb1EES1B_IbLb0EEEEDaS17_S18_EUlS17_E_NS1_11comp_targetILNS1_3genE2ELNS1_11target_archE906ELNS1_3gpuE6ELNS1_3repE0EEENS1_30default_config_static_selectorELNS0_4arch9wavefront6targetE1EEEvT1_.kd
    .uniform_work_group_size: 1
    .uses_dynamic_stack: false
    .vgpr_count:     0
    .vgpr_spill_count: 0
    .wavefront_size: 64
  - .agpr_count:     0
    .args:
      - .offset:         0
        .size:           120
        .value_kind:     by_value
    .group_segment_fixed_size: 0
    .kernarg_segment_align: 8
    .kernarg_segment_size: 120
    .language:       OpenCL C
    .language_version:
      - 2
      - 0
    .max_flat_workgroup_size: 384
    .name:           _ZN7rocprim17ROCPRIM_400000_NS6detail17trampoline_kernelINS0_14default_configENS1_25partition_config_selectorILNS1_17partition_subalgoE8ElNS0_10empty_typeEbEEZZNS1_14partition_implILS5_8ELb0ES3_jPlPS6_PKS6_NS0_5tupleIJS9_S6_EEENSD_IJSA_SA_EEENS0_18inequality_wrapperIZN2at6native12_GLOBAL__N_124unique_dim_cuda_templateIaEESt5tupleIJNSH_6TensorESM_SM_EERKSM_lbbbEUlllE0_EEPmJS6_EEE10hipError_tPvRmT3_T4_T5_T6_T7_T9_mT8_P12ihipStream_tbDpT10_ENKUlT_T0_E_clISt17integral_constantIbLb1EES1B_IbLb0EEEEDaS17_S18_EUlS17_E_NS1_11comp_targetILNS1_3genE10ELNS1_11target_archE1200ELNS1_3gpuE4ELNS1_3repE0EEENS1_30default_config_static_selectorELNS0_4arch9wavefront6targetE1EEEvT1_
    .private_segment_fixed_size: 0
    .sgpr_count:     4
    .sgpr_spill_count: 0
    .symbol:         _ZN7rocprim17ROCPRIM_400000_NS6detail17trampoline_kernelINS0_14default_configENS1_25partition_config_selectorILNS1_17partition_subalgoE8ElNS0_10empty_typeEbEEZZNS1_14partition_implILS5_8ELb0ES3_jPlPS6_PKS6_NS0_5tupleIJS9_S6_EEENSD_IJSA_SA_EEENS0_18inequality_wrapperIZN2at6native12_GLOBAL__N_124unique_dim_cuda_templateIaEESt5tupleIJNSH_6TensorESM_SM_EERKSM_lbbbEUlllE0_EEPmJS6_EEE10hipError_tPvRmT3_T4_T5_T6_T7_T9_mT8_P12ihipStream_tbDpT10_ENKUlT_T0_E_clISt17integral_constantIbLb1EES1B_IbLb0EEEEDaS17_S18_EUlS17_E_NS1_11comp_targetILNS1_3genE10ELNS1_11target_archE1200ELNS1_3gpuE4ELNS1_3repE0EEENS1_30default_config_static_selectorELNS0_4arch9wavefront6targetE1EEEvT1_.kd
    .uniform_work_group_size: 1
    .uses_dynamic_stack: false
    .vgpr_count:     0
    .vgpr_spill_count: 0
    .wavefront_size: 64
  - .agpr_count:     0
    .args:
      - .offset:         0
        .size:           120
        .value_kind:     by_value
    .group_segment_fixed_size: 0
    .kernarg_segment_align: 8
    .kernarg_segment_size: 120
    .language:       OpenCL C
    .language_version:
      - 2
      - 0
    .max_flat_workgroup_size: 512
    .name:           _ZN7rocprim17ROCPRIM_400000_NS6detail17trampoline_kernelINS0_14default_configENS1_25partition_config_selectorILNS1_17partition_subalgoE8ElNS0_10empty_typeEbEEZZNS1_14partition_implILS5_8ELb0ES3_jPlPS6_PKS6_NS0_5tupleIJS9_S6_EEENSD_IJSA_SA_EEENS0_18inequality_wrapperIZN2at6native12_GLOBAL__N_124unique_dim_cuda_templateIaEESt5tupleIJNSH_6TensorESM_SM_EERKSM_lbbbEUlllE0_EEPmJS6_EEE10hipError_tPvRmT3_T4_T5_T6_T7_T9_mT8_P12ihipStream_tbDpT10_ENKUlT_T0_E_clISt17integral_constantIbLb1EES1B_IbLb0EEEEDaS17_S18_EUlS17_E_NS1_11comp_targetILNS1_3genE9ELNS1_11target_archE1100ELNS1_3gpuE3ELNS1_3repE0EEENS1_30default_config_static_selectorELNS0_4arch9wavefront6targetE1EEEvT1_
    .private_segment_fixed_size: 0
    .sgpr_count:     4
    .sgpr_spill_count: 0
    .symbol:         _ZN7rocprim17ROCPRIM_400000_NS6detail17trampoline_kernelINS0_14default_configENS1_25partition_config_selectorILNS1_17partition_subalgoE8ElNS0_10empty_typeEbEEZZNS1_14partition_implILS5_8ELb0ES3_jPlPS6_PKS6_NS0_5tupleIJS9_S6_EEENSD_IJSA_SA_EEENS0_18inequality_wrapperIZN2at6native12_GLOBAL__N_124unique_dim_cuda_templateIaEESt5tupleIJNSH_6TensorESM_SM_EERKSM_lbbbEUlllE0_EEPmJS6_EEE10hipError_tPvRmT3_T4_T5_T6_T7_T9_mT8_P12ihipStream_tbDpT10_ENKUlT_T0_E_clISt17integral_constantIbLb1EES1B_IbLb0EEEEDaS17_S18_EUlS17_E_NS1_11comp_targetILNS1_3genE9ELNS1_11target_archE1100ELNS1_3gpuE3ELNS1_3repE0EEENS1_30default_config_static_selectorELNS0_4arch9wavefront6targetE1EEEvT1_.kd
    .uniform_work_group_size: 1
    .uses_dynamic_stack: false
    .vgpr_count:     0
    .vgpr_spill_count: 0
    .wavefront_size: 64
  - .agpr_count:     0
    .args:
      - .offset:         0
        .size:           120
        .value_kind:     by_value
    .group_segment_fixed_size: 0
    .kernarg_segment_align: 8
    .kernarg_segment_size: 120
    .language:       OpenCL C
    .language_version:
      - 2
      - 0
    .max_flat_workgroup_size: 512
    .name:           _ZN7rocprim17ROCPRIM_400000_NS6detail17trampoline_kernelINS0_14default_configENS1_25partition_config_selectorILNS1_17partition_subalgoE8ElNS0_10empty_typeEbEEZZNS1_14partition_implILS5_8ELb0ES3_jPlPS6_PKS6_NS0_5tupleIJS9_S6_EEENSD_IJSA_SA_EEENS0_18inequality_wrapperIZN2at6native12_GLOBAL__N_124unique_dim_cuda_templateIaEESt5tupleIJNSH_6TensorESM_SM_EERKSM_lbbbEUlllE0_EEPmJS6_EEE10hipError_tPvRmT3_T4_T5_T6_T7_T9_mT8_P12ihipStream_tbDpT10_ENKUlT_T0_E_clISt17integral_constantIbLb1EES1B_IbLb0EEEEDaS17_S18_EUlS17_E_NS1_11comp_targetILNS1_3genE8ELNS1_11target_archE1030ELNS1_3gpuE2ELNS1_3repE0EEENS1_30default_config_static_selectorELNS0_4arch9wavefront6targetE1EEEvT1_
    .private_segment_fixed_size: 0
    .sgpr_count:     4
    .sgpr_spill_count: 0
    .symbol:         _ZN7rocprim17ROCPRIM_400000_NS6detail17trampoline_kernelINS0_14default_configENS1_25partition_config_selectorILNS1_17partition_subalgoE8ElNS0_10empty_typeEbEEZZNS1_14partition_implILS5_8ELb0ES3_jPlPS6_PKS6_NS0_5tupleIJS9_S6_EEENSD_IJSA_SA_EEENS0_18inequality_wrapperIZN2at6native12_GLOBAL__N_124unique_dim_cuda_templateIaEESt5tupleIJNSH_6TensorESM_SM_EERKSM_lbbbEUlllE0_EEPmJS6_EEE10hipError_tPvRmT3_T4_T5_T6_T7_T9_mT8_P12ihipStream_tbDpT10_ENKUlT_T0_E_clISt17integral_constantIbLb1EES1B_IbLb0EEEEDaS17_S18_EUlS17_E_NS1_11comp_targetILNS1_3genE8ELNS1_11target_archE1030ELNS1_3gpuE2ELNS1_3repE0EEENS1_30default_config_static_selectorELNS0_4arch9wavefront6targetE1EEEvT1_.kd
    .uniform_work_group_size: 1
    .uses_dynamic_stack: false
    .vgpr_count:     0
    .vgpr_spill_count: 0
    .wavefront_size: 64
  - .agpr_count:     0
    .args:
      - .offset:         0
        .size:           136
        .value_kind:     by_value
    .group_segment_fixed_size: 0
    .kernarg_segment_align: 8
    .kernarg_segment_size: 136
    .language:       OpenCL C
    .language_version:
      - 2
      - 0
    .max_flat_workgroup_size: 512
    .name:           _ZN7rocprim17ROCPRIM_400000_NS6detail17trampoline_kernelINS0_14default_configENS1_25partition_config_selectorILNS1_17partition_subalgoE8ElNS0_10empty_typeEbEEZZNS1_14partition_implILS5_8ELb0ES3_jPlPS6_PKS6_NS0_5tupleIJS9_S6_EEENSD_IJSA_SA_EEENS0_18inequality_wrapperIZN2at6native12_GLOBAL__N_124unique_dim_cuda_templateIaEESt5tupleIJNSH_6TensorESM_SM_EERKSM_lbbbEUlllE0_EEPmJS6_EEE10hipError_tPvRmT3_T4_T5_T6_T7_T9_mT8_P12ihipStream_tbDpT10_ENKUlT_T0_E_clISt17integral_constantIbLb0EES1B_IbLb1EEEEDaS17_S18_EUlS17_E_NS1_11comp_targetILNS1_3genE0ELNS1_11target_archE4294967295ELNS1_3gpuE0ELNS1_3repE0EEENS1_30default_config_static_selectorELNS0_4arch9wavefront6targetE1EEEvT1_
    .private_segment_fixed_size: 0
    .sgpr_count:     4
    .sgpr_spill_count: 0
    .symbol:         _ZN7rocprim17ROCPRIM_400000_NS6detail17trampoline_kernelINS0_14default_configENS1_25partition_config_selectorILNS1_17partition_subalgoE8ElNS0_10empty_typeEbEEZZNS1_14partition_implILS5_8ELb0ES3_jPlPS6_PKS6_NS0_5tupleIJS9_S6_EEENSD_IJSA_SA_EEENS0_18inequality_wrapperIZN2at6native12_GLOBAL__N_124unique_dim_cuda_templateIaEESt5tupleIJNSH_6TensorESM_SM_EERKSM_lbbbEUlllE0_EEPmJS6_EEE10hipError_tPvRmT3_T4_T5_T6_T7_T9_mT8_P12ihipStream_tbDpT10_ENKUlT_T0_E_clISt17integral_constantIbLb0EES1B_IbLb1EEEEDaS17_S18_EUlS17_E_NS1_11comp_targetILNS1_3genE0ELNS1_11target_archE4294967295ELNS1_3gpuE0ELNS1_3repE0EEENS1_30default_config_static_selectorELNS0_4arch9wavefront6targetE1EEEvT1_.kd
    .uniform_work_group_size: 1
    .uses_dynamic_stack: false
    .vgpr_count:     0
    .vgpr_spill_count: 0
    .wavefront_size: 64
  - .agpr_count:     0
    .args:
      - .offset:         0
        .size:           136
        .value_kind:     by_value
    .group_segment_fixed_size: 0
    .kernarg_segment_align: 8
    .kernarg_segment_size: 136
    .language:       OpenCL C
    .language_version:
      - 2
      - 0
    .max_flat_workgroup_size: 512
    .name:           _ZN7rocprim17ROCPRIM_400000_NS6detail17trampoline_kernelINS0_14default_configENS1_25partition_config_selectorILNS1_17partition_subalgoE8ElNS0_10empty_typeEbEEZZNS1_14partition_implILS5_8ELb0ES3_jPlPS6_PKS6_NS0_5tupleIJS9_S6_EEENSD_IJSA_SA_EEENS0_18inequality_wrapperIZN2at6native12_GLOBAL__N_124unique_dim_cuda_templateIaEESt5tupleIJNSH_6TensorESM_SM_EERKSM_lbbbEUlllE0_EEPmJS6_EEE10hipError_tPvRmT3_T4_T5_T6_T7_T9_mT8_P12ihipStream_tbDpT10_ENKUlT_T0_E_clISt17integral_constantIbLb0EES1B_IbLb1EEEEDaS17_S18_EUlS17_E_NS1_11comp_targetILNS1_3genE5ELNS1_11target_archE942ELNS1_3gpuE9ELNS1_3repE0EEENS1_30default_config_static_selectorELNS0_4arch9wavefront6targetE1EEEvT1_
    .private_segment_fixed_size: 0
    .sgpr_count:     4
    .sgpr_spill_count: 0
    .symbol:         _ZN7rocprim17ROCPRIM_400000_NS6detail17trampoline_kernelINS0_14default_configENS1_25partition_config_selectorILNS1_17partition_subalgoE8ElNS0_10empty_typeEbEEZZNS1_14partition_implILS5_8ELb0ES3_jPlPS6_PKS6_NS0_5tupleIJS9_S6_EEENSD_IJSA_SA_EEENS0_18inequality_wrapperIZN2at6native12_GLOBAL__N_124unique_dim_cuda_templateIaEESt5tupleIJNSH_6TensorESM_SM_EERKSM_lbbbEUlllE0_EEPmJS6_EEE10hipError_tPvRmT3_T4_T5_T6_T7_T9_mT8_P12ihipStream_tbDpT10_ENKUlT_T0_E_clISt17integral_constantIbLb0EES1B_IbLb1EEEEDaS17_S18_EUlS17_E_NS1_11comp_targetILNS1_3genE5ELNS1_11target_archE942ELNS1_3gpuE9ELNS1_3repE0EEENS1_30default_config_static_selectorELNS0_4arch9wavefront6targetE1EEEvT1_.kd
    .uniform_work_group_size: 1
    .uses_dynamic_stack: false
    .vgpr_count:     0
    .vgpr_spill_count: 0
    .wavefront_size: 64
  - .agpr_count:     0
    .args:
      - .offset:         0
        .size:           136
        .value_kind:     by_value
    .group_segment_fixed_size: 10252
    .kernarg_segment_align: 8
    .kernarg_segment_size: 136
    .language:       OpenCL C
    .language_version:
      - 2
      - 0
    .max_flat_workgroup_size: 256
    .name:           _ZN7rocprim17ROCPRIM_400000_NS6detail17trampoline_kernelINS0_14default_configENS1_25partition_config_selectorILNS1_17partition_subalgoE8ElNS0_10empty_typeEbEEZZNS1_14partition_implILS5_8ELb0ES3_jPlPS6_PKS6_NS0_5tupleIJS9_S6_EEENSD_IJSA_SA_EEENS0_18inequality_wrapperIZN2at6native12_GLOBAL__N_124unique_dim_cuda_templateIaEESt5tupleIJNSH_6TensorESM_SM_EERKSM_lbbbEUlllE0_EEPmJS6_EEE10hipError_tPvRmT3_T4_T5_T6_T7_T9_mT8_P12ihipStream_tbDpT10_ENKUlT_T0_E_clISt17integral_constantIbLb0EES1B_IbLb1EEEEDaS17_S18_EUlS17_E_NS1_11comp_targetILNS1_3genE4ELNS1_11target_archE910ELNS1_3gpuE8ELNS1_3repE0EEENS1_30default_config_static_selectorELNS0_4arch9wavefront6targetE1EEEvT1_
    .private_segment_fixed_size: 0
    .sgpr_count:     56
    .sgpr_spill_count: 0
    .symbol:         _ZN7rocprim17ROCPRIM_400000_NS6detail17trampoline_kernelINS0_14default_configENS1_25partition_config_selectorILNS1_17partition_subalgoE8ElNS0_10empty_typeEbEEZZNS1_14partition_implILS5_8ELb0ES3_jPlPS6_PKS6_NS0_5tupleIJS9_S6_EEENSD_IJSA_SA_EEENS0_18inequality_wrapperIZN2at6native12_GLOBAL__N_124unique_dim_cuda_templateIaEESt5tupleIJNSH_6TensorESM_SM_EERKSM_lbbbEUlllE0_EEPmJS6_EEE10hipError_tPvRmT3_T4_T5_T6_T7_T9_mT8_P12ihipStream_tbDpT10_ENKUlT_T0_E_clISt17integral_constantIbLb0EES1B_IbLb1EEEEDaS17_S18_EUlS17_E_NS1_11comp_targetILNS1_3genE4ELNS1_11target_archE910ELNS1_3gpuE8ELNS1_3repE0EEENS1_30default_config_static_selectorELNS0_4arch9wavefront6targetE1EEEvT1_.kd
    .uniform_work_group_size: 1
    .uses_dynamic_stack: false
    .vgpr_count:     46
    .vgpr_spill_count: 0
    .wavefront_size: 64
  - .agpr_count:     0
    .args:
      - .offset:         0
        .size:           136
        .value_kind:     by_value
    .group_segment_fixed_size: 0
    .kernarg_segment_align: 8
    .kernarg_segment_size: 136
    .language:       OpenCL C
    .language_version:
      - 2
      - 0
    .max_flat_workgroup_size: 512
    .name:           _ZN7rocprim17ROCPRIM_400000_NS6detail17trampoline_kernelINS0_14default_configENS1_25partition_config_selectorILNS1_17partition_subalgoE8ElNS0_10empty_typeEbEEZZNS1_14partition_implILS5_8ELb0ES3_jPlPS6_PKS6_NS0_5tupleIJS9_S6_EEENSD_IJSA_SA_EEENS0_18inequality_wrapperIZN2at6native12_GLOBAL__N_124unique_dim_cuda_templateIaEESt5tupleIJNSH_6TensorESM_SM_EERKSM_lbbbEUlllE0_EEPmJS6_EEE10hipError_tPvRmT3_T4_T5_T6_T7_T9_mT8_P12ihipStream_tbDpT10_ENKUlT_T0_E_clISt17integral_constantIbLb0EES1B_IbLb1EEEEDaS17_S18_EUlS17_E_NS1_11comp_targetILNS1_3genE3ELNS1_11target_archE908ELNS1_3gpuE7ELNS1_3repE0EEENS1_30default_config_static_selectorELNS0_4arch9wavefront6targetE1EEEvT1_
    .private_segment_fixed_size: 0
    .sgpr_count:     4
    .sgpr_spill_count: 0
    .symbol:         _ZN7rocprim17ROCPRIM_400000_NS6detail17trampoline_kernelINS0_14default_configENS1_25partition_config_selectorILNS1_17partition_subalgoE8ElNS0_10empty_typeEbEEZZNS1_14partition_implILS5_8ELb0ES3_jPlPS6_PKS6_NS0_5tupleIJS9_S6_EEENSD_IJSA_SA_EEENS0_18inequality_wrapperIZN2at6native12_GLOBAL__N_124unique_dim_cuda_templateIaEESt5tupleIJNSH_6TensorESM_SM_EERKSM_lbbbEUlllE0_EEPmJS6_EEE10hipError_tPvRmT3_T4_T5_T6_T7_T9_mT8_P12ihipStream_tbDpT10_ENKUlT_T0_E_clISt17integral_constantIbLb0EES1B_IbLb1EEEEDaS17_S18_EUlS17_E_NS1_11comp_targetILNS1_3genE3ELNS1_11target_archE908ELNS1_3gpuE7ELNS1_3repE0EEENS1_30default_config_static_selectorELNS0_4arch9wavefront6targetE1EEEvT1_.kd
    .uniform_work_group_size: 1
    .uses_dynamic_stack: false
    .vgpr_count:     0
    .vgpr_spill_count: 0
    .wavefront_size: 64
  - .agpr_count:     0
    .args:
      - .offset:         0
        .size:           136
        .value_kind:     by_value
    .group_segment_fixed_size: 0
    .kernarg_segment_align: 8
    .kernarg_segment_size: 136
    .language:       OpenCL C
    .language_version:
      - 2
      - 0
    .max_flat_workgroup_size: 256
    .name:           _ZN7rocprim17ROCPRIM_400000_NS6detail17trampoline_kernelINS0_14default_configENS1_25partition_config_selectorILNS1_17partition_subalgoE8ElNS0_10empty_typeEbEEZZNS1_14partition_implILS5_8ELb0ES3_jPlPS6_PKS6_NS0_5tupleIJS9_S6_EEENSD_IJSA_SA_EEENS0_18inequality_wrapperIZN2at6native12_GLOBAL__N_124unique_dim_cuda_templateIaEESt5tupleIJNSH_6TensorESM_SM_EERKSM_lbbbEUlllE0_EEPmJS6_EEE10hipError_tPvRmT3_T4_T5_T6_T7_T9_mT8_P12ihipStream_tbDpT10_ENKUlT_T0_E_clISt17integral_constantIbLb0EES1B_IbLb1EEEEDaS17_S18_EUlS17_E_NS1_11comp_targetILNS1_3genE2ELNS1_11target_archE906ELNS1_3gpuE6ELNS1_3repE0EEENS1_30default_config_static_selectorELNS0_4arch9wavefront6targetE1EEEvT1_
    .private_segment_fixed_size: 0
    .sgpr_count:     4
    .sgpr_spill_count: 0
    .symbol:         _ZN7rocprim17ROCPRIM_400000_NS6detail17trampoline_kernelINS0_14default_configENS1_25partition_config_selectorILNS1_17partition_subalgoE8ElNS0_10empty_typeEbEEZZNS1_14partition_implILS5_8ELb0ES3_jPlPS6_PKS6_NS0_5tupleIJS9_S6_EEENSD_IJSA_SA_EEENS0_18inequality_wrapperIZN2at6native12_GLOBAL__N_124unique_dim_cuda_templateIaEESt5tupleIJNSH_6TensorESM_SM_EERKSM_lbbbEUlllE0_EEPmJS6_EEE10hipError_tPvRmT3_T4_T5_T6_T7_T9_mT8_P12ihipStream_tbDpT10_ENKUlT_T0_E_clISt17integral_constantIbLb0EES1B_IbLb1EEEEDaS17_S18_EUlS17_E_NS1_11comp_targetILNS1_3genE2ELNS1_11target_archE906ELNS1_3gpuE6ELNS1_3repE0EEENS1_30default_config_static_selectorELNS0_4arch9wavefront6targetE1EEEvT1_.kd
    .uniform_work_group_size: 1
    .uses_dynamic_stack: false
    .vgpr_count:     0
    .vgpr_spill_count: 0
    .wavefront_size: 64
  - .agpr_count:     0
    .args:
      - .offset:         0
        .size:           136
        .value_kind:     by_value
    .group_segment_fixed_size: 0
    .kernarg_segment_align: 8
    .kernarg_segment_size: 136
    .language:       OpenCL C
    .language_version:
      - 2
      - 0
    .max_flat_workgroup_size: 384
    .name:           _ZN7rocprim17ROCPRIM_400000_NS6detail17trampoline_kernelINS0_14default_configENS1_25partition_config_selectorILNS1_17partition_subalgoE8ElNS0_10empty_typeEbEEZZNS1_14partition_implILS5_8ELb0ES3_jPlPS6_PKS6_NS0_5tupleIJS9_S6_EEENSD_IJSA_SA_EEENS0_18inequality_wrapperIZN2at6native12_GLOBAL__N_124unique_dim_cuda_templateIaEESt5tupleIJNSH_6TensorESM_SM_EERKSM_lbbbEUlllE0_EEPmJS6_EEE10hipError_tPvRmT3_T4_T5_T6_T7_T9_mT8_P12ihipStream_tbDpT10_ENKUlT_T0_E_clISt17integral_constantIbLb0EES1B_IbLb1EEEEDaS17_S18_EUlS17_E_NS1_11comp_targetILNS1_3genE10ELNS1_11target_archE1200ELNS1_3gpuE4ELNS1_3repE0EEENS1_30default_config_static_selectorELNS0_4arch9wavefront6targetE1EEEvT1_
    .private_segment_fixed_size: 0
    .sgpr_count:     4
    .sgpr_spill_count: 0
    .symbol:         _ZN7rocprim17ROCPRIM_400000_NS6detail17trampoline_kernelINS0_14default_configENS1_25partition_config_selectorILNS1_17partition_subalgoE8ElNS0_10empty_typeEbEEZZNS1_14partition_implILS5_8ELb0ES3_jPlPS6_PKS6_NS0_5tupleIJS9_S6_EEENSD_IJSA_SA_EEENS0_18inequality_wrapperIZN2at6native12_GLOBAL__N_124unique_dim_cuda_templateIaEESt5tupleIJNSH_6TensorESM_SM_EERKSM_lbbbEUlllE0_EEPmJS6_EEE10hipError_tPvRmT3_T4_T5_T6_T7_T9_mT8_P12ihipStream_tbDpT10_ENKUlT_T0_E_clISt17integral_constantIbLb0EES1B_IbLb1EEEEDaS17_S18_EUlS17_E_NS1_11comp_targetILNS1_3genE10ELNS1_11target_archE1200ELNS1_3gpuE4ELNS1_3repE0EEENS1_30default_config_static_selectorELNS0_4arch9wavefront6targetE1EEEvT1_.kd
    .uniform_work_group_size: 1
    .uses_dynamic_stack: false
    .vgpr_count:     0
    .vgpr_spill_count: 0
    .wavefront_size: 64
  - .agpr_count:     0
    .args:
      - .offset:         0
        .size:           136
        .value_kind:     by_value
    .group_segment_fixed_size: 0
    .kernarg_segment_align: 8
    .kernarg_segment_size: 136
    .language:       OpenCL C
    .language_version:
      - 2
      - 0
    .max_flat_workgroup_size: 512
    .name:           _ZN7rocprim17ROCPRIM_400000_NS6detail17trampoline_kernelINS0_14default_configENS1_25partition_config_selectorILNS1_17partition_subalgoE8ElNS0_10empty_typeEbEEZZNS1_14partition_implILS5_8ELb0ES3_jPlPS6_PKS6_NS0_5tupleIJS9_S6_EEENSD_IJSA_SA_EEENS0_18inequality_wrapperIZN2at6native12_GLOBAL__N_124unique_dim_cuda_templateIaEESt5tupleIJNSH_6TensorESM_SM_EERKSM_lbbbEUlllE0_EEPmJS6_EEE10hipError_tPvRmT3_T4_T5_T6_T7_T9_mT8_P12ihipStream_tbDpT10_ENKUlT_T0_E_clISt17integral_constantIbLb0EES1B_IbLb1EEEEDaS17_S18_EUlS17_E_NS1_11comp_targetILNS1_3genE9ELNS1_11target_archE1100ELNS1_3gpuE3ELNS1_3repE0EEENS1_30default_config_static_selectorELNS0_4arch9wavefront6targetE1EEEvT1_
    .private_segment_fixed_size: 0
    .sgpr_count:     4
    .sgpr_spill_count: 0
    .symbol:         _ZN7rocprim17ROCPRIM_400000_NS6detail17trampoline_kernelINS0_14default_configENS1_25partition_config_selectorILNS1_17partition_subalgoE8ElNS0_10empty_typeEbEEZZNS1_14partition_implILS5_8ELb0ES3_jPlPS6_PKS6_NS0_5tupleIJS9_S6_EEENSD_IJSA_SA_EEENS0_18inequality_wrapperIZN2at6native12_GLOBAL__N_124unique_dim_cuda_templateIaEESt5tupleIJNSH_6TensorESM_SM_EERKSM_lbbbEUlllE0_EEPmJS6_EEE10hipError_tPvRmT3_T4_T5_T6_T7_T9_mT8_P12ihipStream_tbDpT10_ENKUlT_T0_E_clISt17integral_constantIbLb0EES1B_IbLb1EEEEDaS17_S18_EUlS17_E_NS1_11comp_targetILNS1_3genE9ELNS1_11target_archE1100ELNS1_3gpuE3ELNS1_3repE0EEENS1_30default_config_static_selectorELNS0_4arch9wavefront6targetE1EEEvT1_.kd
    .uniform_work_group_size: 1
    .uses_dynamic_stack: false
    .vgpr_count:     0
    .vgpr_spill_count: 0
    .wavefront_size: 64
  - .agpr_count:     0
    .args:
      - .offset:         0
        .size:           136
        .value_kind:     by_value
    .group_segment_fixed_size: 0
    .kernarg_segment_align: 8
    .kernarg_segment_size: 136
    .language:       OpenCL C
    .language_version:
      - 2
      - 0
    .max_flat_workgroup_size: 512
    .name:           _ZN7rocprim17ROCPRIM_400000_NS6detail17trampoline_kernelINS0_14default_configENS1_25partition_config_selectorILNS1_17partition_subalgoE8ElNS0_10empty_typeEbEEZZNS1_14partition_implILS5_8ELb0ES3_jPlPS6_PKS6_NS0_5tupleIJS9_S6_EEENSD_IJSA_SA_EEENS0_18inequality_wrapperIZN2at6native12_GLOBAL__N_124unique_dim_cuda_templateIaEESt5tupleIJNSH_6TensorESM_SM_EERKSM_lbbbEUlllE0_EEPmJS6_EEE10hipError_tPvRmT3_T4_T5_T6_T7_T9_mT8_P12ihipStream_tbDpT10_ENKUlT_T0_E_clISt17integral_constantIbLb0EES1B_IbLb1EEEEDaS17_S18_EUlS17_E_NS1_11comp_targetILNS1_3genE8ELNS1_11target_archE1030ELNS1_3gpuE2ELNS1_3repE0EEENS1_30default_config_static_selectorELNS0_4arch9wavefront6targetE1EEEvT1_
    .private_segment_fixed_size: 0
    .sgpr_count:     4
    .sgpr_spill_count: 0
    .symbol:         _ZN7rocprim17ROCPRIM_400000_NS6detail17trampoline_kernelINS0_14default_configENS1_25partition_config_selectorILNS1_17partition_subalgoE8ElNS0_10empty_typeEbEEZZNS1_14partition_implILS5_8ELb0ES3_jPlPS6_PKS6_NS0_5tupleIJS9_S6_EEENSD_IJSA_SA_EEENS0_18inequality_wrapperIZN2at6native12_GLOBAL__N_124unique_dim_cuda_templateIaEESt5tupleIJNSH_6TensorESM_SM_EERKSM_lbbbEUlllE0_EEPmJS6_EEE10hipError_tPvRmT3_T4_T5_T6_T7_T9_mT8_P12ihipStream_tbDpT10_ENKUlT_T0_E_clISt17integral_constantIbLb0EES1B_IbLb1EEEEDaS17_S18_EUlS17_E_NS1_11comp_targetILNS1_3genE8ELNS1_11target_archE1030ELNS1_3gpuE2ELNS1_3repE0EEENS1_30default_config_static_selectorELNS0_4arch9wavefront6targetE1EEEvT1_.kd
    .uniform_work_group_size: 1
    .uses_dynamic_stack: false
    .vgpr_count:     0
    .vgpr_spill_count: 0
    .wavefront_size: 64
  - .agpr_count:     0
    .args:
      - .offset:         0
        .size:           120
        .value_kind:     by_value
    .group_segment_fixed_size: 0
    .kernarg_segment_align: 8
    .kernarg_segment_size: 120
    .language:       OpenCL C
    .language_version:
      - 2
      - 0
    .max_flat_workgroup_size: 128
    .name:           _ZN7rocprim17ROCPRIM_400000_NS6detail17trampoline_kernelINS0_14default_configENS1_25partition_config_selectorILNS1_17partition_subalgoE9EllbEEZZNS1_14partition_implILS5_9ELb0ES3_jPlS8_PNS0_10empty_typeENS0_5tupleIJS8_S9_EEENSB_IJS8_SA_EEENS0_18inequality_wrapperIZN2at6native12_GLOBAL__N_124unique_dim_cuda_templateIaEESt5tupleIJNSF_6TensorESK_SK_EERKSK_lbbbEUlllE0_EEPmJS9_EEE10hipError_tPvRmT3_T4_T5_T6_T7_T9_mT8_P12ihipStream_tbDpT10_ENKUlT_T0_E_clISt17integral_constantIbLb0EES1A_EEDaS15_S16_EUlS15_E_NS1_11comp_targetILNS1_3genE0ELNS1_11target_archE4294967295ELNS1_3gpuE0ELNS1_3repE0EEENS1_30default_config_static_selectorELNS0_4arch9wavefront6targetE1EEEvT1_
    .private_segment_fixed_size: 0
    .sgpr_count:     4
    .sgpr_spill_count: 0
    .symbol:         _ZN7rocprim17ROCPRIM_400000_NS6detail17trampoline_kernelINS0_14default_configENS1_25partition_config_selectorILNS1_17partition_subalgoE9EllbEEZZNS1_14partition_implILS5_9ELb0ES3_jPlS8_PNS0_10empty_typeENS0_5tupleIJS8_S9_EEENSB_IJS8_SA_EEENS0_18inequality_wrapperIZN2at6native12_GLOBAL__N_124unique_dim_cuda_templateIaEESt5tupleIJNSF_6TensorESK_SK_EERKSK_lbbbEUlllE0_EEPmJS9_EEE10hipError_tPvRmT3_T4_T5_T6_T7_T9_mT8_P12ihipStream_tbDpT10_ENKUlT_T0_E_clISt17integral_constantIbLb0EES1A_EEDaS15_S16_EUlS15_E_NS1_11comp_targetILNS1_3genE0ELNS1_11target_archE4294967295ELNS1_3gpuE0ELNS1_3repE0EEENS1_30default_config_static_selectorELNS0_4arch9wavefront6targetE1EEEvT1_.kd
    .uniform_work_group_size: 1
    .uses_dynamic_stack: false
    .vgpr_count:     0
    .vgpr_spill_count: 0
    .wavefront_size: 64
  - .agpr_count:     0
    .args:
      - .offset:         0
        .size:           120
        .value_kind:     by_value
    .group_segment_fixed_size: 0
    .kernarg_segment_align: 8
    .kernarg_segment_size: 120
    .language:       OpenCL C
    .language_version:
      - 2
      - 0
    .max_flat_workgroup_size: 512
    .name:           _ZN7rocprim17ROCPRIM_400000_NS6detail17trampoline_kernelINS0_14default_configENS1_25partition_config_selectorILNS1_17partition_subalgoE9EllbEEZZNS1_14partition_implILS5_9ELb0ES3_jPlS8_PNS0_10empty_typeENS0_5tupleIJS8_S9_EEENSB_IJS8_SA_EEENS0_18inequality_wrapperIZN2at6native12_GLOBAL__N_124unique_dim_cuda_templateIaEESt5tupleIJNSF_6TensorESK_SK_EERKSK_lbbbEUlllE0_EEPmJS9_EEE10hipError_tPvRmT3_T4_T5_T6_T7_T9_mT8_P12ihipStream_tbDpT10_ENKUlT_T0_E_clISt17integral_constantIbLb0EES1A_EEDaS15_S16_EUlS15_E_NS1_11comp_targetILNS1_3genE5ELNS1_11target_archE942ELNS1_3gpuE9ELNS1_3repE0EEENS1_30default_config_static_selectorELNS0_4arch9wavefront6targetE1EEEvT1_
    .private_segment_fixed_size: 0
    .sgpr_count:     4
    .sgpr_spill_count: 0
    .symbol:         _ZN7rocprim17ROCPRIM_400000_NS6detail17trampoline_kernelINS0_14default_configENS1_25partition_config_selectorILNS1_17partition_subalgoE9EllbEEZZNS1_14partition_implILS5_9ELb0ES3_jPlS8_PNS0_10empty_typeENS0_5tupleIJS8_S9_EEENSB_IJS8_SA_EEENS0_18inequality_wrapperIZN2at6native12_GLOBAL__N_124unique_dim_cuda_templateIaEESt5tupleIJNSF_6TensorESK_SK_EERKSK_lbbbEUlllE0_EEPmJS9_EEE10hipError_tPvRmT3_T4_T5_T6_T7_T9_mT8_P12ihipStream_tbDpT10_ENKUlT_T0_E_clISt17integral_constantIbLb0EES1A_EEDaS15_S16_EUlS15_E_NS1_11comp_targetILNS1_3genE5ELNS1_11target_archE942ELNS1_3gpuE9ELNS1_3repE0EEENS1_30default_config_static_selectorELNS0_4arch9wavefront6targetE1EEEvT1_.kd
    .uniform_work_group_size: 1
    .uses_dynamic_stack: false
    .vgpr_count:     0
    .vgpr_spill_count: 0
    .wavefront_size: 64
  - .agpr_count:     0
    .args:
      - .offset:         0
        .size:           120
        .value_kind:     by_value
    .group_segment_fixed_size: 4236
    .kernarg_segment_align: 8
    .kernarg_segment_size: 120
    .language:       OpenCL C
    .language_version:
      - 2
      - 0
    .max_flat_workgroup_size: 128
    .name:           _ZN7rocprim17ROCPRIM_400000_NS6detail17trampoline_kernelINS0_14default_configENS1_25partition_config_selectorILNS1_17partition_subalgoE9EllbEEZZNS1_14partition_implILS5_9ELb0ES3_jPlS8_PNS0_10empty_typeENS0_5tupleIJS8_S9_EEENSB_IJS8_SA_EEENS0_18inequality_wrapperIZN2at6native12_GLOBAL__N_124unique_dim_cuda_templateIaEESt5tupleIJNSF_6TensorESK_SK_EERKSK_lbbbEUlllE0_EEPmJS9_EEE10hipError_tPvRmT3_T4_T5_T6_T7_T9_mT8_P12ihipStream_tbDpT10_ENKUlT_T0_E_clISt17integral_constantIbLb0EES1A_EEDaS15_S16_EUlS15_E_NS1_11comp_targetILNS1_3genE4ELNS1_11target_archE910ELNS1_3gpuE8ELNS1_3repE0EEENS1_30default_config_static_selectorELNS0_4arch9wavefront6targetE1EEEvT1_
    .private_segment_fixed_size: 0
    .sgpr_count:     50
    .sgpr_spill_count: 0
    .symbol:         _ZN7rocprim17ROCPRIM_400000_NS6detail17trampoline_kernelINS0_14default_configENS1_25partition_config_selectorILNS1_17partition_subalgoE9EllbEEZZNS1_14partition_implILS5_9ELb0ES3_jPlS8_PNS0_10empty_typeENS0_5tupleIJS8_S9_EEENSB_IJS8_SA_EEENS0_18inequality_wrapperIZN2at6native12_GLOBAL__N_124unique_dim_cuda_templateIaEESt5tupleIJNSF_6TensorESK_SK_EERKSK_lbbbEUlllE0_EEPmJS9_EEE10hipError_tPvRmT3_T4_T5_T6_T7_T9_mT8_P12ihipStream_tbDpT10_ENKUlT_T0_E_clISt17integral_constantIbLb0EES1A_EEDaS15_S16_EUlS15_E_NS1_11comp_targetILNS1_3genE4ELNS1_11target_archE910ELNS1_3gpuE8ELNS1_3repE0EEENS1_30default_config_static_selectorELNS0_4arch9wavefront6targetE1EEEvT1_.kd
    .uniform_work_group_size: 1
    .uses_dynamic_stack: false
    .vgpr_count:     50
    .vgpr_spill_count: 0
    .wavefront_size: 64
  - .agpr_count:     0
    .args:
      - .offset:         0
        .size:           120
        .value_kind:     by_value
    .group_segment_fixed_size: 0
    .kernarg_segment_align: 8
    .kernarg_segment_size: 120
    .language:       OpenCL C
    .language_version:
      - 2
      - 0
    .max_flat_workgroup_size: 128
    .name:           _ZN7rocprim17ROCPRIM_400000_NS6detail17trampoline_kernelINS0_14default_configENS1_25partition_config_selectorILNS1_17partition_subalgoE9EllbEEZZNS1_14partition_implILS5_9ELb0ES3_jPlS8_PNS0_10empty_typeENS0_5tupleIJS8_S9_EEENSB_IJS8_SA_EEENS0_18inequality_wrapperIZN2at6native12_GLOBAL__N_124unique_dim_cuda_templateIaEESt5tupleIJNSF_6TensorESK_SK_EERKSK_lbbbEUlllE0_EEPmJS9_EEE10hipError_tPvRmT3_T4_T5_T6_T7_T9_mT8_P12ihipStream_tbDpT10_ENKUlT_T0_E_clISt17integral_constantIbLb0EES1A_EEDaS15_S16_EUlS15_E_NS1_11comp_targetILNS1_3genE3ELNS1_11target_archE908ELNS1_3gpuE7ELNS1_3repE0EEENS1_30default_config_static_selectorELNS0_4arch9wavefront6targetE1EEEvT1_
    .private_segment_fixed_size: 0
    .sgpr_count:     4
    .sgpr_spill_count: 0
    .symbol:         _ZN7rocprim17ROCPRIM_400000_NS6detail17trampoline_kernelINS0_14default_configENS1_25partition_config_selectorILNS1_17partition_subalgoE9EllbEEZZNS1_14partition_implILS5_9ELb0ES3_jPlS8_PNS0_10empty_typeENS0_5tupleIJS8_S9_EEENSB_IJS8_SA_EEENS0_18inequality_wrapperIZN2at6native12_GLOBAL__N_124unique_dim_cuda_templateIaEESt5tupleIJNSF_6TensorESK_SK_EERKSK_lbbbEUlllE0_EEPmJS9_EEE10hipError_tPvRmT3_T4_T5_T6_T7_T9_mT8_P12ihipStream_tbDpT10_ENKUlT_T0_E_clISt17integral_constantIbLb0EES1A_EEDaS15_S16_EUlS15_E_NS1_11comp_targetILNS1_3genE3ELNS1_11target_archE908ELNS1_3gpuE7ELNS1_3repE0EEENS1_30default_config_static_selectorELNS0_4arch9wavefront6targetE1EEEvT1_.kd
    .uniform_work_group_size: 1
    .uses_dynamic_stack: false
    .vgpr_count:     0
    .vgpr_spill_count: 0
    .wavefront_size: 64
  - .agpr_count:     0
    .args:
      - .offset:         0
        .size:           120
        .value_kind:     by_value
    .group_segment_fixed_size: 0
    .kernarg_segment_align: 8
    .kernarg_segment_size: 120
    .language:       OpenCL C
    .language_version:
      - 2
      - 0
    .max_flat_workgroup_size: 192
    .name:           _ZN7rocprim17ROCPRIM_400000_NS6detail17trampoline_kernelINS0_14default_configENS1_25partition_config_selectorILNS1_17partition_subalgoE9EllbEEZZNS1_14partition_implILS5_9ELb0ES3_jPlS8_PNS0_10empty_typeENS0_5tupleIJS8_S9_EEENSB_IJS8_SA_EEENS0_18inequality_wrapperIZN2at6native12_GLOBAL__N_124unique_dim_cuda_templateIaEESt5tupleIJNSF_6TensorESK_SK_EERKSK_lbbbEUlllE0_EEPmJS9_EEE10hipError_tPvRmT3_T4_T5_T6_T7_T9_mT8_P12ihipStream_tbDpT10_ENKUlT_T0_E_clISt17integral_constantIbLb0EES1A_EEDaS15_S16_EUlS15_E_NS1_11comp_targetILNS1_3genE2ELNS1_11target_archE906ELNS1_3gpuE6ELNS1_3repE0EEENS1_30default_config_static_selectorELNS0_4arch9wavefront6targetE1EEEvT1_
    .private_segment_fixed_size: 0
    .sgpr_count:     4
    .sgpr_spill_count: 0
    .symbol:         _ZN7rocprim17ROCPRIM_400000_NS6detail17trampoline_kernelINS0_14default_configENS1_25partition_config_selectorILNS1_17partition_subalgoE9EllbEEZZNS1_14partition_implILS5_9ELb0ES3_jPlS8_PNS0_10empty_typeENS0_5tupleIJS8_S9_EEENSB_IJS8_SA_EEENS0_18inequality_wrapperIZN2at6native12_GLOBAL__N_124unique_dim_cuda_templateIaEESt5tupleIJNSF_6TensorESK_SK_EERKSK_lbbbEUlllE0_EEPmJS9_EEE10hipError_tPvRmT3_T4_T5_T6_T7_T9_mT8_P12ihipStream_tbDpT10_ENKUlT_T0_E_clISt17integral_constantIbLb0EES1A_EEDaS15_S16_EUlS15_E_NS1_11comp_targetILNS1_3genE2ELNS1_11target_archE906ELNS1_3gpuE6ELNS1_3repE0EEENS1_30default_config_static_selectorELNS0_4arch9wavefront6targetE1EEEvT1_.kd
    .uniform_work_group_size: 1
    .uses_dynamic_stack: false
    .vgpr_count:     0
    .vgpr_spill_count: 0
    .wavefront_size: 64
  - .agpr_count:     0
    .args:
      - .offset:         0
        .size:           120
        .value_kind:     by_value
    .group_segment_fixed_size: 0
    .kernarg_segment_align: 8
    .kernarg_segment_size: 120
    .language:       OpenCL C
    .language_version:
      - 2
      - 0
    .max_flat_workgroup_size: 384
    .name:           _ZN7rocprim17ROCPRIM_400000_NS6detail17trampoline_kernelINS0_14default_configENS1_25partition_config_selectorILNS1_17partition_subalgoE9EllbEEZZNS1_14partition_implILS5_9ELb0ES3_jPlS8_PNS0_10empty_typeENS0_5tupleIJS8_S9_EEENSB_IJS8_SA_EEENS0_18inequality_wrapperIZN2at6native12_GLOBAL__N_124unique_dim_cuda_templateIaEESt5tupleIJNSF_6TensorESK_SK_EERKSK_lbbbEUlllE0_EEPmJS9_EEE10hipError_tPvRmT3_T4_T5_T6_T7_T9_mT8_P12ihipStream_tbDpT10_ENKUlT_T0_E_clISt17integral_constantIbLb0EES1A_EEDaS15_S16_EUlS15_E_NS1_11comp_targetILNS1_3genE10ELNS1_11target_archE1200ELNS1_3gpuE4ELNS1_3repE0EEENS1_30default_config_static_selectorELNS0_4arch9wavefront6targetE1EEEvT1_
    .private_segment_fixed_size: 0
    .sgpr_count:     4
    .sgpr_spill_count: 0
    .symbol:         _ZN7rocprim17ROCPRIM_400000_NS6detail17trampoline_kernelINS0_14default_configENS1_25partition_config_selectorILNS1_17partition_subalgoE9EllbEEZZNS1_14partition_implILS5_9ELb0ES3_jPlS8_PNS0_10empty_typeENS0_5tupleIJS8_S9_EEENSB_IJS8_SA_EEENS0_18inequality_wrapperIZN2at6native12_GLOBAL__N_124unique_dim_cuda_templateIaEESt5tupleIJNSF_6TensorESK_SK_EERKSK_lbbbEUlllE0_EEPmJS9_EEE10hipError_tPvRmT3_T4_T5_T6_T7_T9_mT8_P12ihipStream_tbDpT10_ENKUlT_T0_E_clISt17integral_constantIbLb0EES1A_EEDaS15_S16_EUlS15_E_NS1_11comp_targetILNS1_3genE10ELNS1_11target_archE1200ELNS1_3gpuE4ELNS1_3repE0EEENS1_30default_config_static_selectorELNS0_4arch9wavefront6targetE1EEEvT1_.kd
    .uniform_work_group_size: 1
    .uses_dynamic_stack: false
    .vgpr_count:     0
    .vgpr_spill_count: 0
    .wavefront_size: 64
  - .agpr_count:     0
    .args:
      - .offset:         0
        .size:           120
        .value_kind:     by_value
    .group_segment_fixed_size: 0
    .kernarg_segment_align: 8
    .kernarg_segment_size: 120
    .language:       OpenCL C
    .language_version:
      - 2
      - 0
    .max_flat_workgroup_size: 512
    .name:           _ZN7rocprim17ROCPRIM_400000_NS6detail17trampoline_kernelINS0_14default_configENS1_25partition_config_selectorILNS1_17partition_subalgoE9EllbEEZZNS1_14partition_implILS5_9ELb0ES3_jPlS8_PNS0_10empty_typeENS0_5tupleIJS8_S9_EEENSB_IJS8_SA_EEENS0_18inequality_wrapperIZN2at6native12_GLOBAL__N_124unique_dim_cuda_templateIaEESt5tupleIJNSF_6TensorESK_SK_EERKSK_lbbbEUlllE0_EEPmJS9_EEE10hipError_tPvRmT3_T4_T5_T6_T7_T9_mT8_P12ihipStream_tbDpT10_ENKUlT_T0_E_clISt17integral_constantIbLb0EES1A_EEDaS15_S16_EUlS15_E_NS1_11comp_targetILNS1_3genE9ELNS1_11target_archE1100ELNS1_3gpuE3ELNS1_3repE0EEENS1_30default_config_static_selectorELNS0_4arch9wavefront6targetE1EEEvT1_
    .private_segment_fixed_size: 0
    .sgpr_count:     4
    .sgpr_spill_count: 0
    .symbol:         _ZN7rocprim17ROCPRIM_400000_NS6detail17trampoline_kernelINS0_14default_configENS1_25partition_config_selectorILNS1_17partition_subalgoE9EllbEEZZNS1_14partition_implILS5_9ELb0ES3_jPlS8_PNS0_10empty_typeENS0_5tupleIJS8_S9_EEENSB_IJS8_SA_EEENS0_18inequality_wrapperIZN2at6native12_GLOBAL__N_124unique_dim_cuda_templateIaEESt5tupleIJNSF_6TensorESK_SK_EERKSK_lbbbEUlllE0_EEPmJS9_EEE10hipError_tPvRmT3_T4_T5_T6_T7_T9_mT8_P12ihipStream_tbDpT10_ENKUlT_T0_E_clISt17integral_constantIbLb0EES1A_EEDaS15_S16_EUlS15_E_NS1_11comp_targetILNS1_3genE9ELNS1_11target_archE1100ELNS1_3gpuE3ELNS1_3repE0EEENS1_30default_config_static_selectorELNS0_4arch9wavefront6targetE1EEEvT1_.kd
    .uniform_work_group_size: 1
    .uses_dynamic_stack: false
    .vgpr_count:     0
    .vgpr_spill_count: 0
    .wavefront_size: 64
  - .agpr_count:     0
    .args:
      - .offset:         0
        .size:           120
        .value_kind:     by_value
    .group_segment_fixed_size: 0
    .kernarg_segment_align: 8
    .kernarg_segment_size: 120
    .language:       OpenCL C
    .language_version:
      - 2
      - 0
    .max_flat_workgroup_size: 512
    .name:           _ZN7rocprim17ROCPRIM_400000_NS6detail17trampoline_kernelINS0_14default_configENS1_25partition_config_selectorILNS1_17partition_subalgoE9EllbEEZZNS1_14partition_implILS5_9ELb0ES3_jPlS8_PNS0_10empty_typeENS0_5tupleIJS8_S9_EEENSB_IJS8_SA_EEENS0_18inequality_wrapperIZN2at6native12_GLOBAL__N_124unique_dim_cuda_templateIaEESt5tupleIJNSF_6TensorESK_SK_EERKSK_lbbbEUlllE0_EEPmJS9_EEE10hipError_tPvRmT3_T4_T5_T6_T7_T9_mT8_P12ihipStream_tbDpT10_ENKUlT_T0_E_clISt17integral_constantIbLb0EES1A_EEDaS15_S16_EUlS15_E_NS1_11comp_targetILNS1_3genE8ELNS1_11target_archE1030ELNS1_3gpuE2ELNS1_3repE0EEENS1_30default_config_static_selectorELNS0_4arch9wavefront6targetE1EEEvT1_
    .private_segment_fixed_size: 0
    .sgpr_count:     4
    .sgpr_spill_count: 0
    .symbol:         _ZN7rocprim17ROCPRIM_400000_NS6detail17trampoline_kernelINS0_14default_configENS1_25partition_config_selectorILNS1_17partition_subalgoE9EllbEEZZNS1_14partition_implILS5_9ELb0ES3_jPlS8_PNS0_10empty_typeENS0_5tupleIJS8_S9_EEENSB_IJS8_SA_EEENS0_18inequality_wrapperIZN2at6native12_GLOBAL__N_124unique_dim_cuda_templateIaEESt5tupleIJNSF_6TensorESK_SK_EERKSK_lbbbEUlllE0_EEPmJS9_EEE10hipError_tPvRmT3_T4_T5_T6_T7_T9_mT8_P12ihipStream_tbDpT10_ENKUlT_T0_E_clISt17integral_constantIbLb0EES1A_EEDaS15_S16_EUlS15_E_NS1_11comp_targetILNS1_3genE8ELNS1_11target_archE1030ELNS1_3gpuE2ELNS1_3repE0EEENS1_30default_config_static_selectorELNS0_4arch9wavefront6targetE1EEEvT1_.kd
    .uniform_work_group_size: 1
    .uses_dynamic_stack: false
    .vgpr_count:     0
    .vgpr_spill_count: 0
    .wavefront_size: 64
  - .agpr_count:     0
    .args:
      - .offset:         0
        .size:           136
        .value_kind:     by_value
    .group_segment_fixed_size: 0
    .kernarg_segment_align: 8
    .kernarg_segment_size: 136
    .language:       OpenCL C
    .language_version:
      - 2
      - 0
    .max_flat_workgroup_size: 128
    .name:           _ZN7rocprim17ROCPRIM_400000_NS6detail17trampoline_kernelINS0_14default_configENS1_25partition_config_selectorILNS1_17partition_subalgoE9EllbEEZZNS1_14partition_implILS5_9ELb0ES3_jPlS8_PNS0_10empty_typeENS0_5tupleIJS8_S9_EEENSB_IJS8_SA_EEENS0_18inequality_wrapperIZN2at6native12_GLOBAL__N_124unique_dim_cuda_templateIaEESt5tupleIJNSF_6TensorESK_SK_EERKSK_lbbbEUlllE0_EEPmJS9_EEE10hipError_tPvRmT3_T4_T5_T6_T7_T9_mT8_P12ihipStream_tbDpT10_ENKUlT_T0_E_clISt17integral_constantIbLb1EES1A_EEDaS15_S16_EUlS15_E_NS1_11comp_targetILNS1_3genE0ELNS1_11target_archE4294967295ELNS1_3gpuE0ELNS1_3repE0EEENS1_30default_config_static_selectorELNS0_4arch9wavefront6targetE1EEEvT1_
    .private_segment_fixed_size: 0
    .sgpr_count:     4
    .sgpr_spill_count: 0
    .symbol:         _ZN7rocprim17ROCPRIM_400000_NS6detail17trampoline_kernelINS0_14default_configENS1_25partition_config_selectorILNS1_17partition_subalgoE9EllbEEZZNS1_14partition_implILS5_9ELb0ES3_jPlS8_PNS0_10empty_typeENS0_5tupleIJS8_S9_EEENSB_IJS8_SA_EEENS0_18inequality_wrapperIZN2at6native12_GLOBAL__N_124unique_dim_cuda_templateIaEESt5tupleIJNSF_6TensorESK_SK_EERKSK_lbbbEUlllE0_EEPmJS9_EEE10hipError_tPvRmT3_T4_T5_T6_T7_T9_mT8_P12ihipStream_tbDpT10_ENKUlT_T0_E_clISt17integral_constantIbLb1EES1A_EEDaS15_S16_EUlS15_E_NS1_11comp_targetILNS1_3genE0ELNS1_11target_archE4294967295ELNS1_3gpuE0ELNS1_3repE0EEENS1_30default_config_static_selectorELNS0_4arch9wavefront6targetE1EEEvT1_.kd
    .uniform_work_group_size: 1
    .uses_dynamic_stack: false
    .vgpr_count:     0
    .vgpr_spill_count: 0
    .wavefront_size: 64
  - .agpr_count:     0
    .args:
      - .offset:         0
        .size:           136
        .value_kind:     by_value
    .group_segment_fixed_size: 0
    .kernarg_segment_align: 8
    .kernarg_segment_size: 136
    .language:       OpenCL C
    .language_version:
      - 2
      - 0
    .max_flat_workgroup_size: 512
    .name:           _ZN7rocprim17ROCPRIM_400000_NS6detail17trampoline_kernelINS0_14default_configENS1_25partition_config_selectorILNS1_17partition_subalgoE9EllbEEZZNS1_14partition_implILS5_9ELb0ES3_jPlS8_PNS0_10empty_typeENS0_5tupleIJS8_S9_EEENSB_IJS8_SA_EEENS0_18inequality_wrapperIZN2at6native12_GLOBAL__N_124unique_dim_cuda_templateIaEESt5tupleIJNSF_6TensorESK_SK_EERKSK_lbbbEUlllE0_EEPmJS9_EEE10hipError_tPvRmT3_T4_T5_T6_T7_T9_mT8_P12ihipStream_tbDpT10_ENKUlT_T0_E_clISt17integral_constantIbLb1EES1A_EEDaS15_S16_EUlS15_E_NS1_11comp_targetILNS1_3genE5ELNS1_11target_archE942ELNS1_3gpuE9ELNS1_3repE0EEENS1_30default_config_static_selectorELNS0_4arch9wavefront6targetE1EEEvT1_
    .private_segment_fixed_size: 0
    .sgpr_count:     4
    .sgpr_spill_count: 0
    .symbol:         _ZN7rocprim17ROCPRIM_400000_NS6detail17trampoline_kernelINS0_14default_configENS1_25partition_config_selectorILNS1_17partition_subalgoE9EllbEEZZNS1_14partition_implILS5_9ELb0ES3_jPlS8_PNS0_10empty_typeENS0_5tupleIJS8_S9_EEENSB_IJS8_SA_EEENS0_18inequality_wrapperIZN2at6native12_GLOBAL__N_124unique_dim_cuda_templateIaEESt5tupleIJNSF_6TensorESK_SK_EERKSK_lbbbEUlllE0_EEPmJS9_EEE10hipError_tPvRmT3_T4_T5_T6_T7_T9_mT8_P12ihipStream_tbDpT10_ENKUlT_T0_E_clISt17integral_constantIbLb1EES1A_EEDaS15_S16_EUlS15_E_NS1_11comp_targetILNS1_3genE5ELNS1_11target_archE942ELNS1_3gpuE9ELNS1_3repE0EEENS1_30default_config_static_selectorELNS0_4arch9wavefront6targetE1EEEvT1_.kd
    .uniform_work_group_size: 1
    .uses_dynamic_stack: false
    .vgpr_count:     0
    .vgpr_spill_count: 0
    .wavefront_size: 64
  - .agpr_count:     0
    .args:
      - .offset:         0
        .size:           136
        .value_kind:     by_value
    .group_segment_fixed_size: 4236
    .kernarg_segment_align: 8
    .kernarg_segment_size: 136
    .language:       OpenCL C
    .language_version:
      - 2
      - 0
    .max_flat_workgroup_size: 128
    .name:           _ZN7rocprim17ROCPRIM_400000_NS6detail17trampoline_kernelINS0_14default_configENS1_25partition_config_selectorILNS1_17partition_subalgoE9EllbEEZZNS1_14partition_implILS5_9ELb0ES3_jPlS8_PNS0_10empty_typeENS0_5tupleIJS8_S9_EEENSB_IJS8_SA_EEENS0_18inequality_wrapperIZN2at6native12_GLOBAL__N_124unique_dim_cuda_templateIaEESt5tupleIJNSF_6TensorESK_SK_EERKSK_lbbbEUlllE0_EEPmJS9_EEE10hipError_tPvRmT3_T4_T5_T6_T7_T9_mT8_P12ihipStream_tbDpT10_ENKUlT_T0_E_clISt17integral_constantIbLb1EES1A_EEDaS15_S16_EUlS15_E_NS1_11comp_targetILNS1_3genE4ELNS1_11target_archE910ELNS1_3gpuE8ELNS1_3repE0EEENS1_30default_config_static_selectorELNS0_4arch9wavefront6targetE1EEEvT1_
    .private_segment_fixed_size: 0
    .sgpr_count:     56
    .sgpr_spill_count: 0
    .symbol:         _ZN7rocprim17ROCPRIM_400000_NS6detail17trampoline_kernelINS0_14default_configENS1_25partition_config_selectorILNS1_17partition_subalgoE9EllbEEZZNS1_14partition_implILS5_9ELb0ES3_jPlS8_PNS0_10empty_typeENS0_5tupleIJS8_S9_EEENSB_IJS8_SA_EEENS0_18inequality_wrapperIZN2at6native12_GLOBAL__N_124unique_dim_cuda_templateIaEESt5tupleIJNSF_6TensorESK_SK_EERKSK_lbbbEUlllE0_EEPmJS9_EEE10hipError_tPvRmT3_T4_T5_T6_T7_T9_mT8_P12ihipStream_tbDpT10_ENKUlT_T0_E_clISt17integral_constantIbLb1EES1A_EEDaS15_S16_EUlS15_E_NS1_11comp_targetILNS1_3genE4ELNS1_11target_archE910ELNS1_3gpuE8ELNS1_3repE0EEENS1_30default_config_static_selectorELNS0_4arch9wavefront6targetE1EEEvT1_.kd
    .uniform_work_group_size: 1
    .uses_dynamic_stack: false
    .vgpr_count:     50
    .vgpr_spill_count: 0
    .wavefront_size: 64
  - .agpr_count:     0
    .args:
      - .offset:         0
        .size:           136
        .value_kind:     by_value
    .group_segment_fixed_size: 0
    .kernarg_segment_align: 8
    .kernarg_segment_size: 136
    .language:       OpenCL C
    .language_version:
      - 2
      - 0
    .max_flat_workgroup_size: 128
    .name:           _ZN7rocprim17ROCPRIM_400000_NS6detail17trampoline_kernelINS0_14default_configENS1_25partition_config_selectorILNS1_17partition_subalgoE9EllbEEZZNS1_14partition_implILS5_9ELb0ES3_jPlS8_PNS0_10empty_typeENS0_5tupleIJS8_S9_EEENSB_IJS8_SA_EEENS0_18inequality_wrapperIZN2at6native12_GLOBAL__N_124unique_dim_cuda_templateIaEESt5tupleIJNSF_6TensorESK_SK_EERKSK_lbbbEUlllE0_EEPmJS9_EEE10hipError_tPvRmT3_T4_T5_T6_T7_T9_mT8_P12ihipStream_tbDpT10_ENKUlT_T0_E_clISt17integral_constantIbLb1EES1A_EEDaS15_S16_EUlS15_E_NS1_11comp_targetILNS1_3genE3ELNS1_11target_archE908ELNS1_3gpuE7ELNS1_3repE0EEENS1_30default_config_static_selectorELNS0_4arch9wavefront6targetE1EEEvT1_
    .private_segment_fixed_size: 0
    .sgpr_count:     4
    .sgpr_spill_count: 0
    .symbol:         _ZN7rocprim17ROCPRIM_400000_NS6detail17trampoline_kernelINS0_14default_configENS1_25partition_config_selectorILNS1_17partition_subalgoE9EllbEEZZNS1_14partition_implILS5_9ELb0ES3_jPlS8_PNS0_10empty_typeENS0_5tupleIJS8_S9_EEENSB_IJS8_SA_EEENS0_18inequality_wrapperIZN2at6native12_GLOBAL__N_124unique_dim_cuda_templateIaEESt5tupleIJNSF_6TensorESK_SK_EERKSK_lbbbEUlllE0_EEPmJS9_EEE10hipError_tPvRmT3_T4_T5_T6_T7_T9_mT8_P12ihipStream_tbDpT10_ENKUlT_T0_E_clISt17integral_constantIbLb1EES1A_EEDaS15_S16_EUlS15_E_NS1_11comp_targetILNS1_3genE3ELNS1_11target_archE908ELNS1_3gpuE7ELNS1_3repE0EEENS1_30default_config_static_selectorELNS0_4arch9wavefront6targetE1EEEvT1_.kd
    .uniform_work_group_size: 1
    .uses_dynamic_stack: false
    .vgpr_count:     0
    .vgpr_spill_count: 0
    .wavefront_size: 64
  - .agpr_count:     0
    .args:
      - .offset:         0
        .size:           136
        .value_kind:     by_value
    .group_segment_fixed_size: 0
    .kernarg_segment_align: 8
    .kernarg_segment_size: 136
    .language:       OpenCL C
    .language_version:
      - 2
      - 0
    .max_flat_workgroup_size: 192
    .name:           _ZN7rocprim17ROCPRIM_400000_NS6detail17trampoline_kernelINS0_14default_configENS1_25partition_config_selectorILNS1_17partition_subalgoE9EllbEEZZNS1_14partition_implILS5_9ELb0ES3_jPlS8_PNS0_10empty_typeENS0_5tupleIJS8_S9_EEENSB_IJS8_SA_EEENS0_18inequality_wrapperIZN2at6native12_GLOBAL__N_124unique_dim_cuda_templateIaEESt5tupleIJNSF_6TensorESK_SK_EERKSK_lbbbEUlllE0_EEPmJS9_EEE10hipError_tPvRmT3_T4_T5_T6_T7_T9_mT8_P12ihipStream_tbDpT10_ENKUlT_T0_E_clISt17integral_constantIbLb1EES1A_EEDaS15_S16_EUlS15_E_NS1_11comp_targetILNS1_3genE2ELNS1_11target_archE906ELNS1_3gpuE6ELNS1_3repE0EEENS1_30default_config_static_selectorELNS0_4arch9wavefront6targetE1EEEvT1_
    .private_segment_fixed_size: 0
    .sgpr_count:     4
    .sgpr_spill_count: 0
    .symbol:         _ZN7rocprim17ROCPRIM_400000_NS6detail17trampoline_kernelINS0_14default_configENS1_25partition_config_selectorILNS1_17partition_subalgoE9EllbEEZZNS1_14partition_implILS5_9ELb0ES3_jPlS8_PNS0_10empty_typeENS0_5tupleIJS8_S9_EEENSB_IJS8_SA_EEENS0_18inequality_wrapperIZN2at6native12_GLOBAL__N_124unique_dim_cuda_templateIaEESt5tupleIJNSF_6TensorESK_SK_EERKSK_lbbbEUlllE0_EEPmJS9_EEE10hipError_tPvRmT3_T4_T5_T6_T7_T9_mT8_P12ihipStream_tbDpT10_ENKUlT_T0_E_clISt17integral_constantIbLb1EES1A_EEDaS15_S16_EUlS15_E_NS1_11comp_targetILNS1_3genE2ELNS1_11target_archE906ELNS1_3gpuE6ELNS1_3repE0EEENS1_30default_config_static_selectorELNS0_4arch9wavefront6targetE1EEEvT1_.kd
    .uniform_work_group_size: 1
    .uses_dynamic_stack: false
    .vgpr_count:     0
    .vgpr_spill_count: 0
    .wavefront_size: 64
  - .agpr_count:     0
    .args:
      - .offset:         0
        .size:           136
        .value_kind:     by_value
    .group_segment_fixed_size: 0
    .kernarg_segment_align: 8
    .kernarg_segment_size: 136
    .language:       OpenCL C
    .language_version:
      - 2
      - 0
    .max_flat_workgroup_size: 384
    .name:           _ZN7rocprim17ROCPRIM_400000_NS6detail17trampoline_kernelINS0_14default_configENS1_25partition_config_selectorILNS1_17partition_subalgoE9EllbEEZZNS1_14partition_implILS5_9ELb0ES3_jPlS8_PNS0_10empty_typeENS0_5tupleIJS8_S9_EEENSB_IJS8_SA_EEENS0_18inequality_wrapperIZN2at6native12_GLOBAL__N_124unique_dim_cuda_templateIaEESt5tupleIJNSF_6TensorESK_SK_EERKSK_lbbbEUlllE0_EEPmJS9_EEE10hipError_tPvRmT3_T4_T5_T6_T7_T9_mT8_P12ihipStream_tbDpT10_ENKUlT_T0_E_clISt17integral_constantIbLb1EES1A_EEDaS15_S16_EUlS15_E_NS1_11comp_targetILNS1_3genE10ELNS1_11target_archE1200ELNS1_3gpuE4ELNS1_3repE0EEENS1_30default_config_static_selectorELNS0_4arch9wavefront6targetE1EEEvT1_
    .private_segment_fixed_size: 0
    .sgpr_count:     4
    .sgpr_spill_count: 0
    .symbol:         _ZN7rocprim17ROCPRIM_400000_NS6detail17trampoline_kernelINS0_14default_configENS1_25partition_config_selectorILNS1_17partition_subalgoE9EllbEEZZNS1_14partition_implILS5_9ELb0ES3_jPlS8_PNS0_10empty_typeENS0_5tupleIJS8_S9_EEENSB_IJS8_SA_EEENS0_18inequality_wrapperIZN2at6native12_GLOBAL__N_124unique_dim_cuda_templateIaEESt5tupleIJNSF_6TensorESK_SK_EERKSK_lbbbEUlllE0_EEPmJS9_EEE10hipError_tPvRmT3_T4_T5_T6_T7_T9_mT8_P12ihipStream_tbDpT10_ENKUlT_T0_E_clISt17integral_constantIbLb1EES1A_EEDaS15_S16_EUlS15_E_NS1_11comp_targetILNS1_3genE10ELNS1_11target_archE1200ELNS1_3gpuE4ELNS1_3repE0EEENS1_30default_config_static_selectorELNS0_4arch9wavefront6targetE1EEEvT1_.kd
    .uniform_work_group_size: 1
    .uses_dynamic_stack: false
    .vgpr_count:     0
    .vgpr_spill_count: 0
    .wavefront_size: 64
  - .agpr_count:     0
    .args:
      - .offset:         0
        .size:           136
        .value_kind:     by_value
    .group_segment_fixed_size: 0
    .kernarg_segment_align: 8
    .kernarg_segment_size: 136
    .language:       OpenCL C
    .language_version:
      - 2
      - 0
    .max_flat_workgroup_size: 512
    .name:           _ZN7rocprim17ROCPRIM_400000_NS6detail17trampoline_kernelINS0_14default_configENS1_25partition_config_selectorILNS1_17partition_subalgoE9EllbEEZZNS1_14partition_implILS5_9ELb0ES3_jPlS8_PNS0_10empty_typeENS0_5tupleIJS8_S9_EEENSB_IJS8_SA_EEENS0_18inequality_wrapperIZN2at6native12_GLOBAL__N_124unique_dim_cuda_templateIaEESt5tupleIJNSF_6TensorESK_SK_EERKSK_lbbbEUlllE0_EEPmJS9_EEE10hipError_tPvRmT3_T4_T5_T6_T7_T9_mT8_P12ihipStream_tbDpT10_ENKUlT_T0_E_clISt17integral_constantIbLb1EES1A_EEDaS15_S16_EUlS15_E_NS1_11comp_targetILNS1_3genE9ELNS1_11target_archE1100ELNS1_3gpuE3ELNS1_3repE0EEENS1_30default_config_static_selectorELNS0_4arch9wavefront6targetE1EEEvT1_
    .private_segment_fixed_size: 0
    .sgpr_count:     4
    .sgpr_spill_count: 0
    .symbol:         _ZN7rocprim17ROCPRIM_400000_NS6detail17trampoline_kernelINS0_14default_configENS1_25partition_config_selectorILNS1_17partition_subalgoE9EllbEEZZNS1_14partition_implILS5_9ELb0ES3_jPlS8_PNS0_10empty_typeENS0_5tupleIJS8_S9_EEENSB_IJS8_SA_EEENS0_18inequality_wrapperIZN2at6native12_GLOBAL__N_124unique_dim_cuda_templateIaEESt5tupleIJNSF_6TensorESK_SK_EERKSK_lbbbEUlllE0_EEPmJS9_EEE10hipError_tPvRmT3_T4_T5_T6_T7_T9_mT8_P12ihipStream_tbDpT10_ENKUlT_T0_E_clISt17integral_constantIbLb1EES1A_EEDaS15_S16_EUlS15_E_NS1_11comp_targetILNS1_3genE9ELNS1_11target_archE1100ELNS1_3gpuE3ELNS1_3repE0EEENS1_30default_config_static_selectorELNS0_4arch9wavefront6targetE1EEEvT1_.kd
    .uniform_work_group_size: 1
    .uses_dynamic_stack: false
    .vgpr_count:     0
    .vgpr_spill_count: 0
    .wavefront_size: 64
  - .agpr_count:     0
    .args:
      - .offset:         0
        .size:           136
        .value_kind:     by_value
    .group_segment_fixed_size: 0
    .kernarg_segment_align: 8
    .kernarg_segment_size: 136
    .language:       OpenCL C
    .language_version:
      - 2
      - 0
    .max_flat_workgroup_size: 512
    .name:           _ZN7rocprim17ROCPRIM_400000_NS6detail17trampoline_kernelINS0_14default_configENS1_25partition_config_selectorILNS1_17partition_subalgoE9EllbEEZZNS1_14partition_implILS5_9ELb0ES3_jPlS8_PNS0_10empty_typeENS0_5tupleIJS8_S9_EEENSB_IJS8_SA_EEENS0_18inequality_wrapperIZN2at6native12_GLOBAL__N_124unique_dim_cuda_templateIaEESt5tupleIJNSF_6TensorESK_SK_EERKSK_lbbbEUlllE0_EEPmJS9_EEE10hipError_tPvRmT3_T4_T5_T6_T7_T9_mT8_P12ihipStream_tbDpT10_ENKUlT_T0_E_clISt17integral_constantIbLb1EES1A_EEDaS15_S16_EUlS15_E_NS1_11comp_targetILNS1_3genE8ELNS1_11target_archE1030ELNS1_3gpuE2ELNS1_3repE0EEENS1_30default_config_static_selectorELNS0_4arch9wavefront6targetE1EEEvT1_
    .private_segment_fixed_size: 0
    .sgpr_count:     4
    .sgpr_spill_count: 0
    .symbol:         _ZN7rocprim17ROCPRIM_400000_NS6detail17trampoline_kernelINS0_14default_configENS1_25partition_config_selectorILNS1_17partition_subalgoE9EllbEEZZNS1_14partition_implILS5_9ELb0ES3_jPlS8_PNS0_10empty_typeENS0_5tupleIJS8_S9_EEENSB_IJS8_SA_EEENS0_18inequality_wrapperIZN2at6native12_GLOBAL__N_124unique_dim_cuda_templateIaEESt5tupleIJNSF_6TensorESK_SK_EERKSK_lbbbEUlllE0_EEPmJS9_EEE10hipError_tPvRmT3_T4_T5_T6_T7_T9_mT8_P12ihipStream_tbDpT10_ENKUlT_T0_E_clISt17integral_constantIbLb1EES1A_EEDaS15_S16_EUlS15_E_NS1_11comp_targetILNS1_3genE8ELNS1_11target_archE1030ELNS1_3gpuE2ELNS1_3repE0EEENS1_30default_config_static_selectorELNS0_4arch9wavefront6targetE1EEEvT1_.kd
    .uniform_work_group_size: 1
    .uses_dynamic_stack: false
    .vgpr_count:     0
    .vgpr_spill_count: 0
    .wavefront_size: 64
  - .agpr_count:     0
    .args:
      - .offset:         0
        .size:           120
        .value_kind:     by_value
    .group_segment_fixed_size: 0
    .kernarg_segment_align: 8
    .kernarg_segment_size: 120
    .language:       OpenCL C
    .language_version:
      - 2
      - 0
    .max_flat_workgroup_size: 128
    .name:           _ZN7rocprim17ROCPRIM_400000_NS6detail17trampoline_kernelINS0_14default_configENS1_25partition_config_selectorILNS1_17partition_subalgoE9EllbEEZZNS1_14partition_implILS5_9ELb0ES3_jPlS8_PNS0_10empty_typeENS0_5tupleIJS8_S9_EEENSB_IJS8_SA_EEENS0_18inequality_wrapperIZN2at6native12_GLOBAL__N_124unique_dim_cuda_templateIaEESt5tupleIJNSF_6TensorESK_SK_EERKSK_lbbbEUlllE0_EEPmJS9_EEE10hipError_tPvRmT3_T4_T5_T6_T7_T9_mT8_P12ihipStream_tbDpT10_ENKUlT_T0_E_clISt17integral_constantIbLb1EES19_IbLb0EEEEDaS15_S16_EUlS15_E_NS1_11comp_targetILNS1_3genE0ELNS1_11target_archE4294967295ELNS1_3gpuE0ELNS1_3repE0EEENS1_30default_config_static_selectorELNS0_4arch9wavefront6targetE1EEEvT1_
    .private_segment_fixed_size: 0
    .sgpr_count:     4
    .sgpr_spill_count: 0
    .symbol:         _ZN7rocprim17ROCPRIM_400000_NS6detail17trampoline_kernelINS0_14default_configENS1_25partition_config_selectorILNS1_17partition_subalgoE9EllbEEZZNS1_14partition_implILS5_9ELb0ES3_jPlS8_PNS0_10empty_typeENS0_5tupleIJS8_S9_EEENSB_IJS8_SA_EEENS0_18inequality_wrapperIZN2at6native12_GLOBAL__N_124unique_dim_cuda_templateIaEESt5tupleIJNSF_6TensorESK_SK_EERKSK_lbbbEUlllE0_EEPmJS9_EEE10hipError_tPvRmT3_T4_T5_T6_T7_T9_mT8_P12ihipStream_tbDpT10_ENKUlT_T0_E_clISt17integral_constantIbLb1EES19_IbLb0EEEEDaS15_S16_EUlS15_E_NS1_11comp_targetILNS1_3genE0ELNS1_11target_archE4294967295ELNS1_3gpuE0ELNS1_3repE0EEENS1_30default_config_static_selectorELNS0_4arch9wavefront6targetE1EEEvT1_.kd
    .uniform_work_group_size: 1
    .uses_dynamic_stack: false
    .vgpr_count:     0
    .vgpr_spill_count: 0
    .wavefront_size: 64
  - .agpr_count:     0
    .args:
      - .offset:         0
        .size:           120
        .value_kind:     by_value
    .group_segment_fixed_size: 0
    .kernarg_segment_align: 8
    .kernarg_segment_size: 120
    .language:       OpenCL C
    .language_version:
      - 2
      - 0
    .max_flat_workgroup_size: 512
    .name:           _ZN7rocprim17ROCPRIM_400000_NS6detail17trampoline_kernelINS0_14default_configENS1_25partition_config_selectorILNS1_17partition_subalgoE9EllbEEZZNS1_14partition_implILS5_9ELb0ES3_jPlS8_PNS0_10empty_typeENS0_5tupleIJS8_S9_EEENSB_IJS8_SA_EEENS0_18inequality_wrapperIZN2at6native12_GLOBAL__N_124unique_dim_cuda_templateIaEESt5tupleIJNSF_6TensorESK_SK_EERKSK_lbbbEUlllE0_EEPmJS9_EEE10hipError_tPvRmT3_T4_T5_T6_T7_T9_mT8_P12ihipStream_tbDpT10_ENKUlT_T0_E_clISt17integral_constantIbLb1EES19_IbLb0EEEEDaS15_S16_EUlS15_E_NS1_11comp_targetILNS1_3genE5ELNS1_11target_archE942ELNS1_3gpuE9ELNS1_3repE0EEENS1_30default_config_static_selectorELNS0_4arch9wavefront6targetE1EEEvT1_
    .private_segment_fixed_size: 0
    .sgpr_count:     4
    .sgpr_spill_count: 0
    .symbol:         _ZN7rocprim17ROCPRIM_400000_NS6detail17trampoline_kernelINS0_14default_configENS1_25partition_config_selectorILNS1_17partition_subalgoE9EllbEEZZNS1_14partition_implILS5_9ELb0ES3_jPlS8_PNS0_10empty_typeENS0_5tupleIJS8_S9_EEENSB_IJS8_SA_EEENS0_18inequality_wrapperIZN2at6native12_GLOBAL__N_124unique_dim_cuda_templateIaEESt5tupleIJNSF_6TensorESK_SK_EERKSK_lbbbEUlllE0_EEPmJS9_EEE10hipError_tPvRmT3_T4_T5_T6_T7_T9_mT8_P12ihipStream_tbDpT10_ENKUlT_T0_E_clISt17integral_constantIbLb1EES19_IbLb0EEEEDaS15_S16_EUlS15_E_NS1_11comp_targetILNS1_3genE5ELNS1_11target_archE942ELNS1_3gpuE9ELNS1_3repE0EEENS1_30default_config_static_selectorELNS0_4arch9wavefront6targetE1EEEvT1_.kd
    .uniform_work_group_size: 1
    .uses_dynamic_stack: false
    .vgpr_count:     0
    .vgpr_spill_count: 0
    .wavefront_size: 64
  - .agpr_count:     0
    .args:
      - .offset:         0
        .size:           120
        .value_kind:     by_value
    .group_segment_fixed_size: 4236
    .kernarg_segment_align: 8
    .kernarg_segment_size: 120
    .language:       OpenCL C
    .language_version:
      - 2
      - 0
    .max_flat_workgroup_size: 128
    .name:           _ZN7rocprim17ROCPRIM_400000_NS6detail17trampoline_kernelINS0_14default_configENS1_25partition_config_selectorILNS1_17partition_subalgoE9EllbEEZZNS1_14partition_implILS5_9ELb0ES3_jPlS8_PNS0_10empty_typeENS0_5tupleIJS8_S9_EEENSB_IJS8_SA_EEENS0_18inequality_wrapperIZN2at6native12_GLOBAL__N_124unique_dim_cuda_templateIaEESt5tupleIJNSF_6TensorESK_SK_EERKSK_lbbbEUlllE0_EEPmJS9_EEE10hipError_tPvRmT3_T4_T5_T6_T7_T9_mT8_P12ihipStream_tbDpT10_ENKUlT_T0_E_clISt17integral_constantIbLb1EES19_IbLb0EEEEDaS15_S16_EUlS15_E_NS1_11comp_targetILNS1_3genE4ELNS1_11target_archE910ELNS1_3gpuE8ELNS1_3repE0EEENS1_30default_config_static_selectorELNS0_4arch9wavefront6targetE1EEEvT1_
    .private_segment_fixed_size: 0
    .sgpr_count:     50
    .sgpr_spill_count: 0
    .symbol:         _ZN7rocprim17ROCPRIM_400000_NS6detail17trampoline_kernelINS0_14default_configENS1_25partition_config_selectorILNS1_17partition_subalgoE9EllbEEZZNS1_14partition_implILS5_9ELb0ES3_jPlS8_PNS0_10empty_typeENS0_5tupleIJS8_S9_EEENSB_IJS8_SA_EEENS0_18inequality_wrapperIZN2at6native12_GLOBAL__N_124unique_dim_cuda_templateIaEESt5tupleIJNSF_6TensorESK_SK_EERKSK_lbbbEUlllE0_EEPmJS9_EEE10hipError_tPvRmT3_T4_T5_T6_T7_T9_mT8_P12ihipStream_tbDpT10_ENKUlT_T0_E_clISt17integral_constantIbLb1EES19_IbLb0EEEEDaS15_S16_EUlS15_E_NS1_11comp_targetILNS1_3genE4ELNS1_11target_archE910ELNS1_3gpuE8ELNS1_3repE0EEENS1_30default_config_static_selectorELNS0_4arch9wavefront6targetE1EEEvT1_.kd
    .uniform_work_group_size: 1
    .uses_dynamic_stack: false
    .vgpr_count:     50
    .vgpr_spill_count: 0
    .wavefront_size: 64
  - .agpr_count:     0
    .args:
      - .offset:         0
        .size:           120
        .value_kind:     by_value
    .group_segment_fixed_size: 0
    .kernarg_segment_align: 8
    .kernarg_segment_size: 120
    .language:       OpenCL C
    .language_version:
      - 2
      - 0
    .max_flat_workgroup_size: 128
    .name:           _ZN7rocprim17ROCPRIM_400000_NS6detail17trampoline_kernelINS0_14default_configENS1_25partition_config_selectorILNS1_17partition_subalgoE9EllbEEZZNS1_14partition_implILS5_9ELb0ES3_jPlS8_PNS0_10empty_typeENS0_5tupleIJS8_S9_EEENSB_IJS8_SA_EEENS0_18inequality_wrapperIZN2at6native12_GLOBAL__N_124unique_dim_cuda_templateIaEESt5tupleIJNSF_6TensorESK_SK_EERKSK_lbbbEUlllE0_EEPmJS9_EEE10hipError_tPvRmT3_T4_T5_T6_T7_T9_mT8_P12ihipStream_tbDpT10_ENKUlT_T0_E_clISt17integral_constantIbLb1EES19_IbLb0EEEEDaS15_S16_EUlS15_E_NS1_11comp_targetILNS1_3genE3ELNS1_11target_archE908ELNS1_3gpuE7ELNS1_3repE0EEENS1_30default_config_static_selectorELNS0_4arch9wavefront6targetE1EEEvT1_
    .private_segment_fixed_size: 0
    .sgpr_count:     4
    .sgpr_spill_count: 0
    .symbol:         _ZN7rocprim17ROCPRIM_400000_NS6detail17trampoline_kernelINS0_14default_configENS1_25partition_config_selectorILNS1_17partition_subalgoE9EllbEEZZNS1_14partition_implILS5_9ELb0ES3_jPlS8_PNS0_10empty_typeENS0_5tupleIJS8_S9_EEENSB_IJS8_SA_EEENS0_18inequality_wrapperIZN2at6native12_GLOBAL__N_124unique_dim_cuda_templateIaEESt5tupleIJNSF_6TensorESK_SK_EERKSK_lbbbEUlllE0_EEPmJS9_EEE10hipError_tPvRmT3_T4_T5_T6_T7_T9_mT8_P12ihipStream_tbDpT10_ENKUlT_T0_E_clISt17integral_constantIbLb1EES19_IbLb0EEEEDaS15_S16_EUlS15_E_NS1_11comp_targetILNS1_3genE3ELNS1_11target_archE908ELNS1_3gpuE7ELNS1_3repE0EEENS1_30default_config_static_selectorELNS0_4arch9wavefront6targetE1EEEvT1_.kd
    .uniform_work_group_size: 1
    .uses_dynamic_stack: false
    .vgpr_count:     0
    .vgpr_spill_count: 0
    .wavefront_size: 64
  - .agpr_count:     0
    .args:
      - .offset:         0
        .size:           120
        .value_kind:     by_value
    .group_segment_fixed_size: 0
    .kernarg_segment_align: 8
    .kernarg_segment_size: 120
    .language:       OpenCL C
    .language_version:
      - 2
      - 0
    .max_flat_workgroup_size: 192
    .name:           _ZN7rocprim17ROCPRIM_400000_NS6detail17trampoline_kernelINS0_14default_configENS1_25partition_config_selectorILNS1_17partition_subalgoE9EllbEEZZNS1_14partition_implILS5_9ELb0ES3_jPlS8_PNS0_10empty_typeENS0_5tupleIJS8_S9_EEENSB_IJS8_SA_EEENS0_18inequality_wrapperIZN2at6native12_GLOBAL__N_124unique_dim_cuda_templateIaEESt5tupleIJNSF_6TensorESK_SK_EERKSK_lbbbEUlllE0_EEPmJS9_EEE10hipError_tPvRmT3_T4_T5_T6_T7_T9_mT8_P12ihipStream_tbDpT10_ENKUlT_T0_E_clISt17integral_constantIbLb1EES19_IbLb0EEEEDaS15_S16_EUlS15_E_NS1_11comp_targetILNS1_3genE2ELNS1_11target_archE906ELNS1_3gpuE6ELNS1_3repE0EEENS1_30default_config_static_selectorELNS0_4arch9wavefront6targetE1EEEvT1_
    .private_segment_fixed_size: 0
    .sgpr_count:     4
    .sgpr_spill_count: 0
    .symbol:         _ZN7rocprim17ROCPRIM_400000_NS6detail17trampoline_kernelINS0_14default_configENS1_25partition_config_selectorILNS1_17partition_subalgoE9EllbEEZZNS1_14partition_implILS5_9ELb0ES3_jPlS8_PNS0_10empty_typeENS0_5tupleIJS8_S9_EEENSB_IJS8_SA_EEENS0_18inequality_wrapperIZN2at6native12_GLOBAL__N_124unique_dim_cuda_templateIaEESt5tupleIJNSF_6TensorESK_SK_EERKSK_lbbbEUlllE0_EEPmJS9_EEE10hipError_tPvRmT3_T4_T5_T6_T7_T9_mT8_P12ihipStream_tbDpT10_ENKUlT_T0_E_clISt17integral_constantIbLb1EES19_IbLb0EEEEDaS15_S16_EUlS15_E_NS1_11comp_targetILNS1_3genE2ELNS1_11target_archE906ELNS1_3gpuE6ELNS1_3repE0EEENS1_30default_config_static_selectorELNS0_4arch9wavefront6targetE1EEEvT1_.kd
    .uniform_work_group_size: 1
    .uses_dynamic_stack: false
    .vgpr_count:     0
    .vgpr_spill_count: 0
    .wavefront_size: 64
  - .agpr_count:     0
    .args:
      - .offset:         0
        .size:           120
        .value_kind:     by_value
    .group_segment_fixed_size: 0
    .kernarg_segment_align: 8
    .kernarg_segment_size: 120
    .language:       OpenCL C
    .language_version:
      - 2
      - 0
    .max_flat_workgroup_size: 384
    .name:           _ZN7rocprim17ROCPRIM_400000_NS6detail17trampoline_kernelINS0_14default_configENS1_25partition_config_selectorILNS1_17partition_subalgoE9EllbEEZZNS1_14partition_implILS5_9ELb0ES3_jPlS8_PNS0_10empty_typeENS0_5tupleIJS8_S9_EEENSB_IJS8_SA_EEENS0_18inequality_wrapperIZN2at6native12_GLOBAL__N_124unique_dim_cuda_templateIaEESt5tupleIJNSF_6TensorESK_SK_EERKSK_lbbbEUlllE0_EEPmJS9_EEE10hipError_tPvRmT3_T4_T5_T6_T7_T9_mT8_P12ihipStream_tbDpT10_ENKUlT_T0_E_clISt17integral_constantIbLb1EES19_IbLb0EEEEDaS15_S16_EUlS15_E_NS1_11comp_targetILNS1_3genE10ELNS1_11target_archE1200ELNS1_3gpuE4ELNS1_3repE0EEENS1_30default_config_static_selectorELNS0_4arch9wavefront6targetE1EEEvT1_
    .private_segment_fixed_size: 0
    .sgpr_count:     4
    .sgpr_spill_count: 0
    .symbol:         _ZN7rocprim17ROCPRIM_400000_NS6detail17trampoline_kernelINS0_14default_configENS1_25partition_config_selectorILNS1_17partition_subalgoE9EllbEEZZNS1_14partition_implILS5_9ELb0ES3_jPlS8_PNS0_10empty_typeENS0_5tupleIJS8_S9_EEENSB_IJS8_SA_EEENS0_18inequality_wrapperIZN2at6native12_GLOBAL__N_124unique_dim_cuda_templateIaEESt5tupleIJNSF_6TensorESK_SK_EERKSK_lbbbEUlllE0_EEPmJS9_EEE10hipError_tPvRmT3_T4_T5_T6_T7_T9_mT8_P12ihipStream_tbDpT10_ENKUlT_T0_E_clISt17integral_constantIbLb1EES19_IbLb0EEEEDaS15_S16_EUlS15_E_NS1_11comp_targetILNS1_3genE10ELNS1_11target_archE1200ELNS1_3gpuE4ELNS1_3repE0EEENS1_30default_config_static_selectorELNS0_4arch9wavefront6targetE1EEEvT1_.kd
    .uniform_work_group_size: 1
    .uses_dynamic_stack: false
    .vgpr_count:     0
    .vgpr_spill_count: 0
    .wavefront_size: 64
  - .agpr_count:     0
    .args:
      - .offset:         0
        .size:           120
        .value_kind:     by_value
    .group_segment_fixed_size: 0
    .kernarg_segment_align: 8
    .kernarg_segment_size: 120
    .language:       OpenCL C
    .language_version:
      - 2
      - 0
    .max_flat_workgroup_size: 512
    .name:           _ZN7rocprim17ROCPRIM_400000_NS6detail17trampoline_kernelINS0_14default_configENS1_25partition_config_selectorILNS1_17partition_subalgoE9EllbEEZZNS1_14partition_implILS5_9ELb0ES3_jPlS8_PNS0_10empty_typeENS0_5tupleIJS8_S9_EEENSB_IJS8_SA_EEENS0_18inequality_wrapperIZN2at6native12_GLOBAL__N_124unique_dim_cuda_templateIaEESt5tupleIJNSF_6TensorESK_SK_EERKSK_lbbbEUlllE0_EEPmJS9_EEE10hipError_tPvRmT3_T4_T5_T6_T7_T9_mT8_P12ihipStream_tbDpT10_ENKUlT_T0_E_clISt17integral_constantIbLb1EES19_IbLb0EEEEDaS15_S16_EUlS15_E_NS1_11comp_targetILNS1_3genE9ELNS1_11target_archE1100ELNS1_3gpuE3ELNS1_3repE0EEENS1_30default_config_static_selectorELNS0_4arch9wavefront6targetE1EEEvT1_
    .private_segment_fixed_size: 0
    .sgpr_count:     4
    .sgpr_spill_count: 0
    .symbol:         _ZN7rocprim17ROCPRIM_400000_NS6detail17trampoline_kernelINS0_14default_configENS1_25partition_config_selectorILNS1_17partition_subalgoE9EllbEEZZNS1_14partition_implILS5_9ELb0ES3_jPlS8_PNS0_10empty_typeENS0_5tupleIJS8_S9_EEENSB_IJS8_SA_EEENS0_18inequality_wrapperIZN2at6native12_GLOBAL__N_124unique_dim_cuda_templateIaEESt5tupleIJNSF_6TensorESK_SK_EERKSK_lbbbEUlllE0_EEPmJS9_EEE10hipError_tPvRmT3_T4_T5_T6_T7_T9_mT8_P12ihipStream_tbDpT10_ENKUlT_T0_E_clISt17integral_constantIbLb1EES19_IbLb0EEEEDaS15_S16_EUlS15_E_NS1_11comp_targetILNS1_3genE9ELNS1_11target_archE1100ELNS1_3gpuE3ELNS1_3repE0EEENS1_30default_config_static_selectorELNS0_4arch9wavefront6targetE1EEEvT1_.kd
    .uniform_work_group_size: 1
    .uses_dynamic_stack: false
    .vgpr_count:     0
    .vgpr_spill_count: 0
    .wavefront_size: 64
  - .agpr_count:     0
    .args:
      - .offset:         0
        .size:           120
        .value_kind:     by_value
    .group_segment_fixed_size: 0
    .kernarg_segment_align: 8
    .kernarg_segment_size: 120
    .language:       OpenCL C
    .language_version:
      - 2
      - 0
    .max_flat_workgroup_size: 512
    .name:           _ZN7rocprim17ROCPRIM_400000_NS6detail17trampoline_kernelINS0_14default_configENS1_25partition_config_selectorILNS1_17partition_subalgoE9EllbEEZZNS1_14partition_implILS5_9ELb0ES3_jPlS8_PNS0_10empty_typeENS0_5tupleIJS8_S9_EEENSB_IJS8_SA_EEENS0_18inequality_wrapperIZN2at6native12_GLOBAL__N_124unique_dim_cuda_templateIaEESt5tupleIJNSF_6TensorESK_SK_EERKSK_lbbbEUlllE0_EEPmJS9_EEE10hipError_tPvRmT3_T4_T5_T6_T7_T9_mT8_P12ihipStream_tbDpT10_ENKUlT_T0_E_clISt17integral_constantIbLb1EES19_IbLb0EEEEDaS15_S16_EUlS15_E_NS1_11comp_targetILNS1_3genE8ELNS1_11target_archE1030ELNS1_3gpuE2ELNS1_3repE0EEENS1_30default_config_static_selectorELNS0_4arch9wavefront6targetE1EEEvT1_
    .private_segment_fixed_size: 0
    .sgpr_count:     4
    .sgpr_spill_count: 0
    .symbol:         _ZN7rocprim17ROCPRIM_400000_NS6detail17trampoline_kernelINS0_14default_configENS1_25partition_config_selectorILNS1_17partition_subalgoE9EllbEEZZNS1_14partition_implILS5_9ELb0ES3_jPlS8_PNS0_10empty_typeENS0_5tupleIJS8_S9_EEENSB_IJS8_SA_EEENS0_18inequality_wrapperIZN2at6native12_GLOBAL__N_124unique_dim_cuda_templateIaEESt5tupleIJNSF_6TensorESK_SK_EERKSK_lbbbEUlllE0_EEPmJS9_EEE10hipError_tPvRmT3_T4_T5_T6_T7_T9_mT8_P12ihipStream_tbDpT10_ENKUlT_T0_E_clISt17integral_constantIbLb1EES19_IbLb0EEEEDaS15_S16_EUlS15_E_NS1_11comp_targetILNS1_3genE8ELNS1_11target_archE1030ELNS1_3gpuE2ELNS1_3repE0EEENS1_30default_config_static_selectorELNS0_4arch9wavefront6targetE1EEEvT1_.kd
    .uniform_work_group_size: 1
    .uses_dynamic_stack: false
    .vgpr_count:     0
    .vgpr_spill_count: 0
    .wavefront_size: 64
  - .agpr_count:     0
    .args:
      - .offset:         0
        .size:           136
        .value_kind:     by_value
    .group_segment_fixed_size: 0
    .kernarg_segment_align: 8
    .kernarg_segment_size: 136
    .language:       OpenCL C
    .language_version:
      - 2
      - 0
    .max_flat_workgroup_size: 128
    .name:           _ZN7rocprim17ROCPRIM_400000_NS6detail17trampoline_kernelINS0_14default_configENS1_25partition_config_selectorILNS1_17partition_subalgoE9EllbEEZZNS1_14partition_implILS5_9ELb0ES3_jPlS8_PNS0_10empty_typeENS0_5tupleIJS8_S9_EEENSB_IJS8_SA_EEENS0_18inequality_wrapperIZN2at6native12_GLOBAL__N_124unique_dim_cuda_templateIaEESt5tupleIJNSF_6TensorESK_SK_EERKSK_lbbbEUlllE0_EEPmJS9_EEE10hipError_tPvRmT3_T4_T5_T6_T7_T9_mT8_P12ihipStream_tbDpT10_ENKUlT_T0_E_clISt17integral_constantIbLb0EES19_IbLb1EEEEDaS15_S16_EUlS15_E_NS1_11comp_targetILNS1_3genE0ELNS1_11target_archE4294967295ELNS1_3gpuE0ELNS1_3repE0EEENS1_30default_config_static_selectorELNS0_4arch9wavefront6targetE1EEEvT1_
    .private_segment_fixed_size: 0
    .sgpr_count:     4
    .sgpr_spill_count: 0
    .symbol:         _ZN7rocprim17ROCPRIM_400000_NS6detail17trampoline_kernelINS0_14default_configENS1_25partition_config_selectorILNS1_17partition_subalgoE9EllbEEZZNS1_14partition_implILS5_9ELb0ES3_jPlS8_PNS0_10empty_typeENS0_5tupleIJS8_S9_EEENSB_IJS8_SA_EEENS0_18inequality_wrapperIZN2at6native12_GLOBAL__N_124unique_dim_cuda_templateIaEESt5tupleIJNSF_6TensorESK_SK_EERKSK_lbbbEUlllE0_EEPmJS9_EEE10hipError_tPvRmT3_T4_T5_T6_T7_T9_mT8_P12ihipStream_tbDpT10_ENKUlT_T0_E_clISt17integral_constantIbLb0EES19_IbLb1EEEEDaS15_S16_EUlS15_E_NS1_11comp_targetILNS1_3genE0ELNS1_11target_archE4294967295ELNS1_3gpuE0ELNS1_3repE0EEENS1_30default_config_static_selectorELNS0_4arch9wavefront6targetE1EEEvT1_.kd
    .uniform_work_group_size: 1
    .uses_dynamic_stack: false
    .vgpr_count:     0
    .vgpr_spill_count: 0
    .wavefront_size: 64
  - .agpr_count:     0
    .args:
      - .offset:         0
        .size:           136
        .value_kind:     by_value
    .group_segment_fixed_size: 0
    .kernarg_segment_align: 8
    .kernarg_segment_size: 136
    .language:       OpenCL C
    .language_version:
      - 2
      - 0
    .max_flat_workgroup_size: 512
    .name:           _ZN7rocprim17ROCPRIM_400000_NS6detail17trampoline_kernelINS0_14default_configENS1_25partition_config_selectorILNS1_17partition_subalgoE9EllbEEZZNS1_14partition_implILS5_9ELb0ES3_jPlS8_PNS0_10empty_typeENS0_5tupleIJS8_S9_EEENSB_IJS8_SA_EEENS0_18inequality_wrapperIZN2at6native12_GLOBAL__N_124unique_dim_cuda_templateIaEESt5tupleIJNSF_6TensorESK_SK_EERKSK_lbbbEUlllE0_EEPmJS9_EEE10hipError_tPvRmT3_T4_T5_T6_T7_T9_mT8_P12ihipStream_tbDpT10_ENKUlT_T0_E_clISt17integral_constantIbLb0EES19_IbLb1EEEEDaS15_S16_EUlS15_E_NS1_11comp_targetILNS1_3genE5ELNS1_11target_archE942ELNS1_3gpuE9ELNS1_3repE0EEENS1_30default_config_static_selectorELNS0_4arch9wavefront6targetE1EEEvT1_
    .private_segment_fixed_size: 0
    .sgpr_count:     4
    .sgpr_spill_count: 0
    .symbol:         _ZN7rocprim17ROCPRIM_400000_NS6detail17trampoline_kernelINS0_14default_configENS1_25partition_config_selectorILNS1_17partition_subalgoE9EllbEEZZNS1_14partition_implILS5_9ELb0ES3_jPlS8_PNS0_10empty_typeENS0_5tupleIJS8_S9_EEENSB_IJS8_SA_EEENS0_18inequality_wrapperIZN2at6native12_GLOBAL__N_124unique_dim_cuda_templateIaEESt5tupleIJNSF_6TensorESK_SK_EERKSK_lbbbEUlllE0_EEPmJS9_EEE10hipError_tPvRmT3_T4_T5_T6_T7_T9_mT8_P12ihipStream_tbDpT10_ENKUlT_T0_E_clISt17integral_constantIbLb0EES19_IbLb1EEEEDaS15_S16_EUlS15_E_NS1_11comp_targetILNS1_3genE5ELNS1_11target_archE942ELNS1_3gpuE9ELNS1_3repE0EEENS1_30default_config_static_selectorELNS0_4arch9wavefront6targetE1EEEvT1_.kd
    .uniform_work_group_size: 1
    .uses_dynamic_stack: false
    .vgpr_count:     0
    .vgpr_spill_count: 0
    .wavefront_size: 64
  - .agpr_count:     0
    .args:
      - .offset:         0
        .size:           136
        .value_kind:     by_value
    .group_segment_fixed_size: 4236
    .kernarg_segment_align: 8
    .kernarg_segment_size: 136
    .language:       OpenCL C
    .language_version:
      - 2
      - 0
    .max_flat_workgroup_size: 128
    .name:           _ZN7rocprim17ROCPRIM_400000_NS6detail17trampoline_kernelINS0_14default_configENS1_25partition_config_selectorILNS1_17partition_subalgoE9EllbEEZZNS1_14partition_implILS5_9ELb0ES3_jPlS8_PNS0_10empty_typeENS0_5tupleIJS8_S9_EEENSB_IJS8_SA_EEENS0_18inequality_wrapperIZN2at6native12_GLOBAL__N_124unique_dim_cuda_templateIaEESt5tupleIJNSF_6TensorESK_SK_EERKSK_lbbbEUlllE0_EEPmJS9_EEE10hipError_tPvRmT3_T4_T5_T6_T7_T9_mT8_P12ihipStream_tbDpT10_ENKUlT_T0_E_clISt17integral_constantIbLb0EES19_IbLb1EEEEDaS15_S16_EUlS15_E_NS1_11comp_targetILNS1_3genE4ELNS1_11target_archE910ELNS1_3gpuE8ELNS1_3repE0EEENS1_30default_config_static_selectorELNS0_4arch9wavefront6targetE1EEEvT1_
    .private_segment_fixed_size: 0
    .sgpr_count:     56
    .sgpr_spill_count: 0
    .symbol:         _ZN7rocprim17ROCPRIM_400000_NS6detail17trampoline_kernelINS0_14default_configENS1_25partition_config_selectorILNS1_17partition_subalgoE9EllbEEZZNS1_14partition_implILS5_9ELb0ES3_jPlS8_PNS0_10empty_typeENS0_5tupleIJS8_S9_EEENSB_IJS8_SA_EEENS0_18inequality_wrapperIZN2at6native12_GLOBAL__N_124unique_dim_cuda_templateIaEESt5tupleIJNSF_6TensorESK_SK_EERKSK_lbbbEUlllE0_EEPmJS9_EEE10hipError_tPvRmT3_T4_T5_T6_T7_T9_mT8_P12ihipStream_tbDpT10_ENKUlT_T0_E_clISt17integral_constantIbLb0EES19_IbLb1EEEEDaS15_S16_EUlS15_E_NS1_11comp_targetILNS1_3genE4ELNS1_11target_archE910ELNS1_3gpuE8ELNS1_3repE0EEENS1_30default_config_static_selectorELNS0_4arch9wavefront6targetE1EEEvT1_.kd
    .uniform_work_group_size: 1
    .uses_dynamic_stack: false
    .vgpr_count:     50
    .vgpr_spill_count: 0
    .wavefront_size: 64
  - .agpr_count:     0
    .args:
      - .offset:         0
        .size:           136
        .value_kind:     by_value
    .group_segment_fixed_size: 0
    .kernarg_segment_align: 8
    .kernarg_segment_size: 136
    .language:       OpenCL C
    .language_version:
      - 2
      - 0
    .max_flat_workgroup_size: 128
    .name:           _ZN7rocprim17ROCPRIM_400000_NS6detail17trampoline_kernelINS0_14default_configENS1_25partition_config_selectorILNS1_17partition_subalgoE9EllbEEZZNS1_14partition_implILS5_9ELb0ES3_jPlS8_PNS0_10empty_typeENS0_5tupleIJS8_S9_EEENSB_IJS8_SA_EEENS0_18inequality_wrapperIZN2at6native12_GLOBAL__N_124unique_dim_cuda_templateIaEESt5tupleIJNSF_6TensorESK_SK_EERKSK_lbbbEUlllE0_EEPmJS9_EEE10hipError_tPvRmT3_T4_T5_T6_T7_T9_mT8_P12ihipStream_tbDpT10_ENKUlT_T0_E_clISt17integral_constantIbLb0EES19_IbLb1EEEEDaS15_S16_EUlS15_E_NS1_11comp_targetILNS1_3genE3ELNS1_11target_archE908ELNS1_3gpuE7ELNS1_3repE0EEENS1_30default_config_static_selectorELNS0_4arch9wavefront6targetE1EEEvT1_
    .private_segment_fixed_size: 0
    .sgpr_count:     4
    .sgpr_spill_count: 0
    .symbol:         _ZN7rocprim17ROCPRIM_400000_NS6detail17trampoline_kernelINS0_14default_configENS1_25partition_config_selectorILNS1_17partition_subalgoE9EllbEEZZNS1_14partition_implILS5_9ELb0ES3_jPlS8_PNS0_10empty_typeENS0_5tupleIJS8_S9_EEENSB_IJS8_SA_EEENS0_18inequality_wrapperIZN2at6native12_GLOBAL__N_124unique_dim_cuda_templateIaEESt5tupleIJNSF_6TensorESK_SK_EERKSK_lbbbEUlllE0_EEPmJS9_EEE10hipError_tPvRmT3_T4_T5_T6_T7_T9_mT8_P12ihipStream_tbDpT10_ENKUlT_T0_E_clISt17integral_constantIbLb0EES19_IbLb1EEEEDaS15_S16_EUlS15_E_NS1_11comp_targetILNS1_3genE3ELNS1_11target_archE908ELNS1_3gpuE7ELNS1_3repE0EEENS1_30default_config_static_selectorELNS0_4arch9wavefront6targetE1EEEvT1_.kd
    .uniform_work_group_size: 1
    .uses_dynamic_stack: false
    .vgpr_count:     0
    .vgpr_spill_count: 0
    .wavefront_size: 64
  - .agpr_count:     0
    .args:
      - .offset:         0
        .size:           136
        .value_kind:     by_value
    .group_segment_fixed_size: 0
    .kernarg_segment_align: 8
    .kernarg_segment_size: 136
    .language:       OpenCL C
    .language_version:
      - 2
      - 0
    .max_flat_workgroup_size: 192
    .name:           _ZN7rocprim17ROCPRIM_400000_NS6detail17trampoline_kernelINS0_14default_configENS1_25partition_config_selectorILNS1_17partition_subalgoE9EllbEEZZNS1_14partition_implILS5_9ELb0ES3_jPlS8_PNS0_10empty_typeENS0_5tupleIJS8_S9_EEENSB_IJS8_SA_EEENS0_18inequality_wrapperIZN2at6native12_GLOBAL__N_124unique_dim_cuda_templateIaEESt5tupleIJNSF_6TensorESK_SK_EERKSK_lbbbEUlllE0_EEPmJS9_EEE10hipError_tPvRmT3_T4_T5_T6_T7_T9_mT8_P12ihipStream_tbDpT10_ENKUlT_T0_E_clISt17integral_constantIbLb0EES19_IbLb1EEEEDaS15_S16_EUlS15_E_NS1_11comp_targetILNS1_3genE2ELNS1_11target_archE906ELNS1_3gpuE6ELNS1_3repE0EEENS1_30default_config_static_selectorELNS0_4arch9wavefront6targetE1EEEvT1_
    .private_segment_fixed_size: 0
    .sgpr_count:     4
    .sgpr_spill_count: 0
    .symbol:         _ZN7rocprim17ROCPRIM_400000_NS6detail17trampoline_kernelINS0_14default_configENS1_25partition_config_selectorILNS1_17partition_subalgoE9EllbEEZZNS1_14partition_implILS5_9ELb0ES3_jPlS8_PNS0_10empty_typeENS0_5tupleIJS8_S9_EEENSB_IJS8_SA_EEENS0_18inequality_wrapperIZN2at6native12_GLOBAL__N_124unique_dim_cuda_templateIaEESt5tupleIJNSF_6TensorESK_SK_EERKSK_lbbbEUlllE0_EEPmJS9_EEE10hipError_tPvRmT3_T4_T5_T6_T7_T9_mT8_P12ihipStream_tbDpT10_ENKUlT_T0_E_clISt17integral_constantIbLb0EES19_IbLb1EEEEDaS15_S16_EUlS15_E_NS1_11comp_targetILNS1_3genE2ELNS1_11target_archE906ELNS1_3gpuE6ELNS1_3repE0EEENS1_30default_config_static_selectorELNS0_4arch9wavefront6targetE1EEEvT1_.kd
    .uniform_work_group_size: 1
    .uses_dynamic_stack: false
    .vgpr_count:     0
    .vgpr_spill_count: 0
    .wavefront_size: 64
  - .agpr_count:     0
    .args:
      - .offset:         0
        .size:           136
        .value_kind:     by_value
    .group_segment_fixed_size: 0
    .kernarg_segment_align: 8
    .kernarg_segment_size: 136
    .language:       OpenCL C
    .language_version:
      - 2
      - 0
    .max_flat_workgroup_size: 384
    .name:           _ZN7rocprim17ROCPRIM_400000_NS6detail17trampoline_kernelINS0_14default_configENS1_25partition_config_selectorILNS1_17partition_subalgoE9EllbEEZZNS1_14partition_implILS5_9ELb0ES3_jPlS8_PNS0_10empty_typeENS0_5tupleIJS8_S9_EEENSB_IJS8_SA_EEENS0_18inequality_wrapperIZN2at6native12_GLOBAL__N_124unique_dim_cuda_templateIaEESt5tupleIJNSF_6TensorESK_SK_EERKSK_lbbbEUlllE0_EEPmJS9_EEE10hipError_tPvRmT3_T4_T5_T6_T7_T9_mT8_P12ihipStream_tbDpT10_ENKUlT_T0_E_clISt17integral_constantIbLb0EES19_IbLb1EEEEDaS15_S16_EUlS15_E_NS1_11comp_targetILNS1_3genE10ELNS1_11target_archE1200ELNS1_3gpuE4ELNS1_3repE0EEENS1_30default_config_static_selectorELNS0_4arch9wavefront6targetE1EEEvT1_
    .private_segment_fixed_size: 0
    .sgpr_count:     4
    .sgpr_spill_count: 0
    .symbol:         _ZN7rocprim17ROCPRIM_400000_NS6detail17trampoline_kernelINS0_14default_configENS1_25partition_config_selectorILNS1_17partition_subalgoE9EllbEEZZNS1_14partition_implILS5_9ELb0ES3_jPlS8_PNS0_10empty_typeENS0_5tupleIJS8_S9_EEENSB_IJS8_SA_EEENS0_18inequality_wrapperIZN2at6native12_GLOBAL__N_124unique_dim_cuda_templateIaEESt5tupleIJNSF_6TensorESK_SK_EERKSK_lbbbEUlllE0_EEPmJS9_EEE10hipError_tPvRmT3_T4_T5_T6_T7_T9_mT8_P12ihipStream_tbDpT10_ENKUlT_T0_E_clISt17integral_constantIbLb0EES19_IbLb1EEEEDaS15_S16_EUlS15_E_NS1_11comp_targetILNS1_3genE10ELNS1_11target_archE1200ELNS1_3gpuE4ELNS1_3repE0EEENS1_30default_config_static_selectorELNS0_4arch9wavefront6targetE1EEEvT1_.kd
    .uniform_work_group_size: 1
    .uses_dynamic_stack: false
    .vgpr_count:     0
    .vgpr_spill_count: 0
    .wavefront_size: 64
  - .agpr_count:     0
    .args:
      - .offset:         0
        .size:           136
        .value_kind:     by_value
    .group_segment_fixed_size: 0
    .kernarg_segment_align: 8
    .kernarg_segment_size: 136
    .language:       OpenCL C
    .language_version:
      - 2
      - 0
    .max_flat_workgroup_size: 512
    .name:           _ZN7rocprim17ROCPRIM_400000_NS6detail17trampoline_kernelINS0_14default_configENS1_25partition_config_selectorILNS1_17partition_subalgoE9EllbEEZZNS1_14partition_implILS5_9ELb0ES3_jPlS8_PNS0_10empty_typeENS0_5tupleIJS8_S9_EEENSB_IJS8_SA_EEENS0_18inequality_wrapperIZN2at6native12_GLOBAL__N_124unique_dim_cuda_templateIaEESt5tupleIJNSF_6TensorESK_SK_EERKSK_lbbbEUlllE0_EEPmJS9_EEE10hipError_tPvRmT3_T4_T5_T6_T7_T9_mT8_P12ihipStream_tbDpT10_ENKUlT_T0_E_clISt17integral_constantIbLb0EES19_IbLb1EEEEDaS15_S16_EUlS15_E_NS1_11comp_targetILNS1_3genE9ELNS1_11target_archE1100ELNS1_3gpuE3ELNS1_3repE0EEENS1_30default_config_static_selectorELNS0_4arch9wavefront6targetE1EEEvT1_
    .private_segment_fixed_size: 0
    .sgpr_count:     4
    .sgpr_spill_count: 0
    .symbol:         _ZN7rocprim17ROCPRIM_400000_NS6detail17trampoline_kernelINS0_14default_configENS1_25partition_config_selectorILNS1_17partition_subalgoE9EllbEEZZNS1_14partition_implILS5_9ELb0ES3_jPlS8_PNS0_10empty_typeENS0_5tupleIJS8_S9_EEENSB_IJS8_SA_EEENS0_18inequality_wrapperIZN2at6native12_GLOBAL__N_124unique_dim_cuda_templateIaEESt5tupleIJNSF_6TensorESK_SK_EERKSK_lbbbEUlllE0_EEPmJS9_EEE10hipError_tPvRmT3_T4_T5_T6_T7_T9_mT8_P12ihipStream_tbDpT10_ENKUlT_T0_E_clISt17integral_constantIbLb0EES19_IbLb1EEEEDaS15_S16_EUlS15_E_NS1_11comp_targetILNS1_3genE9ELNS1_11target_archE1100ELNS1_3gpuE3ELNS1_3repE0EEENS1_30default_config_static_selectorELNS0_4arch9wavefront6targetE1EEEvT1_.kd
    .uniform_work_group_size: 1
    .uses_dynamic_stack: false
    .vgpr_count:     0
    .vgpr_spill_count: 0
    .wavefront_size: 64
  - .agpr_count:     0
    .args:
      - .offset:         0
        .size:           136
        .value_kind:     by_value
    .group_segment_fixed_size: 0
    .kernarg_segment_align: 8
    .kernarg_segment_size: 136
    .language:       OpenCL C
    .language_version:
      - 2
      - 0
    .max_flat_workgroup_size: 512
    .name:           _ZN7rocprim17ROCPRIM_400000_NS6detail17trampoline_kernelINS0_14default_configENS1_25partition_config_selectorILNS1_17partition_subalgoE9EllbEEZZNS1_14partition_implILS5_9ELb0ES3_jPlS8_PNS0_10empty_typeENS0_5tupleIJS8_S9_EEENSB_IJS8_SA_EEENS0_18inequality_wrapperIZN2at6native12_GLOBAL__N_124unique_dim_cuda_templateIaEESt5tupleIJNSF_6TensorESK_SK_EERKSK_lbbbEUlllE0_EEPmJS9_EEE10hipError_tPvRmT3_T4_T5_T6_T7_T9_mT8_P12ihipStream_tbDpT10_ENKUlT_T0_E_clISt17integral_constantIbLb0EES19_IbLb1EEEEDaS15_S16_EUlS15_E_NS1_11comp_targetILNS1_3genE8ELNS1_11target_archE1030ELNS1_3gpuE2ELNS1_3repE0EEENS1_30default_config_static_selectorELNS0_4arch9wavefront6targetE1EEEvT1_
    .private_segment_fixed_size: 0
    .sgpr_count:     4
    .sgpr_spill_count: 0
    .symbol:         _ZN7rocprim17ROCPRIM_400000_NS6detail17trampoline_kernelINS0_14default_configENS1_25partition_config_selectorILNS1_17partition_subalgoE9EllbEEZZNS1_14partition_implILS5_9ELb0ES3_jPlS8_PNS0_10empty_typeENS0_5tupleIJS8_S9_EEENSB_IJS8_SA_EEENS0_18inequality_wrapperIZN2at6native12_GLOBAL__N_124unique_dim_cuda_templateIaEESt5tupleIJNSF_6TensorESK_SK_EERKSK_lbbbEUlllE0_EEPmJS9_EEE10hipError_tPvRmT3_T4_T5_T6_T7_T9_mT8_P12ihipStream_tbDpT10_ENKUlT_T0_E_clISt17integral_constantIbLb0EES19_IbLb1EEEEDaS15_S16_EUlS15_E_NS1_11comp_targetILNS1_3genE8ELNS1_11target_archE1030ELNS1_3gpuE2ELNS1_3repE0EEENS1_30default_config_static_selectorELNS0_4arch9wavefront6targetE1EEEvT1_.kd
    .uniform_work_group_size: 1
    .uses_dynamic_stack: false
    .vgpr_count:     0
    .vgpr_spill_count: 0
    .wavefront_size: 64
  - .agpr_count:     0
    .args:
      - .offset:         0
        .size:           72
        .value_kind:     by_value
    .group_segment_fixed_size: 0
    .kernarg_segment_align: 8
    .kernarg_segment_size: 72
    .language:       OpenCL C
    .language_version:
      - 2
      - 0
    .max_flat_workgroup_size: 256
    .name:           _ZN7rocprim17ROCPRIM_400000_NS6detail17trampoline_kernelINS0_14default_configENS1_37merge_sort_block_sort_config_selectorIlNS0_10empty_typeEEEZNS1_21merge_sort_block_sortIS3_PlS8_PS5_S9_ZN2at6native12_GLOBAL__N_124unique_dim_cuda_templateIiEESt5tupleIJNSA_6TensorESF_SF_EERKSF_lbbbEUlllE_EE10hipError_tT0_T1_T2_T3_mRjT4_P12ihipStream_tbNS1_7vsmem_tEEUlT_E_NS1_11comp_targetILNS1_3genE0ELNS1_11target_archE4294967295ELNS1_3gpuE0ELNS1_3repE0EEENS1_30default_config_static_selectorELNS0_4arch9wavefront6targetE1EEEvSM_
    .private_segment_fixed_size: 0
    .sgpr_count:     4
    .sgpr_spill_count: 0
    .symbol:         _ZN7rocprim17ROCPRIM_400000_NS6detail17trampoline_kernelINS0_14default_configENS1_37merge_sort_block_sort_config_selectorIlNS0_10empty_typeEEEZNS1_21merge_sort_block_sortIS3_PlS8_PS5_S9_ZN2at6native12_GLOBAL__N_124unique_dim_cuda_templateIiEESt5tupleIJNSA_6TensorESF_SF_EERKSF_lbbbEUlllE_EE10hipError_tT0_T1_T2_T3_mRjT4_P12ihipStream_tbNS1_7vsmem_tEEUlT_E_NS1_11comp_targetILNS1_3genE0ELNS1_11target_archE4294967295ELNS1_3gpuE0ELNS1_3repE0EEENS1_30default_config_static_selectorELNS0_4arch9wavefront6targetE1EEEvSM_.kd
    .uniform_work_group_size: 1
    .uses_dynamic_stack: false
    .vgpr_count:     0
    .vgpr_spill_count: 0
    .wavefront_size: 64
  - .agpr_count:     0
    .args:
      - .offset:         0
        .size:           72
        .value_kind:     by_value
    .group_segment_fixed_size: 0
    .kernarg_segment_align: 8
    .kernarg_segment_size: 72
    .language:       OpenCL C
    .language_version:
      - 2
      - 0
    .max_flat_workgroup_size: 256
    .name:           _ZN7rocprim17ROCPRIM_400000_NS6detail17trampoline_kernelINS0_14default_configENS1_37merge_sort_block_sort_config_selectorIlNS0_10empty_typeEEEZNS1_21merge_sort_block_sortIS3_PlS8_PS5_S9_ZN2at6native12_GLOBAL__N_124unique_dim_cuda_templateIiEESt5tupleIJNSA_6TensorESF_SF_EERKSF_lbbbEUlllE_EE10hipError_tT0_T1_T2_T3_mRjT4_P12ihipStream_tbNS1_7vsmem_tEEUlT_E_NS1_11comp_targetILNS1_3genE5ELNS1_11target_archE942ELNS1_3gpuE9ELNS1_3repE0EEENS1_30default_config_static_selectorELNS0_4arch9wavefront6targetE1EEEvSM_
    .private_segment_fixed_size: 0
    .sgpr_count:     4
    .sgpr_spill_count: 0
    .symbol:         _ZN7rocprim17ROCPRIM_400000_NS6detail17trampoline_kernelINS0_14default_configENS1_37merge_sort_block_sort_config_selectorIlNS0_10empty_typeEEEZNS1_21merge_sort_block_sortIS3_PlS8_PS5_S9_ZN2at6native12_GLOBAL__N_124unique_dim_cuda_templateIiEESt5tupleIJNSA_6TensorESF_SF_EERKSF_lbbbEUlllE_EE10hipError_tT0_T1_T2_T3_mRjT4_P12ihipStream_tbNS1_7vsmem_tEEUlT_E_NS1_11comp_targetILNS1_3genE5ELNS1_11target_archE942ELNS1_3gpuE9ELNS1_3repE0EEENS1_30default_config_static_selectorELNS0_4arch9wavefront6targetE1EEEvSM_.kd
    .uniform_work_group_size: 1
    .uses_dynamic_stack: false
    .vgpr_count:     0
    .vgpr_spill_count: 0
    .wavefront_size: 64
  - .agpr_count:     0
    .args:
      - .offset:         0
        .size:           72
        .value_kind:     by_value
      - .offset:         72
        .size:           4
        .value_kind:     hidden_block_count_x
      - .offset:         76
        .size:           4
        .value_kind:     hidden_block_count_y
      - .offset:         80
        .size:           4
        .value_kind:     hidden_block_count_z
      - .offset:         84
        .size:           2
        .value_kind:     hidden_group_size_x
      - .offset:         86
        .size:           2
        .value_kind:     hidden_group_size_y
      - .offset:         88
        .size:           2
        .value_kind:     hidden_group_size_z
      - .offset:         90
        .size:           2
        .value_kind:     hidden_remainder_x
      - .offset:         92
        .size:           2
        .value_kind:     hidden_remainder_y
      - .offset:         94
        .size:           2
        .value_kind:     hidden_remainder_z
      - .offset:         112
        .size:           8
        .value_kind:     hidden_global_offset_x
      - .offset:         120
        .size:           8
        .value_kind:     hidden_global_offset_y
      - .offset:         128
        .size:           8
        .value_kind:     hidden_global_offset_z
      - .offset:         136
        .size:           2
        .value_kind:     hidden_grid_dims
    .group_segment_fixed_size: 8448
    .kernarg_segment_align: 8
    .kernarg_segment_size: 328
    .language:       OpenCL C
    .language_version:
      - 2
      - 0
    .max_flat_workgroup_size: 256
    .name:           _ZN7rocprim17ROCPRIM_400000_NS6detail17trampoline_kernelINS0_14default_configENS1_37merge_sort_block_sort_config_selectorIlNS0_10empty_typeEEEZNS1_21merge_sort_block_sortIS3_PlS8_PS5_S9_ZN2at6native12_GLOBAL__N_124unique_dim_cuda_templateIiEESt5tupleIJNSA_6TensorESF_SF_EERKSF_lbbbEUlllE_EE10hipError_tT0_T1_T2_T3_mRjT4_P12ihipStream_tbNS1_7vsmem_tEEUlT_E_NS1_11comp_targetILNS1_3genE4ELNS1_11target_archE910ELNS1_3gpuE8ELNS1_3repE0EEENS1_30default_config_static_selectorELNS0_4arch9wavefront6targetE1EEEvSM_
    .private_segment_fixed_size: 0
    .sgpr_count:     58
    .sgpr_spill_count: 0
    .symbol:         _ZN7rocprim17ROCPRIM_400000_NS6detail17trampoline_kernelINS0_14default_configENS1_37merge_sort_block_sort_config_selectorIlNS0_10empty_typeEEEZNS1_21merge_sort_block_sortIS3_PlS8_PS5_S9_ZN2at6native12_GLOBAL__N_124unique_dim_cuda_templateIiEESt5tupleIJNSA_6TensorESF_SF_EERKSF_lbbbEUlllE_EE10hipError_tT0_T1_T2_T3_mRjT4_P12ihipStream_tbNS1_7vsmem_tEEUlT_E_NS1_11comp_targetILNS1_3genE4ELNS1_11target_archE910ELNS1_3gpuE8ELNS1_3repE0EEENS1_30default_config_static_selectorELNS0_4arch9wavefront6targetE1EEEvSM_.kd
    .uniform_work_group_size: 1
    .uses_dynamic_stack: false
    .vgpr_count:     46
    .vgpr_spill_count: 0
    .wavefront_size: 64
  - .agpr_count:     0
    .args:
      - .offset:         0
        .size:           72
        .value_kind:     by_value
    .group_segment_fixed_size: 0
    .kernarg_segment_align: 8
    .kernarg_segment_size: 72
    .language:       OpenCL C
    .language_version:
      - 2
      - 0
    .max_flat_workgroup_size: 256
    .name:           _ZN7rocprim17ROCPRIM_400000_NS6detail17trampoline_kernelINS0_14default_configENS1_37merge_sort_block_sort_config_selectorIlNS0_10empty_typeEEEZNS1_21merge_sort_block_sortIS3_PlS8_PS5_S9_ZN2at6native12_GLOBAL__N_124unique_dim_cuda_templateIiEESt5tupleIJNSA_6TensorESF_SF_EERKSF_lbbbEUlllE_EE10hipError_tT0_T1_T2_T3_mRjT4_P12ihipStream_tbNS1_7vsmem_tEEUlT_E_NS1_11comp_targetILNS1_3genE3ELNS1_11target_archE908ELNS1_3gpuE7ELNS1_3repE0EEENS1_30default_config_static_selectorELNS0_4arch9wavefront6targetE1EEEvSM_
    .private_segment_fixed_size: 0
    .sgpr_count:     4
    .sgpr_spill_count: 0
    .symbol:         _ZN7rocprim17ROCPRIM_400000_NS6detail17trampoline_kernelINS0_14default_configENS1_37merge_sort_block_sort_config_selectorIlNS0_10empty_typeEEEZNS1_21merge_sort_block_sortIS3_PlS8_PS5_S9_ZN2at6native12_GLOBAL__N_124unique_dim_cuda_templateIiEESt5tupleIJNSA_6TensorESF_SF_EERKSF_lbbbEUlllE_EE10hipError_tT0_T1_T2_T3_mRjT4_P12ihipStream_tbNS1_7vsmem_tEEUlT_E_NS1_11comp_targetILNS1_3genE3ELNS1_11target_archE908ELNS1_3gpuE7ELNS1_3repE0EEENS1_30default_config_static_selectorELNS0_4arch9wavefront6targetE1EEEvSM_.kd
    .uniform_work_group_size: 1
    .uses_dynamic_stack: false
    .vgpr_count:     0
    .vgpr_spill_count: 0
    .wavefront_size: 64
  - .agpr_count:     0
    .args:
      - .offset:         0
        .size:           72
        .value_kind:     by_value
    .group_segment_fixed_size: 0
    .kernarg_segment_align: 8
    .kernarg_segment_size: 72
    .language:       OpenCL C
    .language_version:
      - 2
      - 0
    .max_flat_workgroup_size: 256
    .name:           _ZN7rocprim17ROCPRIM_400000_NS6detail17trampoline_kernelINS0_14default_configENS1_37merge_sort_block_sort_config_selectorIlNS0_10empty_typeEEEZNS1_21merge_sort_block_sortIS3_PlS8_PS5_S9_ZN2at6native12_GLOBAL__N_124unique_dim_cuda_templateIiEESt5tupleIJNSA_6TensorESF_SF_EERKSF_lbbbEUlllE_EE10hipError_tT0_T1_T2_T3_mRjT4_P12ihipStream_tbNS1_7vsmem_tEEUlT_E_NS1_11comp_targetILNS1_3genE2ELNS1_11target_archE906ELNS1_3gpuE6ELNS1_3repE0EEENS1_30default_config_static_selectorELNS0_4arch9wavefront6targetE1EEEvSM_
    .private_segment_fixed_size: 0
    .sgpr_count:     4
    .sgpr_spill_count: 0
    .symbol:         _ZN7rocprim17ROCPRIM_400000_NS6detail17trampoline_kernelINS0_14default_configENS1_37merge_sort_block_sort_config_selectorIlNS0_10empty_typeEEEZNS1_21merge_sort_block_sortIS3_PlS8_PS5_S9_ZN2at6native12_GLOBAL__N_124unique_dim_cuda_templateIiEESt5tupleIJNSA_6TensorESF_SF_EERKSF_lbbbEUlllE_EE10hipError_tT0_T1_T2_T3_mRjT4_P12ihipStream_tbNS1_7vsmem_tEEUlT_E_NS1_11comp_targetILNS1_3genE2ELNS1_11target_archE906ELNS1_3gpuE6ELNS1_3repE0EEENS1_30default_config_static_selectorELNS0_4arch9wavefront6targetE1EEEvSM_.kd
    .uniform_work_group_size: 1
    .uses_dynamic_stack: false
    .vgpr_count:     0
    .vgpr_spill_count: 0
    .wavefront_size: 64
  - .agpr_count:     0
    .args:
      - .offset:         0
        .size:           72
        .value_kind:     by_value
    .group_segment_fixed_size: 0
    .kernarg_segment_align: 8
    .kernarg_segment_size: 72
    .language:       OpenCL C
    .language_version:
      - 2
      - 0
    .max_flat_workgroup_size: 256
    .name:           _ZN7rocprim17ROCPRIM_400000_NS6detail17trampoline_kernelINS0_14default_configENS1_37merge_sort_block_sort_config_selectorIlNS0_10empty_typeEEEZNS1_21merge_sort_block_sortIS3_PlS8_PS5_S9_ZN2at6native12_GLOBAL__N_124unique_dim_cuda_templateIiEESt5tupleIJNSA_6TensorESF_SF_EERKSF_lbbbEUlllE_EE10hipError_tT0_T1_T2_T3_mRjT4_P12ihipStream_tbNS1_7vsmem_tEEUlT_E_NS1_11comp_targetILNS1_3genE10ELNS1_11target_archE1201ELNS1_3gpuE5ELNS1_3repE0EEENS1_30default_config_static_selectorELNS0_4arch9wavefront6targetE1EEEvSM_
    .private_segment_fixed_size: 0
    .sgpr_count:     4
    .sgpr_spill_count: 0
    .symbol:         _ZN7rocprim17ROCPRIM_400000_NS6detail17trampoline_kernelINS0_14default_configENS1_37merge_sort_block_sort_config_selectorIlNS0_10empty_typeEEEZNS1_21merge_sort_block_sortIS3_PlS8_PS5_S9_ZN2at6native12_GLOBAL__N_124unique_dim_cuda_templateIiEESt5tupleIJNSA_6TensorESF_SF_EERKSF_lbbbEUlllE_EE10hipError_tT0_T1_T2_T3_mRjT4_P12ihipStream_tbNS1_7vsmem_tEEUlT_E_NS1_11comp_targetILNS1_3genE10ELNS1_11target_archE1201ELNS1_3gpuE5ELNS1_3repE0EEENS1_30default_config_static_selectorELNS0_4arch9wavefront6targetE1EEEvSM_.kd
    .uniform_work_group_size: 1
    .uses_dynamic_stack: false
    .vgpr_count:     0
    .vgpr_spill_count: 0
    .wavefront_size: 64
  - .agpr_count:     0
    .args:
      - .offset:         0
        .size:           72
        .value_kind:     by_value
    .group_segment_fixed_size: 0
    .kernarg_segment_align: 8
    .kernarg_segment_size: 72
    .language:       OpenCL C
    .language_version:
      - 2
      - 0
    .max_flat_workgroup_size: 512
    .name:           _ZN7rocprim17ROCPRIM_400000_NS6detail17trampoline_kernelINS0_14default_configENS1_37merge_sort_block_sort_config_selectorIlNS0_10empty_typeEEEZNS1_21merge_sort_block_sortIS3_PlS8_PS5_S9_ZN2at6native12_GLOBAL__N_124unique_dim_cuda_templateIiEESt5tupleIJNSA_6TensorESF_SF_EERKSF_lbbbEUlllE_EE10hipError_tT0_T1_T2_T3_mRjT4_P12ihipStream_tbNS1_7vsmem_tEEUlT_E_NS1_11comp_targetILNS1_3genE10ELNS1_11target_archE1200ELNS1_3gpuE4ELNS1_3repE0EEENS1_30default_config_static_selectorELNS0_4arch9wavefront6targetE1EEEvSM_
    .private_segment_fixed_size: 0
    .sgpr_count:     4
    .sgpr_spill_count: 0
    .symbol:         _ZN7rocprim17ROCPRIM_400000_NS6detail17trampoline_kernelINS0_14default_configENS1_37merge_sort_block_sort_config_selectorIlNS0_10empty_typeEEEZNS1_21merge_sort_block_sortIS3_PlS8_PS5_S9_ZN2at6native12_GLOBAL__N_124unique_dim_cuda_templateIiEESt5tupleIJNSA_6TensorESF_SF_EERKSF_lbbbEUlllE_EE10hipError_tT0_T1_T2_T3_mRjT4_P12ihipStream_tbNS1_7vsmem_tEEUlT_E_NS1_11comp_targetILNS1_3genE10ELNS1_11target_archE1200ELNS1_3gpuE4ELNS1_3repE0EEENS1_30default_config_static_selectorELNS0_4arch9wavefront6targetE1EEEvSM_.kd
    .uniform_work_group_size: 1
    .uses_dynamic_stack: false
    .vgpr_count:     0
    .vgpr_spill_count: 0
    .wavefront_size: 64
  - .agpr_count:     0
    .args:
      - .offset:         0
        .size:           72
        .value_kind:     by_value
    .group_segment_fixed_size: 0
    .kernarg_segment_align: 8
    .kernarg_segment_size: 72
    .language:       OpenCL C
    .language_version:
      - 2
      - 0
    .max_flat_workgroup_size: 256
    .name:           _ZN7rocprim17ROCPRIM_400000_NS6detail17trampoline_kernelINS0_14default_configENS1_37merge_sort_block_sort_config_selectorIlNS0_10empty_typeEEEZNS1_21merge_sort_block_sortIS3_PlS8_PS5_S9_ZN2at6native12_GLOBAL__N_124unique_dim_cuda_templateIiEESt5tupleIJNSA_6TensorESF_SF_EERKSF_lbbbEUlllE_EE10hipError_tT0_T1_T2_T3_mRjT4_P12ihipStream_tbNS1_7vsmem_tEEUlT_E_NS1_11comp_targetILNS1_3genE9ELNS1_11target_archE1100ELNS1_3gpuE3ELNS1_3repE0EEENS1_30default_config_static_selectorELNS0_4arch9wavefront6targetE1EEEvSM_
    .private_segment_fixed_size: 0
    .sgpr_count:     4
    .sgpr_spill_count: 0
    .symbol:         _ZN7rocprim17ROCPRIM_400000_NS6detail17trampoline_kernelINS0_14default_configENS1_37merge_sort_block_sort_config_selectorIlNS0_10empty_typeEEEZNS1_21merge_sort_block_sortIS3_PlS8_PS5_S9_ZN2at6native12_GLOBAL__N_124unique_dim_cuda_templateIiEESt5tupleIJNSA_6TensorESF_SF_EERKSF_lbbbEUlllE_EE10hipError_tT0_T1_T2_T3_mRjT4_P12ihipStream_tbNS1_7vsmem_tEEUlT_E_NS1_11comp_targetILNS1_3genE9ELNS1_11target_archE1100ELNS1_3gpuE3ELNS1_3repE0EEENS1_30default_config_static_selectorELNS0_4arch9wavefront6targetE1EEEvSM_.kd
    .uniform_work_group_size: 1
    .uses_dynamic_stack: false
    .vgpr_count:     0
    .vgpr_spill_count: 0
    .wavefront_size: 64
  - .agpr_count:     0
    .args:
      - .offset:         0
        .size:           72
        .value_kind:     by_value
    .group_segment_fixed_size: 0
    .kernarg_segment_align: 8
    .kernarg_segment_size: 72
    .language:       OpenCL C
    .language_version:
      - 2
      - 0
    .max_flat_workgroup_size: 256
    .name:           _ZN7rocprim17ROCPRIM_400000_NS6detail17trampoline_kernelINS0_14default_configENS1_37merge_sort_block_sort_config_selectorIlNS0_10empty_typeEEEZNS1_21merge_sort_block_sortIS3_PlS8_PS5_S9_ZN2at6native12_GLOBAL__N_124unique_dim_cuda_templateIiEESt5tupleIJNSA_6TensorESF_SF_EERKSF_lbbbEUlllE_EE10hipError_tT0_T1_T2_T3_mRjT4_P12ihipStream_tbNS1_7vsmem_tEEUlT_E_NS1_11comp_targetILNS1_3genE8ELNS1_11target_archE1030ELNS1_3gpuE2ELNS1_3repE0EEENS1_30default_config_static_selectorELNS0_4arch9wavefront6targetE1EEEvSM_
    .private_segment_fixed_size: 0
    .sgpr_count:     4
    .sgpr_spill_count: 0
    .symbol:         _ZN7rocprim17ROCPRIM_400000_NS6detail17trampoline_kernelINS0_14default_configENS1_37merge_sort_block_sort_config_selectorIlNS0_10empty_typeEEEZNS1_21merge_sort_block_sortIS3_PlS8_PS5_S9_ZN2at6native12_GLOBAL__N_124unique_dim_cuda_templateIiEESt5tupleIJNSA_6TensorESF_SF_EERKSF_lbbbEUlllE_EE10hipError_tT0_T1_T2_T3_mRjT4_P12ihipStream_tbNS1_7vsmem_tEEUlT_E_NS1_11comp_targetILNS1_3genE8ELNS1_11target_archE1030ELNS1_3gpuE2ELNS1_3repE0EEENS1_30default_config_static_selectorELNS0_4arch9wavefront6targetE1EEEvSM_.kd
    .uniform_work_group_size: 1
    .uses_dynamic_stack: false
    .vgpr_count:     0
    .vgpr_spill_count: 0
    .wavefront_size: 64
  - .agpr_count:     0
    .args:
      - .offset:         0
        .size:           56
        .value_kind:     by_value
    .group_segment_fixed_size: 0
    .kernarg_segment_align: 8
    .kernarg_segment_size: 56
    .language:       OpenCL C
    .language_version:
      - 2
      - 0
    .max_flat_workgroup_size: 128
    .name:           _ZN7rocprim17ROCPRIM_400000_NS6detail17trampoline_kernelINS0_14default_configENS1_38merge_sort_block_merge_config_selectorIlNS0_10empty_typeEEEZZNS1_27merge_sort_block_merge_implIS3_PlPS5_mZN2at6native12_GLOBAL__N_124unique_dim_cuda_templateIiEESt5tupleIJNSA_6TensorESF_SF_EERKSF_lbbbEUlllE_EE10hipError_tT0_T1_T2_jT3_P12ihipStream_tbPNSt15iterator_traitsISL_E10value_typeEPNSR_ISM_E10value_typeEPSN_NS1_7vsmem_tEENKUlT_SL_SM_SN_E_clIS8_S8_S9_S9_EESK_S10_SL_SM_SN_EUlS10_E_NS1_11comp_targetILNS1_3genE0ELNS1_11target_archE4294967295ELNS1_3gpuE0ELNS1_3repE0EEENS1_48merge_mergepath_partition_config_static_selectorELNS0_4arch9wavefront6targetE1EEEvSM_
    .private_segment_fixed_size: 0
    .sgpr_count:     4
    .sgpr_spill_count: 0
    .symbol:         _ZN7rocprim17ROCPRIM_400000_NS6detail17trampoline_kernelINS0_14default_configENS1_38merge_sort_block_merge_config_selectorIlNS0_10empty_typeEEEZZNS1_27merge_sort_block_merge_implIS3_PlPS5_mZN2at6native12_GLOBAL__N_124unique_dim_cuda_templateIiEESt5tupleIJNSA_6TensorESF_SF_EERKSF_lbbbEUlllE_EE10hipError_tT0_T1_T2_jT3_P12ihipStream_tbPNSt15iterator_traitsISL_E10value_typeEPNSR_ISM_E10value_typeEPSN_NS1_7vsmem_tEENKUlT_SL_SM_SN_E_clIS8_S8_S9_S9_EESK_S10_SL_SM_SN_EUlS10_E_NS1_11comp_targetILNS1_3genE0ELNS1_11target_archE4294967295ELNS1_3gpuE0ELNS1_3repE0EEENS1_48merge_mergepath_partition_config_static_selectorELNS0_4arch9wavefront6targetE1EEEvSM_.kd
    .uniform_work_group_size: 1
    .uses_dynamic_stack: false
    .vgpr_count:     0
    .vgpr_spill_count: 0
    .wavefront_size: 64
  - .agpr_count:     0
    .args:
      - .offset:         0
        .size:           56
        .value_kind:     by_value
    .group_segment_fixed_size: 0
    .kernarg_segment_align: 8
    .kernarg_segment_size: 56
    .language:       OpenCL C
    .language_version:
      - 2
      - 0
    .max_flat_workgroup_size: 128
    .name:           _ZN7rocprim17ROCPRIM_400000_NS6detail17trampoline_kernelINS0_14default_configENS1_38merge_sort_block_merge_config_selectorIlNS0_10empty_typeEEEZZNS1_27merge_sort_block_merge_implIS3_PlPS5_mZN2at6native12_GLOBAL__N_124unique_dim_cuda_templateIiEESt5tupleIJNSA_6TensorESF_SF_EERKSF_lbbbEUlllE_EE10hipError_tT0_T1_T2_jT3_P12ihipStream_tbPNSt15iterator_traitsISL_E10value_typeEPNSR_ISM_E10value_typeEPSN_NS1_7vsmem_tEENKUlT_SL_SM_SN_E_clIS8_S8_S9_S9_EESK_S10_SL_SM_SN_EUlS10_E_NS1_11comp_targetILNS1_3genE10ELNS1_11target_archE1201ELNS1_3gpuE5ELNS1_3repE0EEENS1_48merge_mergepath_partition_config_static_selectorELNS0_4arch9wavefront6targetE1EEEvSM_
    .private_segment_fixed_size: 0
    .sgpr_count:     4
    .sgpr_spill_count: 0
    .symbol:         _ZN7rocprim17ROCPRIM_400000_NS6detail17trampoline_kernelINS0_14default_configENS1_38merge_sort_block_merge_config_selectorIlNS0_10empty_typeEEEZZNS1_27merge_sort_block_merge_implIS3_PlPS5_mZN2at6native12_GLOBAL__N_124unique_dim_cuda_templateIiEESt5tupleIJNSA_6TensorESF_SF_EERKSF_lbbbEUlllE_EE10hipError_tT0_T1_T2_jT3_P12ihipStream_tbPNSt15iterator_traitsISL_E10value_typeEPNSR_ISM_E10value_typeEPSN_NS1_7vsmem_tEENKUlT_SL_SM_SN_E_clIS8_S8_S9_S9_EESK_S10_SL_SM_SN_EUlS10_E_NS1_11comp_targetILNS1_3genE10ELNS1_11target_archE1201ELNS1_3gpuE5ELNS1_3repE0EEENS1_48merge_mergepath_partition_config_static_selectorELNS0_4arch9wavefront6targetE1EEEvSM_.kd
    .uniform_work_group_size: 1
    .uses_dynamic_stack: false
    .vgpr_count:     0
    .vgpr_spill_count: 0
    .wavefront_size: 64
  - .agpr_count:     0
    .args:
      - .offset:         0
        .size:           56
        .value_kind:     by_value
    .group_segment_fixed_size: 0
    .kernarg_segment_align: 8
    .kernarg_segment_size: 56
    .language:       OpenCL C
    .language_version:
      - 2
      - 0
    .max_flat_workgroup_size: 128
    .name:           _ZN7rocprim17ROCPRIM_400000_NS6detail17trampoline_kernelINS0_14default_configENS1_38merge_sort_block_merge_config_selectorIlNS0_10empty_typeEEEZZNS1_27merge_sort_block_merge_implIS3_PlPS5_mZN2at6native12_GLOBAL__N_124unique_dim_cuda_templateIiEESt5tupleIJNSA_6TensorESF_SF_EERKSF_lbbbEUlllE_EE10hipError_tT0_T1_T2_jT3_P12ihipStream_tbPNSt15iterator_traitsISL_E10value_typeEPNSR_ISM_E10value_typeEPSN_NS1_7vsmem_tEENKUlT_SL_SM_SN_E_clIS8_S8_S9_S9_EESK_S10_SL_SM_SN_EUlS10_E_NS1_11comp_targetILNS1_3genE5ELNS1_11target_archE942ELNS1_3gpuE9ELNS1_3repE0EEENS1_48merge_mergepath_partition_config_static_selectorELNS0_4arch9wavefront6targetE1EEEvSM_
    .private_segment_fixed_size: 0
    .sgpr_count:     4
    .sgpr_spill_count: 0
    .symbol:         _ZN7rocprim17ROCPRIM_400000_NS6detail17trampoline_kernelINS0_14default_configENS1_38merge_sort_block_merge_config_selectorIlNS0_10empty_typeEEEZZNS1_27merge_sort_block_merge_implIS3_PlPS5_mZN2at6native12_GLOBAL__N_124unique_dim_cuda_templateIiEESt5tupleIJNSA_6TensorESF_SF_EERKSF_lbbbEUlllE_EE10hipError_tT0_T1_T2_jT3_P12ihipStream_tbPNSt15iterator_traitsISL_E10value_typeEPNSR_ISM_E10value_typeEPSN_NS1_7vsmem_tEENKUlT_SL_SM_SN_E_clIS8_S8_S9_S9_EESK_S10_SL_SM_SN_EUlS10_E_NS1_11comp_targetILNS1_3genE5ELNS1_11target_archE942ELNS1_3gpuE9ELNS1_3repE0EEENS1_48merge_mergepath_partition_config_static_selectorELNS0_4arch9wavefront6targetE1EEEvSM_.kd
    .uniform_work_group_size: 1
    .uses_dynamic_stack: false
    .vgpr_count:     0
    .vgpr_spill_count: 0
    .wavefront_size: 64
  - .agpr_count:     0
    .args:
      - .offset:         0
        .size:           56
        .value_kind:     by_value
    .group_segment_fixed_size: 0
    .kernarg_segment_align: 8
    .kernarg_segment_size: 56
    .language:       OpenCL C
    .language_version:
      - 2
      - 0
    .max_flat_workgroup_size: 128
    .name:           _ZN7rocprim17ROCPRIM_400000_NS6detail17trampoline_kernelINS0_14default_configENS1_38merge_sort_block_merge_config_selectorIlNS0_10empty_typeEEEZZNS1_27merge_sort_block_merge_implIS3_PlPS5_mZN2at6native12_GLOBAL__N_124unique_dim_cuda_templateIiEESt5tupleIJNSA_6TensorESF_SF_EERKSF_lbbbEUlllE_EE10hipError_tT0_T1_T2_jT3_P12ihipStream_tbPNSt15iterator_traitsISL_E10value_typeEPNSR_ISM_E10value_typeEPSN_NS1_7vsmem_tEENKUlT_SL_SM_SN_E_clIS8_S8_S9_S9_EESK_S10_SL_SM_SN_EUlS10_E_NS1_11comp_targetILNS1_3genE4ELNS1_11target_archE910ELNS1_3gpuE8ELNS1_3repE0EEENS1_48merge_mergepath_partition_config_static_selectorELNS0_4arch9wavefront6targetE1EEEvSM_
    .private_segment_fixed_size: 0
    .sgpr_count:     40
    .sgpr_spill_count: 0
    .symbol:         _ZN7rocprim17ROCPRIM_400000_NS6detail17trampoline_kernelINS0_14default_configENS1_38merge_sort_block_merge_config_selectorIlNS0_10empty_typeEEEZZNS1_27merge_sort_block_merge_implIS3_PlPS5_mZN2at6native12_GLOBAL__N_124unique_dim_cuda_templateIiEESt5tupleIJNSA_6TensorESF_SF_EERKSF_lbbbEUlllE_EE10hipError_tT0_T1_T2_jT3_P12ihipStream_tbPNSt15iterator_traitsISL_E10value_typeEPNSR_ISM_E10value_typeEPSN_NS1_7vsmem_tEENKUlT_SL_SM_SN_E_clIS8_S8_S9_S9_EESK_S10_SL_SM_SN_EUlS10_E_NS1_11comp_targetILNS1_3genE4ELNS1_11target_archE910ELNS1_3gpuE8ELNS1_3repE0EEENS1_48merge_mergepath_partition_config_static_selectorELNS0_4arch9wavefront6targetE1EEEvSM_.kd
    .uniform_work_group_size: 1
    .uses_dynamic_stack: false
    .vgpr_count:     23
    .vgpr_spill_count: 0
    .wavefront_size: 64
  - .agpr_count:     0
    .args:
      - .offset:         0
        .size:           56
        .value_kind:     by_value
    .group_segment_fixed_size: 0
    .kernarg_segment_align: 8
    .kernarg_segment_size: 56
    .language:       OpenCL C
    .language_version:
      - 2
      - 0
    .max_flat_workgroup_size: 128
    .name:           _ZN7rocprim17ROCPRIM_400000_NS6detail17trampoline_kernelINS0_14default_configENS1_38merge_sort_block_merge_config_selectorIlNS0_10empty_typeEEEZZNS1_27merge_sort_block_merge_implIS3_PlPS5_mZN2at6native12_GLOBAL__N_124unique_dim_cuda_templateIiEESt5tupleIJNSA_6TensorESF_SF_EERKSF_lbbbEUlllE_EE10hipError_tT0_T1_T2_jT3_P12ihipStream_tbPNSt15iterator_traitsISL_E10value_typeEPNSR_ISM_E10value_typeEPSN_NS1_7vsmem_tEENKUlT_SL_SM_SN_E_clIS8_S8_S9_S9_EESK_S10_SL_SM_SN_EUlS10_E_NS1_11comp_targetILNS1_3genE3ELNS1_11target_archE908ELNS1_3gpuE7ELNS1_3repE0EEENS1_48merge_mergepath_partition_config_static_selectorELNS0_4arch9wavefront6targetE1EEEvSM_
    .private_segment_fixed_size: 0
    .sgpr_count:     4
    .sgpr_spill_count: 0
    .symbol:         _ZN7rocprim17ROCPRIM_400000_NS6detail17trampoline_kernelINS0_14default_configENS1_38merge_sort_block_merge_config_selectorIlNS0_10empty_typeEEEZZNS1_27merge_sort_block_merge_implIS3_PlPS5_mZN2at6native12_GLOBAL__N_124unique_dim_cuda_templateIiEESt5tupleIJNSA_6TensorESF_SF_EERKSF_lbbbEUlllE_EE10hipError_tT0_T1_T2_jT3_P12ihipStream_tbPNSt15iterator_traitsISL_E10value_typeEPNSR_ISM_E10value_typeEPSN_NS1_7vsmem_tEENKUlT_SL_SM_SN_E_clIS8_S8_S9_S9_EESK_S10_SL_SM_SN_EUlS10_E_NS1_11comp_targetILNS1_3genE3ELNS1_11target_archE908ELNS1_3gpuE7ELNS1_3repE0EEENS1_48merge_mergepath_partition_config_static_selectorELNS0_4arch9wavefront6targetE1EEEvSM_.kd
    .uniform_work_group_size: 1
    .uses_dynamic_stack: false
    .vgpr_count:     0
    .vgpr_spill_count: 0
    .wavefront_size: 64
  - .agpr_count:     0
    .args:
      - .offset:         0
        .size:           56
        .value_kind:     by_value
    .group_segment_fixed_size: 0
    .kernarg_segment_align: 8
    .kernarg_segment_size: 56
    .language:       OpenCL C
    .language_version:
      - 2
      - 0
    .max_flat_workgroup_size: 128
    .name:           _ZN7rocprim17ROCPRIM_400000_NS6detail17trampoline_kernelINS0_14default_configENS1_38merge_sort_block_merge_config_selectorIlNS0_10empty_typeEEEZZNS1_27merge_sort_block_merge_implIS3_PlPS5_mZN2at6native12_GLOBAL__N_124unique_dim_cuda_templateIiEESt5tupleIJNSA_6TensorESF_SF_EERKSF_lbbbEUlllE_EE10hipError_tT0_T1_T2_jT3_P12ihipStream_tbPNSt15iterator_traitsISL_E10value_typeEPNSR_ISM_E10value_typeEPSN_NS1_7vsmem_tEENKUlT_SL_SM_SN_E_clIS8_S8_S9_S9_EESK_S10_SL_SM_SN_EUlS10_E_NS1_11comp_targetILNS1_3genE2ELNS1_11target_archE906ELNS1_3gpuE6ELNS1_3repE0EEENS1_48merge_mergepath_partition_config_static_selectorELNS0_4arch9wavefront6targetE1EEEvSM_
    .private_segment_fixed_size: 0
    .sgpr_count:     4
    .sgpr_spill_count: 0
    .symbol:         _ZN7rocprim17ROCPRIM_400000_NS6detail17trampoline_kernelINS0_14default_configENS1_38merge_sort_block_merge_config_selectorIlNS0_10empty_typeEEEZZNS1_27merge_sort_block_merge_implIS3_PlPS5_mZN2at6native12_GLOBAL__N_124unique_dim_cuda_templateIiEESt5tupleIJNSA_6TensorESF_SF_EERKSF_lbbbEUlllE_EE10hipError_tT0_T1_T2_jT3_P12ihipStream_tbPNSt15iterator_traitsISL_E10value_typeEPNSR_ISM_E10value_typeEPSN_NS1_7vsmem_tEENKUlT_SL_SM_SN_E_clIS8_S8_S9_S9_EESK_S10_SL_SM_SN_EUlS10_E_NS1_11comp_targetILNS1_3genE2ELNS1_11target_archE906ELNS1_3gpuE6ELNS1_3repE0EEENS1_48merge_mergepath_partition_config_static_selectorELNS0_4arch9wavefront6targetE1EEEvSM_.kd
    .uniform_work_group_size: 1
    .uses_dynamic_stack: false
    .vgpr_count:     0
    .vgpr_spill_count: 0
    .wavefront_size: 64
  - .agpr_count:     0
    .args:
      - .offset:         0
        .size:           56
        .value_kind:     by_value
    .group_segment_fixed_size: 0
    .kernarg_segment_align: 8
    .kernarg_segment_size: 56
    .language:       OpenCL C
    .language_version:
      - 2
      - 0
    .max_flat_workgroup_size: 128
    .name:           _ZN7rocprim17ROCPRIM_400000_NS6detail17trampoline_kernelINS0_14default_configENS1_38merge_sort_block_merge_config_selectorIlNS0_10empty_typeEEEZZNS1_27merge_sort_block_merge_implIS3_PlPS5_mZN2at6native12_GLOBAL__N_124unique_dim_cuda_templateIiEESt5tupleIJNSA_6TensorESF_SF_EERKSF_lbbbEUlllE_EE10hipError_tT0_T1_T2_jT3_P12ihipStream_tbPNSt15iterator_traitsISL_E10value_typeEPNSR_ISM_E10value_typeEPSN_NS1_7vsmem_tEENKUlT_SL_SM_SN_E_clIS8_S8_S9_S9_EESK_S10_SL_SM_SN_EUlS10_E_NS1_11comp_targetILNS1_3genE9ELNS1_11target_archE1100ELNS1_3gpuE3ELNS1_3repE0EEENS1_48merge_mergepath_partition_config_static_selectorELNS0_4arch9wavefront6targetE1EEEvSM_
    .private_segment_fixed_size: 0
    .sgpr_count:     4
    .sgpr_spill_count: 0
    .symbol:         _ZN7rocprim17ROCPRIM_400000_NS6detail17trampoline_kernelINS0_14default_configENS1_38merge_sort_block_merge_config_selectorIlNS0_10empty_typeEEEZZNS1_27merge_sort_block_merge_implIS3_PlPS5_mZN2at6native12_GLOBAL__N_124unique_dim_cuda_templateIiEESt5tupleIJNSA_6TensorESF_SF_EERKSF_lbbbEUlllE_EE10hipError_tT0_T1_T2_jT3_P12ihipStream_tbPNSt15iterator_traitsISL_E10value_typeEPNSR_ISM_E10value_typeEPSN_NS1_7vsmem_tEENKUlT_SL_SM_SN_E_clIS8_S8_S9_S9_EESK_S10_SL_SM_SN_EUlS10_E_NS1_11comp_targetILNS1_3genE9ELNS1_11target_archE1100ELNS1_3gpuE3ELNS1_3repE0EEENS1_48merge_mergepath_partition_config_static_selectorELNS0_4arch9wavefront6targetE1EEEvSM_.kd
    .uniform_work_group_size: 1
    .uses_dynamic_stack: false
    .vgpr_count:     0
    .vgpr_spill_count: 0
    .wavefront_size: 64
  - .agpr_count:     0
    .args:
      - .offset:         0
        .size:           56
        .value_kind:     by_value
    .group_segment_fixed_size: 0
    .kernarg_segment_align: 8
    .kernarg_segment_size: 56
    .language:       OpenCL C
    .language_version:
      - 2
      - 0
    .max_flat_workgroup_size: 128
    .name:           _ZN7rocprim17ROCPRIM_400000_NS6detail17trampoline_kernelINS0_14default_configENS1_38merge_sort_block_merge_config_selectorIlNS0_10empty_typeEEEZZNS1_27merge_sort_block_merge_implIS3_PlPS5_mZN2at6native12_GLOBAL__N_124unique_dim_cuda_templateIiEESt5tupleIJNSA_6TensorESF_SF_EERKSF_lbbbEUlllE_EE10hipError_tT0_T1_T2_jT3_P12ihipStream_tbPNSt15iterator_traitsISL_E10value_typeEPNSR_ISM_E10value_typeEPSN_NS1_7vsmem_tEENKUlT_SL_SM_SN_E_clIS8_S8_S9_S9_EESK_S10_SL_SM_SN_EUlS10_E_NS1_11comp_targetILNS1_3genE8ELNS1_11target_archE1030ELNS1_3gpuE2ELNS1_3repE0EEENS1_48merge_mergepath_partition_config_static_selectorELNS0_4arch9wavefront6targetE1EEEvSM_
    .private_segment_fixed_size: 0
    .sgpr_count:     4
    .sgpr_spill_count: 0
    .symbol:         _ZN7rocprim17ROCPRIM_400000_NS6detail17trampoline_kernelINS0_14default_configENS1_38merge_sort_block_merge_config_selectorIlNS0_10empty_typeEEEZZNS1_27merge_sort_block_merge_implIS3_PlPS5_mZN2at6native12_GLOBAL__N_124unique_dim_cuda_templateIiEESt5tupleIJNSA_6TensorESF_SF_EERKSF_lbbbEUlllE_EE10hipError_tT0_T1_T2_jT3_P12ihipStream_tbPNSt15iterator_traitsISL_E10value_typeEPNSR_ISM_E10value_typeEPSN_NS1_7vsmem_tEENKUlT_SL_SM_SN_E_clIS8_S8_S9_S9_EESK_S10_SL_SM_SN_EUlS10_E_NS1_11comp_targetILNS1_3genE8ELNS1_11target_archE1030ELNS1_3gpuE2ELNS1_3repE0EEENS1_48merge_mergepath_partition_config_static_selectorELNS0_4arch9wavefront6targetE1EEEvSM_.kd
    .uniform_work_group_size: 1
    .uses_dynamic_stack: false
    .vgpr_count:     0
    .vgpr_spill_count: 0
    .wavefront_size: 64
  - .agpr_count:     0
    .args:
      - .offset:         0
        .size:           88
        .value_kind:     by_value
    .group_segment_fixed_size: 0
    .kernarg_segment_align: 8
    .kernarg_segment_size: 88
    .language:       OpenCL C
    .language_version:
      - 2
      - 0
    .max_flat_workgroup_size: 128
    .name:           _ZN7rocprim17ROCPRIM_400000_NS6detail17trampoline_kernelINS0_14default_configENS1_38merge_sort_block_merge_config_selectorIlNS0_10empty_typeEEEZZNS1_27merge_sort_block_merge_implIS3_PlPS5_mZN2at6native12_GLOBAL__N_124unique_dim_cuda_templateIiEESt5tupleIJNSA_6TensorESF_SF_EERKSF_lbbbEUlllE_EE10hipError_tT0_T1_T2_jT3_P12ihipStream_tbPNSt15iterator_traitsISL_E10value_typeEPNSR_ISM_E10value_typeEPSN_NS1_7vsmem_tEENKUlT_SL_SM_SN_E_clIS8_S8_S9_S9_EESK_S10_SL_SM_SN_EUlS10_E0_NS1_11comp_targetILNS1_3genE0ELNS1_11target_archE4294967295ELNS1_3gpuE0ELNS1_3repE0EEENS1_38merge_mergepath_config_static_selectorELNS0_4arch9wavefront6targetE1EEEvSM_
    .private_segment_fixed_size: 0
    .sgpr_count:     4
    .sgpr_spill_count: 0
    .symbol:         _ZN7rocprim17ROCPRIM_400000_NS6detail17trampoline_kernelINS0_14default_configENS1_38merge_sort_block_merge_config_selectorIlNS0_10empty_typeEEEZZNS1_27merge_sort_block_merge_implIS3_PlPS5_mZN2at6native12_GLOBAL__N_124unique_dim_cuda_templateIiEESt5tupleIJNSA_6TensorESF_SF_EERKSF_lbbbEUlllE_EE10hipError_tT0_T1_T2_jT3_P12ihipStream_tbPNSt15iterator_traitsISL_E10value_typeEPNSR_ISM_E10value_typeEPSN_NS1_7vsmem_tEENKUlT_SL_SM_SN_E_clIS8_S8_S9_S9_EESK_S10_SL_SM_SN_EUlS10_E0_NS1_11comp_targetILNS1_3genE0ELNS1_11target_archE4294967295ELNS1_3gpuE0ELNS1_3repE0EEENS1_38merge_mergepath_config_static_selectorELNS0_4arch9wavefront6targetE1EEEvSM_.kd
    .uniform_work_group_size: 1
    .uses_dynamic_stack: false
    .vgpr_count:     0
    .vgpr_spill_count: 0
    .wavefront_size: 64
  - .agpr_count:     0
    .args:
      - .offset:         0
        .size:           88
        .value_kind:     by_value
    .group_segment_fixed_size: 0
    .kernarg_segment_align: 8
    .kernarg_segment_size: 88
    .language:       OpenCL C
    .language_version:
      - 2
      - 0
    .max_flat_workgroup_size: 512
    .name:           _ZN7rocprim17ROCPRIM_400000_NS6detail17trampoline_kernelINS0_14default_configENS1_38merge_sort_block_merge_config_selectorIlNS0_10empty_typeEEEZZNS1_27merge_sort_block_merge_implIS3_PlPS5_mZN2at6native12_GLOBAL__N_124unique_dim_cuda_templateIiEESt5tupleIJNSA_6TensorESF_SF_EERKSF_lbbbEUlllE_EE10hipError_tT0_T1_T2_jT3_P12ihipStream_tbPNSt15iterator_traitsISL_E10value_typeEPNSR_ISM_E10value_typeEPSN_NS1_7vsmem_tEENKUlT_SL_SM_SN_E_clIS8_S8_S9_S9_EESK_S10_SL_SM_SN_EUlS10_E0_NS1_11comp_targetILNS1_3genE10ELNS1_11target_archE1201ELNS1_3gpuE5ELNS1_3repE0EEENS1_38merge_mergepath_config_static_selectorELNS0_4arch9wavefront6targetE1EEEvSM_
    .private_segment_fixed_size: 0
    .sgpr_count:     4
    .sgpr_spill_count: 0
    .symbol:         _ZN7rocprim17ROCPRIM_400000_NS6detail17trampoline_kernelINS0_14default_configENS1_38merge_sort_block_merge_config_selectorIlNS0_10empty_typeEEEZZNS1_27merge_sort_block_merge_implIS3_PlPS5_mZN2at6native12_GLOBAL__N_124unique_dim_cuda_templateIiEESt5tupleIJNSA_6TensorESF_SF_EERKSF_lbbbEUlllE_EE10hipError_tT0_T1_T2_jT3_P12ihipStream_tbPNSt15iterator_traitsISL_E10value_typeEPNSR_ISM_E10value_typeEPSN_NS1_7vsmem_tEENKUlT_SL_SM_SN_E_clIS8_S8_S9_S9_EESK_S10_SL_SM_SN_EUlS10_E0_NS1_11comp_targetILNS1_3genE10ELNS1_11target_archE1201ELNS1_3gpuE5ELNS1_3repE0EEENS1_38merge_mergepath_config_static_selectorELNS0_4arch9wavefront6targetE1EEEvSM_.kd
    .uniform_work_group_size: 1
    .uses_dynamic_stack: false
    .vgpr_count:     0
    .vgpr_spill_count: 0
    .wavefront_size: 64
  - .agpr_count:     0
    .args:
      - .offset:         0
        .size:           88
        .value_kind:     by_value
    .group_segment_fixed_size: 0
    .kernarg_segment_align: 8
    .kernarg_segment_size: 88
    .language:       OpenCL C
    .language_version:
      - 2
      - 0
    .max_flat_workgroup_size: 128
    .name:           _ZN7rocprim17ROCPRIM_400000_NS6detail17trampoline_kernelINS0_14default_configENS1_38merge_sort_block_merge_config_selectorIlNS0_10empty_typeEEEZZNS1_27merge_sort_block_merge_implIS3_PlPS5_mZN2at6native12_GLOBAL__N_124unique_dim_cuda_templateIiEESt5tupleIJNSA_6TensorESF_SF_EERKSF_lbbbEUlllE_EE10hipError_tT0_T1_T2_jT3_P12ihipStream_tbPNSt15iterator_traitsISL_E10value_typeEPNSR_ISM_E10value_typeEPSN_NS1_7vsmem_tEENKUlT_SL_SM_SN_E_clIS8_S8_S9_S9_EESK_S10_SL_SM_SN_EUlS10_E0_NS1_11comp_targetILNS1_3genE5ELNS1_11target_archE942ELNS1_3gpuE9ELNS1_3repE0EEENS1_38merge_mergepath_config_static_selectorELNS0_4arch9wavefront6targetE1EEEvSM_
    .private_segment_fixed_size: 0
    .sgpr_count:     4
    .sgpr_spill_count: 0
    .symbol:         _ZN7rocprim17ROCPRIM_400000_NS6detail17trampoline_kernelINS0_14default_configENS1_38merge_sort_block_merge_config_selectorIlNS0_10empty_typeEEEZZNS1_27merge_sort_block_merge_implIS3_PlPS5_mZN2at6native12_GLOBAL__N_124unique_dim_cuda_templateIiEESt5tupleIJNSA_6TensorESF_SF_EERKSF_lbbbEUlllE_EE10hipError_tT0_T1_T2_jT3_P12ihipStream_tbPNSt15iterator_traitsISL_E10value_typeEPNSR_ISM_E10value_typeEPSN_NS1_7vsmem_tEENKUlT_SL_SM_SN_E_clIS8_S8_S9_S9_EESK_S10_SL_SM_SN_EUlS10_E0_NS1_11comp_targetILNS1_3genE5ELNS1_11target_archE942ELNS1_3gpuE9ELNS1_3repE0EEENS1_38merge_mergepath_config_static_selectorELNS0_4arch9wavefront6targetE1EEEvSM_.kd
    .uniform_work_group_size: 1
    .uses_dynamic_stack: false
    .vgpr_count:     0
    .vgpr_spill_count: 0
    .wavefront_size: 64
  - .agpr_count:     0
    .args:
      - .offset:         0
        .size:           88
        .value_kind:     by_value
      - .offset:         88
        .size:           4
        .value_kind:     hidden_block_count_x
      - .offset:         92
        .size:           4
        .value_kind:     hidden_block_count_y
      - .offset:         96
        .size:           4
        .value_kind:     hidden_block_count_z
      - .offset:         100
        .size:           2
        .value_kind:     hidden_group_size_x
      - .offset:         102
        .size:           2
        .value_kind:     hidden_group_size_y
      - .offset:         104
        .size:           2
        .value_kind:     hidden_group_size_z
      - .offset:         106
        .size:           2
        .value_kind:     hidden_remainder_x
      - .offset:         108
        .size:           2
        .value_kind:     hidden_remainder_y
      - .offset:         110
        .size:           2
        .value_kind:     hidden_remainder_z
      - .offset:         128
        .size:           8
        .value_kind:     hidden_global_offset_x
      - .offset:         136
        .size:           8
        .value_kind:     hidden_global_offset_y
      - .offset:         144
        .size:           8
        .value_kind:     hidden_global_offset_z
      - .offset:         152
        .size:           2
        .value_kind:     hidden_grid_dims
    .group_segment_fixed_size: 8448
    .kernarg_segment_align: 8
    .kernarg_segment_size: 344
    .language:       OpenCL C
    .language_version:
      - 2
      - 0
    .max_flat_workgroup_size: 256
    .name:           _ZN7rocprim17ROCPRIM_400000_NS6detail17trampoline_kernelINS0_14default_configENS1_38merge_sort_block_merge_config_selectorIlNS0_10empty_typeEEEZZNS1_27merge_sort_block_merge_implIS3_PlPS5_mZN2at6native12_GLOBAL__N_124unique_dim_cuda_templateIiEESt5tupleIJNSA_6TensorESF_SF_EERKSF_lbbbEUlllE_EE10hipError_tT0_T1_T2_jT3_P12ihipStream_tbPNSt15iterator_traitsISL_E10value_typeEPNSR_ISM_E10value_typeEPSN_NS1_7vsmem_tEENKUlT_SL_SM_SN_E_clIS8_S8_S9_S9_EESK_S10_SL_SM_SN_EUlS10_E0_NS1_11comp_targetILNS1_3genE4ELNS1_11target_archE910ELNS1_3gpuE8ELNS1_3repE0EEENS1_38merge_mergepath_config_static_selectorELNS0_4arch9wavefront6targetE1EEEvSM_
    .private_segment_fixed_size: 0
    .sgpr_count:     50
    .sgpr_spill_count: 0
    .symbol:         _ZN7rocprim17ROCPRIM_400000_NS6detail17trampoline_kernelINS0_14default_configENS1_38merge_sort_block_merge_config_selectorIlNS0_10empty_typeEEEZZNS1_27merge_sort_block_merge_implIS3_PlPS5_mZN2at6native12_GLOBAL__N_124unique_dim_cuda_templateIiEESt5tupleIJNSA_6TensorESF_SF_EERKSF_lbbbEUlllE_EE10hipError_tT0_T1_T2_jT3_P12ihipStream_tbPNSt15iterator_traitsISL_E10value_typeEPNSR_ISM_E10value_typeEPSN_NS1_7vsmem_tEENKUlT_SL_SM_SN_E_clIS8_S8_S9_S9_EESK_S10_SL_SM_SN_EUlS10_E0_NS1_11comp_targetILNS1_3genE4ELNS1_11target_archE910ELNS1_3gpuE8ELNS1_3repE0EEENS1_38merge_mergepath_config_static_selectorELNS0_4arch9wavefront6targetE1EEEvSM_.kd
    .uniform_work_group_size: 1
    .uses_dynamic_stack: false
    .vgpr_count:     24
    .vgpr_spill_count: 0
    .wavefront_size: 64
  - .agpr_count:     0
    .args:
      - .offset:         0
        .size:           88
        .value_kind:     by_value
    .group_segment_fixed_size: 0
    .kernarg_segment_align: 8
    .kernarg_segment_size: 88
    .language:       OpenCL C
    .language_version:
      - 2
      - 0
    .max_flat_workgroup_size: 128
    .name:           _ZN7rocprim17ROCPRIM_400000_NS6detail17trampoline_kernelINS0_14default_configENS1_38merge_sort_block_merge_config_selectorIlNS0_10empty_typeEEEZZNS1_27merge_sort_block_merge_implIS3_PlPS5_mZN2at6native12_GLOBAL__N_124unique_dim_cuda_templateIiEESt5tupleIJNSA_6TensorESF_SF_EERKSF_lbbbEUlllE_EE10hipError_tT0_T1_T2_jT3_P12ihipStream_tbPNSt15iterator_traitsISL_E10value_typeEPNSR_ISM_E10value_typeEPSN_NS1_7vsmem_tEENKUlT_SL_SM_SN_E_clIS8_S8_S9_S9_EESK_S10_SL_SM_SN_EUlS10_E0_NS1_11comp_targetILNS1_3genE3ELNS1_11target_archE908ELNS1_3gpuE7ELNS1_3repE0EEENS1_38merge_mergepath_config_static_selectorELNS0_4arch9wavefront6targetE1EEEvSM_
    .private_segment_fixed_size: 0
    .sgpr_count:     4
    .sgpr_spill_count: 0
    .symbol:         _ZN7rocprim17ROCPRIM_400000_NS6detail17trampoline_kernelINS0_14default_configENS1_38merge_sort_block_merge_config_selectorIlNS0_10empty_typeEEEZZNS1_27merge_sort_block_merge_implIS3_PlPS5_mZN2at6native12_GLOBAL__N_124unique_dim_cuda_templateIiEESt5tupleIJNSA_6TensorESF_SF_EERKSF_lbbbEUlllE_EE10hipError_tT0_T1_T2_jT3_P12ihipStream_tbPNSt15iterator_traitsISL_E10value_typeEPNSR_ISM_E10value_typeEPSN_NS1_7vsmem_tEENKUlT_SL_SM_SN_E_clIS8_S8_S9_S9_EESK_S10_SL_SM_SN_EUlS10_E0_NS1_11comp_targetILNS1_3genE3ELNS1_11target_archE908ELNS1_3gpuE7ELNS1_3repE0EEENS1_38merge_mergepath_config_static_selectorELNS0_4arch9wavefront6targetE1EEEvSM_.kd
    .uniform_work_group_size: 1
    .uses_dynamic_stack: false
    .vgpr_count:     0
    .vgpr_spill_count: 0
    .wavefront_size: 64
  - .agpr_count:     0
    .args:
      - .offset:         0
        .size:           88
        .value_kind:     by_value
    .group_segment_fixed_size: 0
    .kernarg_segment_align: 8
    .kernarg_segment_size: 88
    .language:       OpenCL C
    .language_version:
      - 2
      - 0
    .max_flat_workgroup_size: 256
    .name:           _ZN7rocprim17ROCPRIM_400000_NS6detail17trampoline_kernelINS0_14default_configENS1_38merge_sort_block_merge_config_selectorIlNS0_10empty_typeEEEZZNS1_27merge_sort_block_merge_implIS3_PlPS5_mZN2at6native12_GLOBAL__N_124unique_dim_cuda_templateIiEESt5tupleIJNSA_6TensorESF_SF_EERKSF_lbbbEUlllE_EE10hipError_tT0_T1_T2_jT3_P12ihipStream_tbPNSt15iterator_traitsISL_E10value_typeEPNSR_ISM_E10value_typeEPSN_NS1_7vsmem_tEENKUlT_SL_SM_SN_E_clIS8_S8_S9_S9_EESK_S10_SL_SM_SN_EUlS10_E0_NS1_11comp_targetILNS1_3genE2ELNS1_11target_archE906ELNS1_3gpuE6ELNS1_3repE0EEENS1_38merge_mergepath_config_static_selectorELNS0_4arch9wavefront6targetE1EEEvSM_
    .private_segment_fixed_size: 0
    .sgpr_count:     4
    .sgpr_spill_count: 0
    .symbol:         _ZN7rocprim17ROCPRIM_400000_NS6detail17trampoline_kernelINS0_14default_configENS1_38merge_sort_block_merge_config_selectorIlNS0_10empty_typeEEEZZNS1_27merge_sort_block_merge_implIS3_PlPS5_mZN2at6native12_GLOBAL__N_124unique_dim_cuda_templateIiEESt5tupleIJNSA_6TensorESF_SF_EERKSF_lbbbEUlllE_EE10hipError_tT0_T1_T2_jT3_P12ihipStream_tbPNSt15iterator_traitsISL_E10value_typeEPNSR_ISM_E10value_typeEPSN_NS1_7vsmem_tEENKUlT_SL_SM_SN_E_clIS8_S8_S9_S9_EESK_S10_SL_SM_SN_EUlS10_E0_NS1_11comp_targetILNS1_3genE2ELNS1_11target_archE906ELNS1_3gpuE6ELNS1_3repE0EEENS1_38merge_mergepath_config_static_selectorELNS0_4arch9wavefront6targetE1EEEvSM_.kd
    .uniform_work_group_size: 1
    .uses_dynamic_stack: false
    .vgpr_count:     0
    .vgpr_spill_count: 0
    .wavefront_size: 64
  - .agpr_count:     0
    .args:
      - .offset:         0
        .size:           88
        .value_kind:     by_value
    .group_segment_fixed_size: 0
    .kernarg_segment_align: 8
    .kernarg_segment_size: 88
    .language:       OpenCL C
    .language_version:
      - 2
      - 0
    .max_flat_workgroup_size: 512
    .name:           _ZN7rocprim17ROCPRIM_400000_NS6detail17trampoline_kernelINS0_14default_configENS1_38merge_sort_block_merge_config_selectorIlNS0_10empty_typeEEEZZNS1_27merge_sort_block_merge_implIS3_PlPS5_mZN2at6native12_GLOBAL__N_124unique_dim_cuda_templateIiEESt5tupleIJNSA_6TensorESF_SF_EERKSF_lbbbEUlllE_EE10hipError_tT0_T1_T2_jT3_P12ihipStream_tbPNSt15iterator_traitsISL_E10value_typeEPNSR_ISM_E10value_typeEPSN_NS1_7vsmem_tEENKUlT_SL_SM_SN_E_clIS8_S8_S9_S9_EESK_S10_SL_SM_SN_EUlS10_E0_NS1_11comp_targetILNS1_3genE9ELNS1_11target_archE1100ELNS1_3gpuE3ELNS1_3repE0EEENS1_38merge_mergepath_config_static_selectorELNS0_4arch9wavefront6targetE1EEEvSM_
    .private_segment_fixed_size: 0
    .sgpr_count:     4
    .sgpr_spill_count: 0
    .symbol:         _ZN7rocprim17ROCPRIM_400000_NS6detail17trampoline_kernelINS0_14default_configENS1_38merge_sort_block_merge_config_selectorIlNS0_10empty_typeEEEZZNS1_27merge_sort_block_merge_implIS3_PlPS5_mZN2at6native12_GLOBAL__N_124unique_dim_cuda_templateIiEESt5tupleIJNSA_6TensorESF_SF_EERKSF_lbbbEUlllE_EE10hipError_tT0_T1_T2_jT3_P12ihipStream_tbPNSt15iterator_traitsISL_E10value_typeEPNSR_ISM_E10value_typeEPSN_NS1_7vsmem_tEENKUlT_SL_SM_SN_E_clIS8_S8_S9_S9_EESK_S10_SL_SM_SN_EUlS10_E0_NS1_11comp_targetILNS1_3genE9ELNS1_11target_archE1100ELNS1_3gpuE3ELNS1_3repE0EEENS1_38merge_mergepath_config_static_selectorELNS0_4arch9wavefront6targetE1EEEvSM_.kd
    .uniform_work_group_size: 1
    .uses_dynamic_stack: false
    .vgpr_count:     0
    .vgpr_spill_count: 0
    .wavefront_size: 64
  - .agpr_count:     0
    .args:
      - .offset:         0
        .size:           88
        .value_kind:     by_value
    .group_segment_fixed_size: 0
    .kernarg_segment_align: 8
    .kernarg_segment_size: 88
    .language:       OpenCL C
    .language_version:
      - 2
      - 0
    .max_flat_workgroup_size: 1024
    .name:           _ZN7rocprim17ROCPRIM_400000_NS6detail17trampoline_kernelINS0_14default_configENS1_38merge_sort_block_merge_config_selectorIlNS0_10empty_typeEEEZZNS1_27merge_sort_block_merge_implIS3_PlPS5_mZN2at6native12_GLOBAL__N_124unique_dim_cuda_templateIiEESt5tupleIJNSA_6TensorESF_SF_EERKSF_lbbbEUlllE_EE10hipError_tT0_T1_T2_jT3_P12ihipStream_tbPNSt15iterator_traitsISL_E10value_typeEPNSR_ISM_E10value_typeEPSN_NS1_7vsmem_tEENKUlT_SL_SM_SN_E_clIS8_S8_S9_S9_EESK_S10_SL_SM_SN_EUlS10_E0_NS1_11comp_targetILNS1_3genE8ELNS1_11target_archE1030ELNS1_3gpuE2ELNS1_3repE0EEENS1_38merge_mergepath_config_static_selectorELNS0_4arch9wavefront6targetE1EEEvSM_
    .private_segment_fixed_size: 0
    .sgpr_count:     4
    .sgpr_spill_count: 0
    .symbol:         _ZN7rocprim17ROCPRIM_400000_NS6detail17trampoline_kernelINS0_14default_configENS1_38merge_sort_block_merge_config_selectorIlNS0_10empty_typeEEEZZNS1_27merge_sort_block_merge_implIS3_PlPS5_mZN2at6native12_GLOBAL__N_124unique_dim_cuda_templateIiEESt5tupleIJNSA_6TensorESF_SF_EERKSF_lbbbEUlllE_EE10hipError_tT0_T1_T2_jT3_P12ihipStream_tbPNSt15iterator_traitsISL_E10value_typeEPNSR_ISM_E10value_typeEPSN_NS1_7vsmem_tEENKUlT_SL_SM_SN_E_clIS8_S8_S9_S9_EESK_S10_SL_SM_SN_EUlS10_E0_NS1_11comp_targetILNS1_3genE8ELNS1_11target_archE1030ELNS1_3gpuE2ELNS1_3repE0EEENS1_38merge_mergepath_config_static_selectorELNS0_4arch9wavefront6targetE1EEEvSM_.kd
    .uniform_work_group_size: 1
    .uses_dynamic_stack: false
    .vgpr_count:     0
    .vgpr_spill_count: 0
    .wavefront_size: 64
  - .agpr_count:     0
    .args:
      - .offset:         0
        .size:           64
        .value_kind:     by_value
    .group_segment_fixed_size: 0
    .kernarg_segment_align: 8
    .kernarg_segment_size: 64
    .language:       OpenCL C
    .language_version:
      - 2
      - 0
    .max_flat_workgroup_size: 256
    .name:           _ZN7rocprim17ROCPRIM_400000_NS6detail17trampoline_kernelINS0_14default_configENS1_38merge_sort_block_merge_config_selectorIlNS0_10empty_typeEEEZZNS1_27merge_sort_block_merge_implIS3_PlPS5_mZN2at6native12_GLOBAL__N_124unique_dim_cuda_templateIiEESt5tupleIJNSA_6TensorESF_SF_EERKSF_lbbbEUlllE_EE10hipError_tT0_T1_T2_jT3_P12ihipStream_tbPNSt15iterator_traitsISL_E10value_typeEPNSR_ISM_E10value_typeEPSN_NS1_7vsmem_tEENKUlT_SL_SM_SN_E_clIS8_S8_S9_S9_EESK_S10_SL_SM_SN_EUlS10_E1_NS1_11comp_targetILNS1_3genE0ELNS1_11target_archE4294967295ELNS1_3gpuE0ELNS1_3repE0EEENS1_36merge_oddeven_config_static_selectorELNS0_4arch9wavefront6targetE1EEEvSM_
    .private_segment_fixed_size: 0
    .sgpr_count:     4
    .sgpr_spill_count: 0
    .symbol:         _ZN7rocprim17ROCPRIM_400000_NS6detail17trampoline_kernelINS0_14default_configENS1_38merge_sort_block_merge_config_selectorIlNS0_10empty_typeEEEZZNS1_27merge_sort_block_merge_implIS3_PlPS5_mZN2at6native12_GLOBAL__N_124unique_dim_cuda_templateIiEESt5tupleIJNSA_6TensorESF_SF_EERKSF_lbbbEUlllE_EE10hipError_tT0_T1_T2_jT3_P12ihipStream_tbPNSt15iterator_traitsISL_E10value_typeEPNSR_ISM_E10value_typeEPSN_NS1_7vsmem_tEENKUlT_SL_SM_SN_E_clIS8_S8_S9_S9_EESK_S10_SL_SM_SN_EUlS10_E1_NS1_11comp_targetILNS1_3genE0ELNS1_11target_archE4294967295ELNS1_3gpuE0ELNS1_3repE0EEENS1_36merge_oddeven_config_static_selectorELNS0_4arch9wavefront6targetE1EEEvSM_.kd
    .uniform_work_group_size: 1
    .uses_dynamic_stack: false
    .vgpr_count:     0
    .vgpr_spill_count: 0
    .wavefront_size: 64
  - .agpr_count:     0
    .args:
      - .offset:         0
        .size:           64
        .value_kind:     by_value
    .group_segment_fixed_size: 0
    .kernarg_segment_align: 8
    .kernarg_segment_size: 64
    .language:       OpenCL C
    .language_version:
      - 2
      - 0
    .max_flat_workgroup_size: 256
    .name:           _ZN7rocprim17ROCPRIM_400000_NS6detail17trampoline_kernelINS0_14default_configENS1_38merge_sort_block_merge_config_selectorIlNS0_10empty_typeEEEZZNS1_27merge_sort_block_merge_implIS3_PlPS5_mZN2at6native12_GLOBAL__N_124unique_dim_cuda_templateIiEESt5tupleIJNSA_6TensorESF_SF_EERKSF_lbbbEUlllE_EE10hipError_tT0_T1_T2_jT3_P12ihipStream_tbPNSt15iterator_traitsISL_E10value_typeEPNSR_ISM_E10value_typeEPSN_NS1_7vsmem_tEENKUlT_SL_SM_SN_E_clIS8_S8_S9_S9_EESK_S10_SL_SM_SN_EUlS10_E1_NS1_11comp_targetILNS1_3genE10ELNS1_11target_archE1201ELNS1_3gpuE5ELNS1_3repE0EEENS1_36merge_oddeven_config_static_selectorELNS0_4arch9wavefront6targetE1EEEvSM_
    .private_segment_fixed_size: 0
    .sgpr_count:     4
    .sgpr_spill_count: 0
    .symbol:         _ZN7rocprim17ROCPRIM_400000_NS6detail17trampoline_kernelINS0_14default_configENS1_38merge_sort_block_merge_config_selectorIlNS0_10empty_typeEEEZZNS1_27merge_sort_block_merge_implIS3_PlPS5_mZN2at6native12_GLOBAL__N_124unique_dim_cuda_templateIiEESt5tupleIJNSA_6TensorESF_SF_EERKSF_lbbbEUlllE_EE10hipError_tT0_T1_T2_jT3_P12ihipStream_tbPNSt15iterator_traitsISL_E10value_typeEPNSR_ISM_E10value_typeEPSN_NS1_7vsmem_tEENKUlT_SL_SM_SN_E_clIS8_S8_S9_S9_EESK_S10_SL_SM_SN_EUlS10_E1_NS1_11comp_targetILNS1_3genE10ELNS1_11target_archE1201ELNS1_3gpuE5ELNS1_3repE0EEENS1_36merge_oddeven_config_static_selectorELNS0_4arch9wavefront6targetE1EEEvSM_.kd
    .uniform_work_group_size: 1
    .uses_dynamic_stack: false
    .vgpr_count:     0
    .vgpr_spill_count: 0
    .wavefront_size: 64
  - .agpr_count:     0
    .args:
      - .offset:         0
        .size:           64
        .value_kind:     by_value
    .group_segment_fixed_size: 0
    .kernarg_segment_align: 8
    .kernarg_segment_size: 64
    .language:       OpenCL C
    .language_version:
      - 2
      - 0
    .max_flat_workgroup_size: 256
    .name:           _ZN7rocprim17ROCPRIM_400000_NS6detail17trampoline_kernelINS0_14default_configENS1_38merge_sort_block_merge_config_selectorIlNS0_10empty_typeEEEZZNS1_27merge_sort_block_merge_implIS3_PlPS5_mZN2at6native12_GLOBAL__N_124unique_dim_cuda_templateIiEESt5tupleIJNSA_6TensorESF_SF_EERKSF_lbbbEUlllE_EE10hipError_tT0_T1_T2_jT3_P12ihipStream_tbPNSt15iterator_traitsISL_E10value_typeEPNSR_ISM_E10value_typeEPSN_NS1_7vsmem_tEENKUlT_SL_SM_SN_E_clIS8_S8_S9_S9_EESK_S10_SL_SM_SN_EUlS10_E1_NS1_11comp_targetILNS1_3genE5ELNS1_11target_archE942ELNS1_3gpuE9ELNS1_3repE0EEENS1_36merge_oddeven_config_static_selectorELNS0_4arch9wavefront6targetE1EEEvSM_
    .private_segment_fixed_size: 0
    .sgpr_count:     4
    .sgpr_spill_count: 0
    .symbol:         _ZN7rocprim17ROCPRIM_400000_NS6detail17trampoline_kernelINS0_14default_configENS1_38merge_sort_block_merge_config_selectorIlNS0_10empty_typeEEEZZNS1_27merge_sort_block_merge_implIS3_PlPS5_mZN2at6native12_GLOBAL__N_124unique_dim_cuda_templateIiEESt5tupleIJNSA_6TensorESF_SF_EERKSF_lbbbEUlllE_EE10hipError_tT0_T1_T2_jT3_P12ihipStream_tbPNSt15iterator_traitsISL_E10value_typeEPNSR_ISM_E10value_typeEPSN_NS1_7vsmem_tEENKUlT_SL_SM_SN_E_clIS8_S8_S9_S9_EESK_S10_SL_SM_SN_EUlS10_E1_NS1_11comp_targetILNS1_3genE5ELNS1_11target_archE942ELNS1_3gpuE9ELNS1_3repE0EEENS1_36merge_oddeven_config_static_selectorELNS0_4arch9wavefront6targetE1EEEvSM_.kd
    .uniform_work_group_size: 1
    .uses_dynamic_stack: false
    .vgpr_count:     0
    .vgpr_spill_count: 0
    .wavefront_size: 64
  - .agpr_count:     0
    .args:
      - .offset:         0
        .size:           64
        .value_kind:     by_value
    .group_segment_fixed_size: 0
    .kernarg_segment_align: 8
    .kernarg_segment_size: 64
    .language:       OpenCL C
    .language_version:
      - 2
      - 0
    .max_flat_workgroup_size: 256
    .name:           _ZN7rocprim17ROCPRIM_400000_NS6detail17trampoline_kernelINS0_14default_configENS1_38merge_sort_block_merge_config_selectorIlNS0_10empty_typeEEEZZNS1_27merge_sort_block_merge_implIS3_PlPS5_mZN2at6native12_GLOBAL__N_124unique_dim_cuda_templateIiEESt5tupleIJNSA_6TensorESF_SF_EERKSF_lbbbEUlllE_EE10hipError_tT0_T1_T2_jT3_P12ihipStream_tbPNSt15iterator_traitsISL_E10value_typeEPNSR_ISM_E10value_typeEPSN_NS1_7vsmem_tEENKUlT_SL_SM_SN_E_clIS8_S8_S9_S9_EESK_S10_SL_SM_SN_EUlS10_E1_NS1_11comp_targetILNS1_3genE4ELNS1_11target_archE910ELNS1_3gpuE8ELNS1_3repE0EEENS1_36merge_oddeven_config_static_selectorELNS0_4arch9wavefront6targetE1EEEvSM_
    .private_segment_fixed_size: 0
    .sgpr_count:     50
    .sgpr_spill_count: 0
    .symbol:         _ZN7rocprim17ROCPRIM_400000_NS6detail17trampoline_kernelINS0_14default_configENS1_38merge_sort_block_merge_config_selectorIlNS0_10empty_typeEEEZZNS1_27merge_sort_block_merge_implIS3_PlPS5_mZN2at6native12_GLOBAL__N_124unique_dim_cuda_templateIiEESt5tupleIJNSA_6TensorESF_SF_EERKSF_lbbbEUlllE_EE10hipError_tT0_T1_T2_jT3_P12ihipStream_tbPNSt15iterator_traitsISL_E10value_typeEPNSR_ISM_E10value_typeEPSN_NS1_7vsmem_tEENKUlT_SL_SM_SN_E_clIS8_S8_S9_S9_EESK_S10_SL_SM_SN_EUlS10_E1_NS1_11comp_targetILNS1_3genE4ELNS1_11target_archE910ELNS1_3gpuE8ELNS1_3repE0EEENS1_36merge_oddeven_config_static_selectorELNS0_4arch9wavefront6targetE1EEEvSM_.kd
    .uniform_work_group_size: 1
    .uses_dynamic_stack: false
    .vgpr_count:     18
    .vgpr_spill_count: 0
    .wavefront_size: 64
  - .agpr_count:     0
    .args:
      - .offset:         0
        .size:           64
        .value_kind:     by_value
    .group_segment_fixed_size: 0
    .kernarg_segment_align: 8
    .kernarg_segment_size: 64
    .language:       OpenCL C
    .language_version:
      - 2
      - 0
    .max_flat_workgroup_size: 256
    .name:           _ZN7rocprim17ROCPRIM_400000_NS6detail17trampoline_kernelINS0_14default_configENS1_38merge_sort_block_merge_config_selectorIlNS0_10empty_typeEEEZZNS1_27merge_sort_block_merge_implIS3_PlPS5_mZN2at6native12_GLOBAL__N_124unique_dim_cuda_templateIiEESt5tupleIJNSA_6TensorESF_SF_EERKSF_lbbbEUlllE_EE10hipError_tT0_T1_T2_jT3_P12ihipStream_tbPNSt15iterator_traitsISL_E10value_typeEPNSR_ISM_E10value_typeEPSN_NS1_7vsmem_tEENKUlT_SL_SM_SN_E_clIS8_S8_S9_S9_EESK_S10_SL_SM_SN_EUlS10_E1_NS1_11comp_targetILNS1_3genE3ELNS1_11target_archE908ELNS1_3gpuE7ELNS1_3repE0EEENS1_36merge_oddeven_config_static_selectorELNS0_4arch9wavefront6targetE1EEEvSM_
    .private_segment_fixed_size: 0
    .sgpr_count:     4
    .sgpr_spill_count: 0
    .symbol:         _ZN7rocprim17ROCPRIM_400000_NS6detail17trampoline_kernelINS0_14default_configENS1_38merge_sort_block_merge_config_selectorIlNS0_10empty_typeEEEZZNS1_27merge_sort_block_merge_implIS3_PlPS5_mZN2at6native12_GLOBAL__N_124unique_dim_cuda_templateIiEESt5tupleIJNSA_6TensorESF_SF_EERKSF_lbbbEUlllE_EE10hipError_tT0_T1_T2_jT3_P12ihipStream_tbPNSt15iterator_traitsISL_E10value_typeEPNSR_ISM_E10value_typeEPSN_NS1_7vsmem_tEENKUlT_SL_SM_SN_E_clIS8_S8_S9_S9_EESK_S10_SL_SM_SN_EUlS10_E1_NS1_11comp_targetILNS1_3genE3ELNS1_11target_archE908ELNS1_3gpuE7ELNS1_3repE0EEENS1_36merge_oddeven_config_static_selectorELNS0_4arch9wavefront6targetE1EEEvSM_.kd
    .uniform_work_group_size: 1
    .uses_dynamic_stack: false
    .vgpr_count:     0
    .vgpr_spill_count: 0
    .wavefront_size: 64
  - .agpr_count:     0
    .args:
      - .offset:         0
        .size:           64
        .value_kind:     by_value
    .group_segment_fixed_size: 0
    .kernarg_segment_align: 8
    .kernarg_segment_size: 64
    .language:       OpenCL C
    .language_version:
      - 2
      - 0
    .max_flat_workgroup_size: 256
    .name:           _ZN7rocprim17ROCPRIM_400000_NS6detail17trampoline_kernelINS0_14default_configENS1_38merge_sort_block_merge_config_selectorIlNS0_10empty_typeEEEZZNS1_27merge_sort_block_merge_implIS3_PlPS5_mZN2at6native12_GLOBAL__N_124unique_dim_cuda_templateIiEESt5tupleIJNSA_6TensorESF_SF_EERKSF_lbbbEUlllE_EE10hipError_tT0_T1_T2_jT3_P12ihipStream_tbPNSt15iterator_traitsISL_E10value_typeEPNSR_ISM_E10value_typeEPSN_NS1_7vsmem_tEENKUlT_SL_SM_SN_E_clIS8_S8_S9_S9_EESK_S10_SL_SM_SN_EUlS10_E1_NS1_11comp_targetILNS1_3genE2ELNS1_11target_archE906ELNS1_3gpuE6ELNS1_3repE0EEENS1_36merge_oddeven_config_static_selectorELNS0_4arch9wavefront6targetE1EEEvSM_
    .private_segment_fixed_size: 0
    .sgpr_count:     4
    .sgpr_spill_count: 0
    .symbol:         _ZN7rocprim17ROCPRIM_400000_NS6detail17trampoline_kernelINS0_14default_configENS1_38merge_sort_block_merge_config_selectorIlNS0_10empty_typeEEEZZNS1_27merge_sort_block_merge_implIS3_PlPS5_mZN2at6native12_GLOBAL__N_124unique_dim_cuda_templateIiEESt5tupleIJNSA_6TensorESF_SF_EERKSF_lbbbEUlllE_EE10hipError_tT0_T1_T2_jT3_P12ihipStream_tbPNSt15iterator_traitsISL_E10value_typeEPNSR_ISM_E10value_typeEPSN_NS1_7vsmem_tEENKUlT_SL_SM_SN_E_clIS8_S8_S9_S9_EESK_S10_SL_SM_SN_EUlS10_E1_NS1_11comp_targetILNS1_3genE2ELNS1_11target_archE906ELNS1_3gpuE6ELNS1_3repE0EEENS1_36merge_oddeven_config_static_selectorELNS0_4arch9wavefront6targetE1EEEvSM_.kd
    .uniform_work_group_size: 1
    .uses_dynamic_stack: false
    .vgpr_count:     0
    .vgpr_spill_count: 0
    .wavefront_size: 64
  - .agpr_count:     0
    .args:
      - .offset:         0
        .size:           64
        .value_kind:     by_value
    .group_segment_fixed_size: 0
    .kernarg_segment_align: 8
    .kernarg_segment_size: 64
    .language:       OpenCL C
    .language_version:
      - 2
      - 0
    .max_flat_workgroup_size: 256
    .name:           _ZN7rocprim17ROCPRIM_400000_NS6detail17trampoline_kernelINS0_14default_configENS1_38merge_sort_block_merge_config_selectorIlNS0_10empty_typeEEEZZNS1_27merge_sort_block_merge_implIS3_PlPS5_mZN2at6native12_GLOBAL__N_124unique_dim_cuda_templateIiEESt5tupleIJNSA_6TensorESF_SF_EERKSF_lbbbEUlllE_EE10hipError_tT0_T1_T2_jT3_P12ihipStream_tbPNSt15iterator_traitsISL_E10value_typeEPNSR_ISM_E10value_typeEPSN_NS1_7vsmem_tEENKUlT_SL_SM_SN_E_clIS8_S8_S9_S9_EESK_S10_SL_SM_SN_EUlS10_E1_NS1_11comp_targetILNS1_3genE9ELNS1_11target_archE1100ELNS1_3gpuE3ELNS1_3repE0EEENS1_36merge_oddeven_config_static_selectorELNS0_4arch9wavefront6targetE1EEEvSM_
    .private_segment_fixed_size: 0
    .sgpr_count:     4
    .sgpr_spill_count: 0
    .symbol:         _ZN7rocprim17ROCPRIM_400000_NS6detail17trampoline_kernelINS0_14default_configENS1_38merge_sort_block_merge_config_selectorIlNS0_10empty_typeEEEZZNS1_27merge_sort_block_merge_implIS3_PlPS5_mZN2at6native12_GLOBAL__N_124unique_dim_cuda_templateIiEESt5tupleIJNSA_6TensorESF_SF_EERKSF_lbbbEUlllE_EE10hipError_tT0_T1_T2_jT3_P12ihipStream_tbPNSt15iterator_traitsISL_E10value_typeEPNSR_ISM_E10value_typeEPSN_NS1_7vsmem_tEENKUlT_SL_SM_SN_E_clIS8_S8_S9_S9_EESK_S10_SL_SM_SN_EUlS10_E1_NS1_11comp_targetILNS1_3genE9ELNS1_11target_archE1100ELNS1_3gpuE3ELNS1_3repE0EEENS1_36merge_oddeven_config_static_selectorELNS0_4arch9wavefront6targetE1EEEvSM_.kd
    .uniform_work_group_size: 1
    .uses_dynamic_stack: false
    .vgpr_count:     0
    .vgpr_spill_count: 0
    .wavefront_size: 64
  - .agpr_count:     0
    .args:
      - .offset:         0
        .size:           64
        .value_kind:     by_value
    .group_segment_fixed_size: 0
    .kernarg_segment_align: 8
    .kernarg_segment_size: 64
    .language:       OpenCL C
    .language_version:
      - 2
      - 0
    .max_flat_workgroup_size: 256
    .name:           _ZN7rocprim17ROCPRIM_400000_NS6detail17trampoline_kernelINS0_14default_configENS1_38merge_sort_block_merge_config_selectorIlNS0_10empty_typeEEEZZNS1_27merge_sort_block_merge_implIS3_PlPS5_mZN2at6native12_GLOBAL__N_124unique_dim_cuda_templateIiEESt5tupleIJNSA_6TensorESF_SF_EERKSF_lbbbEUlllE_EE10hipError_tT0_T1_T2_jT3_P12ihipStream_tbPNSt15iterator_traitsISL_E10value_typeEPNSR_ISM_E10value_typeEPSN_NS1_7vsmem_tEENKUlT_SL_SM_SN_E_clIS8_S8_S9_S9_EESK_S10_SL_SM_SN_EUlS10_E1_NS1_11comp_targetILNS1_3genE8ELNS1_11target_archE1030ELNS1_3gpuE2ELNS1_3repE0EEENS1_36merge_oddeven_config_static_selectorELNS0_4arch9wavefront6targetE1EEEvSM_
    .private_segment_fixed_size: 0
    .sgpr_count:     4
    .sgpr_spill_count: 0
    .symbol:         _ZN7rocprim17ROCPRIM_400000_NS6detail17trampoline_kernelINS0_14default_configENS1_38merge_sort_block_merge_config_selectorIlNS0_10empty_typeEEEZZNS1_27merge_sort_block_merge_implIS3_PlPS5_mZN2at6native12_GLOBAL__N_124unique_dim_cuda_templateIiEESt5tupleIJNSA_6TensorESF_SF_EERKSF_lbbbEUlllE_EE10hipError_tT0_T1_T2_jT3_P12ihipStream_tbPNSt15iterator_traitsISL_E10value_typeEPNSR_ISM_E10value_typeEPSN_NS1_7vsmem_tEENKUlT_SL_SM_SN_E_clIS8_S8_S9_S9_EESK_S10_SL_SM_SN_EUlS10_E1_NS1_11comp_targetILNS1_3genE8ELNS1_11target_archE1030ELNS1_3gpuE2ELNS1_3repE0EEENS1_36merge_oddeven_config_static_selectorELNS0_4arch9wavefront6targetE1EEEvSM_.kd
    .uniform_work_group_size: 1
    .uses_dynamic_stack: false
    .vgpr_count:     0
    .vgpr_spill_count: 0
    .wavefront_size: 64
  - .agpr_count:     0
    .args:
      - .offset:         0
        .size:           64
        .value_kind:     by_value
    .group_segment_fixed_size: 0
    .kernarg_segment_align: 8
    .kernarg_segment_size: 64
    .language:       OpenCL C
    .language_version:
      - 2
      - 0
    .max_flat_workgroup_size: 128
    .name:           _ZN7rocprim17ROCPRIM_400000_NS6detail17trampoline_kernelINS0_14default_configENS1_35adjacent_difference_config_selectorILb0ElEEZNS1_24adjacent_difference_implIS3_Lb0ELb0EPlS7_ZN2at6native12_GLOBAL__N_124unique_dim_cuda_templateIiEESt5tupleIJNS8_6TensorESD_SD_EERKSD_lbbbEUlllE1_EE10hipError_tPvRmT2_T3_mT4_P12ihipStream_tbEUlT_E_NS1_11comp_targetILNS1_3genE0ELNS1_11target_archE4294967295ELNS1_3gpuE0ELNS1_3repE0EEENS1_30default_config_static_selectorELNS0_4arch9wavefront6targetE1EEEvT1_
    .private_segment_fixed_size: 0
    .sgpr_count:     4
    .sgpr_spill_count: 0
    .symbol:         _ZN7rocprim17ROCPRIM_400000_NS6detail17trampoline_kernelINS0_14default_configENS1_35adjacent_difference_config_selectorILb0ElEEZNS1_24adjacent_difference_implIS3_Lb0ELb0EPlS7_ZN2at6native12_GLOBAL__N_124unique_dim_cuda_templateIiEESt5tupleIJNS8_6TensorESD_SD_EERKSD_lbbbEUlllE1_EE10hipError_tPvRmT2_T3_mT4_P12ihipStream_tbEUlT_E_NS1_11comp_targetILNS1_3genE0ELNS1_11target_archE4294967295ELNS1_3gpuE0ELNS1_3repE0EEENS1_30default_config_static_selectorELNS0_4arch9wavefront6targetE1EEEvT1_.kd
    .uniform_work_group_size: 1
    .uses_dynamic_stack: false
    .vgpr_count:     0
    .vgpr_spill_count: 0
    .wavefront_size: 64
  - .agpr_count:     0
    .args:
      - .offset:         0
        .size:           64
        .value_kind:     by_value
    .group_segment_fixed_size: 0
    .kernarg_segment_align: 8
    .kernarg_segment_size: 64
    .language:       OpenCL C
    .language_version:
      - 2
      - 0
    .max_flat_workgroup_size: 128
    .name:           _ZN7rocprim17ROCPRIM_400000_NS6detail17trampoline_kernelINS0_14default_configENS1_35adjacent_difference_config_selectorILb0ElEEZNS1_24adjacent_difference_implIS3_Lb0ELb0EPlS7_ZN2at6native12_GLOBAL__N_124unique_dim_cuda_templateIiEESt5tupleIJNS8_6TensorESD_SD_EERKSD_lbbbEUlllE1_EE10hipError_tPvRmT2_T3_mT4_P12ihipStream_tbEUlT_E_NS1_11comp_targetILNS1_3genE10ELNS1_11target_archE1201ELNS1_3gpuE5ELNS1_3repE0EEENS1_30default_config_static_selectorELNS0_4arch9wavefront6targetE1EEEvT1_
    .private_segment_fixed_size: 0
    .sgpr_count:     4
    .sgpr_spill_count: 0
    .symbol:         _ZN7rocprim17ROCPRIM_400000_NS6detail17trampoline_kernelINS0_14default_configENS1_35adjacent_difference_config_selectorILb0ElEEZNS1_24adjacent_difference_implIS3_Lb0ELb0EPlS7_ZN2at6native12_GLOBAL__N_124unique_dim_cuda_templateIiEESt5tupleIJNS8_6TensorESD_SD_EERKSD_lbbbEUlllE1_EE10hipError_tPvRmT2_T3_mT4_P12ihipStream_tbEUlT_E_NS1_11comp_targetILNS1_3genE10ELNS1_11target_archE1201ELNS1_3gpuE5ELNS1_3repE0EEENS1_30default_config_static_selectorELNS0_4arch9wavefront6targetE1EEEvT1_.kd
    .uniform_work_group_size: 1
    .uses_dynamic_stack: false
    .vgpr_count:     0
    .vgpr_spill_count: 0
    .wavefront_size: 64
  - .agpr_count:     0
    .args:
      - .offset:         0
        .size:           64
        .value_kind:     by_value
    .group_segment_fixed_size: 0
    .kernarg_segment_align: 8
    .kernarg_segment_size: 64
    .language:       OpenCL C
    .language_version:
      - 2
      - 0
    .max_flat_workgroup_size: 64
    .name:           _ZN7rocprim17ROCPRIM_400000_NS6detail17trampoline_kernelINS0_14default_configENS1_35adjacent_difference_config_selectorILb0ElEEZNS1_24adjacent_difference_implIS3_Lb0ELb0EPlS7_ZN2at6native12_GLOBAL__N_124unique_dim_cuda_templateIiEESt5tupleIJNS8_6TensorESD_SD_EERKSD_lbbbEUlllE1_EE10hipError_tPvRmT2_T3_mT4_P12ihipStream_tbEUlT_E_NS1_11comp_targetILNS1_3genE5ELNS1_11target_archE942ELNS1_3gpuE9ELNS1_3repE0EEENS1_30default_config_static_selectorELNS0_4arch9wavefront6targetE1EEEvT1_
    .private_segment_fixed_size: 0
    .sgpr_count:     4
    .sgpr_spill_count: 0
    .symbol:         _ZN7rocprim17ROCPRIM_400000_NS6detail17trampoline_kernelINS0_14default_configENS1_35adjacent_difference_config_selectorILb0ElEEZNS1_24adjacent_difference_implIS3_Lb0ELb0EPlS7_ZN2at6native12_GLOBAL__N_124unique_dim_cuda_templateIiEESt5tupleIJNS8_6TensorESD_SD_EERKSD_lbbbEUlllE1_EE10hipError_tPvRmT2_T3_mT4_P12ihipStream_tbEUlT_E_NS1_11comp_targetILNS1_3genE5ELNS1_11target_archE942ELNS1_3gpuE9ELNS1_3repE0EEENS1_30default_config_static_selectorELNS0_4arch9wavefront6targetE1EEEvT1_.kd
    .uniform_work_group_size: 1
    .uses_dynamic_stack: false
    .vgpr_count:     0
    .vgpr_spill_count: 0
    .wavefront_size: 64
  - .agpr_count:     0
    .args:
      - .offset:         0
        .size:           64
        .value_kind:     by_value
    .group_segment_fixed_size: 4224
    .kernarg_segment_align: 8
    .kernarg_segment_size: 64
    .language:       OpenCL C
    .language_version:
      - 2
      - 0
    .max_flat_workgroup_size: 256
    .name:           _ZN7rocprim17ROCPRIM_400000_NS6detail17trampoline_kernelINS0_14default_configENS1_35adjacent_difference_config_selectorILb0ElEEZNS1_24adjacent_difference_implIS3_Lb0ELb0EPlS7_ZN2at6native12_GLOBAL__N_124unique_dim_cuda_templateIiEESt5tupleIJNS8_6TensorESD_SD_EERKSD_lbbbEUlllE1_EE10hipError_tPvRmT2_T3_mT4_P12ihipStream_tbEUlT_E_NS1_11comp_targetILNS1_3genE4ELNS1_11target_archE910ELNS1_3gpuE8ELNS1_3repE0EEENS1_30default_config_static_selectorELNS0_4arch9wavefront6targetE1EEEvT1_
    .private_segment_fixed_size: 0
    .sgpr_count:     42
    .sgpr_spill_count: 0
    .symbol:         _ZN7rocprim17ROCPRIM_400000_NS6detail17trampoline_kernelINS0_14default_configENS1_35adjacent_difference_config_selectorILb0ElEEZNS1_24adjacent_difference_implIS3_Lb0ELb0EPlS7_ZN2at6native12_GLOBAL__N_124unique_dim_cuda_templateIiEESt5tupleIJNS8_6TensorESD_SD_EERKSD_lbbbEUlllE1_EE10hipError_tPvRmT2_T3_mT4_P12ihipStream_tbEUlT_E_NS1_11comp_targetILNS1_3genE4ELNS1_11target_archE910ELNS1_3gpuE8ELNS1_3repE0EEENS1_30default_config_static_selectorELNS0_4arch9wavefront6targetE1EEEvT1_.kd
    .uniform_work_group_size: 1
    .uses_dynamic_stack: false
    .vgpr_count:     17
    .vgpr_spill_count: 0
    .wavefront_size: 64
  - .agpr_count:     0
    .args:
      - .offset:         0
        .size:           64
        .value_kind:     by_value
    .group_segment_fixed_size: 0
    .kernarg_segment_align: 8
    .kernarg_segment_size: 64
    .language:       OpenCL C
    .language_version:
      - 2
      - 0
    .max_flat_workgroup_size: 128
    .name:           _ZN7rocprim17ROCPRIM_400000_NS6detail17trampoline_kernelINS0_14default_configENS1_35adjacent_difference_config_selectorILb0ElEEZNS1_24adjacent_difference_implIS3_Lb0ELb0EPlS7_ZN2at6native12_GLOBAL__N_124unique_dim_cuda_templateIiEESt5tupleIJNS8_6TensorESD_SD_EERKSD_lbbbEUlllE1_EE10hipError_tPvRmT2_T3_mT4_P12ihipStream_tbEUlT_E_NS1_11comp_targetILNS1_3genE3ELNS1_11target_archE908ELNS1_3gpuE7ELNS1_3repE0EEENS1_30default_config_static_selectorELNS0_4arch9wavefront6targetE1EEEvT1_
    .private_segment_fixed_size: 0
    .sgpr_count:     4
    .sgpr_spill_count: 0
    .symbol:         _ZN7rocprim17ROCPRIM_400000_NS6detail17trampoline_kernelINS0_14default_configENS1_35adjacent_difference_config_selectorILb0ElEEZNS1_24adjacent_difference_implIS3_Lb0ELb0EPlS7_ZN2at6native12_GLOBAL__N_124unique_dim_cuda_templateIiEESt5tupleIJNS8_6TensorESD_SD_EERKSD_lbbbEUlllE1_EE10hipError_tPvRmT2_T3_mT4_P12ihipStream_tbEUlT_E_NS1_11comp_targetILNS1_3genE3ELNS1_11target_archE908ELNS1_3gpuE7ELNS1_3repE0EEENS1_30default_config_static_selectorELNS0_4arch9wavefront6targetE1EEEvT1_.kd
    .uniform_work_group_size: 1
    .uses_dynamic_stack: false
    .vgpr_count:     0
    .vgpr_spill_count: 0
    .wavefront_size: 64
  - .agpr_count:     0
    .args:
      - .offset:         0
        .size:           64
        .value_kind:     by_value
    .group_segment_fixed_size: 0
    .kernarg_segment_align: 8
    .kernarg_segment_size: 64
    .language:       OpenCL C
    .language_version:
      - 2
      - 0
    .max_flat_workgroup_size: 128
    .name:           _ZN7rocprim17ROCPRIM_400000_NS6detail17trampoline_kernelINS0_14default_configENS1_35adjacent_difference_config_selectorILb0ElEEZNS1_24adjacent_difference_implIS3_Lb0ELb0EPlS7_ZN2at6native12_GLOBAL__N_124unique_dim_cuda_templateIiEESt5tupleIJNS8_6TensorESD_SD_EERKSD_lbbbEUlllE1_EE10hipError_tPvRmT2_T3_mT4_P12ihipStream_tbEUlT_E_NS1_11comp_targetILNS1_3genE2ELNS1_11target_archE906ELNS1_3gpuE6ELNS1_3repE0EEENS1_30default_config_static_selectorELNS0_4arch9wavefront6targetE1EEEvT1_
    .private_segment_fixed_size: 0
    .sgpr_count:     4
    .sgpr_spill_count: 0
    .symbol:         _ZN7rocprim17ROCPRIM_400000_NS6detail17trampoline_kernelINS0_14default_configENS1_35adjacent_difference_config_selectorILb0ElEEZNS1_24adjacent_difference_implIS3_Lb0ELb0EPlS7_ZN2at6native12_GLOBAL__N_124unique_dim_cuda_templateIiEESt5tupleIJNS8_6TensorESD_SD_EERKSD_lbbbEUlllE1_EE10hipError_tPvRmT2_T3_mT4_P12ihipStream_tbEUlT_E_NS1_11comp_targetILNS1_3genE2ELNS1_11target_archE906ELNS1_3gpuE6ELNS1_3repE0EEENS1_30default_config_static_selectorELNS0_4arch9wavefront6targetE1EEEvT1_.kd
    .uniform_work_group_size: 1
    .uses_dynamic_stack: false
    .vgpr_count:     0
    .vgpr_spill_count: 0
    .wavefront_size: 64
  - .agpr_count:     0
    .args:
      - .offset:         0
        .size:           64
        .value_kind:     by_value
    .group_segment_fixed_size: 0
    .kernarg_segment_align: 8
    .kernarg_segment_size: 64
    .language:       OpenCL C
    .language_version:
      - 2
      - 0
    .max_flat_workgroup_size: 512
    .name:           _ZN7rocprim17ROCPRIM_400000_NS6detail17trampoline_kernelINS0_14default_configENS1_35adjacent_difference_config_selectorILb0ElEEZNS1_24adjacent_difference_implIS3_Lb0ELb0EPlS7_ZN2at6native12_GLOBAL__N_124unique_dim_cuda_templateIiEESt5tupleIJNS8_6TensorESD_SD_EERKSD_lbbbEUlllE1_EE10hipError_tPvRmT2_T3_mT4_P12ihipStream_tbEUlT_E_NS1_11comp_targetILNS1_3genE9ELNS1_11target_archE1100ELNS1_3gpuE3ELNS1_3repE0EEENS1_30default_config_static_selectorELNS0_4arch9wavefront6targetE1EEEvT1_
    .private_segment_fixed_size: 0
    .sgpr_count:     4
    .sgpr_spill_count: 0
    .symbol:         _ZN7rocprim17ROCPRIM_400000_NS6detail17trampoline_kernelINS0_14default_configENS1_35adjacent_difference_config_selectorILb0ElEEZNS1_24adjacent_difference_implIS3_Lb0ELb0EPlS7_ZN2at6native12_GLOBAL__N_124unique_dim_cuda_templateIiEESt5tupleIJNS8_6TensorESD_SD_EERKSD_lbbbEUlllE1_EE10hipError_tPvRmT2_T3_mT4_P12ihipStream_tbEUlT_E_NS1_11comp_targetILNS1_3genE9ELNS1_11target_archE1100ELNS1_3gpuE3ELNS1_3repE0EEENS1_30default_config_static_selectorELNS0_4arch9wavefront6targetE1EEEvT1_.kd
    .uniform_work_group_size: 1
    .uses_dynamic_stack: false
    .vgpr_count:     0
    .vgpr_spill_count: 0
    .wavefront_size: 64
  - .agpr_count:     0
    .args:
      - .offset:         0
        .size:           64
        .value_kind:     by_value
    .group_segment_fixed_size: 0
    .kernarg_segment_align: 8
    .kernarg_segment_size: 64
    .language:       OpenCL C
    .language_version:
      - 2
      - 0
    .max_flat_workgroup_size: 1024
    .name:           _ZN7rocprim17ROCPRIM_400000_NS6detail17trampoline_kernelINS0_14default_configENS1_35adjacent_difference_config_selectorILb0ElEEZNS1_24adjacent_difference_implIS3_Lb0ELb0EPlS7_ZN2at6native12_GLOBAL__N_124unique_dim_cuda_templateIiEESt5tupleIJNS8_6TensorESD_SD_EERKSD_lbbbEUlllE1_EE10hipError_tPvRmT2_T3_mT4_P12ihipStream_tbEUlT_E_NS1_11comp_targetILNS1_3genE8ELNS1_11target_archE1030ELNS1_3gpuE2ELNS1_3repE0EEENS1_30default_config_static_selectorELNS0_4arch9wavefront6targetE1EEEvT1_
    .private_segment_fixed_size: 0
    .sgpr_count:     4
    .sgpr_spill_count: 0
    .symbol:         _ZN7rocprim17ROCPRIM_400000_NS6detail17trampoline_kernelINS0_14default_configENS1_35adjacent_difference_config_selectorILb0ElEEZNS1_24adjacent_difference_implIS3_Lb0ELb0EPlS7_ZN2at6native12_GLOBAL__N_124unique_dim_cuda_templateIiEESt5tupleIJNS8_6TensorESD_SD_EERKSD_lbbbEUlllE1_EE10hipError_tPvRmT2_T3_mT4_P12ihipStream_tbEUlT_E_NS1_11comp_targetILNS1_3genE8ELNS1_11target_archE1030ELNS1_3gpuE2ELNS1_3repE0EEENS1_30default_config_static_selectorELNS0_4arch9wavefront6targetE1EEEvT1_.kd
    .uniform_work_group_size: 1
    .uses_dynamic_stack: false
    .vgpr_count:     0
    .vgpr_spill_count: 0
    .wavefront_size: 64
  - .agpr_count:     0
    .args:
      - .offset:         0
        .size:           56
        .value_kind:     by_value
    .group_segment_fixed_size: 0
    .kernarg_segment_align: 8
    .kernarg_segment_size: 56
    .language:       OpenCL C
    .language_version:
      - 2
      - 0
    .max_flat_workgroup_size: 128
    .name:           _ZN7rocprim17ROCPRIM_400000_NS6detail17trampoline_kernelINS0_14default_configENS1_25transform_config_selectorIlLb0EEEZNS1_14transform_implILb0ES3_S5_NS0_18transform_iteratorINS0_17counting_iteratorImlEEZNS1_24adjacent_difference_implIS3_Lb1ELb0EPlSB_ZN2at6native12_GLOBAL__N_124unique_dim_cuda_templateIiEESt5tupleIJNSC_6TensorESH_SH_EERKSH_lbbbEUlllE1_EE10hipError_tPvRmT2_T3_mT4_P12ihipStream_tbEUlmE_lEESB_NS0_8identityIvEEEESM_SP_SQ_mSR_ST_bEUlT_E_NS1_11comp_targetILNS1_3genE0ELNS1_11target_archE4294967295ELNS1_3gpuE0ELNS1_3repE0EEENS1_30default_config_static_selectorELNS0_4arch9wavefront6targetE1EEEvT1_
    .private_segment_fixed_size: 0
    .sgpr_count:     4
    .sgpr_spill_count: 0
    .symbol:         _ZN7rocprim17ROCPRIM_400000_NS6detail17trampoline_kernelINS0_14default_configENS1_25transform_config_selectorIlLb0EEEZNS1_14transform_implILb0ES3_S5_NS0_18transform_iteratorINS0_17counting_iteratorImlEEZNS1_24adjacent_difference_implIS3_Lb1ELb0EPlSB_ZN2at6native12_GLOBAL__N_124unique_dim_cuda_templateIiEESt5tupleIJNSC_6TensorESH_SH_EERKSH_lbbbEUlllE1_EE10hipError_tPvRmT2_T3_mT4_P12ihipStream_tbEUlmE_lEESB_NS0_8identityIvEEEESM_SP_SQ_mSR_ST_bEUlT_E_NS1_11comp_targetILNS1_3genE0ELNS1_11target_archE4294967295ELNS1_3gpuE0ELNS1_3repE0EEENS1_30default_config_static_selectorELNS0_4arch9wavefront6targetE1EEEvT1_.kd
    .uniform_work_group_size: 1
    .uses_dynamic_stack: false
    .vgpr_count:     0
    .vgpr_spill_count: 0
    .wavefront_size: 64
  - .agpr_count:     0
    .args:
      - .offset:         0
        .size:           56
        .value_kind:     by_value
    .group_segment_fixed_size: 0
    .kernarg_segment_align: 8
    .kernarg_segment_size: 56
    .language:       OpenCL C
    .language_version:
      - 2
      - 0
    .max_flat_workgroup_size: 512
    .name:           _ZN7rocprim17ROCPRIM_400000_NS6detail17trampoline_kernelINS0_14default_configENS1_25transform_config_selectorIlLb0EEEZNS1_14transform_implILb0ES3_S5_NS0_18transform_iteratorINS0_17counting_iteratorImlEEZNS1_24adjacent_difference_implIS3_Lb1ELb0EPlSB_ZN2at6native12_GLOBAL__N_124unique_dim_cuda_templateIiEESt5tupleIJNSC_6TensorESH_SH_EERKSH_lbbbEUlllE1_EE10hipError_tPvRmT2_T3_mT4_P12ihipStream_tbEUlmE_lEESB_NS0_8identityIvEEEESM_SP_SQ_mSR_ST_bEUlT_E_NS1_11comp_targetILNS1_3genE5ELNS1_11target_archE942ELNS1_3gpuE9ELNS1_3repE0EEENS1_30default_config_static_selectorELNS0_4arch9wavefront6targetE1EEEvT1_
    .private_segment_fixed_size: 0
    .sgpr_count:     4
    .sgpr_spill_count: 0
    .symbol:         _ZN7rocprim17ROCPRIM_400000_NS6detail17trampoline_kernelINS0_14default_configENS1_25transform_config_selectorIlLb0EEEZNS1_14transform_implILb0ES3_S5_NS0_18transform_iteratorINS0_17counting_iteratorImlEEZNS1_24adjacent_difference_implIS3_Lb1ELb0EPlSB_ZN2at6native12_GLOBAL__N_124unique_dim_cuda_templateIiEESt5tupleIJNSC_6TensorESH_SH_EERKSH_lbbbEUlllE1_EE10hipError_tPvRmT2_T3_mT4_P12ihipStream_tbEUlmE_lEESB_NS0_8identityIvEEEESM_SP_SQ_mSR_ST_bEUlT_E_NS1_11comp_targetILNS1_3genE5ELNS1_11target_archE942ELNS1_3gpuE9ELNS1_3repE0EEENS1_30default_config_static_selectorELNS0_4arch9wavefront6targetE1EEEvT1_.kd
    .uniform_work_group_size: 1
    .uses_dynamic_stack: false
    .vgpr_count:     0
    .vgpr_spill_count: 0
    .wavefront_size: 64
  - .agpr_count:     0
    .args:
      - .offset:         0
        .size:           56
        .value_kind:     by_value
      - .offset:         56
        .size:           4
        .value_kind:     hidden_block_count_x
      - .offset:         60
        .size:           4
        .value_kind:     hidden_block_count_y
      - .offset:         64
        .size:           4
        .value_kind:     hidden_block_count_z
      - .offset:         68
        .size:           2
        .value_kind:     hidden_group_size_x
      - .offset:         70
        .size:           2
        .value_kind:     hidden_group_size_y
      - .offset:         72
        .size:           2
        .value_kind:     hidden_group_size_z
      - .offset:         74
        .size:           2
        .value_kind:     hidden_remainder_x
      - .offset:         76
        .size:           2
        .value_kind:     hidden_remainder_y
      - .offset:         78
        .size:           2
        .value_kind:     hidden_remainder_z
      - .offset:         96
        .size:           8
        .value_kind:     hidden_global_offset_x
      - .offset:         104
        .size:           8
        .value_kind:     hidden_global_offset_y
      - .offset:         112
        .size:           8
        .value_kind:     hidden_global_offset_z
      - .offset:         120
        .size:           2
        .value_kind:     hidden_grid_dims
    .group_segment_fixed_size: 0
    .kernarg_segment_align: 8
    .kernarg_segment_size: 312
    .language:       OpenCL C
    .language_version:
      - 2
      - 0
    .max_flat_workgroup_size: 256
    .name:           _ZN7rocprim17ROCPRIM_400000_NS6detail17trampoline_kernelINS0_14default_configENS1_25transform_config_selectorIlLb0EEEZNS1_14transform_implILb0ES3_S5_NS0_18transform_iteratorINS0_17counting_iteratorImlEEZNS1_24adjacent_difference_implIS3_Lb1ELb0EPlSB_ZN2at6native12_GLOBAL__N_124unique_dim_cuda_templateIiEESt5tupleIJNSC_6TensorESH_SH_EERKSH_lbbbEUlllE1_EE10hipError_tPvRmT2_T3_mT4_P12ihipStream_tbEUlmE_lEESB_NS0_8identityIvEEEESM_SP_SQ_mSR_ST_bEUlT_E_NS1_11comp_targetILNS1_3genE4ELNS1_11target_archE910ELNS1_3gpuE8ELNS1_3repE0EEENS1_30default_config_static_selectorELNS0_4arch9wavefront6targetE1EEEvT1_
    .private_segment_fixed_size: 0
    .sgpr_count:     22
    .sgpr_spill_count: 0
    .symbol:         _ZN7rocprim17ROCPRIM_400000_NS6detail17trampoline_kernelINS0_14default_configENS1_25transform_config_selectorIlLb0EEEZNS1_14transform_implILb0ES3_S5_NS0_18transform_iteratorINS0_17counting_iteratorImlEEZNS1_24adjacent_difference_implIS3_Lb1ELb0EPlSB_ZN2at6native12_GLOBAL__N_124unique_dim_cuda_templateIiEESt5tupleIJNSC_6TensorESH_SH_EERKSH_lbbbEUlllE1_EE10hipError_tPvRmT2_T3_mT4_P12ihipStream_tbEUlmE_lEESB_NS0_8identityIvEEEESM_SP_SQ_mSR_ST_bEUlT_E_NS1_11comp_targetILNS1_3genE4ELNS1_11target_archE910ELNS1_3gpuE8ELNS1_3repE0EEENS1_30default_config_static_selectorELNS0_4arch9wavefront6targetE1EEEvT1_.kd
    .uniform_work_group_size: 1
    .uses_dynamic_stack: false
    .vgpr_count:     10
    .vgpr_spill_count: 0
    .wavefront_size: 64
  - .agpr_count:     0
    .args:
      - .offset:         0
        .size:           56
        .value_kind:     by_value
    .group_segment_fixed_size: 0
    .kernarg_segment_align: 8
    .kernarg_segment_size: 56
    .language:       OpenCL C
    .language_version:
      - 2
      - 0
    .max_flat_workgroup_size: 128
    .name:           _ZN7rocprim17ROCPRIM_400000_NS6detail17trampoline_kernelINS0_14default_configENS1_25transform_config_selectorIlLb0EEEZNS1_14transform_implILb0ES3_S5_NS0_18transform_iteratorINS0_17counting_iteratorImlEEZNS1_24adjacent_difference_implIS3_Lb1ELb0EPlSB_ZN2at6native12_GLOBAL__N_124unique_dim_cuda_templateIiEESt5tupleIJNSC_6TensorESH_SH_EERKSH_lbbbEUlllE1_EE10hipError_tPvRmT2_T3_mT4_P12ihipStream_tbEUlmE_lEESB_NS0_8identityIvEEEESM_SP_SQ_mSR_ST_bEUlT_E_NS1_11comp_targetILNS1_3genE3ELNS1_11target_archE908ELNS1_3gpuE7ELNS1_3repE0EEENS1_30default_config_static_selectorELNS0_4arch9wavefront6targetE1EEEvT1_
    .private_segment_fixed_size: 0
    .sgpr_count:     4
    .sgpr_spill_count: 0
    .symbol:         _ZN7rocprim17ROCPRIM_400000_NS6detail17trampoline_kernelINS0_14default_configENS1_25transform_config_selectorIlLb0EEEZNS1_14transform_implILb0ES3_S5_NS0_18transform_iteratorINS0_17counting_iteratorImlEEZNS1_24adjacent_difference_implIS3_Lb1ELb0EPlSB_ZN2at6native12_GLOBAL__N_124unique_dim_cuda_templateIiEESt5tupleIJNSC_6TensorESH_SH_EERKSH_lbbbEUlllE1_EE10hipError_tPvRmT2_T3_mT4_P12ihipStream_tbEUlmE_lEESB_NS0_8identityIvEEEESM_SP_SQ_mSR_ST_bEUlT_E_NS1_11comp_targetILNS1_3genE3ELNS1_11target_archE908ELNS1_3gpuE7ELNS1_3repE0EEENS1_30default_config_static_selectorELNS0_4arch9wavefront6targetE1EEEvT1_.kd
    .uniform_work_group_size: 1
    .uses_dynamic_stack: false
    .vgpr_count:     0
    .vgpr_spill_count: 0
    .wavefront_size: 64
  - .agpr_count:     0
    .args:
      - .offset:         0
        .size:           56
        .value_kind:     by_value
    .group_segment_fixed_size: 0
    .kernarg_segment_align: 8
    .kernarg_segment_size: 56
    .language:       OpenCL C
    .language_version:
      - 2
      - 0
    .max_flat_workgroup_size: 512
    .name:           _ZN7rocprim17ROCPRIM_400000_NS6detail17trampoline_kernelINS0_14default_configENS1_25transform_config_selectorIlLb0EEEZNS1_14transform_implILb0ES3_S5_NS0_18transform_iteratorINS0_17counting_iteratorImlEEZNS1_24adjacent_difference_implIS3_Lb1ELb0EPlSB_ZN2at6native12_GLOBAL__N_124unique_dim_cuda_templateIiEESt5tupleIJNSC_6TensorESH_SH_EERKSH_lbbbEUlllE1_EE10hipError_tPvRmT2_T3_mT4_P12ihipStream_tbEUlmE_lEESB_NS0_8identityIvEEEESM_SP_SQ_mSR_ST_bEUlT_E_NS1_11comp_targetILNS1_3genE2ELNS1_11target_archE906ELNS1_3gpuE6ELNS1_3repE0EEENS1_30default_config_static_selectorELNS0_4arch9wavefront6targetE1EEEvT1_
    .private_segment_fixed_size: 0
    .sgpr_count:     4
    .sgpr_spill_count: 0
    .symbol:         _ZN7rocprim17ROCPRIM_400000_NS6detail17trampoline_kernelINS0_14default_configENS1_25transform_config_selectorIlLb0EEEZNS1_14transform_implILb0ES3_S5_NS0_18transform_iteratorINS0_17counting_iteratorImlEEZNS1_24adjacent_difference_implIS3_Lb1ELb0EPlSB_ZN2at6native12_GLOBAL__N_124unique_dim_cuda_templateIiEESt5tupleIJNSC_6TensorESH_SH_EERKSH_lbbbEUlllE1_EE10hipError_tPvRmT2_T3_mT4_P12ihipStream_tbEUlmE_lEESB_NS0_8identityIvEEEESM_SP_SQ_mSR_ST_bEUlT_E_NS1_11comp_targetILNS1_3genE2ELNS1_11target_archE906ELNS1_3gpuE6ELNS1_3repE0EEENS1_30default_config_static_selectorELNS0_4arch9wavefront6targetE1EEEvT1_.kd
    .uniform_work_group_size: 1
    .uses_dynamic_stack: false
    .vgpr_count:     0
    .vgpr_spill_count: 0
    .wavefront_size: 64
  - .agpr_count:     0
    .args:
      - .offset:         0
        .size:           56
        .value_kind:     by_value
    .group_segment_fixed_size: 0
    .kernarg_segment_align: 8
    .kernarg_segment_size: 56
    .language:       OpenCL C
    .language_version:
      - 2
      - 0
    .max_flat_workgroup_size: 1024
    .name:           _ZN7rocprim17ROCPRIM_400000_NS6detail17trampoline_kernelINS0_14default_configENS1_25transform_config_selectorIlLb0EEEZNS1_14transform_implILb0ES3_S5_NS0_18transform_iteratorINS0_17counting_iteratorImlEEZNS1_24adjacent_difference_implIS3_Lb1ELb0EPlSB_ZN2at6native12_GLOBAL__N_124unique_dim_cuda_templateIiEESt5tupleIJNSC_6TensorESH_SH_EERKSH_lbbbEUlllE1_EE10hipError_tPvRmT2_T3_mT4_P12ihipStream_tbEUlmE_lEESB_NS0_8identityIvEEEESM_SP_SQ_mSR_ST_bEUlT_E_NS1_11comp_targetILNS1_3genE10ELNS1_11target_archE1201ELNS1_3gpuE5ELNS1_3repE0EEENS1_30default_config_static_selectorELNS0_4arch9wavefront6targetE1EEEvT1_
    .private_segment_fixed_size: 0
    .sgpr_count:     4
    .sgpr_spill_count: 0
    .symbol:         _ZN7rocprim17ROCPRIM_400000_NS6detail17trampoline_kernelINS0_14default_configENS1_25transform_config_selectorIlLb0EEEZNS1_14transform_implILb0ES3_S5_NS0_18transform_iteratorINS0_17counting_iteratorImlEEZNS1_24adjacent_difference_implIS3_Lb1ELb0EPlSB_ZN2at6native12_GLOBAL__N_124unique_dim_cuda_templateIiEESt5tupleIJNSC_6TensorESH_SH_EERKSH_lbbbEUlllE1_EE10hipError_tPvRmT2_T3_mT4_P12ihipStream_tbEUlmE_lEESB_NS0_8identityIvEEEESM_SP_SQ_mSR_ST_bEUlT_E_NS1_11comp_targetILNS1_3genE10ELNS1_11target_archE1201ELNS1_3gpuE5ELNS1_3repE0EEENS1_30default_config_static_selectorELNS0_4arch9wavefront6targetE1EEEvT1_.kd
    .uniform_work_group_size: 1
    .uses_dynamic_stack: false
    .vgpr_count:     0
    .vgpr_spill_count: 0
    .wavefront_size: 64
  - .agpr_count:     0
    .args:
      - .offset:         0
        .size:           56
        .value_kind:     by_value
    .group_segment_fixed_size: 0
    .kernarg_segment_align: 8
    .kernarg_segment_size: 56
    .language:       OpenCL C
    .language_version:
      - 2
      - 0
    .max_flat_workgroup_size: 512
    .name:           _ZN7rocprim17ROCPRIM_400000_NS6detail17trampoline_kernelINS0_14default_configENS1_25transform_config_selectorIlLb0EEEZNS1_14transform_implILb0ES3_S5_NS0_18transform_iteratorINS0_17counting_iteratorImlEEZNS1_24adjacent_difference_implIS3_Lb1ELb0EPlSB_ZN2at6native12_GLOBAL__N_124unique_dim_cuda_templateIiEESt5tupleIJNSC_6TensorESH_SH_EERKSH_lbbbEUlllE1_EE10hipError_tPvRmT2_T3_mT4_P12ihipStream_tbEUlmE_lEESB_NS0_8identityIvEEEESM_SP_SQ_mSR_ST_bEUlT_E_NS1_11comp_targetILNS1_3genE10ELNS1_11target_archE1200ELNS1_3gpuE4ELNS1_3repE0EEENS1_30default_config_static_selectorELNS0_4arch9wavefront6targetE1EEEvT1_
    .private_segment_fixed_size: 0
    .sgpr_count:     4
    .sgpr_spill_count: 0
    .symbol:         _ZN7rocprim17ROCPRIM_400000_NS6detail17trampoline_kernelINS0_14default_configENS1_25transform_config_selectorIlLb0EEEZNS1_14transform_implILb0ES3_S5_NS0_18transform_iteratorINS0_17counting_iteratorImlEEZNS1_24adjacent_difference_implIS3_Lb1ELb0EPlSB_ZN2at6native12_GLOBAL__N_124unique_dim_cuda_templateIiEESt5tupleIJNSC_6TensorESH_SH_EERKSH_lbbbEUlllE1_EE10hipError_tPvRmT2_T3_mT4_P12ihipStream_tbEUlmE_lEESB_NS0_8identityIvEEEESM_SP_SQ_mSR_ST_bEUlT_E_NS1_11comp_targetILNS1_3genE10ELNS1_11target_archE1200ELNS1_3gpuE4ELNS1_3repE0EEENS1_30default_config_static_selectorELNS0_4arch9wavefront6targetE1EEEvT1_.kd
    .uniform_work_group_size: 1
    .uses_dynamic_stack: false
    .vgpr_count:     0
    .vgpr_spill_count: 0
    .wavefront_size: 64
  - .agpr_count:     0
    .args:
      - .offset:         0
        .size:           56
        .value_kind:     by_value
    .group_segment_fixed_size: 0
    .kernarg_segment_align: 8
    .kernarg_segment_size: 56
    .language:       OpenCL C
    .language_version:
      - 2
      - 0
    .max_flat_workgroup_size: 512
    .name:           _ZN7rocprim17ROCPRIM_400000_NS6detail17trampoline_kernelINS0_14default_configENS1_25transform_config_selectorIlLb0EEEZNS1_14transform_implILb0ES3_S5_NS0_18transform_iteratorINS0_17counting_iteratorImlEEZNS1_24adjacent_difference_implIS3_Lb1ELb0EPlSB_ZN2at6native12_GLOBAL__N_124unique_dim_cuda_templateIiEESt5tupleIJNSC_6TensorESH_SH_EERKSH_lbbbEUlllE1_EE10hipError_tPvRmT2_T3_mT4_P12ihipStream_tbEUlmE_lEESB_NS0_8identityIvEEEESM_SP_SQ_mSR_ST_bEUlT_E_NS1_11comp_targetILNS1_3genE9ELNS1_11target_archE1100ELNS1_3gpuE3ELNS1_3repE0EEENS1_30default_config_static_selectorELNS0_4arch9wavefront6targetE1EEEvT1_
    .private_segment_fixed_size: 0
    .sgpr_count:     4
    .sgpr_spill_count: 0
    .symbol:         _ZN7rocprim17ROCPRIM_400000_NS6detail17trampoline_kernelINS0_14default_configENS1_25transform_config_selectorIlLb0EEEZNS1_14transform_implILb0ES3_S5_NS0_18transform_iteratorINS0_17counting_iteratorImlEEZNS1_24adjacent_difference_implIS3_Lb1ELb0EPlSB_ZN2at6native12_GLOBAL__N_124unique_dim_cuda_templateIiEESt5tupleIJNSC_6TensorESH_SH_EERKSH_lbbbEUlllE1_EE10hipError_tPvRmT2_T3_mT4_P12ihipStream_tbEUlmE_lEESB_NS0_8identityIvEEEESM_SP_SQ_mSR_ST_bEUlT_E_NS1_11comp_targetILNS1_3genE9ELNS1_11target_archE1100ELNS1_3gpuE3ELNS1_3repE0EEENS1_30default_config_static_selectorELNS0_4arch9wavefront6targetE1EEEvT1_.kd
    .uniform_work_group_size: 1
    .uses_dynamic_stack: false
    .vgpr_count:     0
    .vgpr_spill_count: 0
    .wavefront_size: 64
  - .agpr_count:     0
    .args:
      - .offset:         0
        .size:           56
        .value_kind:     by_value
    .group_segment_fixed_size: 0
    .kernarg_segment_align: 8
    .kernarg_segment_size: 56
    .language:       OpenCL C
    .language_version:
      - 2
      - 0
    .max_flat_workgroup_size: 512
    .name:           _ZN7rocprim17ROCPRIM_400000_NS6detail17trampoline_kernelINS0_14default_configENS1_25transform_config_selectorIlLb0EEEZNS1_14transform_implILb0ES3_S5_NS0_18transform_iteratorINS0_17counting_iteratorImlEEZNS1_24adjacent_difference_implIS3_Lb1ELb0EPlSB_ZN2at6native12_GLOBAL__N_124unique_dim_cuda_templateIiEESt5tupleIJNSC_6TensorESH_SH_EERKSH_lbbbEUlllE1_EE10hipError_tPvRmT2_T3_mT4_P12ihipStream_tbEUlmE_lEESB_NS0_8identityIvEEEESM_SP_SQ_mSR_ST_bEUlT_E_NS1_11comp_targetILNS1_3genE8ELNS1_11target_archE1030ELNS1_3gpuE2ELNS1_3repE0EEENS1_30default_config_static_selectorELNS0_4arch9wavefront6targetE1EEEvT1_
    .private_segment_fixed_size: 0
    .sgpr_count:     4
    .sgpr_spill_count: 0
    .symbol:         _ZN7rocprim17ROCPRIM_400000_NS6detail17trampoline_kernelINS0_14default_configENS1_25transform_config_selectorIlLb0EEEZNS1_14transform_implILb0ES3_S5_NS0_18transform_iteratorINS0_17counting_iteratorImlEEZNS1_24adjacent_difference_implIS3_Lb1ELb0EPlSB_ZN2at6native12_GLOBAL__N_124unique_dim_cuda_templateIiEESt5tupleIJNSC_6TensorESH_SH_EERKSH_lbbbEUlllE1_EE10hipError_tPvRmT2_T3_mT4_P12ihipStream_tbEUlmE_lEESB_NS0_8identityIvEEEESM_SP_SQ_mSR_ST_bEUlT_E_NS1_11comp_targetILNS1_3genE8ELNS1_11target_archE1030ELNS1_3gpuE2ELNS1_3repE0EEENS1_30default_config_static_selectorELNS0_4arch9wavefront6targetE1EEEvT1_.kd
    .uniform_work_group_size: 1
    .uses_dynamic_stack: false
    .vgpr_count:     0
    .vgpr_spill_count: 0
    .wavefront_size: 64
  - .agpr_count:     0
    .args:
      - .offset:         0
        .size:           64
        .value_kind:     by_value
    .group_segment_fixed_size: 0
    .kernarg_segment_align: 8
    .kernarg_segment_size: 64
    .language:       OpenCL C
    .language_version:
      - 2
      - 0
    .max_flat_workgroup_size: 512
    .name:           _ZN7rocprim17ROCPRIM_400000_NS6detail17trampoline_kernelINS0_14default_configENS1_35adjacent_difference_config_selectorILb1ElEEZNS1_24adjacent_difference_implIS3_Lb1ELb0EPlS7_ZN2at6native12_GLOBAL__N_124unique_dim_cuda_templateIiEESt5tupleIJNS8_6TensorESD_SD_EERKSD_lbbbEUlllE1_EE10hipError_tPvRmT2_T3_mT4_P12ihipStream_tbEUlT_E_NS1_11comp_targetILNS1_3genE0ELNS1_11target_archE4294967295ELNS1_3gpuE0ELNS1_3repE0EEENS1_30default_config_static_selectorELNS0_4arch9wavefront6targetE1EEEvT1_
    .private_segment_fixed_size: 0
    .sgpr_count:     4
    .sgpr_spill_count: 0
    .symbol:         _ZN7rocprim17ROCPRIM_400000_NS6detail17trampoline_kernelINS0_14default_configENS1_35adjacent_difference_config_selectorILb1ElEEZNS1_24adjacent_difference_implIS3_Lb1ELb0EPlS7_ZN2at6native12_GLOBAL__N_124unique_dim_cuda_templateIiEESt5tupleIJNS8_6TensorESD_SD_EERKSD_lbbbEUlllE1_EE10hipError_tPvRmT2_T3_mT4_P12ihipStream_tbEUlT_E_NS1_11comp_targetILNS1_3genE0ELNS1_11target_archE4294967295ELNS1_3gpuE0ELNS1_3repE0EEENS1_30default_config_static_selectorELNS0_4arch9wavefront6targetE1EEEvT1_.kd
    .uniform_work_group_size: 1
    .uses_dynamic_stack: false
    .vgpr_count:     0
    .vgpr_spill_count: 0
    .wavefront_size: 64
  - .agpr_count:     0
    .args:
      - .offset:         0
        .size:           64
        .value_kind:     by_value
    .group_segment_fixed_size: 0
    .kernarg_segment_align: 8
    .kernarg_segment_size: 64
    .language:       OpenCL C
    .language_version:
      - 2
      - 0
    .max_flat_workgroup_size: 32
    .name:           _ZN7rocprim17ROCPRIM_400000_NS6detail17trampoline_kernelINS0_14default_configENS1_35adjacent_difference_config_selectorILb1ElEEZNS1_24adjacent_difference_implIS3_Lb1ELb0EPlS7_ZN2at6native12_GLOBAL__N_124unique_dim_cuda_templateIiEESt5tupleIJNS8_6TensorESD_SD_EERKSD_lbbbEUlllE1_EE10hipError_tPvRmT2_T3_mT4_P12ihipStream_tbEUlT_E_NS1_11comp_targetILNS1_3genE10ELNS1_11target_archE1201ELNS1_3gpuE5ELNS1_3repE0EEENS1_30default_config_static_selectorELNS0_4arch9wavefront6targetE1EEEvT1_
    .private_segment_fixed_size: 0
    .sgpr_count:     4
    .sgpr_spill_count: 0
    .symbol:         _ZN7rocprim17ROCPRIM_400000_NS6detail17trampoline_kernelINS0_14default_configENS1_35adjacent_difference_config_selectorILb1ElEEZNS1_24adjacent_difference_implIS3_Lb1ELb0EPlS7_ZN2at6native12_GLOBAL__N_124unique_dim_cuda_templateIiEESt5tupleIJNS8_6TensorESD_SD_EERKSD_lbbbEUlllE1_EE10hipError_tPvRmT2_T3_mT4_P12ihipStream_tbEUlT_E_NS1_11comp_targetILNS1_3genE10ELNS1_11target_archE1201ELNS1_3gpuE5ELNS1_3repE0EEENS1_30default_config_static_selectorELNS0_4arch9wavefront6targetE1EEEvT1_.kd
    .uniform_work_group_size: 1
    .uses_dynamic_stack: false
    .vgpr_count:     0
    .vgpr_spill_count: 0
    .wavefront_size: 64
  - .agpr_count:     0
    .args:
      - .offset:         0
        .size:           64
        .value_kind:     by_value
    .group_segment_fixed_size: 0
    .kernarg_segment_align: 8
    .kernarg_segment_size: 64
    .language:       OpenCL C
    .language_version:
      - 2
      - 0
    .max_flat_workgroup_size: 256
    .name:           _ZN7rocprim17ROCPRIM_400000_NS6detail17trampoline_kernelINS0_14default_configENS1_35adjacent_difference_config_selectorILb1ElEEZNS1_24adjacent_difference_implIS3_Lb1ELb0EPlS7_ZN2at6native12_GLOBAL__N_124unique_dim_cuda_templateIiEESt5tupleIJNS8_6TensorESD_SD_EERKSD_lbbbEUlllE1_EE10hipError_tPvRmT2_T3_mT4_P12ihipStream_tbEUlT_E_NS1_11comp_targetILNS1_3genE5ELNS1_11target_archE942ELNS1_3gpuE9ELNS1_3repE0EEENS1_30default_config_static_selectorELNS0_4arch9wavefront6targetE1EEEvT1_
    .private_segment_fixed_size: 0
    .sgpr_count:     4
    .sgpr_spill_count: 0
    .symbol:         _ZN7rocprim17ROCPRIM_400000_NS6detail17trampoline_kernelINS0_14default_configENS1_35adjacent_difference_config_selectorILb1ElEEZNS1_24adjacent_difference_implIS3_Lb1ELb0EPlS7_ZN2at6native12_GLOBAL__N_124unique_dim_cuda_templateIiEESt5tupleIJNS8_6TensorESD_SD_EERKSD_lbbbEUlllE1_EE10hipError_tPvRmT2_T3_mT4_P12ihipStream_tbEUlT_E_NS1_11comp_targetILNS1_3genE5ELNS1_11target_archE942ELNS1_3gpuE9ELNS1_3repE0EEENS1_30default_config_static_selectorELNS0_4arch9wavefront6targetE1EEEvT1_.kd
    .uniform_work_group_size: 1
    .uses_dynamic_stack: false
    .vgpr_count:     0
    .vgpr_spill_count: 0
    .wavefront_size: 64
  - .agpr_count:     0
    .args:
      - .offset:         0
        .size:           64
        .value_kind:     by_value
    .group_segment_fixed_size: 8448
    .kernarg_segment_align: 8
    .kernarg_segment_size: 64
    .language:       OpenCL C
    .language_version:
      - 2
      - 0
    .max_flat_workgroup_size: 512
    .name:           _ZN7rocprim17ROCPRIM_400000_NS6detail17trampoline_kernelINS0_14default_configENS1_35adjacent_difference_config_selectorILb1ElEEZNS1_24adjacent_difference_implIS3_Lb1ELb0EPlS7_ZN2at6native12_GLOBAL__N_124unique_dim_cuda_templateIiEESt5tupleIJNS8_6TensorESD_SD_EERKSD_lbbbEUlllE1_EE10hipError_tPvRmT2_T3_mT4_P12ihipStream_tbEUlT_E_NS1_11comp_targetILNS1_3genE4ELNS1_11target_archE910ELNS1_3gpuE8ELNS1_3repE0EEENS1_30default_config_static_selectorELNS0_4arch9wavefront6targetE1EEEvT1_
    .private_segment_fixed_size: 0
    .sgpr_count:     42
    .sgpr_spill_count: 0
    .symbol:         _ZN7rocprim17ROCPRIM_400000_NS6detail17trampoline_kernelINS0_14default_configENS1_35adjacent_difference_config_selectorILb1ElEEZNS1_24adjacent_difference_implIS3_Lb1ELb0EPlS7_ZN2at6native12_GLOBAL__N_124unique_dim_cuda_templateIiEESt5tupleIJNS8_6TensorESD_SD_EERKSD_lbbbEUlllE1_EE10hipError_tPvRmT2_T3_mT4_P12ihipStream_tbEUlT_E_NS1_11comp_targetILNS1_3genE4ELNS1_11target_archE910ELNS1_3gpuE8ELNS1_3repE0EEENS1_30default_config_static_selectorELNS0_4arch9wavefront6targetE1EEEvT1_.kd
    .uniform_work_group_size: 1
    .uses_dynamic_stack: false
    .vgpr_count:     17
    .vgpr_spill_count: 0
    .wavefront_size: 64
  - .agpr_count:     0
    .args:
      - .offset:         0
        .size:           64
        .value_kind:     by_value
    .group_segment_fixed_size: 0
    .kernarg_segment_align: 8
    .kernarg_segment_size: 64
    .language:       OpenCL C
    .language_version:
      - 2
      - 0
    .max_flat_workgroup_size: 512
    .name:           _ZN7rocprim17ROCPRIM_400000_NS6detail17trampoline_kernelINS0_14default_configENS1_35adjacent_difference_config_selectorILb1ElEEZNS1_24adjacent_difference_implIS3_Lb1ELb0EPlS7_ZN2at6native12_GLOBAL__N_124unique_dim_cuda_templateIiEESt5tupleIJNS8_6TensorESD_SD_EERKSD_lbbbEUlllE1_EE10hipError_tPvRmT2_T3_mT4_P12ihipStream_tbEUlT_E_NS1_11comp_targetILNS1_3genE3ELNS1_11target_archE908ELNS1_3gpuE7ELNS1_3repE0EEENS1_30default_config_static_selectorELNS0_4arch9wavefront6targetE1EEEvT1_
    .private_segment_fixed_size: 0
    .sgpr_count:     4
    .sgpr_spill_count: 0
    .symbol:         _ZN7rocprim17ROCPRIM_400000_NS6detail17trampoline_kernelINS0_14default_configENS1_35adjacent_difference_config_selectorILb1ElEEZNS1_24adjacent_difference_implIS3_Lb1ELb0EPlS7_ZN2at6native12_GLOBAL__N_124unique_dim_cuda_templateIiEESt5tupleIJNS8_6TensorESD_SD_EERKSD_lbbbEUlllE1_EE10hipError_tPvRmT2_T3_mT4_P12ihipStream_tbEUlT_E_NS1_11comp_targetILNS1_3genE3ELNS1_11target_archE908ELNS1_3gpuE7ELNS1_3repE0EEENS1_30default_config_static_selectorELNS0_4arch9wavefront6targetE1EEEvT1_.kd
    .uniform_work_group_size: 1
    .uses_dynamic_stack: false
    .vgpr_count:     0
    .vgpr_spill_count: 0
    .wavefront_size: 64
  - .agpr_count:     0
    .args:
      - .offset:         0
        .size:           64
        .value_kind:     by_value
    .group_segment_fixed_size: 0
    .kernarg_segment_align: 8
    .kernarg_segment_size: 64
    .language:       OpenCL C
    .language_version:
      - 2
      - 0
    .max_flat_workgroup_size: 128
    .name:           _ZN7rocprim17ROCPRIM_400000_NS6detail17trampoline_kernelINS0_14default_configENS1_35adjacent_difference_config_selectorILb1ElEEZNS1_24adjacent_difference_implIS3_Lb1ELb0EPlS7_ZN2at6native12_GLOBAL__N_124unique_dim_cuda_templateIiEESt5tupleIJNS8_6TensorESD_SD_EERKSD_lbbbEUlllE1_EE10hipError_tPvRmT2_T3_mT4_P12ihipStream_tbEUlT_E_NS1_11comp_targetILNS1_3genE2ELNS1_11target_archE906ELNS1_3gpuE6ELNS1_3repE0EEENS1_30default_config_static_selectorELNS0_4arch9wavefront6targetE1EEEvT1_
    .private_segment_fixed_size: 0
    .sgpr_count:     4
    .sgpr_spill_count: 0
    .symbol:         _ZN7rocprim17ROCPRIM_400000_NS6detail17trampoline_kernelINS0_14default_configENS1_35adjacent_difference_config_selectorILb1ElEEZNS1_24adjacent_difference_implIS3_Lb1ELb0EPlS7_ZN2at6native12_GLOBAL__N_124unique_dim_cuda_templateIiEESt5tupleIJNS8_6TensorESD_SD_EERKSD_lbbbEUlllE1_EE10hipError_tPvRmT2_T3_mT4_P12ihipStream_tbEUlT_E_NS1_11comp_targetILNS1_3genE2ELNS1_11target_archE906ELNS1_3gpuE6ELNS1_3repE0EEENS1_30default_config_static_selectorELNS0_4arch9wavefront6targetE1EEEvT1_.kd
    .uniform_work_group_size: 1
    .uses_dynamic_stack: false
    .vgpr_count:     0
    .vgpr_spill_count: 0
    .wavefront_size: 64
  - .agpr_count:     0
    .args:
      - .offset:         0
        .size:           64
        .value_kind:     by_value
    .group_segment_fixed_size: 0
    .kernarg_segment_align: 8
    .kernarg_segment_size: 64
    .language:       OpenCL C
    .language_version:
      - 2
      - 0
    .max_flat_workgroup_size: 128
    .name:           _ZN7rocprim17ROCPRIM_400000_NS6detail17trampoline_kernelINS0_14default_configENS1_35adjacent_difference_config_selectorILb1ElEEZNS1_24adjacent_difference_implIS3_Lb1ELb0EPlS7_ZN2at6native12_GLOBAL__N_124unique_dim_cuda_templateIiEESt5tupleIJNS8_6TensorESD_SD_EERKSD_lbbbEUlllE1_EE10hipError_tPvRmT2_T3_mT4_P12ihipStream_tbEUlT_E_NS1_11comp_targetILNS1_3genE9ELNS1_11target_archE1100ELNS1_3gpuE3ELNS1_3repE0EEENS1_30default_config_static_selectorELNS0_4arch9wavefront6targetE1EEEvT1_
    .private_segment_fixed_size: 0
    .sgpr_count:     4
    .sgpr_spill_count: 0
    .symbol:         _ZN7rocprim17ROCPRIM_400000_NS6detail17trampoline_kernelINS0_14default_configENS1_35adjacent_difference_config_selectorILb1ElEEZNS1_24adjacent_difference_implIS3_Lb1ELb0EPlS7_ZN2at6native12_GLOBAL__N_124unique_dim_cuda_templateIiEESt5tupleIJNS8_6TensorESD_SD_EERKSD_lbbbEUlllE1_EE10hipError_tPvRmT2_T3_mT4_P12ihipStream_tbEUlT_E_NS1_11comp_targetILNS1_3genE9ELNS1_11target_archE1100ELNS1_3gpuE3ELNS1_3repE0EEENS1_30default_config_static_selectorELNS0_4arch9wavefront6targetE1EEEvT1_.kd
    .uniform_work_group_size: 1
    .uses_dynamic_stack: false
    .vgpr_count:     0
    .vgpr_spill_count: 0
    .wavefront_size: 64
  - .agpr_count:     0
    .args:
      - .offset:         0
        .size:           64
        .value_kind:     by_value
    .group_segment_fixed_size: 0
    .kernarg_segment_align: 8
    .kernarg_segment_size: 64
    .language:       OpenCL C
    .language_version:
      - 2
      - 0
    .max_flat_workgroup_size: 32
    .name:           _ZN7rocprim17ROCPRIM_400000_NS6detail17trampoline_kernelINS0_14default_configENS1_35adjacent_difference_config_selectorILb1ElEEZNS1_24adjacent_difference_implIS3_Lb1ELb0EPlS7_ZN2at6native12_GLOBAL__N_124unique_dim_cuda_templateIiEESt5tupleIJNS8_6TensorESD_SD_EERKSD_lbbbEUlllE1_EE10hipError_tPvRmT2_T3_mT4_P12ihipStream_tbEUlT_E_NS1_11comp_targetILNS1_3genE8ELNS1_11target_archE1030ELNS1_3gpuE2ELNS1_3repE0EEENS1_30default_config_static_selectorELNS0_4arch9wavefront6targetE1EEEvT1_
    .private_segment_fixed_size: 0
    .sgpr_count:     4
    .sgpr_spill_count: 0
    .symbol:         _ZN7rocprim17ROCPRIM_400000_NS6detail17trampoline_kernelINS0_14default_configENS1_35adjacent_difference_config_selectorILb1ElEEZNS1_24adjacent_difference_implIS3_Lb1ELb0EPlS7_ZN2at6native12_GLOBAL__N_124unique_dim_cuda_templateIiEESt5tupleIJNS8_6TensorESD_SD_EERKSD_lbbbEUlllE1_EE10hipError_tPvRmT2_T3_mT4_P12ihipStream_tbEUlT_E_NS1_11comp_targetILNS1_3genE8ELNS1_11target_archE1030ELNS1_3gpuE2ELNS1_3repE0EEENS1_30default_config_static_selectorELNS0_4arch9wavefront6targetE1EEEvT1_.kd
    .uniform_work_group_size: 1
    .uses_dynamic_stack: false
    .vgpr_count:     0
    .vgpr_spill_count: 0
    .wavefront_size: 64
  - .agpr_count:     0
    .args:
      - .offset:         0
        .size:           120
        .value_kind:     by_value
    .group_segment_fixed_size: 0
    .kernarg_segment_align: 8
    .kernarg_segment_size: 120
    .language:       OpenCL C
    .language_version:
      - 2
      - 0
    .max_flat_workgroup_size: 512
    .name:           _ZN7rocprim17ROCPRIM_400000_NS6detail17trampoline_kernelINS0_14default_configENS1_25partition_config_selectorILNS1_17partition_subalgoE8ElNS0_10empty_typeEbEEZZNS1_14partition_implILS5_8ELb0ES3_jPlPS6_PKS6_NS0_5tupleIJS9_S6_EEENSD_IJSA_SA_EEENS0_18inequality_wrapperIZN2at6native12_GLOBAL__N_124unique_dim_cuda_templateIiEESt5tupleIJNSH_6TensorESM_SM_EERKSM_lbbbEUlllE0_EEPmJS6_EEE10hipError_tPvRmT3_T4_T5_T6_T7_T9_mT8_P12ihipStream_tbDpT10_ENKUlT_T0_E_clISt17integral_constantIbLb0EES1C_EEDaS17_S18_EUlS17_E_NS1_11comp_targetILNS1_3genE0ELNS1_11target_archE4294967295ELNS1_3gpuE0ELNS1_3repE0EEENS1_30default_config_static_selectorELNS0_4arch9wavefront6targetE1EEEvT1_
    .private_segment_fixed_size: 0
    .sgpr_count:     4
    .sgpr_spill_count: 0
    .symbol:         _ZN7rocprim17ROCPRIM_400000_NS6detail17trampoline_kernelINS0_14default_configENS1_25partition_config_selectorILNS1_17partition_subalgoE8ElNS0_10empty_typeEbEEZZNS1_14partition_implILS5_8ELb0ES3_jPlPS6_PKS6_NS0_5tupleIJS9_S6_EEENSD_IJSA_SA_EEENS0_18inequality_wrapperIZN2at6native12_GLOBAL__N_124unique_dim_cuda_templateIiEESt5tupleIJNSH_6TensorESM_SM_EERKSM_lbbbEUlllE0_EEPmJS6_EEE10hipError_tPvRmT3_T4_T5_T6_T7_T9_mT8_P12ihipStream_tbDpT10_ENKUlT_T0_E_clISt17integral_constantIbLb0EES1C_EEDaS17_S18_EUlS17_E_NS1_11comp_targetILNS1_3genE0ELNS1_11target_archE4294967295ELNS1_3gpuE0ELNS1_3repE0EEENS1_30default_config_static_selectorELNS0_4arch9wavefront6targetE1EEEvT1_.kd
    .uniform_work_group_size: 1
    .uses_dynamic_stack: false
    .vgpr_count:     0
    .vgpr_spill_count: 0
    .wavefront_size: 64
  - .agpr_count:     0
    .args:
      - .offset:         0
        .size:           120
        .value_kind:     by_value
    .group_segment_fixed_size: 0
    .kernarg_segment_align: 8
    .kernarg_segment_size: 120
    .language:       OpenCL C
    .language_version:
      - 2
      - 0
    .max_flat_workgroup_size: 512
    .name:           _ZN7rocprim17ROCPRIM_400000_NS6detail17trampoline_kernelINS0_14default_configENS1_25partition_config_selectorILNS1_17partition_subalgoE8ElNS0_10empty_typeEbEEZZNS1_14partition_implILS5_8ELb0ES3_jPlPS6_PKS6_NS0_5tupleIJS9_S6_EEENSD_IJSA_SA_EEENS0_18inequality_wrapperIZN2at6native12_GLOBAL__N_124unique_dim_cuda_templateIiEESt5tupleIJNSH_6TensorESM_SM_EERKSM_lbbbEUlllE0_EEPmJS6_EEE10hipError_tPvRmT3_T4_T5_T6_T7_T9_mT8_P12ihipStream_tbDpT10_ENKUlT_T0_E_clISt17integral_constantIbLb0EES1C_EEDaS17_S18_EUlS17_E_NS1_11comp_targetILNS1_3genE5ELNS1_11target_archE942ELNS1_3gpuE9ELNS1_3repE0EEENS1_30default_config_static_selectorELNS0_4arch9wavefront6targetE1EEEvT1_
    .private_segment_fixed_size: 0
    .sgpr_count:     4
    .sgpr_spill_count: 0
    .symbol:         _ZN7rocprim17ROCPRIM_400000_NS6detail17trampoline_kernelINS0_14default_configENS1_25partition_config_selectorILNS1_17partition_subalgoE8ElNS0_10empty_typeEbEEZZNS1_14partition_implILS5_8ELb0ES3_jPlPS6_PKS6_NS0_5tupleIJS9_S6_EEENSD_IJSA_SA_EEENS0_18inequality_wrapperIZN2at6native12_GLOBAL__N_124unique_dim_cuda_templateIiEESt5tupleIJNSH_6TensorESM_SM_EERKSM_lbbbEUlllE0_EEPmJS6_EEE10hipError_tPvRmT3_T4_T5_T6_T7_T9_mT8_P12ihipStream_tbDpT10_ENKUlT_T0_E_clISt17integral_constantIbLb0EES1C_EEDaS17_S18_EUlS17_E_NS1_11comp_targetILNS1_3genE5ELNS1_11target_archE942ELNS1_3gpuE9ELNS1_3repE0EEENS1_30default_config_static_selectorELNS0_4arch9wavefront6targetE1EEEvT1_.kd
    .uniform_work_group_size: 1
    .uses_dynamic_stack: false
    .vgpr_count:     0
    .vgpr_spill_count: 0
    .wavefront_size: 64
  - .agpr_count:     0
    .args:
      - .offset:         0
        .size:           120
        .value_kind:     by_value
    .group_segment_fixed_size: 10252
    .kernarg_segment_align: 8
    .kernarg_segment_size: 120
    .language:       OpenCL C
    .language_version:
      - 2
      - 0
    .max_flat_workgroup_size: 256
    .name:           _ZN7rocprim17ROCPRIM_400000_NS6detail17trampoline_kernelINS0_14default_configENS1_25partition_config_selectorILNS1_17partition_subalgoE8ElNS0_10empty_typeEbEEZZNS1_14partition_implILS5_8ELb0ES3_jPlPS6_PKS6_NS0_5tupleIJS9_S6_EEENSD_IJSA_SA_EEENS0_18inequality_wrapperIZN2at6native12_GLOBAL__N_124unique_dim_cuda_templateIiEESt5tupleIJNSH_6TensorESM_SM_EERKSM_lbbbEUlllE0_EEPmJS6_EEE10hipError_tPvRmT3_T4_T5_T6_T7_T9_mT8_P12ihipStream_tbDpT10_ENKUlT_T0_E_clISt17integral_constantIbLb0EES1C_EEDaS17_S18_EUlS17_E_NS1_11comp_targetILNS1_3genE4ELNS1_11target_archE910ELNS1_3gpuE8ELNS1_3repE0EEENS1_30default_config_static_selectorELNS0_4arch9wavefront6targetE1EEEvT1_
    .private_segment_fixed_size: 0
    .sgpr_count:     52
    .sgpr_spill_count: 0
    .symbol:         _ZN7rocprim17ROCPRIM_400000_NS6detail17trampoline_kernelINS0_14default_configENS1_25partition_config_selectorILNS1_17partition_subalgoE8ElNS0_10empty_typeEbEEZZNS1_14partition_implILS5_8ELb0ES3_jPlPS6_PKS6_NS0_5tupleIJS9_S6_EEENSD_IJSA_SA_EEENS0_18inequality_wrapperIZN2at6native12_GLOBAL__N_124unique_dim_cuda_templateIiEESt5tupleIJNSH_6TensorESM_SM_EERKSM_lbbbEUlllE0_EEPmJS6_EEE10hipError_tPvRmT3_T4_T5_T6_T7_T9_mT8_P12ihipStream_tbDpT10_ENKUlT_T0_E_clISt17integral_constantIbLb0EES1C_EEDaS17_S18_EUlS17_E_NS1_11comp_targetILNS1_3genE4ELNS1_11target_archE910ELNS1_3gpuE8ELNS1_3repE0EEENS1_30default_config_static_selectorELNS0_4arch9wavefront6targetE1EEEvT1_.kd
    .uniform_work_group_size: 1
    .uses_dynamic_stack: false
    .vgpr_count:     46
    .vgpr_spill_count: 0
    .wavefront_size: 64
  - .agpr_count:     0
    .args:
      - .offset:         0
        .size:           120
        .value_kind:     by_value
    .group_segment_fixed_size: 0
    .kernarg_segment_align: 8
    .kernarg_segment_size: 120
    .language:       OpenCL C
    .language_version:
      - 2
      - 0
    .max_flat_workgroup_size: 512
    .name:           _ZN7rocprim17ROCPRIM_400000_NS6detail17trampoline_kernelINS0_14default_configENS1_25partition_config_selectorILNS1_17partition_subalgoE8ElNS0_10empty_typeEbEEZZNS1_14partition_implILS5_8ELb0ES3_jPlPS6_PKS6_NS0_5tupleIJS9_S6_EEENSD_IJSA_SA_EEENS0_18inequality_wrapperIZN2at6native12_GLOBAL__N_124unique_dim_cuda_templateIiEESt5tupleIJNSH_6TensorESM_SM_EERKSM_lbbbEUlllE0_EEPmJS6_EEE10hipError_tPvRmT3_T4_T5_T6_T7_T9_mT8_P12ihipStream_tbDpT10_ENKUlT_T0_E_clISt17integral_constantIbLb0EES1C_EEDaS17_S18_EUlS17_E_NS1_11comp_targetILNS1_3genE3ELNS1_11target_archE908ELNS1_3gpuE7ELNS1_3repE0EEENS1_30default_config_static_selectorELNS0_4arch9wavefront6targetE1EEEvT1_
    .private_segment_fixed_size: 0
    .sgpr_count:     4
    .sgpr_spill_count: 0
    .symbol:         _ZN7rocprim17ROCPRIM_400000_NS6detail17trampoline_kernelINS0_14default_configENS1_25partition_config_selectorILNS1_17partition_subalgoE8ElNS0_10empty_typeEbEEZZNS1_14partition_implILS5_8ELb0ES3_jPlPS6_PKS6_NS0_5tupleIJS9_S6_EEENSD_IJSA_SA_EEENS0_18inequality_wrapperIZN2at6native12_GLOBAL__N_124unique_dim_cuda_templateIiEESt5tupleIJNSH_6TensorESM_SM_EERKSM_lbbbEUlllE0_EEPmJS6_EEE10hipError_tPvRmT3_T4_T5_T6_T7_T9_mT8_P12ihipStream_tbDpT10_ENKUlT_T0_E_clISt17integral_constantIbLb0EES1C_EEDaS17_S18_EUlS17_E_NS1_11comp_targetILNS1_3genE3ELNS1_11target_archE908ELNS1_3gpuE7ELNS1_3repE0EEENS1_30default_config_static_selectorELNS0_4arch9wavefront6targetE1EEEvT1_.kd
    .uniform_work_group_size: 1
    .uses_dynamic_stack: false
    .vgpr_count:     0
    .vgpr_spill_count: 0
    .wavefront_size: 64
  - .agpr_count:     0
    .args:
      - .offset:         0
        .size:           120
        .value_kind:     by_value
    .group_segment_fixed_size: 0
    .kernarg_segment_align: 8
    .kernarg_segment_size: 120
    .language:       OpenCL C
    .language_version:
      - 2
      - 0
    .max_flat_workgroup_size: 256
    .name:           _ZN7rocprim17ROCPRIM_400000_NS6detail17trampoline_kernelINS0_14default_configENS1_25partition_config_selectorILNS1_17partition_subalgoE8ElNS0_10empty_typeEbEEZZNS1_14partition_implILS5_8ELb0ES3_jPlPS6_PKS6_NS0_5tupleIJS9_S6_EEENSD_IJSA_SA_EEENS0_18inequality_wrapperIZN2at6native12_GLOBAL__N_124unique_dim_cuda_templateIiEESt5tupleIJNSH_6TensorESM_SM_EERKSM_lbbbEUlllE0_EEPmJS6_EEE10hipError_tPvRmT3_T4_T5_T6_T7_T9_mT8_P12ihipStream_tbDpT10_ENKUlT_T0_E_clISt17integral_constantIbLb0EES1C_EEDaS17_S18_EUlS17_E_NS1_11comp_targetILNS1_3genE2ELNS1_11target_archE906ELNS1_3gpuE6ELNS1_3repE0EEENS1_30default_config_static_selectorELNS0_4arch9wavefront6targetE1EEEvT1_
    .private_segment_fixed_size: 0
    .sgpr_count:     4
    .sgpr_spill_count: 0
    .symbol:         _ZN7rocprim17ROCPRIM_400000_NS6detail17trampoline_kernelINS0_14default_configENS1_25partition_config_selectorILNS1_17partition_subalgoE8ElNS0_10empty_typeEbEEZZNS1_14partition_implILS5_8ELb0ES3_jPlPS6_PKS6_NS0_5tupleIJS9_S6_EEENSD_IJSA_SA_EEENS0_18inequality_wrapperIZN2at6native12_GLOBAL__N_124unique_dim_cuda_templateIiEESt5tupleIJNSH_6TensorESM_SM_EERKSM_lbbbEUlllE0_EEPmJS6_EEE10hipError_tPvRmT3_T4_T5_T6_T7_T9_mT8_P12ihipStream_tbDpT10_ENKUlT_T0_E_clISt17integral_constantIbLb0EES1C_EEDaS17_S18_EUlS17_E_NS1_11comp_targetILNS1_3genE2ELNS1_11target_archE906ELNS1_3gpuE6ELNS1_3repE0EEENS1_30default_config_static_selectorELNS0_4arch9wavefront6targetE1EEEvT1_.kd
    .uniform_work_group_size: 1
    .uses_dynamic_stack: false
    .vgpr_count:     0
    .vgpr_spill_count: 0
    .wavefront_size: 64
  - .agpr_count:     0
    .args:
      - .offset:         0
        .size:           120
        .value_kind:     by_value
    .group_segment_fixed_size: 0
    .kernarg_segment_align: 8
    .kernarg_segment_size: 120
    .language:       OpenCL C
    .language_version:
      - 2
      - 0
    .max_flat_workgroup_size: 384
    .name:           _ZN7rocprim17ROCPRIM_400000_NS6detail17trampoline_kernelINS0_14default_configENS1_25partition_config_selectorILNS1_17partition_subalgoE8ElNS0_10empty_typeEbEEZZNS1_14partition_implILS5_8ELb0ES3_jPlPS6_PKS6_NS0_5tupleIJS9_S6_EEENSD_IJSA_SA_EEENS0_18inequality_wrapperIZN2at6native12_GLOBAL__N_124unique_dim_cuda_templateIiEESt5tupleIJNSH_6TensorESM_SM_EERKSM_lbbbEUlllE0_EEPmJS6_EEE10hipError_tPvRmT3_T4_T5_T6_T7_T9_mT8_P12ihipStream_tbDpT10_ENKUlT_T0_E_clISt17integral_constantIbLb0EES1C_EEDaS17_S18_EUlS17_E_NS1_11comp_targetILNS1_3genE10ELNS1_11target_archE1200ELNS1_3gpuE4ELNS1_3repE0EEENS1_30default_config_static_selectorELNS0_4arch9wavefront6targetE1EEEvT1_
    .private_segment_fixed_size: 0
    .sgpr_count:     4
    .sgpr_spill_count: 0
    .symbol:         _ZN7rocprim17ROCPRIM_400000_NS6detail17trampoline_kernelINS0_14default_configENS1_25partition_config_selectorILNS1_17partition_subalgoE8ElNS0_10empty_typeEbEEZZNS1_14partition_implILS5_8ELb0ES3_jPlPS6_PKS6_NS0_5tupleIJS9_S6_EEENSD_IJSA_SA_EEENS0_18inequality_wrapperIZN2at6native12_GLOBAL__N_124unique_dim_cuda_templateIiEESt5tupleIJNSH_6TensorESM_SM_EERKSM_lbbbEUlllE0_EEPmJS6_EEE10hipError_tPvRmT3_T4_T5_T6_T7_T9_mT8_P12ihipStream_tbDpT10_ENKUlT_T0_E_clISt17integral_constantIbLb0EES1C_EEDaS17_S18_EUlS17_E_NS1_11comp_targetILNS1_3genE10ELNS1_11target_archE1200ELNS1_3gpuE4ELNS1_3repE0EEENS1_30default_config_static_selectorELNS0_4arch9wavefront6targetE1EEEvT1_.kd
    .uniform_work_group_size: 1
    .uses_dynamic_stack: false
    .vgpr_count:     0
    .vgpr_spill_count: 0
    .wavefront_size: 64
  - .agpr_count:     0
    .args:
      - .offset:         0
        .size:           120
        .value_kind:     by_value
    .group_segment_fixed_size: 0
    .kernarg_segment_align: 8
    .kernarg_segment_size: 120
    .language:       OpenCL C
    .language_version:
      - 2
      - 0
    .max_flat_workgroup_size: 512
    .name:           _ZN7rocprim17ROCPRIM_400000_NS6detail17trampoline_kernelINS0_14default_configENS1_25partition_config_selectorILNS1_17partition_subalgoE8ElNS0_10empty_typeEbEEZZNS1_14partition_implILS5_8ELb0ES3_jPlPS6_PKS6_NS0_5tupleIJS9_S6_EEENSD_IJSA_SA_EEENS0_18inequality_wrapperIZN2at6native12_GLOBAL__N_124unique_dim_cuda_templateIiEESt5tupleIJNSH_6TensorESM_SM_EERKSM_lbbbEUlllE0_EEPmJS6_EEE10hipError_tPvRmT3_T4_T5_T6_T7_T9_mT8_P12ihipStream_tbDpT10_ENKUlT_T0_E_clISt17integral_constantIbLb0EES1C_EEDaS17_S18_EUlS17_E_NS1_11comp_targetILNS1_3genE9ELNS1_11target_archE1100ELNS1_3gpuE3ELNS1_3repE0EEENS1_30default_config_static_selectorELNS0_4arch9wavefront6targetE1EEEvT1_
    .private_segment_fixed_size: 0
    .sgpr_count:     4
    .sgpr_spill_count: 0
    .symbol:         _ZN7rocprim17ROCPRIM_400000_NS6detail17trampoline_kernelINS0_14default_configENS1_25partition_config_selectorILNS1_17partition_subalgoE8ElNS0_10empty_typeEbEEZZNS1_14partition_implILS5_8ELb0ES3_jPlPS6_PKS6_NS0_5tupleIJS9_S6_EEENSD_IJSA_SA_EEENS0_18inequality_wrapperIZN2at6native12_GLOBAL__N_124unique_dim_cuda_templateIiEESt5tupleIJNSH_6TensorESM_SM_EERKSM_lbbbEUlllE0_EEPmJS6_EEE10hipError_tPvRmT3_T4_T5_T6_T7_T9_mT8_P12ihipStream_tbDpT10_ENKUlT_T0_E_clISt17integral_constantIbLb0EES1C_EEDaS17_S18_EUlS17_E_NS1_11comp_targetILNS1_3genE9ELNS1_11target_archE1100ELNS1_3gpuE3ELNS1_3repE0EEENS1_30default_config_static_selectorELNS0_4arch9wavefront6targetE1EEEvT1_.kd
    .uniform_work_group_size: 1
    .uses_dynamic_stack: false
    .vgpr_count:     0
    .vgpr_spill_count: 0
    .wavefront_size: 64
  - .agpr_count:     0
    .args:
      - .offset:         0
        .size:           120
        .value_kind:     by_value
    .group_segment_fixed_size: 0
    .kernarg_segment_align: 8
    .kernarg_segment_size: 120
    .language:       OpenCL C
    .language_version:
      - 2
      - 0
    .max_flat_workgroup_size: 512
    .name:           _ZN7rocprim17ROCPRIM_400000_NS6detail17trampoline_kernelINS0_14default_configENS1_25partition_config_selectorILNS1_17partition_subalgoE8ElNS0_10empty_typeEbEEZZNS1_14partition_implILS5_8ELb0ES3_jPlPS6_PKS6_NS0_5tupleIJS9_S6_EEENSD_IJSA_SA_EEENS0_18inequality_wrapperIZN2at6native12_GLOBAL__N_124unique_dim_cuda_templateIiEESt5tupleIJNSH_6TensorESM_SM_EERKSM_lbbbEUlllE0_EEPmJS6_EEE10hipError_tPvRmT3_T4_T5_T6_T7_T9_mT8_P12ihipStream_tbDpT10_ENKUlT_T0_E_clISt17integral_constantIbLb0EES1C_EEDaS17_S18_EUlS17_E_NS1_11comp_targetILNS1_3genE8ELNS1_11target_archE1030ELNS1_3gpuE2ELNS1_3repE0EEENS1_30default_config_static_selectorELNS0_4arch9wavefront6targetE1EEEvT1_
    .private_segment_fixed_size: 0
    .sgpr_count:     4
    .sgpr_spill_count: 0
    .symbol:         _ZN7rocprim17ROCPRIM_400000_NS6detail17trampoline_kernelINS0_14default_configENS1_25partition_config_selectorILNS1_17partition_subalgoE8ElNS0_10empty_typeEbEEZZNS1_14partition_implILS5_8ELb0ES3_jPlPS6_PKS6_NS0_5tupleIJS9_S6_EEENSD_IJSA_SA_EEENS0_18inequality_wrapperIZN2at6native12_GLOBAL__N_124unique_dim_cuda_templateIiEESt5tupleIJNSH_6TensorESM_SM_EERKSM_lbbbEUlllE0_EEPmJS6_EEE10hipError_tPvRmT3_T4_T5_T6_T7_T9_mT8_P12ihipStream_tbDpT10_ENKUlT_T0_E_clISt17integral_constantIbLb0EES1C_EEDaS17_S18_EUlS17_E_NS1_11comp_targetILNS1_3genE8ELNS1_11target_archE1030ELNS1_3gpuE2ELNS1_3repE0EEENS1_30default_config_static_selectorELNS0_4arch9wavefront6targetE1EEEvT1_.kd
    .uniform_work_group_size: 1
    .uses_dynamic_stack: false
    .vgpr_count:     0
    .vgpr_spill_count: 0
    .wavefront_size: 64
  - .agpr_count:     0
    .args:
      - .offset:         0
        .size:           136
        .value_kind:     by_value
    .group_segment_fixed_size: 0
    .kernarg_segment_align: 8
    .kernarg_segment_size: 136
    .language:       OpenCL C
    .language_version:
      - 2
      - 0
    .max_flat_workgroup_size: 512
    .name:           _ZN7rocprim17ROCPRIM_400000_NS6detail17trampoline_kernelINS0_14default_configENS1_25partition_config_selectorILNS1_17partition_subalgoE8ElNS0_10empty_typeEbEEZZNS1_14partition_implILS5_8ELb0ES3_jPlPS6_PKS6_NS0_5tupleIJS9_S6_EEENSD_IJSA_SA_EEENS0_18inequality_wrapperIZN2at6native12_GLOBAL__N_124unique_dim_cuda_templateIiEESt5tupleIJNSH_6TensorESM_SM_EERKSM_lbbbEUlllE0_EEPmJS6_EEE10hipError_tPvRmT3_T4_T5_T6_T7_T9_mT8_P12ihipStream_tbDpT10_ENKUlT_T0_E_clISt17integral_constantIbLb1EES1C_EEDaS17_S18_EUlS17_E_NS1_11comp_targetILNS1_3genE0ELNS1_11target_archE4294967295ELNS1_3gpuE0ELNS1_3repE0EEENS1_30default_config_static_selectorELNS0_4arch9wavefront6targetE1EEEvT1_
    .private_segment_fixed_size: 0
    .sgpr_count:     4
    .sgpr_spill_count: 0
    .symbol:         _ZN7rocprim17ROCPRIM_400000_NS6detail17trampoline_kernelINS0_14default_configENS1_25partition_config_selectorILNS1_17partition_subalgoE8ElNS0_10empty_typeEbEEZZNS1_14partition_implILS5_8ELb0ES3_jPlPS6_PKS6_NS0_5tupleIJS9_S6_EEENSD_IJSA_SA_EEENS0_18inequality_wrapperIZN2at6native12_GLOBAL__N_124unique_dim_cuda_templateIiEESt5tupleIJNSH_6TensorESM_SM_EERKSM_lbbbEUlllE0_EEPmJS6_EEE10hipError_tPvRmT3_T4_T5_T6_T7_T9_mT8_P12ihipStream_tbDpT10_ENKUlT_T0_E_clISt17integral_constantIbLb1EES1C_EEDaS17_S18_EUlS17_E_NS1_11comp_targetILNS1_3genE0ELNS1_11target_archE4294967295ELNS1_3gpuE0ELNS1_3repE0EEENS1_30default_config_static_selectorELNS0_4arch9wavefront6targetE1EEEvT1_.kd
    .uniform_work_group_size: 1
    .uses_dynamic_stack: false
    .vgpr_count:     0
    .vgpr_spill_count: 0
    .wavefront_size: 64
  - .agpr_count:     0
    .args:
      - .offset:         0
        .size:           136
        .value_kind:     by_value
    .group_segment_fixed_size: 0
    .kernarg_segment_align: 8
    .kernarg_segment_size: 136
    .language:       OpenCL C
    .language_version:
      - 2
      - 0
    .max_flat_workgroup_size: 512
    .name:           _ZN7rocprim17ROCPRIM_400000_NS6detail17trampoline_kernelINS0_14default_configENS1_25partition_config_selectorILNS1_17partition_subalgoE8ElNS0_10empty_typeEbEEZZNS1_14partition_implILS5_8ELb0ES3_jPlPS6_PKS6_NS0_5tupleIJS9_S6_EEENSD_IJSA_SA_EEENS0_18inequality_wrapperIZN2at6native12_GLOBAL__N_124unique_dim_cuda_templateIiEESt5tupleIJNSH_6TensorESM_SM_EERKSM_lbbbEUlllE0_EEPmJS6_EEE10hipError_tPvRmT3_T4_T5_T6_T7_T9_mT8_P12ihipStream_tbDpT10_ENKUlT_T0_E_clISt17integral_constantIbLb1EES1C_EEDaS17_S18_EUlS17_E_NS1_11comp_targetILNS1_3genE5ELNS1_11target_archE942ELNS1_3gpuE9ELNS1_3repE0EEENS1_30default_config_static_selectorELNS0_4arch9wavefront6targetE1EEEvT1_
    .private_segment_fixed_size: 0
    .sgpr_count:     4
    .sgpr_spill_count: 0
    .symbol:         _ZN7rocprim17ROCPRIM_400000_NS6detail17trampoline_kernelINS0_14default_configENS1_25partition_config_selectorILNS1_17partition_subalgoE8ElNS0_10empty_typeEbEEZZNS1_14partition_implILS5_8ELb0ES3_jPlPS6_PKS6_NS0_5tupleIJS9_S6_EEENSD_IJSA_SA_EEENS0_18inequality_wrapperIZN2at6native12_GLOBAL__N_124unique_dim_cuda_templateIiEESt5tupleIJNSH_6TensorESM_SM_EERKSM_lbbbEUlllE0_EEPmJS6_EEE10hipError_tPvRmT3_T4_T5_T6_T7_T9_mT8_P12ihipStream_tbDpT10_ENKUlT_T0_E_clISt17integral_constantIbLb1EES1C_EEDaS17_S18_EUlS17_E_NS1_11comp_targetILNS1_3genE5ELNS1_11target_archE942ELNS1_3gpuE9ELNS1_3repE0EEENS1_30default_config_static_selectorELNS0_4arch9wavefront6targetE1EEEvT1_.kd
    .uniform_work_group_size: 1
    .uses_dynamic_stack: false
    .vgpr_count:     0
    .vgpr_spill_count: 0
    .wavefront_size: 64
  - .agpr_count:     0
    .args:
      - .offset:         0
        .size:           136
        .value_kind:     by_value
    .group_segment_fixed_size: 10252
    .kernarg_segment_align: 8
    .kernarg_segment_size: 136
    .language:       OpenCL C
    .language_version:
      - 2
      - 0
    .max_flat_workgroup_size: 256
    .name:           _ZN7rocprim17ROCPRIM_400000_NS6detail17trampoline_kernelINS0_14default_configENS1_25partition_config_selectorILNS1_17partition_subalgoE8ElNS0_10empty_typeEbEEZZNS1_14partition_implILS5_8ELb0ES3_jPlPS6_PKS6_NS0_5tupleIJS9_S6_EEENSD_IJSA_SA_EEENS0_18inequality_wrapperIZN2at6native12_GLOBAL__N_124unique_dim_cuda_templateIiEESt5tupleIJNSH_6TensorESM_SM_EERKSM_lbbbEUlllE0_EEPmJS6_EEE10hipError_tPvRmT3_T4_T5_T6_T7_T9_mT8_P12ihipStream_tbDpT10_ENKUlT_T0_E_clISt17integral_constantIbLb1EES1C_EEDaS17_S18_EUlS17_E_NS1_11comp_targetILNS1_3genE4ELNS1_11target_archE910ELNS1_3gpuE8ELNS1_3repE0EEENS1_30default_config_static_selectorELNS0_4arch9wavefront6targetE1EEEvT1_
    .private_segment_fixed_size: 0
    .sgpr_count:     56
    .sgpr_spill_count: 0
    .symbol:         _ZN7rocprim17ROCPRIM_400000_NS6detail17trampoline_kernelINS0_14default_configENS1_25partition_config_selectorILNS1_17partition_subalgoE8ElNS0_10empty_typeEbEEZZNS1_14partition_implILS5_8ELb0ES3_jPlPS6_PKS6_NS0_5tupleIJS9_S6_EEENSD_IJSA_SA_EEENS0_18inequality_wrapperIZN2at6native12_GLOBAL__N_124unique_dim_cuda_templateIiEESt5tupleIJNSH_6TensorESM_SM_EERKSM_lbbbEUlllE0_EEPmJS6_EEE10hipError_tPvRmT3_T4_T5_T6_T7_T9_mT8_P12ihipStream_tbDpT10_ENKUlT_T0_E_clISt17integral_constantIbLb1EES1C_EEDaS17_S18_EUlS17_E_NS1_11comp_targetILNS1_3genE4ELNS1_11target_archE910ELNS1_3gpuE8ELNS1_3repE0EEENS1_30default_config_static_selectorELNS0_4arch9wavefront6targetE1EEEvT1_.kd
    .uniform_work_group_size: 1
    .uses_dynamic_stack: false
    .vgpr_count:     46
    .vgpr_spill_count: 0
    .wavefront_size: 64
  - .agpr_count:     0
    .args:
      - .offset:         0
        .size:           136
        .value_kind:     by_value
    .group_segment_fixed_size: 0
    .kernarg_segment_align: 8
    .kernarg_segment_size: 136
    .language:       OpenCL C
    .language_version:
      - 2
      - 0
    .max_flat_workgroup_size: 512
    .name:           _ZN7rocprim17ROCPRIM_400000_NS6detail17trampoline_kernelINS0_14default_configENS1_25partition_config_selectorILNS1_17partition_subalgoE8ElNS0_10empty_typeEbEEZZNS1_14partition_implILS5_8ELb0ES3_jPlPS6_PKS6_NS0_5tupleIJS9_S6_EEENSD_IJSA_SA_EEENS0_18inequality_wrapperIZN2at6native12_GLOBAL__N_124unique_dim_cuda_templateIiEESt5tupleIJNSH_6TensorESM_SM_EERKSM_lbbbEUlllE0_EEPmJS6_EEE10hipError_tPvRmT3_T4_T5_T6_T7_T9_mT8_P12ihipStream_tbDpT10_ENKUlT_T0_E_clISt17integral_constantIbLb1EES1C_EEDaS17_S18_EUlS17_E_NS1_11comp_targetILNS1_3genE3ELNS1_11target_archE908ELNS1_3gpuE7ELNS1_3repE0EEENS1_30default_config_static_selectorELNS0_4arch9wavefront6targetE1EEEvT1_
    .private_segment_fixed_size: 0
    .sgpr_count:     4
    .sgpr_spill_count: 0
    .symbol:         _ZN7rocprim17ROCPRIM_400000_NS6detail17trampoline_kernelINS0_14default_configENS1_25partition_config_selectorILNS1_17partition_subalgoE8ElNS0_10empty_typeEbEEZZNS1_14partition_implILS5_8ELb0ES3_jPlPS6_PKS6_NS0_5tupleIJS9_S6_EEENSD_IJSA_SA_EEENS0_18inequality_wrapperIZN2at6native12_GLOBAL__N_124unique_dim_cuda_templateIiEESt5tupleIJNSH_6TensorESM_SM_EERKSM_lbbbEUlllE0_EEPmJS6_EEE10hipError_tPvRmT3_T4_T5_T6_T7_T9_mT8_P12ihipStream_tbDpT10_ENKUlT_T0_E_clISt17integral_constantIbLb1EES1C_EEDaS17_S18_EUlS17_E_NS1_11comp_targetILNS1_3genE3ELNS1_11target_archE908ELNS1_3gpuE7ELNS1_3repE0EEENS1_30default_config_static_selectorELNS0_4arch9wavefront6targetE1EEEvT1_.kd
    .uniform_work_group_size: 1
    .uses_dynamic_stack: false
    .vgpr_count:     0
    .vgpr_spill_count: 0
    .wavefront_size: 64
  - .agpr_count:     0
    .args:
      - .offset:         0
        .size:           136
        .value_kind:     by_value
    .group_segment_fixed_size: 0
    .kernarg_segment_align: 8
    .kernarg_segment_size: 136
    .language:       OpenCL C
    .language_version:
      - 2
      - 0
    .max_flat_workgroup_size: 256
    .name:           _ZN7rocprim17ROCPRIM_400000_NS6detail17trampoline_kernelINS0_14default_configENS1_25partition_config_selectorILNS1_17partition_subalgoE8ElNS0_10empty_typeEbEEZZNS1_14partition_implILS5_8ELb0ES3_jPlPS6_PKS6_NS0_5tupleIJS9_S6_EEENSD_IJSA_SA_EEENS0_18inequality_wrapperIZN2at6native12_GLOBAL__N_124unique_dim_cuda_templateIiEESt5tupleIJNSH_6TensorESM_SM_EERKSM_lbbbEUlllE0_EEPmJS6_EEE10hipError_tPvRmT3_T4_T5_T6_T7_T9_mT8_P12ihipStream_tbDpT10_ENKUlT_T0_E_clISt17integral_constantIbLb1EES1C_EEDaS17_S18_EUlS17_E_NS1_11comp_targetILNS1_3genE2ELNS1_11target_archE906ELNS1_3gpuE6ELNS1_3repE0EEENS1_30default_config_static_selectorELNS0_4arch9wavefront6targetE1EEEvT1_
    .private_segment_fixed_size: 0
    .sgpr_count:     4
    .sgpr_spill_count: 0
    .symbol:         _ZN7rocprim17ROCPRIM_400000_NS6detail17trampoline_kernelINS0_14default_configENS1_25partition_config_selectorILNS1_17partition_subalgoE8ElNS0_10empty_typeEbEEZZNS1_14partition_implILS5_8ELb0ES3_jPlPS6_PKS6_NS0_5tupleIJS9_S6_EEENSD_IJSA_SA_EEENS0_18inequality_wrapperIZN2at6native12_GLOBAL__N_124unique_dim_cuda_templateIiEESt5tupleIJNSH_6TensorESM_SM_EERKSM_lbbbEUlllE0_EEPmJS6_EEE10hipError_tPvRmT3_T4_T5_T6_T7_T9_mT8_P12ihipStream_tbDpT10_ENKUlT_T0_E_clISt17integral_constantIbLb1EES1C_EEDaS17_S18_EUlS17_E_NS1_11comp_targetILNS1_3genE2ELNS1_11target_archE906ELNS1_3gpuE6ELNS1_3repE0EEENS1_30default_config_static_selectorELNS0_4arch9wavefront6targetE1EEEvT1_.kd
    .uniform_work_group_size: 1
    .uses_dynamic_stack: false
    .vgpr_count:     0
    .vgpr_spill_count: 0
    .wavefront_size: 64
  - .agpr_count:     0
    .args:
      - .offset:         0
        .size:           136
        .value_kind:     by_value
    .group_segment_fixed_size: 0
    .kernarg_segment_align: 8
    .kernarg_segment_size: 136
    .language:       OpenCL C
    .language_version:
      - 2
      - 0
    .max_flat_workgroup_size: 384
    .name:           _ZN7rocprim17ROCPRIM_400000_NS6detail17trampoline_kernelINS0_14default_configENS1_25partition_config_selectorILNS1_17partition_subalgoE8ElNS0_10empty_typeEbEEZZNS1_14partition_implILS5_8ELb0ES3_jPlPS6_PKS6_NS0_5tupleIJS9_S6_EEENSD_IJSA_SA_EEENS0_18inequality_wrapperIZN2at6native12_GLOBAL__N_124unique_dim_cuda_templateIiEESt5tupleIJNSH_6TensorESM_SM_EERKSM_lbbbEUlllE0_EEPmJS6_EEE10hipError_tPvRmT3_T4_T5_T6_T7_T9_mT8_P12ihipStream_tbDpT10_ENKUlT_T0_E_clISt17integral_constantIbLb1EES1C_EEDaS17_S18_EUlS17_E_NS1_11comp_targetILNS1_3genE10ELNS1_11target_archE1200ELNS1_3gpuE4ELNS1_3repE0EEENS1_30default_config_static_selectorELNS0_4arch9wavefront6targetE1EEEvT1_
    .private_segment_fixed_size: 0
    .sgpr_count:     4
    .sgpr_spill_count: 0
    .symbol:         _ZN7rocprim17ROCPRIM_400000_NS6detail17trampoline_kernelINS0_14default_configENS1_25partition_config_selectorILNS1_17partition_subalgoE8ElNS0_10empty_typeEbEEZZNS1_14partition_implILS5_8ELb0ES3_jPlPS6_PKS6_NS0_5tupleIJS9_S6_EEENSD_IJSA_SA_EEENS0_18inequality_wrapperIZN2at6native12_GLOBAL__N_124unique_dim_cuda_templateIiEESt5tupleIJNSH_6TensorESM_SM_EERKSM_lbbbEUlllE0_EEPmJS6_EEE10hipError_tPvRmT3_T4_T5_T6_T7_T9_mT8_P12ihipStream_tbDpT10_ENKUlT_T0_E_clISt17integral_constantIbLb1EES1C_EEDaS17_S18_EUlS17_E_NS1_11comp_targetILNS1_3genE10ELNS1_11target_archE1200ELNS1_3gpuE4ELNS1_3repE0EEENS1_30default_config_static_selectorELNS0_4arch9wavefront6targetE1EEEvT1_.kd
    .uniform_work_group_size: 1
    .uses_dynamic_stack: false
    .vgpr_count:     0
    .vgpr_spill_count: 0
    .wavefront_size: 64
  - .agpr_count:     0
    .args:
      - .offset:         0
        .size:           136
        .value_kind:     by_value
    .group_segment_fixed_size: 0
    .kernarg_segment_align: 8
    .kernarg_segment_size: 136
    .language:       OpenCL C
    .language_version:
      - 2
      - 0
    .max_flat_workgroup_size: 512
    .name:           _ZN7rocprim17ROCPRIM_400000_NS6detail17trampoline_kernelINS0_14default_configENS1_25partition_config_selectorILNS1_17partition_subalgoE8ElNS0_10empty_typeEbEEZZNS1_14partition_implILS5_8ELb0ES3_jPlPS6_PKS6_NS0_5tupleIJS9_S6_EEENSD_IJSA_SA_EEENS0_18inequality_wrapperIZN2at6native12_GLOBAL__N_124unique_dim_cuda_templateIiEESt5tupleIJNSH_6TensorESM_SM_EERKSM_lbbbEUlllE0_EEPmJS6_EEE10hipError_tPvRmT3_T4_T5_T6_T7_T9_mT8_P12ihipStream_tbDpT10_ENKUlT_T0_E_clISt17integral_constantIbLb1EES1C_EEDaS17_S18_EUlS17_E_NS1_11comp_targetILNS1_3genE9ELNS1_11target_archE1100ELNS1_3gpuE3ELNS1_3repE0EEENS1_30default_config_static_selectorELNS0_4arch9wavefront6targetE1EEEvT1_
    .private_segment_fixed_size: 0
    .sgpr_count:     4
    .sgpr_spill_count: 0
    .symbol:         _ZN7rocprim17ROCPRIM_400000_NS6detail17trampoline_kernelINS0_14default_configENS1_25partition_config_selectorILNS1_17partition_subalgoE8ElNS0_10empty_typeEbEEZZNS1_14partition_implILS5_8ELb0ES3_jPlPS6_PKS6_NS0_5tupleIJS9_S6_EEENSD_IJSA_SA_EEENS0_18inequality_wrapperIZN2at6native12_GLOBAL__N_124unique_dim_cuda_templateIiEESt5tupleIJNSH_6TensorESM_SM_EERKSM_lbbbEUlllE0_EEPmJS6_EEE10hipError_tPvRmT3_T4_T5_T6_T7_T9_mT8_P12ihipStream_tbDpT10_ENKUlT_T0_E_clISt17integral_constantIbLb1EES1C_EEDaS17_S18_EUlS17_E_NS1_11comp_targetILNS1_3genE9ELNS1_11target_archE1100ELNS1_3gpuE3ELNS1_3repE0EEENS1_30default_config_static_selectorELNS0_4arch9wavefront6targetE1EEEvT1_.kd
    .uniform_work_group_size: 1
    .uses_dynamic_stack: false
    .vgpr_count:     0
    .vgpr_spill_count: 0
    .wavefront_size: 64
  - .agpr_count:     0
    .args:
      - .offset:         0
        .size:           136
        .value_kind:     by_value
    .group_segment_fixed_size: 0
    .kernarg_segment_align: 8
    .kernarg_segment_size: 136
    .language:       OpenCL C
    .language_version:
      - 2
      - 0
    .max_flat_workgroup_size: 512
    .name:           _ZN7rocprim17ROCPRIM_400000_NS6detail17trampoline_kernelINS0_14default_configENS1_25partition_config_selectorILNS1_17partition_subalgoE8ElNS0_10empty_typeEbEEZZNS1_14partition_implILS5_8ELb0ES3_jPlPS6_PKS6_NS0_5tupleIJS9_S6_EEENSD_IJSA_SA_EEENS0_18inequality_wrapperIZN2at6native12_GLOBAL__N_124unique_dim_cuda_templateIiEESt5tupleIJNSH_6TensorESM_SM_EERKSM_lbbbEUlllE0_EEPmJS6_EEE10hipError_tPvRmT3_T4_T5_T6_T7_T9_mT8_P12ihipStream_tbDpT10_ENKUlT_T0_E_clISt17integral_constantIbLb1EES1C_EEDaS17_S18_EUlS17_E_NS1_11comp_targetILNS1_3genE8ELNS1_11target_archE1030ELNS1_3gpuE2ELNS1_3repE0EEENS1_30default_config_static_selectorELNS0_4arch9wavefront6targetE1EEEvT1_
    .private_segment_fixed_size: 0
    .sgpr_count:     4
    .sgpr_spill_count: 0
    .symbol:         _ZN7rocprim17ROCPRIM_400000_NS6detail17trampoline_kernelINS0_14default_configENS1_25partition_config_selectorILNS1_17partition_subalgoE8ElNS0_10empty_typeEbEEZZNS1_14partition_implILS5_8ELb0ES3_jPlPS6_PKS6_NS0_5tupleIJS9_S6_EEENSD_IJSA_SA_EEENS0_18inequality_wrapperIZN2at6native12_GLOBAL__N_124unique_dim_cuda_templateIiEESt5tupleIJNSH_6TensorESM_SM_EERKSM_lbbbEUlllE0_EEPmJS6_EEE10hipError_tPvRmT3_T4_T5_T6_T7_T9_mT8_P12ihipStream_tbDpT10_ENKUlT_T0_E_clISt17integral_constantIbLb1EES1C_EEDaS17_S18_EUlS17_E_NS1_11comp_targetILNS1_3genE8ELNS1_11target_archE1030ELNS1_3gpuE2ELNS1_3repE0EEENS1_30default_config_static_selectorELNS0_4arch9wavefront6targetE1EEEvT1_.kd
    .uniform_work_group_size: 1
    .uses_dynamic_stack: false
    .vgpr_count:     0
    .vgpr_spill_count: 0
    .wavefront_size: 64
  - .agpr_count:     0
    .args:
      - .offset:         0
        .size:           120
        .value_kind:     by_value
    .group_segment_fixed_size: 0
    .kernarg_segment_align: 8
    .kernarg_segment_size: 120
    .language:       OpenCL C
    .language_version:
      - 2
      - 0
    .max_flat_workgroup_size: 512
    .name:           _ZN7rocprim17ROCPRIM_400000_NS6detail17trampoline_kernelINS0_14default_configENS1_25partition_config_selectorILNS1_17partition_subalgoE8ElNS0_10empty_typeEbEEZZNS1_14partition_implILS5_8ELb0ES3_jPlPS6_PKS6_NS0_5tupleIJS9_S6_EEENSD_IJSA_SA_EEENS0_18inequality_wrapperIZN2at6native12_GLOBAL__N_124unique_dim_cuda_templateIiEESt5tupleIJNSH_6TensorESM_SM_EERKSM_lbbbEUlllE0_EEPmJS6_EEE10hipError_tPvRmT3_T4_T5_T6_T7_T9_mT8_P12ihipStream_tbDpT10_ENKUlT_T0_E_clISt17integral_constantIbLb1EES1B_IbLb0EEEEDaS17_S18_EUlS17_E_NS1_11comp_targetILNS1_3genE0ELNS1_11target_archE4294967295ELNS1_3gpuE0ELNS1_3repE0EEENS1_30default_config_static_selectorELNS0_4arch9wavefront6targetE1EEEvT1_
    .private_segment_fixed_size: 0
    .sgpr_count:     4
    .sgpr_spill_count: 0
    .symbol:         _ZN7rocprim17ROCPRIM_400000_NS6detail17trampoline_kernelINS0_14default_configENS1_25partition_config_selectorILNS1_17partition_subalgoE8ElNS0_10empty_typeEbEEZZNS1_14partition_implILS5_8ELb0ES3_jPlPS6_PKS6_NS0_5tupleIJS9_S6_EEENSD_IJSA_SA_EEENS0_18inequality_wrapperIZN2at6native12_GLOBAL__N_124unique_dim_cuda_templateIiEESt5tupleIJNSH_6TensorESM_SM_EERKSM_lbbbEUlllE0_EEPmJS6_EEE10hipError_tPvRmT3_T4_T5_T6_T7_T9_mT8_P12ihipStream_tbDpT10_ENKUlT_T0_E_clISt17integral_constantIbLb1EES1B_IbLb0EEEEDaS17_S18_EUlS17_E_NS1_11comp_targetILNS1_3genE0ELNS1_11target_archE4294967295ELNS1_3gpuE0ELNS1_3repE0EEENS1_30default_config_static_selectorELNS0_4arch9wavefront6targetE1EEEvT1_.kd
    .uniform_work_group_size: 1
    .uses_dynamic_stack: false
    .vgpr_count:     0
    .vgpr_spill_count: 0
    .wavefront_size: 64
  - .agpr_count:     0
    .args:
      - .offset:         0
        .size:           120
        .value_kind:     by_value
    .group_segment_fixed_size: 0
    .kernarg_segment_align: 8
    .kernarg_segment_size: 120
    .language:       OpenCL C
    .language_version:
      - 2
      - 0
    .max_flat_workgroup_size: 512
    .name:           _ZN7rocprim17ROCPRIM_400000_NS6detail17trampoline_kernelINS0_14default_configENS1_25partition_config_selectorILNS1_17partition_subalgoE8ElNS0_10empty_typeEbEEZZNS1_14partition_implILS5_8ELb0ES3_jPlPS6_PKS6_NS0_5tupleIJS9_S6_EEENSD_IJSA_SA_EEENS0_18inequality_wrapperIZN2at6native12_GLOBAL__N_124unique_dim_cuda_templateIiEESt5tupleIJNSH_6TensorESM_SM_EERKSM_lbbbEUlllE0_EEPmJS6_EEE10hipError_tPvRmT3_T4_T5_T6_T7_T9_mT8_P12ihipStream_tbDpT10_ENKUlT_T0_E_clISt17integral_constantIbLb1EES1B_IbLb0EEEEDaS17_S18_EUlS17_E_NS1_11comp_targetILNS1_3genE5ELNS1_11target_archE942ELNS1_3gpuE9ELNS1_3repE0EEENS1_30default_config_static_selectorELNS0_4arch9wavefront6targetE1EEEvT1_
    .private_segment_fixed_size: 0
    .sgpr_count:     4
    .sgpr_spill_count: 0
    .symbol:         _ZN7rocprim17ROCPRIM_400000_NS6detail17trampoline_kernelINS0_14default_configENS1_25partition_config_selectorILNS1_17partition_subalgoE8ElNS0_10empty_typeEbEEZZNS1_14partition_implILS5_8ELb0ES3_jPlPS6_PKS6_NS0_5tupleIJS9_S6_EEENSD_IJSA_SA_EEENS0_18inequality_wrapperIZN2at6native12_GLOBAL__N_124unique_dim_cuda_templateIiEESt5tupleIJNSH_6TensorESM_SM_EERKSM_lbbbEUlllE0_EEPmJS6_EEE10hipError_tPvRmT3_T4_T5_T6_T7_T9_mT8_P12ihipStream_tbDpT10_ENKUlT_T0_E_clISt17integral_constantIbLb1EES1B_IbLb0EEEEDaS17_S18_EUlS17_E_NS1_11comp_targetILNS1_3genE5ELNS1_11target_archE942ELNS1_3gpuE9ELNS1_3repE0EEENS1_30default_config_static_selectorELNS0_4arch9wavefront6targetE1EEEvT1_.kd
    .uniform_work_group_size: 1
    .uses_dynamic_stack: false
    .vgpr_count:     0
    .vgpr_spill_count: 0
    .wavefront_size: 64
  - .agpr_count:     0
    .args:
      - .offset:         0
        .size:           120
        .value_kind:     by_value
    .group_segment_fixed_size: 10252
    .kernarg_segment_align: 8
    .kernarg_segment_size: 120
    .language:       OpenCL C
    .language_version:
      - 2
      - 0
    .max_flat_workgroup_size: 256
    .name:           _ZN7rocprim17ROCPRIM_400000_NS6detail17trampoline_kernelINS0_14default_configENS1_25partition_config_selectorILNS1_17partition_subalgoE8ElNS0_10empty_typeEbEEZZNS1_14partition_implILS5_8ELb0ES3_jPlPS6_PKS6_NS0_5tupleIJS9_S6_EEENSD_IJSA_SA_EEENS0_18inequality_wrapperIZN2at6native12_GLOBAL__N_124unique_dim_cuda_templateIiEESt5tupleIJNSH_6TensorESM_SM_EERKSM_lbbbEUlllE0_EEPmJS6_EEE10hipError_tPvRmT3_T4_T5_T6_T7_T9_mT8_P12ihipStream_tbDpT10_ENKUlT_T0_E_clISt17integral_constantIbLb1EES1B_IbLb0EEEEDaS17_S18_EUlS17_E_NS1_11comp_targetILNS1_3genE4ELNS1_11target_archE910ELNS1_3gpuE8ELNS1_3repE0EEENS1_30default_config_static_selectorELNS0_4arch9wavefront6targetE1EEEvT1_
    .private_segment_fixed_size: 0
    .sgpr_count:     52
    .sgpr_spill_count: 0
    .symbol:         _ZN7rocprim17ROCPRIM_400000_NS6detail17trampoline_kernelINS0_14default_configENS1_25partition_config_selectorILNS1_17partition_subalgoE8ElNS0_10empty_typeEbEEZZNS1_14partition_implILS5_8ELb0ES3_jPlPS6_PKS6_NS0_5tupleIJS9_S6_EEENSD_IJSA_SA_EEENS0_18inequality_wrapperIZN2at6native12_GLOBAL__N_124unique_dim_cuda_templateIiEESt5tupleIJNSH_6TensorESM_SM_EERKSM_lbbbEUlllE0_EEPmJS6_EEE10hipError_tPvRmT3_T4_T5_T6_T7_T9_mT8_P12ihipStream_tbDpT10_ENKUlT_T0_E_clISt17integral_constantIbLb1EES1B_IbLb0EEEEDaS17_S18_EUlS17_E_NS1_11comp_targetILNS1_3genE4ELNS1_11target_archE910ELNS1_3gpuE8ELNS1_3repE0EEENS1_30default_config_static_selectorELNS0_4arch9wavefront6targetE1EEEvT1_.kd
    .uniform_work_group_size: 1
    .uses_dynamic_stack: false
    .vgpr_count:     46
    .vgpr_spill_count: 0
    .wavefront_size: 64
  - .agpr_count:     0
    .args:
      - .offset:         0
        .size:           120
        .value_kind:     by_value
    .group_segment_fixed_size: 0
    .kernarg_segment_align: 8
    .kernarg_segment_size: 120
    .language:       OpenCL C
    .language_version:
      - 2
      - 0
    .max_flat_workgroup_size: 512
    .name:           _ZN7rocprim17ROCPRIM_400000_NS6detail17trampoline_kernelINS0_14default_configENS1_25partition_config_selectorILNS1_17partition_subalgoE8ElNS0_10empty_typeEbEEZZNS1_14partition_implILS5_8ELb0ES3_jPlPS6_PKS6_NS0_5tupleIJS9_S6_EEENSD_IJSA_SA_EEENS0_18inequality_wrapperIZN2at6native12_GLOBAL__N_124unique_dim_cuda_templateIiEESt5tupleIJNSH_6TensorESM_SM_EERKSM_lbbbEUlllE0_EEPmJS6_EEE10hipError_tPvRmT3_T4_T5_T6_T7_T9_mT8_P12ihipStream_tbDpT10_ENKUlT_T0_E_clISt17integral_constantIbLb1EES1B_IbLb0EEEEDaS17_S18_EUlS17_E_NS1_11comp_targetILNS1_3genE3ELNS1_11target_archE908ELNS1_3gpuE7ELNS1_3repE0EEENS1_30default_config_static_selectorELNS0_4arch9wavefront6targetE1EEEvT1_
    .private_segment_fixed_size: 0
    .sgpr_count:     4
    .sgpr_spill_count: 0
    .symbol:         _ZN7rocprim17ROCPRIM_400000_NS6detail17trampoline_kernelINS0_14default_configENS1_25partition_config_selectorILNS1_17partition_subalgoE8ElNS0_10empty_typeEbEEZZNS1_14partition_implILS5_8ELb0ES3_jPlPS6_PKS6_NS0_5tupleIJS9_S6_EEENSD_IJSA_SA_EEENS0_18inequality_wrapperIZN2at6native12_GLOBAL__N_124unique_dim_cuda_templateIiEESt5tupleIJNSH_6TensorESM_SM_EERKSM_lbbbEUlllE0_EEPmJS6_EEE10hipError_tPvRmT3_T4_T5_T6_T7_T9_mT8_P12ihipStream_tbDpT10_ENKUlT_T0_E_clISt17integral_constantIbLb1EES1B_IbLb0EEEEDaS17_S18_EUlS17_E_NS1_11comp_targetILNS1_3genE3ELNS1_11target_archE908ELNS1_3gpuE7ELNS1_3repE0EEENS1_30default_config_static_selectorELNS0_4arch9wavefront6targetE1EEEvT1_.kd
    .uniform_work_group_size: 1
    .uses_dynamic_stack: false
    .vgpr_count:     0
    .vgpr_spill_count: 0
    .wavefront_size: 64
  - .agpr_count:     0
    .args:
      - .offset:         0
        .size:           120
        .value_kind:     by_value
    .group_segment_fixed_size: 0
    .kernarg_segment_align: 8
    .kernarg_segment_size: 120
    .language:       OpenCL C
    .language_version:
      - 2
      - 0
    .max_flat_workgroup_size: 256
    .name:           _ZN7rocprim17ROCPRIM_400000_NS6detail17trampoline_kernelINS0_14default_configENS1_25partition_config_selectorILNS1_17partition_subalgoE8ElNS0_10empty_typeEbEEZZNS1_14partition_implILS5_8ELb0ES3_jPlPS6_PKS6_NS0_5tupleIJS9_S6_EEENSD_IJSA_SA_EEENS0_18inequality_wrapperIZN2at6native12_GLOBAL__N_124unique_dim_cuda_templateIiEESt5tupleIJNSH_6TensorESM_SM_EERKSM_lbbbEUlllE0_EEPmJS6_EEE10hipError_tPvRmT3_T4_T5_T6_T7_T9_mT8_P12ihipStream_tbDpT10_ENKUlT_T0_E_clISt17integral_constantIbLb1EES1B_IbLb0EEEEDaS17_S18_EUlS17_E_NS1_11comp_targetILNS1_3genE2ELNS1_11target_archE906ELNS1_3gpuE6ELNS1_3repE0EEENS1_30default_config_static_selectorELNS0_4arch9wavefront6targetE1EEEvT1_
    .private_segment_fixed_size: 0
    .sgpr_count:     4
    .sgpr_spill_count: 0
    .symbol:         _ZN7rocprim17ROCPRIM_400000_NS6detail17trampoline_kernelINS0_14default_configENS1_25partition_config_selectorILNS1_17partition_subalgoE8ElNS0_10empty_typeEbEEZZNS1_14partition_implILS5_8ELb0ES3_jPlPS6_PKS6_NS0_5tupleIJS9_S6_EEENSD_IJSA_SA_EEENS0_18inequality_wrapperIZN2at6native12_GLOBAL__N_124unique_dim_cuda_templateIiEESt5tupleIJNSH_6TensorESM_SM_EERKSM_lbbbEUlllE0_EEPmJS6_EEE10hipError_tPvRmT3_T4_T5_T6_T7_T9_mT8_P12ihipStream_tbDpT10_ENKUlT_T0_E_clISt17integral_constantIbLb1EES1B_IbLb0EEEEDaS17_S18_EUlS17_E_NS1_11comp_targetILNS1_3genE2ELNS1_11target_archE906ELNS1_3gpuE6ELNS1_3repE0EEENS1_30default_config_static_selectorELNS0_4arch9wavefront6targetE1EEEvT1_.kd
    .uniform_work_group_size: 1
    .uses_dynamic_stack: false
    .vgpr_count:     0
    .vgpr_spill_count: 0
    .wavefront_size: 64
  - .agpr_count:     0
    .args:
      - .offset:         0
        .size:           120
        .value_kind:     by_value
    .group_segment_fixed_size: 0
    .kernarg_segment_align: 8
    .kernarg_segment_size: 120
    .language:       OpenCL C
    .language_version:
      - 2
      - 0
    .max_flat_workgroup_size: 384
    .name:           _ZN7rocprim17ROCPRIM_400000_NS6detail17trampoline_kernelINS0_14default_configENS1_25partition_config_selectorILNS1_17partition_subalgoE8ElNS0_10empty_typeEbEEZZNS1_14partition_implILS5_8ELb0ES3_jPlPS6_PKS6_NS0_5tupleIJS9_S6_EEENSD_IJSA_SA_EEENS0_18inequality_wrapperIZN2at6native12_GLOBAL__N_124unique_dim_cuda_templateIiEESt5tupleIJNSH_6TensorESM_SM_EERKSM_lbbbEUlllE0_EEPmJS6_EEE10hipError_tPvRmT3_T4_T5_T6_T7_T9_mT8_P12ihipStream_tbDpT10_ENKUlT_T0_E_clISt17integral_constantIbLb1EES1B_IbLb0EEEEDaS17_S18_EUlS17_E_NS1_11comp_targetILNS1_3genE10ELNS1_11target_archE1200ELNS1_3gpuE4ELNS1_3repE0EEENS1_30default_config_static_selectorELNS0_4arch9wavefront6targetE1EEEvT1_
    .private_segment_fixed_size: 0
    .sgpr_count:     4
    .sgpr_spill_count: 0
    .symbol:         _ZN7rocprim17ROCPRIM_400000_NS6detail17trampoline_kernelINS0_14default_configENS1_25partition_config_selectorILNS1_17partition_subalgoE8ElNS0_10empty_typeEbEEZZNS1_14partition_implILS5_8ELb0ES3_jPlPS6_PKS6_NS0_5tupleIJS9_S6_EEENSD_IJSA_SA_EEENS0_18inequality_wrapperIZN2at6native12_GLOBAL__N_124unique_dim_cuda_templateIiEESt5tupleIJNSH_6TensorESM_SM_EERKSM_lbbbEUlllE0_EEPmJS6_EEE10hipError_tPvRmT3_T4_T5_T6_T7_T9_mT8_P12ihipStream_tbDpT10_ENKUlT_T0_E_clISt17integral_constantIbLb1EES1B_IbLb0EEEEDaS17_S18_EUlS17_E_NS1_11comp_targetILNS1_3genE10ELNS1_11target_archE1200ELNS1_3gpuE4ELNS1_3repE0EEENS1_30default_config_static_selectorELNS0_4arch9wavefront6targetE1EEEvT1_.kd
    .uniform_work_group_size: 1
    .uses_dynamic_stack: false
    .vgpr_count:     0
    .vgpr_spill_count: 0
    .wavefront_size: 64
  - .agpr_count:     0
    .args:
      - .offset:         0
        .size:           120
        .value_kind:     by_value
    .group_segment_fixed_size: 0
    .kernarg_segment_align: 8
    .kernarg_segment_size: 120
    .language:       OpenCL C
    .language_version:
      - 2
      - 0
    .max_flat_workgroup_size: 512
    .name:           _ZN7rocprim17ROCPRIM_400000_NS6detail17trampoline_kernelINS0_14default_configENS1_25partition_config_selectorILNS1_17partition_subalgoE8ElNS0_10empty_typeEbEEZZNS1_14partition_implILS5_8ELb0ES3_jPlPS6_PKS6_NS0_5tupleIJS9_S6_EEENSD_IJSA_SA_EEENS0_18inequality_wrapperIZN2at6native12_GLOBAL__N_124unique_dim_cuda_templateIiEESt5tupleIJNSH_6TensorESM_SM_EERKSM_lbbbEUlllE0_EEPmJS6_EEE10hipError_tPvRmT3_T4_T5_T6_T7_T9_mT8_P12ihipStream_tbDpT10_ENKUlT_T0_E_clISt17integral_constantIbLb1EES1B_IbLb0EEEEDaS17_S18_EUlS17_E_NS1_11comp_targetILNS1_3genE9ELNS1_11target_archE1100ELNS1_3gpuE3ELNS1_3repE0EEENS1_30default_config_static_selectorELNS0_4arch9wavefront6targetE1EEEvT1_
    .private_segment_fixed_size: 0
    .sgpr_count:     4
    .sgpr_spill_count: 0
    .symbol:         _ZN7rocprim17ROCPRIM_400000_NS6detail17trampoline_kernelINS0_14default_configENS1_25partition_config_selectorILNS1_17partition_subalgoE8ElNS0_10empty_typeEbEEZZNS1_14partition_implILS5_8ELb0ES3_jPlPS6_PKS6_NS0_5tupleIJS9_S6_EEENSD_IJSA_SA_EEENS0_18inequality_wrapperIZN2at6native12_GLOBAL__N_124unique_dim_cuda_templateIiEESt5tupleIJNSH_6TensorESM_SM_EERKSM_lbbbEUlllE0_EEPmJS6_EEE10hipError_tPvRmT3_T4_T5_T6_T7_T9_mT8_P12ihipStream_tbDpT10_ENKUlT_T0_E_clISt17integral_constantIbLb1EES1B_IbLb0EEEEDaS17_S18_EUlS17_E_NS1_11comp_targetILNS1_3genE9ELNS1_11target_archE1100ELNS1_3gpuE3ELNS1_3repE0EEENS1_30default_config_static_selectorELNS0_4arch9wavefront6targetE1EEEvT1_.kd
    .uniform_work_group_size: 1
    .uses_dynamic_stack: false
    .vgpr_count:     0
    .vgpr_spill_count: 0
    .wavefront_size: 64
  - .agpr_count:     0
    .args:
      - .offset:         0
        .size:           120
        .value_kind:     by_value
    .group_segment_fixed_size: 0
    .kernarg_segment_align: 8
    .kernarg_segment_size: 120
    .language:       OpenCL C
    .language_version:
      - 2
      - 0
    .max_flat_workgroup_size: 512
    .name:           _ZN7rocprim17ROCPRIM_400000_NS6detail17trampoline_kernelINS0_14default_configENS1_25partition_config_selectorILNS1_17partition_subalgoE8ElNS0_10empty_typeEbEEZZNS1_14partition_implILS5_8ELb0ES3_jPlPS6_PKS6_NS0_5tupleIJS9_S6_EEENSD_IJSA_SA_EEENS0_18inequality_wrapperIZN2at6native12_GLOBAL__N_124unique_dim_cuda_templateIiEESt5tupleIJNSH_6TensorESM_SM_EERKSM_lbbbEUlllE0_EEPmJS6_EEE10hipError_tPvRmT3_T4_T5_T6_T7_T9_mT8_P12ihipStream_tbDpT10_ENKUlT_T0_E_clISt17integral_constantIbLb1EES1B_IbLb0EEEEDaS17_S18_EUlS17_E_NS1_11comp_targetILNS1_3genE8ELNS1_11target_archE1030ELNS1_3gpuE2ELNS1_3repE0EEENS1_30default_config_static_selectorELNS0_4arch9wavefront6targetE1EEEvT1_
    .private_segment_fixed_size: 0
    .sgpr_count:     4
    .sgpr_spill_count: 0
    .symbol:         _ZN7rocprim17ROCPRIM_400000_NS6detail17trampoline_kernelINS0_14default_configENS1_25partition_config_selectorILNS1_17partition_subalgoE8ElNS0_10empty_typeEbEEZZNS1_14partition_implILS5_8ELb0ES3_jPlPS6_PKS6_NS0_5tupleIJS9_S6_EEENSD_IJSA_SA_EEENS0_18inequality_wrapperIZN2at6native12_GLOBAL__N_124unique_dim_cuda_templateIiEESt5tupleIJNSH_6TensorESM_SM_EERKSM_lbbbEUlllE0_EEPmJS6_EEE10hipError_tPvRmT3_T4_T5_T6_T7_T9_mT8_P12ihipStream_tbDpT10_ENKUlT_T0_E_clISt17integral_constantIbLb1EES1B_IbLb0EEEEDaS17_S18_EUlS17_E_NS1_11comp_targetILNS1_3genE8ELNS1_11target_archE1030ELNS1_3gpuE2ELNS1_3repE0EEENS1_30default_config_static_selectorELNS0_4arch9wavefront6targetE1EEEvT1_.kd
    .uniform_work_group_size: 1
    .uses_dynamic_stack: false
    .vgpr_count:     0
    .vgpr_spill_count: 0
    .wavefront_size: 64
  - .agpr_count:     0
    .args:
      - .offset:         0
        .size:           136
        .value_kind:     by_value
    .group_segment_fixed_size: 0
    .kernarg_segment_align: 8
    .kernarg_segment_size: 136
    .language:       OpenCL C
    .language_version:
      - 2
      - 0
    .max_flat_workgroup_size: 512
    .name:           _ZN7rocprim17ROCPRIM_400000_NS6detail17trampoline_kernelINS0_14default_configENS1_25partition_config_selectorILNS1_17partition_subalgoE8ElNS0_10empty_typeEbEEZZNS1_14partition_implILS5_8ELb0ES3_jPlPS6_PKS6_NS0_5tupleIJS9_S6_EEENSD_IJSA_SA_EEENS0_18inequality_wrapperIZN2at6native12_GLOBAL__N_124unique_dim_cuda_templateIiEESt5tupleIJNSH_6TensorESM_SM_EERKSM_lbbbEUlllE0_EEPmJS6_EEE10hipError_tPvRmT3_T4_T5_T6_T7_T9_mT8_P12ihipStream_tbDpT10_ENKUlT_T0_E_clISt17integral_constantIbLb0EES1B_IbLb1EEEEDaS17_S18_EUlS17_E_NS1_11comp_targetILNS1_3genE0ELNS1_11target_archE4294967295ELNS1_3gpuE0ELNS1_3repE0EEENS1_30default_config_static_selectorELNS0_4arch9wavefront6targetE1EEEvT1_
    .private_segment_fixed_size: 0
    .sgpr_count:     4
    .sgpr_spill_count: 0
    .symbol:         _ZN7rocprim17ROCPRIM_400000_NS6detail17trampoline_kernelINS0_14default_configENS1_25partition_config_selectorILNS1_17partition_subalgoE8ElNS0_10empty_typeEbEEZZNS1_14partition_implILS5_8ELb0ES3_jPlPS6_PKS6_NS0_5tupleIJS9_S6_EEENSD_IJSA_SA_EEENS0_18inequality_wrapperIZN2at6native12_GLOBAL__N_124unique_dim_cuda_templateIiEESt5tupleIJNSH_6TensorESM_SM_EERKSM_lbbbEUlllE0_EEPmJS6_EEE10hipError_tPvRmT3_T4_T5_T6_T7_T9_mT8_P12ihipStream_tbDpT10_ENKUlT_T0_E_clISt17integral_constantIbLb0EES1B_IbLb1EEEEDaS17_S18_EUlS17_E_NS1_11comp_targetILNS1_3genE0ELNS1_11target_archE4294967295ELNS1_3gpuE0ELNS1_3repE0EEENS1_30default_config_static_selectorELNS0_4arch9wavefront6targetE1EEEvT1_.kd
    .uniform_work_group_size: 1
    .uses_dynamic_stack: false
    .vgpr_count:     0
    .vgpr_spill_count: 0
    .wavefront_size: 64
  - .agpr_count:     0
    .args:
      - .offset:         0
        .size:           136
        .value_kind:     by_value
    .group_segment_fixed_size: 0
    .kernarg_segment_align: 8
    .kernarg_segment_size: 136
    .language:       OpenCL C
    .language_version:
      - 2
      - 0
    .max_flat_workgroup_size: 512
    .name:           _ZN7rocprim17ROCPRIM_400000_NS6detail17trampoline_kernelINS0_14default_configENS1_25partition_config_selectorILNS1_17partition_subalgoE8ElNS0_10empty_typeEbEEZZNS1_14partition_implILS5_8ELb0ES3_jPlPS6_PKS6_NS0_5tupleIJS9_S6_EEENSD_IJSA_SA_EEENS0_18inequality_wrapperIZN2at6native12_GLOBAL__N_124unique_dim_cuda_templateIiEESt5tupleIJNSH_6TensorESM_SM_EERKSM_lbbbEUlllE0_EEPmJS6_EEE10hipError_tPvRmT3_T4_T5_T6_T7_T9_mT8_P12ihipStream_tbDpT10_ENKUlT_T0_E_clISt17integral_constantIbLb0EES1B_IbLb1EEEEDaS17_S18_EUlS17_E_NS1_11comp_targetILNS1_3genE5ELNS1_11target_archE942ELNS1_3gpuE9ELNS1_3repE0EEENS1_30default_config_static_selectorELNS0_4arch9wavefront6targetE1EEEvT1_
    .private_segment_fixed_size: 0
    .sgpr_count:     4
    .sgpr_spill_count: 0
    .symbol:         _ZN7rocprim17ROCPRIM_400000_NS6detail17trampoline_kernelINS0_14default_configENS1_25partition_config_selectorILNS1_17partition_subalgoE8ElNS0_10empty_typeEbEEZZNS1_14partition_implILS5_8ELb0ES3_jPlPS6_PKS6_NS0_5tupleIJS9_S6_EEENSD_IJSA_SA_EEENS0_18inequality_wrapperIZN2at6native12_GLOBAL__N_124unique_dim_cuda_templateIiEESt5tupleIJNSH_6TensorESM_SM_EERKSM_lbbbEUlllE0_EEPmJS6_EEE10hipError_tPvRmT3_T4_T5_T6_T7_T9_mT8_P12ihipStream_tbDpT10_ENKUlT_T0_E_clISt17integral_constantIbLb0EES1B_IbLb1EEEEDaS17_S18_EUlS17_E_NS1_11comp_targetILNS1_3genE5ELNS1_11target_archE942ELNS1_3gpuE9ELNS1_3repE0EEENS1_30default_config_static_selectorELNS0_4arch9wavefront6targetE1EEEvT1_.kd
    .uniform_work_group_size: 1
    .uses_dynamic_stack: false
    .vgpr_count:     0
    .vgpr_spill_count: 0
    .wavefront_size: 64
  - .agpr_count:     0
    .args:
      - .offset:         0
        .size:           136
        .value_kind:     by_value
    .group_segment_fixed_size: 10252
    .kernarg_segment_align: 8
    .kernarg_segment_size: 136
    .language:       OpenCL C
    .language_version:
      - 2
      - 0
    .max_flat_workgroup_size: 256
    .name:           _ZN7rocprim17ROCPRIM_400000_NS6detail17trampoline_kernelINS0_14default_configENS1_25partition_config_selectorILNS1_17partition_subalgoE8ElNS0_10empty_typeEbEEZZNS1_14partition_implILS5_8ELb0ES3_jPlPS6_PKS6_NS0_5tupleIJS9_S6_EEENSD_IJSA_SA_EEENS0_18inequality_wrapperIZN2at6native12_GLOBAL__N_124unique_dim_cuda_templateIiEESt5tupleIJNSH_6TensorESM_SM_EERKSM_lbbbEUlllE0_EEPmJS6_EEE10hipError_tPvRmT3_T4_T5_T6_T7_T9_mT8_P12ihipStream_tbDpT10_ENKUlT_T0_E_clISt17integral_constantIbLb0EES1B_IbLb1EEEEDaS17_S18_EUlS17_E_NS1_11comp_targetILNS1_3genE4ELNS1_11target_archE910ELNS1_3gpuE8ELNS1_3repE0EEENS1_30default_config_static_selectorELNS0_4arch9wavefront6targetE1EEEvT1_
    .private_segment_fixed_size: 0
    .sgpr_count:     56
    .sgpr_spill_count: 0
    .symbol:         _ZN7rocprim17ROCPRIM_400000_NS6detail17trampoline_kernelINS0_14default_configENS1_25partition_config_selectorILNS1_17partition_subalgoE8ElNS0_10empty_typeEbEEZZNS1_14partition_implILS5_8ELb0ES3_jPlPS6_PKS6_NS0_5tupleIJS9_S6_EEENSD_IJSA_SA_EEENS0_18inequality_wrapperIZN2at6native12_GLOBAL__N_124unique_dim_cuda_templateIiEESt5tupleIJNSH_6TensorESM_SM_EERKSM_lbbbEUlllE0_EEPmJS6_EEE10hipError_tPvRmT3_T4_T5_T6_T7_T9_mT8_P12ihipStream_tbDpT10_ENKUlT_T0_E_clISt17integral_constantIbLb0EES1B_IbLb1EEEEDaS17_S18_EUlS17_E_NS1_11comp_targetILNS1_3genE4ELNS1_11target_archE910ELNS1_3gpuE8ELNS1_3repE0EEENS1_30default_config_static_selectorELNS0_4arch9wavefront6targetE1EEEvT1_.kd
    .uniform_work_group_size: 1
    .uses_dynamic_stack: false
    .vgpr_count:     46
    .vgpr_spill_count: 0
    .wavefront_size: 64
  - .agpr_count:     0
    .args:
      - .offset:         0
        .size:           136
        .value_kind:     by_value
    .group_segment_fixed_size: 0
    .kernarg_segment_align: 8
    .kernarg_segment_size: 136
    .language:       OpenCL C
    .language_version:
      - 2
      - 0
    .max_flat_workgroup_size: 512
    .name:           _ZN7rocprim17ROCPRIM_400000_NS6detail17trampoline_kernelINS0_14default_configENS1_25partition_config_selectorILNS1_17partition_subalgoE8ElNS0_10empty_typeEbEEZZNS1_14partition_implILS5_8ELb0ES3_jPlPS6_PKS6_NS0_5tupleIJS9_S6_EEENSD_IJSA_SA_EEENS0_18inequality_wrapperIZN2at6native12_GLOBAL__N_124unique_dim_cuda_templateIiEESt5tupleIJNSH_6TensorESM_SM_EERKSM_lbbbEUlllE0_EEPmJS6_EEE10hipError_tPvRmT3_T4_T5_T6_T7_T9_mT8_P12ihipStream_tbDpT10_ENKUlT_T0_E_clISt17integral_constantIbLb0EES1B_IbLb1EEEEDaS17_S18_EUlS17_E_NS1_11comp_targetILNS1_3genE3ELNS1_11target_archE908ELNS1_3gpuE7ELNS1_3repE0EEENS1_30default_config_static_selectorELNS0_4arch9wavefront6targetE1EEEvT1_
    .private_segment_fixed_size: 0
    .sgpr_count:     4
    .sgpr_spill_count: 0
    .symbol:         _ZN7rocprim17ROCPRIM_400000_NS6detail17trampoline_kernelINS0_14default_configENS1_25partition_config_selectorILNS1_17partition_subalgoE8ElNS0_10empty_typeEbEEZZNS1_14partition_implILS5_8ELb0ES3_jPlPS6_PKS6_NS0_5tupleIJS9_S6_EEENSD_IJSA_SA_EEENS0_18inequality_wrapperIZN2at6native12_GLOBAL__N_124unique_dim_cuda_templateIiEESt5tupleIJNSH_6TensorESM_SM_EERKSM_lbbbEUlllE0_EEPmJS6_EEE10hipError_tPvRmT3_T4_T5_T6_T7_T9_mT8_P12ihipStream_tbDpT10_ENKUlT_T0_E_clISt17integral_constantIbLb0EES1B_IbLb1EEEEDaS17_S18_EUlS17_E_NS1_11comp_targetILNS1_3genE3ELNS1_11target_archE908ELNS1_3gpuE7ELNS1_3repE0EEENS1_30default_config_static_selectorELNS0_4arch9wavefront6targetE1EEEvT1_.kd
    .uniform_work_group_size: 1
    .uses_dynamic_stack: false
    .vgpr_count:     0
    .vgpr_spill_count: 0
    .wavefront_size: 64
  - .agpr_count:     0
    .args:
      - .offset:         0
        .size:           136
        .value_kind:     by_value
    .group_segment_fixed_size: 0
    .kernarg_segment_align: 8
    .kernarg_segment_size: 136
    .language:       OpenCL C
    .language_version:
      - 2
      - 0
    .max_flat_workgroup_size: 256
    .name:           _ZN7rocprim17ROCPRIM_400000_NS6detail17trampoline_kernelINS0_14default_configENS1_25partition_config_selectorILNS1_17partition_subalgoE8ElNS0_10empty_typeEbEEZZNS1_14partition_implILS5_8ELb0ES3_jPlPS6_PKS6_NS0_5tupleIJS9_S6_EEENSD_IJSA_SA_EEENS0_18inequality_wrapperIZN2at6native12_GLOBAL__N_124unique_dim_cuda_templateIiEESt5tupleIJNSH_6TensorESM_SM_EERKSM_lbbbEUlllE0_EEPmJS6_EEE10hipError_tPvRmT3_T4_T5_T6_T7_T9_mT8_P12ihipStream_tbDpT10_ENKUlT_T0_E_clISt17integral_constantIbLb0EES1B_IbLb1EEEEDaS17_S18_EUlS17_E_NS1_11comp_targetILNS1_3genE2ELNS1_11target_archE906ELNS1_3gpuE6ELNS1_3repE0EEENS1_30default_config_static_selectorELNS0_4arch9wavefront6targetE1EEEvT1_
    .private_segment_fixed_size: 0
    .sgpr_count:     4
    .sgpr_spill_count: 0
    .symbol:         _ZN7rocprim17ROCPRIM_400000_NS6detail17trampoline_kernelINS0_14default_configENS1_25partition_config_selectorILNS1_17partition_subalgoE8ElNS0_10empty_typeEbEEZZNS1_14partition_implILS5_8ELb0ES3_jPlPS6_PKS6_NS0_5tupleIJS9_S6_EEENSD_IJSA_SA_EEENS0_18inequality_wrapperIZN2at6native12_GLOBAL__N_124unique_dim_cuda_templateIiEESt5tupleIJNSH_6TensorESM_SM_EERKSM_lbbbEUlllE0_EEPmJS6_EEE10hipError_tPvRmT3_T4_T5_T6_T7_T9_mT8_P12ihipStream_tbDpT10_ENKUlT_T0_E_clISt17integral_constantIbLb0EES1B_IbLb1EEEEDaS17_S18_EUlS17_E_NS1_11comp_targetILNS1_3genE2ELNS1_11target_archE906ELNS1_3gpuE6ELNS1_3repE0EEENS1_30default_config_static_selectorELNS0_4arch9wavefront6targetE1EEEvT1_.kd
    .uniform_work_group_size: 1
    .uses_dynamic_stack: false
    .vgpr_count:     0
    .vgpr_spill_count: 0
    .wavefront_size: 64
  - .agpr_count:     0
    .args:
      - .offset:         0
        .size:           136
        .value_kind:     by_value
    .group_segment_fixed_size: 0
    .kernarg_segment_align: 8
    .kernarg_segment_size: 136
    .language:       OpenCL C
    .language_version:
      - 2
      - 0
    .max_flat_workgroup_size: 384
    .name:           _ZN7rocprim17ROCPRIM_400000_NS6detail17trampoline_kernelINS0_14default_configENS1_25partition_config_selectorILNS1_17partition_subalgoE8ElNS0_10empty_typeEbEEZZNS1_14partition_implILS5_8ELb0ES3_jPlPS6_PKS6_NS0_5tupleIJS9_S6_EEENSD_IJSA_SA_EEENS0_18inequality_wrapperIZN2at6native12_GLOBAL__N_124unique_dim_cuda_templateIiEESt5tupleIJNSH_6TensorESM_SM_EERKSM_lbbbEUlllE0_EEPmJS6_EEE10hipError_tPvRmT3_T4_T5_T6_T7_T9_mT8_P12ihipStream_tbDpT10_ENKUlT_T0_E_clISt17integral_constantIbLb0EES1B_IbLb1EEEEDaS17_S18_EUlS17_E_NS1_11comp_targetILNS1_3genE10ELNS1_11target_archE1200ELNS1_3gpuE4ELNS1_3repE0EEENS1_30default_config_static_selectorELNS0_4arch9wavefront6targetE1EEEvT1_
    .private_segment_fixed_size: 0
    .sgpr_count:     4
    .sgpr_spill_count: 0
    .symbol:         _ZN7rocprim17ROCPRIM_400000_NS6detail17trampoline_kernelINS0_14default_configENS1_25partition_config_selectorILNS1_17partition_subalgoE8ElNS0_10empty_typeEbEEZZNS1_14partition_implILS5_8ELb0ES3_jPlPS6_PKS6_NS0_5tupleIJS9_S6_EEENSD_IJSA_SA_EEENS0_18inequality_wrapperIZN2at6native12_GLOBAL__N_124unique_dim_cuda_templateIiEESt5tupleIJNSH_6TensorESM_SM_EERKSM_lbbbEUlllE0_EEPmJS6_EEE10hipError_tPvRmT3_T4_T5_T6_T7_T9_mT8_P12ihipStream_tbDpT10_ENKUlT_T0_E_clISt17integral_constantIbLb0EES1B_IbLb1EEEEDaS17_S18_EUlS17_E_NS1_11comp_targetILNS1_3genE10ELNS1_11target_archE1200ELNS1_3gpuE4ELNS1_3repE0EEENS1_30default_config_static_selectorELNS0_4arch9wavefront6targetE1EEEvT1_.kd
    .uniform_work_group_size: 1
    .uses_dynamic_stack: false
    .vgpr_count:     0
    .vgpr_spill_count: 0
    .wavefront_size: 64
  - .agpr_count:     0
    .args:
      - .offset:         0
        .size:           136
        .value_kind:     by_value
    .group_segment_fixed_size: 0
    .kernarg_segment_align: 8
    .kernarg_segment_size: 136
    .language:       OpenCL C
    .language_version:
      - 2
      - 0
    .max_flat_workgroup_size: 512
    .name:           _ZN7rocprim17ROCPRIM_400000_NS6detail17trampoline_kernelINS0_14default_configENS1_25partition_config_selectorILNS1_17partition_subalgoE8ElNS0_10empty_typeEbEEZZNS1_14partition_implILS5_8ELb0ES3_jPlPS6_PKS6_NS0_5tupleIJS9_S6_EEENSD_IJSA_SA_EEENS0_18inequality_wrapperIZN2at6native12_GLOBAL__N_124unique_dim_cuda_templateIiEESt5tupleIJNSH_6TensorESM_SM_EERKSM_lbbbEUlllE0_EEPmJS6_EEE10hipError_tPvRmT3_T4_T5_T6_T7_T9_mT8_P12ihipStream_tbDpT10_ENKUlT_T0_E_clISt17integral_constantIbLb0EES1B_IbLb1EEEEDaS17_S18_EUlS17_E_NS1_11comp_targetILNS1_3genE9ELNS1_11target_archE1100ELNS1_3gpuE3ELNS1_3repE0EEENS1_30default_config_static_selectorELNS0_4arch9wavefront6targetE1EEEvT1_
    .private_segment_fixed_size: 0
    .sgpr_count:     4
    .sgpr_spill_count: 0
    .symbol:         _ZN7rocprim17ROCPRIM_400000_NS6detail17trampoline_kernelINS0_14default_configENS1_25partition_config_selectorILNS1_17partition_subalgoE8ElNS0_10empty_typeEbEEZZNS1_14partition_implILS5_8ELb0ES3_jPlPS6_PKS6_NS0_5tupleIJS9_S6_EEENSD_IJSA_SA_EEENS0_18inequality_wrapperIZN2at6native12_GLOBAL__N_124unique_dim_cuda_templateIiEESt5tupleIJNSH_6TensorESM_SM_EERKSM_lbbbEUlllE0_EEPmJS6_EEE10hipError_tPvRmT3_T4_T5_T6_T7_T9_mT8_P12ihipStream_tbDpT10_ENKUlT_T0_E_clISt17integral_constantIbLb0EES1B_IbLb1EEEEDaS17_S18_EUlS17_E_NS1_11comp_targetILNS1_3genE9ELNS1_11target_archE1100ELNS1_3gpuE3ELNS1_3repE0EEENS1_30default_config_static_selectorELNS0_4arch9wavefront6targetE1EEEvT1_.kd
    .uniform_work_group_size: 1
    .uses_dynamic_stack: false
    .vgpr_count:     0
    .vgpr_spill_count: 0
    .wavefront_size: 64
  - .agpr_count:     0
    .args:
      - .offset:         0
        .size:           136
        .value_kind:     by_value
    .group_segment_fixed_size: 0
    .kernarg_segment_align: 8
    .kernarg_segment_size: 136
    .language:       OpenCL C
    .language_version:
      - 2
      - 0
    .max_flat_workgroup_size: 512
    .name:           _ZN7rocprim17ROCPRIM_400000_NS6detail17trampoline_kernelINS0_14default_configENS1_25partition_config_selectorILNS1_17partition_subalgoE8ElNS0_10empty_typeEbEEZZNS1_14partition_implILS5_8ELb0ES3_jPlPS6_PKS6_NS0_5tupleIJS9_S6_EEENSD_IJSA_SA_EEENS0_18inequality_wrapperIZN2at6native12_GLOBAL__N_124unique_dim_cuda_templateIiEESt5tupleIJNSH_6TensorESM_SM_EERKSM_lbbbEUlllE0_EEPmJS6_EEE10hipError_tPvRmT3_T4_T5_T6_T7_T9_mT8_P12ihipStream_tbDpT10_ENKUlT_T0_E_clISt17integral_constantIbLb0EES1B_IbLb1EEEEDaS17_S18_EUlS17_E_NS1_11comp_targetILNS1_3genE8ELNS1_11target_archE1030ELNS1_3gpuE2ELNS1_3repE0EEENS1_30default_config_static_selectorELNS0_4arch9wavefront6targetE1EEEvT1_
    .private_segment_fixed_size: 0
    .sgpr_count:     4
    .sgpr_spill_count: 0
    .symbol:         _ZN7rocprim17ROCPRIM_400000_NS6detail17trampoline_kernelINS0_14default_configENS1_25partition_config_selectorILNS1_17partition_subalgoE8ElNS0_10empty_typeEbEEZZNS1_14partition_implILS5_8ELb0ES3_jPlPS6_PKS6_NS0_5tupleIJS9_S6_EEENSD_IJSA_SA_EEENS0_18inequality_wrapperIZN2at6native12_GLOBAL__N_124unique_dim_cuda_templateIiEESt5tupleIJNSH_6TensorESM_SM_EERKSM_lbbbEUlllE0_EEPmJS6_EEE10hipError_tPvRmT3_T4_T5_T6_T7_T9_mT8_P12ihipStream_tbDpT10_ENKUlT_T0_E_clISt17integral_constantIbLb0EES1B_IbLb1EEEEDaS17_S18_EUlS17_E_NS1_11comp_targetILNS1_3genE8ELNS1_11target_archE1030ELNS1_3gpuE2ELNS1_3repE0EEENS1_30default_config_static_selectorELNS0_4arch9wavefront6targetE1EEEvT1_.kd
    .uniform_work_group_size: 1
    .uses_dynamic_stack: false
    .vgpr_count:     0
    .vgpr_spill_count: 0
    .wavefront_size: 64
  - .agpr_count:     0
    .args:
      - .offset:         0
        .size:           120
        .value_kind:     by_value
    .group_segment_fixed_size: 0
    .kernarg_segment_align: 8
    .kernarg_segment_size: 120
    .language:       OpenCL C
    .language_version:
      - 2
      - 0
    .max_flat_workgroup_size: 128
    .name:           _ZN7rocprim17ROCPRIM_400000_NS6detail17trampoline_kernelINS0_14default_configENS1_25partition_config_selectorILNS1_17partition_subalgoE9EllbEEZZNS1_14partition_implILS5_9ELb0ES3_jPlS8_PNS0_10empty_typeENS0_5tupleIJS8_S9_EEENSB_IJS8_SA_EEENS0_18inequality_wrapperIZN2at6native12_GLOBAL__N_124unique_dim_cuda_templateIiEESt5tupleIJNSF_6TensorESK_SK_EERKSK_lbbbEUlllE0_EEPmJS9_EEE10hipError_tPvRmT3_T4_T5_T6_T7_T9_mT8_P12ihipStream_tbDpT10_ENKUlT_T0_E_clISt17integral_constantIbLb0EES1A_EEDaS15_S16_EUlS15_E_NS1_11comp_targetILNS1_3genE0ELNS1_11target_archE4294967295ELNS1_3gpuE0ELNS1_3repE0EEENS1_30default_config_static_selectorELNS0_4arch9wavefront6targetE1EEEvT1_
    .private_segment_fixed_size: 0
    .sgpr_count:     4
    .sgpr_spill_count: 0
    .symbol:         _ZN7rocprim17ROCPRIM_400000_NS6detail17trampoline_kernelINS0_14default_configENS1_25partition_config_selectorILNS1_17partition_subalgoE9EllbEEZZNS1_14partition_implILS5_9ELb0ES3_jPlS8_PNS0_10empty_typeENS0_5tupleIJS8_S9_EEENSB_IJS8_SA_EEENS0_18inequality_wrapperIZN2at6native12_GLOBAL__N_124unique_dim_cuda_templateIiEESt5tupleIJNSF_6TensorESK_SK_EERKSK_lbbbEUlllE0_EEPmJS9_EEE10hipError_tPvRmT3_T4_T5_T6_T7_T9_mT8_P12ihipStream_tbDpT10_ENKUlT_T0_E_clISt17integral_constantIbLb0EES1A_EEDaS15_S16_EUlS15_E_NS1_11comp_targetILNS1_3genE0ELNS1_11target_archE4294967295ELNS1_3gpuE0ELNS1_3repE0EEENS1_30default_config_static_selectorELNS0_4arch9wavefront6targetE1EEEvT1_.kd
    .uniform_work_group_size: 1
    .uses_dynamic_stack: false
    .vgpr_count:     0
    .vgpr_spill_count: 0
    .wavefront_size: 64
  - .agpr_count:     0
    .args:
      - .offset:         0
        .size:           120
        .value_kind:     by_value
    .group_segment_fixed_size: 0
    .kernarg_segment_align: 8
    .kernarg_segment_size: 120
    .language:       OpenCL C
    .language_version:
      - 2
      - 0
    .max_flat_workgroup_size: 512
    .name:           _ZN7rocprim17ROCPRIM_400000_NS6detail17trampoline_kernelINS0_14default_configENS1_25partition_config_selectorILNS1_17partition_subalgoE9EllbEEZZNS1_14partition_implILS5_9ELb0ES3_jPlS8_PNS0_10empty_typeENS0_5tupleIJS8_S9_EEENSB_IJS8_SA_EEENS0_18inequality_wrapperIZN2at6native12_GLOBAL__N_124unique_dim_cuda_templateIiEESt5tupleIJNSF_6TensorESK_SK_EERKSK_lbbbEUlllE0_EEPmJS9_EEE10hipError_tPvRmT3_T4_T5_T6_T7_T9_mT8_P12ihipStream_tbDpT10_ENKUlT_T0_E_clISt17integral_constantIbLb0EES1A_EEDaS15_S16_EUlS15_E_NS1_11comp_targetILNS1_3genE5ELNS1_11target_archE942ELNS1_3gpuE9ELNS1_3repE0EEENS1_30default_config_static_selectorELNS0_4arch9wavefront6targetE1EEEvT1_
    .private_segment_fixed_size: 0
    .sgpr_count:     4
    .sgpr_spill_count: 0
    .symbol:         _ZN7rocprim17ROCPRIM_400000_NS6detail17trampoline_kernelINS0_14default_configENS1_25partition_config_selectorILNS1_17partition_subalgoE9EllbEEZZNS1_14partition_implILS5_9ELb0ES3_jPlS8_PNS0_10empty_typeENS0_5tupleIJS8_S9_EEENSB_IJS8_SA_EEENS0_18inequality_wrapperIZN2at6native12_GLOBAL__N_124unique_dim_cuda_templateIiEESt5tupleIJNSF_6TensorESK_SK_EERKSK_lbbbEUlllE0_EEPmJS9_EEE10hipError_tPvRmT3_T4_T5_T6_T7_T9_mT8_P12ihipStream_tbDpT10_ENKUlT_T0_E_clISt17integral_constantIbLb0EES1A_EEDaS15_S16_EUlS15_E_NS1_11comp_targetILNS1_3genE5ELNS1_11target_archE942ELNS1_3gpuE9ELNS1_3repE0EEENS1_30default_config_static_selectorELNS0_4arch9wavefront6targetE1EEEvT1_.kd
    .uniform_work_group_size: 1
    .uses_dynamic_stack: false
    .vgpr_count:     0
    .vgpr_spill_count: 0
    .wavefront_size: 64
  - .agpr_count:     0
    .args:
      - .offset:         0
        .size:           120
        .value_kind:     by_value
    .group_segment_fixed_size: 4236
    .kernarg_segment_align: 8
    .kernarg_segment_size: 120
    .language:       OpenCL C
    .language_version:
      - 2
      - 0
    .max_flat_workgroup_size: 128
    .name:           _ZN7rocprim17ROCPRIM_400000_NS6detail17trampoline_kernelINS0_14default_configENS1_25partition_config_selectorILNS1_17partition_subalgoE9EllbEEZZNS1_14partition_implILS5_9ELb0ES3_jPlS8_PNS0_10empty_typeENS0_5tupleIJS8_S9_EEENSB_IJS8_SA_EEENS0_18inequality_wrapperIZN2at6native12_GLOBAL__N_124unique_dim_cuda_templateIiEESt5tupleIJNSF_6TensorESK_SK_EERKSK_lbbbEUlllE0_EEPmJS9_EEE10hipError_tPvRmT3_T4_T5_T6_T7_T9_mT8_P12ihipStream_tbDpT10_ENKUlT_T0_E_clISt17integral_constantIbLb0EES1A_EEDaS15_S16_EUlS15_E_NS1_11comp_targetILNS1_3genE4ELNS1_11target_archE910ELNS1_3gpuE8ELNS1_3repE0EEENS1_30default_config_static_selectorELNS0_4arch9wavefront6targetE1EEEvT1_
    .private_segment_fixed_size: 0
    .sgpr_count:     50
    .sgpr_spill_count: 0
    .symbol:         _ZN7rocprim17ROCPRIM_400000_NS6detail17trampoline_kernelINS0_14default_configENS1_25partition_config_selectorILNS1_17partition_subalgoE9EllbEEZZNS1_14partition_implILS5_9ELb0ES3_jPlS8_PNS0_10empty_typeENS0_5tupleIJS8_S9_EEENSB_IJS8_SA_EEENS0_18inequality_wrapperIZN2at6native12_GLOBAL__N_124unique_dim_cuda_templateIiEESt5tupleIJNSF_6TensorESK_SK_EERKSK_lbbbEUlllE0_EEPmJS9_EEE10hipError_tPvRmT3_T4_T5_T6_T7_T9_mT8_P12ihipStream_tbDpT10_ENKUlT_T0_E_clISt17integral_constantIbLb0EES1A_EEDaS15_S16_EUlS15_E_NS1_11comp_targetILNS1_3genE4ELNS1_11target_archE910ELNS1_3gpuE8ELNS1_3repE0EEENS1_30default_config_static_selectorELNS0_4arch9wavefront6targetE1EEEvT1_.kd
    .uniform_work_group_size: 1
    .uses_dynamic_stack: false
    .vgpr_count:     50
    .vgpr_spill_count: 0
    .wavefront_size: 64
  - .agpr_count:     0
    .args:
      - .offset:         0
        .size:           120
        .value_kind:     by_value
    .group_segment_fixed_size: 0
    .kernarg_segment_align: 8
    .kernarg_segment_size: 120
    .language:       OpenCL C
    .language_version:
      - 2
      - 0
    .max_flat_workgroup_size: 128
    .name:           _ZN7rocprim17ROCPRIM_400000_NS6detail17trampoline_kernelINS0_14default_configENS1_25partition_config_selectorILNS1_17partition_subalgoE9EllbEEZZNS1_14partition_implILS5_9ELb0ES3_jPlS8_PNS0_10empty_typeENS0_5tupleIJS8_S9_EEENSB_IJS8_SA_EEENS0_18inequality_wrapperIZN2at6native12_GLOBAL__N_124unique_dim_cuda_templateIiEESt5tupleIJNSF_6TensorESK_SK_EERKSK_lbbbEUlllE0_EEPmJS9_EEE10hipError_tPvRmT3_T4_T5_T6_T7_T9_mT8_P12ihipStream_tbDpT10_ENKUlT_T0_E_clISt17integral_constantIbLb0EES1A_EEDaS15_S16_EUlS15_E_NS1_11comp_targetILNS1_3genE3ELNS1_11target_archE908ELNS1_3gpuE7ELNS1_3repE0EEENS1_30default_config_static_selectorELNS0_4arch9wavefront6targetE1EEEvT1_
    .private_segment_fixed_size: 0
    .sgpr_count:     4
    .sgpr_spill_count: 0
    .symbol:         _ZN7rocprim17ROCPRIM_400000_NS6detail17trampoline_kernelINS0_14default_configENS1_25partition_config_selectorILNS1_17partition_subalgoE9EllbEEZZNS1_14partition_implILS5_9ELb0ES3_jPlS8_PNS0_10empty_typeENS0_5tupleIJS8_S9_EEENSB_IJS8_SA_EEENS0_18inequality_wrapperIZN2at6native12_GLOBAL__N_124unique_dim_cuda_templateIiEESt5tupleIJNSF_6TensorESK_SK_EERKSK_lbbbEUlllE0_EEPmJS9_EEE10hipError_tPvRmT3_T4_T5_T6_T7_T9_mT8_P12ihipStream_tbDpT10_ENKUlT_T0_E_clISt17integral_constantIbLb0EES1A_EEDaS15_S16_EUlS15_E_NS1_11comp_targetILNS1_3genE3ELNS1_11target_archE908ELNS1_3gpuE7ELNS1_3repE0EEENS1_30default_config_static_selectorELNS0_4arch9wavefront6targetE1EEEvT1_.kd
    .uniform_work_group_size: 1
    .uses_dynamic_stack: false
    .vgpr_count:     0
    .vgpr_spill_count: 0
    .wavefront_size: 64
  - .agpr_count:     0
    .args:
      - .offset:         0
        .size:           120
        .value_kind:     by_value
    .group_segment_fixed_size: 0
    .kernarg_segment_align: 8
    .kernarg_segment_size: 120
    .language:       OpenCL C
    .language_version:
      - 2
      - 0
    .max_flat_workgroup_size: 192
    .name:           _ZN7rocprim17ROCPRIM_400000_NS6detail17trampoline_kernelINS0_14default_configENS1_25partition_config_selectorILNS1_17partition_subalgoE9EllbEEZZNS1_14partition_implILS5_9ELb0ES3_jPlS8_PNS0_10empty_typeENS0_5tupleIJS8_S9_EEENSB_IJS8_SA_EEENS0_18inequality_wrapperIZN2at6native12_GLOBAL__N_124unique_dim_cuda_templateIiEESt5tupleIJNSF_6TensorESK_SK_EERKSK_lbbbEUlllE0_EEPmJS9_EEE10hipError_tPvRmT3_T4_T5_T6_T7_T9_mT8_P12ihipStream_tbDpT10_ENKUlT_T0_E_clISt17integral_constantIbLb0EES1A_EEDaS15_S16_EUlS15_E_NS1_11comp_targetILNS1_3genE2ELNS1_11target_archE906ELNS1_3gpuE6ELNS1_3repE0EEENS1_30default_config_static_selectorELNS0_4arch9wavefront6targetE1EEEvT1_
    .private_segment_fixed_size: 0
    .sgpr_count:     4
    .sgpr_spill_count: 0
    .symbol:         _ZN7rocprim17ROCPRIM_400000_NS6detail17trampoline_kernelINS0_14default_configENS1_25partition_config_selectorILNS1_17partition_subalgoE9EllbEEZZNS1_14partition_implILS5_9ELb0ES3_jPlS8_PNS0_10empty_typeENS0_5tupleIJS8_S9_EEENSB_IJS8_SA_EEENS0_18inequality_wrapperIZN2at6native12_GLOBAL__N_124unique_dim_cuda_templateIiEESt5tupleIJNSF_6TensorESK_SK_EERKSK_lbbbEUlllE0_EEPmJS9_EEE10hipError_tPvRmT3_T4_T5_T6_T7_T9_mT8_P12ihipStream_tbDpT10_ENKUlT_T0_E_clISt17integral_constantIbLb0EES1A_EEDaS15_S16_EUlS15_E_NS1_11comp_targetILNS1_3genE2ELNS1_11target_archE906ELNS1_3gpuE6ELNS1_3repE0EEENS1_30default_config_static_selectorELNS0_4arch9wavefront6targetE1EEEvT1_.kd
    .uniform_work_group_size: 1
    .uses_dynamic_stack: false
    .vgpr_count:     0
    .vgpr_spill_count: 0
    .wavefront_size: 64
  - .agpr_count:     0
    .args:
      - .offset:         0
        .size:           120
        .value_kind:     by_value
    .group_segment_fixed_size: 0
    .kernarg_segment_align: 8
    .kernarg_segment_size: 120
    .language:       OpenCL C
    .language_version:
      - 2
      - 0
    .max_flat_workgroup_size: 384
    .name:           _ZN7rocprim17ROCPRIM_400000_NS6detail17trampoline_kernelINS0_14default_configENS1_25partition_config_selectorILNS1_17partition_subalgoE9EllbEEZZNS1_14partition_implILS5_9ELb0ES3_jPlS8_PNS0_10empty_typeENS0_5tupleIJS8_S9_EEENSB_IJS8_SA_EEENS0_18inequality_wrapperIZN2at6native12_GLOBAL__N_124unique_dim_cuda_templateIiEESt5tupleIJNSF_6TensorESK_SK_EERKSK_lbbbEUlllE0_EEPmJS9_EEE10hipError_tPvRmT3_T4_T5_T6_T7_T9_mT8_P12ihipStream_tbDpT10_ENKUlT_T0_E_clISt17integral_constantIbLb0EES1A_EEDaS15_S16_EUlS15_E_NS1_11comp_targetILNS1_3genE10ELNS1_11target_archE1200ELNS1_3gpuE4ELNS1_3repE0EEENS1_30default_config_static_selectorELNS0_4arch9wavefront6targetE1EEEvT1_
    .private_segment_fixed_size: 0
    .sgpr_count:     4
    .sgpr_spill_count: 0
    .symbol:         _ZN7rocprim17ROCPRIM_400000_NS6detail17trampoline_kernelINS0_14default_configENS1_25partition_config_selectorILNS1_17partition_subalgoE9EllbEEZZNS1_14partition_implILS5_9ELb0ES3_jPlS8_PNS0_10empty_typeENS0_5tupleIJS8_S9_EEENSB_IJS8_SA_EEENS0_18inequality_wrapperIZN2at6native12_GLOBAL__N_124unique_dim_cuda_templateIiEESt5tupleIJNSF_6TensorESK_SK_EERKSK_lbbbEUlllE0_EEPmJS9_EEE10hipError_tPvRmT3_T4_T5_T6_T7_T9_mT8_P12ihipStream_tbDpT10_ENKUlT_T0_E_clISt17integral_constantIbLb0EES1A_EEDaS15_S16_EUlS15_E_NS1_11comp_targetILNS1_3genE10ELNS1_11target_archE1200ELNS1_3gpuE4ELNS1_3repE0EEENS1_30default_config_static_selectorELNS0_4arch9wavefront6targetE1EEEvT1_.kd
    .uniform_work_group_size: 1
    .uses_dynamic_stack: false
    .vgpr_count:     0
    .vgpr_spill_count: 0
    .wavefront_size: 64
  - .agpr_count:     0
    .args:
      - .offset:         0
        .size:           120
        .value_kind:     by_value
    .group_segment_fixed_size: 0
    .kernarg_segment_align: 8
    .kernarg_segment_size: 120
    .language:       OpenCL C
    .language_version:
      - 2
      - 0
    .max_flat_workgroup_size: 512
    .name:           _ZN7rocprim17ROCPRIM_400000_NS6detail17trampoline_kernelINS0_14default_configENS1_25partition_config_selectorILNS1_17partition_subalgoE9EllbEEZZNS1_14partition_implILS5_9ELb0ES3_jPlS8_PNS0_10empty_typeENS0_5tupleIJS8_S9_EEENSB_IJS8_SA_EEENS0_18inequality_wrapperIZN2at6native12_GLOBAL__N_124unique_dim_cuda_templateIiEESt5tupleIJNSF_6TensorESK_SK_EERKSK_lbbbEUlllE0_EEPmJS9_EEE10hipError_tPvRmT3_T4_T5_T6_T7_T9_mT8_P12ihipStream_tbDpT10_ENKUlT_T0_E_clISt17integral_constantIbLb0EES1A_EEDaS15_S16_EUlS15_E_NS1_11comp_targetILNS1_3genE9ELNS1_11target_archE1100ELNS1_3gpuE3ELNS1_3repE0EEENS1_30default_config_static_selectorELNS0_4arch9wavefront6targetE1EEEvT1_
    .private_segment_fixed_size: 0
    .sgpr_count:     4
    .sgpr_spill_count: 0
    .symbol:         _ZN7rocprim17ROCPRIM_400000_NS6detail17trampoline_kernelINS0_14default_configENS1_25partition_config_selectorILNS1_17partition_subalgoE9EllbEEZZNS1_14partition_implILS5_9ELb0ES3_jPlS8_PNS0_10empty_typeENS0_5tupleIJS8_S9_EEENSB_IJS8_SA_EEENS0_18inequality_wrapperIZN2at6native12_GLOBAL__N_124unique_dim_cuda_templateIiEESt5tupleIJNSF_6TensorESK_SK_EERKSK_lbbbEUlllE0_EEPmJS9_EEE10hipError_tPvRmT3_T4_T5_T6_T7_T9_mT8_P12ihipStream_tbDpT10_ENKUlT_T0_E_clISt17integral_constantIbLb0EES1A_EEDaS15_S16_EUlS15_E_NS1_11comp_targetILNS1_3genE9ELNS1_11target_archE1100ELNS1_3gpuE3ELNS1_3repE0EEENS1_30default_config_static_selectorELNS0_4arch9wavefront6targetE1EEEvT1_.kd
    .uniform_work_group_size: 1
    .uses_dynamic_stack: false
    .vgpr_count:     0
    .vgpr_spill_count: 0
    .wavefront_size: 64
  - .agpr_count:     0
    .args:
      - .offset:         0
        .size:           120
        .value_kind:     by_value
    .group_segment_fixed_size: 0
    .kernarg_segment_align: 8
    .kernarg_segment_size: 120
    .language:       OpenCL C
    .language_version:
      - 2
      - 0
    .max_flat_workgroup_size: 512
    .name:           _ZN7rocprim17ROCPRIM_400000_NS6detail17trampoline_kernelINS0_14default_configENS1_25partition_config_selectorILNS1_17partition_subalgoE9EllbEEZZNS1_14partition_implILS5_9ELb0ES3_jPlS8_PNS0_10empty_typeENS0_5tupleIJS8_S9_EEENSB_IJS8_SA_EEENS0_18inequality_wrapperIZN2at6native12_GLOBAL__N_124unique_dim_cuda_templateIiEESt5tupleIJNSF_6TensorESK_SK_EERKSK_lbbbEUlllE0_EEPmJS9_EEE10hipError_tPvRmT3_T4_T5_T6_T7_T9_mT8_P12ihipStream_tbDpT10_ENKUlT_T0_E_clISt17integral_constantIbLb0EES1A_EEDaS15_S16_EUlS15_E_NS1_11comp_targetILNS1_3genE8ELNS1_11target_archE1030ELNS1_3gpuE2ELNS1_3repE0EEENS1_30default_config_static_selectorELNS0_4arch9wavefront6targetE1EEEvT1_
    .private_segment_fixed_size: 0
    .sgpr_count:     4
    .sgpr_spill_count: 0
    .symbol:         _ZN7rocprim17ROCPRIM_400000_NS6detail17trampoline_kernelINS0_14default_configENS1_25partition_config_selectorILNS1_17partition_subalgoE9EllbEEZZNS1_14partition_implILS5_9ELb0ES3_jPlS8_PNS0_10empty_typeENS0_5tupleIJS8_S9_EEENSB_IJS8_SA_EEENS0_18inequality_wrapperIZN2at6native12_GLOBAL__N_124unique_dim_cuda_templateIiEESt5tupleIJNSF_6TensorESK_SK_EERKSK_lbbbEUlllE0_EEPmJS9_EEE10hipError_tPvRmT3_T4_T5_T6_T7_T9_mT8_P12ihipStream_tbDpT10_ENKUlT_T0_E_clISt17integral_constantIbLb0EES1A_EEDaS15_S16_EUlS15_E_NS1_11comp_targetILNS1_3genE8ELNS1_11target_archE1030ELNS1_3gpuE2ELNS1_3repE0EEENS1_30default_config_static_selectorELNS0_4arch9wavefront6targetE1EEEvT1_.kd
    .uniform_work_group_size: 1
    .uses_dynamic_stack: false
    .vgpr_count:     0
    .vgpr_spill_count: 0
    .wavefront_size: 64
  - .agpr_count:     0
    .args:
      - .offset:         0
        .size:           136
        .value_kind:     by_value
    .group_segment_fixed_size: 0
    .kernarg_segment_align: 8
    .kernarg_segment_size: 136
    .language:       OpenCL C
    .language_version:
      - 2
      - 0
    .max_flat_workgroup_size: 128
    .name:           _ZN7rocprim17ROCPRIM_400000_NS6detail17trampoline_kernelINS0_14default_configENS1_25partition_config_selectorILNS1_17partition_subalgoE9EllbEEZZNS1_14partition_implILS5_9ELb0ES3_jPlS8_PNS0_10empty_typeENS0_5tupleIJS8_S9_EEENSB_IJS8_SA_EEENS0_18inequality_wrapperIZN2at6native12_GLOBAL__N_124unique_dim_cuda_templateIiEESt5tupleIJNSF_6TensorESK_SK_EERKSK_lbbbEUlllE0_EEPmJS9_EEE10hipError_tPvRmT3_T4_T5_T6_T7_T9_mT8_P12ihipStream_tbDpT10_ENKUlT_T0_E_clISt17integral_constantIbLb1EES1A_EEDaS15_S16_EUlS15_E_NS1_11comp_targetILNS1_3genE0ELNS1_11target_archE4294967295ELNS1_3gpuE0ELNS1_3repE0EEENS1_30default_config_static_selectorELNS0_4arch9wavefront6targetE1EEEvT1_
    .private_segment_fixed_size: 0
    .sgpr_count:     4
    .sgpr_spill_count: 0
    .symbol:         _ZN7rocprim17ROCPRIM_400000_NS6detail17trampoline_kernelINS0_14default_configENS1_25partition_config_selectorILNS1_17partition_subalgoE9EllbEEZZNS1_14partition_implILS5_9ELb0ES3_jPlS8_PNS0_10empty_typeENS0_5tupleIJS8_S9_EEENSB_IJS8_SA_EEENS0_18inequality_wrapperIZN2at6native12_GLOBAL__N_124unique_dim_cuda_templateIiEESt5tupleIJNSF_6TensorESK_SK_EERKSK_lbbbEUlllE0_EEPmJS9_EEE10hipError_tPvRmT3_T4_T5_T6_T7_T9_mT8_P12ihipStream_tbDpT10_ENKUlT_T0_E_clISt17integral_constantIbLb1EES1A_EEDaS15_S16_EUlS15_E_NS1_11comp_targetILNS1_3genE0ELNS1_11target_archE4294967295ELNS1_3gpuE0ELNS1_3repE0EEENS1_30default_config_static_selectorELNS0_4arch9wavefront6targetE1EEEvT1_.kd
    .uniform_work_group_size: 1
    .uses_dynamic_stack: false
    .vgpr_count:     0
    .vgpr_spill_count: 0
    .wavefront_size: 64
  - .agpr_count:     0
    .args:
      - .offset:         0
        .size:           136
        .value_kind:     by_value
    .group_segment_fixed_size: 0
    .kernarg_segment_align: 8
    .kernarg_segment_size: 136
    .language:       OpenCL C
    .language_version:
      - 2
      - 0
    .max_flat_workgroup_size: 512
    .name:           _ZN7rocprim17ROCPRIM_400000_NS6detail17trampoline_kernelINS0_14default_configENS1_25partition_config_selectorILNS1_17partition_subalgoE9EllbEEZZNS1_14partition_implILS5_9ELb0ES3_jPlS8_PNS0_10empty_typeENS0_5tupleIJS8_S9_EEENSB_IJS8_SA_EEENS0_18inequality_wrapperIZN2at6native12_GLOBAL__N_124unique_dim_cuda_templateIiEESt5tupleIJNSF_6TensorESK_SK_EERKSK_lbbbEUlllE0_EEPmJS9_EEE10hipError_tPvRmT3_T4_T5_T6_T7_T9_mT8_P12ihipStream_tbDpT10_ENKUlT_T0_E_clISt17integral_constantIbLb1EES1A_EEDaS15_S16_EUlS15_E_NS1_11comp_targetILNS1_3genE5ELNS1_11target_archE942ELNS1_3gpuE9ELNS1_3repE0EEENS1_30default_config_static_selectorELNS0_4arch9wavefront6targetE1EEEvT1_
    .private_segment_fixed_size: 0
    .sgpr_count:     4
    .sgpr_spill_count: 0
    .symbol:         _ZN7rocprim17ROCPRIM_400000_NS6detail17trampoline_kernelINS0_14default_configENS1_25partition_config_selectorILNS1_17partition_subalgoE9EllbEEZZNS1_14partition_implILS5_9ELb0ES3_jPlS8_PNS0_10empty_typeENS0_5tupleIJS8_S9_EEENSB_IJS8_SA_EEENS0_18inequality_wrapperIZN2at6native12_GLOBAL__N_124unique_dim_cuda_templateIiEESt5tupleIJNSF_6TensorESK_SK_EERKSK_lbbbEUlllE0_EEPmJS9_EEE10hipError_tPvRmT3_T4_T5_T6_T7_T9_mT8_P12ihipStream_tbDpT10_ENKUlT_T0_E_clISt17integral_constantIbLb1EES1A_EEDaS15_S16_EUlS15_E_NS1_11comp_targetILNS1_3genE5ELNS1_11target_archE942ELNS1_3gpuE9ELNS1_3repE0EEENS1_30default_config_static_selectorELNS0_4arch9wavefront6targetE1EEEvT1_.kd
    .uniform_work_group_size: 1
    .uses_dynamic_stack: false
    .vgpr_count:     0
    .vgpr_spill_count: 0
    .wavefront_size: 64
  - .agpr_count:     0
    .args:
      - .offset:         0
        .size:           136
        .value_kind:     by_value
    .group_segment_fixed_size: 4236
    .kernarg_segment_align: 8
    .kernarg_segment_size: 136
    .language:       OpenCL C
    .language_version:
      - 2
      - 0
    .max_flat_workgroup_size: 128
    .name:           _ZN7rocprim17ROCPRIM_400000_NS6detail17trampoline_kernelINS0_14default_configENS1_25partition_config_selectorILNS1_17partition_subalgoE9EllbEEZZNS1_14partition_implILS5_9ELb0ES3_jPlS8_PNS0_10empty_typeENS0_5tupleIJS8_S9_EEENSB_IJS8_SA_EEENS0_18inequality_wrapperIZN2at6native12_GLOBAL__N_124unique_dim_cuda_templateIiEESt5tupleIJNSF_6TensorESK_SK_EERKSK_lbbbEUlllE0_EEPmJS9_EEE10hipError_tPvRmT3_T4_T5_T6_T7_T9_mT8_P12ihipStream_tbDpT10_ENKUlT_T0_E_clISt17integral_constantIbLb1EES1A_EEDaS15_S16_EUlS15_E_NS1_11comp_targetILNS1_3genE4ELNS1_11target_archE910ELNS1_3gpuE8ELNS1_3repE0EEENS1_30default_config_static_selectorELNS0_4arch9wavefront6targetE1EEEvT1_
    .private_segment_fixed_size: 0
    .sgpr_count:     56
    .sgpr_spill_count: 0
    .symbol:         _ZN7rocprim17ROCPRIM_400000_NS6detail17trampoline_kernelINS0_14default_configENS1_25partition_config_selectorILNS1_17partition_subalgoE9EllbEEZZNS1_14partition_implILS5_9ELb0ES3_jPlS8_PNS0_10empty_typeENS0_5tupleIJS8_S9_EEENSB_IJS8_SA_EEENS0_18inequality_wrapperIZN2at6native12_GLOBAL__N_124unique_dim_cuda_templateIiEESt5tupleIJNSF_6TensorESK_SK_EERKSK_lbbbEUlllE0_EEPmJS9_EEE10hipError_tPvRmT3_T4_T5_T6_T7_T9_mT8_P12ihipStream_tbDpT10_ENKUlT_T0_E_clISt17integral_constantIbLb1EES1A_EEDaS15_S16_EUlS15_E_NS1_11comp_targetILNS1_3genE4ELNS1_11target_archE910ELNS1_3gpuE8ELNS1_3repE0EEENS1_30default_config_static_selectorELNS0_4arch9wavefront6targetE1EEEvT1_.kd
    .uniform_work_group_size: 1
    .uses_dynamic_stack: false
    .vgpr_count:     50
    .vgpr_spill_count: 0
    .wavefront_size: 64
  - .agpr_count:     0
    .args:
      - .offset:         0
        .size:           136
        .value_kind:     by_value
    .group_segment_fixed_size: 0
    .kernarg_segment_align: 8
    .kernarg_segment_size: 136
    .language:       OpenCL C
    .language_version:
      - 2
      - 0
    .max_flat_workgroup_size: 128
    .name:           _ZN7rocprim17ROCPRIM_400000_NS6detail17trampoline_kernelINS0_14default_configENS1_25partition_config_selectorILNS1_17partition_subalgoE9EllbEEZZNS1_14partition_implILS5_9ELb0ES3_jPlS8_PNS0_10empty_typeENS0_5tupleIJS8_S9_EEENSB_IJS8_SA_EEENS0_18inequality_wrapperIZN2at6native12_GLOBAL__N_124unique_dim_cuda_templateIiEESt5tupleIJNSF_6TensorESK_SK_EERKSK_lbbbEUlllE0_EEPmJS9_EEE10hipError_tPvRmT3_T4_T5_T6_T7_T9_mT8_P12ihipStream_tbDpT10_ENKUlT_T0_E_clISt17integral_constantIbLb1EES1A_EEDaS15_S16_EUlS15_E_NS1_11comp_targetILNS1_3genE3ELNS1_11target_archE908ELNS1_3gpuE7ELNS1_3repE0EEENS1_30default_config_static_selectorELNS0_4arch9wavefront6targetE1EEEvT1_
    .private_segment_fixed_size: 0
    .sgpr_count:     4
    .sgpr_spill_count: 0
    .symbol:         _ZN7rocprim17ROCPRIM_400000_NS6detail17trampoline_kernelINS0_14default_configENS1_25partition_config_selectorILNS1_17partition_subalgoE9EllbEEZZNS1_14partition_implILS5_9ELb0ES3_jPlS8_PNS0_10empty_typeENS0_5tupleIJS8_S9_EEENSB_IJS8_SA_EEENS0_18inequality_wrapperIZN2at6native12_GLOBAL__N_124unique_dim_cuda_templateIiEESt5tupleIJNSF_6TensorESK_SK_EERKSK_lbbbEUlllE0_EEPmJS9_EEE10hipError_tPvRmT3_T4_T5_T6_T7_T9_mT8_P12ihipStream_tbDpT10_ENKUlT_T0_E_clISt17integral_constantIbLb1EES1A_EEDaS15_S16_EUlS15_E_NS1_11comp_targetILNS1_3genE3ELNS1_11target_archE908ELNS1_3gpuE7ELNS1_3repE0EEENS1_30default_config_static_selectorELNS0_4arch9wavefront6targetE1EEEvT1_.kd
    .uniform_work_group_size: 1
    .uses_dynamic_stack: false
    .vgpr_count:     0
    .vgpr_spill_count: 0
    .wavefront_size: 64
  - .agpr_count:     0
    .args:
      - .offset:         0
        .size:           136
        .value_kind:     by_value
    .group_segment_fixed_size: 0
    .kernarg_segment_align: 8
    .kernarg_segment_size: 136
    .language:       OpenCL C
    .language_version:
      - 2
      - 0
    .max_flat_workgroup_size: 192
    .name:           _ZN7rocprim17ROCPRIM_400000_NS6detail17trampoline_kernelINS0_14default_configENS1_25partition_config_selectorILNS1_17partition_subalgoE9EllbEEZZNS1_14partition_implILS5_9ELb0ES3_jPlS8_PNS0_10empty_typeENS0_5tupleIJS8_S9_EEENSB_IJS8_SA_EEENS0_18inequality_wrapperIZN2at6native12_GLOBAL__N_124unique_dim_cuda_templateIiEESt5tupleIJNSF_6TensorESK_SK_EERKSK_lbbbEUlllE0_EEPmJS9_EEE10hipError_tPvRmT3_T4_T5_T6_T7_T9_mT8_P12ihipStream_tbDpT10_ENKUlT_T0_E_clISt17integral_constantIbLb1EES1A_EEDaS15_S16_EUlS15_E_NS1_11comp_targetILNS1_3genE2ELNS1_11target_archE906ELNS1_3gpuE6ELNS1_3repE0EEENS1_30default_config_static_selectorELNS0_4arch9wavefront6targetE1EEEvT1_
    .private_segment_fixed_size: 0
    .sgpr_count:     4
    .sgpr_spill_count: 0
    .symbol:         _ZN7rocprim17ROCPRIM_400000_NS6detail17trampoline_kernelINS0_14default_configENS1_25partition_config_selectorILNS1_17partition_subalgoE9EllbEEZZNS1_14partition_implILS5_9ELb0ES3_jPlS8_PNS0_10empty_typeENS0_5tupleIJS8_S9_EEENSB_IJS8_SA_EEENS0_18inequality_wrapperIZN2at6native12_GLOBAL__N_124unique_dim_cuda_templateIiEESt5tupleIJNSF_6TensorESK_SK_EERKSK_lbbbEUlllE0_EEPmJS9_EEE10hipError_tPvRmT3_T4_T5_T6_T7_T9_mT8_P12ihipStream_tbDpT10_ENKUlT_T0_E_clISt17integral_constantIbLb1EES1A_EEDaS15_S16_EUlS15_E_NS1_11comp_targetILNS1_3genE2ELNS1_11target_archE906ELNS1_3gpuE6ELNS1_3repE0EEENS1_30default_config_static_selectorELNS0_4arch9wavefront6targetE1EEEvT1_.kd
    .uniform_work_group_size: 1
    .uses_dynamic_stack: false
    .vgpr_count:     0
    .vgpr_spill_count: 0
    .wavefront_size: 64
  - .agpr_count:     0
    .args:
      - .offset:         0
        .size:           136
        .value_kind:     by_value
    .group_segment_fixed_size: 0
    .kernarg_segment_align: 8
    .kernarg_segment_size: 136
    .language:       OpenCL C
    .language_version:
      - 2
      - 0
    .max_flat_workgroup_size: 384
    .name:           _ZN7rocprim17ROCPRIM_400000_NS6detail17trampoline_kernelINS0_14default_configENS1_25partition_config_selectorILNS1_17partition_subalgoE9EllbEEZZNS1_14partition_implILS5_9ELb0ES3_jPlS8_PNS0_10empty_typeENS0_5tupleIJS8_S9_EEENSB_IJS8_SA_EEENS0_18inequality_wrapperIZN2at6native12_GLOBAL__N_124unique_dim_cuda_templateIiEESt5tupleIJNSF_6TensorESK_SK_EERKSK_lbbbEUlllE0_EEPmJS9_EEE10hipError_tPvRmT3_T4_T5_T6_T7_T9_mT8_P12ihipStream_tbDpT10_ENKUlT_T0_E_clISt17integral_constantIbLb1EES1A_EEDaS15_S16_EUlS15_E_NS1_11comp_targetILNS1_3genE10ELNS1_11target_archE1200ELNS1_3gpuE4ELNS1_3repE0EEENS1_30default_config_static_selectorELNS0_4arch9wavefront6targetE1EEEvT1_
    .private_segment_fixed_size: 0
    .sgpr_count:     4
    .sgpr_spill_count: 0
    .symbol:         _ZN7rocprim17ROCPRIM_400000_NS6detail17trampoline_kernelINS0_14default_configENS1_25partition_config_selectorILNS1_17partition_subalgoE9EllbEEZZNS1_14partition_implILS5_9ELb0ES3_jPlS8_PNS0_10empty_typeENS0_5tupleIJS8_S9_EEENSB_IJS8_SA_EEENS0_18inequality_wrapperIZN2at6native12_GLOBAL__N_124unique_dim_cuda_templateIiEESt5tupleIJNSF_6TensorESK_SK_EERKSK_lbbbEUlllE0_EEPmJS9_EEE10hipError_tPvRmT3_T4_T5_T6_T7_T9_mT8_P12ihipStream_tbDpT10_ENKUlT_T0_E_clISt17integral_constantIbLb1EES1A_EEDaS15_S16_EUlS15_E_NS1_11comp_targetILNS1_3genE10ELNS1_11target_archE1200ELNS1_3gpuE4ELNS1_3repE0EEENS1_30default_config_static_selectorELNS0_4arch9wavefront6targetE1EEEvT1_.kd
    .uniform_work_group_size: 1
    .uses_dynamic_stack: false
    .vgpr_count:     0
    .vgpr_spill_count: 0
    .wavefront_size: 64
  - .agpr_count:     0
    .args:
      - .offset:         0
        .size:           136
        .value_kind:     by_value
    .group_segment_fixed_size: 0
    .kernarg_segment_align: 8
    .kernarg_segment_size: 136
    .language:       OpenCL C
    .language_version:
      - 2
      - 0
    .max_flat_workgroup_size: 512
    .name:           _ZN7rocprim17ROCPRIM_400000_NS6detail17trampoline_kernelINS0_14default_configENS1_25partition_config_selectorILNS1_17partition_subalgoE9EllbEEZZNS1_14partition_implILS5_9ELb0ES3_jPlS8_PNS0_10empty_typeENS0_5tupleIJS8_S9_EEENSB_IJS8_SA_EEENS0_18inequality_wrapperIZN2at6native12_GLOBAL__N_124unique_dim_cuda_templateIiEESt5tupleIJNSF_6TensorESK_SK_EERKSK_lbbbEUlllE0_EEPmJS9_EEE10hipError_tPvRmT3_T4_T5_T6_T7_T9_mT8_P12ihipStream_tbDpT10_ENKUlT_T0_E_clISt17integral_constantIbLb1EES1A_EEDaS15_S16_EUlS15_E_NS1_11comp_targetILNS1_3genE9ELNS1_11target_archE1100ELNS1_3gpuE3ELNS1_3repE0EEENS1_30default_config_static_selectorELNS0_4arch9wavefront6targetE1EEEvT1_
    .private_segment_fixed_size: 0
    .sgpr_count:     4
    .sgpr_spill_count: 0
    .symbol:         _ZN7rocprim17ROCPRIM_400000_NS6detail17trampoline_kernelINS0_14default_configENS1_25partition_config_selectorILNS1_17partition_subalgoE9EllbEEZZNS1_14partition_implILS5_9ELb0ES3_jPlS8_PNS0_10empty_typeENS0_5tupleIJS8_S9_EEENSB_IJS8_SA_EEENS0_18inequality_wrapperIZN2at6native12_GLOBAL__N_124unique_dim_cuda_templateIiEESt5tupleIJNSF_6TensorESK_SK_EERKSK_lbbbEUlllE0_EEPmJS9_EEE10hipError_tPvRmT3_T4_T5_T6_T7_T9_mT8_P12ihipStream_tbDpT10_ENKUlT_T0_E_clISt17integral_constantIbLb1EES1A_EEDaS15_S16_EUlS15_E_NS1_11comp_targetILNS1_3genE9ELNS1_11target_archE1100ELNS1_3gpuE3ELNS1_3repE0EEENS1_30default_config_static_selectorELNS0_4arch9wavefront6targetE1EEEvT1_.kd
    .uniform_work_group_size: 1
    .uses_dynamic_stack: false
    .vgpr_count:     0
    .vgpr_spill_count: 0
    .wavefront_size: 64
  - .agpr_count:     0
    .args:
      - .offset:         0
        .size:           136
        .value_kind:     by_value
    .group_segment_fixed_size: 0
    .kernarg_segment_align: 8
    .kernarg_segment_size: 136
    .language:       OpenCL C
    .language_version:
      - 2
      - 0
    .max_flat_workgroup_size: 512
    .name:           _ZN7rocprim17ROCPRIM_400000_NS6detail17trampoline_kernelINS0_14default_configENS1_25partition_config_selectorILNS1_17partition_subalgoE9EllbEEZZNS1_14partition_implILS5_9ELb0ES3_jPlS8_PNS0_10empty_typeENS0_5tupleIJS8_S9_EEENSB_IJS8_SA_EEENS0_18inequality_wrapperIZN2at6native12_GLOBAL__N_124unique_dim_cuda_templateIiEESt5tupleIJNSF_6TensorESK_SK_EERKSK_lbbbEUlllE0_EEPmJS9_EEE10hipError_tPvRmT3_T4_T5_T6_T7_T9_mT8_P12ihipStream_tbDpT10_ENKUlT_T0_E_clISt17integral_constantIbLb1EES1A_EEDaS15_S16_EUlS15_E_NS1_11comp_targetILNS1_3genE8ELNS1_11target_archE1030ELNS1_3gpuE2ELNS1_3repE0EEENS1_30default_config_static_selectorELNS0_4arch9wavefront6targetE1EEEvT1_
    .private_segment_fixed_size: 0
    .sgpr_count:     4
    .sgpr_spill_count: 0
    .symbol:         _ZN7rocprim17ROCPRIM_400000_NS6detail17trampoline_kernelINS0_14default_configENS1_25partition_config_selectorILNS1_17partition_subalgoE9EllbEEZZNS1_14partition_implILS5_9ELb0ES3_jPlS8_PNS0_10empty_typeENS0_5tupleIJS8_S9_EEENSB_IJS8_SA_EEENS0_18inequality_wrapperIZN2at6native12_GLOBAL__N_124unique_dim_cuda_templateIiEESt5tupleIJNSF_6TensorESK_SK_EERKSK_lbbbEUlllE0_EEPmJS9_EEE10hipError_tPvRmT3_T4_T5_T6_T7_T9_mT8_P12ihipStream_tbDpT10_ENKUlT_T0_E_clISt17integral_constantIbLb1EES1A_EEDaS15_S16_EUlS15_E_NS1_11comp_targetILNS1_3genE8ELNS1_11target_archE1030ELNS1_3gpuE2ELNS1_3repE0EEENS1_30default_config_static_selectorELNS0_4arch9wavefront6targetE1EEEvT1_.kd
    .uniform_work_group_size: 1
    .uses_dynamic_stack: false
    .vgpr_count:     0
    .vgpr_spill_count: 0
    .wavefront_size: 64
  - .agpr_count:     0
    .args:
      - .offset:         0
        .size:           120
        .value_kind:     by_value
    .group_segment_fixed_size: 0
    .kernarg_segment_align: 8
    .kernarg_segment_size: 120
    .language:       OpenCL C
    .language_version:
      - 2
      - 0
    .max_flat_workgroup_size: 128
    .name:           _ZN7rocprim17ROCPRIM_400000_NS6detail17trampoline_kernelINS0_14default_configENS1_25partition_config_selectorILNS1_17partition_subalgoE9EllbEEZZNS1_14partition_implILS5_9ELb0ES3_jPlS8_PNS0_10empty_typeENS0_5tupleIJS8_S9_EEENSB_IJS8_SA_EEENS0_18inequality_wrapperIZN2at6native12_GLOBAL__N_124unique_dim_cuda_templateIiEESt5tupleIJNSF_6TensorESK_SK_EERKSK_lbbbEUlllE0_EEPmJS9_EEE10hipError_tPvRmT3_T4_T5_T6_T7_T9_mT8_P12ihipStream_tbDpT10_ENKUlT_T0_E_clISt17integral_constantIbLb1EES19_IbLb0EEEEDaS15_S16_EUlS15_E_NS1_11comp_targetILNS1_3genE0ELNS1_11target_archE4294967295ELNS1_3gpuE0ELNS1_3repE0EEENS1_30default_config_static_selectorELNS0_4arch9wavefront6targetE1EEEvT1_
    .private_segment_fixed_size: 0
    .sgpr_count:     4
    .sgpr_spill_count: 0
    .symbol:         _ZN7rocprim17ROCPRIM_400000_NS6detail17trampoline_kernelINS0_14default_configENS1_25partition_config_selectorILNS1_17partition_subalgoE9EllbEEZZNS1_14partition_implILS5_9ELb0ES3_jPlS8_PNS0_10empty_typeENS0_5tupleIJS8_S9_EEENSB_IJS8_SA_EEENS0_18inequality_wrapperIZN2at6native12_GLOBAL__N_124unique_dim_cuda_templateIiEESt5tupleIJNSF_6TensorESK_SK_EERKSK_lbbbEUlllE0_EEPmJS9_EEE10hipError_tPvRmT3_T4_T5_T6_T7_T9_mT8_P12ihipStream_tbDpT10_ENKUlT_T0_E_clISt17integral_constantIbLb1EES19_IbLb0EEEEDaS15_S16_EUlS15_E_NS1_11comp_targetILNS1_3genE0ELNS1_11target_archE4294967295ELNS1_3gpuE0ELNS1_3repE0EEENS1_30default_config_static_selectorELNS0_4arch9wavefront6targetE1EEEvT1_.kd
    .uniform_work_group_size: 1
    .uses_dynamic_stack: false
    .vgpr_count:     0
    .vgpr_spill_count: 0
    .wavefront_size: 64
  - .agpr_count:     0
    .args:
      - .offset:         0
        .size:           120
        .value_kind:     by_value
    .group_segment_fixed_size: 0
    .kernarg_segment_align: 8
    .kernarg_segment_size: 120
    .language:       OpenCL C
    .language_version:
      - 2
      - 0
    .max_flat_workgroup_size: 512
    .name:           _ZN7rocprim17ROCPRIM_400000_NS6detail17trampoline_kernelINS0_14default_configENS1_25partition_config_selectorILNS1_17partition_subalgoE9EllbEEZZNS1_14partition_implILS5_9ELb0ES3_jPlS8_PNS0_10empty_typeENS0_5tupleIJS8_S9_EEENSB_IJS8_SA_EEENS0_18inequality_wrapperIZN2at6native12_GLOBAL__N_124unique_dim_cuda_templateIiEESt5tupleIJNSF_6TensorESK_SK_EERKSK_lbbbEUlllE0_EEPmJS9_EEE10hipError_tPvRmT3_T4_T5_T6_T7_T9_mT8_P12ihipStream_tbDpT10_ENKUlT_T0_E_clISt17integral_constantIbLb1EES19_IbLb0EEEEDaS15_S16_EUlS15_E_NS1_11comp_targetILNS1_3genE5ELNS1_11target_archE942ELNS1_3gpuE9ELNS1_3repE0EEENS1_30default_config_static_selectorELNS0_4arch9wavefront6targetE1EEEvT1_
    .private_segment_fixed_size: 0
    .sgpr_count:     4
    .sgpr_spill_count: 0
    .symbol:         _ZN7rocprim17ROCPRIM_400000_NS6detail17trampoline_kernelINS0_14default_configENS1_25partition_config_selectorILNS1_17partition_subalgoE9EllbEEZZNS1_14partition_implILS5_9ELb0ES3_jPlS8_PNS0_10empty_typeENS0_5tupleIJS8_S9_EEENSB_IJS8_SA_EEENS0_18inequality_wrapperIZN2at6native12_GLOBAL__N_124unique_dim_cuda_templateIiEESt5tupleIJNSF_6TensorESK_SK_EERKSK_lbbbEUlllE0_EEPmJS9_EEE10hipError_tPvRmT3_T4_T5_T6_T7_T9_mT8_P12ihipStream_tbDpT10_ENKUlT_T0_E_clISt17integral_constantIbLb1EES19_IbLb0EEEEDaS15_S16_EUlS15_E_NS1_11comp_targetILNS1_3genE5ELNS1_11target_archE942ELNS1_3gpuE9ELNS1_3repE0EEENS1_30default_config_static_selectorELNS0_4arch9wavefront6targetE1EEEvT1_.kd
    .uniform_work_group_size: 1
    .uses_dynamic_stack: false
    .vgpr_count:     0
    .vgpr_spill_count: 0
    .wavefront_size: 64
  - .agpr_count:     0
    .args:
      - .offset:         0
        .size:           120
        .value_kind:     by_value
    .group_segment_fixed_size: 4236
    .kernarg_segment_align: 8
    .kernarg_segment_size: 120
    .language:       OpenCL C
    .language_version:
      - 2
      - 0
    .max_flat_workgroup_size: 128
    .name:           _ZN7rocprim17ROCPRIM_400000_NS6detail17trampoline_kernelINS0_14default_configENS1_25partition_config_selectorILNS1_17partition_subalgoE9EllbEEZZNS1_14partition_implILS5_9ELb0ES3_jPlS8_PNS0_10empty_typeENS0_5tupleIJS8_S9_EEENSB_IJS8_SA_EEENS0_18inequality_wrapperIZN2at6native12_GLOBAL__N_124unique_dim_cuda_templateIiEESt5tupleIJNSF_6TensorESK_SK_EERKSK_lbbbEUlllE0_EEPmJS9_EEE10hipError_tPvRmT3_T4_T5_T6_T7_T9_mT8_P12ihipStream_tbDpT10_ENKUlT_T0_E_clISt17integral_constantIbLb1EES19_IbLb0EEEEDaS15_S16_EUlS15_E_NS1_11comp_targetILNS1_3genE4ELNS1_11target_archE910ELNS1_3gpuE8ELNS1_3repE0EEENS1_30default_config_static_selectorELNS0_4arch9wavefront6targetE1EEEvT1_
    .private_segment_fixed_size: 0
    .sgpr_count:     50
    .sgpr_spill_count: 0
    .symbol:         _ZN7rocprim17ROCPRIM_400000_NS6detail17trampoline_kernelINS0_14default_configENS1_25partition_config_selectorILNS1_17partition_subalgoE9EllbEEZZNS1_14partition_implILS5_9ELb0ES3_jPlS8_PNS0_10empty_typeENS0_5tupleIJS8_S9_EEENSB_IJS8_SA_EEENS0_18inequality_wrapperIZN2at6native12_GLOBAL__N_124unique_dim_cuda_templateIiEESt5tupleIJNSF_6TensorESK_SK_EERKSK_lbbbEUlllE0_EEPmJS9_EEE10hipError_tPvRmT3_T4_T5_T6_T7_T9_mT8_P12ihipStream_tbDpT10_ENKUlT_T0_E_clISt17integral_constantIbLb1EES19_IbLb0EEEEDaS15_S16_EUlS15_E_NS1_11comp_targetILNS1_3genE4ELNS1_11target_archE910ELNS1_3gpuE8ELNS1_3repE0EEENS1_30default_config_static_selectorELNS0_4arch9wavefront6targetE1EEEvT1_.kd
    .uniform_work_group_size: 1
    .uses_dynamic_stack: false
    .vgpr_count:     50
    .vgpr_spill_count: 0
    .wavefront_size: 64
  - .agpr_count:     0
    .args:
      - .offset:         0
        .size:           120
        .value_kind:     by_value
    .group_segment_fixed_size: 0
    .kernarg_segment_align: 8
    .kernarg_segment_size: 120
    .language:       OpenCL C
    .language_version:
      - 2
      - 0
    .max_flat_workgroup_size: 128
    .name:           _ZN7rocprim17ROCPRIM_400000_NS6detail17trampoline_kernelINS0_14default_configENS1_25partition_config_selectorILNS1_17partition_subalgoE9EllbEEZZNS1_14partition_implILS5_9ELb0ES3_jPlS8_PNS0_10empty_typeENS0_5tupleIJS8_S9_EEENSB_IJS8_SA_EEENS0_18inequality_wrapperIZN2at6native12_GLOBAL__N_124unique_dim_cuda_templateIiEESt5tupleIJNSF_6TensorESK_SK_EERKSK_lbbbEUlllE0_EEPmJS9_EEE10hipError_tPvRmT3_T4_T5_T6_T7_T9_mT8_P12ihipStream_tbDpT10_ENKUlT_T0_E_clISt17integral_constantIbLb1EES19_IbLb0EEEEDaS15_S16_EUlS15_E_NS1_11comp_targetILNS1_3genE3ELNS1_11target_archE908ELNS1_3gpuE7ELNS1_3repE0EEENS1_30default_config_static_selectorELNS0_4arch9wavefront6targetE1EEEvT1_
    .private_segment_fixed_size: 0
    .sgpr_count:     4
    .sgpr_spill_count: 0
    .symbol:         _ZN7rocprim17ROCPRIM_400000_NS6detail17trampoline_kernelINS0_14default_configENS1_25partition_config_selectorILNS1_17partition_subalgoE9EllbEEZZNS1_14partition_implILS5_9ELb0ES3_jPlS8_PNS0_10empty_typeENS0_5tupleIJS8_S9_EEENSB_IJS8_SA_EEENS0_18inequality_wrapperIZN2at6native12_GLOBAL__N_124unique_dim_cuda_templateIiEESt5tupleIJNSF_6TensorESK_SK_EERKSK_lbbbEUlllE0_EEPmJS9_EEE10hipError_tPvRmT3_T4_T5_T6_T7_T9_mT8_P12ihipStream_tbDpT10_ENKUlT_T0_E_clISt17integral_constantIbLb1EES19_IbLb0EEEEDaS15_S16_EUlS15_E_NS1_11comp_targetILNS1_3genE3ELNS1_11target_archE908ELNS1_3gpuE7ELNS1_3repE0EEENS1_30default_config_static_selectorELNS0_4arch9wavefront6targetE1EEEvT1_.kd
    .uniform_work_group_size: 1
    .uses_dynamic_stack: false
    .vgpr_count:     0
    .vgpr_spill_count: 0
    .wavefront_size: 64
  - .agpr_count:     0
    .args:
      - .offset:         0
        .size:           120
        .value_kind:     by_value
    .group_segment_fixed_size: 0
    .kernarg_segment_align: 8
    .kernarg_segment_size: 120
    .language:       OpenCL C
    .language_version:
      - 2
      - 0
    .max_flat_workgroup_size: 192
    .name:           _ZN7rocprim17ROCPRIM_400000_NS6detail17trampoline_kernelINS0_14default_configENS1_25partition_config_selectorILNS1_17partition_subalgoE9EllbEEZZNS1_14partition_implILS5_9ELb0ES3_jPlS8_PNS0_10empty_typeENS0_5tupleIJS8_S9_EEENSB_IJS8_SA_EEENS0_18inequality_wrapperIZN2at6native12_GLOBAL__N_124unique_dim_cuda_templateIiEESt5tupleIJNSF_6TensorESK_SK_EERKSK_lbbbEUlllE0_EEPmJS9_EEE10hipError_tPvRmT3_T4_T5_T6_T7_T9_mT8_P12ihipStream_tbDpT10_ENKUlT_T0_E_clISt17integral_constantIbLb1EES19_IbLb0EEEEDaS15_S16_EUlS15_E_NS1_11comp_targetILNS1_3genE2ELNS1_11target_archE906ELNS1_3gpuE6ELNS1_3repE0EEENS1_30default_config_static_selectorELNS0_4arch9wavefront6targetE1EEEvT1_
    .private_segment_fixed_size: 0
    .sgpr_count:     4
    .sgpr_spill_count: 0
    .symbol:         _ZN7rocprim17ROCPRIM_400000_NS6detail17trampoline_kernelINS0_14default_configENS1_25partition_config_selectorILNS1_17partition_subalgoE9EllbEEZZNS1_14partition_implILS5_9ELb0ES3_jPlS8_PNS0_10empty_typeENS0_5tupleIJS8_S9_EEENSB_IJS8_SA_EEENS0_18inequality_wrapperIZN2at6native12_GLOBAL__N_124unique_dim_cuda_templateIiEESt5tupleIJNSF_6TensorESK_SK_EERKSK_lbbbEUlllE0_EEPmJS9_EEE10hipError_tPvRmT3_T4_T5_T6_T7_T9_mT8_P12ihipStream_tbDpT10_ENKUlT_T0_E_clISt17integral_constantIbLb1EES19_IbLb0EEEEDaS15_S16_EUlS15_E_NS1_11comp_targetILNS1_3genE2ELNS1_11target_archE906ELNS1_3gpuE6ELNS1_3repE0EEENS1_30default_config_static_selectorELNS0_4arch9wavefront6targetE1EEEvT1_.kd
    .uniform_work_group_size: 1
    .uses_dynamic_stack: false
    .vgpr_count:     0
    .vgpr_spill_count: 0
    .wavefront_size: 64
  - .agpr_count:     0
    .args:
      - .offset:         0
        .size:           120
        .value_kind:     by_value
    .group_segment_fixed_size: 0
    .kernarg_segment_align: 8
    .kernarg_segment_size: 120
    .language:       OpenCL C
    .language_version:
      - 2
      - 0
    .max_flat_workgroup_size: 384
    .name:           _ZN7rocprim17ROCPRIM_400000_NS6detail17trampoline_kernelINS0_14default_configENS1_25partition_config_selectorILNS1_17partition_subalgoE9EllbEEZZNS1_14partition_implILS5_9ELb0ES3_jPlS8_PNS0_10empty_typeENS0_5tupleIJS8_S9_EEENSB_IJS8_SA_EEENS0_18inequality_wrapperIZN2at6native12_GLOBAL__N_124unique_dim_cuda_templateIiEESt5tupleIJNSF_6TensorESK_SK_EERKSK_lbbbEUlllE0_EEPmJS9_EEE10hipError_tPvRmT3_T4_T5_T6_T7_T9_mT8_P12ihipStream_tbDpT10_ENKUlT_T0_E_clISt17integral_constantIbLb1EES19_IbLb0EEEEDaS15_S16_EUlS15_E_NS1_11comp_targetILNS1_3genE10ELNS1_11target_archE1200ELNS1_3gpuE4ELNS1_3repE0EEENS1_30default_config_static_selectorELNS0_4arch9wavefront6targetE1EEEvT1_
    .private_segment_fixed_size: 0
    .sgpr_count:     4
    .sgpr_spill_count: 0
    .symbol:         _ZN7rocprim17ROCPRIM_400000_NS6detail17trampoline_kernelINS0_14default_configENS1_25partition_config_selectorILNS1_17partition_subalgoE9EllbEEZZNS1_14partition_implILS5_9ELb0ES3_jPlS8_PNS0_10empty_typeENS0_5tupleIJS8_S9_EEENSB_IJS8_SA_EEENS0_18inequality_wrapperIZN2at6native12_GLOBAL__N_124unique_dim_cuda_templateIiEESt5tupleIJNSF_6TensorESK_SK_EERKSK_lbbbEUlllE0_EEPmJS9_EEE10hipError_tPvRmT3_T4_T5_T6_T7_T9_mT8_P12ihipStream_tbDpT10_ENKUlT_T0_E_clISt17integral_constantIbLb1EES19_IbLb0EEEEDaS15_S16_EUlS15_E_NS1_11comp_targetILNS1_3genE10ELNS1_11target_archE1200ELNS1_3gpuE4ELNS1_3repE0EEENS1_30default_config_static_selectorELNS0_4arch9wavefront6targetE1EEEvT1_.kd
    .uniform_work_group_size: 1
    .uses_dynamic_stack: false
    .vgpr_count:     0
    .vgpr_spill_count: 0
    .wavefront_size: 64
  - .agpr_count:     0
    .args:
      - .offset:         0
        .size:           120
        .value_kind:     by_value
    .group_segment_fixed_size: 0
    .kernarg_segment_align: 8
    .kernarg_segment_size: 120
    .language:       OpenCL C
    .language_version:
      - 2
      - 0
    .max_flat_workgroup_size: 512
    .name:           _ZN7rocprim17ROCPRIM_400000_NS6detail17trampoline_kernelINS0_14default_configENS1_25partition_config_selectorILNS1_17partition_subalgoE9EllbEEZZNS1_14partition_implILS5_9ELb0ES3_jPlS8_PNS0_10empty_typeENS0_5tupleIJS8_S9_EEENSB_IJS8_SA_EEENS0_18inequality_wrapperIZN2at6native12_GLOBAL__N_124unique_dim_cuda_templateIiEESt5tupleIJNSF_6TensorESK_SK_EERKSK_lbbbEUlllE0_EEPmJS9_EEE10hipError_tPvRmT3_T4_T5_T6_T7_T9_mT8_P12ihipStream_tbDpT10_ENKUlT_T0_E_clISt17integral_constantIbLb1EES19_IbLb0EEEEDaS15_S16_EUlS15_E_NS1_11comp_targetILNS1_3genE9ELNS1_11target_archE1100ELNS1_3gpuE3ELNS1_3repE0EEENS1_30default_config_static_selectorELNS0_4arch9wavefront6targetE1EEEvT1_
    .private_segment_fixed_size: 0
    .sgpr_count:     4
    .sgpr_spill_count: 0
    .symbol:         _ZN7rocprim17ROCPRIM_400000_NS6detail17trampoline_kernelINS0_14default_configENS1_25partition_config_selectorILNS1_17partition_subalgoE9EllbEEZZNS1_14partition_implILS5_9ELb0ES3_jPlS8_PNS0_10empty_typeENS0_5tupleIJS8_S9_EEENSB_IJS8_SA_EEENS0_18inequality_wrapperIZN2at6native12_GLOBAL__N_124unique_dim_cuda_templateIiEESt5tupleIJNSF_6TensorESK_SK_EERKSK_lbbbEUlllE0_EEPmJS9_EEE10hipError_tPvRmT3_T4_T5_T6_T7_T9_mT8_P12ihipStream_tbDpT10_ENKUlT_T0_E_clISt17integral_constantIbLb1EES19_IbLb0EEEEDaS15_S16_EUlS15_E_NS1_11comp_targetILNS1_3genE9ELNS1_11target_archE1100ELNS1_3gpuE3ELNS1_3repE0EEENS1_30default_config_static_selectorELNS0_4arch9wavefront6targetE1EEEvT1_.kd
    .uniform_work_group_size: 1
    .uses_dynamic_stack: false
    .vgpr_count:     0
    .vgpr_spill_count: 0
    .wavefront_size: 64
  - .agpr_count:     0
    .args:
      - .offset:         0
        .size:           120
        .value_kind:     by_value
    .group_segment_fixed_size: 0
    .kernarg_segment_align: 8
    .kernarg_segment_size: 120
    .language:       OpenCL C
    .language_version:
      - 2
      - 0
    .max_flat_workgroup_size: 512
    .name:           _ZN7rocprim17ROCPRIM_400000_NS6detail17trampoline_kernelINS0_14default_configENS1_25partition_config_selectorILNS1_17partition_subalgoE9EllbEEZZNS1_14partition_implILS5_9ELb0ES3_jPlS8_PNS0_10empty_typeENS0_5tupleIJS8_S9_EEENSB_IJS8_SA_EEENS0_18inequality_wrapperIZN2at6native12_GLOBAL__N_124unique_dim_cuda_templateIiEESt5tupleIJNSF_6TensorESK_SK_EERKSK_lbbbEUlllE0_EEPmJS9_EEE10hipError_tPvRmT3_T4_T5_T6_T7_T9_mT8_P12ihipStream_tbDpT10_ENKUlT_T0_E_clISt17integral_constantIbLb1EES19_IbLb0EEEEDaS15_S16_EUlS15_E_NS1_11comp_targetILNS1_3genE8ELNS1_11target_archE1030ELNS1_3gpuE2ELNS1_3repE0EEENS1_30default_config_static_selectorELNS0_4arch9wavefront6targetE1EEEvT1_
    .private_segment_fixed_size: 0
    .sgpr_count:     4
    .sgpr_spill_count: 0
    .symbol:         _ZN7rocprim17ROCPRIM_400000_NS6detail17trampoline_kernelINS0_14default_configENS1_25partition_config_selectorILNS1_17partition_subalgoE9EllbEEZZNS1_14partition_implILS5_9ELb0ES3_jPlS8_PNS0_10empty_typeENS0_5tupleIJS8_S9_EEENSB_IJS8_SA_EEENS0_18inequality_wrapperIZN2at6native12_GLOBAL__N_124unique_dim_cuda_templateIiEESt5tupleIJNSF_6TensorESK_SK_EERKSK_lbbbEUlllE0_EEPmJS9_EEE10hipError_tPvRmT3_T4_T5_T6_T7_T9_mT8_P12ihipStream_tbDpT10_ENKUlT_T0_E_clISt17integral_constantIbLb1EES19_IbLb0EEEEDaS15_S16_EUlS15_E_NS1_11comp_targetILNS1_3genE8ELNS1_11target_archE1030ELNS1_3gpuE2ELNS1_3repE0EEENS1_30default_config_static_selectorELNS0_4arch9wavefront6targetE1EEEvT1_.kd
    .uniform_work_group_size: 1
    .uses_dynamic_stack: false
    .vgpr_count:     0
    .vgpr_spill_count: 0
    .wavefront_size: 64
  - .agpr_count:     0
    .args:
      - .offset:         0
        .size:           136
        .value_kind:     by_value
    .group_segment_fixed_size: 0
    .kernarg_segment_align: 8
    .kernarg_segment_size: 136
    .language:       OpenCL C
    .language_version:
      - 2
      - 0
    .max_flat_workgroup_size: 128
    .name:           _ZN7rocprim17ROCPRIM_400000_NS6detail17trampoline_kernelINS0_14default_configENS1_25partition_config_selectorILNS1_17partition_subalgoE9EllbEEZZNS1_14partition_implILS5_9ELb0ES3_jPlS8_PNS0_10empty_typeENS0_5tupleIJS8_S9_EEENSB_IJS8_SA_EEENS0_18inequality_wrapperIZN2at6native12_GLOBAL__N_124unique_dim_cuda_templateIiEESt5tupleIJNSF_6TensorESK_SK_EERKSK_lbbbEUlllE0_EEPmJS9_EEE10hipError_tPvRmT3_T4_T5_T6_T7_T9_mT8_P12ihipStream_tbDpT10_ENKUlT_T0_E_clISt17integral_constantIbLb0EES19_IbLb1EEEEDaS15_S16_EUlS15_E_NS1_11comp_targetILNS1_3genE0ELNS1_11target_archE4294967295ELNS1_3gpuE0ELNS1_3repE0EEENS1_30default_config_static_selectorELNS0_4arch9wavefront6targetE1EEEvT1_
    .private_segment_fixed_size: 0
    .sgpr_count:     4
    .sgpr_spill_count: 0
    .symbol:         _ZN7rocprim17ROCPRIM_400000_NS6detail17trampoline_kernelINS0_14default_configENS1_25partition_config_selectorILNS1_17partition_subalgoE9EllbEEZZNS1_14partition_implILS5_9ELb0ES3_jPlS8_PNS0_10empty_typeENS0_5tupleIJS8_S9_EEENSB_IJS8_SA_EEENS0_18inequality_wrapperIZN2at6native12_GLOBAL__N_124unique_dim_cuda_templateIiEESt5tupleIJNSF_6TensorESK_SK_EERKSK_lbbbEUlllE0_EEPmJS9_EEE10hipError_tPvRmT3_T4_T5_T6_T7_T9_mT8_P12ihipStream_tbDpT10_ENKUlT_T0_E_clISt17integral_constantIbLb0EES19_IbLb1EEEEDaS15_S16_EUlS15_E_NS1_11comp_targetILNS1_3genE0ELNS1_11target_archE4294967295ELNS1_3gpuE0ELNS1_3repE0EEENS1_30default_config_static_selectorELNS0_4arch9wavefront6targetE1EEEvT1_.kd
    .uniform_work_group_size: 1
    .uses_dynamic_stack: false
    .vgpr_count:     0
    .vgpr_spill_count: 0
    .wavefront_size: 64
  - .agpr_count:     0
    .args:
      - .offset:         0
        .size:           136
        .value_kind:     by_value
    .group_segment_fixed_size: 0
    .kernarg_segment_align: 8
    .kernarg_segment_size: 136
    .language:       OpenCL C
    .language_version:
      - 2
      - 0
    .max_flat_workgroup_size: 512
    .name:           _ZN7rocprim17ROCPRIM_400000_NS6detail17trampoline_kernelINS0_14default_configENS1_25partition_config_selectorILNS1_17partition_subalgoE9EllbEEZZNS1_14partition_implILS5_9ELb0ES3_jPlS8_PNS0_10empty_typeENS0_5tupleIJS8_S9_EEENSB_IJS8_SA_EEENS0_18inequality_wrapperIZN2at6native12_GLOBAL__N_124unique_dim_cuda_templateIiEESt5tupleIJNSF_6TensorESK_SK_EERKSK_lbbbEUlllE0_EEPmJS9_EEE10hipError_tPvRmT3_T4_T5_T6_T7_T9_mT8_P12ihipStream_tbDpT10_ENKUlT_T0_E_clISt17integral_constantIbLb0EES19_IbLb1EEEEDaS15_S16_EUlS15_E_NS1_11comp_targetILNS1_3genE5ELNS1_11target_archE942ELNS1_3gpuE9ELNS1_3repE0EEENS1_30default_config_static_selectorELNS0_4arch9wavefront6targetE1EEEvT1_
    .private_segment_fixed_size: 0
    .sgpr_count:     4
    .sgpr_spill_count: 0
    .symbol:         _ZN7rocprim17ROCPRIM_400000_NS6detail17trampoline_kernelINS0_14default_configENS1_25partition_config_selectorILNS1_17partition_subalgoE9EllbEEZZNS1_14partition_implILS5_9ELb0ES3_jPlS8_PNS0_10empty_typeENS0_5tupleIJS8_S9_EEENSB_IJS8_SA_EEENS0_18inequality_wrapperIZN2at6native12_GLOBAL__N_124unique_dim_cuda_templateIiEESt5tupleIJNSF_6TensorESK_SK_EERKSK_lbbbEUlllE0_EEPmJS9_EEE10hipError_tPvRmT3_T4_T5_T6_T7_T9_mT8_P12ihipStream_tbDpT10_ENKUlT_T0_E_clISt17integral_constantIbLb0EES19_IbLb1EEEEDaS15_S16_EUlS15_E_NS1_11comp_targetILNS1_3genE5ELNS1_11target_archE942ELNS1_3gpuE9ELNS1_3repE0EEENS1_30default_config_static_selectorELNS0_4arch9wavefront6targetE1EEEvT1_.kd
    .uniform_work_group_size: 1
    .uses_dynamic_stack: false
    .vgpr_count:     0
    .vgpr_spill_count: 0
    .wavefront_size: 64
  - .agpr_count:     0
    .args:
      - .offset:         0
        .size:           136
        .value_kind:     by_value
    .group_segment_fixed_size: 4236
    .kernarg_segment_align: 8
    .kernarg_segment_size: 136
    .language:       OpenCL C
    .language_version:
      - 2
      - 0
    .max_flat_workgroup_size: 128
    .name:           _ZN7rocprim17ROCPRIM_400000_NS6detail17trampoline_kernelINS0_14default_configENS1_25partition_config_selectorILNS1_17partition_subalgoE9EllbEEZZNS1_14partition_implILS5_9ELb0ES3_jPlS8_PNS0_10empty_typeENS0_5tupleIJS8_S9_EEENSB_IJS8_SA_EEENS0_18inequality_wrapperIZN2at6native12_GLOBAL__N_124unique_dim_cuda_templateIiEESt5tupleIJNSF_6TensorESK_SK_EERKSK_lbbbEUlllE0_EEPmJS9_EEE10hipError_tPvRmT3_T4_T5_T6_T7_T9_mT8_P12ihipStream_tbDpT10_ENKUlT_T0_E_clISt17integral_constantIbLb0EES19_IbLb1EEEEDaS15_S16_EUlS15_E_NS1_11comp_targetILNS1_3genE4ELNS1_11target_archE910ELNS1_3gpuE8ELNS1_3repE0EEENS1_30default_config_static_selectorELNS0_4arch9wavefront6targetE1EEEvT1_
    .private_segment_fixed_size: 0
    .sgpr_count:     56
    .sgpr_spill_count: 0
    .symbol:         _ZN7rocprim17ROCPRIM_400000_NS6detail17trampoline_kernelINS0_14default_configENS1_25partition_config_selectorILNS1_17partition_subalgoE9EllbEEZZNS1_14partition_implILS5_9ELb0ES3_jPlS8_PNS0_10empty_typeENS0_5tupleIJS8_S9_EEENSB_IJS8_SA_EEENS0_18inequality_wrapperIZN2at6native12_GLOBAL__N_124unique_dim_cuda_templateIiEESt5tupleIJNSF_6TensorESK_SK_EERKSK_lbbbEUlllE0_EEPmJS9_EEE10hipError_tPvRmT3_T4_T5_T6_T7_T9_mT8_P12ihipStream_tbDpT10_ENKUlT_T0_E_clISt17integral_constantIbLb0EES19_IbLb1EEEEDaS15_S16_EUlS15_E_NS1_11comp_targetILNS1_3genE4ELNS1_11target_archE910ELNS1_3gpuE8ELNS1_3repE0EEENS1_30default_config_static_selectorELNS0_4arch9wavefront6targetE1EEEvT1_.kd
    .uniform_work_group_size: 1
    .uses_dynamic_stack: false
    .vgpr_count:     50
    .vgpr_spill_count: 0
    .wavefront_size: 64
  - .agpr_count:     0
    .args:
      - .offset:         0
        .size:           136
        .value_kind:     by_value
    .group_segment_fixed_size: 0
    .kernarg_segment_align: 8
    .kernarg_segment_size: 136
    .language:       OpenCL C
    .language_version:
      - 2
      - 0
    .max_flat_workgroup_size: 128
    .name:           _ZN7rocprim17ROCPRIM_400000_NS6detail17trampoline_kernelINS0_14default_configENS1_25partition_config_selectorILNS1_17partition_subalgoE9EllbEEZZNS1_14partition_implILS5_9ELb0ES3_jPlS8_PNS0_10empty_typeENS0_5tupleIJS8_S9_EEENSB_IJS8_SA_EEENS0_18inequality_wrapperIZN2at6native12_GLOBAL__N_124unique_dim_cuda_templateIiEESt5tupleIJNSF_6TensorESK_SK_EERKSK_lbbbEUlllE0_EEPmJS9_EEE10hipError_tPvRmT3_T4_T5_T6_T7_T9_mT8_P12ihipStream_tbDpT10_ENKUlT_T0_E_clISt17integral_constantIbLb0EES19_IbLb1EEEEDaS15_S16_EUlS15_E_NS1_11comp_targetILNS1_3genE3ELNS1_11target_archE908ELNS1_3gpuE7ELNS1_3repE0EEENS1_30default_config_static_selectorELNS0_4arch9wavefront6targetE1EEEvT1_
    .private_segment_fixed_size: 0
    .sgpr_count:     4
    .sgpr_spill_count: 0
    .symbol:         _ZN7rocprim17ROCPRIM_400000_NS6detail17trampoline_kernelINS0_14default_configENS1_25partition_config_selectorILNS1_17partition_subalgoE9EllbEEZZNS1_14partition_implILS5_9ELb0ES3_jPlS8_PNS0_10empty_typeENS0_5tupleIJS8_S9_EEENSB_IJS8_SA_EEENS0_18inequality_wrapperIZN2at6native12_GLOBAL__N_124unique_dim_cuda_templateIiEESt5tupleIJNSF_6TensorESK_SK_EERKSK_lbbbEUlllE0_EEPmJS9_EEE10hipError_tPvRmT3_T4_T5_T6_T7_T9_mT8_P12ihipStream_tbDpT10_ENKUlT_T0_E_clISt17integral_constantIbLb0EES19_IbLb1EEEEDaS15_S16_EUlS15_E_NS1_11comp_targetILNS1_3genE3ELNS1_11target_archE908ELNS1_3gpuE7ELNS1_3repE0EEENS1_30default_config_static_selectorELNS0_4arch9wavefront6targetE1EEEvT1_.kd
    .uniform_work_group_size: 1
    .uses_dynamic_stack: false
    .vgpr_count:     0
    .vgpr_spill_count: 0
    .wavefront_size: 64
  - .agpr_count:     0
    .args:
      - .offset:         0
        .size:           136
        .value_kind:     by_value
    .group_segment_fixed_size: 0
    .kernarg_segment_align: 8
    .kernarg_segment_size: 136
    .language:       OpenCL C
    .language_version:
      - 2
      - 0
    .max_flat_workgroup_size: 192
    .name:           _ZN7rocprim17ROCPRIM_400000_NS6detail17trampoline_kernelINS0_14default_configENS1_25partition_config_selectorILNS1_17partition_subalgoE9EllbEEZZNS1_14partition_implILS5_9ELb0ES3_jPlS8_PNS0_10empty_typeENS0_5tupleIJS8_S9_EEENSB_IJS8_SA_EEENS0_18inequality_wrapperIZN2at6native12_GLOBAL__N_124unique_dim_cuda_templateIiEESt5tupleIJNSF_6TensorESK_SK_EERKSK_lbbbEUlllE0_EEPmJS9_EEE10hipError_tPvRmT3_T4_T5_T6_T7_T9_mT8_P12ihipStream_tbDpT10_ENKUlT_T0_E_clISt17integral_constantIbLb0EES19_IbLb1EEEEDaS15_S16_EUlS15_E_NS1_11comp_targetILNS1_3genE2ELNS1_11target_archE906ELNS1_3gpuE6ELNS1_3repE0EEENS1_30default_config_static_selectorELNS0_4arch9wavefront6targetE1EEEvT1_
    .private_segment_fixed_size: 0
    .sgpr_count:     4
    .sgpr_spill_count: 0
    .symbol:         _ZN7rocprim17ROCPRIM_400000_NS6detail17trampoline_kernelINS0_14default_configENS1_25partition_config_selectorILNS1_17partition_subalgoE9EllbEEZZNS1_14partition_implILS5_9ELb0ES3_jPlS8_PNS0_10empty_typeENS0_5tupleIJS8_S9_EEENSB_IJS8_SA_EEENS0_18inequality_wrapperIZN2at6native12_GLOBAL__N_124unique_dim_cuda_templateIiEESt5tupleIJNSF_6TensorESK_SK_EERKSK_lbbbEUlllE0_EEPmJS9_EEE10hipError_tPvRmT3_T4_T5_T6_T7_T9_mT8_P12ihipStream_tbDpT10_ENKUlT_T0_E_clISt17integral_constantIbLb0EES19_IbLb1EEEEDaS15_S16_EUlS15_E_NS1_11comp_targetILNS1_3genE2ELNS1_11target_archE906ELNS1_3gpuE6ELNS1_3repE0EEENS1_30default_config_static_selectorELNS0_4arch9wavefront6targetE1EEEvT1_.kd
    .uniform_work_group_size: 1
    .uses_dynamic_stack: false
    .vgpr_count:     0
    .vgpr_spill_count: 0
    .wavefront_size: 64
  - .agpr_count:     0
    .args:
      - .offset:         0
        .size:           136
        .value_kind:     by_value
    .group_segment_fixed_size: 0
    .kernarg_segment_align: 8
    .kernarg_segment_size: 136
    .language:       OpenCL C
    .language_version:
      - 2
      - 0
    .max_flat_workgroup_size: 384
    .name:           _ZN7rocprim17ROCPRIM_400000_NS6detail17trampoline_kernelINS0_14default_configENS1_25partition_config_selectorILNS1_17partition_subalgoE9EllbEEZZNS1_14partition_implILS5_9ELb0ES3_jPlS8_PNS0_10empty_typeENS0_5tupleIJS8_S9_EEENSB_IJS8_SA_EEENS0_18inequality_wrapperIZN2at6native12_GLOBAL__N_124unique_dim_cuda_templateIiEESt5tupleIJNSF_6TensorESK_SK_EERKSK_lbbbEUlllE0_EEPmJS9_EEE10hipError_tPvRmT3_T4_T5_T6_T7_T9_mT8_P12ihipStream_tbDpT10_ENKUlT_T0_E_clISt17integral_constantIbLb0EES19_IbLb1EEEEDaS15_S16_EUlS15_E_NS1_11comp_targetILNS1_3genE10ELNS1_11target_archE1200ELNS1_3gpuE4ELNS1_3repE0EEENS1_30default_config_static_selectorELNS0_4arch9wavefront6targetE1EEEvT1_
    .private_segment_fixed_size: 0
    .sgpr_count:     4
    .sgpr_spill_count: 0
    .symbol:         _ZN7rocprim17ROCPRIM_400000_NS6detail17trampoline_kernelINS0_14default_configENS1_25partition_config_selectorILNS1_17partition_subalgoE9EllbEEZZNS1_14partition_implILS5_9ELb0ES3_jPlS8_PNS0_10empty_typeENS0_5tupleIJS8_S9_EEENSB_IJS8_SA_EEENS0_18inequality_wrapperIZN2at6native12_GLOBAL__N_124unique_dim_cuda_templateIiEESt5tupleIJNSF_6TensorESK_SK_EERKSK_lbbbEUlllE0_EEPmJS9_EEE10hipError_tPvRmT3_T4_T5_T6_T7_T9_mT8_P12ihipStream_tbDpT10_ENKUlT_T0_E_clISt17integral_constantIbLb0EES19_IbLb1EEEEDaS15_S16_EUlS15_E_NS1_11comp_targetILNS1_3genE10ELNS1_11target_archE1200ELNS1_3gpuE4ELNS1_3repE0EEENS1_30default_config_static_selectorELNS0_4arch9wavefront6targetE1EEEvT1_.kd
    .uniform_work_group_size: 1
    .uses_dynamic_stack: false
    .vgpr_count:     0
    .vgpr_spill_count: 0
    .wavefront_size: 64
  - .agpr_count:     0
    .args:
      - .offset:         0
        .size:           136
        .value_kind:     by_value
    .group_segment_fixed_size: 0
    .kernarg_segment_align: 8
    .kernarg_segment_size: 136
    .language:       OpenCL C
    .language_version:
      - 2
      - 0
    .max_flat_workgroup_size: 512
    .name:           _ZN7rocprim17ROCPRIM_400000_NS6detail17trampoline_kernelINS0_14default_configENS1_25partition_config_selectorILNS1_17partition_subalgoE9EllbEEZZNS1_14partition_implILS5_9ELb0ES3_jPlS8_PNS0_10empty_typeENS0_5tupleIJS8_S9_EEENSB_IJS8_SA_EEENS0_18inequality_wrapperIZN2at6native12_GLOBAL__N_124unique_dim_cuda_templateIiEESt5tupleIJNSF_6TensorESK_SK_EERKSK_lbbbEUlllE0_EEPmJS9_EEE10hipError_tPvRmT3_T4_T5_T6_T7_T9_mT8_P12ihipStream_tbDpT10_ENKUlT_T0_E_clISt17integral_constantIbLb0EES19_IbLb1EEEEDaS15_S16_EUlS15_E_NS1_11comp_targetILNS1_3genE9ELNS1_11target_archE1100ELNS1_3gpuE3ELNS1_3repE0EEENS1_30default_config_static_selectorELNS0_4arch9wavefront6targetE1EEEvT1_
    .private_segment_fixed_size: 0
    .sgpr_count:     4
    .sgpr_spill_count: 0
    .symbol:         _ZN7rocprim17ROCPRIM_400000_NS6detail17trampoline_kernelINS0_14default_configENS1_25partition_config_selectorILNS1_17partition_subalgoE9EllbEEZZNS1_14partition_implILS5_9ELb0ES3_jPlS8_PNS0_10empty_typeENS0_5tupleIJS8_S9_EEENSB_IJS8_SA_EEENS0_18inequality_wrapperIZN2at6native12_GLOBAL__N_124unique_dim_cuda_templateIiEESt5tupleIJNSF_6TensorESK_SK_EERKSK_lbbbEUlllE0_EEPmJS9_EEE10hipError_tPvRmT3_T4_T5_T6_T7_T9_mT8_P12ihipStream_tbDpT10_ENKUlT_T0_E_clISt17integral_constantIbLb0EES19_IbLb1EEEEDaS15_S16_EUlS15_E_NS1_11comp_targetILNS1_3genE9ELNS1_11target_archE1100ELNS1_3gpuE3ELNS1_3repE0EEENS1_30default_config_static_selectorELNS0_4arch9wavefront6targetE1EEEvT1_.kd
    .uniform_work_group_size: 1
    .uses_dynamic_stack: false
    .vgpr_count:     0
    .vgpr_spill_count: 0
    .wavefront_size: 64
  - .agpr_count:     0
    .args:
      - .offset:         0
        .size:           136
        .value_kind:     by_value
    .group_segment_fixed_size: 0
    .kernarg_segment_align: 8
    .kernarg_segment_size: 136
    .language:       OpenCL C
    .language_version:
      - 2
      - 0
    .max_flat_workgroup_size: 512
    .name:           _ZN7rocprim17ROCPRIM_400000_NS6detail17trampoline_kernelINS0_14default_configENS1_25partition_config_selectorILNS1_17partition_subalgoE9EllbEEZZNS1_14partition_implILS5_9ELb0ES3_jPlS8_PNS0_10empty_typeENS0_5tupleIJS8_S9_EEENSB_IJS8_SA_EEENS0_18inequality_wrapperIZN2at6native12_GLOBAL__N_124unique_dim_cuda_templateIiEESt5tupleIJNSF_6TensorESK_SK_EERKSK_lbbbEUlllE0_EEPmJS9_EEE10hipError_tPvRmT3_T4_T5_T6_T7_T9_mT8_P12ihipStream_tbDpT10_ENKUlT_T0_E_clISt17integral_constantIbLb0EES19_IbLb1EEEEDaS15_S16_EUlS15_E_NS1_11comp_targetILNS1_3genE8ELNS1_11target_archE1030ELNS1_3gpuE2ELNS1_3repE0EEENS1_30default_config_static_selectorELNS0_4arch9wavefront6targetE1EEEvT1_
    .private_segment_fixed_size: 0
    .sgpr_count:     4
    .sgpr_spill_count: 0
    .symbol:         _ZN7rocprim17ROCPRIM_400000_NS6detail17trampoline_kernelINS0_14default_configENS1_25partition_config_selectorILNS1_17partition_subalgoE9EllbEEZZNS1_14partition_implILS5_9ELb0ES3_jPlS8_PNS0_10empty_typeENS0_5tupleIJS8_S9_EEENSB_IJS8_SA_EEENS0_18inequality_wrapperIZN2at6native12_GLOBAL__N_124unique_dim_cuda_templateIiEESt5tupleIJNSF_6TensorESK_SK_EERKSK_lbbbEUlllE0_EEPmJS9_EEE10hipError_tPvRmT3_T4_T5_T6_T7_T9_mT8_P12ihipStream_tbDpT10_ENKUlT_T0_E_clISt17integral_constantIbLb0EES19_IbLb1EEEEDaS15_S16_EUlS15_E_NS1_11comp_targetILNS1_3genE8ELNS1_11target_archE1030ELNS1_3gpuE2ELNS1_3repE0EEENS1_30default_config_static_selectorELNS0_4arch9wavefront6targetE1EEEvT1_.kd
    .uniform_work_group_size: 1
    .uses_dynamic_stack: false
    .vgpr_count:     0
    .vgpr_spill_count: 0
    .wavefront_size: 64
  - .agpr_count:     0
    .args:
      - .offset:         0
        .size:           72
        .value_kind:     by_value
    .group_segment_fixed_size: 0
    .kernarg_segment_align: 8
    .kernarg_segment_size: 72
    .language:       OpenCL C
    .language_version:
      - 2
      - 0
    .max_flat_workgroup_size: 256
    .name:           _ZN7rocprim17ROCPRIM_400000_NS6detail17trampoline_kernelINS0_14default_configENS1_37merge_sort_block_sort_config_selectorIlNS0_10empty_typeEEEZNS1_21merge_sort_block_sortIS3_PlS8_PS5_S9_ZN2at6native12_GLOBAL__N_124unique_dim_cuda_templateIlEESt5tupleIJNSA_6TensorESF_SF_EERKSF_lbbbEUlllE_EE10hipError_tT0_T1_T2_T3_mRjT4_P12ihipStream_tbNS1_7vsmem_tEEUlT_E_NS1_11comp_targetILNS1_3genE0ELNS1_11target_archE4294967295ELNS1_3gpuE0ELNS1_3repE0EEENS1_30default_config_static_selectorELNS0_4arch9wavefront6targetE1EEEvSM_
    .private_segment_fixed_size: 0
    .sgpr_count:     4
    .sgpr_spill_count: 0
    .symbol:         _ZN7rocprim17ROCPRIM_400000_NS6detail17trampoline_kernelINS0_14default_configENS1_37merge_sort_block_sort_config_selectorIlNS0_10empty_typeEEEZNS1_21merge_sort_block_sortIS3_PlS8_PS5_S9_ZN2at6native12_GLOBAL__N_124unique_dim_cuda_templateIlEESt5tupleIJNSA_6TensorESF_SF_EERKSF_lbbbEUlllE_EE10hipError_tT0_T1_T2_T3_mRjT4_P12ihipStream_tbNS1_7vsmem_tEEUlT_E_NS1_11comp_targetILNS1_3genE0ELNS1_11target_archE4294967295ELNS1_3gpuE0ELNS1_3repE0EEENS1_30default_config_static_selectorELNS0_4arch9wavefront6targetE1EEEvSM_.kd
    .uniform_work_group_size: 1
    .uses_dynamic_stack: false
    .vgpr_count:     0
    .vgpr_spill_count: 0
    .wavefront_size: 64
  - .agpr_count:     0
    .args:
      - .offset:         0
        .size:           72
        .value_kind:     by_value
    .group_segment_fixed_size: 0
    .kernarg_segment_align: 8
    .kernarg_segment_size: 72
    .language:       OpenCL C
    .language_version:
      - 2
      - 0
    .max_flat_workgroup_size: 256
    .name:           _ZN7rocprim17ROCPRIM_400000_NS6detail17trampoline_kernelINS0_14default_configENS1_37merge_sort_block_sort_config_selectorIlNS0_10empty_typeEEEZNS1_21merge_sort_block_sortIS3_PlS8_PS5_S9_ZN2at6native12_GLOBAL__N_124unique_dim_cuda_templateIlEESt5tupleIJNSA_6TensorESF_SF_EERKSF_lbbbEUlllE_EE10hipError_tT0_T1_T2_T3_mRjT4_P12ihipStream_tbNS1_7vsmem_tEEUlT_E_NS1_11comp_targetILNS1_3genE5ELNS1_11target_archE942ELNS1_3gpuE9ELNS1_3repE0EEENS1_30default_config_static_selectorELNS0_4arch9wavefront6targetE1EEEvSM_
    .private_segment_fixed_size: 0
    .sgpr_count:     4
    .sgpr_spill_count: 0
    .symbol:         _ZN7rocprim17ROCPRIM_400000_NS6detail17trampoline_kernelINS0_14default_configENS1_37merge_sort_block_sort_config_selectorIlNS0_10empty_typeEEEZNS1_21merge_sort_block_sortIS3_PlS8_PS5_S9_ZN2at6native12_GLOBAL__N_124unique_dim_cuda_templateIlEESt5tupleIJNSA_6TensorESF_SF_EERKSF_lbbbEUlllE_EE10hipError_tT0_T1_T2_T3_mRjT4_P12ihipStream_tbNS1_7vsmem_tEEUlT_E_NS1_11comp_targetILNS1_3genE5ELNS1_11target_archE942ELNS1_3gpuE9ELNS1_3repE0EEENS1_30default_config_static_selectorELNS0_4arch9wavefront6targetE1EEEvSM_.kd
    .uniform_work_group_size: 1
    .uses_dynamic_stack: false
    .vgpr_count:     0
    .vgpr_spill_count: 0
    .wavefront_size: 64
  - .agpr_count:     0
    .args:
      - .offset:         0
        .size:           72
        .value_kind:     by_value
      - .offset:         72
        .size:           4
        .value_kind:     hidden_block_count_x
      - .offset:         76
        .size:           4
        .value_kind:     hidden_block_count_y
      - .offset:         80
        .size:           4
        .value_kind:     hidden_block_count_z
      - .offset:         84
        .size:           2
        .value_kind:     hidden_group_size_x
      - .offset:         86
        .size:           2
        .value_kind:     hidden_group_size_y
      - .offset:         88
        .size:           2
        .value_kind:     hidden_group_size_z
      - .offset:         90
        .size:           2
        .value_kind:     hidden_remainder_x
      - .offset:         92
        .size:           2
        .value_kind:     hidden_remainder_y
      - .offset:         94
        .size:           2
        .value_kind:     hidden_remainder_z
      - .offset:         112
        .size:           8
        .value_kind:     hidden_global_offset_x
      - .offset:         120
        .size:           8
        .value_kind:     hidden_global_offset_y
      - .offset:         128
        .size:           8
        .value_kind:     hidden_global_offset_z
      - .offset:         136
        .size:           2
        .value_kind:     hidden_grid_dims
    .group_segment_fixed_size: 8448
    .kernarg_segment_align: 8
    .kernarg_segment_size: 328
    .language:       OpenCL C
    .language_version:
      - 2
      - 0
    .max_flat_workgroup_size: 256
    .name:           _ZN7rocprim17ROCPRIM_400000_NS6detail17trampoline_kernelINS0_14default_configENS1_37merge_sort_block_sort_config_selectorIlNS0_10empty_typeEEEZNS1_21merge_sort_block_sortIS3_PlS8_PS5_S9_ZN2at6native12_GLOBAL__N_124unique_dim_cuda_templateIlEESt5tupleIJNSA_6TensorESF_SF_EERKSF_lbbbEUlllE_EE10hipError_tT0_T1_T2_T3_mRjT4_P12ihipStream_tbNS1_7vsmem_tEEUlT_E_NS1_11comp_targetILNS1_3genE4ELNS1_11target_archE910ELNS1_3gpuE8ELNS1_3repE0EEENS1_30default_config_static_selectorELNS0_4arch9wavefront6targetE1EEEvSM_
    .private_segment_fixed_size: 0
    .sgpr_count:     58
    .sgpr_spill_count: 0
    .symbol:         _ZN7rocprim17ROCPRIM_400000_NS6detail17trampoline_kernelINS0_14default_configENS1_37merge_sort_block_sort_config_selectorIlNS0_10empty_typeEEEZNS1_21merge_sort_block_sortIS3_PlS8_PS5_S9_ZN2at6native12_GLOBAL__N_124unique_dim_cuda_templateIlEESt5tupleIJNSA_6TensorESF_SF_EERKSF_lbbbEUlllE_EE10hipError_tT0_T1_T2_T3_mRjT4_P12ihipStream_tbNS1_7vsmem_tEEUlT_E_NS1_11comp_targetILNS1_3genE4ELNS1_11target_archE910ELNS1_3gpuE8ELNS1_3repE0EEENS1_30default_config_static_selectorELNS0_4arch9wavefront6targetE1EEEvSM_.kd
    .uniform_work_group_size: 1
    .uses_dynamic_stack: false
    .vgpr_count:     46
    .vgpr_spill_count: 0
    .wavefront_size: 64
  - .agpr_count:     0
    .args:
      - .offset:         0
        .size:           72
        .value_kind:     by_value
    .group_segment_fixed_size: 0
    .kernarg_segment_align: 8
    .kernarg_segment_size: 72
    .language:       OpenCL C
    .language_version:
      - 2
      - 0
    .max_flat_workgroup_size: 256
    .name:           _ZN7rocprim17ROCPRIM_400000_NS6detail17trampoline_kernelINS0_14default_configENS1_37merge_sort_block_sort_config_selectorIlNS0_10empty_typeEEEZNS1_21merge_sort_block_sortIS3_PlS8_PS5_S9_ZN2at6native12_GLOBAL__N_124unique_dim_cuda_templateIlEESt5tupleIJNSA_6TensorESF_SF_EERKSF_lbbbEUlllE_EE10hipError_tT0_T1_T2_T3_mRjT4_P12ihipStream_tbNS1_7vsmem_tEEUlT_E_NS1_11comp_targetILNS1_3genE3ELNS1_11target_archE908ELNS1_3gpuE7ELNS1_3repE0EEENS1_30default_config_static_selectorELNS0_4arch9wavefront6targetE1EEEvSM_
    .private_segment_fixed_size: 0
    .sgpr_count:     4
    .sgpr_spill_count: 0
    .symbol:         _ZN7rocprim17ROCPRIM_400000_NS6detail17trampoline_kernelINS0_14default_configENS1_37merge_sort_block_sort_config_selectorIlNS0_10empty_typeEEEZNS1_21merge_sort_block_sortIS3_PlS8_PS5_S9_ZN2at6native12_GLOBAL__N_124unique_dim_cuda_templateIlEESt5tupleIJNSA_6TensorESF_SF_EERKSF_lbbbEUlllE_EE10hipError_tT0_T1_T2_T3_mRjT4_P12ihipStream_tbNS1_7vsmem_tEEUlT_E_NS1_11comp_targetILNS1_3genE3ELNS1_11target_archE908ELNS1_3gpuE7ELNS1_3repE0EEENS1_30default_config_static_selectorELNS0_4arch9wavefront6targetE1EEEvSM_.kd
    .uniform_work_group_size: 1
    .uses_dynamic_stack: false
    .vgpr_count:     0
    .vgpr_spill_count: 0
    .wavefront_size: 64
  - .agpr_count:     0
    .args:
      - .offset:         0
        .size:           72
        .value_kind:     by_value
    .group_segment_fixed_size: 0
    .kernarg_segment_align: 8
    .kernarg_segment_size: 72
    .language:       OpenCL C
    .language_version:
      - 2
      - 0
    .max_flat_workgroup_size: 256
    .name:           _ZN7rocprim17ROCPRIM_400000_NS6detail17trampoline_kernelINS0_14default_configENS1_37merge_sort_block_sort_config_selectorIlNS0_10empty_typeEEEZNS1_21merge_sort_block_sortIS3_PlS8_PS5_S9_ZN2at6native12_GLOBAL__N_124unique_dim_cuda_templateIlEESt5tupleIJNSA_6TensorESF_SF_EERKSF_lbbbEUlllE_EE10hipError_tT0_T1_T2_T3_mRjT4_P12ihipStream_tbNS1_7vsmem_tEEUlT_E_NS1_11comp_targetILNS1_3genE2ELNS1_11target_archE906ELNS1_3gpuE6ELNS1_3repE0EEENS1_30default_config_static_selectorELNS0_4arch9wavefront6targetE1EEEvSM_
    .private_segment_fixed_size: 0
    .sgpr_count:     4
    .sgpr_spill_count: 0
    .symbol:         _ZN7rocprim17ROCPRIM_400000_NS6detail17trampoline_kernelINS0_14default_configENS1_37merge_sort_block_sort_config_selectorIlNS0_10empty_typeEEEZNS1_21merge_sort_block_sortIS3_PlS8_PS5_S9_ZN2at6native12_GLOBAL__N_124unique_dim_cuda_templateIlEESt5tupleIJNSA_6TensorESF_SF_EERKSF_lbbbEUlllE_EE10hipError_tT0_T1_T2_T3_mRjT4_P12ihipStream_tbNS1_7vsmem_tEEUlT_E_NS1_11comp_targetILNS1_3genE2ELNS1_11target_archE906ELNS1_3gpuE6ELNS1_3repE0EEENS1_30default_config_static_selectorELNS0_4arch9wavefront6targetE1EEEvSM_.kd
    .uniform_work_group_size: 1
    .uses_dynamic_stack: false
    .vgpr_count:     0
    .vgpr_spill_count: 0
    .wavefront_size: 64
  - .agpr_count:     0
    .args:
      - .offset:         0
        .size:           72
        .value_kind:     by_value
    .group_segment_fixed_size: 0
    .kernarg_segment_align: 8
    .kernarg_segment_size: 72
    .language:       OpenCL C
    .language_version:
      - 2
      - 0
    .max_flat_workgroup_size: 256
    .name:           _ZN7rocprim17ROCPRIM_400000_NS6detail17trampoline_kernelINS0_14default_configENS1_37merge_sort_block_sort_config_selectorIlNS0_10empty_typeEEEZNS1_21merge_sort_block_sortIS3_PlS8_PS5_S9_ZN2at6native12_GLOBAL__N_124unique_dim_cuda_templateIlEESt5tupleIJNSA_6TensorESF_SF_EERKSF_lbbbEUlllE_EE10hipError_tT0_T1_T2_T3_mRjT4_P12ihipStream_tbNS1_7vsmem_tEEUlT_E_NS1_11comp_targetILNS1_3genE10ELNS1_11target_archE1201ELNS1_3gpuE5ELNS1_3repE0EEENS1_30default_config_static_selectorELNS0_4arch9wavefront6targetE1EEEvSM_
    .private_segment_fixed_size: 0
    .sgpr_count:     4
    .sgpr_spill_count: 0
    .symbol:         _ZN7rocprim17ROCPRIM_400000_NS6detail17trampoline_kernelINS0_14default_configENS1_37merge_sort_block_sort_config_selectorIlNS0_10empty_typeEEEZNS1_21merge_sort_block_sortIS3_PlS8_PS5_S9_ZN2at6native12_GLOBAL__N_124unique_dim_cuda_templateIlEESt5tupleIJNSA_6TensorESF_SF_EERKSF_lbbbEUlllE_EE10hipError_tT0_T1_T2_T3_mRjT4_P12ihipStream_tbNS1_7vsmem_tEEUlT_E_NS1_11comp_targetILNS1_3genE10ELNS1_11target_archE1201ELNS1_3gpuE5ELNS1_3repE0EEENS1_30default_config_static_selectorELNS0_4arch9wavefront6targetE1EEEvSM_.kd
    .uniform_work_group_size: 1
    .uses_dynamic_stack: false
    .vgpr_count:     0
    .vgpr_spill_count: 0
    .wavefront_size: 64
  - .agpr_count:     0
    .args:
      - .offset:         0
        .size:           72
        .value_kind:     by_value
    .group_segment_fixed_size: 0
    .kernarg_segment_align: 8
    .kernarg_segment_size: 72
    .language:       OpenCL C
    .language_version:
      - 2
      - 0
    .max_flat_workgroup_size: 512
    .name:           _ZN7rocprim17ROCPRIM_400000_NS6detail17trampoline_kernelINS0_14default_configENS1_37merge_sort_block_sort_config_selectorIlNS0_10empty_typeEEEZNS1_21merge_sort_block_sortIS3_PlS8_PS5_S9_ZN2at6native12_GLOBAL__N_124unique_dim_cuda_templateIlEESt5tupleIJNSA_6TensorESF_SF_EERKSF_lbbbEUlllE_EE10hipError_tT0_T1_T2_T3_mRjT4_P12ihipStream_tbNS1_7vsmem_tEEUlT_E_NS1_11comp_targetILNS1_3genE10ELNS1_11target_archE1200ELNS1_3gpuE4ELNS1_3repE0EEENS1_30default_config_static_selectorELNS0_4arch9wavefront6targetE1EEEvSM_
    .private_segment_fixed_size: 0
    .sgpr_count:     4
    .sgpr_spill_count: 0
    .symbol:         _ZN7rocprim17ROCPRIM_400000_NS6detail17trampoline_kernelINS0_14default_configENS1_37merge_sort_block_sort_config_selectorIlNS0_10empty_typeEEEZNS1_21merge_sort_block_sortIS3_PlS8_PS5_S9_ZN2at6native12_GLOBAL__N_124unique_dim_cuda_templateIlEESt5tupleIJNSA_6TensorESF_SF_EERKSF_lbbbEUlllE_EE10hipError_tT0_T1_T2_T3_mRjT4_P12ihipStream_tbNS1_7vsmem_tEEUlT_E_NS1_11comp_targetILNS1_3genE10ELNS1_11target_archE1200ELNS1_3gpuE4ELNS1_3repE0EEENS1_30default_config_static_selectorELNS0_4arch9wavefront6targetE1EEEvSM_.kd
    .uniform_work_group_size: 1
    .uses_dynamic_stack: false
    .vgpr_count:     0
    .vgpr_spill_count: 0
    .wavefront_size: 64
  - .agpr_count:     0
    .args:
      - .offset:         0
        .size:           72
        .value_kind:     by_value
    .group_segment_fixed_size: 0
    .kernarg_segment_align: 8
    .kernarg_segment_size: 72
    .language:       OpenCL C
    .language_version:
      - 2
      - 0
    .max_flat_workgroup_size: 256
    .name:           _ZN7rocprim17ROCPRIM_400000_NS6detail17trampoline_kernelINS0_14default_configENS1_37merge_sort_block_sort_config_selectorIlNS0_10empty_typeEEEZNS1_21merge_sort_block_sortIS3_PlS8_PS5_S9_ZN2at6native12_GLOBAL__N_124unique_dim_cuda_templateIlEESt5tupleIJNSA_6TensorESF_SF_EERKSF_lbbbEUlllE_EE10hipError_tT0_T1_T2_T3_mRjT4_P12ihipStream_tbNS1_7vsmem_tEEUlT_E_NS1_11comp_targetILNS1_3genE9ELNS1_11target_archE1100ELNS1_3gpuE3ELNS1_3repE0EEENS1_30default_config_static_selectorELNS0_4arch9wavefront6targetE1EEEvSM_
    .private_segment_fixed_size: 0
    .sgpr_count:     4
    .sgpr_spill_count: 0
    .symbol:         _ZN7rocprim17ROCPRIM_400000_NS6detail17trampoline_kernelINS0_14default_configENS1_37merge_sort_block_sort_config_selectorIlNS0_10empty_typeEEEZNS1_21merge_sort_block_sortIS3_PlS8_PS5_S9_ZN2at6native12_GLOBAL__N_124unique_dim_cuda_templateIlEESt5tupleIJNSA_6TensorESF_SF_EERKSF_lbbbEUlllE_EE10hipError_tT0_T1_T2_T3_mRjT4_P12ihipStream_tbNS1_7vsmem_tEEUlT_E_NS1_11comp_targetILNS1_3genE9ELNS1_11target_archE1100ELNS1_3gpuE3ELNS1_3repE0EEENS1_30default_config_static_selectorELNS0_4arch9wavefront6targetE1EEEvSM_.kd
    .uniform_work_group_size: 1
    .uses_dynamic_stack: false
    .vgpr_count:     0
    .vgpr_spill_count: 0
    .wavefront_size: 64
  - .agpr_count:     0
    .args:
      - .offset:         0
        .size:           72
        .value_kind:     by_value
    .group_segment_fixed_size: 0
    .kernarg_segment_align: 8
    .kernarg_segment_size: 72
    .language:       OpenCL C
    .language_version:
      - 2
      - 0
    .max_flat_workgroup_size: 256
    .name:           _ZN7rocprim17ROCPRIM_400000_NS6detail17trampoline_kernelINS0_14default_configENS1_37merge_sort_block_sort_config_selectorIlNS0_10empty_typeEEEZNS1_21merge_sort_block_sortIS3_PlS8_PS5_S9_ZN2at6native12_GLOBAL__N_124unique_dim_cuda_templateIlEESt5tupleIJNSA_6TensorESF_SF_EERKSF_lbbbEUlllE_EE10hipError_tT0_T1_T2_T3_mRjT4_P12ihipStream_tbNS1_7vsmem_tEEUlT_E_NS1_11comp_targetILNS1_3genE8ELNS1_11target_archE1030ELNS1_3gpuE2ELNS1_3repE0EEENS1_30default_config_static_selectorELNS0_4arch9wavefront6targetE1EEEvSM_
    .private_segment_fixed_size: 0
    .sgpr_count:     4
    .sgpr_spill_count: 0
    .symbol:         _ZN7rocprim17ROCPRIM_400000_NS6detail17trampoline_kernelINS0_14default_configENS1_37merge_sort_block_sort_config_selectorIlNS0_10empty_typeEEEZNS1_21merge_sort_block_sortIS3_PlS8_PS5_S9_ZN2at6native12_GLOBAL__N_124unique_dim_cuda_templateIlEESt5tupleIJNSA_6TensorESF_SF_EERKSF_lbbbEUlllE_EE10hipError_tT0_T1_T2_T3_mRjT4_P12ihipStream_tbNS1_7vsmem_tEEUlT_E_NS1_11comp_targetILNS1_3genE8ELNS1_11target_archE1030ELNS1_3gpuE2ELNS1_3repE0EEENS1_30default_config_static_selectorELNS0_4arch9wavefront6targetE1EEEvSM_.kd
    .uniform_work_group_size: 1
    .uses_dynamic_stack: false
    .vgpr_count:     0
    .vgpr_spill_count: 0
    .wavefront_size: 64
  - .agpr_count:     0
    .args:
      - .offset:         0
        .size:           56
        .value_kind:     by_value
    .group_segment_fixed_size: 0
    .kernarg_segment_align: 8
    .kernarg_segment_size: 56
    .language:       OpenCL C
    .language_version:
      - 2
      - 0
    .max_flat_workgroup_size: 128
    .name:           _ZN7rocprim17ROCPRIM_400000_NS6detail17trampoline_kernelINS0_14default_configENS1_38merge_sort_block_merge_config_selectorIlNS0_10empty_typeEEEZZNS1_27merge_sort_block_merge_implIS3_PlPS5_mZN2at6native12_GLOBAL__N_124unique_dim_cuda_templateIlEESt5tupleIJNSA_6TensorESF_SF_EERKSF_lbbbEUlllE_EE10hipError_tT0_T1_T2_jT3_P12ihipStream_tbPNSt15iterator_traitsISL_E10value_typeEPNSR_ISM_E10value_typeEPSN_NS1_7vsmem_tEENKUlT_SL_SM_SN_E_clIS8_S8_S9_S9_EESK_S10_SL_SM_SN_EUlS10_E_NS1_11comp_targetILNS1_3genE0ELNS1_11target_archE4294967295ELNS1_3gpuE0ELNS1_3repE0EEENS1_48merge_mergepath_partition_config_static_selectorELNS0_4arch9wavefront6targetE1EEEvSM_
    .private_segment_fixed_size: 0
    .sgpr_count:     4
    .sgpr_spill_count: 0
    .symbol:         _ZN7rocprim17ROCPRIM_400000_NS6detail17trampoline_kernelINS0_14default_configENS1_38merge_sort_block_merge_config_selectorIlNS0_10empty_typeEEEZZNS1_27merge_sort_block_merge_implIS3_PlPS5_mZN2at6native12_GLOBAL__N_124unique_dim_cuda_templateIlEESt5tupleIJNSA_6TensorESF_SF_EERKSF_lbbbEUlllE_EE10hipError_tT0_T1_T2_jT3_P12ihipStream_tbPNSt15iterator_traitsISL_E10value_typeEPNSR_ISM_E10value_typeEPSN_NS1_7vsmem_tEENKUlT_SL_SM_SN_E_clIS8_S8_S9_S9_EESK_S10_SL_SM_SN_EUlS10_E_NS1_11comp_targetILNS1_3genE0ELNS1_11target_archE4294967295ELNS1_3gpuE0ELNS1_3repE0EEENS1_48merge_mergepath_partition_config_static_selectorELNS0_4arch9wavefront6targetE1EEEvSM_.kd
    .uniform_work_group_size: 1
    .uses_dynamic_stack: false
    .vgpr_count:     0
    .vgpr_spill_count: 0
    .wavefront_size: 64
  - .agpr_count:     0
    .args:
      - .offset:         0
        .size:           56
        .value_kind:     by_value
    .group_segment_fixed_size: 0
    .kernarg_segment_align: 8
    .kernarg_segment_size: 56
    .language:       OpenCL C
    .language_version:
      - 2
      - 0
    .max_flat_workgroup_size: 128
    .name:           _ZN7rocprim17ROCPRIM_400000_NS6detail17trampoline_kernelINS0_14default_configENS1_38merge_sort_block_merge_config_selectorIlNS0_10empty_typeEEEZZNS1_27merge_sort_block_merge_implIS3_PlPS5_mZN2at6native12_GLOBAL__N_124unique_dim_cuda_templateIlEESt5tupleIJNSA_6TensorESF_SF_EERKSF_lbbbEUlllE_EE10hipError_tT0_T1_T2_jT3_P12ihipStream_tbPNSt15iterator_traitsISL_E10value_typeEPNSR_ISM_E10value_typeEPSN_NS1_7vsmem_tEENKUlT_SL_SM_SN_E_clIS8_S8_S9_S9_EESK_S10_SL_SM_SN_EUlS10_E_NS1_11comp_targetILNS1_3genE10ELNS1_11target_archE1201ELNS1_3gpuE5ELNS1_3repE0EEENS1_48merge_mergepath_partition_config_static_selectorELNS0_4arch9wavefront6targetE1EEEvSM_
    .private_segment_fixed_size: 0
    .sgpr_count:     4
    .sgpr_spill_count: 0
    .symbol:         _ZN7rocprim17ROCPRIM_400000_NS6detail17trampoline_kernelINS0_14default_configENS1_38merge_sort_block_merge_config_selectorIlNS0_10empty_typeEEEZZNS1_27merge_sort_block_merge_implIS3_PlPS5_mZN2at6native12_GLOBAL__N_124unique_dim_cuda_templateIlEESt5tupleIJNSA_6TensorESF_SF_EERKSF_lbbbEUlllE_EE10hipError_tT0_T1_T2_jT3_P12ihipStream_tbPNSt15iterator_traitsISL_E10value_typeEPNSR_ISM_E10value_typeEPSN_NS1_7vsmem_tEENKUlT_SL_SM_SN_E_clIS8_S8_S9_S9_EESK_S10_SL_SM_SN_EUlS10_E_NS1_11comp_targetILNS1_3genE10ELNS1_11target_archE1201ELNS1_3gpuE5ELNS1_3repE0EEENS1_48merge_mergepath_partition_config_static_selectorELNS0_4arch9wavefront6targetE1EEEvSM_.kd
    .uniform_work_group_size: 1
    .uses_dynamic_stack: false
    .vgpr_count:     0
    .vgpr_spill_count: 0
    .wavefront_size: 64
  - .agpr_count:     0
    .args:
      - .offset:         0
        .size:           56
        .value_kind:     by_value
    .group_segment_fixed_size: 0
    .kernarg_segment_align: 8
    .kernarg_segment_size: 56
    .language:       OpenCL C
    .language_version:
      - 2
      - 0
    .max_flat_workgroup_size: 128
    .name:           _ZN7rocprim17ROCPRIM_400000_NS6detail17trampoline_kernelINS0_14default_configENS1_38merge_sort_block_merge_config_selectorIlNS0_10empty_typeEEEZZNS1_27merge_sort_block_merge_implIS3_PlPS5_mZN2at6native12_GLOBAL__N_124unique_dim_cuda_templateIlEESt5tupleIJNSA_6TensorESF_SF_EERKSF_lbbbEUlllE_EE10hipError_tT0_T1_T2_jT3_P12ihipStream_tbPNSt15iterator_traitsISL_E10value_typeEPNSR_ISM_E10value_typeEPSN_NS1_7vsmem_tEENKUlT_SL_SM_SN_E_clIS8_S8_S9_S9_EESK_S10_SL_SM_SN_EUlS10_E_NS1_11comp_targetILNS1_3genE5ELNS1_11target_archE942ELNS1_3gpuE9ELNS1_3repE0EEENS1_48merge_mergepath_partition_config_static_selectorELNS0_4arch9wavefront6targetE1EEEvSM_
    .private_segment_fixed_size: 0
    .sgpr_count:     4
    .sgpr_spill_count: 0
    .symbol:         _ZN7rocprim17ROCPRIM_400000_NS6detail17trampoline_kernelINS0_14default_configENS1_38merge_sort_block_merge_config_selectorIlNS0_10empty_typeEEEZZNS1_27merge_sort_block_merge_implIS3_PlPS5_mZN2at6native12_GLOBAL__N_124unique_dim_cuda_templateIlEESt5tupleIJNSA_6TensorESF_SF_EERKSF_lbbbEUlllE_EE10hipError_tT0_T1_T2_jT3_P12ihipStream_tbPNSt15iterator_traitsISL_E10value_typeEPNSR_ISM_E10value_typeEPSN_NS1_7vsmem_tEENKUlT_SL_SM_SN_E_clIS8_S8_S9_S9_EESK_S10_SL_SM_SN_EUlS10_E_NS1_11comp_targetILNS1_3genE5ELNS1_11target_archE942ELNS1_3gpuE9ELNS1_3repE0EEENS1_48merge_mergepath_partition_config_static_selectorELNS0_4arch9wavefront6targetE1EEEvSM_.kd
    .uniform_work_group_size: 1
    .uses_dynamic_stack: false
    .vgpr_count:     0
    .vgpr_spill_count: 0
    .wavefront_size: 64
  - .agpr_count:     0
    .args:
      - .offset:         0
        .size:           56
        .value_kind:     by_value
    .group_segment_fixed_size: 0
    .kernarg_segment_align: 8
    .kernarg_segment_size: 56
    .language:       OpenCL C
    .language_version:
      - 2
      - 0
    .max_flat_workgroup_size: 128
    .name:           _ZN7rocprim17ROCPRIM_400000_NS6detail17trampoline_kernelINS0_14default_configENS1_38merge_sort_block_merge_config_selectorIlNS0_10empty_typeEEEZZNS1_27merge_sort_block_merge_implIS3_PlPS5_mZN2at6native12_GLOBAL__N_124unique_dim_cuda_templateIlEESt5tupleIJNSA_6TensorESF_SF_EERKSF_lbbbEUlllE_EE10hipError_tT0_T1_T2_jT3_P12ihipStream_tbPNSt15iterator_traitsISL_E10value_typeEPNSR_ISM_E10value_typeEPSN_NS1_7vsmem_tEENKUlT_SL_SM_SN_E_clIS8_S8_S9_S9_EESK_S10_SL_SM_SN_EUlS10_E_NS1_11comp_targetILNS1_3genE4ELNS1_11target_archE910ELNS1_3gpuE8ELNS1_3repE0EEENS1_48merge_mergepath_partition_config_static_selectorELNS0_4arch9wavefront6targetE1EEEvSM_
    .private_segment_fixed_size: 0
    .sgpr_count:     40
    .sgpr_spill_count: 0
    .symbol:         _ZN7rocprim17ROCPRIM_400000_NS6detail17trampoline_kernelINS0_14default_configENS1_38merge_sort_block_merge_config_selectorIlNS0_10empty_typeEEEZZNS1_27merge_sort_block_merge_implIS3_PlPS5_mZN2at6native12_GLOBAL__N_124unique_dim_cuda_templateIlEESt5tupleIJNSA_6TensorESF_SF_EERKSF_lbbbEUlllE_EE10hipError_tT0_T1_T2_jT3_P12ihipStream_tbPNSt15iterator_traitsISL_E10value_typeEPNSR_ISM_E10value_typeEPSN_NS1_7vsmem_tEENKUlT_SL_SM_SN_E_clIS8_S8_S9_S9_EESK_S10_SL_SM_SN_EUlS10_E_NS1_11comp_targetILNS1_3genE4ELNS1_11target_archE910ELNS1_3gpuE8ELNS1_3repE0EEENS1_48merge_mergepath_partition_config_static_selectorELNS0_4arch9wavefront6targetE1EEEvSM_.kd
    .uniform_work_group_size: 1
    .uses_dynamic_stack: false
    .vgpr_count:     23
    .vgpr_spill_count: 0
    .wavefront_size: 64
  - .agpr_count:     0
    .args:
      - .offset:         0
        .size:           56
        .value_kind:     by_value
    .group_segment_fixed_size: 0
    .kernarg_segment_align: 8
    .kernarg_segment_size: 56
    .language:       OpenCL C
    .language_version:
      - 2
      - 0
    .max_flat_workgroup_size: 128
    .name:           _ZN7rocprim17ROCPRIM_400000_NS6detail17trampoline_kernelINS0_14default_configENS1_38merge_sort_block_merge_config_selectorIlNS0_10empty_typeEEEZZNS1_27merge_sort_block_merge_implIS3_PlPS5_mZN2at6native12_GLOBAL__N_124unique_dim_cuda_templateIlEESt5tupleIJNSA_6TensorESF_SF_EERKSF_lbbbEUlllE_EE10hipError_tT0_T1_T2_jT3_P12ihipStream_tbPNSt15iterator_traitsISL_E10value_typeEPNSR_ISM_E10value_typeEPSN_NS1_7vsmem_tEENKUlT_SL_SM_SN_E_clIS8_S8_S9_S9_EESK_S10_SL_SM_SN_EUlS10_E_NS1_11comp_targetILNS1_3genE3ELNS1_11target_archE908ELNS1_3gpuE7ELNS1_3repE0EEENS1_48merge_mergepath_partition_config_static_selectorELNS0_4arch9wavefront6targetE1EEEvSM_
    .private_segment_fixed_size: 0
    .sgpr_count:     4
    .sgpr_spill_count: 0
    .symbol:         _ZN7rocprim17ROCPRIM_400000_NS6detail17trampoline_kernelINS0_14default_configENS1_38merge_sort_block_merge_config_selectorIlNS0_10empty_typeEEEZZNS1_27merge_sort_block_merge_implIS3_PlPS5_mZN2at6native12_GLOBAL__N_124unique_dim_cuda_templateIlEESt5tupleIJNSA_6TensorESF_SF_EERKSF_lbbbEUlllE_EE10hipError_tT0_T1_T2_jT3_P12ihipStream_tbPNSt15iterator_traitsISL_E10value_typeEPNSR_ISM_E10value_typeEPSN_NS1_7vsmem_tEENKUlT_SL_SM_SN_E_clIS8_S8_S9_S9_EESK_S10_SL_SM_SN_EUlS10_E_NS1_11comp_targetILNS1_3genE3ELNS1_11target_archE908ELNS1_3gpuE7ELNS1_3repE0EEENS1_48merge_mergepath_partition_config_static_selectorELNS0_4arch9wavefront6targetE1EEEvSM_.kd
    .uniform_work_group_size: 1
    .uses_dynamic_stack: false
    .vgpr_count:     0
    .vgpr_spill_count: 0
    .wavefront_size: 64
  - .agpr_count:     0
    .args:
      - .offset:         0
        .size:           56
        .value_kind:     by_value
    .group_segment_fixed_size: 0
    .kernarg_segment_align: 8
    .kernarg_segment_size: 56
    .language:       OpenCL C
    .language_version:
      - 2
      - 0
    .max_flat_workgroup_size: 128
    .name:           _ZN7rocprim17ROCPRIM_400000_NS6detail17trampoline_kernelINS0_14default_configENS1_38merge_sort_block_merge_config_selectorIlNS0_10empty_typeEEEZZNS1_27merge_sort_block_merge_implIS3_PlPS5_mZN2at6native12_GLOBAL__N_124unique_dim_cuda_templateIlEESt5tupleIJNSA_6TensorESF_SF_EERKSF_lbbbEUlllE_EE10hipError_tT0_T1_T2_jT3_P12ihipStream_tbPNSt15iterator_traitsISL_E10value_typeEPNSR_ISM_E10value_typeEPSN_NS1_7vsmem_tEENKUlT_SL_SM_SN_E_clIS8_S8_S9_S9_EESK_S10_SL_SM_SN_EUlS10_E_NS1_11comp_targetILNS1_3genE2ELNS1_11target_archE906ELNS1_3gpuE6ELNS1_3repE0EEENS1_48merge_mergepath_partition_config_static_selectorELNS0_4arch9wavefront6targetE1EEEvSM_
    .private_segment_fixed_size: 0
    .sgpr_count:     4
    .sgpr_spill_count: 0
    .symbol:         _ZN7rocprim17ROCPRIM_400000_NS6detail17trampoline_kernelINS0_14default_configENS1_38merge_sort_block_merge_config_selectorIlNS0_10empty_typeEEEZZNS1_27merge_sort_block_merge_implIS3_PlPS5_mZN2at6native12_GLOBAL__N_124unique_dim_cuda_templateIlEESt5tupleIJNSA_6TensorESF_SF_EERKSF_lbbbEUlllE_EE10hipError_tT0_T1_T2_jT3_P12ihipStream_tbPNSt15iterator_traitsISL_E10value_typeEPNSR_ISM_E10value_typeEPSN_NS1_7vsmem_tEENKUlT_SL_SM_SN_E_clIS8_S8_S9_S9_EESK_S10_SL_SM_SN_EUlS10_E_NS1_11comp_targetILNS1_3genE2ELNS1_11target_archE906ELNS1_3gpuE6ELNS1_3repE0EEENS1_48merge_mergepath_partition_config_static_selectorELNS0_4arch9wavefront6targetE1EEEvSM_.kd
    .uniform_work_group_size: 1
    .uses_dynamic_stack: false
    .vgpr_count:     0
    .vgpr_spill_count: 0
    .wavefront_size: 64
  - .agpr_count:     0
    .args:
      - .offset:         0
        .size:           56
        .value_kind:     by_value
    .group_segment_fixed_size: 0
    .kernarg_segment_align: 8
    .kernarg_segment_size: 56
    .language:       OpenCL C
    .language_version:
      - 2
      - 0
    .max_flat_workgroup_size: 128
    .name:           _ZN7rocprim17ROCPRIM_400000_NS6detail17trampoline_kernelINS0_14default_configENS1_38merge_sort_block_merge_config_selectorIlNS0_10empty_typeEEEZZNS1_27merge_sort_block_merge_implIS3_PlPS5_mZN2at6native12_GLOBAL__N_124unique_dim_cuda_templateIlEESt5tupleIJNSA_6TensorESF_SF_EERKSF_lbbbEUlllE_EE10hipError_tT0_T1_T2_jT3_P12ihipStream_tbPNSt15iterator_traitsISL_E10value_typeEPNSR_ISM_E10value_typeEPSN_NS1_7vsmem_tEENKUlT_SL_SM_SN_E_clIS8_S8_S9_S9_EESK_S10_SL_SM_SN_EUlS10_E_NS1_11comp_targetILNS1_3genE9ELNS1_11target_archE1100ELNS1_3gpuE3ELNS1_3repE0EEENS1_48merge_mergepath_partition_config_static_selectorELNS0_4arch9wavefront6targetE1EEEvSM_
    .private_segment_fixed_size: 0
    .sgpr_count:     4
    .sgpr_spill_count: 0
    .symbol:         _ZN7rocprim17ROCPRIM_400000_NS6detail17trampoline_kernelINS0_14default_configENS1_38merge_sort_block_merge_config_selectorIlNS0_10empty_typeEEEZZNS1_27merge_sort_block_merge_implIS3_PlPS5_mZN2at6native12_GLOBAL__N_124unique_dim_cuda_templateIlEESt5tupleIJNSA_6TensorESF_SF_EERKSF_lbbbEUlllE_EE10hipError_tT0_T1_T2_jT3_P12ihipStream_tbPNSt15iterator_traitsISL_E10value_typeEPNSR_ISM_E10value_typeEPSN_NS1_7vsmem_tEENKUlT_SL_SM_SN_E_clIS8_S8_S9_S9_EESK_S10_SL_SM_SN_EUlS10_E_NS1_11comp_targetILNS1_3genE9ELNS1_11target_archE1100ELNS1_3gpuE3ELNS1_3repE0EEENS1_48merge_mergepath_partition_config_static_selectorELNS0_4arch9wavefront6targetE1EEEvSM_.kd
    .uniform_work_group_size: 1
    .uses_dynamic_stack: false
    .vgpr_count:     0
    .vgpr_spill_count: 0
    .wavefront_size: 64
  - .agpr_count:     0
    .args:
      - .offset:         0
        .size:           56
        .value_kind:     by_value
    .group_segment_fixed_size: 0
    .kernarg_segment_align: 8
    .kernarg_segment_size: 56
    .language:       OpenCL C
    .language_version:
      - 2
      - 0
    .max_flat_workgroup_size: 128
    .name:           _ZN7rocprim17ROCPRIM_400000_NS6detail17trampoline_kernelINS0_14default_configENS1_38merge_sort_block_merge_config_selectorIlNS0_10empty_typeEEEZZNS1_27merge_sort_block_merge_implIS3_PlPS5_mZN2at6native12_GLOBAL__N_124unique_dim_cuda_templateIlEESt5tupleIJNSA_6TensorESF_SF_EERKSF_lbbbEUlllE_EE10hipError_tT0_T1_T2_jT3_P12ihipStream_tbPNSt15iterator_traitsISL_E10value_typeEPNSR_ISM_E10value_typeEPSN_NS1_7vsmem_tEENKUlT_SL_SM_SN_E_clIS8_S8_S9_S9_EESK_S10_SL_SM_SN_EUlS10_E_NS1_11comp_targetILNS1_3genE8ELNS1_11target_archE1030ELNS1_3gpuE2ELNS1_3repE0EEENS1_48merge_mergepath_partition_config_static_selectorELNS0_4arch9wavefront6targetE1EEEvSM_
    .private_segment_fixed_size: 0
    .sgpr_count:     4
    .sgpr_spill_count: 0
    .symbol:         _ZN7rocprim17ROCPRIM_400000_NS6detail17trampoline_kernelINS0_14default_configENS1_38merge_sort_block_merge_config_selectorIlNS0_10empty_typeEEEZZNS1_27merge_sort_block_merge_implIS3_PlPS5_mZN2at6native12_GLOBAL__N_124unique_dim_cuda_templateIlEESt5tupleIJNSA_6TensorESF_SF_EERKSF_lbbbEUlllE_EE10hipError_tT0_T1_T2_jT3_P12ihipStream_tbPNSt15iterator_traitsISL_E10value_typeEPNSR_ISM_E10value_typeEPSN_NS1_7vsmem_tEENKUlT_SL_SM_SN_E_clIS8_S8_S9_S9_EESK_S10_SL_SM_SN_EUlS10_E_NS1_11comp_targetILNS1_3genE8ELNS1_11target_archE1030ELNS1_3gpuE2ELNS1_3repE0EEENS1_48merge_mergepath_partition_config_static_selectorELNS0_4arch9wavefront6targetE1EEEvSM_.kd
    .uniform_work_group_size: 1
    .uses_dynamic_stack: false
    .vgpr_count:     0
    .vgpr_spill_count: 0
    .wavefront_size: 64
  - .agpr_count:     0
    .args:
      - .offset:         0
        .size:           88
        .value_kind:     by_value
    .group_segment_fixed_size: 0
    .kernarg_segment_align: 8
    .kernarg_segment_size: 88
    .language:       OpenCL C
    .language_version:
      - 2
      - 0
    .max_flat_workgroup_size: 128
    .name:           _ZN7rocprim17ROCPRIM_400000_NS6detail17trampoline_kernelINS0_14default_configENS1_38merge_sort_block_merge_config_selectorIlNS0_10empty_typeEEEZZNS1_27merge_sort_block_merge_implIS3_PlPS5_mZN2at6native12_GLOBAL__N_124unique_dim_cuda_templateIlEESt5tupleIJNSA_6TensorESF_SF_EERKSF_lbbbEUlllE_EE10hipError_tT0_T1_T2_jT3_P12ihipStream_tbPNSt15iterator_traitsISL_E10value_typeEPNSR_ISM_E10value_typeEPSN_NS1_7vsmem_tEENKUlT_SL_SM_SN_E_clIS8_S8_S9_S9_EESK_S10_SL_SM_SN_EUlS10_E0_NS1_11comp_targetILNS1_3genE0ELNS1_11target_archE4294967295ELNS1_3gpuE0ELNS1_3repE0EEENS1_38merge_mergepath_config_static_selectorELNS0_4arch9wavefront6targetE1EEEvSM_
    .private_segment_fixed_size: 0
    .sgpr_count:     4
    .sgpr_spill_count: 0
    .symbol:         _ZN7rocprim17ROCPRIM_400000_NS6detail17trampoline_kernelINS0_14default_configENS1_38merge_sort_block_merge_config_selectorIlNS0_10empty_typeEEEZZNS1_27merge_sort_block_merge_implIS3_PlPS5_mZN2at6native12_GLOBAL__N_124unique_dim_cuda_templateIlEESt5tupleIJNSA_6TensorESF_SF_EERKSF_lbbbEUlllE_EE10hipError_tT0_T1_T2_jT3_P12ihipStream_tbPNSt15iterator_traitsISL_E10value_typeEPNSR_ISM_E10value_typeEPSN_NS1_7vsmem_tEENKUlT_SL_SM_SN_E_clIS8_S8_S9_S9_EESK_S10_SL_SM_SN_EUlS10_E0_NS1_11comp_targetILNS1_3genE0ELNS1_11target_archE4294967295ELNS1_3gpuE0ELNS1_3repE0EEENS1_38merge_mergepath_config_static_selectorELNS0_4arch9wavefront6targetE1EEEvSM_.kd
    .uniform_work_group_size: 1
    .uses_dynamic_stack: false
    .vgpr_count:     0
    .vgpr_spill_count: 0
    .wavefront_size: 64
  - .agpr_count:     0
    .args:
      - .offset:         0
        .size:           88
        .value_kind:     by_value
    .group_segment_fixed_size: 0
    .kernarg_segment_align: 8
    .kernarg_segment_size: 88
    .language:       OpenCL C
    .language_version:
      - 2
      - 0
    .max_flat_workgroup_size: 512
    .name:           _ZN7rocprim17ROCPRIM_400000_NS6detail17trampoline_kernelINS0_14default_configENS1_38merge_sort_block_merge_config_selectorIlNS0_10empty_typeEEEZZNS1_27merge_sort_block_merge_implIS3_PlPS5_mZN2at6native12_GLOBAL__N_124unique_dim_cuda_templateIlEESt5tupleIJNSA_6TensorESF_SF_EERKSF_lbbbEUlllE_EE10hipError_tT0_T1_T2_jT3_P12ihipStream_tbPNSt15iterator_traitsISL_E10value_typeEPNSR_ISM_E10value_typeEPSN_NS1_7vsmem_tEENKUlT_SL_SM_SN_E_clIS8_S8_S9_S9_EESK_S10_SL_SM_SN_EUlS10_E0_NS1_11comp_targetILNS1_3genE10ELNS1_11target_archE1201ELNS1_3gpuE5ELNS1_3repE0EEENS1_38merge_mergepath_config_static_selectorELNS0_4arch9wavefront6targetE1EEEvSM_
    .private_segment_fixed_size: 0
    .sgpr_count:     4
    .sgpr_spill_count: 0
    .symbol:         _ZN7rocprim17ROCPRIM_400000_NS6detail17trampoline_kernelINS0_14default_configENS1_38merge_sort_block_merge_config_selectorIlNS0_10empty_typeEEEZZNS1_27merge_sort_block_merge_implIS3_PlPS5_mZN2at6native12_GLOBAL__N_124unique_dim_cuda_templateIlEESt5tupleIJNSA_6TensorESF_SF_EERKSF_lbbbEUlllE_EE10hipError_tT0_T1_T2_jT3_P12ihipStream_tbPNSt15iterator_traitsISL_E10value_typeEPNSR_ISM_E10value_typeEPSN_NS1_7vsmem_tEENKUlT_SL_SM_SN_E_clIS8_S8_S9_S9_EESK_S10_SL_SM_SN_EUlS10_E0_NS1_11comp_targetILNS1_3genE10ELNS1_11target_archE1201ELNS1_3gpuE5ELNS1_3repE0EEENS1_38merge_mergepath_config_static_selectorELNS0_4arch9wavefront6targetE1EEEvSM_.kd
    .uniform_work_group_size: 1
    .uses_dynamic_stack: false
    .vgpr_count:     0
    .vgpr_spill_count: 0
    .wavefront_size: 64
  - .agpr_count:     0
    .args:
      - .offset:         0
        .size:           88
        .value_kind:     by_value
    .group_segment_fixed_size: 0
    .kernarg_segment_align: 8
    .kernarg_segment_size: 88
    .language:       OpenCL C
    .language_version:
      - 2
      - 0
    .max_flat_workgroup_size: 128
    .name:           _ZN7rocprim17ROCPRIM_400000_NS6detail17trampoline_kernelINS0_14default_configENS1_38merge_sort_block_merge_config_selectorIlNS0_10empty_typeEEEZZNS1_27merge_sort_block_merge_implIS3_PlPS5_mZN2at6native12_GLOBAL__N_124unique_dim_cuda_templateIlEESt5tupleIJNSA_6TensorESF_SF_EERKSF_lbbbEUlllE_EE10hipError_tT0_T1_T2_jT3_P12ihipStream_tbPNSt15iterator_traitsISL_E10value_typeEPNSR_ISM_E10value_typeEPSN_NS1_7vsmem_tEENKUlT_SL_SM_SN_E_clIS8_S8_S9_S9_EESK_S10_SL_SM_SN_EUlS10_E0_NS1_11comp_targetILNS1_3genE5ELNS1_11target_archE942ELNS1_3gpuE9ELNS1_3repE0EEENS1_38merge_mergepath_config_static_selectorELNS0_4arch9wavefront6targetE1EEEvSM_
    .private_segment_fixed_size: 0
    .sgpr_count:     4
    .sgpr_spill_count: 0
    .symbol:         _ZN7rocprim17ROCPRIM_400000_NS6detail17trampoline_kernelINS0_14default_configENS1_38merge_sort_block_merge_config_selectorIlNS0_10empty_typeEEEZZNS1_27merge_sort_block_merge_implIS3_PlPS5_mZN2at6native12_GLOBAL__N_124unique_dim_cuda_templateIlEESt5tupleIJNSA_6TensorESF_SF_EERKSF_lbbbEUlllE_EE10hipError_tT0_T1_T2_jT3_P12ihipStream_tbPNSt15iterator_traitsISL_E10value_typeEPNSR_ISM_E10value_typeEPSN_NS1_7vsmem_tEENKUlT_SL_SM_SN_E_clIS8_S8_S9_S9_EESK_S10_SL_SM_SN_EUlS10_E0_NS1_11comp_targetILNS1_3genE5ELNS1_11target_archE942ELNS1_3gpuE9ELNS1_3repE0EEENS1_38merge_mergepath_config_static_selectorELNS0_4arch9wavefront6targetE1EEEvSM_.kd
    .uniform_work_group_size: 1
    .uses_dynamic_stack: false
    .vgpr_count:     0
    .vgpr_spill_count: 0
    .wavefront_size: 64
  - .agpr_count:     0
    .args:
      - .offset:         0
        .size:           88
        .value_kind:     by_value
      - .offset:         88
        .size:           4
        .value_kind:     hidden_block_count_x
      - .offset:         92
        .size:           4
        .value_kind:     hidden_block_count_y
      - .offset:         96
        .size:           4
        .value_kind:     hidden_block_count_z
      - .offset:         100
        .size:           2
        .value_kind:     hidden_group_size_x
      - .offset:         102
        .size:           2
        .value_kind:     hidden_group_size_y
      - .offset:         104
        .size:           2
        .value_kind:     hidden_group_size_z
      - .offset:         106
        .size:           2
        .value_kind:     hidden_remainder_x
      - .offset:         108
        .size:           2
        .value_kind:     hidden_remainder_y
      - .offset:         110
        .size:           2
        .value_kind:     hidden_remainder_z
      - .offset:         128
        .size:           8
        .value_kind:     hidden_global_offset_x
      - .offset:         136
        .size:           8
        .value_kind:     hidden_global_offset_y
      - .offset:         144
        .size:           8
        .value_kind:     hidden_global_offset_z
      - .offset:         152
        .size:           2
        .value_kind:     hidden_grid_dims
    .group_segment_fixed_size: 8448
    .kernarg_segment_align: 8
    .kernarg_segment_size: 344
    .language:       OpenCL C
    .language_version:
      - 2
      - 0
    .max_flat_workgroup_size: 256
    .name:           _ZN7rocprim17ROCPRIM_400000_NS6detail17trampoline_kernelINS0_14default_configENS1_38merge_sort_block_merge_config_selectorIlNS0_10empty_typeEEEZZNS1_27merge_sort_block_merge_implIS3_PlPS5_mZN2at6native12_GLOBAL__N_124unique_dim_cuda_templateIlEESt5tupleIJNSA_6TensorESF_SF_EERKSF_lbbbEUlllE_EE10hipError_tT0_T1_T2_jT3_P12ihipStream_tbPNSt15iterator_traitsISL_E10value_typeEPNSR_ISM_E10value_typeEPSN_NS1_7vsmem_tEENKUlT_SL_SM_SN_E_clIS8_S8_S9_S9_EESK_S10_SL_SM_SN_EUlS10_E0_NS1_11comp_targetILNS1_3genE4ELNS1_11target_archE910ELNS1_3gpuE8ELNS1_3repE0EEENS1_38merge_mergepath_config_static_selectorELNS0_4arch9wavefront6targetE1EEEvSM_
    .private_segment_fixed_size: 0
    .sgpr_count:     50
    .sgpr_spill_count: 0
    .symbol:         _ZN7rocprim17ROCPRIM_400000_NS6detail17trampoline_kernelINS0_14default_configENS1_38merge_sort_block_merge_config_selectorIlNS0_10empty_typeEEEZZNS1_27merge_sort_block_merge_implIS3_PlPS5_mZN2at6native12_GLOBAL__N_124unique_dim_cuda_templateIlEESt5tupleIJNSA_6TensorESF_SF_EERKSF_lbbbEUlllE_EE10hipError_tT0_T1_T2_jT3_P12ihipStream_tbPNSt15iterator_traitsISL_E10value_typeEPNSR_ISM_E10value_typeEPSN_NS1_7vsmem_tEENKUlT_SL_SM_SN_E_clIS8_S8_S9_S9_EESK_S10_SL_SM_SN_EUlS10_E0_NS1_11comp_targetILNS1_3genE4ELNS1_11target_archE910ELNS1_3gpuE8ELNS1_3repE0EEENS1_38merge_mergepath_config_static_selectorELNS0_4arch9wavefront6targetE1EEEvSM_.kd
    .uniform_work_group_size: 1
    .uses_dynamic_stack: false
    .vgpr_count:     26
    .vgpr_spill_count: 0
    .wavefront_size: 64
  - .agpr_count:     0
    .args:
      - .offset:         0
        .size:           88
        .value_kind:     by_value
    .group_segment_fixed_size: 0
    .kernarg_segment_align: 8
    .kernarg_segment_size: 88
    .language:       OpenCL C
    .language_version:
      - 2
      - 0
    .max_flat_workgroup_size: 128
    .name:           _ZN7rocprim17ROCPRIM_400000_NS6detail17trampoline_kernelINS0_14default_configENS1_38merge_sort_block_merge_config_selectorIlNS0_10empty_typeEEEZZNS1_27merge_sort_block_merge_implIS3_PlPS5_mZN2at6native12_GLOBAL__N_124unique_dim_cuda_templateIlEESt5tupleIJNSA_6TensorESF_SF_EERKSF_lbbbEUlllE_EE10hipError_tT0_T1_T2_jT3_P12ihipStream_tbPNSt15iterator_traitsISL_E10value_typeEPNSR_ISM_E10value_typeEPSN_NS1_7vsmem_tEENKUlT_SL_SM_SN_E_clIS8_S8_S9_S9_EESK_S10_SL_SM_SN_EUlS10_E0_NS1_11comp_targetILNS1_3genE3ELNS1_11target_archE908ELNS1_3gpuE7ELNS1_3repE0EEENS1_38merge_mergepath_config_static_selectorELNS0_4arch9wavefront6targetE1EEEvSM_
    .private_segment_fixed_size: 0
    .sgpr_count:     4
    .sgpr_spill_count: 0
    .symbol:         _ZN7rocprim17ROCPRIM_400000_NS6detail17trampoline_kernelINS0_14default_configENS1_38merge_sort_block_merge_config_selectorIlNS0_10empty_typeEEEZZNS1_27merge_sort_block_merge_implIS3_PlPS5_mZN2at6native12_GLOBAL__N_124unique_dim_cuda_templateIlEESt5tupleIJNSA_6TensorESF_SF_EERKSF_lbbbEUlllE_EE10hipError_tT0_T1_T2_jT3_P12ihipStream_tbPNSt15iterator_traitsISL_E10value_typeEPNSR_ISM_E10value_typeEPSN_NS1_7vsmem_tEENKUlT_SL_SM_SN_E_clIS8_S8_S9_S9_EESK_S10_SL_SM_SN_EUlS10_E0_NS1_11comp_targetILNS1_3genE3ELNS1_11target_archE908ELNS1_3gpuE7ELNS1_3repE0EEENS1_38merge_mergepath_config_static_selectorELNS0_4arch9wavefront6targetE1EEEvSM_.kd
    .uniform_work_group_size: 1
    .uses_dynamic_stack: false
    .vgpr_count:     0
    .vgpr_spill_count: 0
    .wavefront_size: 64
  - .agpr_count:     0
    .args:
      - .offset:         0
        .size:           88
        .value_kind:     by_value
    .group_segment_fixed_size: 0
    .kernarg_segment_align: 8
    .kernarg_segment_size: 88
    .language:       OpenCL C
    .language_version:
      - 2
      - 0
    .max_flat_workgroup_size: 256
    .name:           _ZN7rocprim17ROCPRIM_400000_NS6detail17trampoline_kernelINS0_14default_configENS1_38merge_sort_block_merge_config_selectorIlNS0_10empty_typeEEEZZNS1_27merge_sort_block_merge_implIS3_PlPS5_mZN2at6native12_GLOBAL__N_124unique_dim_cuda_templateIlEESt5tupleIJNSA_6TensorESF_SF_EERKSF_lbbbEUlllE_EE10hipError_tT0_T1_T2_jT3_P12ihipStream_tbPNSt15iterator_traitsISL_E10value_typeEPNSR_ISM_E10value_typeEPSN_NS1_7vsmem_tEENKUlT_SL_SM_SN_E_clIS8_S8_S9_S9_EESK_S10_SL_SM_SN_EUlS10_E0_NS1_11comp_targetILNS1_3genE2ELNS1_11target_archE906ELNS1_3gpuE6ELNS1_3repE0EEENS1_38merge_mergepath_config_static_selectorELNS0_4arch9wavefront6targetE1EEEvSM_
    .private_segment_fixed_size: 0
    .sgpr_count:     4
    .sgpr_spill_count: 0
    .symbol:         _ZN7rocprim17ROCPRIM_400000_NS6detail17trampoline_kernelINS0_14default_configENS1_38merge_sort_block_merge_config_selectorIlNS0_10empty_typeEEEZZNS1_27merge_sort_block_merge_implIS3_PlPS5_mZN2at6native12_GLOBAL__N_124unique_dim_cuda_templateIlEESt5tupleIJNSA_6TensorESF_SF_EERKSF_lbbbEUlllE_EE10hipError_tT0_T1_T2_jT3_P12ihipStream_tbPNSt15iterator_traitsISL_E10value_typeEPNSR_ISM_E10value_typeEPSN_NS1_7vsmem_tEENKUlT_SL_SM_SN_E_clIS8_S8_S9_S9_EESK_S10_SL_SM_SN_EUlS10_E0_NS1_11comp_targetILNS1_3genE2ELNS1_11target_archE906ELNS1_3gpuE6ELNS1_3repE0EEENS1_38merge_mergepath_config_static_selectorELNS0_4arch9wavefront6targetE1EEEvSM_.kd
    .uniform_work_group_size: 1
    .uses_dynamic_stack: false
    .vgpr_count:     0
    .vgpr_spill_count: 0
    .wavefront_size: 64
  - .agpr_count:     0
    .args:
      - .offset:         0
        .size:           88
        .value_kind:     by_value
    .group_segment_fixed_size: 0
    .kernarg_segment_align: 8
    .kernarg_segment_size: 88
    .language:       OpenCL C
    .language_version:
      - 2
      - 0
    .max_flat_workgroup_size: 512
    .name:           _ZN7rocprim17ROCPRIM_400000_NS6detail17trampoline_kernelINS0_14default_configENS1_38merge_sort_block_merge_config_selectorIlNS0_10empty_typeEEEZZNS1_27merge_sort_block_merge_implIS3_PlPS5_mZN2at6native12_GLOBAL__N_124unique_dim_cuda_templateIlEESt5tupleIJNSA_6TensorESF_SF_EERKSF_lbbbEUlllE_EE10hipError_tT0_T1_T2_jT3_P12ihipStream_tbPNSt15iterator_traitsISL_E10value_typeEPNSR_ISM_E10value_typeEPSN_NS1_7vsmem_tEENKUlT_SL_SM_SN_E_clIS8_S8_S9_S9_EESK_S10_SL_SM_SN_EUlS10_E0_NS1_11comp_targetILNS1_3genE9ELNS1_11target_archE1100ELNS1_3gpuE3ELNS1_3repE0EEENS1_38merge_mergepath_config_static_selectorELNS0_4arch9wavefront6targetE1EEEvSM_
    .private_segment_fixed_size: 0
    .sgpr_count:     4
    .sgpr_spill_count: 0
    .symbol:         _ZN7rocprim17ROCPRIM_400000_NS6detail17trampoline_kernelINS0_14default_configENS1_38merge_sort_block_merge_config_selectorIlNS0_10empty_typeEEEZZNS1_27merge_sort_block_merge_implIS3_PlPS5_mZN2at6native12_GLOBAL__N_124unique_dim_cuda_templateIlEESt5tupleIJNSA_6TensorESF_SF_EERKSF_lbbbEUlllE_EE10hipError_tT0_T1_T2_jT3_P12ihipStream_tbPNSt15iterator_traitsISL_E10value_typeEPNSR_ISM_E10value_typeEPSN_NS1_7vsmem_tEENKUlT_SL_SM_SN_E_clIS8_S8_S9_S9_EESK_S10_SL_SM_SN_EUlS10_E0_NS1_11comp_targetILNS1_3genE9ELNS1_11target_archE1100ELNS1_3gpuE3ELNS1_3repE0EEENS1_38merge_mergepath_config_static_selectorELNS0_4arch9wavefront6targetE1EEEvSM_.kd
    .uniform_work_group_size: 1
    .uses_dynamic_stack: false
    .vgpr_count:     0
    .vgpr_spill_count: 0
    .wavefront_size: 64
  - .agpr_count:     0
    .args:
      - .offset:         0
        .size:           88
        .value_kind:     by_value
    .group_segment_fixed_size: 0
    .kernarg_segment_align: 8
    .kernarg_segment_size: 88
    .language:       OpenCL C
    .language_version:
      - 2
      - 0
    .max_flat_workgroup_size: 1024
    .name:           _ZN7rocprim17ROCPRIM_400000_NS6detail17trampoline_kernelINS0_14default_configENS1_38merge_sort_block_merge_config_selectorIlNS0_10empty_typeEEEZZNS1_27merge_sort_block_merge_implIS3_PlPS5_mZN2at6native12_GLOBAL__N_124unique_dim_cuda_templateIlEESt5tupleIJNSA_6TensorESF_SF_EERKSF_lbbbEUlllE_EE10hipError_tT0_T1_T2_jT3_P12ihipStream_tbPNSt15iterator_traitsISL_E10value_typeEPNSR_ISM_E10value_typeEPSN_NS1_7vsmem_tEENKUlT_SL_SM_SN_E_clIS8_S8_S9_S9_EESK_S10_SL_SM_SN_EUlS10_E0_NS1_11comp_targetILNS1_3genE8ELNS1_11target_archE1030ELNS1_3gpuE2ELNS1_3repE0EEENS1_38merge_mergepath_config_static_selectorELNS0_4arch9wavefront6targetE1EEEvSM_
    .private_segment_fixed_size: 0
    .sgpr_count:     4
    .sgpr_spill_count: 0
    .symbol:         _ZN7rocprim17ROCPRIM_400000_NS6detail17trampoline_kernelINS0_14default_configENS1_38merge_sort_block_merge_config_selectorIlNS0_10empty_typeEEEZZNS1_27merge_sort_block_merge_implIS3_PlPS5_mZN2at6native12_GLOBAL__N_124unique_dim_cuda_templateIlEESt5tupleIJNSA_6TensorESF_SF_EERKSF_lbbbEUlllE_EE10hipError_tT0_T1_T2_jT3_P12ihipStream_tbPNSt15iterator_traitsISL_E10value_typeEPNSR_ISM_E10value_typeEPSN_NS1_7vsmem_tEENKUlT_SL_SM_SN_E_clIS8_S8_S9_S9_EESK_S10_SL_SM_SN_EUlS10_E0_NS1_11comp_targetILNS1_3genE8ELNS1_11target_archE1030ELNS1_3gpuE2ELNS1_3repE0EEENS1_38merge_mergepath_config_static_selectorELNS0_4arch9wavefront6targetE1EEEvSM_.kd
    .uniform_work_group_size: 1
    .uses_dynamic_stack: false
    .vgpr_count:     0
    .vgpr_spill_count: 0
    .wavefront_size: 64
  - .agpr_count:     0
    .args:
      - .offset:         0
        .size:           64
        .value_kind:     by_value
    .group_segment_fixed_size: 0
    .kernarg_segment_align: 8
    .kernarg_segment_size: 64
    .language:       OpenCL C
    .language_version:
      - 2
      - 0
    .max_flat_workgroup_size: 256
    .name:           _ZN7rocprim17ROCPRIM_400000_NS6detail17trampoline_kernelINS0_14default_configENS1_38merge_sort_block_merge_config_selectorIlNS0_10empty_typeEEEZZNS1_27merge_sort_block_merge_implIS3_PlPS5_mZN2at6native12_GLOBAL__N_124unique_dim_cuda_templateIlEESt5tupleIJNSA_6TensorESF_SF_EERKSF_lbbbEUlllE_EE10hipError_tT0_T1_T2_jT3_P12ihipStream_tbPNSt15iterator_traitsISL_E10value_typeEPNSR_ISM_E10value_typeEPSN_NS1_7vsmem_tEENKUlT_SL_SM_SN_E_clIS8_S8_S9_S9_EESK_S10_SL_SM_SN_EUlS10_E1_NS1_11comp_targetILNS1_3genE0ELNS1_11target_archE4294967295ELNS1_3gpuE0ELNS1_3repE0EEENS1_36merge_oddeven_config_static_selectorELNS0_4arch9wavefront6targetE1EEEvSM_
    .private_segment_fixed_size: 0
    .sgpr_count:     4
    .sgpr_spill_count: 0
    .symbol:         _ZN7rocprim17ROCPRIM_400000_NS6detail17trampoline_kernelINS0_14default_configENS1_38merge_sort_block_merge_config_selectorIlNS0_10empty_typeEEEZZNS1_27merge_sort_block_merge_implIS3_PlPS5_mZN2at6native12_GLOBAL__N_124unique_dim_cuda_templateIlEESt5tupleIJNSA_6TensorESF_SF_EERKSF_lbbbEUlllE_EE10hipError_tT0_T1_T2_jT3_P12ihipStream_tbPNSt15iterator_traitsISL_E10value_typeEPNSR_ISM_E10value_typeEPSN_NS1_7vsmem_tEENKUlT_SL_SM_SN_E_clIS8_S8_S9_S9_EESK_S10_SL_SM_SN_EUlS10_E1_NS1_11comp_targetILNS1_3genE0ELNS1_11target_archE4294967295ELNS1_3gpuE0ELNS1_3repE0EEENS1_36merge_oddeven_config_static_selectorELNS0_4arch9wavefront6targetE1EEEvSM_.kd
    .uniform_work_group_size: 1
    .uses_dynamic_stack: false
    .vgpr_count:     0
    .vgpr_spill_count: 0
    .wavefront_size: 64
  - .agpr_count:     0
    .args:
      - .offset:         0
        .size:           64
        .value_kind:     by_value
    .group_segment_fixed_size: 0
    .kernarg_segment_align: 8
    .kernarg_segment_size: 64
    .language:       OpenCL C
    .language_version:
      - 2
      - 0
    .max_flat_workgroup_size: 256
    .name:           _ZN7rocprim17ROCPRIM_400000_NS6detail17trampoline_kernelINS0_14default_configENS1_38merge_sort_block_merge_config_selectorIlNS0_10empty_typeEEEZZNS1_27merge_sort_block_merge_implIS3_PlPS5_mZN2at6native12_GLOBAL__N_124unique_dim_cuda_templateIlEESt5tupleIJNSA_6TensorESF_SF_EERKSF_lbbbEUlllE_EE10hipError_tT0_T1_T2_jT3_P12ihipStream_tbPNSt15iterator_traitsISL_E10value_typeEPNSR_ISM_E10value_typeEPSN_NS1_7vsmem_tEENKUlT_SL_SM_SN_E_clIS8_S8_S9_S9_EESK_S10_SL_SM_SN_EUlS10_E1_NS1_11comp_targetILNS1_3genE10ELNS1_11target_archE1201ELNS1_3gpuE5ELNS1_3repE0EEENS1_36merge_oddeven_config_static_selectorELNS0_4arch9wavefront6targetE1EEEvSM_
    .private_segment_fixed_size: 0
    .sgpr_count:     4
    .sgpr_spill_count: 0
    .symbol:         _ZN7rocprim17ROCPRIM_400000_NS6detail17trampoline_kernelINS0_14default_configENS1_38merge_sort_block_merge_config_selectorIlNS0_10empty_typeEEEZZNS1_27merge_sort_block_merge_implIS3_PlPS5_mZN2at6native12_GLOBAL__N_124unique_dim_cuda_templateIlEESt5tupleIJNSA_6TensorESF_SF_EERKSF_lbbbEUlllE_EE10hipError_tT0_T1_T2_jT3_P12ihipStream_tbPNSt15iterator_traitsISL_E10value_typeEPNSR_ISM_E10value_typeEPSN_NS1_7vsmem_tEENKUlT_SL_SM_SN_E_clIS8_S8_S9_S9_EESK_S10_SL_SM_SN_EUlS10_E1_NS1_11comp_targetILNS1_3genE10ELNS1_11target_archE1201ELNS1_3gpuE5ELNS1_3repE0EEENS1_36merge_oddeven_config_static_selectorELNS0_4arch9wavefront6targetE1EEEvSM_.kd
    .uniform_work_group_size: 1
    .uses_dynamic_stack: false
    .vgpr_count:     0
    .vgpr_spill_count: 0
    .wavefront_size: 64
  - .agpr_count:     0
    .args:
      - .offset:         0
        .size:           64
        .value_kind:     by_value
    .group_segment_fixed_size: 0
    .kernarg_segment_align: 8
    .kernarg_segment_size: 64
    .language:       OpenCL C
    .language_version:
      - 2
      - 0
    .max_flat_workgroup_size: 256
    .name:           _ZN7rocprim17ROCPRIM_400000_NS6detail17trampoline_kernelINS0_14default_configENS1_38merge_sort_block_merge_config_selectorIlNS0_10empty_typeEEEZZNS1_27merge_sort_block_merge_implIS3_PlPS5_mZN2at6native12_GLOBAL__N_124unique_dim_cuda_templateIlEESt5tupleIJNSA_6TensorESF_SF_EERKSF_lbbbEUlllE_EE10hipError_tT0_T1_T2_jT3_P12ihipStream_tbPNSt15iterator_traitsISL_E10value_typeEPNSR_ISM_E10value_typeEPSN_NS1_7vsmem_tEENKUlT_SL_SM_SN_E_clIS8_S8_S9_S9_EESK_S10_SL_SM_SN_EUlS10_E1_NS1_11comp_targetILNS1_3genE5ELNS1_11target_archE942ELNS1_3gpuE9ELNS1_3repE0EEENS1_36merge_oddeven_config_static_selectorELNS0_4arch9wavefront6targetE1EEEvSM_
    .private_segment_fixed_size: 0
    .sgpr_count:     4
    .sgpr_spill_count: 0
    .symbol:         _ZN7rocprim17ROCPRIM_400000_NS6detail17trampoline_kernelINS0_14default_configENS1_38merge_sort_block_merge_config_selectorIlNS0_10empty_typeEEEZZNS1_27merge_sort_block_merge_implIS3_PlPS5_mZN2at6native12_GLOBAL__N_124unique_dim_cuda_templateIlEESt5tupleIJNSA_6TensorESF_SF_EERKSF_lbbbEUlllE_EE10hipError_tT0_T1_T2_jT3_P12ihipStream_tbPNSt15iterator_traitsISL_E10value_typeEPNSR_ISM_E10value_typeEPSN_NS1_7vsmem_tEENKUlT_SL_SM_SN_E_clIS8_S8_S9_S9_EESK_S10_SL_SM_SN_EUlS10_E1_NS1_11comp_targetILNS1_3genE5ELNS1_11target_archE942ELNS1_3gpuE9ELNS1_3repE0EEENS1_36merge_oddeven_config_static_selectorELNS0_4arch9wavefront6targetE1EEEvSM_.kd
    .uniform_work_group_size: 1
    .uses_dynamic_stack: false
    .vgpr_count:     0
    .vgpr_spill_count: 0
    .wavefront_size: 64
  - .agpr_count:     0
    .args:
      - .offset:         0
        .size:           64
        .value_kind:     by_value
    .group_segment_fixed_size: 0
    .kernarg_segment_align: 8
    .kernarg_segment_size: 64
    .language:       OpenCL C
    .language_version:
      - 2
      - 0
    .max_flat_workgroup_size: 256
    .name:           _ZN7rocprim17ROCPRIM_400000_NS6detail17trampoline_kernelINS0_14default_configENS1_38merge_sort_block_merge_config_selectorIlNS0_10empty_typeEEEZZNS1_27merge_sort_block_merge_implIS3_PlPS5_mZN2at6native12_GLOBAL__N_124unique_dim_cuda_templateIlEESt5tupleIJNSA_6TensorESF_SF_EERKSF_lbbbEUlllE_EE10hipError_tT0_T1_T2_jT3_P12ihipStream_tbPNSt15iterator_traitsISL_E10value_typeEPNSR_ISM_E10value_typeEPSN_NS1_7vsmem_tEENKUlT_SL_SM_SN_E_clIS8_S8_S9_S9_EESK_S10_SL_SM_SN_EUlS10_E1_NS1_11comp_targetILNS1_3genE4ELNS1_11target_archE910ELNS1_3gpuE8ELNS1_3repE0EEENS1_36merge_oddeven_config_static_selectorELNS0_4arch9wavefront6targetE1EEEvSM_
    .private_segment_fixed_size: 0
    .sgpr_count:     50
    .sgpr_spill_count: 0
    .symbol:         _ZN7rocprim17ROCPRIM_400000_NS6detail17trampoline_kernelINS0_14default_configENS1_38merge_sort_block_merge_config_selectorIlNS0_10empty_typeEEEZZNS1_27merge_sort_block_merge_implIS3_PlPS5_mZN2at6native12_GLOBAL__N_124unique_dim_cuda_templateIlEESt5tupleIJNSA_6TensorESF_SF_EERKSF_lbbbEUlllE_EE10hipError_tT0_T1_T2_jT3_P12ihipStream_tbPNSt15iterator_traitsISL_E10value_typeEPNSR_ISM_E10value_typeEPSN_NS1_7vsmem_tEENKUlT_SL_SM_SN_E_clIS8_S8_S9_S9_EESK_S10_SL_SM_SN_EUlS10_E1_NS1_11comp_targetILNS1_3genE4ELNS1_11target_archE910ELNS1_3gpuE8ELNS1_3repE0EEENS1_36merge_oddeven_config_static_selectorELNS0_4arch9wavefront6targetE1EEEvSM_.kd
    .uniform_work_group_size: 1
    .uses_dynamic_stack: false
    .vgpr_count:     20
    .vgpr_spill_count: 0
    .wavefront_size: 64
  - .agpr_count:     0
    .args:
      - .offset:         0
        .size:           64
        .value_kind:     by_value
    .group_segment_fixed_size: 0
    .kernarg_segment_align: 8
    .kernarg_segment_size: 64
    .language:       OpenCL C
    .language_version:
      - 2
      - 0
    .max_flat_workgroup_size: 256
    .name:           _ZN7rocprim17ROCPRIM_400000_NS6detail17trampoline_kernelINS0_14default_configENS1_38merge_sort_block_merge_config_selectorIlNS0_10empty_typeEEEZZNS1_27merge_sort_block_merge_implIS3_PlPS5_mZN2at6native12_GLOBAL__N_124unique_dim_cuda_templateIlEESt5tupleIJNSA_6TensorESF_SF_EERKSF_lbbbEUlllE_EE10hipError_tT0_T1_T2_jT3_P12ihipStream_tbPNSt15iterator_traitsISL_E10value_typeEPNSR_ISM_E10value_typeEPSN_NS1_7vsmem_tEENKUlT_SL_SM_SN_E_clIS8_S8_S9_S9_EESK_S10_SL_SM_SN_EUlS10_E1_NS1_11comp_targetILNS1_3genE3ELNS1_11target_archE908ELNS1_3gpuE7ELNS1_3repE0EEENS1_36merge_oddeven_config_static_selectorELNS0_4arch9wavefront6targetE1EEEvSM_
    .private_segment_fixed_size: 0
    .sgpr_count:     4
    .sgpr_spill_count: 0
    .symbol:         _ZN7rocprim17ROCPRIM_400000_NS6detail17trampoline_kernelINS0_14default_configENS1_38merge_sort_block_merge_config_selectorIlNS0_10empty_typeEEEZZNS1_27merge_sort_block_merge_implIS3_PlPS5_mZN2at6native12_GLOBAL__N_124unique_dim_cuda_templateIlEESt5tupleIJNSA_6TensorESF_SF_EERKSF_lbbbEUlllE_EE10hipError_tT0_T1_T2_jT3_P12ihipStream_tbPNSt15iterator_traitsISL_E10value_typeEPNSR_ISM_E10value_typeEPSN_NS1_7vsmem_tEENKUlT_SL_SM_SN_E_clIS8_S8_S9_S9_EESK_S10_SL_SM_SN_EUlS10_E1_NS1_11comp_targetILNS1_3genE3ELNS1_11target_archE908ELNS1_3gpuE7ELNS1_3repE0EEENS1_36merge_oddeven_config_static_selectorELNS0_4arch9wavefront6targetE1EEEvSM_.kd
    .uniform_work_group_size: 1
    .uses_dynamic_stack: false
    .vgpr_count:     0
    .vgpr_spill_count: 0
    .wavefront_size: 64
  - .agpr_count:     0
    .args:
      - .offset:         0
        .size:           64
        .value_kind:     by_value
    .group_segment_fixed_size: 0
    .kernarg_segment_align: 8
    .kernarg_segment_size: 64
    .language:       OpenCL C
    .language_version:
      - 2
      - 0
    .max_flat_workgroup_size: 256
    .name:           _ZN7rocprim17ROCPRIM_400000_NS6detail17trampoline_kernelINS0_14default_configENS1_38merge_sort_block_merge_config_selectorIlNS0_10empty_typeEEEZZNS1_27merge_sort_block_merge_implIS3_PlPS5_mZN2at6native12_GLOBAL__N_124unique_dim_cuda_templateIlEESt5tupleIJNSA_6TensorESF_SF_EERKSF_lbbbEUlllE_EE10hipError_tT0_T1_T2_jT3_P12ihipStream_tbPNSt15iterator_traitsISL_E10value_typeEPNSR_ISM_E10value_typeEPSN_NS1_7vsmem_tEENKUlT_SL_SM_SN_E_clIS8_S8_S9_S9_EESK_S10_SL_SM_SN_EUlS10_E1_NS1_11comp_targetILNS1_3genE2ELNS1_11target_archE906ELNS1_3gpuE6ELNS1_3repE0EEENS1_36merge_oddeven_config_static_selectorELNS0_4arch9wavefront6targetE1EEEvSM_
    .private_segment_fixed_size: 0
    .sgpr_count:     4
    .sgpr_spill_count: 0
    .symbol:         _ZN7rocprim17ROCPRIM_400000_NS6detail17trampoline_kernelINS0_14default_configENS1_38merge_sort_block_merge_config_selectorIlNS0_10empty_typeEEEZZNS1_27merge_sort_block_merge_implIS3_PlPS5_mZN2at6native12_GLOBAL__N_124unique_dim_cuda_templateIlEESt5tupleIJNSA_6TensorESF_SF_EERKSF_lbbbEUlllE_EE10hipError_tT0_T1_T2_jT3_P12ihipStream_tbPNSt15iterator_traitsISL_E10value_typeEPNSR_ISM_E10value_typeEPSN_NS1_7vsmem_tEENKUlT_SL_SM_SN_E_clIS8_S8_S9_S9_EESK_S10_SL_SM_SN_EUlS10_E1_NS1_11comp_targetILNS1_3genE2ELNS1_11target_archE906ELNS1_3gpuE6ELNS1_3repE0EEENS1_36merge_oddeven_config_static_selectorELNS0_4arch9wavefront6targetE1EEEvSM_.kd
    .uniform_work_group_size: 1
    .uses_dynamic_stack: false
    .vgpr_count:     0
    .vgpr_spill_count: 0
    .wavefront_size: 64
  - .agpr_count:     0
    .args:
      - .offset:         0
        .size:           64
        .value_kind:     by_value
    .group_segment_fixed_size: 0
    .kernarg_segment_align: 8
    .kernarg_segment_size: 64
    .language:       OpenCL C
    .language_version:
      - 2
      - 0
    .max_flat_workgroup_size: 256
    .name:           _ZN7rocprim17ROCPRIM_400000_NS6detail17trampoline_kernelINS0_14default_configENS1_38merge_sort_block_merge_config_selectorIlNS0_10empty_typeEEEZZNS1_27merge_sort_block_merge_implIS3_PlPS5_mZN2at6native12_GLOBAL__N_124unique_dim_cuda_templateIlEESt5tupleIJNSA_6TensorESF_SF_EERKSF_lbbbEUlllE_EE10hipError_tT0_T1_T2_jT3_P12ihipStream_tbPNSt15iterator_traitsISL_E10value_typeEPNSR_ISM_E10value_typeEPSN_NS1_7vsmem_tEENKUlT_SL_SM_SN_E_clIS8_S8_S9_S9_EESK_S10_SL_SM_SN_EUlS10_E1_NS1_11comp_targetILNS1_3genE9ELNS1_11target_archE1100ELNS1_3gpuE3ELNS1_3repE0EEENS1_36merge_oddeven_config_static_selectorELNS0_4arch9wavefront6targetE1EEEvSM_
    .private_segment_fixed_size: 0
    .sgpr_count:     4
    .sgpr_spill_count: 0
    .symbol:         _ZN7rocprim17ROCPRIM_400000_NS6detail17trampoline_kernelINS0_14default_configENS1_38merge_sort_block_merge_config_selectorIlNS0_10empty_typeEEEZZNS1_27merge_sort_block_merge_implIS3_PlPS5_mZN2at6native12_GLOBAL__N_124unique_dim_cuda_templateIlEESt5tupleIJNSA_6TensorESF_SF_EERKSF_lbbbEUlllE_EE10hipError_tT0_T1_T2_jT3_P12ihipStream_tbPNSt15iterator_traitsISL_E10value_typeEPNSR_ISM_E10value_typeEPSN_NS1_7vsmem_tEENKUlT_SL_SM_SN_E_clIS8_S8_S9_S9_EESK_S10_SL_SM_SN_EUlS10_E1_NS1_11comp_targetILNS1_3genE9ELNS1_11target_archE1100ELNS1_3gpuE3ELNS1_3repE0EEENS1_36merge_oddeven_config_static_selectorELNS0_4arch9wavefront6targetE1EEEvSM_.kd
    .uniform_work_group_size: 1
    .uses_dynamic_stack: false
    .vgpr_count:     0
    .vgpr_spill_count: 0
    .wavefront_size: 64
  - .agpr_count:     0
    .args:
      - .offset:         0
        .size:           64
        .value_kind:     by_value
    .group_segment_fixed_size: 0
    .kernarg_segment_align: 8
    .kernarg_segment_size: 64
    .language:       OpenCL C
    .language_version:
      - 2
      - 0
    .max_flat_workgroup_size: 256
    .name:           _ZN7rocprim17ROCPRIM_400000_NS6detail17trampoline_kernelINS0_14default_configENS1_38merge_sort_block_merge_config_selectorIlNS0_10empty_typeEEEZZNS1_27merge_sort_block_merge_implIS3_PlPS5_mZN2at6native12_GLOBAL__N_124unique_dim_cuda_templateIlEESt5tupleIJNSA_6TensorESF_SF_EERKSF_lbbbEUlllE_EE10hipError_tT0_T1_T2_jT3_P12ihipStream_tbPNSt15iterator_traitsISL_E10value_typeEPNSR_ISM_E10value_typeEPSN_NS1_7vsmem_tEENKUlT_SL_SM_SN_E_clIS8_S8_S9_S9_EESK_S10_SL_SM_SN_EUlS10_E1_NS1_11comp_targetILNS1_3genE8ELNS1_11target_archE1030ELNS1_3gpuE2ELNS1_3repE0EEENS1_36merge_oddeven_config_static_selectorELNS0_4arch9wavefront6targetE1EEEvSM_
    .private_segment_fixed_size: 0
    .sgpr_count:     4
    .sgpr_spill_count: 0
    .symbol:         _ZN7rocprim17ROCPRIM_400000_NS6detail17trampoline_kernelINS0_14default_configENS1_38merge_sort_block_merge_config_selectorIlNS0_10empty_typeEEEZZNS1_27merge_sort_block_merge_implIS3_PlPS5_mZN2at6native12_GLOBAL__N_124unique_dim_cuda_templateIlEESt5tupleIJNSA_6TensorESF_SF_EERKSF_lbbbEUlllE_EE10hipError_tT0_T1_T2_jT3_P12ihipStream_tbPNSt15iterator_traitsISL_E10value_typeEPNSR_ISM_E10value_typeEPSN_NS1_7vsmem_tEENKUlT_SL_SM_SN_E_clIS8_S8_S9_S9_EESK_S10_SL_SM_SN_EUlS10_E1_NS1_11comp_targetILNS1_3genE8ELNS1_11target_archE1030ELNS1_3gpuE2ELNS1_3repE0EEENS1_36merge_oddeven_config_static_selectorELNS0_4arch9wavefront6targetE1EEEvSM_.kd
    .uniform_work_group_size: 1
    .uses_dynamic_stack: false
    .vgpr_count:     0
    .vgpr_spill_count: 0
    .wavefront_size: 64
  - .agpr_count:     0
    .args:
      - .offset:         0
        .size:           64
        .value_kind:     by_value
    .group_segment_fixed_size: 0
    .kernarg_segment_align: 8
    .kernarg_segment_size: 64
    .language:       OpenCL C
    .language_version:
      - 2
      - 0
    .max_flat_workgroup_size: 128
    .name:           _ZN7rocprim17ROCPRIM_400000_NS6detail17trampoline_kernelINS0_14default_configENS1_35adjacent_difference_config_selectorILb0ElEEZNS1_24adjacent_difference_implIS3_Lb0ELb0EPlS7_ZN2at6native12_GLOBAL__N_124unique_dim_cuda_templateIlEESt5tupleIJNS8_6TensorESD_SD_EERKSD_lbbbEUlllE1_EE10hipError_tPvRmT2_T3_mT4_P12ihipStream_tbEUlT_E_NS1_11comp_targetILNS1_3genE0ELNS1_11target_archE4294967295ELNS1_3gpuE0ELNS1_3repE0EEENS1_30default_config_static_selectorELNS0_4arch9wavefront6targetE1EEEvT1_
    .private_segment_fixed_size: 0
    .sgpr_count:     4
    .sgpr_spill_count: 0
    .symbol:         _ZN7rocprim17ROCPRIM_400000_NS6detail17trampoline_kernelINS0_14default_configENS1_35adjacent_difference_config_selectorILb0ElEEZNS1_24adjacent_difference_implIS3_Lb0ELb0EPlS7_ZN2at6native12_GLOBAL__N_124unique_dim_cuda_templateIlEESt5tupleIJNS8_6TensorESD_SD_EERKSD_lbbbEUlllE1_EE10hipError_tPvRmT2_T3_mT4_P12ihipStream_tbEUlT_E_NS1_11comp_targetILNS1_3genE0ELNS1_11target_archE4294967295ELNS1_3gpuE0ELNS1_3repE0EEENS1_30default_config_static_selectorELNS0_4arch9wavefront6targetE1EEEvT1_.kd
    .uniform_work_group_size: 1
    .uses_dynamic_stack: false
    .vgpr_count:     0
    .vgpr_spill_count: 0
    .wavefront_size: 64
  - .agpr_count:     0
    .args:
      - .offset:         0
        .size:           64
        .value_kind:     by_value
    .group_segment_fixed_size: 0
    .kernarg_segment_align: 8
    .kernarg_segment_size: 64
    .language:       OpenCL C
    .language_version:
      - 2
      - 0
    .max_flat_workgroup_size: 128
    .name:           _ZN7rocprim17ROCPRIM_400000_NS6detail17trampoline_kernelINS0_14default_configENS1_35adjacent_difference_config_selectorILb0ElEEZNS1_24adjacent_difference_implIS3_Lb0ELb0EPlS7_ZN2at6native12_GLOBAL__N_124unique_dim_cuda_templateIlEESt5tupleIJNS8_6TensorESD_SD_EERKSD_lbbbEUlllE1_EE10hipError_tPvRmT2_T3_mT4_P12ihipStream_tbEUlT_E_NS1_11comp_targetILNS1_3genE10ELNS1_11target_archE1201ELNS1_3gpuE5ELNS1_3repE0EEENS1_30default_config_static_selectorELNS0_4arch9wavefront6targetE1EEEvT1_
    .private_segment_fixed_size: 0
    .sgpr_count:     4
    .sgpr_spill_count: 0
    .symbol:         _ZN7rocprim17ROCPRIM_400000_NS6detail17trampoline_kernelINS0_14default_configENS1_35adjacent_difference_config_selectorILb0ElEEZNS1_24adjacent_difference_implIS3_Lb0ELb0EPlS7_ZN2at6native12_GLOBAL__N_124unique_dim_cuda_templateIlEESt5tupleIJNS8_6TensorESD_SD_EERKSD_lbbbEUlllE1_EE10hipError_tPvRmT2_T3_mT4_P12ihipStream_tbEUlT_E_NS1_11comp_targetILNS1_3genE10ELNS1_11target_archE1201ELNS1_3gpuE5ELNS1_3repE0EEENS1_30default_config_static_selectorELNS0_4arch9wavefront6targetE1EEEvT1_.kd
    .uniform_work_group_size: 1
    .uses_dynamic_stack: false
    .vgpr_count:     0
    .vgpr_spill_count: 0
    .wavefront_size: 64
  - .agpr_count:     0
    .args:
      - .offset:         0
        .size:           64
        .value_kind:     by_value
    .group_segment_fixed_size: 0
    .kernarg_segment_align: 8
    .kernarg_segment_size: 64
    .language:       OpenCL C
    .language_version:
      - 2
      - 0
    .max_flat_workgroup_size: 64
    .name:           _ZN7rocprim17ROCPRIM_400000_NS6detail17trampoline_kernelINS0_14default_configENS1_35adjacent_difference_config_selectorILb0ElEEZNS1_24adjacent_difference_implIS3_Lb0ELb0EPlS7_ZN2at6native12_GLOBAL__N_124unique_dim_cuda_templateIlEESt5tupleIJNS8_6TensorESD_SD_EERKSD_lbbbEUlllE1_EE10hipError_tPvRmT2_T3_mT4_P12ihipStream_tbEUlT_E_NS1_11comp_targetILNS1_3genE5ELNS1_11target_archE942ELNS1_3gpuE9ELNS1_3repE0EEENS1_30default_config_static_selectorELNS0_4arch9wavefront6targetE1EEEvT1_
    .private_segment_fixed_size: 0
    .sgpr_count:     4
    .sgpr_spill_count: 0
    .symbol:         _ZN7rocprim17ROCPRIM_400000_NS6detail17trampoline_kernelINS0_14default_configENS1_35adjacent_difference_config_selectorILb0ElEEZNS1_24adjacent_difference_implIS3_Lb0ELb0EPlS7_ZN2at6native12_GLOBAL__N_124unique_dim_cuda_templateIlEESt5tupleIJNS8_6TensorESD_SD_EERKSD_lbbbEUlllE1_EE10hipError_tPvRmT2_T3_mT4_P12ihipStream_tbEUlT_E_NS1_11comp_targetILNS1_3genE5ELNS1_11target_archE942ELNS1_3gpuE9ELNS1_3repE0EEENS1_30default_config_static_selectorELNS0_4arch9wavefront6targetE1EEEvT1_.kd
    .uniform_work_group_size: 1
    .uses_dynamic_stack: false
    .vgpr_count:     0
    .vgpr_spill_count: 0
    .wavefront_size: 64
  - .agpr_count:     0
    .args:
      - .offset:         0
        .size:           64
        .value_kind:     by_value
    .group_segment_fixed_size: 4224
    .kernarg_segment_align: 8
    .kernarg_segment_size: 64
    .language:       OpenCL C
    .language_version:
      - 2
      - 0
    .max_flat_workgroup_size: 256
    .name:           _ZN7rocprim17ROCPRIM_400000_NS6detail17trampoline_kernelINS0_14default_configENS1_35adjacent_difference_config_selectorILb0ElEEZNS1_24adjacent_difference_implIS3_Lb0ELb0EPlS7_ZN2at6native12_GLOBAL__N_124unique_dim_cuda_templateIlEESt5tupleIJNS8_6TensorESD_SD_EERKSD_lbbbEUlllE1_EE10hipError_tPvRmT2_T3_mT4_P12ihipStream_tbEUlT_E_NS1_11comp_targetILNS1_3genE4ELNS1_11target_archE910ELNS1_3gpuE8ELNS1_3repE0EEENS1_30default_config_static_selectorELNS0_4arch9wavefront6targetE1EEEvT1_
    .private_segment_fixed_size: 0
    .sgpr_count:     42
    .sgpr_spill_count: 0
    .symbol:         _ZN7rocprim17ROCPRIM_400000_NS6detail17trampoline_kernelINS0_14default_configENS1_35adjacent_difference_config_selectorILb0ElEEZNS1_24adjacent_difference_implIS3_Lb0ELb0EPlS7_ZN2at6native12_GLOBAL__N_124unique_dim_cuda_templateIlEESt5tupleIJNS8_6TensorESD_SD_EERKSD_lbbbEUlllE1_EE10hipError_tPvRmT2_T3_mT4_P12ihipStream_tbEUlT_E_NS1_11comp_targetILNS1_3genE4ELNS1_11target_archE910ELNS1_3gpuE8ELNS1_3repE0EEENS1_30default_config_static_selectorELNS0_4arch9wavefront6targetE1EEEvT1_.kd
    .uniform_work_group_size: 1
    .uses_dynamic_stack: false
    .vgpr_count:     20
    .vgpr_spill_count: 0
    .wavefront_size: 64
  - .agpr_count:     0
    .args:
      - .offset:         0
        .size:           64
        .value_kind:     by_value
    .group_segment_fixed_size: 0
    .kernarg_segment_align: 8
    .kernarg_segment_size: 64
    .language:       OpenCL C
    .language_version:
      - 2
      - 0
    .max_flat_workgroup_size: 128
    .name:           _ZN7rocprim17ROCPRIM_400000_NS6detail17trampoline_kernelINS0_14default_configENS1_35adjacent_difference_config_selectorILb0ElEEZNS1_24adjacent_difference_implIS3_Lb0ELb0EPlS7_ZN2at6native12_GLOBAL__N_124unique_dim_cuda_templateIlEESt5tupleIJNS8_6TensorESD_SD_EERKSD_lbbbEUlllE1_EE10hipError_tPvRmT2_T3_mT4_P12ihipStream_tbEUlT_E_NS1_11comp_targetILNS1_3genE3ELNS1_11target_archE908ELNS1_3gpuE7ELNS1_3repE0EEENS1_30default_config_static_selectorELNS0_4arch9wavefront6targetE1EEEvT1_
    .private_segment_fixed_size: 0
    .sgpr_count:     4
    .sgpr_spill_count: 0
    .symbol:         _ZN7rocprim17ROCPRIM_400000_NS6detail17trampoline_kernelINS0_14default_configENS1_35adjacent_difference_config_selectorILb0ElEEZNS1_24adjacent_difference_implIS3_Lb0ELb0EPlS7_ZN2at6native12_GLOBAL__N_124unique_dim_cuda_templateIlEESt5tupleIJNS8_6TensorESD_SD_EERKSD_lbbbEUlllE1_EE10hipError_tPvRmT2_T3_mT4_P12ihipStream_tbEUlT_E_NS1_11comp_targetILNS1_3genE3ELNS1_11target_archE908ELNS1_3gpuE7ELNS1_3repE0EEENS1_30default_config_static_selectorELNS0_4arch9wavefront6targetE1EEEvT1_.kd
    .uniform_work_group_size: 1
    .uses_dynamic_stack: false
    .vgpr_count:     0
    .vgpr_spill_count: 0
    .wavefront_size: 64
  - .agpr_count:     0
    .args:
      - .offset:         0
        .size:           64
        .value_kind:     by_value
    .group_segment_fixed_size: 0
    .kernarg_segment_align: 8
    .kernarg_segment_size: 64
    .language:       OpenCL C
    .language_version:
      - 2
      - 0
    .max_flat_workgroup_size: 128
    .name:           _ZN7rocprim17ROCPRIM_400000_NS6detail17trampoline_kernelINS0_14default_configENS1_35adjacent_difference_config_selectorILb0ElEEZNS1_24adjacent_difference_implIS3_Lb0ELb0EPlS7_ZN2at6native12_GLOBAL__N_124unique_dim_cuda_templateIlEESt5tupleIJNS8_6TensorESD_SD_EERKSD_lbbbEUlllE1_EE10hipError_tPvRmT2_T3_mT4_P12ihipStream_tbEUlT_E_NS1_11comp_targetILNS1_3genE2ELNS1_11target_archE906ELNS1_3gpuE6ELNS1_3repE0EEENS1_30default_config_static_selectorELNS0_4arch9wavefront6targetE1EEEvT1_
    .private_segment_fixed_size: 0
    .sgpr_count:     4
    .sgpr_spill_count: 0
    .symbol:         _ZN7rocprim17ROCPRIM_400000_NS6detail17trampoline_kernelINS0_14default_configENS1_35adjacent_difference_config_selectorILb0ElEEZNS1_24adjacent_difference_implIS3_Lb0ELb0EPlS7_ZN2at6native12_GLOBAL__N_124unique_dim_cuda_templateIlEESt5tupleIJNS8_6TensorESD_SD_EERKSD_lbbbEUlllE1_EE10hipError_tPvRmT2_T3_mT4_P12ihipStream_tbEUlT_E_NS1_11comp_targetILNS1_3genE2ELNS1_11target_archE906ELNS1_3gpuE6ELNS1_3repE0EEENS1_30default_config_static_selectorELNS0_4arch9wavefront6targetE1EEEvT1_.kd
    .uniform_work_group_size: 1
    .uses_dynamic_stack: false
    .vgpr_count:     0
    .vgpr_spill_count: 0
    .wavefront_size: 64
  - .agpr_count:     0
    .args:
      - .offset:         0
        .size:           64
        .value_kind:     by_value
    .group_segment_fixed_size: 0
    .kernarg_segment_align: 8
    .kernarg_segment_size: 64
    .language:       OpenCL C
    .language_version:
      - 2
      - 0
    .max_flat_workgroup_size: 512
    .name:           _ZN7rocprim17ROCPRIM_400000_NS6detail17trampoline_kernelINS0_14default_configENS1_35adjacent_difference_config_selectorILb0ElEEZNS1_24adjacent_difference_implIS3_Lb0ELb0EPlS7_ZN2at6native12_GLOBAL__N_124unique_dim_cuda_templateIlEESt5tupleIJNS8_6TensorESD_SD_EERKSD_lbbbEUlllE1_EE10hipError_tPvRmT2_T3_mT4_P12ihipStream_tbEUlT_E_NS1_11comp_targetILNS1_3genE9ELNS1_11target_archE1100ELNS1_3gpuE3ELNS1_3repE0EEENS1_30default_config_static_selectorELNS0_4arch9wavefront6targetE1EEEvT1_
    .private_segment_fixed_size: 0
    .sgpr_count:     4
    .sgpr_spill_count: 0
    .symbol:         _ZN7rocprim17ROCPRIM_400000_NS6detail17trampoline_kernelINS0_14default_configENS1_35adjacent_difference_config_selectorILb0ElEEZNS1_24adjacent_difference_implIS3_Lb0ELb0EPlS7_ZN2at6native12_GLOBAL__N_124unique_dim_cuda_templateIlEESt5tupleIJNS8_6TensorESD_SD_EERKSD_lbbbEUlllE1_EE10hipError_tPvRmT2_T3_mT4_P12ihipStream_tbEUlT_E_NS1_11comp_targetILNS1_3genE9ELNS1_11target_archE1100ELNS1_3gpuE3ELNS1_3repE0EEENS1_30default_config_static_selectorELNS0_4arch9wavefront6targetE1EEEvT1_.kd
    .uniform_work_group_size: 1
    .uses_dynamic_stack: false
    .vgpr_count:     0
    .vgpr_spill_count: 0
    .wavefront_size: 64
  - .agpr_count:     0
    .args:
      - .offset:         0
        .size:           64
        .value_kind:     by_value
    .group_segment_fixed_size: 0
    .kernarg_segment_align: 8
    .kernarg_segment_size: 64
    .language:       OpenCL C
    .language_version:
      - 2
      - 0
    .max_flat_workgroup_size: 1024
    .name:           _ZN7rocprim17ROCPRIM_400000_NS6detail17trampoline_kernelINS0_14default_configENS1_35adjacent_difference_config_selectorILb0ElEEZNS1_24adjacent_difference_implIS3_Lb0ELb0EPlS7_ZN2at6native12_GLOBAL__N_124unique_dim_cuda_templateIlEESt5tupleIJNS8_6TensorESD_SD_EERKSD_lbbbEUlllE1_EE10hipError_tPvRmT2_T3_mT4_P12ihipStream_tbEUlT_E_NS1_11comp_targetILNS1_3genE8ELNS1_11target_archE1030ELNS1_3gpuE2ELNS1_3repE0EEENS1_30default_config_static_selectorELNS0_4arch9wavefront6targetE1EEEvT1_
    .private_segment_fixed_size: 0
    .sgpr_count:     4
    .sgpr_spill_count: 0
    .symbol:         _ZN7rocprim17ROCPRIM_400000_NS6detail17trampoline_kernelINS0_14default_configENS1_35adjacent_difference_config_selectorILb0ElEEZNS1_24adjacent_difference_implIS3_Lb0ELb0EPlS7_ZN2at6native12_GLOBAL__N_124unique_dim_cuda_templateIlEESt5tupleIJNS8_6TensorESD_SD_EERKSD_lbbbEUlllE1_EE10hipError_tPvRmT2_T3_mT4_P12ihipStream_tbEUlT_E_NS1_11comp_targetILNS1_3genE8ELNS1_11target_archE1030ELNS1_3gpuE2ELNS1_3repE0EEENS1_30default_config_static_selectorELNS0_4arch9wavefront6targetE1EEEvT1_.kd
    .uniform_work_group_size: 1
    .uses_dynamic_stack: false
    .vgpr_count:     0
    .vgpr_spill_count: 0
    .wavefront_size: 64
  - .agpr_count:     0
    .args:
      - .offset:         0
        .size:           56
        .value_kind:     by_value
    .group_segment_fixed_size: 0
    .kernarg_segment_align: 8
    .kernarg_segment_size: 56
    .language:       OpenCL C
    .language_version:
      - 2
      - 0
    .max_flat_workgroup_size: 128
    .name:           _ZN7rocprim17ROCPRIM_400000_NS6detail17trampoline_kernelINS0_14default_configENS1_25transform_config_selectorIlLb0EEEZNS1_14transform_implILb0ES3_S5_NS0_18transform_iteratorINS0_17counting_iteratorImlEEZNS1_24adjacent_difference_implIS3_Lb1ELb0EPlSB_ZN2at6native12_GLOBAL__N_124unique_dim_cuda_templateIlEESt5tupleIJNSC_6TensorESH_SH_EERKSH_lbbbEUlllE1_EE10hipError_tPvRmT2_T3_mT4_P12ihipStream_tbEUlmE_lEESB_NS0_8identityIvEEEESM_SP_SQ_mSR_ST_bEUlT_E_NS1_11comp_targetILNS1_3genE0ELNS1_11target_archE4294967295ELNS1_3gpuE0ELNS1_3repE0EEENS1_30default_config_static_selectorELNS0_4arch9wavefront6targetE1EEEvT1_
    .private_segment_fixed_size: 0
    .sgpr_count:     4
    .sgpr_spill_count: 0
    .symbol:         _ZN7rocprim17ROCPRIM_400000_NS6detail17trampoline_kernelINS0_14default_configENS1_25transform_config_selectorIlLb0EEEZNS1_14transform_implILb0ES3_S5_NS0_18transform_iteratorINS0_17counting_iteratorImlEEZNS1_24adjacent_difference_implIS3_Lb1ELb0EPlSB_ZN2at6native12_GLOBAL__N_124unique_dim_cuda_templateIlEESt5tupleIJNSC_6TensorESH_SH_EERKSH_lbbbEUlllE1_EE10hipError_tPvRmT2_T3_mT4_P12ihipStream_tbEUlmE_lEESB_NS0_8identityIvEEEESM_SP_SQ_mSR_ST_bEUlT_E_NS1_11comp_targetILNS1_3genE0ELNS1_11target_archE4294967295ELNS1_3gpuE0ELNS1_3repE0EEENS1_30default_config_static_selectorELNS0_4arch9wavefront6targetE1EEEvT1_.kd
    .uniform_work_group_size: 1
    .uses_dynamic_stack: false
    .vgpr_count:     0
    .vgpr_spill_count: 0
    .wavefront_size: 64
  - .agpr_count:     0
    .args:
      - .offset:         0
        .size:           56
        .value_kind:     by_value
    .group_segment_fixed_size: 0
    .kernarg_segment_align: 8
    .kernarg_segment_size: 56
    .language:       OpenCL C
    .language_version:
      - 2
      - 0
    .max_flat_workgroup_size: 512
    .name:           _ZN7rocprim17ROCPRIM_400000_NS6detail17trampoline_kernelINS0_14default_configENS1_25transform_config_selectorIlLb0EEEZNS1_14transform_implILb0ES3_S5_NS0_18transform_iteratorINS0_17counting_iteratorImlEEZNS1_24adjacent_difference_implIS3_Lb1ELb0EPlSB_ZN2at6native12_GLOBAL__N_124unique_dim_cuda_templateIlEESt5tupleIJNSC_6TensorESH_SH_EERKSH_lbbbEUlllE1_EE10hipError_tPvRmT2_T3_mT4_P12ihipStream_tbEUlmE_lEESB_NS0_8identityIvEEEESM_SP_SQ_mSR_ST_bEUlT_E_NS1_11comp_targetILNS1_3genE5ELNS1_11target_archE942ELNS1_3gpuE9ELNS1_3repE0EEENS1_30default_config_static_selectorELNS0_4arch9wavefront6targetE1EEEvT1_
    .private_segment_fixed_size: 0
    .sgpr_count:     4
    .sgpr_spill_count: 0
    .symbol:         _ZN7rocprim17ROCPRIM_400000_NS6detail17trampoline_kernelINS0_14default_configENS1_25transform_config_selectorIlLb0EEEZNS1_14transform_implILb0ES3_S5_NS0_18transform_iteratorINS0_17counting_iteratorImlEEZNS1_24adjacent_difference_implIS3_Lb1ELb0EPlSB_ZN2at6native12_GLOBAL__N_124unique_dim_cuda_templateIlEESt5tupleIJNSC_6TensorESH_SH_EERKSH_lbbbEUlllE1_EE10hipError_tPvRmT2_T3_mT4_P12ihipStream_tbEUlmE_lEESB_NS0_8identityIvEEEESM_SP_SQ_mSR_ST_bEUlT_E_NS1_11comp_targetILNS1_3genE5ELNS1_11target_archE942ELNS1_3gpuE9ELNS1_3repE0EEENS1_30default_config_static_selectorELNS0_4arch9wavefront6targetE1EEEvT1_.kd
    .uniform_work_group_size: 1
    .uses_dynamic_stack: false
    .vgpr_count:     0
    .vgpr_spill_count: 0
    .wavefront_size: 64
  - .agpr_count:     0
    .args:
      - .offset:         0
        .size:           56
        .value_kind:     by_value
      - .offset:         56
        .size:           4
        .value_kind:     hidden_block_count_x
      - .offset:         60
        .size:           4
        .value_kind:     hidden_block_count_y
      - .offset:         64
        .size:           4
        .value_kind:     hidden_block_count_z
      - .offset:         68
        .size:           2
        .value_kind:     hidden_group_size_x
      - .offset:         70
        .size:           2
        .value_kind:     hidden_group_size_y
      - .offset:         72
        .size:           2
        .value_kind:     hidden_group_size_z
      - .offset:         74
        .size:           2
        .value_kind:     hidden_remainder_x
      - .offset:         76
        .size:           2
        .value_kind:     hidden_remainder_y
      - .offset:         78
        .size:           2
        .value_kind:     hidden_remainder_z
      - .offset:         96
        .size:           8
        .value_kind:     hidden_global_offset_x
      - .offset:         104
        .size:           8
        .value_kind:     hidden_global_offset_y
      - .offset:         112
        .size:           8
        .value_kind:     hidden_global_offset_z
      - .offset:         120
        .size:           2
        .value_kind:     hidden_grid_dims
    .group_segment_fixed_size: 0
    .kernarg_segment_align: 8
    .kernarg_segment_size: 312
    .language:       OpenCL C
    .language_version:
      - 2
      - 0
    .max_flat_workgroup_size: 256
    .name:           _ZN7rocprim17ROCPRIM_400000_NS6detail17trampoline_kernelINS0_14default_configENS1_25transform_config_selectorIlLb0EEEZNS1_14transform_implILb0ES3_S5_NS0_18transform_iteratorINS0_17counting_iteratorImlEEZNS1_24adjacent_difference_implIS3_Lb1ELb0EPlSB_ZN2at6native12_GLOBAL__N_124unique_dim_cuda_templateIlEESt5tupleIJNSC_6TensorESH_SH_EERKSH_lbbbEUlllE1_EE10hipError_tPvRmT2_T3_mT4_P12ihipStream_tbEUlmE_lEESB_NS0_8identityIvEEEESM_SP_SQ_mSR_ST_bEUlT_E_NS1_11comp_targetILNS1_3genE4ELNS1_11target_archE910ELNS1_3gpuE8ELNS1_3repE0EEENS1_30default_config_static_selectorELNS0_4arch9wavefront6targetE1EEEvT1_
    .private_segment_fixed_size: 0
    .sgpr_count:     22
    .sgpr_spill_count: 0
    .symbol:         _ZN7rocprim17ROCPRIM_400000_NS6detail17trampoline_kernelINS0_14default_configENS1_25transform_config_selectorIlLb0EEEZNS1_14transform_implILb0ES3_S5_NS0_18transform_iteratorINS0_17counting_iteratorImlEEZNS1_24adjacent_difference_implIS3_Lb1ELb0EPlSB_ZN2at6native12_GLOBAL__N_124unique_dim_cuda_templateIlEESt5tupleIJNSC_6TensorESH_SH_EERKSH_lbbbEUlllE1_EE10hipError_tPvRmT2_T3_mT4_P12ihipStream_tbEUlmE_lEESB_NS0_8identityIvEEEESM_SP_SQ_mSR_ST_bEUlT_E_NS1_11comp_targetILNS1_3genE4ELNS1_11target_archE910ELNS1_3gpuE8ELNS1_3repE0EEENS1_30default_config_static_selectorELNS0_4arch9wavefront6targetE1EEEvT1_.kd
    .uniform_work_group_size: 1
    .uses_dynamic_stack: false
    .vgpr_count:     10
    .vgpr_spill_count: 0
    .wavefront_size: 64
  - .agpr_count:     0
    .args:
      - .offset:         0
        .size:           56
        .value_kind:     by_value
    .group_segment_fixed_size: 0
    .kernarg_segment_align: 8
    .kernarg_segment_size: 56
    .language:       OpenCL C
    .language_version:
      - 2
      - 0
    .max_flat_workgroup_size: 128
    .name:           _ZN7rocprim17ROCPRIM_400000_NS6detail17trampoline_kernelINS0_14default_configENS1_25transform_config_selectorIlLb0EEEZNS1_14transform_implILb0ES3_S5_NS0_18transform_iteratorINS0_17counting_iteratorImlEEZNS1_24adjacent_difference_implIS3_Lb1ELb0EPlSB_ZN2at6native12_GLOBAL__N_124unique_dim_cuda_templateIlEESt5tupleIJNSC_6TensorESH_SH_EERKSH_lbbbEUlllE1_EE10hipError_tPvRmT2_T3_mT4_P12ihipStream_tbEUlmE_lEESB_NS0_8identityIvEEEESM_SP_SQ_mSR_ST_bEUlT_E_NS1_11comp_targetILNS1_3genE3ELNS1_11target_archE908ELNS1_3gpuE7ELNS1_3repE0EEENS1_30default_config_static_selectorELNS0_4arch9wavefront6targetE1EEEvT1_
    .private_segment_fixed_size: 0
    .sgpr_count:     4
    .sgpr_spill_count: 0
    .symbol:         _ZN7rocprim17ROCPRIM_400000_NS6detail17trampoline_kernelINS0_14default_configENS1_25transform_config_selectorIlLb0EEEZNS1_14transform_implILb0ES3_S5_NS0_18transform_iteratorINS0_17counting_iteratorImlEEZNS1_24adjacent_difference_implIS3_Lb1ELb0EPlSB_ZN2at6native12_GLOBAL__N_124unique_dim_cuda_templateIlEESt5tupleIJNSC_6TensorESH_SH_EERKSH_lbbbEUlllE1_EE10hipError_tPvRmT2_T3_mT4_P12ihipStream_tbEUlmE_lEESB_NS0_8identityIvEEEESM_SP_SQ_mSR_ST_bEUlT_E_NS1_11comp_targetILNS1_3genE3ELNS1_11target_archE908ELNS1_3gpuE7ELNS1_3repE0EEENS1_30default_config_static_selectorELNS0_4arch9wavefront6targetE1EEEvT1_.kd
    .uniform_work_group_size: 1
    .uses_dynamic_stack: false
    .vgpr_count:     0
    .vgpr_spill_count: 0
    .wavefront_size: 64
  - .agpr_count:     0
    .args:
      - .offset:         0
        .size:           56
        .value_kind:     by_value
    .group_segment_fixed_size: 0
    .kernarg_segment_align: 8
    .kernarg_segment_size: 56
    .language:       OpenCL C
    .language_version:
      - 2
      - 0
    .max_flat_workgroup_size: 512
    .name:           _ZN7rocprim17ROCPRIM_400000_NS6detail17trampoline_kernelINS0_14default_configENS1_25transform_config_selectorIlLb0EEEZNS1_14transform_implILb0ES3_S5_NS0_18transform_iteratorINS0_17counting_iteratorImlEEZNS1_24adjacent_difference_implIS3_Lb1ELb0EPlSB_ZN2at6native12_GLOBAL__N_124unique_dim_cuda_templateIlEESt5tupleIJNSC_6TensorESH_SH_EERKSH_lbbbEUlllE1_EE10hipError_tPvRmT2_T3_mT4_P12ihipStream_tbEUlmE_lEESB_NS0_8identityIvEEEESM_SP_SQ_mSR_ST_bEUlT_E_NS1_11comp_targetILNS1_3genE2ELNS1_11target_archE906ELNS1_3gpuE6ELNS1_3repE0EEENS1_30default_config_static_selectorELNS0_4arch9wavefront6targetE1EEEvT1_
    .private_segment_fixed_size: 0
    .sgpr_count:     4
    .sgpr_spill_count: 0
    .symbol:         _ZN7rocprim17ROCPRIM_400000_NS6detail17trampoline_kernelINS0_14default_configENS1_25transform_config_selectorIlLb0EEEZNS1_14transform_implILb0ES3_S5_NS0_18transform_iteratorINS0_17counting_iteratorImlEEZNS1_24adjacent_difference_implIS3_Lb1ELb0EPlSB_ZN2at6native12_GLOBAL__N_124unique_dim_cuda_templateIlEESt5tupleIJNSC_6TensorESH_SH_EERKSH_lbbbEUlllE1_EE10hipError_tPvRmT2_T3_mT4_P12ihipStream_tbEUlmE_lEESB_NS0_8identityIvEEEESM_SP_SQ_mSR_ST_bEUlT_E_NS1_11comp_targetILNS1_3genE2ELNS1_11target_archE906ELNS1_3gpuE6ELNS1_3repE0EEENS1_30default_config_static_selectorELNS0_4arch9wavefront6targetE1EEEvT1_.kd
    .uniform_work_group_size: 1
    .uses_dynamic_stack: false
    .vgpr_count:     0
    .vgpr_spill_count: 0
    .wavefront_size: 64
  - .agpr_count:     0
    .args:
      - .offset:         0
        .size:           56
        .value_kind:     by_value
    .group_segment_fixed_size: 0
    .kernarg_segment_align: 8
    .kernarg_segment_size: 56
    .language:       OpenCL C
    .language_version:
      - 2
      - 0
    .max_flat_workgroup_size: 1024
    .name:           _ZN7rocprim17ROCPRIM_400000_NS6detail17trampoline_kernelINS0_14default_configENS1_25transform_config_selectorIlLb0EEEZNS1_14transform_implILb0ES3_S5_NS0_18transform_iteratorINS0_17counting_iteratorImlEEZNS1_24adjacent_difference_implIS3_Lb1ELb0EPlSB_ZN2at6native12_GLOBAL__N_124unique_dim_cuda_templateIlEESt5tupleIJNSC_6TensorESH_SH_EERKSH_lbbbEUlllE1_EE10hipError_tPvRmT2_T3_mT4_P12ihipStream_tbEUlmE_lEESB_NS0_8identityIvEEEESM_SP_SQ_mSR_ST_bEUlT_E_NS1_11comp_targetILNS1_3genE10ELNS1_11target_archE1201ELNS1_3gpuE5ELNS1_3repE0EEENS1_30default_config_static_selectorELNS0_4arch9wavefront6targetE1EEEvT1_
    .private_segment_fixed_size: 0
    .sgpr_count:     4
    .sgpr_spill_count: 0
    .symbol:         _ZN7rocprim17ROCPRIM_400000_NS6detail17trampoline_kernelINS0_14default_configENS1_25transform_config_selectorIlLb0EEEZNS1_14transform_implILb0ES3_S5_NS0_18transform_iteratorINS0_17counting_iteratorImlEEZNS1_24adjacent_difference_implIS3_Lb1ELb0EPlSB_ZN2at6native12_GLOBAL__N_124unique_dim_cuda_templateIlEESt5tupleIJNSC_6TensorESH_SH_EERKSH_lbbbEUlllE1_EE10hipError_tPvRmT2_T3_mT4_P12ihipStream_tbEUlmE_lEESB_NS0_8identityIvEEEESM_SP_SQ_mSR_ST_bEUlT_E_NS1_11comp_targetILNS1_3genE10ELNS1_11target_archE1201ELNS1_3gpuE5ELNS1_3repE0EEENS1_30default_config_static_selectorELNS0_4arch9wavefront6targetE1EEEvT1_.kd
    .uniform_work_group_size: 1
    .uses_dynamic_stack: false
    .vgpr_count:     0
    .vgpr_spill_count: 0
    .wavefront_size: 64
  - .agpr_count:     0
    .args:
      - .offset:         0
        .size:           56
        .value_kind:     by_value
    .group_segment_fixed_size: 0
    .kernarg_segment_align: 8
    .kernarg_segment_size: 56
    .language:       OpenCL C
    .language_version:
      - 2
      - 0
    .max_flat_workgroup_size: 512
    .name:           _ZN7rocprim17ROCPRIM_400000_NS6detail17trampoline_kernelINS0_14default_configENS1_25transform_config_selectorIlLb0EEEZNS1_14transform_implILb0ES3_S5_NS0_18transform_iteratorINS0_17counting_iteratorImlEEZNS1_24adjacent_difference_implIS3_Lb1ELb0EPlSB_ZN2at6native12_GLOBAL__N_124unique_dim_cuda_templateIlEESt5tupleIJNSC_6TensorESH_SH_EERKSH_lbbbEUlllE1_EE10hipError_tPvRmT2_T3_mT4_P12ihipStream_tbEUlmE_lEESB_NS0_8identityIvEEEESM_SP_SQ_mSR_ST_bEUlT_E_NS1_11comp_targetILNS1_3genE10ELNS1_11target_archE1200ELNS1_3gpuE4ELNS1_3repE0EEENS1_30default_config_static_selectorELNS0_4arch9wavefront6targetE1EEEvT1_
    .private_segment_fixed_size: 0
    .sgpr_count:     4
    .sgpr_spill_count: 0
    .symbol:         _ZN7rocprim17ROCPRIM_400000_NS6detail17trampoline_kernelINS0_14default_configENS1_25transform_config_selectorIlLb0EEEZNS1_14transform_implILb0ES3_S5_NS0_18transform_iteratorINS0_17counting_iteratorImlEEZNS1_24adjacent_difference_implIS3_Lb1ELb0EPlSB_ZN2at6native12_GLOBAL__N_124unique_dim_cuda_templateIlEESt5tupleIJNSC_6TensorESH_SH_EERKSH_lbbbEUlllE1_EE10hipError_tPvRmT2_T3_mT4_P12ihipStream_tbEUlmE_lEESB_NS0_8identityIvEEEESM_SP_SQ_mSR_ST_bEUlT_E_NS1_11comp_targetILNS1_3genE10ELNS1_11target_archE1200ELNS1_3gpuE4ELNS1_3repE0EEENS1_30default_config_static_selectorELNS0_4arch9wavefront6targetE1EEEvT1_.kd
    .uniform_work_group_size: 1
    .uses_dynamic_stack: false
    .vgpr_count:     0
    .vgpr_spill_count: 0
    .wavefront_size: 64
  - .agpr_count:     0
    .args:
      - .offset:         0
        .size:           56
        .value_kind:     by_value
    .group_segment_fixed_size: 0
    .kernarg_segment_align: 8
    .kernarg_segment_size: 56
    .language:       OpenCL C
    .language_version:
      - 2
      - 0
    .max_flat_workgroup_size: 512
    .name:           _ZN7rocprim17ROCPRIM_400000_NS6detail17trampoline_kernelINS0_14default_configENS1_25transform_config_selectorIlLb0EEEZNS1_14transform_implILb0ES3_S5_NS0_18transform_iteratorINS0_17counting_iteratorImlEEZNS1_24adjacent_difference_implIS3_Lb1ELb0EPlSB_ZN2at6native12_GLOBAL__N_124unique_dim_cuda_templateIlEESt5tupleIJNSC_6TensorESH_SH_EERKSH_lbbbEUlllE1_EE10hipError_tPvRmT2_T3_mT4_P12ihipStream_tbEUlmE_lEESB_NS0_8identityIvEEEESM_SP_SQ_mSR_ST_bEUlT_E_NS1_11comp_targetILNS1_3genE9ELNS1_11target_archE1100ELNS1_3gpuE3ELNS1_3repE0EEENS1_30default_config_static_selectorELNS0_4arch9wavefront6targetE1EEEvT1_
    .private_segment_fixed_size: 0
    .sgpr_count:     4
    .sgpr_spill_count: 0
    .symbol:         _ZN7rocprim17ROCPRIM_400000_NS6detail17trampoline_kernelINS0_14default_configENS1_25transform_config_selectorIlLb0EEEZNS1_14transform_implILb0ES3_S5_NS0_18transform_iteratorINS0_17counting_iteratorImlEEZNS1_24adjacent_difference_implIS3_Lb1ELb0EPlSB_ZN2at6native12_GLOBAL__N_124unique_dim_cuda_templateIlEESt5tupleIJNSC_6TensorESH_SH_EERKSH_lbbbEUlllE1_EE10hipError_tPvRmT2_T3_mT4_P12ihipStream_tbEUlmE_lEESB_NS0_8identityIvEEEESM_SP_SQ_mSR_ST_bEUlT_E_NS1_11comp_targetILNS1_3genE9ELNS1_11target_archE1100ELNS1_3gpuE3ELNS1_3repE0EEENS1_30default_config_static_selectorELNS0_4arch9wavefront6targetE1EEEvT1_.kd
    .uniform_work_group_size: 1
    .uses_dynamic_stack: false
    .vgpr_count:     0
    .vgpr_spill_count: 0
    .wavefront_size: 64
  - .agpr_count:     0
    .args:
      - .offset:         0
        .size:           56
        .value_kind:     by_value
    .group_segment_fixed_size: 0
    .kernarg_segment_align: 8
    .kernarg_segment_size: 56
    .language:       OpenCL C
    .language_version:
      - 2
      - 0
    .max_flat_workgroup_size: 512
    .name:           _ZN7rocprim17ROCPRIM_400000_NS6detail17trampoline_kernelINS0_14default_configENS1_25transform_config_selectorIlLb0EEEZNS1_14transform_implILb0ES3_S5_NS0_18transform_iteratorINS0_17counting_iteratorImlEEZNS1_24adjacent_difference_implIS3_Lb1ELb0EPlSB_ZN2at6native12_GLOBAL__N_124unique_dim_cuda_templateIlEESt5tupleIJNSC_6TensorESH_SH_EERKSH_lbbbEUlllE1_EE10hipError_tPvRmT2_T3_mT4_P12ihipStream_tbEUlmE_lEESB_NS0_8identityIvEEEESM_SP_SQ_mSR_ST_bEUlT_E_NS1_11comp_targetILNS1_3genE8ELNS1_11target_archE1030ELNS1_3gpuE2ELNS1_3repE0EEENS1_30default_config_static_selectorELNS0_4arch9wavefront6targetE1EEEvT1_
    .private_segment_fixed_size: 0
    .sgpr_count:     4
    .sgpr_spill_count: 0
    .symbol:         _ZN7rocprim17ROCPRIM_400000_NS6detail17trampoline_kernelINS0_14default_configENS1_25transform_config_selectorIlLb0EEEZNS1_14transform_implILb0ES3_S5_NS0_18transform_iteratorINS0_17counting_iteratorImlEEZNS1_24adjacent_difference_implIS3_Lb1ELb0EPlSB_ZN2at6native12_GLOBAL__N_124unique_dim_cuda_templateIlEESt5tupleIJNSC_6TensorESH_SH_EERKSH_lbbbEUlllE1_EE10hipError_tPvRmT2_T3_mT4_P12ihipStream_tbEUlmE_lEESB_NS0_8identityIvEEEESM_SP_SQ_mSR_ST_bEUlT_E_NS1_11comp_targetILNS1_3genE8ELNS1_11target_archE1030ELNS1_3gpuE2ELNS1_3repE0EEENS1_30default_config_static_selectorELNS0_4arch9wavefront6targetE1EEEvT1_.kd
    .uniform_work_group_size: 1
    .uses_dynamic_stack: false
    .vgpr_count:     0
    .vgpr_spill_count: 0
    .wavefront_size: 64
  - .agpr_count:     0
    .args:
      - .offset:         0
        .size:           64
        .value_kind:     by_value
    .group_segment_fixed_size: 0
    .kernarg_segment_align: 8
    .kernarg_segment_size: 64
    .language:       OpenCL C
    .language_version:
      - 2
      - 0
    .max_flat_workgroup_size: 512
    .name:           _ZN7rocprim17ROCPRIM_400000_NS6detail17trampoline_kernelINS0_14default_configENS1_35adjacent_difference_config_selectorILb1ElEEZNS1_24adjacent_difference_implIS3_Lb1ELb0EPlS7_ZN2at6native12_GLOBAL__N_124unique_dim_cuda_templateIlEESt5tupleIJNS8_6TensorESD_SD_EERKSD_lbbbEUlllE1_EE10hipError_tPvRmT2_T3_mT4_P12ihipStream_tbEUlT_E_NS1_11comp_targetILNS1_3genE0ELNS1_11target_archE4294967295ELNS1_3gpuE0ELNS1_3repE0EEENS1_30default_config_static_selectorELNS0_4arch9wavefront6targetE1EEEvT1_
    .private_segment_fixed_size: 0
    .sgpr_count:     4
    .sgpr_spill_count: 0
    .symbol:         _ZN7rocprim17ROCPRIM_400000_NS6detail17trampoline_kernelINS0_14default_configENS1_35adjacent_difference_config_selectorILb1ElEEZNS1_24adjacent_difference_implIS3_Lb1ELb0EPlS7_ZN2at6native12_GLOBAL__N_124unique_dim_cuda_templateIlEESt5tupleIJNS8_6TensorESD_SD_EERKSD_lbbbEUlllE1_EE10hipError_tPvRmT2_T3_mT4_P12ihipStream_tbEUlT_E_NS1_11comp_targetILNS1_3genE0ELNS1_11target_archE4294967295ELNS1_3gpuE0ELNS1_3repE0EEENS1_30default_config_static_selectorELNS0_4arch9wavefront6targetE1EEEvT1_.kd
    .uniform_work_group_size: 1
    .uses_dynamic_stack: false
    .vgpr_count:     0
    .vgpr_spill_count: 0
    .wavefront_size: 64
  - .agpr_count:     0
    .args:
      - .offset:         0
        .size:           64
        .value_kind:     by_value
    .group_segment_fixed_size: 0
    .kernarg_segment_align: 8
    .kernarg_segment_size: 64
    .language:       OpenCL C
    .language_version:
      - 2
      - 0
    .max_flat_workgroup_size: 32
    .name:           _ZN7rocprim17ROCPRIM_400000_NS6detail17trampoline_kernelINS0_14default_configENS1_35adjacent_difference_config_selectorILb1ElEEZNS1_24adjacent_difference_implIS3_Lb1ELb0EPlS7_ZN2at6native12_GLOBAL__N_124unique_dim_cuda_templateIlEESt5tupleIJNS8_6TensorESD_SD_EERKSD_lbbbEUlllE1_EE10hipError_tPvRmT2_T3_mT4_P12ihipStream_tbEUlT_E_NS1_11comp_targetILNS1_3genE10ELNS1_11target_archE1201ELNS1_3gpuE5ELNS1_3repE0EEENS1_30default_config_static_selectorELNS0_4arch9wavefront6targetE1EEEvT1_
    .private_segment_fixed_size: 0
    .sgpr_count:     4
    .sgpr_spill_count: 0
    .symbol:         _ZN7rocprim17ROCPRIM_400000_NS6detail17trampoline_kernelINS0_14default_configENS1_35adjacent_difference_config_selectorILb1ElEEZNS1_24adjacent_difference_implIS3_Lb1ELb0EPlS7_ZN2at6native12_GLOBAL__N_124unique_dim_cuda_templateIlEESt5tupleIJNS8_6TensorESD_SD_EERKSD_lbbbEUlllE1_EE10hipError_tPvRmT2_T3_mT4_P12ihipStream_tbEUlT_E_NS1_11comp_targetILNS1_3genE10ELNS1_11target_archE1201ELNS1_3gpuE5ELNS1_3repE0EEENS1_30default_config_static_selectorELNS0_4arch9wavefront6targetE1EEEvT1_.kd
    .uniform_work_group_size: 1
    .uses_dynamic_stack: false
    .vgpr_count:     0
    .vgpr_spill_count: 0
    .wavefront_size: 64
  - .agpr_count:     0
    .args:
      - .offset:         0
        .size:           64
        .value_kind:     by_value
    .group_segment_fixed_size: 0
    .kernarg_segment_align: 8
    .kernarg_segment_size: 64
    .language:       OpenCL C
    .language_version:
      - 2
      - 0
    .max_flat_workgroup_size: 256
    .name:           _ZN7rocprim17ROCPRIM_400000_NS6detail17trampoline_kernelINS0_14default_configENS1_35adjacent_difference_config_selectorILb1ElEEZNS1_24adjacent_difference_implIS3_Lb1ELb0EPlS7_ZN2at6native12_GLOBAL__N_124unique_dim_cuda_templateIlEESt5tupleIJNS8_6TensorESD_SD_EERKSD_lbbbEUlllE1_EE10hipError_tPvRmT2_T3_mT4_P12ihipStream_tbEUlT_E_NS1_11comp_targetILNS1_3genE5ELNS1_11target_archE942ELNS1_3gpuE9ELNS1_3repE0EEENS1_30default_config_static_selectorELNS0_4arch9wavefront6targetE1EEEvT1_
    .private_segment_fixed_size: 0
    .sgpr_count:     4
    .sgpr_spill_count: 0
    .symbol:         _ZN7rocprim17ROCPRIM_400000_NS6detail17trampoline_kernelINS0_14default_configENS1_35adjacent_difference_config_selectorILb1ElEEZNS1_24adjacent_difference_implIS3_Lb1ELb0EPlS7_ZN2at6native12_GLOBAL__N_124unique_dim_cuda_templateIlEESt5tupleIJNS8_6TensorESD_SD_EERKSD_lbbbEUlllE1_EE10hipError_tPvRmT2_T3_mT4_P12ihipStream_tbEUlT_E_NS1_11comp_targetILNS1_3genE5ELNS1_11target_archE942ELNS1_3gpuE9ELNS1_3repE0EEENS1_30default_config_static_selectorELNS0_4arch9wavefront6targetE1EEEvT1_.kd
    .uniform_work_group_size: 1
    .uses_dynamic_stack: false
    .vgpr_count:     0
    .vgpr_spill_count: 0
    .wavefront_size: 64
  - .agpr_count:     0
    .args:
      - .offset:         0
        .size:           64
        .value_kind:     by_value
    .group_segment_fixed_size: 8448
    .kernarg_segment_align: 8
    .kernarg_segment_size: 64
    .language:       OpenCL C
    .language_version:
      - 2
      - 0
    .max_flat_workgroup_size: 512
    .name:           _ZN7rocprim17ROCPRIM_400000_NS6detail17trampoline_kernelINS0_14default_configENS1_35adjacent_difference_config_selectorILb1ElEEZNS1_24adjacent_difference_implIS3_Lb1ELb0EPlS7_ZN2at6native12_GLOBAL__N_124unique_dim_cuda_templateIlEESt5tupleIJNS8_6TensorESD_SD_EERKSD_lbbbEUlllE1_EE10hipError_tPvRmT2_T3_mT4_P12ihipStream_tbEUlT_E_NS1_11comp_targetILNS1_3genE4ELNS1_11target_archE910ELNS1_3gpuE8ELNS1_3repE0EEENS1_30default_config_static_selectorELNS0_4arch9wavefront6targetE1EEEvT1_
    .private_segment_fixed_size: 0
    .sgpr_count:     42
    .sgpr_spill_count: 0
    .symbol:         _ZN7rocprim17ROCPRIM_400000_NS6detail17trampoline_kernelINS0_14default_configENS1_35adjacent_difference_config_selectorILb1ElEEZNS1_24adjacent_difference_implIS3_Lb1ELb0EPlS7_ZN2at6native12_GLOBAL__N_124unique_dim_cuda_templateIlEESt5tupleIJNS8_6TensorESD_SD_EERKSD_lbbbEUlllE1_EE10hipError_tPvRmT2_T3_mT4_P12ihipStream_tbEUlT_E_NS1_11comp_targetILNS1_3genE4ELNS1_11target_archE910ELNS1_3gpuE8ELNS1_3repE0EEENS1_30default_config_static_selectorELNS0_4arch9wavefront6targetE1EEEvT1_.kd
    .uniform_work_group_size: 1
    .uses_dynamic_stack: false
    .vgpr_count:     20
    .vgpr_spill_count: 0
    .wavefront_size: 64
  - .agpr_count:     0
    .args:
      - .offset:         0
        .size:           64
        .value_kind:     by_value
    .group_segment_fixed_size: 0
    .kernarg_segment_align: 8
    .kernarg_segment_size: 64
    .language:       OpenCL C
    .language_version:
      - 2
      - 0
    .max_flat_workgroup_size: 512
    .name:           _ZN7rocprim17ROCPRIM_400000_NS6detail17trampoline_kernelINS0_14default_configENS1_35adjacent_difference_config_selectorILb1ElEEZNS1_24adjacent_difference_implIS3_Lb1ELb0EPlS7_ZN2at6native12_GLOBAL__N_124unique_dim_cuda_templateIlEESt5tupleIJNS8_6TensorESD_SD_EERKSD_lbbbEUlllE1_EE10hipError_tPvRmT2_T3_mT4_P12ihipStream_tbEUlT_E_NS1_11comp_targetILNS1_3genE3ELNS1_11target_archE908ELNS1_3gpuE7ELNS1_3repE0EEENS1_30default_config_static_selectorELNS0_4arch9wavefront6targetE1EEEvT1_
    .private_segment_fixed_size: 0
    .sgpr_count:     4
    .sgpr_spill_count: 0
    .symbol:         _ZN7rocprim17ROCPRIM_400000_NS6detail17trampoline_kernelINS0_14default_configENS1_35adjacent_difference_config_selectorILb1ElEEZNS1_24adjacent_difference_implIS3_Lb1ELb0EPlS7_ZN2at6native12_GLOBAL__N_124unique_dim_cuda_templateIlEESt5tupleIJNS8_6TensorESD_SD_EERKSD_lbbbEUlllE1_EE10hipError_tPvRmT2_T3_mT4_P12ihipStream_tbEUlT_E_NS1_11comp_targetILNS1_3genE3ELNS1_11target_archE908ELNS1_3gpuE7ELNS1_3repE0EEENS1_30default_config_static_selectorELNS0_4arch9wavefront6targetE1EEEvT1_.kd
    .uniform_work_group_size: 1
    .uses_dynamic_stack: false
    .vgpr_count:     0
    .vgpr_spill_count: 0
    .wavefront_size: 64
  - .agpr_count:     0
    .args:
      - .offset:         0
        .size:           64
        .value_kind:     by_value
    .group_segment_fixed_size: 0
    .kernarg_segment_align: 8
    .kernarg_segment_size: 64
    .language:       OpenCL C
    .language_version:
      - 2
      - 0
    .max_flat_workgroup_size: 128
    .name:           _ZN7rocprim17ROCPRIM_400000_NS6detail17trampoline_kernelINS0_14default_configENS1_35adjacent_difference_config_selectorILb1ElEEZNS1_24adjacent_difference_implIS3_Lb1ELb0EPlS7_ZN2at6native12_GLOBAL__N_124unique_dim_cuda_templateIlEESt5tupleIJNS8_6TensorESD_SD_EERKSD_lbbbEUlllE1_EE10hipError_tPvRmT2_T3_mT4_P12ihipStream_tbEUlT_E_NS1_11comp_targetILNS1_3genE2ELNS1_11target_archE906ELNS1_3gpuE6ELNS1_3repE0EEENS1_30default_config_static_selectorELNS0_4arch9wavefront6targetE1EEEvT1_
    .private_segment_fixed_size: 0
    .sgpr_count:     4
    .sgpr_spill_count: 0
    .symbol:         _ZN7rocprim17ROCPRIM_400000_NS6detail17trampoline_kernelINS0_14default_configENS1_35adjacent_difference_config_selectorILb1ElEEZNS1_24adjacent_difference_implIS3_Lb1ELb0EPlS7_ZN2at6native12_GLOBAL__N_124unique_dim_cuda_templateIlEESt5tupleIJNS8_6TensorESD_SD_EERKSD_lbbbEUlllE1_EE10hipError_tPvRmT2_T3_mT4_P12ihipStream_tbEUlT_E_NS1_11comp_targetILNS1_3genE2ELNS1_11target_archE906ELNS1_3gpuE6ELNS1_3repE0EEENS1_30default_config_static_selectorELNS0_4arch9wavefront6targetE1EEEvT1_.kd
    .uniform_work_group_size: 1
    .uses_dynamic_stack: false
    .vgpr_count:     0
    .vgpr_spill_count: 0
    .wavefront_size: 64
  - .agpr_count:     0
    .args:
      - .offset:         0
        .size:           64
        .value_kind:     by_value
    .group_segment_fixed_size: 0
    .kernarg_segment_align: 8
    .kernarg_segment_size: 64
    .language:       OpenCL C
    .language_version:
      - 2
      - 0
    .max_flat_workgroup_size: 128
    .name:           _ZN7rocprim17ROCPRIM_400000_NS6detail17trampoline_kernelINS0_14default_configENS1_35adjacent_difference_config_selectorILb1ElEEZNS1_24adjacent_difference_implIS3_Lb1ELb0EPlS7_ZN2at6native12_GLOBAL__N_124unique_dim_cuda_templateIlEESt5tupleIJNS8_6TensorESD_SD_EERKSD_lbbbEUlllE1_EE10hipError_tPvRmT2_T3_mT4_P12ihipStream_tbEUlT_E_NS1_11comp_targetILNS1_3genE9ELNS1_11target_archE1100ELNS1_3gpuE3ELNS1_3repE0EEENS1_30default_config_static_selectorELNS0_4arch9wavefront6targetE1EEEvT1_
    .private_segment_fixed_size: 0
    .sgpr_count:     4
    .sgpr_spill_count: 0
    .symbol:         _ZN7rocprim17ROCPRIM_400000_NS6detail17trampoline_kernelINS0_14default_configENS1_35adjacent_difference_config_selectorILb1ElEEZNS1_24adjacent_difference_implIS3_Lb1ELb0EPlS7_ZN2at6native12_GLOBAL__N_124unique_dim_cuda_templateIlEESt5tupleIJNS8_6TensorESD_SD_EERKSD_lbbbEUlllE1_EE10hipError_tPvRmT2_T3_mT4_P12ihipStream_tbEUlT_E_NS1_11comp_targetILNS1_3genE9ELNS1_11target_archE1100ELNS1_3gpuE3ELNS1_3repE0EEENS1_30default_config_static_selectorELNS0_4arch9wavefront6targetE1EEEvT1_.kd
    .uniform_work_group_size: 1
    .uses_dynamic_stack: false
    .vgpr_count:     0
    .vgpr_spill_count: 0
    .wavefront_size: 64
  - .agpr_count:     0
    .args:
      - .offset:         0
        .size:           64
        .value_kind:     by_value
    .group_segment_fixed_size: 0
    .kernarg_segment_align: 8
    .kernarg_segment_size: 64
    .language:       OpenCL C
    .language_version:
      - 2
      - 0
    .max_flat_workgroup_size: 32
    .name:           _ZN7rocprim17ROCPRIM_400000_NS6detail17trampoline_kernelINS0_14default_configENS1_35adjacent_difference_config_selectorILb1ElEEZNS1_24adjacent_difference_implIS3_Lb1ELb0EPlS7_ZN2at6native12_GLOBAL__N_124unique_dim_cuda_templateIlEESt5tupleIJNS8_6TensorESD_SD_EERKSD_lbbbEUlllE1_EE10hipError_tPvRmT2_T3_mT4_P12ihipStream_tbEUlT_E_NS1_11comp_targetILNS1_3genE8ELNS1_11target_archE1030ELNS1_3gpuE2ELNS1_3repE0EEENS1_30default_config_static_selectorELNS0_4arch9wavefront6targetE1EEEvT1_
    .private_segment_fixed_size: 0
    .sgpr_count:     4
    .sgpr_spill_count: 0
    .symbol:         _ZN7rocprim17ROCPRIM_400000_NS6detail17trampoline_kernelINS0_14default_configENS1_35adjacent_difference_config_selectorILb1ElEEZNS1_24adjacent_difference_implIS3_Lb1ELb0EPlS7_ZN2at6native12_GLOBAL__N_124unique_dim_cuda_templateIlEESt5tupleIJNS8_6TensorESD_SD_EERKSD_lbbbEUlllE1_EE10hipError_tPvRmT2_T3_mT4_P12ihipStream_tbEUlT_E_NS1_11comp_targetILNS1_3genE8ELNS1_11target_archE1030ELNS1_3gpuE2ELNS1_3repE0EEENS1_30default_config_static_selectorELNS0_4arch9wavefront6targetE1EEEvT1_.kd
    .uniform_work_group_size: 1
    .uses_dynamic_stack: false
    .vgpr_count:     0
    .vgpr_spill_count: 0
    .wavefront_size: 64
  - .agpr_count:     0
    .args:
      - .offset:         0
        .size:           120
        .value_kind:     by_value
    .group_segment_fixed_size: 0
    .kernarg_segment_align: 8
    .kernarg_segment_size: 120
    .language:       OpenCL C
    .language_version:
      - 2
      - 0
    .max_flat_workgroup_size: 512
    .name:           _ZN7rocprim17ROCPRIM_400000_NS6detail17trampoline_kernelINS0_14default_configENS1_25partition_config_selectorILNS1_17partition_subalgoE8ElNS0_10empty_typeEbEEZZNS1_14partition_implILS5_8ELb0ES3_jPlPS6_PKS6_NS0_5tupleIJS9_S6_EEENSD_IJSA_SA_EEENS0_18inequality_wrapperIZN2at6native12_GLOBAL__N_124unique_dim_cuda_templateIlEESt5tupleIJNSH_6TensorESM_SM_EERKSM_lbbbEUlllE0_EEPmJS6_EEE10hipError_tPvRmT3_T4_T5_T6_T7_T9_mT8_P12ihipStream_tbDpT10_ENKUlT_T0_E_clISt17integral_constantIbLb0EES1C_EEDaS17_S18_EUlS17_E_NS1_11comp_targetILNS1_3genE0ELNS1_11target_archE4294967295ELNS1_3gpuE0ELNS1_3repE0EEENS1_30default_config_static_selectorELNS0_4arch9wavefront6targetE1EEEvT1_
    .private_segment_fixed_size: 0
    .sgpr_count:     4
    .sgpr_spill_count: 0
    .symbol:         _ZN7rocprim17ROCPRIM_400000_NS6detail17trampoline_kernelINS0_14default_configENS1_25partition_config_selectorILNS1_17partition_subalgoE8ElNS0_10empty_typeEbEEZZNS1_14partition_implILS5_8ELb0ES3_jPlPS6_PKS6_NS0_5tupleIJS9_S6_EEENSD_IJSA_SA_EEENS0_18inequality_wrapperIZN2at6native12_GLOBAL__N_124unique_dim_cuda_templateIlEESt5tupleIJNSH_6TensorESM_SM_EERKSM_lbbbEUlllE0_EEPmJS6_EEE10hipError_tPvRmT3_T4_T5_T6_T7_T9_mT8_P12ihipStream_tbDpT10_ENKUlT_T0_E_clISt17integral_constantIbLb0EES1C_EEDaS17_S18_EUlS17_E_NS1_11comp_targetILNS1_3genE0ELNS1_11target_archE4294967295ELNS1_3gpuE0ELNS1_3repE0EEENS1_30default_config_static_selectorELNS0_4arch9wavefront6targetE1EEEvT1_.kd
    .uniform_work_group_size: 1
    .uses_dynamic_stack: false
    .vgpr_count:     0
    .vgpr_spill_count: 0
    .wavefront_size: 64
  - .agpr_count:     0
    .args:
      - .offset:         0
        .size:           120
        .value_kind:     by_value
    .group_segment_fixed_size: 0
    .kernarg_segment_align: 8
    .kernarg_segment_size: 120
    .language:       OpenCL C
    .language_version:
      - 2
      - 0
    .max_flat_workgroup_size: 512
    .name:           _ZN7rocprim17ROCPRIM_400000_NS6detail17trampoline_kernelINS0_14default_configENS1_25partition_config_selectorILNS1_17partition_subalgoE8ElNS0_10empty_typeEbEEZZNS1_14partition_implILS5_8ELb0ES3_jPlPS6_PKS6_NS0_5tupleIJS9_S6_EEENSD_IJSA_SA_EEENS0_18inequality_wrapperIZN2at6native12_GLOBAL__N_124unique_dim_cuda_templateIlEESt5tupleIJNSH_6TensorESM_SM_EERKSM_lbbbEUlllE0_EEPmJS6_EEE10hipError_tPvRmT3_T4_T5_T6_T7_T9_mT8_P12ihipStream_tbDpT10_ENKUlT_T0_E_clISt17integral_constantIbLb0EES1C_EEDaS17_S18_EUlS17_E_NS1_11comp_targetILNS1_3genE5ELNS1_11target_archE942ELNS1_3gpuE9ELNS1_3repE0EEENS1_30default_config_static_selectorELNS0_4arch9wavefront6targetE1EEEvT1_
    .private_segment_fixed_size: 0
    .sgpr_count:     4
    .sgpr_spill_count: 0
    .symbol:         _ZN7rocprim17ROCPRIM_400000_NS6detail17trampoline_kernelINS0_14default_configENS1_25partition_config_selectorILNS1_17partition_subalgoE8ElNS0_10empty_typeEbEEZZNS1_14partition_implILS5_8ELb0ES3_jPlPS6_PKS6_NS0_5tupleIJS9_S6_EEENSD_IJSA_SA_EEENS0_18inequality_wrapperIZN2at6native12_GLOBAL__N_124unique_dim_cuda_templateIlEESt5tupleIJNSH_6TensorESM_SM_EERKSM_lbbbEUlllE0_EEPmJS6_EEE10hipError_tPvRmT3_T4_T5_T6_T7_T9_mT8_P12ihipStream_tbDpT10_ENKUlT_T0_E_clISt17integral_constantIbLb0EES1C_EEDaS17_S18_EUlS17_E_NS1_11comp_targetILNS1_3genE5ELNS1_11target_archE942ELNS1_3gpuE9ELNS1_3repE0EEENS1_30default_config_static_selectorELNS0_4arch9wavefront6targetE1EEEvT1_.kd
    .uniform_work_group_size: 1
    .uses_dynamic_stack: false
    .vgpr_count:     0
    .vgpr_spill_count: 0
    .wavefront_size: 64
  - .agpr_count:     0
    .args:
      - .offset:         0
        .size:           120
        .value_kind:     by_value
    .group_segment_fixed_size: 10252
    .kernarg_segment_align: 8
    .kernarg_segment_size: 120
    .language:       OpenCL C
    .language_version:
      - 2
      - 0
    .max_flat_workgroup_size: 256
    .name:           _ZN7rocprim17ROCPRIM_400000_NS6detail17trampoline_kernelINS0_14default_configENS1_25partition_config_selectorILNS1_17partition_subalgoE8ElNS0_10empty_typeEbEEZZNS1_14partition_implILS5_8ELb0ES3_jPlPS6_PKS6_NS0_5tupleIJS9_S6_EEENSD_IJSA_SA_EEENS0_18inequality_wrapperIZN2at6native12_GLOBAL__N_124unique_dim_cuda_templateIlEESt5tupleIJNSH_6TensorESM_SM_EERKSM_lbbbEUlllE0_EEPmJS6_EEE10hipError_tPvRmT3_T4_T5_T6_T7_T9_mT8_P12ihipStream_tbDpT10_ENKUlT_T0_E_clISt17integral_constantIbLb0EES1C_EEDaS17_S18_EUlS17_E_NS1_11comp_targetILNS1_3genE4ELNS1_11target_archE910ELNS1_3gpuE8ELNS1_3repE0EEENS1_30default_config_static_selectorELNS0_4arch9wavefront6targetE1EEEvT1_
    .private_segment_fixed_size: 0
    .sgpr_count:     52
    .sgpr_spill_count: 0
    .symbol:         _ZN7rocprim17ROCPRIM_400000_NS6detail17trampoline_kernelINS0_14default_configENS1_25partition_config_selectorILNS1_17partition_subalgoE8ElNS0_10empty_typeEbEEZZNS1_14partition_implILS5_8ELb0ES3_jPlPS6_PKS6_NS0_5tupleIJS9_S6_EEENSD_IJSA_SA_EEENS0_18inequality_wrapperIZN2at6native12_GLOBAL__N_124unique_dim_cuda_templateIlEESt5tupleIJNSH_6TensorESM_SM_EERKSM_lbbbEUlllE0_EEPmJS6_EEE10hipError_tPvRmT3_T4_T5_T6_T7_T9_mT8_P12ihipStream_tbDpT10_ENKUlT_T0_E_clISt17integral_constantIbLb0EES1C_EEDaS17_S18_EUlS17_E_NS1_11comp_targetILNS1_3genE4ELNS1_11target_archE910ELNS1_3gpuE8ELNS1_3repE0EEENS1_30default_config_static_selectorELNS0_4arch9wavefront6targetE1EEEvT1_.kd
    .uniform_work_group_size: 1
    .uses_dynamic_stack: false
    .vgpr_count:     46
    .vgpr_spill_count: 0
    .wavefront_size: 64
  - .agpr_count:     0
    .args:
      - .offset:         0
        .size:           120
        .value_kind:     by_value
    .group_segment_fixed_size: 0
    .kernarg_segment_align: 8
    .kernarg_segment_size: 120
    .language:       OpenCL C
    .language_version:
      - 2
      - 0
    .max_flat_workgroup_size: 512
    .name:           _ZN7rocprim17ROCPRIM_400000_NS6detail17trampoline_kernelINS0_14default_configENS1_25partition_config_selectorILNS1_17partition_subalgoE8ElNS0_10empty_typeEbEEZZNS1_14partition_implILS5_8ELb0ES3_jPlPS6_PKS6_NS0_5tupleIJS9_S6_EEENSD_IJSA_SA_EEENS0_18inequality_wrapperIZN2at6native12_GLOBAL__N_124unique_dim_cuda_templateIlEESt5tupleIJNSH_6TensorESM_SM_EERKSM_lbbbEUlllE0_EEPmJS6_EEE10hipError_tPvRmT3_T4_T5_T6_T7_T9_mT8_P12ihipStream_tbDpT10_ENKUlT_T0_E_clISt17integral_constantIbLb0EES1C_EEDaS17_S18_EUlS17_E_NS1_11comp_targetILNS1_3genE3ELNS1_11target_archE908ELNS1_3gpuE7ELNS1_3repE0EEENS1_30default_config_static_selectorELNS0_4arch9wavefront6targetE1EEEvT1_
    .private_segment_fixed_size: 0
    .sgpr_count:     4
    .sgpr_spill_count: 0
    .symbol:         _ZN7rocprim17ROCPRIM_400000_NS6detail17trampoline_kernelINS0_14default_configENS1_25partition_config_selectorILNS1_17partition_subalgoE8ElNS0_10empty_typeEbEEZZNS1_14partition_implILS5_8ELb0ES3_jPlPS6_PKS6_NS0_5tupleIJS9_S6_EEENSD_IJSA_SA_EEENS0_18inequality_wrapperIZN2at6native12_GLOBAL__N_124unique_dim_cuda_templateIlEESt5tupleIJNSH_6TensorESM_SM_EERKSM_lbbbEUlllE0_EEPmJS6_EEE10hipError_tPvRmT3_T4_T5_T6_T7_T9_mT8_P12ihipStream_tbDpT10_ENKUlT_T0_E_clISt17integral_constantIbLb0EES1C_EEDaS17_S18_EUlS17_E_NS1_11comp_targetILNS1_3genE3ELNS1_11target_archE908ELNS1_3gpuE7ELNS1_3repE0EEENS1_30default_config_static_selectorELNS0_4arch9wavefront6targetE1EEEvT1_.kd
    .uniform_work_group_size: 1
    .uses_dynamic_stack: false
    .vgpr_count:     0
    .vgpr_spill_count: 0
    .wavefront_size: 64
  - .agpr_count:     0
    .args:
      - .offset:         0
        .size:           120
        .value_kind:     by_value
    .group_segment_fixed_size: 0
    .kernarg_segment_align: 8
    .kernarg_segment_size: 120
    .language:       OpenCL C
    .language_version:
      - 2
      - 0
    .max_flat_workgroup_size: 256
    .name:           _ZN7rocprim17ROCPRIM_400000_NS6detail17trampoline_kernelINS0_14default_configENS1_25partition_config_selectorILNS1_17partition_subalgoE8ElNS0_10empty_typeEbEEZZNS1_14partition_implILS5_8ELb0ES3_jPlPS6_PKS6_NS0_5tupleIJS9_S6_EEENSD_IJSA_SA_EEENS0_18inequality_wrapperIZN2at6native12_GLOBAL__N_124unique_dim_cuda_templateIlEESt5tupleIJNSH_6TensorESM_SM_EERKSM_lbbbEUlllE0_EEPmJS6_EEE10hipError_tPvRmT3_T4_T5_T6_T7_T9_mT8_P12ihipStream_tbDpT10_ENKUlT_T0_E_clISt17integral_constantIbLb0EES1C_EEDaS17_S18_EUlS17_E_NS1_11comp_targetILNS1_3genE2ELNS1_11target_archE906ELNS1_3gpuE6ELNS1_3repE0EEENS1_30default_config_static_selectorELNS0_4arch9wavefront6targetE1EEEvT1_
    .private_segment_fixed_size: 0
    .sgpr_count:     4
    .sgpr_spill_count: 0
    .symbol:         _ZN7rocprim17ROCPRIM_400000_NS6detail17trampoline_kernelINS0_14default_configENS1_25partition_config_selectorILNS1_17partition_subalgoE8ElNS0_10empty_typeEbEEZZNS1_14partition_implILS5_8ELb0ES3_jPlPS6_PKS6_NS0_5tupleIJS9_S6_EEENSD_IJSA_SA_EEENS0_18inequality_wrapperIZN2at6native12_GLOBAL__N_124unique_dim_cuda_templateIlEESt5tupleIJNSH_6TensorESM_SM_EERKSM_lbbbEUlllE0_EEPmJS6_EEE10hipError_tPvRmT3_T4_T5_T6_T7_T9_mT8_P12ihipStream_tbDpT10_ENKUlT_T0_E_clISt17integral_constantIbLb0EES1C_EEDaS17_S18_EUlS17_E_NS1_11comp_targetILNS1_3genE2ELNS1_11target_archE906ELNS1_3gpuE6ELNS1_3repE0EEENS1_30default_config_static_selectorELNS0_4arch9wavefront6targetE1EEEvT1_.kd
    .uniform_work_group_size: 1
    .uses_dynamic_stack: false
    .vgpr_count:     0
    .vgpr_spill_count: 0
    .wavefront_size: 64
  - .agpr_count:     0
    .args:
      - .offset:         0
        .size:           120
        .value_kind:     by_value
    .group_segment_fixed_size: 0
    .kernarg_segment_align: 8
    .kernarg_segment_size: 120
    .language:       OpenCL C
    .language_version:
      - 2
      - 0
    .max_flat_workgroup_size: 384
    .name:           _ZN7rocprim17ROCPRIM_400000_NS6detail17trampoline_kernelINS0_14default_configENS1_25partition_config_selectorILNS1_17partition_subalgoE8ElNS0_10empty_typeEbEEZZNS1_14partition_implILS5_8ELb0ES3_jPlPS6_PKS6_NS0_5tupleIJS9_S6_EEENSD_IJSA_SA_EEENS0_18inequality_wrapperIZN2at6native12_GLOBAL__N_124unique_dim_cuda_templateIlEESt5tupleIJNSH_6TensorESM_SM_EERKSM_lbbbEUlllE0_EEPmJS6_EEE10hipError_tPvRmT3_T4_T5_T6_T7_T9_mT8_P12ihipStream_tbDpT10_ENKUlT_T0_E_clISt17integral_constantIbLb0EES1C_EEDaS17_S18_EUlS17_E_NS1_11comp_targetILNS1_3genE10ELNS1_11target_archE1200ELNS1_3gpuE4ELNS1_3repE0EEENS1_30default_config_static_selectorELNS0_4arch9wavefront6targetE1EEEvT1_
    .private_segment_fixed_size: 0
    .sgpr_count:     4
    .sgpr_spill_count: 0
    .symbol:         _ZN7rocprim17ROCPRIM_400000_NS6detail17trampoline_kernelINS0_14default_configENS1_25partition_config_selectorILNS1_17partition_subalgoE8ElNS0_10empty_typeEbEEZZNS1_14partition_implILS5_8ELb0ES3_jPlPS6_PKS6_NS0_5tupleIJS9_S6_EEENSD_IJSA_SA_EEENS0_18inequality_wrapperIZN2at6native12_GLOBAL__N_124unique_dim_cuda_templateIlEESt5tupleIJNSH_6TensorESM_SM_EERKSM_lbbbEUlllE0_EEPmJS6_EEE10hipError_tPvRmT3_T4_T5_T6_T7_T9_mT8_P12ihipStream_tbDpT10_ENKUlT_T0_E_clISt17integral_constantIbLb0EES1C_EEDaS17_S18_EUlS17_E_NS1_11comp_targetILNS1_3genE10ELNS1_11target_archE1200ELNS1_3gpuE4ELNS1_3repE0EEENS1_30default_config_static_selectorELNS0_4arch9wavefront6targetE1EEEvT1_.kd
    .uniform_work_group_size: 1
    .uses_dynamic_stack: false
    .vgpr_count:     0
    .vgpr_spill_count: 0
    .wavefront_size: 64
  - .agpr_count:     0
    .args:
      - .offset:         0
        .size:           120
        .value_kind:     by_value
    .group_segment_fixed_size: 0
    .kernarg_segment_align: 8
    .kernarg_segment_size: 120
    .language:       OpenCL C
    .language_version:
      - 2
      - 0
    .max_flat_workgroup_size: 512
    .name:           _ZN7rocprim17ROCPRIM_400000_NS6detail17trampoline_kernelINS0_14default_configENS1_25partition_config_selectorILNS1_17partition_subalgoE8ElNS0_10empty_typeEbEEZZNS1_14partition_implILS5_8ELb0ES3_jPlPS6_PKS6_NS0_5tupleIJS9_S6_EEENSD_IJSA_SA_EEENS0_18inequality_wrapperIZN2at6native12_GLOBAL__N_124unique_dim_cuda_templateIlEESt5tupleIJNSH_6TensorESM_SM_EERKSM_lbbbEUlllE0_EEPmJS6_EEE10hipError_tPvRmT3_T4_T5_T6_T7_T9_mT8_P12ihipStream_tbDpT10_ENKUlT_T0_E_clISt17integral_constantIbLb0EES1C_EEDaS17_S18_EUlS17_E_NS1_11comp_targetILNS1_3genE9ELNS1_11target_archE1100ELNS1_3gpuE3ELNS1_3repE0EEENS1_30default_config_static_selectorELNS0_4arch9wavefront6targetE1EEEvT1_
    .private_segment_fixed_size: 0
    .sgpr_count:     4
    .sgpr_spill_count: 0
    .symbol:         _ZN7rocprim17ROCPRIM_400000_NS6detail17trampoline_kernelINS0_14default_configENS1_25partition_config_selectorILNS1_17partition_subalgoE8ElNS0_10empty_typeEbEEZZNS1_14partition_implILS5_8ELb0ES3_jPlPS6_PKS6_NS0_5tupleIJS9_S6_EEENSD_IJSA_SA_EEENS0_18inequality_wrapperIZN2at6native12_GLOBAL__N_124unique_dim_cuda_templateIlEESt5tupleIJNSH_6TensorESM_SM_EERKSM_lbbbEUlllE0_EEPmJS6_EEE10hipError_tPvRmT3_T4_T5_T6_T7_T9_mT8_P12ihipStream_tbDpT10_ENKUlT_T0_E_clISt17integral_constantIbLb0EES1C_EEDaS17_S18_EUlS17_E_NS1_11comp_targetILNS1_3genE9ELNS1_11target_archE1100ELNS1_3gpuE3ELNS1_3repE0EEENS1_30default_config_static_selectorELNS0_4arch9wavefront6targetE1EEEvT1_.kd
    .uniform_work_group_size: 1
    .uses_dynamic_stack: false
    .vgpr_count:     0
    .vgpr_spill_count: 0
    .wavefront_size: 64
  - .agpr_count:     0
    .args:
      - .offset:         0
        .size:           120
        .value_kind:     by_value
    .group_segment_fixed_size: 0
    .kernarg_segment_align: 8
    .kernarg_segment_size: 120
    .language:       OpenCL C
    .language_version:
      - 2
      - 0
    .max_flat_workgroup_size: 512
    .name:           _ZN7rocprim17ROCPRIM_400000_NS6detail17trampoline_kernelINS0_14default_configENS1_25partition_config_selectorILNS1_17partition_subalgoE8ElNS0_10empty_typeEbEEZZNS1_14partition_implILS5_8ELb0ES3_jPlPS6_PKS6_NS0_5tupleIJS9_S6_EEENSD_IJSA_SA_EEENS0_18inequality_wrapperIZN2at6native12_GLOBAL__N_124unique_dim_cuda_templateIlEESt5tupleIJNSH_6TensorESM_SM_EERKSM_lbbbEUlllE0_EEPmJS6_EEE10hipError_tPvRmT3_T4_T5_T6_T7_T9_mT8_P12ihipStream_tbDpT10_ENKUlT_T0_E_clISt17integral_constantIbLb0EES1C_EEDaS17_S18_EUlS17_E_NS1_11comp_targetILNS1_3genE8ELNS1_11target_archE1030ELNS1_3gpuE2ELNS1_3repE0EEENS1_30default_config_static_selectorELNS0_4arch9wavefront6targetE1EEEvT1_
    .private_segment_fixed_size: 0
    .sgpr_count:     4
    .sgpr_spill_count: 0
    .symbol:         _ZN7rocprim17ROCPRIM_400000_NS6detail17trampoline_kernelINS0_14default_configENS1_25partition_config_selectorILNS1_17partition_subalgoE8ElNS0_10empty_typeEbEEZZNS1_14partition_implILS5_8ELb0ES3_jPlPS6_PKS6_NS0_5tupleIJS9_S6_EEENSD_IJSA_SA_EEENS0_18inequality_wrapperIZN2at6native12_GLOBAL__N_124unique_dim_cuda_templateIlEESt5tupleIJNSH_6TensorESM_SM_EERKSM_lbbbEUlllE0_EEPmJS6_EEE10hipError_tPvRmT3_T4_T5_T6_T7_T9_mT8_P12ihipStream_tbDpT10_ENKUlT_T0_E_clISt17integral_constantIbLb0EES1C_EEDaS17_S18_EUlS17_E_NS1_11comp_targetILNS1_3genE8ELNS1_11target_archE1030ELNS1_3gpuE2ELNS1_3repE0EEENS1_30default_config_static_selectorELNS0_4arch9wavefront6targetE1EEEvT1_.kd
    .uniform_work_group_size: 1
    .uses_dynamic_stack: false
    .vgpr_count:     0
    .vgpr_spill_count: 0
    .wavefront_size: 64
  - .agpr_count:     0
    .args:
      - .offset:         0
        .size:           136
        .value_kind:     by_value
    .group_segment_fixed_size: 0
    .kernarg_segment_align: 8
    .kernarg_segment_size: 136
    .language:       OpenCL C
    .language_version:
      - 2
      - 0
    .max_flat_workgroup_size: 512
    .name:           _ZN7rocprim17ROCPRIM_400000_NS6detail17trampoline_kernelINS0_14default_configENS1_25partition_config_selectorILNS1_17partition_subalgoE8ElNS0_10empty_typeEbEEZZNS1_14partition_implILS5_8ELb0ES3_jPlPS6_PKS6_NS0_5tupleIJS9_S6_EEENSD_IJSA_SA_EEENS0_18inequality_wrapperIZN2at6native12_GLOBAL__N_124unique_dim_cuda_templateIlEESt5tupleIJNSH_6TensorESM_SM_EERKSM_lbbbEUlllE0_EEPmJS6_EEE10hipError_tPvRmT3_T4_T5_T6_T7_T9_mT8_P12ihipStream_tbDpT10_ENKUlT_T0_E_clISt17integral_constantIbLb1EES1C_EEDaS17_S18_EUlS17_E_NS1_11comp_targetILNS1_3genE0ELNS1_11target_archE4294967295ELNS1_3gpuE0ELNS1_3repE0EEENS1_30default_config_static_selectorELNS0_4arch9wavefront6targetE1EEEvT1_
    .private_segment_fixed_size: 0
    .sgpr_count:     4
    .sgpr_spill_count: 0
    .symbol:         _ZN7rocprim17ROCPRIM_400000_NS6detail17trampoline_kernelINS0_14default_configENS1_25partition_config_selectorILNS1_17partition_subalgoE8ElNS0_10empty_typeEbEEZZNS1_14partition_implILS5_8ELb0ES3_jPlPS6_PKS6_NS0_5tupleIJS9_S6_EEENSD_IJSA_SA_EEENS0_18inequality_wrapperIZN2at6native12_GLOBAL__N_124unique_dim_cuda_templateIlEESt5tupleIJNSH_6TensorESM_SM_EERKSM_lbbbEUlllE0_EEPmJS6_EEE10hipError_tPvRmT3_T4_T5_T6_T7_T9_mT8_P12ihipStream_tbDpT10_ENKUlT_T0_E_clISt17integral_constantIbLb1EES1C_EEDaS17_S18_EUlS17_E_NS1_11comp_targetILNS1_3genE0ELNS1_11target_archE4294967295ELNS1_3gpuE0ELNS1_3repE0EEENS1_30default_config_static_selectorELNS0_4arch9wavefront6targetE1EEEvT1_.kd
    .uniform_work_group_size: 1
    .uses_dynamic_stack: false
    .vgpr_count:     0
    .vgpr_spill_count: 0
    .wavefront_size: 64
  - .agpr_count:     0
    .args:
      - .offset:         0
        .size:           136
        .value_kind:     by_value
    .group_segment_fixed_size: 0
    .kernarg_segment_align: 8
    .kernarg_segment_size: 136
    .language:       OpenCL C
    .language_version:
      - 2
      - 0
    .max_flat_workgroup_size: 512
    .name:           _ZN7rocprim17ROCPRIM_400000_NS6detail17trampoline_kernelINS0_14default_configENS1_25partition_config_selectorILNS1_17partition_subalgoE8ElNS0_10empty_typeEbEEZZNS1_14partition_implILS5_8ELb0ES3_jPlPS6_PKS6_NS0_5tupleIJS9_S6_EEENSD_IJSA_SA_EEENS0_18inequality_wrapperIZN2at6native12_GLOBAL__N_124unique_dim_cuda_templateIlEESt5tupleIJNSH_6TensorESM_SM_EERKSM_lbbbEUlllE0_EEPmJS6_EEE10hipError_tPvRmT3_T4_T5_T6_T7_T9_mT8_P12ihipStream_tbDpT10_ENKUlT_T0_E_clISt17integral_constantIbLb1EES1C_EEDaS17_S18_EUlS17_E_NS1_11comp_targetILNS1_3genE5ELNS1_11target_archE942ELNS1_3gpuE9ELNS1_3repE0EEENS1_30default_config_static_selectorELNS0_4arch9wavefront6targetE1EEEvT1_
    .private_segment_fixed_size: 0
    .sgpr_count:     4
    .sgpr_spill_count: 0
    .symbol:         _ZN7rocprim17ROCPRIM_400000_NS6detail17trampoline_kernelINS0_14default_configENS1_25partition_config_selectorILNS1_17partition_subalgoE8ElNS0_10empty_typeEbEEZZNS1_14partition_implILS5_8ELb0ES3_jPlPS6_PKS6_NS0_5tupleIJS9_S6_EEENSD_IJSA_SA_EEENS0_18inequality_wrapperIZN2at6native12_GLOBAL__N_124unique_dim_cuda_templateIlEESt5tupleIJNSH_6TensorESM_SM_EERKSM_lbbbEUlllE0_EEPmJS6_EEE10hipError_tPvRmT3_T4_T5_T6_T7_T9_mT8_P12ihipStream_tbDpT10_ENKUlT_T0_E_clISt17integral_constantIbLb1EES1C_EEDaS17_S18_EUlS17_E_NS1_11comp_targetILNS1_3genE5ELNS1_11target_archE942ELNS1_3gpuE9ELNS1_3repE0EEENS1_30default_config_static_selectorELNS0_4arch9wavefront6targetE1EEEvT1_.kd
    .uniform_work_group_size: 1
    .uses_dynamic_stack: false
    .vgpr_count:     0
    .vgpr_spill_count: 0
    .wavefront_size: 64
  - .agpr_count:     0
    .args:
      - .offset:         0
        .size:           136
        .value_kind:     by_value
    .group_segment_fixed_size: 10252
    .kernarg_segment_align: 8
    .kernarg_segment_size: 136
    .language:       OpenCL C
    .language_version:
      - 2
      - 0
    .max_flat_workgroup_size: 256
    .name:           _ZN7rocprim17ROCPRIM_400000_NS6detail17trampoline_kernelINS0_14default_configENS1_25partition_config_selectorILNS1_17partition_subalgoE8ElNS0_10empty_typeEbEEZZNS1_14partition_implILS5_8ELb0ES3_jPlPS6_PKS6_NS0_5tupleIJS9_S6_EEENSD_IJSA_SA_EEENS0_18inequality_wrapperIZN2at6native12_GLOBAL__N_124unique_dim_cuda_templateIlEESt5tupleIJNSH_6TensorESM_SM_EERKSM_lbbbEUlllE0_EEPmJS6_EEE10hipError_tPvRmT3_T4_T5_T6_T7_T9_mT8_P12ihipStream_tbDpT10_ENKUlT_T0_E_clISt17integral_constantIbLb1EES1C_EEDaS17_S18_EUlS17_E_NS1_11comp_targetILNS1_3genE4ELNS1_11target_archE910ELNS1_3gpuE8ELNS1_3repE0EEENS1_30default_config_static_selectorELNS0_4arch9wavefront6targetE1EEEvT1_
    .private_segment_fixed_size: 0
    .sgpr_count:     56
    .sgpr_spill_count: 0
    .symbol:         _ZN7rocprim17ROCPRIM_400000_NS6detail17trampoline_kernelINS0_14default_configENS1_25partition_config_selectorILNS1_17partition_subalgoE8ElNS0_10empty_typeEbEEZZNS1_14partition_implILS5_8ELb0ES3_jPlPS6_PKS6_NS0_5tupleIJS9_S6_EEENSD_IJSA_SA_EEENS0_18inequality_wrapperIZN2at6native12_GLOBAL__N_124unique_dim_cuda_templateIlEESt5tupleIJNSH_6TensorESM_SM_EERKSM_lbbbEUlllE0_EEPmJS6_EEE10hipError_tPvRmT3_T4_T5_T6_T7_T9_mT8_P12ihipStream_tbDpT10_ENKUlT_T0_E_clISt17integral_constantIbLb1EES1C_EEDaS17_S18_EUlS17_E_NS1_11comp_targetILNS1_3genE4ELNS1_11target_archE910ELNS1_3gpuE8ELNS1_3repE0EEENS1_30default_config_static_selectorELNS0_4arch9wavefront6targetE1EEEvT1_.kd
    .uniform_work_group_size: 1
    .uses_dynamic_stack: false
    .vgpr_count:     46
    .vgpr_spill_count: 0
    .wavefront_size: 64
  - .agpr_count:     0
    .args:
      - .offset:         0
        .size:           136
        .value_kind:     by_value
    .group_segment_fixed_size: 0
    .kernarg_segment_align: 8
    .kernarg_segment_size: 136
    .language:       OpenCL C
    .language_version:
      - 2
      - 0
    .max_flat_workgroup_size: 512
    .name:           _ZN7rocprim17ROCPRIM_400000_NS6detail17trampoline_kernelINS0_14default_configENS1_25partition_config_selectorILNS1_17partition_subalgoE8ElNS0_10empty_typeEbEEZZNS1_14partition_implILS5_8ELb0ES3_jPlPS6_PKS6_NS0_5tupleIJS9_S6_EEENSD_IJSA_SA_EEENS0_18inequality_wrapperIZN2at6native12_GLOBAL__N_124unique_dim_cuda_templateIlEESt5tupleIJNSH_6TensorESM_SM_EERKSM_lbbbEUlllE0_EEPmJS6_EEE10hipError_tPvRmT3_T4_T5_T6_T7_T9_mT8_P12ihipStream_tbDpT10_ENKUlT_T0_E_clISt17integral_constantIbLb1EES1C_EEDaS17_S18_EUlS17_E_NS1_11comp_targetILNS1_3genE3ELNS1_11target_archE908ELNS1_3gpuE7ELNS1_3repE0EEENS1_30default_config_static_selectorELNS0_4arch9wavefront6targetE1EEEvT1_
    .private_segment_fixed_size: 0
    .sgpr_count:     4
    .sgpr_spill_count: 0
    .symbol:         _ZN7rocprim17ROCPRIM_400000_NS6detail17trampoline_kernelINS0_14default_configENS1_25partition_config_selectorILNS1_17partition_subalgoE8ElNS0_10empty_typeEbEEZZNS1_14partition_implILS5_8ELb0ES3_jPlPS6_PKS6_NS0_5tupleIJS9_S6_EEENSD_IJSA_SA_EEENS0_18inequality_wrapperIZN2at6native12_GLOBAL__N_124unique_dim_cuda_templateIlEESt5tupleIJNSH_6TensorESM_SM_EERKSM_lbbbEUlllE0_EEPmJS6_EEE10hipError_tPvRmT3_T4_T5_T6_T7_T9_mT8_P12ihipStream_tbDpT10_ENKUlT_T0_E_clISt17integral_constantIbLb1EES1C_EEDaS17_S18_EUlS17_E_NS1_11comp_targetILNS1_3genE3ELNS1_11target_archE908ELNS1_3gpuE7ELNS1_3repE0EEENS1_30default_config_static_selectorELNS0_4arch9wavefront6targetE1EEEvT1_.kd
    .uniform_work_group_size: 1
    .uses_dynamic_stack: false
    .vgpr_count:     0
    .vgpr_spill_count: 0
    .wavefront_size: 64
  - .agpr_count:     0
    .args:
      - .offset:         0
        .size:           136
        .value_kind:     by_value
    .group_segment_fixed_size: 0
    .kernarg_segment_align: 8
    .kernarg_segment_size: 136
    .language:       OpenCL C
    .language_version:
      - 2
      - 0
    .max_flat_workgroup_size: 256
    .name:           _ZN7rocprim17ROCPRIM_400000_NS6detail17trampoline_kernelINS0_14default_configENS1_25partition_config_selectorILNS1_17partition_subalgoE8ElNS0_10empty_typeEbEEZZNS1_14partition_implILS5_8ELb0ES3_jPlPS6_PKS6_NS0_5tupleIJS9_S6_EEENSD_IJSA_SA_EEENS0_18inequality_wrapperIZN2at6native12_GLOBAL__N_124unique_dim_cuda_templateIlEESt5tupleIJNSH_6TensorESM_SM_EERKSM_lbbbEUlllE0_EEPmJS6_EEE10hipError_tPvRmT3_T4_T5_T6_T7_T9_mT8_P12ihipStream_tbDpT10_ENKUlT_T0_E_clISt17integral_constantIbLb1EES1C_EEDaS17_S18_EUlS17_E_NS1_11comp_targetILNS1_3genE2ELNS1_11target_archE906ELNS1_3gpuE6ELNS1_3repE0EEENS1_30default_config_static_selectorELNS0_4arch9wavefront6targetE1EEEvT1_
    .private_segment_fixed_size: 0
    .sgpr_count:     4
    .sgpr_spill_count: 0
    .symbol:         _ZN7rocprim17ROCPRIM_400000_NS6detail17trampoline_kernelINS0_14default_configENS1_25partition_config_selectorILNS1_17partition_subalgoE8ElNS0_10empty_typeEbEEZZNS1_14partition_implILS5_8ELb0ES3_jPlPS6_PKS6_NS0_5tupleIJS9_S6_EEENSD_IJSA_SA_EEENS0_18inequality_wrapperIZN2at6native12_GLOBAL__N_124unique_dim_cuda_templateIlEESt5tupleIJNSH_6TensorESM_SM_EERKSM_lbbbEUlllE0_EEPmJS6_EEE10hipError_tPvRmT3_T4_T5_T6_T7_T9_mT8_P12ihipStream_tbDpT10_ENKUlT_T0_E_clISt17integral_constantIbLb1EES1C_EEDaS17_S18_EUlS17_E_NS1_11comp_targetILNS1_3genE2ELNS1_11target_archE906ELNS1_3gpuE6ELNS1_3repE0EEENS1_30default_config_static_selectorELNS0_4arch9wavefront6targetE1EEEvT1_.kd
    .uniform_work_group_size: 1
    .uses_dynamic_stack: false
    .vgpr_count:     0
    .vgpr_spill_count: 0
    .wavefront_size: 64
  - .agpr_count:     0
    .args:
      - .offset:         0
        .size:           136
        .value_kind:     by_value
    .group_segment_fixed_size: 0
    .kernarg_segment_align: 8
    .kernarg_segment_size: 136
    .language:       OpenCL C
    .language_version:
      - 2
      - 0
    .max_flat_workgroup_size: 384
    .name:           _ZN7rocprim17ROCPRIM_400000_NS6detail17trampoline_kernelINS0_14default_configENS1_25partition_config_selectorILNS1_17partition_subalgoE8ElNS0_10empty_typeEbEEZZNS1_14partition_implILS5_8ELb0ES3_jPlPS6_PKS6_NS0_5tupleIJS9_S6_EEENSD_IJSA_SA_EEENS0_18inequality_wrapperIZN2at6native12_GLOBAL__N_124unique_dim_cuda_templateIlEESt5tupleIJNSH_6TensorESM_SM_EERKSM_lbbbEUlllE0_EEPmJS6_EEE10hipError_tPvRmT3_T4_T5_T6_T7_T9_mT8_P12ihipStream_tbDpT10_ENKUlT_T0_E_clISt17integral_constantIbLb1EES1C_EEDaS17_S18_EUlS17_E_NS1_11comp_targetILNS1_3genE10ELNS1_11target_archE1200ELNS1_3gpuE4ELNS1_3repE0EEENS1_30default_config_static_selectorELNS0_4arch9wavefront6targetE1EEEvT1_
    .private_segment_fixed_size: 0
    .sgpr_count:     4
    .sgpr_spill_count: 0
    .symbol:         _ZN7rocprim17ROCPRIM_400000_NS6detail17trampoline_kernelINS0_14default_configENS1_25partition_config_selectorILNS1_17partition_subalgoE8ElNS0_10empty_typeEbEEZZNS1_14partition_implILS5_8ELb0ES3_jPlPS6_PKS6_NS0_5tupleIJS9_S6_EEENSD_IJSA_SA_EEENS0_18inequality_wrapperIZN2at6native12_GLOBAL__N_124unique_dim_cuda_templateIlEESt5tupleIJNSH_6TensorESM_SM_EERKSM_lbbbEUlllE0_EEPmJS6_EEE10hipError_tPvRmT3_T4_T5_T6_T7_T9_mT8_P12ihipStream_tbDpT10_ENKUlT_T0_E_clISt17integral_constantIbLb1EES1C_EEDaS17_S18_EUlS17_E_NS1_11comp_targetILNS1_3genE10ELNS1_11target_archE1200ELNS1_3gpuE4ELNS1_3repE0EEENS1_30default_config_static_selectorELNS0_4arch9wavefront6targetE1EEEvT1_.kd
    .uniform_work_group_size: 1
    .uses_dynamic_stack: false
    .vgpr_count:     0
    .vgpr_spill_count: 0
    .wavefront_size: 64
  - .agpr_count:     0
    .args:
      - .offset:         0
        .size:           136
        .value_kind:     by_value
    .group_segment_fixed_size: 0
    .kernarg_segment_align: 8
    .kernarg_segment_size: 136
    .language:       OpenCL C
    .language_version:
      - 2
      - 0
    .max_flat_workgroup_size: 512
    .name:           _ZN7rocprim17ROCPRIM_400000_NS6detail17trampoline_kernelINS0_14default_configENS1_25partition_config_selectorILNS1_17partition_subalgoE8ElNS0_10empty_typeEbEEZZNS1_14partition_implILS5_8ELb0ES3_jPlPS6_PKS6_NS0_5tupleIJS9_S6_EEENSD_IJSA_SA_EEENS0_18inequality_wrapperIZN2at6native12_GLOBAL__N_124unique_dim_cuda_templateIlEESt5tupleIJNSH_6TensorESM_SM_EERKSM_lbbbEUlllE0_EEPmJS6_EEE10hipError_tPvRmT3_T4_T5_T6_T7_T9_mT8_P12ihipStream_tbDpT10_ENKUlT_T0_E_clISt17integral_constantIbLb1EES1C_EEDaS17_S18_EUlS17_E_NS1_11comp_targetILNS1_3genE9ELNS1_11target_archE1100ELNS1_3gpuE3ELNS1_3repE0EEENS1_30default_config_static_selectorELNS0_4arch9wavefront6targetE1EEEvT1_
    .private_segment_fixed_size: 0
    .sgpr_count:     4
    .sgpr_spill_count: 0
    .symbol:         _ZN7rocprim17ROCPRIM_400000_NS6detail17trampoline_kernelINS0_14default_configENS1_25partition_config_selectorILNS1_17partition_subalgoE8ElNS0_10empty_typeEbEEZZNS1_14partition_implILS5_8ELb0ES3_jPlPS6_PKS6_NS0_5tupleIJS9_S6_EEENSD_IJSA_SA_EEENS0_18inequality_wrapperIZN2at6native12_GLOBAL__N_124unique_dim_cuda_templateIlEESt5tupleIJNSH_6TensorESM_SM_EERKSM_lbbbEUlllE0_EEPmJS6_EEE10hipError_tPvRmT3_T4_T5_T6_T7_T9_mT8_P12ihipStream_tbDpT10_ENKUlT_T0_E_clISt17integral_constantIbLb1EES1C_EEDaS17_S18_EUlS17_E_NS1_11comp_targetILNS1_3genE9ELNS1_11target_archE1100ELNS1_3gpuE3ELNS1_3repE0EEENS1_30default_config_static_selectorELNS0_4arch9wavefront6targetE1EEEvT1_.kd
    .uniform_work_group_size: 1
    .uses_dynamic_stack: false
    .vgpr_count:     0
    .vgpr_spill_count: 0
    .wavefront_size: 64
  - .agpr_count:     0
    .args:
      - .offset:         0
        .size:           136
        .value_kind:     by_value
    .group_segment_fixed_size: 0
    .kernarg_segment_align: 8
    .kernarg_segment_size: 136
    .language:       OpenCL C
    .language_version:
      - 2
      - 0
    .max_flat_workgroup_size: 512
    .name:           _ZN7rocprim17ROCPRIM_400000_NS6detail17trampoline_kernelINS0_14default_configENS1_25partition_config_selectorILNS1_17partition_subalgoE8ElNS0_10empty_typeEbEEZZNS1_14partition_implILS5_8ELb0ES3_jPlPS6_PKS6_NS0_5tupleIJS9_S6_EEENSD_IJSA_SA_EEENS0_18inequality_wrapperIZN2at6native12_GLOBAL__N_124unique_dim_cuda_templateIlEESt5tupleIJNSH_6TensorESM_SM_EERKSM_lbbbEUlllE0_EEPmJS6_EEE10hipError_tPvRmT3_T4_T5_T6_T7_T9_mT8_P12ihipStream_tbDpT10_ENKUlT_T0_E_clISt17integral_constantIbLb1EES1C_EEDaS17_S18_EUlS17_E_NS1_11comp_targetILNS1_3genE8ELNS1_11target_archE1030ELNS1_3gpuE2ELNS1_3repE0EEENS1_30default_config_static_selectorELNS0_4arch9wavefront6targetE1EEEvT1_
    .private_segment_fixed_size: 0
    .sgpr_count:     4
    .sgpr_spill_count: 0
    .symbol:         _ZN7rocprim17ROCPRIM_400000_NS6detail17trampoline_kernelINS0_14default_configENS1_25partition_config_selectorILNS1_17partition_subalgoE8ElNS0_10empty_typeEbEEZZNS1_14partition_implILS5_8ELb0ES3_jPlPS6_PKS6_NS0_5tupleIJS9_S6_EEENSD_IJSA_SA_EEENS0_18inequality_wrapperIZN2at6native12_GLOBAL__N_124unique_dim_cuda_templateIlEESt5tupleIJNSH_6TensorESM_SM_EERKSM_lbbbEUlllE0_EEPmJS6_EEE10hipError_tPvRmT3_T4_T5_T6_T7_T9_mT8_P12ihipStream_tbDpT10_ENKUlT_T0_E_clISt17integral_constantIbLb1EES1C_EEDaS17_S18_EUlS17_E_NS1_11comp_targetILNS1_3genE8ELNS1_11target_archE1030ELNS1_3gpuE2ELNS1_3repE0EEENS1_30default_config_static_selectorELNS0_4arch9wavefront6targetE1EEEvT1_.kd
    .uniform_work_group_size: 1
    .uses_dynamic_stack: false
    .vgpr_count:     0
    .vgpr_spill_count: 0
    .wavefront_size: 64
  - .agpr_count:     0
    .args:
      - .offset:         0
        .size:           120
        .value_kind:     by_value
    .group_segment_fixed_size: 0
    .kernarg_segment_align: 8
    .kernarg_segment_size: 120
    .language:       OpenCL C
    .language_version:
      - 2
      - 0
    .max_flat_workgroup_size: 512
    .name:           _ZN7rocprim17ROCPRIM_400000_NS6detail17trampoline_kernelINS0_14default_configENS1_25partition_config_selectorILNS1_17partition_subalgoE8ElNS0_10empty_typeEbEEZZNS1_14partition_implILS5_8ELb0ES3_jPlPS6_PKS6_NS0_5tupleIJS9_S6_EEENSD_IJSA_SA_EEENS0_18inequality_wrapperIZN2at6native12_GLOBAL__N_124unique_dim_cuda_templateIlEESt5tupleIJNSH_6TensorESM_SM_EERKSM_lbbbEUlllE0_EEPmJS6_EEE10hipError_tPvRmT3_T4_T5_T6_T7_T9_mT8_P12ihipStream_tbDpT10_ENKUlT_T0_E_clISt17integral_constantIbLb1EES1B_IbLb0EEEEDaS17_S18_EUlS17_E_NS1_11comp_targetILNS1_3genE0ELNS1_11target_archE4294967295ELNS1_3gpuE0ELNS1_3repE0EEENS1_30default_config_static_selectorELNS0_4arch9wavefront6targetE1EEEvT1_
    .private_segment_fixed_size: 0
    .sgpr_count:     4
    .sgpr_spill_count: 0
    .symbol:         _ZN7rocprim17ROCPRIM_400000_NS6detail17trampoline_kernelINS0_14default_configENS1_25partition_config_selectorILNS1_17partition_subalgoE8ElNS0_10empty_typeEbEEZZNS1_14partition_implILS5_8ELb0ES3_jPlPS6_PKS6_NS0_5tupleIJS9_S6_EEENSD_IJSA_SA_EEENS0_18inequality_wrapperIZN2at6native12_GLOBAL__N_124unique_dim_cuda_templateIlEESt5tupleIJNSH_6TensorESM_SM_EERKSM_lbbbEUlllE0_EEPmJS6_EEE10hipError_tPvRmT3_T4_T5_T6_T7_T9_mT8_P12ihipStream_tbDpT10_ENKUlT_T0_E_clISt17integral_constantIbLb1EES1B_IbLb0EEEEDaS17_S18_EUlS17_E_NS1_11comp_targetILNS1_3genE0ELNS1_11target_archE4294967295ELNS1_3gpuE0ELNS1_3repE0EEENS1_30default_config_static_selectorELNS0_4arch9wavefront6targetE1EEEvT1_.kd
    .uniform_work_group_size: 1
    .uses_dynamic_stack: false
    .vgpr_count:     0
    .vgpr_spill_count: 0
    .wavefront_size: 64
  - .agpr_count:     0
    .args:
      - .offset:         0
        .size:           120
        .value_kind:     by_value
    .group_segment_fixed_size: 0
    .kernarg_segment_align: 8
    .kernarg_segment_size: 120
    .language:       OpenCL C
    .language_version:
      - 2
      - 0
    .max_flat_workgroup_size: 512
    .name:           _ZN7rocprim17ROCPRIM_400000_NS6detail17trampoline_kernelINS0_14default_configENS1_25partition_config_selectorILNS1_17partition_subalgoE8ElNS0_10empty_typeEbEEZZNS1_14partition_implILS5_8ELb0ES3_jPlPS6_PKS6_NS0_5tupleIJS9_S6_EEENSD_IJSA_SA_EEENS0_18inequality_wrapperIZN2at6native12_GLOBAL__N_124unique_dim_cuda_templateIlEESt5tupleIJNSH_6TensorESM_SM_EERKSM_lbbbEUlllE0_EEPmJS6_EEE10hipError_tPvRmT3_T4_T5_T6_T7_T9_mT8_P12ihipStream_tbDpT10_ENKUlT_T0_E_clISt17integral_constantIbLb1EES1B_IbLb0EEEEDaS17_S18_EUlS17_E_NS1_11comp_targetILNS1_3genE5ELNS1_11target_archE942ELNS1_3gpuE9ELNS1_3repE0EEENS1_30default_config_static_selectorELNS0_4arch9wavefront6targetE1EEEvT1_
    .private_segment_fixed_size: 0
    .sgpr_count:     4
    .sgpr_spill_count: 0
    .symbol:         _ZN7rocprim17ROCPRIM_400000_NS6detail17trampoline_kernelINS0_14default_configENS1_25partition_config_selectorILNS1_17partition_subalgoE8ElNS0_10empty_typeEbEEZZNS1_14partition_implILS5_8ELb0ES3_jPlPS6_PKS6_NS0_5tupleIJS9_S6_EEENSD_IJSA_SA_EEENS0_18inequality_wrapperIZN2at6native12_GLOBAL__N_124unique_dim_cuda_templateIlEESt5tupleIJNSH_6TensorESM_SM_EERKSM_lbbbEUlllE0_EEPmJS6_EEE10hipError_tPvRmT3_T4_T5_T6_T7_T9_mT8_P12ihipStream_tbDpT10_ENKUlT_T0_E_clISt17integral_constantIbLb1EES1B_IbLb0EEEEDaS17_S18_EUlS17_E_NS1_11comp_targetILNS1_3genE5ELNS1_11target_archE942ELNS1_3gpuE9ELNS1_3repE0EEENS1_30default_config_static_selectorELNS0_4arch9wavefront6targetE1EEEvT1_.kd
    .uniform_work_group_size: 1
    .uses_dynamic_stack: false
    .vgpr_count:     0
    .vgpr_spill_count: 0
    .wavefront_size: 64
  - .agpr_count:     0
    .args:
      - .offset:         0
        .size:           120
        .value_kind:     by_value
    .group_segment_fixed_size: 10252
    .kernarg_segment_align: 8
    .kernarg_segment_size: 120
    .language:       OpenCL C
    .language_version:
      - 2
      - 0
    .max_flat_workgroup_size: 256
    .name:           _ZN7rocprim17ROCPRIM_400000_NS6detail17trampoline_kernelINS0_14default_configENS1_25partition_config_selectorILNS1_17partition_subalgoE8ElNS0_10empty_typeEbEEZZNS1_14partition_implILS5_8ELb0ES3_jPlPS6_PKS6_NS0_5tupleIJS9_S6_EEENSD_IJSA_SA_EEENS0_18inequality_wrapperIZN2at6native12_GLOBAL__N_124unique_dim_cuda_templateIlEESt5tupleIJNSH_6TensorESM_SM_EERKSM_lbbbEUlllE0_EEPmJS6_EEE10hipError_tPvRmT3_T4_T5_T6_T7_T9_mT8_P12ihipStream_tbDpT10_ENKUlT_T0_E_clISt17integral_constantIbLb1EES1B_IbLb0EEEEDaS17_S18_EUlS17_E_NS1_11comp_targetILNS1_3genE4ELNS1_11target_archE910ELNS1_3gpuE8ELNS1_3repE0EEENS1_30default_config_static_selectorELNS0_4arch9wavefront6targetE1EEEvT1_
    .private_segment_fixed_size: 0
    .sgpr_count:     52
    .sgpr_spill_count: 0
    .symbol:         _ZN7rocprim17ROCPRIM_400000_NS6detail17trampoline_kernelINS0_14default_configENS1_25partition_config_selectorILNS1_17partition_subalgoE8ElNS0_10empty_typeEbEEZZNS1_14partition_implILS5_8ELb0ES3_jPlPS6_PKS6_NS0_5tupleIJS9_S6_EEENSD_IJSA_SA_EEENS0_18inequality_wrapperIZN2at6native12_GLOBAL__N_124unique_dim_cuda_templateIlEESt5tupleIJNSH_6TensorESM_SM_EERKSM_lbbbEUlllE0_EEPmJS6_EEE10hipError_tPvRmT3_T4_T5_T6_T7_T9_mT8_P12ihipStream_tbDpT10_ENKUlT_T0_E_clISt17integral_constantIbLb1EES1B_IbLb0EEEEDaS17_S18_EUlS17_E_NS1_11comp_targetILNS1_3genE4ELNS1_11target_archE910ELNS1_3gpuE8ELNS1_3repE0EEENS1_30default_config_static_selectorELNS0_4arch9wavefront6targetE1EEEvT1_.kd
    .uniform_work_group_size: 1
    .uses_dynamic_stack: false
    .vgpr_count:     46
    .vgpr_spill_count: 0
    .wavefront_size: 64
  - .agpr_count:     0
    .args:
      - .offset:         0
        .size:           120
        .value_kind:     by_value
    .group_segment_fixed_size: 0
    .kernarg_segment_align: 8
    .kernarg_segment_size: 120
    .language:       OpenCL C
    .language_version:
      - 2
      - 0
    .max_flat_workgroup_size: 512
    .name:           _ZN7rocprim17ROCPRIM_400000_NS6detail17trampoline_kernelINS0_14default_configENS1_25partition_config_selectorILNS1_17partition_subalgoE8ElNS0_10empty_typeEbEEZZNS1_14partition_implILS5_8ELb0ES3_jPlPS6_PKS6_NS0_5tupleIJS9_S6_EEENSD_IJSA_SA_EEENS0_18inequality_wrapperIZN2at6native12_GLOBAL__N_124unique_dim_cuda_templateIlEESt5tupleIJNSH_6TensorESM_SM_EERKSM_lbbbEUlllE0_EEPmJS6_EEE10hipError_tPvRmT3_T4_T5_T6_T7_T9_mT8_P12ihipStream_tbDpT10_ENKUlT_T0_E_clISt17integral_constantIbLb1EES1B_IbLb0EEEEDaS17_S18_EUlS17_E_NS1_11comp_targetILNS1_3genE3ELNS1_11target_archE908ELNS1_3gpuE7ELNS1_3repE0EEENS1_30default_config_static_selectorELNS0_4arch9wavefront6targetE1EEEvT1_
    .private_segment_fixed_size: 0
    .sgpr_count:     4
    .sgpr_spill_count: 0
    .symbol:         _ZN7rocprim17ROCPRIM_400000_NS6detail17trampoline_kernelINS0_14default_configENS1_25partition_config_selectorILNS1_17partition_subalgoE8ElNS0_10empty_typeEbEEZZNS1_14partition_implILS5_8ELb0ES3_jPlPS6_PKS6_NS0_5tupleIJS9_S6_EEENSD_IJSA_SA_EEENS0_18inequality_wrapperIZN2at6native12_GLOBAL__N_124unique_dim_cuda_templateIlEESt5tupleIJNSH_6TensorESM_SM_EERKSM_lbbbEUlllE0_EEPmJS6_EEE10hipError_tPvRmT3_T4_T5_T6_T7_T9_mT8_P12ihipStream_tbDpT10_ENKUlT_T0_E_clISt17integral_constantIbLb1EES1B_IbLb0EEEEDaS17_S18_EUlS17_E_NS1_11comp_targetILNS1_3genE3ELNS1_11target_archE908ELNS1_3gpuE7ELNS1_3repE0EEENS1_30default_config_static_selectorELNS0_4arch9wavefront6targetE1EEEvT1_.kd
    .uniform_work_group_size: 1
    .uses_dynamic_stack: false
    .vgpr_count:     0
    .vgpr_spill_count: 0
    .wavefront_size: 64
  - .agpr_count:     0
    .args:
      - .offset:         0
        .size:           120
        .value_kind:     by_value
    .group_segment_fixed_size: 0
    .kernarg_segment_align: 8
    .kernarg_segment_size: 120
    .language:       OpenCL C
    .language_version:
      - 2
      - 0
    .max_flat_workgroup_size: 256
    .name:           _ZN7rocprim17ROCPRIM_400000_NS6detail17trampoline_kernelINS0_14default_configENS1_25partition_config_selectorILNS1_17partition_subalgoE8ElNS0_10empty_typeEbEEZZNS1_14partition_implILS5_8ELb0ES3_jPlPS6_PKS6_NS0_5tupleIJS9_S6_EEENSD_IJSA_SA_EEENS0_18inequality_wrapperIZN2at6native12_GLOBAL__N_124unique_dim_cuda_templateIlEESt5tupleIJNSH_6TensorESM_SM_EERKSM_lbbbEUlllE0_EEPmJS6_EEE10hipError_tPvRmT3_T4_T5_T6_T7_T9_mT8_P12ihipStream_tbDpT10_ENKUlT_T0_E_clISt17integral_constantIbLb1EES1B_IbLb0EEEEDaS17_S18_EUlS17_E_NS1_11comp_targetILNS1_3genE2ELNS1_11target_archE906ELNS1_3gpuE6ELNS1_3repE0EEENS1_30default_config_static_selectorELNS0_4arch9wavefront6targetE1EEEvT1_
    .private_segment_fixed_size: 0
    .sgpr_count:     4
    .sgpr_spill_count: 0
    .symbol:         _ZN7rocprim17ROCPRIM_400000_NS6detail17trampoline_kernelINS0_14default_configENS1_25partition_config_selectorILNS1_17partition_subalgoE8ElNS0_10empty_typeEbEEZZNS1_14partition_implILS5_8ELb0ES3_jPlPS6_PKS6_NS0_5tupleIJS9_S6_EEENSD_IJSA_SA_EEENS0_18inequality_wrapperIZN2at6native12_GLOBAL__N_124unique_dim_cuda_templateIlEESt5tupleIJNSH_6TensorESM_SM_EERKSM_lbbbEUlllE0_EEPmJS6_EEE10hipError_tPvRmT3_T4_T5_T6_T7_T9_mT8_P12ihipStream_tbDpT10_ENKUlT_T0_E_clISt17integral_constantIbLb1EES1B_IbLb0EEEEDaS17_S18_EUlS17_E_NS1_11comp_targetILNS1_3genE2ELNS1_11target_archE906ELNS1_3gpuE6ELNS1_3repE0EEENS1_30default_config_static_selectorELNS0_4arch9wavefront6targetE1EEEvT1_.kd
    .uniform_work_group_size: 1
    .uses_dynamic_stack: false
    .vgpr_count:     0
    .vgpr_spill_count: 0
    .wavefront_size: 64
  - .agpr_count:     0
    .args:
      - .offset:         0
        .size:           120
        .value_kind:     by_value
    .group_segment_fixed_size: 0
    .kernarg_segment_align: 8
    .kernarg_segment_size: 120
    .language:       OpenCL C
    .language_version:
      - 2
      - 0
    .max_flat_workgroup_size: 384
    .name:           _ZN7rocprim17ROCPRIM_400000_NS6detail17trampoline_kernelINS0_14default_configENS1_25partition_config_selectorILNS1_17partition_subalgoE8ElNS0_10empty_typeEbEEZZNS1_14partition_implILS5_8ELb0ES3_jPlPS6_PKS6_NS0_5tupleIJS9_S6_EEENSD_IJSA_SA_EEENS0_18inequality_wrapperIZN2at6native12_GLOBAL__N_124unique_dim_cuda_templateIlEESt5tupleIJNSH_6TensorESM_SM_EERKSM_lbbbEUlllE0_EEPmJS6_EEE10hipError_tPvRmT3_T4_T5_T6_T7_T9_mT8_P12ihipStream_tbDpT10_ENKUlT_T0_E_clISt17integral_constantIbLb1EES1B_IbLb0EEEEDaS17_S18_EUlS17_E_NS1_11comp_targetILNS1_3genE10ELNS1_11target_archE1200ELNS1_3gpuE4ELNS1_3repE0EEENS1_30default_config_static_selectorELNS0_4arch9wavefront6targetE1EEEvT1_
    .private_segment_fixed_size: 0
    .sgpr_count:     4
    .sgpr_spill_count: 0
    .symbol:         _ZN7rocprim17ROCPRIM_400000_NS6detail17trampoline_kernelINS0_14default_configENS1_25partition_config_selectorILNS1_17partition_subalgoE8ElNS0_10empty_typeEbEEZZNS1_14partition_implILS5_8ELb0ES3_jPlPS6_PKS6_NS0_5tupleIJS9_S6_EEENSD_IJSA_SA_EEENS0_18inequality_wrapperIZN2at6native12_GLOBAL__N_124unique_dim_cuda_templateIlEESt5tupleIJNSH_6TensorESM_SM_EERKSM_lbbbEUlllE0_EEPmJS6_EEE10hipError_tPvRmT3_T4_T5_T6_T7_T9_mT8_P12ihipStream_tbDpT10_ENKUlT_T0_E_clISt17integral_constantIbLb1EES1B_IbLb0EEEEDaS17_S18_EUlS17_E_NS1_11comp_targetILNS1_3genE10ELNS1_11target_archE1200ELNS1_3gpuE4ELNS1_3repE0EEENS1_30default_config_static_selectorELNS0_4arch9wavefront6targetE1EEEvT1_.kd
    .uniform_work_group_size: 1
    .uses_dynamic_stack: false
    .vgpr_count:     0
    .vgpr_spill_count: 0
    .wavefront_size: 64
  - .agpr_count:     0
    .args:
      - .offset:         0
        .size:           120
        .value_kind:     by_value
    .group_segment_fixed_size: 0
    .kernarg_segment_align: 8
    .kernarg_segment_size: 120
    .language:       OpenCL C
    .language_version:
      - 2
      - 0
    .max_flat_workgroup_size: 512
    .name:           _ZN7rocprim17ROCPRIM_400000_NS6detail17trampoline_kernelINS0_14default_configENS1_25partition_config_selectorILNS1_17partition_subalgoE8ElNS0_10empty_typeEbEEZZNS1_14partition_implILS5_8ELb0ES3_jPlPS6_PKS6_NS0_5tupleIJS9_S6_EEENSD_IJSA_SA_EEENS0_18inequality_wrapperIZN2at6native12_GLOBAL__N_124unique_dim_cuda_templateIlEESt5tupleIJNSH_6TensorESM_SM_EERKSM_lbbbEUlllE0_EEPmJS6_EEE10hipError_tPvRmT3_T4_T5_T6_T7_T9_mT8_P12ihipStream_tbDpT10_ENKUlT_T0_E_clISt17integral_constantIbLb1EES1B_IbLb0EEEEDaS17_S18_EUlS17_E_NS1_11comp_targetILNS1_3genE9ELNS1_11target_archE1100ELNS1_3gpuE3ELNS1_3repE0EEENS1_30default_config_static_selectorELNS0_4arch9wavefront6targetE1EEEvT1_
    .private_segment_fixed_size: 0
    .sgpr_count:     4
    .sgpr_spill_count: 0
    .symbol:         _ZN7rocprim17ROCPRIM_400000_NS6detail17trampoline_kernelINS0_14default_configENS1_25partition_config_selectorILNS1_17partition_subalgoE8ElNS0_10empty_typeEbEEZZNS1_14partition_implILS5_8ELb0ES3_jPlPS6_PKS6_NS0_5tupleIJS9_S6_EEENSD_IJSA_SA_EEENS0_18inequality_wrapperIZN2at6native12_GLOBAL__N_124unique_dim_cuda_templateIlEESt5tupleIJNSH_6TensorESM_SM_EERKSM_lbbbEUlllE0_EEPmJS6_EEE10hipError_tPvRmT3_T4_T5_T6_T7_T9_mT8_P12ihipStream_tbDpT10_ENKUlT_T0_E_clISt17integral_constantIbLb1EES1B_IbLb0EEEEDaS17_S18_EUlS17_E_NS1_11comp_targetILNS1_3genE9ELNS1_11target_archE1100ELNS1_3gpuE3ELNS1_3repE0EEENS1_30default_config_static_selectorELNS0_4arch9wavefront6targetE1EEEvT1_.kd
    .uniform_work_group_size: 1
    .uses_dynamic_stack: false
    .vgpr_count:     0
    .vgpr_spill_count: 0
    .wavefront_size: 64
  - .agpr_count:     0
    .args:
      - .offset:         0
        .size:           120
        .value_kind:     by_value
    .group_segment_fixed_size: 0
    .kernarg_segment_align: 8
    .kernarg_segment_size: 120
    .language:       OpenCL C
    .language_version:
      - 2
      - 0
    .max_flat_workgroup_size: 512
    .name:           _ZN7rocprim17ROCPRIM_400000_NS6detail17trampoline_kernelINS0_14default_configENS1_25partition_config_selectorILNS1_17partition_subalgoE8ElNS0_10empty_typeEbEEZZNS1_14partition_implILS5_8ELb0ES3_jPlPS6_PKS6_NS0_5tupleIJS9_S6_EEENSD_IJSA_SA_EEENS0_18inequality_wrapperIZN2at6native12_GLOBAL__N_124unique_dim_cuda_templateIlEESt5tupleIJNSH_6TensorESM_SM_EERKSM_lbbbEUlllE0_EEPmJS6_EEE10hipError_tPvRmT3_T4_T5_T6_T7_T9_mT8_P12ihipStream_tbDpT10_ENKUlT_T0_E_clISt17integral_constantIbLb1EES1B_IbLb0EEEEDaS17_S18_EUlS17_E_NS1_11comp_targetILNS1_3genE8ELNS1_11target_archE1030ELNS1_3gpuE2ELNS1_3repE0EEENS1_30default_config_static_selectorELNS0_4arch9wavefront6targetE1EEEvT1_
    .private_segment_fixed_size: 0
    .sgpr_count:     4
    .sgpr_spill_count: 0
    .symbol:         _ZN7rocprim17ROCPRIM_400000_NS6detail17trampoline_kernelINS0_14default_configENS1_25partition_config_selectorILNS1_17partition_subalgoE8ElNS0_10empty_typeEbEEZZNS1_14partition_implILS5_8ELb0ES3_jPlPS6_PKS6_NS0_5tupleIJS9_S6_EEENSD_IJSA_SA_EEENS0_18inequality_wrapperIZN2at6native12_GLOBAL__N_124unique_dim_cuda_templateIlEESt5tupleIJNSH_6TensorESM_SM_EERKSM_lbbbEUlllE0_EEPmJS6_EEE10hipError_tPvRmT3_T4_T5_T6_T7_T9_mT8_P12ihipStream_tbDpT10_ENKUlT_T0_E_clISt17integral_constantIbLb1EES1B_IbLb0EEEEDaS17_S18_EUlS17_E_NS1_11comp_targetILNS1_3genE8ELNS1_11target_archE1030ELNS1_3gpuE2ELNS1_3repE0EEENS1_30default_config_static_selectorELNS0_4arch9wavefront6targetE1EEEvT1_.kd
    .uniform_work_group_size: 1
    .uses_dynamic_stack: false
    .vgpr_count:     0
    .vgpr_spill_count: 0
    .wavefront_size: 64
  - .agpr_count:     0
    .args:
      - .offset:         0
        .size:           136
        .value_kind:     by_value
    .group_segment_fixed_size: 0
    .kernarg_segment_align: 8
    .kernarg_segment_size: 136
    .language:       OpenCL C
    .language_version:
      - 2
      - 0
    .max_flat_workgroup_size: 512
    .name:           _ZN7rocprim17ROCPRIM_400000_NS6detail17trampoline_kernelINS0_14default_configENS1_25partition_config_selectorILNS1_17partition_subalgoE8ElNS0_10empty_typeEbEEZZNS1_14partition_implILS5_8ELb0ES3_jPlPS6_PKS6_NS0_5tupleIJS9_S6_EEENSD_IJSA_SA_EEENS0_18inequality_wrapperIZN2at6native12_GLOBAL__N_124unique_dim_cuda_templateIlEESt5tupleIJNSH_6TensorESM_SM_EERKSM_lbbbEUlllE0_EEPmJS6_EEE10hipError_tPvRmT3_T4_T5_T6_T7_T9_mT8_P12ihipStream_tbDpT10_ENKUlT_T0_E_clISt17integral_constantIbLb0EES1B_IbLb1EEEEDaS17_S18_EUlS17_E_NS1_11comp_targetILNS1_3genE0ELNS1_11target_archE4294967295ELNS1_3gpuE0ELNS1_3repE0EEENS1_30default_config_static_selectorELNS0_4arch9wavefront6targetE1EEEvT1_
    .private_segment_fixed_size: 0
    .sgpr_count:     4
    .sgpr_spill_count: 0
    .symbol:         _ZN7rocprim17ROCPRIM_400000_NS6detail17trampoline_kernelINS0_14default_configENS1_25partition_config_selectorILNS1_17partition_subalgoE8ElNS0_10empty_typeEbEEZZNS1_14partition_implILS5_8ELb0ES3_jPlPS6_PKS6_NS0_5tupleIJS9_S6_EEENSD_IJSA_SA_EEENS0_18inequality_wrapperIZN2at6native12_GLOBAL__N_124unique_dim_cuda_templateIlEESt5tupleIJNSH_6TensorESM_SM_EERKSM_lbbbEUlllE0_EEPmJS6_EEE10hipError_tPvRmT3_T4_T5_T6_T7_T9_mT8_P12ihipStream_tbDpT10_ENKUlT_T0_E_clISt17integral_constantIbLb0EES1B_IbLb1EEEEDaS17_S18_EUlS17_E_NS1_11comp_targetILNS1_3genE0ELNS1_11target_archE4294967295ELNS1_3gpuE0ELNS1_3repE0EEENS1_30default_config_static_selectorELNS0_4arch9wavefront6targetE1EEEvT1_.kd
    .uniform_work_group_size: 1
    .uses_dynamic_stack: false
    .vgpr_count:     0
    .vgpr_spill_count: 0
    .wavefront_size: 64
  - .agpr_count:     0
    .args:
      - .offset:         0
        .size:           136
        .value_kind:     by_value
    .group_segment_fixed_size: 0
    .kernarg_segment_align: 8
    .kernarg_segment_size: 136
    .language:       OpenCL C
    .language_version:
      - 2
      - 0
    .max_flat_workgroup_size: 512
    .name:           _ZN7rocprim17ROCPRIM_400000_NS6detail17trampoline_kernelINS0_14default_configENS1_25partition_config_selectorILNS1_17partition_subalgoE8ElNS0_10empty_typeEbEEZZNS1_14partition_implILS5_8ELb0ES3_jPlPS6_PKS6_NS0_5tupleIJS9_S6_EEENSD_IJSA_SA_EEENS0_18inequality_wrapperIZN2at6native12_GLOBAL__N_124unique_dim_cuda_templateIlEESt5tupleIJNSH_6TensorESM_SM_EERKSM_lbbbEUlllE0_EEPmJS6_EEE10hipError_tPvRmT3_T4_T5_T6_T7_T9_mT8_P12ihipStream_tbDpT10_ENKUlT_T0_E_clISt17integral_constantIbLb0EES1B_IbLb1EEEEDaS17_S18_EUlS17_E_NS1_11comp_targetILNS1_3genE5ELNS1_11target_archE942ELNS1_3gpuE9ELNS1_3repE0EEENS1_30default_config_static_selectorELNS0_4arch9wavefront6targetE1EEEvT1_
    .private_segment_fixed_size: 0
    .sgpr_count:     4
    .sgpr_spill_count: 0
    .symbol:         _ZN7rocprim17ROCPRIM_400000_NS6detail17trampoline_kernelINS0_14default_configENS1_25partition_config_selectorILNS1_17partition_subalgoE8ElNS0_10empty_typeEbEEZZNS1_14partition_implILS5_8ELb0ES3_jPlPS6_PKS6_NS0_5tupleIJS9_S6_EEENSD_IJSA_SA_EEENS0_18inequality_wrapperIZN2at6native12_GLOBAL__N_124unique_dim_cuda_templateIlEESt5tupleIJNSH_6TensorESM_SM_EERKSM_lbbbEUlllE0_EEPmJS6_EEE10hipError_tPvRmT3_T4_T5_T6_T7_T9_mT8_P12ihipStream_tbDpT10_ENKUlT_T0_E_clISt17integral_constantIbLb0EES1B_IbLb1EEEEDaS17_S18_EUlS17_E_NS1_11comp_targetILNS1_3genE5ELNS1_11target_archE942ELNS1_3gpuE9ELNS1_3repE0EEENS1_30default_config_static_selectorELNS0_4arch9wavefront6targetE1EEEvT1_.kd
    .uniform_work_group_size: 1
    .uses_dynamic_stack: false
    .vgpr_count:     0
    .vgpr_spill_count: 0
    .wavefront_size: 64
  - .agpr_count:     0
    .args:
      - .offset:         0
        .size:           136
        .value_kind:     by_value
    .group_segment_fixed_size: 10252
    .kernarg_segment_align: 8
    .kernarg_segment_size: 136
    .language:       OpenCL C
    .language_version:
      - 2
      - 0
    .max_flat_workgroup_size: 256
    .name:           _ZN7rocprim17ROCPRIM_400000_NS6detail17trampoline_kernelINS0_14default_configENS1_25partition_config_selectorILNS1_17partition_subalgoE8ElNS0_10empty_typeEbEEZZNS1_14partition_implILS5_8ELb0ES3_jPlPS6_PKS6_NS0_5tupleIJS9_S6_EEENSD_IJSA_SA_EEENS0_18inequality_wrapperIZN2at6native12_GLOBAL__N_124unique_dim_cuda_templateIlEESt5tupleIJNSH_6TensorESM_SM_EERKSM_lbbbEUlllE0_EEPmJS6_EEE10hipError_tPvRmT3_T4_T5_T6_T7_T9_mT8_P12ihipStream_tbDpT10_ENKUlT_T0_E_clISt17integral_constantIbLb0EES1B_IbLb1EEEEDaS17_S18_EUlS17_E_NS1_11comp_targetILNS1_3genE4ELNS1_11target_archE910ELNS1_3gpuE8ELNS1_3repE0EEENS1_30default_config_static_selectorELNS0_4arch9wavefront6targetE1EEEvT1_
    .private_segment_fixed_size: 0
    .sgpr_count:     56
    .sgpr_spill_count: 0
    .symbol:         _ZN7rocprim17ROCPRIM_400000_NS6detail17trampoline_kernelINS0_14default_configENS1_25partition_config_selectorILNS1_17partition_subalgoE8ElNS0_10empty_typeEbEEZZNS1_14partition_implILS5_8ELb0ES3_jPlPS6_PKS6_NS0_5tupleIJS9_S6_EEENSD_IJSA_SA_EEENS0_18inequality_wrapperIZN2at6native12_GLOBAL__N_124unique_dim_cuda_templateIlEESt5tupleIJNSH_6TensorESM_SM_EERKSM_lbbbEUlllE0_EEPmJS6_EEE10hipError_tPvRmT3_T4_T5_T6_T7_T9_mT8_P12ihipStream_tbDpT10_ENKUlT_T0_E_clISt17integral_constantIbLb0EES1B_IbLb1EEEEDaS17_S18_EUlS17_E_NS1_11comp_targetILNS1_3genE4ELNS1_11target_archE910ELNS1_3gpuE8ELNS1_3repE0EEENS1_30default_config_static_selectorELNS0_4arch9wavefront6targetE1EEEvT1_.kd
    .uniform_work_group_size: 1
    .uses_dynamic_stack: false
    .vgpr_count:     46
    .vgpr_spill_count: 0
    .wavefront_size: 64
  - .agpr_count:     0
    .args:
      - .offset:         0
        .size:           136
        .value_kind:     by_value
    .group_segment_fixed_size: 0
    .kernarg_segment_align: 8
    .kernarg_segment_size: 136
    .language:       OpenCL C
    .language_version:
      - 2
      - 0
    .max_flat_workgroup_size: 512
    .name:           _ZN7rocprim17ROCPRIM_400000_NS6detail17trampoline_kernelINS0_14default_configENS1_25partition_config_selectorILNS1_17partition_subalgoE8ElNS0_10empty_typeEbEEZZNS1_14partition_implILS5_8ELb0ES3_jPlPS6_PKS6_NS0_5tupleIJS9_S6_EEENSD_IJSA_SA_EEENS0_18inequality_wrapperIZN2at6native12_GLOBAL__N_124unique_dim_cuda_templateIlEESt5tupleIJNSH_6TensorESM_SM_EERKSM_lbbbEUlllE0_EEPmJS6_EEE10hipError_tPvRmT3_T4_T5_T6_T7_T9_mT8_P12ihipStream_tbDpT10_ENKUlT_T0_E_clISt17integral_constantIbLb0EES1B_IbLb1EEEEDaS17_S18_EUlS17_E_NS1_11comp_targetILNS1_3genE3ELNS1_11target_archE908ELNS1_3gpuE7ELNS1_3repE0EEENS1_30default_config_static_selectorELNS0_4arch9wavefront6targetE1EEEvT1_
    .private_segment_fixed_size: 0
    .sgpr_count:     4
    .sgpr_spill_count: 0
    .symbol:         _ZN7rocprim17ROCPRIM_400000_NS6detail17trampoline_kernelINS0_14default_configENS1_25partition_config_selectorILNS1_17partition_subalgoE8ElNS0_10empty_typeEbEEZZNS1_14partition_implILS5_8ELb0ES3_jPlPS6_PKS6_NS0_5tupleIJS9_S6_EEENSD_IJSA_SA_EEENS0_18inequality_wrapperIZN2at6native12_GLOBAL__N_124unique_dim_cuda_templateIlEESt5tupleIJNSH_6TensorESM_SM_EERKSM_lbbbEUlllE0_EEPmJS6_EEE10hipError_tPvRmT3_T4_T5_T6_T7_T9_mT8_P12ihipStream_tbDpT10_ENKUlT_T0_E_clISt17integral_constantIbLb0EES1B_IbLb1EEEEDaS17_S18_EUlS17_E_NS1_11comp_targetILNS1_3genE3ELNS1_11target_archE908ELNS1_3gpuE7ELNS1_3repE0EEENS1_30default_config_static_selectorELNS0_4arch9wavefront6targetE1EEEvT1_.kd
    .uniform_work_group_size: 1
    .uses_dynamic_stack: false
    .vgpr_count:     0
    .vgpr_spill_count: 0
    .wavefront_size: 64
  - .agpr_count:     0
    .args:
      - .offset:         0
        .size:           136
        .value_kind:     by_value
    .group_segment_fixed_size: 0
    .kernarg_segment_align: 8
    .kernarg_segment_size: 136
    .language:       OpenCL C
    .language_version:
      - 2
      - 0
    .max_flat_workgroup_size: 256
    .name:           _ZN7rocprim17ROCPRIM_400000_NS6detail17trampoline_kernelINS0_14default_configENS1_25partition_config_selectorILNS1_17partition_subalgoE8ElNS0_10empty_typeEbEEZZNS1_14partition_implILS5_8ELb0ES3_jPlPS6_PKS6_NS0_5tupleIJS9_S6_EEENSD_IJSA_SA_EEENS0_18inequality_wrapperIZN2at6native12_GLOBAL__N_124unique_dim_cuda_templateIlEESt5tupleIJNSH_6TensorESM_SM_EERKSM_lbbbEUlllE0_EEPmJS6_EEE10hipError_tPvRmT3_T4_T5_T6_T7_T9_mT8_P12ihipStream_tbDpT10_ENKUlT_T0_E_clISt17integral_constantIbLb0EES1B_IbLb1EEEEDaS17_S18_EUlS17_E_NS1_11comp_targetILNS1_3genE2ELNS1_11target_archE906ELNS1_3gpuE6ELNS1_3repE0EEENS1_30default_config_static_selectorELNS0_4arch9wavefront6targetE1EEEvT1_
    .private_segment_fixed_size: 0
    .sgpr_count:     4
    .sgpr_spill_count: 0
    .symbol:         _ZN7rocprim17ROCPRIM_400000_NS6detail17trampoline_kernelINS0_14default_configENS1_25partition_config_selectorILNS1_17partition_subalgoE8ElNS0_10empty_typeEbEEZZNS1_14partition_implILS5_8ELb0ES3_jPlPS6_PKS6_NS0_5tupleIJS9_S6_EEENSD_IJSA_SA_EEENS0_18inequality_wrapperIZN2at6native12_GLOBAL__N_124unique_dim_cuda_templateIlEESt5tupleIJNSH_6TensorESM_SM_EERKSM_lbbbEUlllE0_EEPmJS6_EEE10hipError_tPvRmT3_T4_T5_T6_T7_T9_mT8_P12ihipStream_tbDpT10_ENKUlT_T0_E_clISt17integral_constantIbLb0EES1B_IbLb1EEEEDaS17_S18_EUlS17_E_NS1_11comp_targetILNS1_3genE2ELNS1_11target_archE906ELNS1_3gpuE6ELNS1_3repE0EEENS1_30default_config_static_selectorELNS0_4arch9wavefront6targetE1EEEvT1_.kd
    .uniform_work_group_size: 1
    .uses_dynamic_stack: false
    .vgpr_count:     0
    .vgpr_spill_count: 0
    .wavefront_size: 64
  - .agpr_count:     0
    .args:
      - .offset:         0
        .size:           136
        .value_kind:     by_value
    .group_segment_fixed_size: 0
    .kernarg_segment_align: 8
    .kernarg_segment_size: 136
    .language:       OpenCL C
    .language_version:
      - 2
      - 0
    .max_flat_workgroup_size: 384
    .name:           _ZN7rocprim17ROCPRIM_400000_NS6detail17trampoline_kernelINS0_14default_configENS1_25partition_config_selectorILNS1_17partition_subalgoE8ElNS0_10empty_typeEbEEZZNS1_14partition_implILS5_8ELb0ES3_jPlPS6_PKS6_NS0_5tupleIJS9_S6_EEENSD_IJSA_SA_EEENS0_18inequality_wrapperIZN2at6native12_GLOBAL__N_124unique_dim_cuda_templateIlEESt5tupleIJNSH_6TensorESM_SM_EERKSM_lbbbEUlllE0_EEPmJS6_EEE10hipError_tPvRmT3_T4_T5_T6_T7_T9_mT8_P12ihipStream_tbDpT10_ENKUlT_T0_E_clISt17integral_constantIbLb0EES1B_IbLb1EEEEDaS17_S18_EUlS17_E_NS1_11comp_targetILNS1_3genE10ELNS1_11target_archE1200ELNS1_3gpuE4ELNS1_3repE0EEENS1_30default_config_static_selectorELNS0_4arch9wavefront6targetE1EEEvT1_
    .private_segment_fixed_size: 0
    .sgpr_count:     4
    .sgpr_spill_count: 0
    .symbol:         _ZN7rocprim17ROCPRIM_400000_NS6detail17trampoline_kernelINS0_14default_configENS1_25partition_config_selectorILNS1_17partition_subalgoE8ElNS0_10empty_typeEbEEZZNS1_14partition_implILS5_8ELb0ES3_jPlPS6_PKS6_NS0_5tupleIJS9_S6_EEENSD_IJSA_SA_EEENS0_18inequality_wrapperIZN2at6native12_GLOBAL__N_124unique_dim_cuda_templateIlEESt5tupleIJNSH_6TensorESM_SM_EERKSM_lbbbEUlllE0_EEPmJS6_EEE10hipError_tPvRmT3_T4_T5_T6_T7_T9_mT8_P12ihipStream_tbDpT10_ENKUlT_T0_E_clISt17integral_constantIbLb0EES1B_IbLb1EEEEDaS17_S18_EUlS17_E_NS1_11comp_targetILNS1_3genE10ELNS1_11target_archE1200ELNS1_3gpuE4ELNS1_3repE0EEENS1_30default_config_static_selectorELNS0_4arch9wavefront6targetE1EEEvT1_.kd
    .uniform_work_group_size: 1
    .uses_dynamic_stack: false
    .vgpr_count:     0
    .vgpr_spill_count: 0
    .wavefront_size: 64
  - .agpr_count:     0
    .args:
      - .offset:         0
        .size:           136
        .value_kind:     by_value
    .group_segment_fixed_size: 0
    .kernarg_segment_align: 8
    .kernarg_segment_size: 136
    .language:       OpenCL C
    .language_version:
      - 2
      - 0
    .max_flat_workgroup_size: 512
    .name:           _ZN7rocprim17ROCPRIM_400000_NS6detail17trampoline_kernelINS0_14default_configENS1_25partition_config_selectorILNS1_17partition_subalgoE8ElNS0_10empty_typeEbEEZZNS1_14partition_implILS5_8ELb0ES3_jPlPS6_PKS6_NS0_5tupleIJS9_S6_EEENSD_IJSA_SA_EEENS0_18inequality_wrapperIZN2at6native12_GLOBAL__N_124unique_dim_cuda_templateIlEESt5tupleIJNSH_6TensorESM_SM_EERKSM_lbbbEUlllE0_EEPmJS6_EEE10hipError_tPvRmT3_T4_T5_T6_T7_T9_mT8_P12ihipStream_tbDpT10_ENKUlT_T0_E_clISt17integral_constantIbLb0EES1B_IbLb1EEEEDaS17_S18_EUlS17_E_NS1_11comp_targetILNS1_3genE9ELNS1_11target_archE1100ELNS1_3gpuE3ELNS1_3repE0EEENS1_30default_config_static_selectorELNS0_4arch9wavefront6targetE1EEEvT1_
    .private_segment_fixed_size: 0
    .sgpr_count:     4
    .sgpr_spill_count: 0
    .symbol:         _ZN7rocprim17ROCPRIM_400000_NS6detail17trampoline_kernelINS0_14default_configENS1_25partition_config_selectorILNS1_17partition_subalgoE8ElNS0_10empty_typeEbEEZZNS1_14partition_implILS5_8ELb0ES3_jPlPS6_PKS6_NS0_5tupleIJS9_S6_EEENSD_IJSA_SA_EEENS0_18inequality_wrapperIZN2at6native12_GLOBAL__N_124unique_dim_cuda_templateIlEESt5tupleIJNSH_6TensorESM_SM_EERKSM_lbbbEUlllE0_EEPmJS6_EEE10hipError_tPvRmT3_T4_T5_T6_T7_T9_mT8_P12ihipStream_tbDpT10_ENKUlT_T0_E_clISt17integral_constantIbLb0EES1B_IbLb1EEEEDaS17_S18_EUlS17_E_NS1_11comp_targetILNS1_3genE9ELNS1_11target_archE1100ELNS1_3gpuE3ELNS1_3repE0EEENS1_30default_config_static_selectorELNS0_4arch9wavefront6targetE1EEEvT1_.kd
    .uniform_work_group_size: 1
    .uses_dynamic_stack: false
    .vgpr_count:     0
    .vgpr_spill_count: 0
    .wavefront_size: 64
  - .agpr_count:     0
    .args:
      - .offset:         0
        .size:           136
        .value_kind:     by_value
    .group_segment_fixed_size: 0
    .kernarg_segment_align: 8
    .kernarg_segment_size: 136
    .language:       OpenCL C
    .language_version:
      - 2
      - 0
    .max_flat_workgroup_size: 512
    .name:           _ZN7rocprim17ROCPRIM_400000_NS6detail17trampoline_kernelINS0_14default_configENS1_25partition_config_selectorILNS1_17partition_subalgoE8ElNS0_10empty_typeEbEEZZNS1_14partition_implILS5_8ELb0ES3_jPlPS6_PKS6_NS0_5tupleIJS9_S6_EEENSD_IJSA_SA_EEENS0_18inequality_wrapperIZN2at6native12_GLOBAL__N_124unique_dim_cuda_templateIlEESt5tupleIJNSH_6TensorESM_SM_EERKSM_lbbbEUlllE0_EEPmJS6_EEE10hipError_tPvRmT3_T4_T5_T6_T7_T9_mT8_P12ihipStream_tbDpT10_ENKUlT_T0_E_clISt17integral_constantIbLb0EES1B_IbLb1EEEEDaS17_S18_EUlS17_E_NS1_11comp_targetILNS1_3genE8ELNS1_11target_archE1030ELNS1_3gpuE2ELNS1_3repE0EEENS1_30default_config_static_selectorELNS0_4arch9wavefront6targetE1EEEvT1_
    .private_segment_fixed_size: 0
    .sgpr_count:     4
    .sgpr_spill_count: 0
    .symbol:         _ZN7rocprim17ROCPRIM_400000_NS6detail17trampoline_kernelINS0_14default_configENS1_25partition_config_selectorILNS1_17partition_subalgoE8ElNS0_10empty_typeEbEEZZNS1_14partition_implILS5_8ELb0ES3_jPlPS6_PKS6_NS0_5tupleIJS9_S6_EEENSD_IJSA_SA_EEENS0_18inequality_wrapperIZN2at6native12_GLOBAL__N_124unique_dim_cuda_templateIlEESt5tupleIJNSH_6TensorESM_SM_EERKSM_lbbbEUlllE0_EEPmJS6_EEE10hipError_tPvRmT3_T4_T5_T6_T7_T9_mT8_P12ihipStream_tbDpT10_ENKUlT_T0_E_clISt17integral_constantIbLb0EES1B_IbLb1EEEEDaS17_S18_EUlS17_E_NS1_11comp_targetILNS1_3genE8ELNS1_11target_archE1030ELNS1_3gpuE2ELNS1_3repE0EEENS1_30default_config_static_selectorELNS0_4arch9wavefront6targetE1EEEvT1_.kd
    .uniform_work_group_size: 1
    .uses_dynamic_stack: false
    .vgpr_count:     0
    .vgpr_spill_count: 0
    .wavefront_size: 64
  - .agpr_count:     0
    .args:
      - .offset:         0
        .size:           120
        .value_kind:     by_value
    .group_segment_fixed_size: 0
    .kernarg_segment_align: 8
    .kernarg_segment_size: 120
    .language:       OpenCL C
    .language_version:
      - 2
      - 0
    .max_flat_workgroup_size: 128
    .name:           _ZN7rocprim17ROCPRIM_400000_NS6detail17trampoline_kernelINS0_14default_configENS1_25partition_config_selectorILNS1_17partition_subalgoE9EllbEEZZNS1_14partition_implILS5_9ELb0ES3_jPlS8_PNS0_10empty_typeENS0_5tupleIJS8_S9_EEENSB_IJS8_SA_EEENS0_18inequality_wrapperIZN2at6native12_GLOBAL__N_124unique_dim_cuda_templateIlEESt5tupleIJNSF_6TensorESK_SK_EERKSK_lbbbEUlllE0_EEPmJS9_EEE10hipError_tPvRmT3_T4_T5_T6_T7_T9_mT8_P12ihipStream_tbDpT10_ENKUlT_T0_E_clISt17integral_constantIbLb0EES1A_EEDaS15_S16_EUlS15_E_NS1_11comp_targetILNS1_3genE0ELNS1_11target_archE4294967295ELNS1_3gpuE0ELNS1_3repE0EEENS1_30default_config_static_selectorELNS0_4arch9wavefront6targetE1EEEvT1_
    .private_segment_fixed_size: 0
    .sgpr_count:     4
    .sgpr_spill_count: 0
    .symbol:         _ZN7rocprim17ROCPRIM_400000_NS6detail17trampoline_kernelINS0_14default_configENS1_25partition_config_selectorILNS1_17partition_subalgoE9EllbEEZZNS1_14partition_implILS5_9ELb0ES3_jPlS8_PNS0_10empty_typeENS0_5tupleIJS8_S9_EEENSB_IJS8_SA_EEENS0_18inequality_wrapperIZN2at6native12_GLOBAL__N_124unique_dim_cuda_templateIlEESt5tupleIJNSF_6TensorESK_SK_EERKSK_lbbbEUlllE0_EEPmJS9_EEE10hipError_tPvRmT3_T4_T5_T6_T7_T9_mT8_P12ihipStream_tbDpT10_ENKUlT_T0_E_clISt17integral_constantIbLb0EES1A_EEDaS15_S16_EUlS15_E_NS1_11comp_targetILNS1_3genE0ELNS1_11target_archE4294967295ELNS1_3gpuE0ELNS1_3repE0EEENS1_30default_config_static_selectorELNS0_4arch9wavefront6targetE1EEEvT1_.kd
    .uniform_work_group_size: 1
    .uses_dynamic_stack: false
    .vgpr_count:     0
    .vgpr_spill_count: 0
    .wavefront_size: 64
  - .agpr_count:     0
    .args:
      - .offset:         0
        .size:           120
        .value_kind:     by_value
    .group_segment_fixed_size: 0
    .kernarg_segment_align: 8
    .kernarg_segment_size: 120
    .language:       OpenCL C
    .language_version:
      - 2
      - 0
    .max_flat_workgroup_size: 512
    .name:           _ZN7rocprim17ROCPRIM_400000_NS6detail17trampoline_kernelINS0_14default_configENS1_25partition_config_selectorILNS1_17partition_subalgoE9EllbEEZZNS1_14partition_implILS5_9ELb0ES3_jPlS8_PNS0_10empty_typeENS0_5tupleIJS8_S9_EEENSB_IJS8_SA_EEENS0_18inequality_wrapperIZN2at6native12_GLOBAL__N_124unique_dim_cuda_templateIlEESt5tupleIJNSF_6TensorESK_SK_EERKSK_lbbbEUlllE0_EEPmJS9_EEE10hipError_tPvRmT3_T4_T5_T6_T7_T9_mT8_P12ihipStream_tbDpT10_ENKUlT_T0_E_clISt17integral_constantIbLb0EES1A_EEDaS15_S16_EUlS15_E_NS1_11comp_targetILNS1_3genE5ELNS1_11target_archE942ELNS1_3gpuE9ELNS1_3repE0EEENS1_30default_config_static_selectorELNS0_4arch9wavefront6targetE1EEEvT1_
    .private_segment_fixed_size: 0
    .sgpr_count:     4
    .sgpr_spill_count: 0
    .symbol:         _ZN7rocprim17ROCPRIM_400000_NS6detail17trampoline_kernelINS0_14default_configENS1_25partition_config_selectorILNS1_17partition_subalgoE9EllbEEZZNS1_14partition_implILS5_9ELb0ES3_jPlS8_PNS0_10empty_typeENS0_5tupleIJS8_S9_EEENSB_IJS8_SA_EEENS0_18inequality_wrapperIZN2at6native12_GLOBAL__N_124unique_dim_cuda_templateIlEESt5tupleIJNSF_6TensorESK_SK_EERKSK_lbbbEUlllE0_EEPmJS9_EEE10hipError_tPvRmT3_T4_T5_T6_T7_T9_mT8_P12ihipStream_tbDpT10_ENKUlT_T0_E_clISt17integral_constantIbLb0EES1A_EEDaS15_S16_EUlS15_E_NS1_11comp_targetILNS1_3genE5ELNS1_11target_archE942ELNS1_3gpuE9ELNS1_3repE0EEENS1_30default_config_static_selectorELNS0_4arch9wavefront6targetE1EEEvT1_.kd
    .uniform_work_group_size: 1
    .uses_dynamic_stack: false
    .vgpr_count:     0
    .vgpr_spill_count: 0
    .wavefront_size: 64
  - .agpr_count:     0
    .args:
      - .offset:         0
        .size:           120
        .value_kind:     by_value
    .group_segment_fixed_size: 4236
    .kernarg_segment_align: 8
    .kernarg_segment_size: 120
    .language:       OpenCL C
    .language_version:
      - 2
      - 0
    .max_flat_workgroup_size: 128
    .name:           _ZN7rocprim17ROCPRIM_400000_NS6detail17trampoline_kernelINS0_14default_configENS1_25partition_config_selectorILNS1_17partition_subalgoE9EllbEEZZNS1_14partition_implILS5_9ELb0ES3_jPlS8_PNS0_10empty_typeENS0_5tupleIJS8_S9_EEENSB_IJS8_SA_EEENS0_18inequality_wrapperIZN2at6native12_GLOBAL__N_124unique_dim_cuda_templateIlEESt5tupleIJNSF_6TensorESK_SK_EERKSK_lbbbEUlllE0_EEPmJS9_EEE10hipError_tPvRmT3_T4_T5_T6_T7_T9_mT8_P12ihipStream_tbDpT10_ENKUlT_T0_E_clISt17integral_constantIbLb0EES1A_EEDaS15_S16_EUlS15_E_NS1_11comp_targetILNS1_3genE4ELNS1_11target_archE910ELNS1_3gpuE8ELNS1_3repE0EEENS1_30default_config_static_selectorELNS0_4arch9wavefront6targetE1EEEvT1_
    .private_segment_fixed_size: 0
    .sgpr_count:     50
    .sgpr_spill_count: 0
    .symbol:         _ZN7rocprim17ROCPRIM_400000_NS6detail17trampoline_kernelINS0_14default_configENS1_25partition_config_selectorILNS1_17partition_subalgoE9EllbEEZZNS1_14partition_implILS5_9ELb0ES3_jPlS8_PNS0_10empty_typeENS0_5tupleIJS8_S9_EEENSB_IJS8_SA_EEENS0_18inequality_wrapperIZN2at6native12_GLOBAL__N_124unique_dim_cuda_templateIlEESt5tupleIJNSF_6TensorESK_SK_EERKSK_lbbbEUlllE0_EEPmJS9_EEE10hipError_tPvRmT3_T4_T5_T6_T7_T9_mT8_P12ihipStream_tbDpT10_ENKUlT_T0_E_clISt17integral_constantIbLb0EES1A_EEDaS15_S16_EUlS15_E_NS1_11comp_targetILNS1_3genE4ELNS1_11target_archE910ELNS1_3gpuE8ELNS1_3repE0EEENS1_30default_config_static_selectorELNS0_4arch9wavefront6targetE1EEEvT1_.kd
    .uniform_work_group_size: 1
    .uses_dynamic_stack: false
    .vgpr_count:     50
    .vgpr_spill_count: 0
    .wavefront_size: 64
  - .agpr_count:     0
    .args:
      - .offset:         0
        .size:           120
        .value_kind:     by_value
    .group_segment_fixed_size: 0
    .kernarg_segment_align: 8
    .kernarg_segment_size: 120
    .language:       OpenCL C
    .language_version:
      - 2
      - 0
    .max_flat_workgroup_size: 128
    .name:           _ZN7rocprim17ROCPRIM_400000_NS6detail17trampoline_kernelINS0_14default_configENS1_25partition_config_selectorILNS1_17partition_subalgoE9EllbEEZZNS1_14partition_implILS5_9ELb0ES3_jPlS8_PNS0_10empty_typeENS0_5tupleIJS8_S9_EEENSB_IJS8_SA_EEENS0_18inequality_wrapperIZN2at6native12_GLOBAL__N_124unique_dim_cuda_templateIlEESt5tupleIJNSF_6TensorESK_SK_EERKSK_lbbbEUlllE0_EEPmJS9_EEE10hipError_tPvRmT3_T4_T5_T6_T7_T9_mT8_P12ihipStream_tbDpT10_ENKUlT_T0_E_clISt17integral_constantIbLb0EES1A_EEDaS15_S16_EUlS15_E_NS1_11comp_targetILNS1_3genE3ELNS1_11target_archE908ELNS1_3gpuE7ELNS1_3repE0EEENS1_30default_config_static_selectorELNS0_4arch9wavefront6targetE1EEEvT1_
    .private_segment_fixed_size: 0
    .sgpr_count:     4
    .sgpr_spill_count: 0
    .symbol:         _ZN7rocprim17ROCPRIM_400000_NS6detail17trampoline_kernelINS0_14default_configENS1_25partition_config_selectorILNS1_17partition_subalgoE9EllbEEZZNS1_14partition_implILS5_9ELb0ES3_jPlS8_PNS0_10empty_typeENS0_5tupleIJS8_S9_EEENSB_IJS8_SA_EEENS0_18inequality_wrapperIZN2at6native12_GLOBAL__N_124unique_dim_cuda_templateIlEESt5tupleIJNSF_6TensorESK_SK_EERKSK_lbbbEUlllE0_EEPmJS9_EEE10hipError_tPvRmT3_T4_T5_T6_T7_T9_mT8_P12ihipStream_tbDpT10_ENKUlT_T0_E_clISt17integral_constantIbLb0EES1A_EEDaS15_S16_EUlS15_E_NS1_11comp_targetILNS1_3genE3ELNS1_11target_archE908ELNS1_3gpuE7ELNS1_3repE0EEENS1_30default_config_static_selectorELNS0_4arch9wavefront6targetE1EEEvT1_.kd
    .uniform_work_group_size: 1
    .uses_dynamic_stack: false
    .vgpr_count:     0
    .vgpr_spill_count: 0
    .wavefront_size: 64
  - .agpr_count:     0
    .args:
      - .offset:         0
        .size:           120
        .value_kind:     by_value
    .group_segment_fixed_size: 0
    .kernarg_segment_align: 8
    .kernarg_segment_size: 120
    .language:       OpenCL C
    .language_version:
      - 2
      - 0
    .max_flat_workgroup_size: 192
    .name:           _ZN7rocprim17ROCPRIM_400000_NS6detail17trampoline_kernelINS0_14default_configENS1_25partition_config_selectorILNS1_17partition_subalgoE9EllbEEZZNS1_14partition_implILS5_9ELb0ES3_jPlS8_PNS0_10empty_typeENS0_5tupleIJS8_S9_EEENSB_IJS8_SA_EEENS0_18inequality_wrapperIZN2at6native12_GLOBAL__N_124unique_dim_cuda_templateIlEESt5tupleIJNSF_6TensorESK_SK_EERKSK_lbbbEUlllE0_EEPmJS9_EEE10hipError_tPvRmT3_T4_T5_T6_T7_T9_mT8_P12ihipStream_tbDpT10_ENKUlT_T0_E_clISt17integral_constantIbLb0EES1A_EEDaS15_S16_EUlS15_E_NS1_11comp_targetILNS1_3genE2ELNS1_11target_archE906ELNS1_3gpuE6ELNS1_3repE0EEENS1_30default_config_static_selectorELNS0_4arch9wavefront6targetE1EEEvT1_
    .private_segment_fixed_size: 0
    .sgpr_count:     4
    .sgpr_spill_count: 0
    .symbol:         _ZN7rocprim17ROCPRIM_400000_NS6detail17trampoline_kernelINS0_14default_configENS1_25partition_config_selectorILNS1_17partition_subalgoE9EllbEEZZNS1_14partition_implILS5_9ELb0ES3_jPlS8_PNS0_10empty_typeENS0_5tupleIJS8_S9_EEENSB_IJS8_SA_EEENS0_18inequality_wrapperIZN2at6native12_GLOBAL__N_124unique_dim_cuda_templateIlEESt5tupleIJNSF_6TensorESK_SK_EERKSK_lbbbEUlllE0_EEPmJS9_EEE10hipError_tPvRmT3_T4_T5_T6_T7_T9_mT8_P12ihipStream_tbDpT10_ENKUlT_T0_E_clISt17integral_constantIbLb0EES1A_EEDaS15_S16_EUlS15_E_NS1_11comp_targetILNS1_3genE2ELNS1_11target_archE906ELNS1_3gpuE6ELNS1_3repE0EEENS1_30default_config_static_selectorELNS0_4arch9wavefront6targetE1EEEvT1_.kd
    .uniform_work_group_size: 1
    .uses_dynamic_stack: false
    .vgpr_count:     0
    .vgpr_spill_count: 0
    .wavefront_size: 64
  - .agpr_count:     0
    .args:
      - .offset:         0
        .size:           120
        .value_kind:     by_value
    .group_segment_fixed_size: 0
    .kernarg_segment_align: 8
    .kernarg_segment_size: 120
    .language:       OpenCL C
    .language_version:
      - 2
      - 0
    .max_flat_workgroup_size: 384
    .name:           _ZN7rocprim17ROCPRIM_400000_NS6detail17trampoline_kernelINS0_14default_configENS1_25partition_config_selectorILNS1_17partition_subalgoE9EllbEEZZNS1_14partition_implILS5_9ELb0ES3_jPlS8_PNS0_10empty_typeENS0_5tupleIJS8_S9_EEENSB_IJS8_SA_EEENS0_18inequality_wrapperIZN2at6native12_GLOBAL__N_124unique_dim_cuda_templateIlEESt5tupleIJNSF_6TensorESK_SK_EERKSK_lbbbEUlllE0_EEPmJS9_EEE10hipError_tPvRmT3_T4_T5_T6_T7_T9_mT8_P12ihipStream_tbDpT10_ENKUlT_T0_E_clISt17integral_constantIbLb0EES1A_EEDaS15_S16_EUlS15_E_NS1_11comp_targetILNS1_3genE10ELNS1_11target_archE1200ELNS1_3gpuE4ELNS1_3repE0EEENS1_30default_config_static_selectorELNS0_4arch9wavefront6targetE1EEEvT1_
    .private_segment_fixed_size: 0
    .sgpr_count:     4
    .sgpr_spill_count: 0
    .symbol:         _ZN7rocprim17ROCPRIM_400000_NS6detail17trampoline_kernelINS0_14default_configENS1_25partition_config_selectorILNS1_17partition_subalgoE9EllbEEZZNS1_14partition_implILS5_9ELb0ES3_jPlS8_PNS0_10empty_typeENS0_5tupleIJS8_S9_EEENSB_IJS8_SA_EEENS0_18inequality_wrapperIZN2at6native12_GLOBAL__N_124unique_dim_cuda_templateIlEESt5tupleIJNSF_6TensorESK_SK_EERKSK_lbbbEUlllE0_EEPmJS9_EEE10hipError_tPvRmT3_T4_T5_T6_T7_T9_mT8_P12ihipStream_tbDpT10_ENKUlT_T0_E_clISt17integral_constantIbLb0EES1A_EEDaS15_S16_EUlS15_E_NS1_11comp_targetILNS1_3genE10ELNS1_11target_archE1200ELNS1_3gpuE4ELNS1_3repE0EEENS1_30default_config_static_selectorELNS0_4arch9wavefront6targetE1EEEvT1_.kd
    .uniform_work_group_size: 1
    .uses_dynamic_stack: false
    .vgpr_count:     0
    .vgpr_spill_count: 0
    .wavefront_size: 64
  - .agpr_count:     0
    .args:
      - .offset:         0
        .size:           120
        .value_kind:     by_value
    .group_segment_fixed_size: 0
    .kernarg_segment_align: 8
    .kernarg_segment_size: 120
    .language:       OpenCL C
    .language_version:
      - 2
      - 0
    .max_flat_workgroup_size: 512
    .name:           _ZN7rocprim17ROCPRIM_400000_NS6detail17trampoline_kernelINS0_14default_configENS1_25partition_config_selectorILNS1_17partition_subalgoE9EllbEEZZNS1_14partition_implILS5_9ELb0ES3_jPlS8_PNS0_10empty_typeENS0_5tupleIJS8_S9_EEENSB_IJS8_SA_EEENS0_18inequality_wrapperIZN2at6native12_GLOBAL__N_124unique_dim_cuda_templateIlEESt5tupleIJNSF_6TensorESK_SK_EERKSK_lbbbEUlllE0_EEPmJS9_EEE10hipError_tPvRmT3_T4_T5_T6_T7_T9_mT8_P12ihipStream_tbDpT10_ENKUlT_T0_E_clISt17integral_constantIbLb0EES1A_EEDaS15_S16_EUlS15_E_NS1_11comp_targetILNS1_3genE9ELNS1_11target_archE1100ELNS1_3gpuE3ELNS1_3repE0EEENS1_30default_config_static_selectorELNS0_4arch9wavefront6targetE1EEEvT1_
    .private_segment_fixed_size: 0
    .sgpr_count:     4
    .sgpr_spill_count: 0
    .symbol:         _ZN7rocprim17ROCPRIM_400000_NS6detail17trampoline_kernelINS0_14default_configENS1_25partition_config_selectorILNS1_17partition_subalgoE9EllbEEZZNS1_14partition_implILS5_9ELb0ES3_jPlS8_PNS0_10empty_typeENS0_5tupleIJS8_S9_EEENSB_IJS8_SA_EEENS0_18inequality_wrapperIZN2at6native12_GLOBAL__N_124unique_dim_cuda_templateIlEESt5tupleIJNSF_6TensorESK_SK_EERKSK_lbbbEUlllE0_EEPmJS9_EEE10hipError_tPvRmT3_T4_T5_T6_T7_T9_mT8_P12ihipStream_tbDpT10_ENKUlT_T0_E_clISt17integral_constantIbLb0EES1A_EEDaS15_S16_EUlS15_E_NS1_11comp_targetILNS1_3genE9ELNS1_11target_archE1100ELNS1_3gpuE3ELNS1_3repE0EEENS1_30default_config_static_selectorELNS0_4arch9wavefront6targetE1EEEvT1_.kd
    .uniform_work_group_size: 1
    .uses_dynamic_stack: false
    .vgpr_count:     0
    .vgpr_spill_count: 0
    .wavefront_size: 64
  - .agpr_count:     0
    .args:
      - .offset:         0
        .size:           120
        .value_kind:     by_value
    .group_segment_fixed_size: 0
    .kernarg_segment_align: 8
    .kernarg_segment_size: 120
    .language:       OpenCL C
    .language_version:
      - 2
      - 0
    .max_flat_workgroup_size: 512
    .name:           _ZN7rocprim17ROCPRIM_400000_NS6detail17trampoline_kernelINS0_14default_configENS1_25partition_config_selectorILNS1_17partition_subalgoE9EllbEEZZNS1_14partition_implILS5_9ELb0ES3_jPlS8_PNS0_10empty_typeENS0_5tupleIJS8_S9_EEENSB_IJS8_SA_EEENS0_18inequality_wrapperIZN2at6native12_GLOBAL__N_124unique_dim_cuda_templateIlEESt5tupleIJNSF_6TensorESK_SK_EERKSK_lbbbEUlllE0_EEPmJS9_EEE10hipError_tPvRmT3_T4_T5_T6_T7_T9_mT8_P12ihipStream_tbDpT10_ENKUlT_T0_E_clISt17integral_constantIbLb0EES1A_EEDaS15_S16_EUlS15_E_NS1_11comp_targetILNS1_3genE8ELNS1_11target_archE1030ELNS1_3gpuE2ELNS1_3repE0EEENS1_30default_config_static_selectorELNS0_4arch9wavefront6targetE1EEEvT1_
    .private_segment_fixed_size: 0
    .sgpr_count:     4
    .sgpr_spill_count: 0
    .symbol:         _ZN7rocprim17ROCPRIM_400000_NS6detail17trampoline_kernelINS0_14default_configENS1_25partition_config_selectorILNS1_17partition_subalgoE9EllbEEZZNS1_14partition_implILS5_9ELb0ES3_jPlS8_PNS0_10empty_typeENS0_5tupleIJS8_S9_EEENSB_IJS8_SA_EEENS0_18inequality_wrapperIZN2at6native12_GLOBAL__N_124unique_dim_cuda_templateIlEESt5tupleIJNSF_6TensorESK_SK_EERKSK_lbbbEUlllE0_EEPmJS9_EEE10hipError_tPvRmT3_T4_T5_T6_T7_T9_mT8_P12ihipStream_tbDpT10_ENKUlT_T0_E_clISt17integral_constantIbLb0EES1A_EEDaS15_S16_EUlS15_E_NS1_11comp_targetILNS1_3genE8ELNS1_11target_archE1030ELNS1_3gpuE2ELNS1_3repE0EEENS1_30default_config_static_selectorELNS0_4arch9wavefront6targetE1EEEvT1_.kd
    .uniform_work_group_size: 1
    .uses_dynamic_stack: false
    .vgpr_count:     0
    .vgpr_spill_count: 0
    .wavefront_size: 64
  - .agpr_count:     0
    .args:
      - .offset:         0
        .size:           136
        .value_kind:     by_value
    .group_segment_fixed_size: 0
    .kernarg_segment_align: 8
    .kernarg_segment_size: 136
    .language:       OpenCL C
    .language_version:
      - 2
      - 0
    .max_flat_workgroup_size: 128
    .name:           _ZN7rocprim17ROCPRIM_400000_NS6detail17trampoline_kernelINS0_14default_configENS1_25partition_config_selectorILNS1_17partition_subalgoE9EllbEEZZNS1_14partition_implILS5_9ELb0ES3_jPlS8_PNS0_10empty_typeENS0_5tupleIJS8_S9_EEENSB_IJS8_SA_EEENS0_18inequality_wrapperIZN2at6native12_GLOBAL__N_124unique_dim_cuda_templateIlEESt5tupleIJNSF_6TensorESK_SK_EERKSK_lbbbEUlllE0_EEPmJS9_EEE10hipError_tPvRmT3_T4_T5_T6_T7_T9_mT8_P12ihipStream_tbDpT10_ENKUlT_T0_E_clISt17integral_constantIbLb1EES1A_EEDaS15_S16_EUlS15_E_NS1_11comp_targetILNS1_3genE0ELNS1_11target_archE4294967295ELNS1_3gpuE0ELNS1_3repE0EEENS1_30default_config_static_selectorELNS0_4arch9wavefront6targetE1EEEvT1_
    .private_segment_fixed_size: 0
    .sgpr_count:     4
    .sgpr_spill_count: 0
    .symbol:         _ZN7rocprim17ROCPRIM_400000_NS6detail17trampoline_kernelINS0_14default_configENS1_25partition_config_selectorILNS1_17partition_subalgoE9EllbEEZZNS1_14partition_implILS5_9ELb0ES3_jPlS8_PNS0_10empty_typeENS0_5tupleIJS8_S9_EEENSB_IJS8_SA_EEENS0_18inequality_wrapperIZN2at6native12_GLOBAL__N_124unique_dim_cuda_templateIlEESt5tupleIJNSF_6TensorESK_SK_EERKSK_lbbbEUlllE0_EEPmJS9_EEE10hipError_tPvRmT3_T4_T5_T6_T7_T9_mT8_P12ihipStream_tbDpT10_ENKUlT_T0_E_clISt17integral_constantIbLb1EES1A_EEDaS15_S16_EUlS15_E_NS1_11comp_targetILNS1_3genE0ELNS1_11target_archE4294967295ELNS1_3gpuE0ELNS1_3repE0EEENS1_30default_config_static_selectorELNS0_4arch9wavefront6targetE1EEEvT1_.kd
    .uniform_work_group_size: 1
    .uses_dynamic_stack: false
    .vgpr_count:     0
    .vgpr_spill_count: 0
    .wavefront_size: 64
  - .agpr_count:     0
    .args:
      - .offset:         0
        .size:           136
        .value_kind:     by_value
    .group_segment_fixed_size: 0
    .kernarg_segment_align: 8
    .kernarg_segment_size: 136
    .language:       OpenCL C
    .language_version:
      - 2
      - 0
    .max_flat_workgroup_size: 512
    .name:           _ZN7rocprim17ROCPRIM_400000_NS6detail17trampoline_kernelINS0_14default_configENS1_25partition_config_selectorILNS1_17partition_subalgoE9EllbEEZZNS1_14partition_implILS5_9ELb0ES3_jPlS8_PNS0_10empty_typeENS0_5tupleIJS8_S9_EEENSB_IJS8_SA_EEENS0_18inequality_wrapperIZN2at6native12_GLOBAL__N_124unique_dim_cuda_templateIlEESt5tupleIJNSF_6TensorESK_SK_EERKSK_lbbbEUlllE0_EEPmJS9_EEE10hipError_tPvRmT3_T4_T5_T6_T7_T9_mT8_P12ihipStream_tbDpT10_ENKUlT_T0_E_clISt17integral_constantIbLb1EES1A_EEDaS15_S16_EUlS15_E_NS1_11comp_targetILNS1_3genE5ELNS1_11target_archE942ELNS1_3gpuE9ELNS1_3repE0EEENS1_30default_config_static_selectorELNS0_4arch9wavefront6targetE1EEEvT1_
    .private_segment_fixed_size: 0
    .sgpr_count:     4
    .sgpr_spill_count: 0
    .symbol:         _ZN7rocprim17ROCPRIM_400000_NS6detail17trampoline_kernelINS0_14default_configENS1_25partition_config_selectorILNS1_17partition_subalgoE9EllbEEZZNS1_14partition_implILS5_9ELb0ES3_jPlS8_PNS0_10empty_typeENS0_5tupleIJS8_S9_EEENSB_IJS8_SA_EEENS0_18inequality_wrapperIZN2at6native12_GLOBAL__N_124unique_dim_cuda_templateIlEESt5tupleIJNSF_6TensorESK_SK_EERKSK_lbbbEUlllE0_EEPmJS9_EEE10hipError_tPvRmT3_T4_T5_T6_T7_T9_mT8_P12ihipStream_tbDpT10_ENKUlT_T0_E_clISt17integral_constantIbLb1EES1A_EEDaS15_S16_EUlS15_E_NS1_11comp_targetILNS1_3genE5ELNS1_11target_archE942ELNS1_3gpuE9ELNS1_3repE0EEENS1_30default_config_static_selectorELNS0_4arch9wavefront6targetE1EEEvT1_.kd
    .uniform_work_group_size: 1
    .uses_dynamic_stack: false
    .vgpr_count:     0
    .vgpr_spill_count: 0
    .wavefront_size: 64
  - .agpr_count:     0
    .args:
      - .offset:         0
        .size:           136
        .value_kind:     by_value
    .group_segment_fixed_size: 4236
    .kernarg_segment_align: 8
    .kernarg_segment_size: 136
    .language:       OpenCL C
    .language_version:
      - 2
      - 0
    .max_flat_workgroup_size: 128
    .name:           _ZN7rocprim17ROCPRIM_400000_NS6detail17trampoline_kernelINS0_14default_configENS1_25partition_config_selectorILNS1_17partition_subalgoE9EllbEEZZNS1_14partition_implILS5_9ELb0ES3_jPlS8_PNS0_10empty_typeENS0_5tupleIJS8_S9_EEENSB_IJS8_SA_EEENS0_18inequality_wrapperIZN2at6native12_GLOBAL__N_124unique_dim_cuda_templateIlEESt5tupleIJNSF_6TensorESK_SK_EERKSK_lbbbEUlllE0_EEPmJS9_EEE10hipError_tPvRmT3_T4_T5_T6_T7_T9_mT8_P12ihipStream_tbDpT10_ENKUlT_T0_E_clISt17integral_constantIbLb1EES1A_EEDaS15_S16_EUlS15_E_NS1_11comp_targetILNS1_3genE4ELNS1_11target_archE910ELNS1_3gpuE8ELNS1_3repE0EEENS1_30default_config_static_selectorELNS0_4arch9wavefront6targetE1EEEvT1_
    .private_segment_fixed_size: 0
    .sgpr_count:     56
    .sgpr_spill_count: 0
    .symbol:         _ZN7rocprim17ROCPRIM_400000_NS6detail17trampoline_kernelINS0_14default_configENS1_25partition_config_selectorILNS1_17partition_subalgoE9EllbEEZZNS1_14partition_implILS5_9ELb0ES3_jPlS8_PNS0_10empty_typeENS0_5tupleIJS8_S9_EEENSB_IJS8_SA_EEENS0_18inequality_wrapperIZN2at6native12_GLOBAL__N_124unique_dim_cuda_templateIlEESt5tupleIJNSF_6TensorESK_SK_EERKSK_lbbbEUlllE0_EEPmJS9_EEE10hipError_tPvRmT3_T4_T5_T6_T7_T9_mT8_P12ihipStream_tbDpT10_ENKUlT_T0_E_clISt17integral_constantIbLb1EES1A_EEDaS15_S16_EUlS15_E_NS1_11comp_targetILNS1_3genE4ELNS1_11target_archE910ELNS1_3gpuE8ELNS1_3repE0EEENS1_30default_config_static_selectorELNS0_4arch9wavefront6targetE1EEEvT1_.kd
    .uniform_work_group_size: 1
    .uses_dynamic_stack: false
    .vgpr_count:     50
    .vgpr_spill_count: 0
    .wavefront_size: 64
  - .agpr_count:     0
    .args:
      - .offset:         0
        .size:           136
        .value_kind:     by_value
    .group_segment_fixed_size: 0
    .kernarg_segment_align: 8
    .kernarg_segment_size: 136
    .language:       OpenCL C
    .language_version:
      - 2
      - 0
    .max_flat_workgroup_size: 128
    .name:           _ZN7rocprim17ROCPRIM_400000_NS6detail17trampoline_kernelINS0_14default_configENS1_25partition_config_selectorILNS1_17partition_subalgoE9EllbEEZZNS1_14partition_implILS5_9ELb0ES3_jPlS8_PNS0_10empty_typeENS0_5tupleIJS8_S9_EEENSB_IJS8_SA_EEENS0_18inequality_wrapperIZN2at6native12_GLOBAL__N_124unique_dim_cuda_templateIlEESt5tupleIJNSF_6TensorESK_SK_EERKSK_lbbbEUlllE0_EEPmJS9_EEE10hipError_tPvRmT3_T4_T5_T6_T7_T9_mT8_P12ihipStream_tbDpT10_ENKUlT_T0_E_clISt17integral_constantIbLb1EES1A_EEDaS15_S16_EUlS15_E_NS1_11comp_targetILNS1_3genE3ELNS1_11target_archE908ELNS1_3gpuE7ELNS1_3repE0EEENS1_30default_config_static_selectorELNS0_4arch9wavefront6targetE1EEEvT1_
    .private_segment_fixed_size: 0
    .sgpr_count:     4
    .sgpr_spill_count: 0
    .symbol:         _ZN7rocprim17ROCPRIM_400000_NS6detail17trampoline_kernelINS0_14default_configENS1_25partition_config_selectorILNS1_17partition_subalgoE9EllbEEZZNS1_14partition_implILS5_9ELb0ES3_jPlS8_PNS0_10empty_typeENS0_5tupleIJS8_S9_EEENSB_IJS8_SA_EEENS0_18inequality_wrapperIZN2at6native12_GLOBAL__N_124unique_dim_cuda_templateIlEESt5tupleIJNSF_6TensorESK_SK_EERKSK_lbbbEUlllE0_EEPmJS9_EEE10hipError_tPvRmT3_T4_T5_T6_T7_T9_mT8_P12ihipStream_tbDpT10_ENKUlT_T0_E_clISt17integral_constantIbLb1EES1A_EEDaS15_S16_EUlS15_E_NS1_11comp_targetILNS1_3genE3ELNS1_11target_archE908ELNS1_3gpuE7ELNS1_3repE0EEENS1_30default_config_static_selectorELNS0_4arch9wavefront6targetE1EEEvT1_.kd
    .uniform_work_group_size: 1
    .uses_dynamic_stack: false
    .vgpr_count:     0
    .vgpr_spill_count: 0
    .wavefront_size: 64
  - .agpr_count:     0
    .args:
      - .offset:         0
        .size:           136
        .value_kind:     by_value
    .group_segment_fixed_size: 0
    .kernarg_segment_align: 8
    .kernarg_segment_size: 136
    .language:       OpenCL C
    .language_version:
      - 2
      - 0
    .max_flat_workgroup_size: 192
    .name:           _ZN7rocprim17ROCPRIM_400000_NS6detail17trampoline_kernelINS0_14default_configENS1_25partition_config_selectorILNS1_17partition_subalgoE9EllbEEZZNS1_14partition_implILS5_9ELb0ES3_jPlS8_PNS0_10empty_typeENS0_5tupleIJS8_S9_EEENSB_IJS8_SA_EEENS0_18inequality_wrapperIZN2at6native12_GLOBAL__N_124unique_dim_cuda_templateIlEESt5tupleIJNSF_6TensorESK_SK_EERKSK_lbbbEUlllE0_EEPmJS9_EEE10hipError_tPvRmT3_T4_T5_T6_T7_T9_mT8_P12ihipStream_tbDpT10_ENKUlT_T0_E_clISt17integral_constantIbLb1EES1A_EEDaS15_S16_EUlS15_E_NS1_11comp_targetILNS1_3genE2ELNS1_11target_archE906ELNS1_3gpuE6ELNS1_3repE0EEENS1_30default_config_static_selectorELNS0_4arch9wavefront6targetE1EEEvT1_
    .private_segment_fixed_size: 0
    .sgpr_count:     4
    .sgpr_spill_count: 0
    .symbol:         _ZN7rocprim17ROCPRIM_400000_NS6detail17trampoline_kernelINS0_14default_configENS1_25partition_config_selectorILNS1_17partition_subalgoE9EllbEEZZNS1_14partition_implILS5_9ELb0ES3_jPlS8_PNS0_10empty_typeENS0_5tupleIJS8_S9_EEENSB_IJS8_SA_EEENS0_18inequality_wrapperIZN2at6native12_GLOBAL__N_124unique_dim_cuda_templateIlEESt5tupleIJNSF_6TensorESK_SK_EERKSK_lbbbEUlllE0_EEPmJS9_EEE10hipError_tPvRmT3_T4_T5_T6_T7_T9_mT8_P12ihipStream_tbDpT10_ENKUlT_T0_E_clISt17integral_constantIbLb1EES1A_EEDaS15_S16_EUlS15_E_NS1_11comp_targetILNS1_3genE2ELNS1_11target_archE906ELNS1_3gpuE6ELNS1_3repE0EEENS1_30default_config_static_selectorELNS0_4arch9wavefront6targetE1EEEvT1_.kd
    .uniform_work_group_size: 1
    .uses_dynamic_stack: false
    .vgpr_count:     0
    .vgpr_spill_count: 0
    .wavefront_size: 64
  - .agpr_count:     0
    .args:
      - .offset:         0
        .size:           136
        .value_kind:     by_value
    .group_segment_fixed_size: 0
    .kernarg_segment_align: 8
    .kernarg_segment_size: 136
    .language:       OpenCL C
    .language_version:
      - 2
      - 0
    .max_flat_workgroup_size: 384
    .name:           _ZN7rocprim17ROCPRIM_400000_NS6detail17trampoline_kernelINS0_14default_configENS1_25partition_config_selectorILNS1_17partition_subalgoE9EllbEEZZNS1_14partition_implILS5_9ELb0ES3_jPlS8_PNS0_10empty_typeENS0_5tupleIJS8_S9_EEENSB_IJS8_SA_EEENS0_18inequality_wrapperIZN2at6native12_GLOBAL__N_124unique_dim_cuda_templateIlEESt5tupleIJNSF_6TensorESK_SK_EERKSK_lbbbEUlllE0_EEPmJS9_EEE10hipError_tPvRmT3_T4_T5_T6_T7_T9_mT8_P12ihipStream_tbDpT10_ENKUlT_T0_E_clISt17integral_constantIbLb1EES1A_EEDaS15_S16_EUlS15_E_NS1_11comp_targetILNS1_3genE10ELNS1_11target_archE1200ELNS1_3gpuE4ELNS1_3repE0EEENS1_30default_config_static_selectorELNS0_4arch9wavefront6targetE1EEEvT1_
    .private_segment_fixed_size: 0
    .sgpr_count:     4
    .sgpr_spill_count: 0
    .symbol:         _ZN7rocprim17ROCPRIM_400000_NS6detail17trampoline_kernelINS0_14default_configENS1_25partition_config_selectorILNS1_17partition_subalgoE9EllbEEZZNS1_14partition_implILS5_9ELb0ES3_jPlS8_PNS0_10empty_typeENS0_5tupleIJS8_S9_EEENSB_IJS8_SA_EEENS0_18inequality_wrapperIZN2at6native12_GLOBAL__N_124unique_dim_cuda_templateIlEESt5tupleIJNSF_6TensorESK_SK_EERKSK_lbbbEUlllE0_EEPmJS9_EEE10hipError_tPvRmT3_T4_T5_T6_T7_T9_mT8_P12ihipStream_tbDpT10_ENKUlT_T0_E_clISt17integral_constantIbLb1EES1A_EEDaS15_S16_EUlS15_E_NS1_11comp_targetILNS1_3genE10ELNS1_11target_archE1200ELNS1_3gpuE4ELNS1_3repE0EEENS1_30default_config_static_selectorELNS0_4arch9wavefront6targetE1EEEvT1_.kd
    .uniform_work_group_size: 1
    .uses_dynamic_stack: false
    .vgpr_count:     0
    .vgpr_spill_count: 0
    .wavefront_size: 64
  - .agpr_count:     0
    .args:
      - .offset:         0
        .size:           136
        .value_kind:     by_value
    .group_segment_fixed_size: 0
    .kernarg_segment_align: 8
    .kernarg_segment_size: 136
    .language:       OpenCL C
    .language_version:
      - 2
      - 0
    .max_flat_workgroup_size: 512
    .name:           _ZN7rocprim17ROCPRIM_400000_NS6detail17trampoline_kernelINS0_14default_configENS1_25partition_config_selectorILNS1_17partition_subalgoE9EllbEEZZNS1_14partition_implILS5_9ELb0ES3_jPlS8_PNS0_10empty_typeENS0_5tupleIJS8_S9_EEENSB_IJS8_SA_EEENS0_18inequality_wrapperIZN2at6native12_GLOBAL__N_124unique_dim_cuda_templateIlEESt5tupleIJNSF_6TensorESK_SK_EERKSK_lbbbEUlllE0_EEPmJS9_EEE10hipError_tPvRmT3_T4_T5_T6_T7_T9_mT8_P12ihipStream_tbDpT10_ENKUlT_T0_E_clISt17integral_constantIbLb1EES1A_EEDaS15_S16_EUlS15_E_NS1_11comp_targetILNS1_3genE9ELNS1_11target_archE1100ELNS1_3gpuE3ELNS1_3repE0EEENS1_30default_config_static_selectorELNS0_4arch9wavefront6targetE1EEEvT1_
    .private_segment_fixed_size: 0
    .sgpr_count:     4
    .sgpr_spill_count: 0
    .symbol:         _ZN7rocprim17ROCPRIM_400000_NS6detail17trampoline_kernelINS0_14default_configENS1_25partition_config_selectorILNS1_17partition_subalgoE9EllbEEZZNS1_14partition_implILS5_9ELb0ES3_jPlS8_PNS0_10empty_typeENS0_5tupleIJS8_S9_EEENSB_IJS8_SA_EEENS0_18inequality_wrapperIZN2at6native12_GLOBAL__N_124unique_dim_cuda_templateIlEESt5tupleIJNSF_6TensorESK_SK_EERKSK_lbbbEUlllE0_EEPmJS9_EEE10hipError_tPvRmT3_T4_T5_T6_T7_T9_mT8_P12ihipStream_tbDpT10_ENKUlT_T0_E_clISt17integral_constantIbLb1EES1A_EEDaS15_S16_EUlS15_E_NS1_11comp_targetILNS1_3genE9ELNS1_11target_archE1100ELNS1_3gpuE3ELNS1_3repE0EEENS1_30default_config_static_selectorELNS0_4arch9wavefront6targetE1EEEvT1_.kd
    .uniform_work_group_size: 1
    .uses_dynamic_stack: false
    .vgpr_count:     0
    .vgpr_spill_count: 0
    .wavefront_size: 64
  - .agpr_count:     0
    .args:
      - .offset:         0
        .size:           136
        .value_kind:     by_value
    .group_segment_fixed_size: 0
    .kernarg_segment_align: 8
    .kernarg_segment_size: 136
    .language:       OpenCL C
    .language_version:
      - 2
      - 0
    .max_flat_workgroup_size: 512
    .name:           _ZN7rocprim17ROCPRIM_400000_NS6detail17trampoline_kernelINS0_14default_configENS1_25partition_config_selectorILNS1_17partition_subalgoE9EllbEEZZNS1_14partition_implILS5_9ELb0ES3_jPlS8_PNS0_10empty_typeENS0_5tupleIJS8_S9_EEENSB_IJS8_SA_EEENS0_18inequality_wrapperIZN2at6native12_GLOBAL__N_124unique_dim_cuda_templateIlEESt5tupleIJNSF_6TensorESK_SK_EERKSK_lbbbEUlllE0_EEPmJS9_EEE10hipError_tPvRmT3_T4_T5_T6_T7_T9_mT8_P12ihipStream_tbDpT10_ENKUlT_T0_E_clISt17integral_constantIbLb1EES1A_EEDaS15_S16_EUlS15_E_NS1_11comp_targetILNS1_3genE8ELNS1_11target_archE1030ELNS1_3gpuE2ELNS1_3repE0EEENS1_30default_config_static_selectorELNS0_4arch9wavefront6targetE1EEEvT1_
    .private_segment_fixed_size: 0
    .sgpr_count:     4
    .sgpr_spill_count: 0
    .symbol:         _ZN7rocprim17ROCPRIM_400000_NS6detail17trampoline_kernelINS0_14default_configENS1_25partition_config_selectorILNS1_17partition_subalgoE9EllbEEZZNS1_14partition_implILS5_9ELb0ES3_jPlS8_PNS0_10empty_typeENS0_5tupleIJS8_S9_EEENSB_IJS8_SA_EEENS0_18inequality_wrapperIZN2at6native12_GLOBAL__N_124unique_dim_cuda_templateIlEESt5tupleIJNSF_6TensorESK_SK_EERKSK_lbbbEUlllE0_EEPmJS9_EEE10hipError_tPvRmT3_T4_T5_T6_T7_T9_mT8_P12ihipStream_tbDpT10_ENKUlT_T0_E_clISt17integral_constantIbLb1EES1A_EEDaS15_S16_EUlS15_E_NS1_11comp_targetILNS1_3genE8ELNS1_11target_archE1030ELNS1_3gpuE2ELNS1_3repE0EEENS1_30default_config_static_selectorELNS0_4arch9wavefront6targetE1EEEvT1_.kd
    .uniform_work_group_size: 1
    .uses_dynamic_stack: false
    .vgpr_count:     0
    .vgpr_spill_count: 0
    .wavefront_size: 64
  - .agpr_count:     0
    .args:
      - .offset:         0
        .size:           120
        .value_kind:     by_value
    .group_segment_fixed_size: 0
    .kernarg_segment_align: 8
    .kernarg_segment_size: 120
    .language:       OpenCL C
    .language_version:
      - 2
      - 0
    .max_flat_workgroup_size: 128
    .name:           _ZN7rocprim17ROCPRIM_400000_NS6detail17trampoline_kernelINS0_14default_configENS1_25partition_config_selectorILNS1_17partition_subalgoE9EllbEEZZNS1_14partition_implILS5_9ELb0ES3_jPlS8_PNS0_10empty_typeENS0_5tupleIJS8_S9_EEENSB_IJS8_SA_EEENS0_18inequality_wrapperIZN2at6native12_GLOBAL__N_124unique_dim_cuda_templateIlEESt5tupleIJNSF_6TensorESK_SK_EERKSK_lbbbEUlllE0_EEPmJS9_EEE10hipError_tPvRmT3_T4_T5_T6_T7_T9_mT8_P12ihipStream_tbDpT10_ENKUlT_T0_E_clISt17integral_constantIbLb1EES19_IbLb0EEEEDaS15_S16_EUlS15_E_NS1_11comp_targetILNS1_3genE0ELNS1_11target_archE4294967295ELNS1_3gpuE0ELNS1_3repE0EEENS1_30default_config_static_selectorELNS0_4arch9wavefront6targetE1EEEvT1_
    .private_segment_fixed_size: 0
    .sgpr_count:     4
    .sgpr_spill_count: 0
    .symbol:         _ZN7rocprim17ROCPRIM_400000_NS6detail17trampoline_kernelINS0_14default_configENS1_25partition_config_selectorILNS1_17partition_subalgoE9EllbEEZZNS1_14partition_implILS5_9ELb0ES3_jPlS8_PNS0_10empty_typeENS0_5tupleIJS8_S9_EEENSB_IJS8_SA_EEENS0_18inequality_wrapperIZN2at6native12_GLOBAL__N_124unique_dim_cuda_templateIlEESt5tupleIJNSF_6TensorESK_SK_EERKSK_lbbbEUlllE0_EEPmJS9_EEE10hipError_tPvRmT3_T4_T5_T6_T7_T9_mT8_P12ihipStream_tbDpT10_ENKUlT_T0_E_clISt17integral_constantIbLb1EES19_IbLb0EEEEDaS15_S16_EUlS15_E_NS1_11comp_targetILNS1_3genE0ELNS1_11target_archE4294967295ELNS1_3gpuE0ELNS1_3repE0EEENS1_30default_config_static_selectorELNS0_4arch9wavefront6targetE1EEEvT1_.kd
    .uniform_work_group_size: 1
    .uses_dynamic_stack: false
    .vgpr_count:     0
    .vgpr_spill_count: 0
    .wavefront_size: 64
  - .agpr_count:     0
    .args:
      - .offset:         0
        .size:           120
        .value_kind:     by_value
    .group_segment_fixed_size: 0
    .kernarg_segment_align: 8
    .kernarg_segment_size: 120
    .language:       OpenCL C
    .language_version:
      - 2
      - 0
    .max_flat_workgroup_size: 512
    .name:           _ZN7rocprim17ROCPRIM_400000_NS6detail17trampoline_kernelINS0_14default_configENS1_25partition_config_selectorILNS1_17partition_subalgoE9EllbEEZZNS1_14partition_implILS5_9ELb0ES3_jPlS8_PNS0_10empty_typeENS0_5tupleIJS8_S9_EEENSB_IJS8_SA_EEENS0_18inequality_wrapperIZN2at6native12_GLOBAL__N_124unique_dim_cuda_templateIlEESt5tupleIJNSF_6TensorESK_SK_EERKSK_lbbbEUlllE0_EEPmJS9_EEE10hipError_tPvRmT3_T4_T5_T6_T7_T9_mT8_P12ihipStream_tbDpT10_ENKUlT_T0_E_clISt17integral_constantIbLb1EES19_IbLb0EEEEDaS15_S16_EUlS15_E_NS1_11comp_targetILNS1_3genE5ELNS1_11target_archE942ELNS1_3gpuE9ELNS1_3repE0EEENS1_30default_config_static_selectorELNS0_4arch9wavefront6targetE1EEEvT1_
    .private_segment_fixed_size: 0
    .sgpr_count:     4
    .sgpr_spill_count: 0
    .symbol:         _ZN7rocprim17ROCPRIM_400000_NS6detail17trampoline_kernelINS0_14default_configENS1_25partition_config_selectorILNS1_17partition_subalgoE9EllbEEZZNS1_14partition_implILS5_9ELb0ES3_jPlS8_PNS0_10empty_typeENS0_5tupleIJS8_S9_EEENSB_IJS8_SA_EEENS0_18inequality_wrapperIZN2at6native12_GLOBAL__N_124unique_dim_cuda_templateIlEESt5tupleIJNSF_6TensorESK_SK_EERKSK_lbbbEUlllE0_EEPmJS9_EEE10hipError_tPvRmT3_T4_T5_T6_T7_T9_mT8_P12ihipStream_tbDpT10_ENKUlT_T0_E_clISt17integral_constantIbLb1EES19_IbLb0EEEEDaS15_S16_EUlS15_E_NS1_11comp_targetILNS1_3genE5ELNS1_11target_archE942ELNS1_3gpuE9ELNS1_3repE0EEENS1_30default_config_static_selectorELNS0_4arch9wavefront6targetE1EEEvT1_.kd
    .uniform_work_group_size: 1
    .uses_dynamic_stack: false
    .vgpr_count:     0
    .vgpr_spill_count: 0
    .wavefront_size: 64
  - .agpr_count:     0
    .args:
      - .offset:         0
        .size:           120
        .value_kind:     by_value
    .group_segment_fixed_size: 4236
    .kernarg_segment_align: 8
    .kernarg_segment_size: 120
    .language:       OpenCL C
    .language_version:
      - 2
      - 0
    .max_flat_workgroup_size: 128
    .name:           _ZN7rocprim17ROCPRIM_400000_NS6detail17trampoline_kernelINS0_14default_configENS1_25partition_config_selectorILNS1_17partition_subalgoE9EllbEEZZNS1_14partition_implILS5_9ELb0ES3_jPlS8_PNS0_10empty_typeENS0_5tupleIJS8_S9_EEENSB_IJS8_SA_EEENS0_18inequality_wrapperIZN2at6native12_GLOBAL__N_124unique_dim_cuda_templateIlEESt5tupleIJNSF_6TensorESK_SK_EERKSK_lbbbEUlllE0_EEPmJS9_EEE10hipError_tPvRmT3_T4_T5_T6_T7_T9_mT8_P12ihipStream_tbDpT10_ENKUlT_T0_E_clISt17integral_constantIbLb1EES19_IbLb0EEEEDaS15_S16_EUlS15_E_NS1_11comp_targetILNS1_3genE4ELNS1_11target_archE910ELNS1_3gpuE8ELNS1_3repE0EEENS1_30default_config_static_selectorELNS0_4arch9wavefront6targetE1EEEvT1_
    .private_segment_fixed_size: 0
    .sgpr_count:     50
    .sgpr_spill_count: 0
    .symbol:         _ZN7rocprim17ROCPRIM_400000_NS6detail17trampoline_kernelINS0_14default_configENS1_25partition_config_selectorILNS1_17partition_subalgoE9EllbEEZZNS1_14partition_implILS5_9ELb0ES3_jPlS8_PNS0_10empty_typeENS0_5tupleIJS8_S9_EEENSB_IJS8_SA_EEENS0_18inequality_wrapperIZN2at6native12_GLOBAL__N_124unique_dim_cuda_templateIlEESt5tupleIJNSF_6TensorESK_SK_EERKSK_lbbbEUlllE0_EEPmJS9_EEE10hipError_tPvRmT3_T4_T5_T6_T7_T9_mT8_P12ihipStream_tbDpT10_ENKUlT_T0_E_clISt17integral_constantIbLb1EES19_IbLb0EEEEDaS15_S16_EUlS15_E_NS1_11comp_targetILNS1_3genE4ELNS1_11target_archE910ELNS1_3gpuE8ELNS1_3repE0EEENS1_30default_config_static_selectorELNS0_4arch9wavefront6targetE1EEEvT1_.kd
    .uniform_work_group_size: 1
    .uses_dynamic_stack: false
    .vgpr_count:     50
    .vgpr_spill_count: 0
    .wavefront_size: 64
  - .agpr_count:     0
    .args:
      - .offset:         0
        .size:           120
        .value_kind:     by_value
    .group_segment_fixed_size: 0
    .kernarg_segment_align: 8
    .kernarg_segment_size: 120
    .language:       OpenCL C
    .language_version:
      - 2
      - 0
    .max_flat_workgroup_size: 128
    .name:           _ZN7rocprim17ROCPRIM_400000_NS6detail17trampoline_kernelINS0_14default_configENS1_25partition_config_selectorILNS1_17partition_subalgoE9EllbEEZZNS1_14partition_implILS5_9ELb0ES3_jPlS8_PNS0_10empty_typeENS0_5tupleIJS8_S9_EEENSB_IJS8_SA_EEENS0_18inequality_wrapperIZN2at6native12_GLOBAL__N_124unique_dim_cuda_templateIlEESt5tupleIJNSF_6TensorESK_SK_EERKSK_lbbbEUlllE0_EEPmJS9_EEE10hipError_tPvRmT3_T4_T5_T6_T7_T9_mT8_P12ihipStream_tbDpT10_ENKUlT_T0_E_clISt17integral_constantIbLb1EES19_IbLb0EEEEDaS15_S16_EUlS15_E_NS1_11comp_targetILNS1_3genE3ELNS1_11target_archE908ELNS1_3gpuE7ELNS1_3repE0EEENS1_30default_config_static_selectorELNS0_4arch9wavefront6targetE1EEEvT1_
    .private_segment_fixed_size: 0
    .sgpr_count:     4
    .sgpr_spill_count: 0
    .symbol:         _ZN7rocprim17ROCPRIM_400000_NS6detail17trampoline_kernelINS0_14default_configENS1_25partition_config_selectorILNS1_17partition_subalgoE9EllbEEZZNS1_14partition_implILS5_9ELb0ES3_jPlS8_PNS0_10empty_typeENS0_5tupleIJS8_S9_EEENSB_IJS8_SA_EEENS0_18inequality_wrapperIZN2at6native12_GLOBAL__N_124unique_dim_cuda_templateIlEESt5tupleIJNSF_6TensorESK_SK_EERKSK_lbbbEUlllE0_EEPmJS9_EEE10hipError_tPvRmT3_T4_T5_T6_T7_T9_mT8_P12ihipStream_tbDpT10_ENKUlT_T0_E_clISt17integral_constantIbLb1EES19_IbLb0EEEEDaS15_S16_EUlS15_E_NS1_11comp_targetILNS1_3genE3ELNS1_11target_archE908ELNS1_3gpuE7ELNS1_3repE0EEENS1_30default_config_static_selectorELNS0_4arch9wavefront6targetE1EEEvT1_.kd
    .uniform_work_group_size: 1
    .uses_dynamic_stack: false
    .vgpr_count:     0
    .vgpr_spill_count: 0
    .wavefront_size: 64
  - .agpr_count:     0
    .args:
      - .offset:         0
        .size:           120
        .value_kind:     by_value
    .group_segment_fixed_size: 0
    .kernarg_segment_align: 8
    .kernarg_segment_size: 120
    .language:       OpenCL C
    .language_version:
      - 2
      - 0
    .max_flat_workgroup_size: 192
    .name:           _ZN7rocprim17ROCPRIM_400000_NS6detail17trampoline_kernelINS0_14default_configENS1_25partition_config_selectorILNS1_17partition_subalgoE9EllbEEZZNS1_14partition_implILS5_9ELb0ES3_jPlS8_PNS0_10empty_typeENS0_5tupleIJS8_S9_EEENSB_IJS8_SA_EEENS0_18inequality_wrapperIZN2at6native12_GLOBAL__N_124unique_dim_cuda_templateIlEESt5tupleIJNSF_6TensorESK_SK_EERKSK_lbbbEUlllE0_EEPmJS9_EEE10hipError_tPvRmT3_T4_T5_T6_T7_T9_mT8_P12ihipStream_tbDpT10_ENKUlT_T0_E_clISt17integral_constantIbLb1EES19_IbLb0EEEEDaS15_S16_EUlS15_E_NS1_11comp_targetILNS1_3genE2ELNS1_11target_archE906ELNS1_3gpuE6ELNS1_3repE0EEENS1_30default_config_static_selectorELNS0_4arch9wavefront6targetE1EEEvT1_
    .private_segment_fixed_size: 0
    .sgpr_count:     4
    .sgpr_spill_count: 0
    .symbol:         _ZN7rocprim17ROCPRIM_400000_NS6detail17trampoline_kernelINS0_14default_configENS1_25partition_config_selectorILNS1_17partition_subalgoE9EllbEEZZNS1_14partition_implILS5_9ELb0ES3_jPlS8_PNS0_10empty_typeENS0_5tupleIJS8_S9_EEENSB_IJS8_SA_EEENS0_18inequality_wrapperIZN2at6native12_GLOBAL__N_124unique_dim_cuda_templateIlEESt5tupleIJNSF_6TensorESK_SK_EERKSK_lbbbEUlllE0_EEPmJS9_EEE10hipError_tPvRmT3_T4_T5_T6_T7_T9_mT8_P12ihipStream_tbDpT10_ENKUlT_T0_E_clISt17integral_constantIbLb1EES19_IbLb0EEEEDaS15_S16_EUlS15_E_NS1_11comp_targetILNS1_3genE2ELNS1_11target_archE906ELNS1_3gpuE6ELNS1_3repE0EEENS1_30default_config_static_selectorELNS0_4arch9wavefront6targetE1EEEvT1_.kd
    .uniform_work_group_size: 1
    .uses_dynamic_stack: false
    .vgpr_count:     0
    .vgpr_spill_count: 0
    .wavefront_size: 64
  - .agpr_count:     0
    .args:
      - .offset:         0
        .size:           120
        .value_kind:     by_value
    .group_segment_fixed_size: 0
    .kernarg_segment_align: 8
    .kernarg_segment_size: 120
    .language:       OpenCL C
    .language_version:
      - 2
      - 0
    .max_flat_workgroup_size: 384
    .name:           _ZN7rocprim17ROCPRIM_400000_NS6detail17trampoline_kernelINS0_14default_configENS1_25partition_config_selectorILNS1_17partition_subalgoE9EllbEEZZNS1_14partition_implILS5_9ELb0ES3_jPlS8_PNS0_10empty_typeENS0_5tupleIJS8_S9_EEENSB_IJS8_SA_EEENS0_18inequality_wrapperIZN2at6native12_GLOBAL__N_124unique_dim_cuda_templateIlEESt5tupleIJNSF_6TensorESK_SK_EERKSK_lbbbEUlllE0_EEPmJS9_EEE10hipError_tPvRmT3_T4_T5_T6_T7_T9_mT8_P12ihipStream_tbDpT10_ENKUlT_T0_E_clISt17integral_constantIbLb1EES19_IbLb0EEEEDaS15_S16_EUlS15_E_NS1_11comp_targetILNS1_3genE10ELNS1_11target_archE1200ELNS1_3gpuE4ELNS1_3repE0EEENS1_30default_config_static_selectorELNS0_4arch9wavefront6targetE1EEEvT1_
    .private_segment_fixed_size: 0
    .sgpr_count:     4
    .sgpr_spill_count: 0
    .symbol:         _ZN7rocprim17ROCPRIM_400000_NS6detail17trampoline_kernelINS0_14default_configENS1_25partition_config_selectorILNS1_17partition_subalgoE9EllbEEZZNS1_14partition_implILS5_9ELb0ES3_jPlS8_PNS0_10empty_typeENS0_5tupleIJS8_S9_EEENSB_IJS8_SA_EEENS0_18inequality_wrapperIZN2at6native12_GLOBAL__N_124unique_dim_cuda_templateIlEESt5tupleIJNSF_6TensorESK_SK_EERKSK_lbbbEUlllE0_EEPmJS9_EEE10hipError_tPvRmT3_T4_T5_T6_T7_T9_mT8_P12ihipStream_tbDpT10_ENKUlT_T0_E_clISt17integral_constantIbLb1EES19_IbLb0EEEEDaS15_S16_EUlS15_E_NS1_11comp_targetILNS1_3genE10ELNS1_11target_archE1200ELNS1_3gpuE4ELNS1_3repE0EEENS1_30default_config_static_selectorELNS0_4arch9wavefront6targetE1EEEvT1_.kd
    .uniform_work_group_size: 1
    .uses_dynamic_stack: false
    .vgpr_count:     0
    .vgpr_spill_count: 0
    .wavefront_size: 64
  - .agpr_count:     0
    .args:
      - .offset:         0
        .size:           120
        .value_kind:     by_value
    .group_segment_fixed_size: 0
    .kernarg_segment_align: 8
    .kernarg_segment_size: 120
    .language:       OpenCL C
    .language_version:
      - 2
      - 0
    .max_flat_workgroup_size: 512
    .name:           _ZN7rocprim17ROCPRIM_400000_NS6detail17trampoline_kernelINS0_14default_configENS1_25partition_config_selectorILNS1_17partition_subalgoE9EllbEEZZNS1_14partition_implILS5_9ELb0ES3_jPlS8_PNS0_10empty_typeENS0_5tupleIJS8_S9_EEENSB_IJS8_SA_EEENS0_18inequality_wrapperIZN2at6native12_GLOBAL__N_124unique_dim_cuda_templateIlEESt5tupleIJNSF_6TensorESK_SK_EERKSK_lbbbEUlllE0_EEPmJS9_EEE10hipError_tPvRmT3_T4_T5_T6_T7_T9_mT8_P12ihipStream_tbDpT10_ENKUlT_T0_E_clISt17integral_constantIbLb1EES19_IbLb0EEEEDaS15_S16_EUlS15_E_NS1_11comp_targetILNS1_3genE9ELNS1_11target_archE1100ELNS1_3gpuE3ELNS1_3repE0EEENS1_30default_config_static_selectorELNS0_4arch9wavefront6targetE1EEEvT1_
    .private_segment_fixed_size: 0
    .sgpr_count:     4
    .sgpr_spill_count: 0
    .symbol:         _ZN7rocprim17ROCPRIM_400000_NS6detail17trampoline_kernelINS0_14default_configENS1_25partition_config_selectorILNS1_17partition_subalgoE9EllbEEZZNS1_14partition_implILS5_9ELb0ES3_jPlS8_PNS0_10empty_typeENS0_5tupleIJS8_S9_EEENSB_IJS8_SA_EEENS0_18inequality_wrapperIZN2at6native12_GLOBAL__N_124unique_dim_cuda_templateIlEESt5tupleIJNSF_6TensorESK_SK_EERKSK_lbbbEUlllE0_EEPmJS9_EEE10hipError_tPvRmT3_T4_T5_T6_T7_T9_mT8_P12ihipStream_tbDpT10_ENKUlT_T0_E_clISt17integral_constantIbLb1EES19_IbLb0EEEEDaS15_S16_EUlS15_E_NS1_11comp_targetILNS1_3genE9ELNS1_11target_archE1100ELNS1_3gpuE3ELNS1_3repE0EEENS1_30default_config_static_selectorELNS0_4arch9wavefront6targetE1EEEvT1_.kd
    .uniform_work_group_size: 1
    .uses_dynamic_stack: false
    .vgpr_count:     0
    .vgpr_spill_count: 0
    .wavefront_size: 64
  - .agpr_count:     0
    .args:
      - .offset:         0
        .size:           120
        .value_kind:     by_value
    .group_segment_fixed_size: 0
    .kernarg_segment_align: 8
    .kernarg_segment_size: 120
    .language:       OpenCL C
    .language_version:
      - 2
      - 0
    .max_flat_workgroup_size: 512
    .name:           _ZN7rocprim17ROCPRIM_400000_NS6detail17trampoline_kernelINS0_14default_configENS1_25partition_config_selectorILNS1_17partition_subalgoE9EllbEEZZNS1_14partition_implILS5_9ELb0ES3_jPlS8_PNS0_10empty_typeENS0_5tupleIJS8_S9_EEENSB_IJS8_SA_EEENS0_18inequality_wrapperIZN2at6native12_GLOBAL__N_124unique_dim_cuda_templateIlEESt5tupleIJNSF_6TensorESK_SK_EERKSK_lbbbEUlllE0_EEPmJS9_EEE10hipError_tPvRmT3_T4_T5_T6_T7_T9_mT8_P12ihipStream_tbDpT10_ENKUlT_T0_E_clISt17integral_constantIbLb1EES19_IbLb0EEEEDaS15_S16_EUlS15_E_NS1_11comp_targetILNS1_3genE8ELNS1_11target_archE1030ELNS1_3gpuE2ELNS1_3repE0EEENS1_30default_config_static_selectorELNS0_4arch9wavefront6targetE1EEEvT1_
    .private_segment_fixed_size: 0
    .sgpr_count:     4
    .sgpr_spill_count: 0
    .symbol:         _ZN7rocprim17ROCPRIM_400000_NS6detail17trampoline_kernelINS0_14default_configENS1_25partition_config_selectorILNS1_17partition_subalgoE9EllbEEZZNS1_14partition_implILS5_9ELb0ES3_jPlS8_PNS0_10empty_typeENS0_5tupleIJS8_S9_EEENSB_IJS8_SA_EEENS0_18inequality_wrapperIZN2at6native12_GLOBAL__N_124unique_dim_cuda_templateIlEESt5tupleIJNSF_6TensorESK_SK_EERKSK_lbbbEUlllE0_EEPmJS9_EEE10hipError_tPvRmT3_T4_T5_T6_T7_T9_mT8_P12ihipStream_tbDpT10_ENKUlT_T0_E_clISt17integral_constantIbLb1EES19_IbLb0EEEEDaS15_S16_EUlS15_E_NS1_11comp_targetILNS1_3genE8ELNS1_11target_archE1030ELNS1_3gpuE2ELNS1_3repE0EEENS1_30default_config_static_selectorELNS0_4arch9wavefront6targetE1EEEvT1_.kd
    .uniform_work_group_size: 1
    .uses_dynamic_stack: false
    .vgpr_count:     0
    .vgpr_spill_count: 0
    .wavefront_size: 64
  - .agpr_count:     0
    .args:
      - .offset:         0
        .size:           136
        .value_kind:     by_value
    .group_segment_fixed_size: 0
    .kernarg_segment_align: 8
    .kernarg_segment_size: 136
    .language:       OpenCL C
    .language_version:
      - 2
      - 0
    .max_flat_workgroup_size: 128
    .name:           _ZN7rocprim17ROCPRIM_400000_NS6detail17trampoline_kernelINS0_14default_configENS1_25partition_config_selectorILNS1_17partition_subalgoE9EllbEEZZNS1_14partition_implILS5_9ELb0ES3_jPlS8_PNS0_10empty_typeENS0_5tupleIJS8_S9_EEENSB_IJS8_SA_EEENS0_18inequality_wrapperIZN2at6native12_GLOBAL__N_124unique_dim_cuda_templateIlEESt5tupleIJNSF_6TensorESK_SK_EERKSK_lbbbEUlllE0_EEPmJS9_EEE10hipError_tPvRmT3_T4_T5_T6_T7_T9_mT8_P12ihipStream_tbDpT10_ENKUlT_T0_E_clISt17integral_constantIbLb0EES19_IbLb1EEEEDaS15_S16_EUlS15_E_NS1_11comp_targetILNS1_3genE0ELNS1_11target_archE4294967295ELNS1_3gpuE0ELNS1_3repE0EEENS1_30default_config_static_selectorELNS0_4arch9wavefront6targetE1EEEvT1_
    .private_segment_fixed_size: 0
    .sgpr_count:     4
    .sgpr_spill_count: 0
    .symbol:         _ZN7rocprim17ROCPRIM_400000_NS6detail17trampoline_kernelINS0_14default_configENS1_25partition_config_selectorILNS1_17partition_subalgoE9EllbEEZZNS1_14partition_implILS5_9ELb0ES3_jPlS8_PNS0_10empty_typeENS0_5tupleIJS8_S9_EEENSB_IJS8_SA_EEENS0_18inequality_wrapperIZN2at6native12_GLOBAL__N_124unique_dim_cuda_templateIlEESt5tupleIJNSF_6TensorESK_SK_EERKSK_lbbbEUlllE0_EEPmJS9_EEE10hipError_tPvRmT3_T4_T5_T6_T7_T9_mT8_P12ihipStream_tbDpT10_ENKUlT_T0_E_clISt17integral_constantIbLb0EES19_IbLb1EEEEDaS15_S16_EUlS15_E_NS1_11comp_targetILNS1_3genE0ELNS1_11target_archE4294967295ELNS1_3gpuE0ELNS1_3repE0EEENS1_30default_config_static_selectorELNS0_4arch9wavefront6targetE1EEEvT1_.kd
    .uniform_work_group_size: 1
    .uses_dynamic_stack: false
    .vgpr_count:     0
    .vgpr_spill_count: 0
    .wavefront_size: 64
  - .agpr_count:     0
    .args:
      - .offset:         0
        .size:           136
        .value_kind:     by_value
    .group_segment_fixed_size: 0
    .kernarg_segment_align: 8
    .kernarg_segment_size: 136
    .language:       OpenCL C
    .language_version:
      - 2
      - 0
    .max_flat_workgroup_size: 512
    .name:           _ZN7rocprim17ROCPRIM_400000_NS6detail17trampoline_kernelINS0_14default_configENS1_25partition_config_selectorILNS1_17partition_subalgoE9EllbEEZZNS1_14partition_implILS5_9ELb0ES3_jPlS8_PNS0_10empty_typeENS0_5tupleIJS8_S9_EEENSB_IJS8_SA_EEENS0_18inequality_wrapperIZN2at6native12_GLOBAL__N_124unique_dim_cuda_templateIlEESt5tupleIJNSF_6TensorESK_SK_EERKSK_lbbbEUlllE0_EEPmJS9_EEE10hipError_tPvRmT3_T4_T5_T6_T7_T9_mT8_P12ihipStream_tbDpT10_ENKUlT_T0_E_clISt17integral_constantIbLb0EES19_IbLb1EEEEDaS15_S16_EUlS15_E_NS1_11comp_targetILNS1_3genE5ELNS1_11target_archE942ELNS1_3gpuE9ELNS1_3repE0EEENS1_30default_config_static_selectorELNS0_4arch9wavefront6targetE1EEEvT1_
    .private_segment_fixed_size: 0
    .sgpr_count:     4
    .sgpr_spill_count: 0
    .symbol:         _ZN7rocprim17ROCPRIM_400000_NS6detail17trampoline_kernelINS0_14default_configENS1_25partition_config_selectorILNS1_17partition_subalgoE9EllbEEZZNS1_14partition_implILS5_9ELb0ES3_jPlS8_PNS0_10empty_typeENS0_5tupleIJS8_S9_EEENSB_IJS8_SA_EEENS0_18inequality_wrapperIZN2at6native12_GLOBAL__N_124unique_dim_cuda_templateIlEESt5tupleIJNSF_6TensorESK_SK_EERKSK_lbbbEUlllE0_EEPmJS9_EEE10hipError_tPvRmT3_T4_T5_T6_T7_T9_mT8_P12ihipStream_tbDpT10_ENKUlT_T0_E_clISt17integral_constantIbLb0EES19_IbLb1EEEEDaS15_S16_EUlS15_E_NS1_11comp_targetILNS1_3genE5ELNS1_11target_archE942ELNS1_3gpuE9ELNS1_3repE0EEENS1_30default_config_static_selectorELNS0_4arch9wavefront6targetE1EEEvT1_.kd
    .uniform_work_group_size: 1
    .uses_dynamic_stack: false
    .vgpr_count:     0
    .vgpr_spill_count: 0
    .wavefront_size: 64
  - .agpr_count:     0
    .args:
      - .offset:         0
        .size:           136
        .value_kind:     by_value
    .group_segment_fixed_size: 4236
    .kernarg_segment_align: 8
    .kernarg_segment_size: 136
    .language:       OpenCL C
    .language_version:
      - 2
      - 0
    .max_flat_workgroup_size: 128
    .name:           _ZN7rocprim17ROCPRIM_400000_NS6detail17trampoline_kernelINS0_14default_configENS1_25partition_config_selectorILNS1_17partition_subalgoE9EllbEEZZNS1_14partition_implILS5_9ELb0ES3_jPlS8_PNS0_10empty_typeENS0_5tupleIJS8_S9_EEENSB_IJS8_SA_EEENS0_18inequality_wrapperIZN2at6native12_GLOBAL__N_124unique_dim_cuda_templateIlEESt5tupleIJNSF_6TensorESK_SK_EERKSK_lbbbEUlllE0_EEPmJS9_EEE10hipError_tPvRmT3_T4_T5_T6_T7_T9_mT8_P12ihipStream_tbDpT10_ENKUlT_T0_E_clISt17integral_constantIbLb0EES19_IbLb1EEEEDaS15_S16_EUlS15_E_NS1_11comp_targetILNS1_3genE4ELNS1_11target_archE910ELNS1_3gpuE8ELNS1_3repE0EEENS1_30default_config_static_selectorELNS0_4arch9wavefront6targetE1EEEvT1_
    .private_segment_fixed_size: 0
    .sgpr_count:     56
    .sgpr_spill_count: 0
    .symbol:         _ZN7rocprim17ROCPRIM_400000_NS6detail17trampoline_kernelINS0_14default_configENS1_25partition_config_selectorILNS1_17partition_subalgoE9EllbEEZZNS1_14partition_implILS5_9ELb0ES3_jPlS8_PNS0_10empty_typeENS0_5tupleIJS8_S9_EEENSB_IJS8_SA_EEENS0_18inequality_wrapperIZN2at6native12_GLOBAL__N_124unique_dim_cuda_templateIlEESt5tupleIJNSF_6TensorESK_SK_EERKSK_lbbbEUlllE0_EEPmJS9_EEE10hipError_tPvRmT3_T4_T5_T6_T7_T9_mT8_P12ihipStream_tbDpT10_ENKUlT_T0_E_clISt17integral_constantIbLb0EES19_IbLb1EEEEDaS15_S16_EUlS15_E_NS1_11comp_targetILNS1_3genE4ELNS1_11target_archE910ELNS1_3gpuE8ELNS1_3repE0EEENS1_30default_config_static_selectorELNS0_4arch9wavefront6targetE1EEEvT1_.kd
    .uniform_work_group_size: 1
    .uses_dynamic_stack: false
    .vgpr_count:     50
    .vgpr_spill_count: 0
    .wavefront_size: 64
  - .agpr_count:     0
    .args:
      - .offset:         0
        .size:           136
        .value_kind:     by_value
    .group_segment_fixed_size: 0
    .kernarg_segment_align: 8
    .kernarg_segment_size: 136
    .language:       OpenCL C
    .language_version:
      - 2
      - 0
    .max_flat_workgroup_size: 128
    .name:           _ZN7rocprim17ROCPRIM_400000_NS6detail17trampoline_kernelINS0_14default_configENS1_25partition_config_selectorILNS1_17partition_subalgoE9EllbEEZZNS1_14partition_implILS5_9ELb0ES3_jPlS8_PNS0_10empty_typeENS0_5tupleIJS8_S9_EEENSB_IJS8_SA_EEENS0_18inequality_wrapperIZN2at6native12_GLOBAL__N_124unique_dim_cuda_templateIlEESt5tupleIJNSF_6TensorESK_SK_EERKSK_lbbbEUlllE0_EEPmJS9_EEE10hipError_tPvRmT3_T4_T5_T6_T7_T9_mT8_P12ihipStream_tbDpT10_ENKUlT_T0_E_clISt17integral_constantIbLb0EES19_IbLb1EEEEDaS15_S16_EUlS15_E_NS1_11comp_targetILNS1_3genE3ELNS1_11target_archE908ELNS1_3gpuE7ELNS1_3repE0EEENS1_30default_config_static_selectorELNS0_4arch9wavefront6targetE1EEEvT1_
    .private_segment_fixed_size: 0
    .sgpr_count:     4
    .sgpr_spill_count: 0
    .symbol:         _ZN7rocprim17ROCPRIM_400000_NS6detail17trampoline_kernelINS0_14default_configENS1_25partition_config_selectorILNS1_17partition_subalgoE9EllbEEZZNS1_14partition_implILS5_9ELb0ES3_jPlS8_PNS0_10empty_typeENS0_5tupleIJS8_S9_EEENSB_IJS8_SA_EEENS0_18inequality_wrapperIZN2at6native12_GLOBAL__N_124unique_dim_cuda_templateIlEESt5tupleIJNSF_6TensorESK_SK_EERKSK_lbbbEUlllE0_EEPmJS9_EEE10hipError_tPvRmT3_T4_T5_T6_T7_T9_mT8_P12ihipStream_tbDpT10_ENKUlT_T0_E_clISt17integral_constantIbLb0EES19_IbLb1EEEEDaS15_S16_EUlS15_E_NS1_11comp_targetILNS1_3genE3ELNS1_11target_archE908ELNS1_3gpuE7ELNS1_3repE0EEENS1_30default_config_static_selectorELNS0_4arch9wavefront6targetE1EEEvT1_.kd
    .uniform_work_group_size: 1
    .uses_dynamic_stack: false
    .vgpr_count:     0
    .vgpr_spill_count: 0
    .wavefront_size: 64
  - .agpr_count:     0
    .args:
      - .offset:         0
        .size:           136
        .value_kind:     by_value
    .group_segment_fixed_size: 0
    .kernarg_segment_align: 8
    .kernarg_segment_size: 136
    .language:       OpenCL C
    .language_version:
      - 2
      - 0
    .max_flat_workgroup_size: 192
    .name:           _ZN7rocprim17ROCPRIM_400000_NS6detail17trampoline_kernelINS0_14default_configENS1_25partition_config_selectorILNS1_17partition_subalgoE9EllbEEZZNS1_14partition_implILS5_9ELb0ES3_jPlS8_PNS0_10empty_typeENS0_5tupleIJS8_S9_EEENSB_IJS8_SA_EEENS0_18inequality_wrapperIZN2at6native12_GLOBAL__N_124unique_dim_cuda_templateIlEESt5tupleIJNSF_6TensorESK_SK_EERKSK_lbbbEUlllE0_EEPmJS9_EEE10hipError_tPvRmT3_T4_T5_T6_T7_T9_mT8_P12ihipStream_tbDpT10_ENKUlT_T0_E_clISt17integral_constantIbLb0EES19_IbLb1EEEEDaS15_S16_EUlS15_E_NS1_11comp_targetILNS1_3genE2ELNS1_11target_archE906ELNS1_3gpuE6ELNS1_3repE0EEENS1_30default_config_static_selectorELNS0_4arch9wavefront6targetE1EEEvT1_
    .private_segment_fixed_size: 0
    .sgpr_count:     4
    .sgpr_spill_count: 0
    .symbol:         _ZN7rocprim17ROCPRIM_400000_NS6detail17trampoline_kernelINS0_14default_configENS1_25partition_config_selectorILNS1_17partition_subalgoE9EllbEEZZNS1_14partition_implILS5_9ELb0ES3_jPlS8_PNS0_10empty_typeENS0_5tupleIJS8_S9_EEENSB_IJS8_SA_EEENS0_18inequality_wrapperIZN2at6native12_GLOBAL__N_124unique_dim_cuda_templateIlEESt5tupleIJNSF_6TensorESK_SK_EERKSK_lbbbEUlllE0_EEPmJS9_EEE10hipError_tPvRmT3_T4_T5_T6_T7_T9_mT8_P12ihipStream_tbDpT10_ENKUlT_T0_E_clISt17integral_constantIbLb0EES19_IbLb1EEEEDaS15_S16_EUlS15_E_NS1_11comp_targetILNS1_3genE2ELNS1_11target_archE906ELNS1_3gpuE6ELNS1_3repE0EEENS1_30default_config_static_selectorELNS0_4arch9wavefront6targetE1EEEvT1_.kd
    .uniform_work_group_size: 1
    .uses_dynamic_stack: false
    .vgpr_count:     0
    .vgpr_spill_count: 0
    .wavefront_size: 64
  - .agpr_count:     0
    .args:
      - .offset:         0
        .size:           136
        .value_kind:     by_value
    .group_segment_fixed_size: 0
    .kernarg_segment_align: 8
    .kernarg_segment_size: 136
    .language:       OpenCL C
    .language_version:
      - 2
      - 0
    .max_flat_workgroup_size: 384
    .name:           _ZN7rocprim17ROCPRIM_400000_NS6detail17trampoline_kernelINS0_14default_configENS1_25partition_config_selectorILNS1_17partition_subalgoE9EllbEEZZNS1_14partition_implILS5_9ELb0ES3_jPlS8_PNS0_10empty_typeENS0_5tupleIJS8_S9_EEENSB_IJS8_SA_EEENS0_18inequality_wrapperIZN2at6native12_GLOBAL__N_124unique_dim_cuda_templateIlEESt5tupleIJNSF_6TensorESK_SK_EERKSK_lbbbEUlllE0_EEPmJS9_EEE10hipError_tPvRmT3_T4_T5_T6_T7_T9_mT8_P12ihipStream_tbDpT10_ENKUlT_T0_E_clISt17integral_constantIbLb0EES19_IbLb1EEEEDaS15_S16_EUlS15_E_NS1_11comp_targetILNS1_3genE10ELNS1_11target_archE1200ELNS1_3gpuE4ELNS1_3repE0EEENS1_30default_config_static_selectorELNS0_4arch9wavefront6targetE1EEEvT1_
    .private_segment_fixed_size: 0
    .sgpr_count:     4
    .sgpr_spill_count: 0
    .symbol:         _ZN7rocprim17ROCPRIM_400000_NS6detail17trampoline_kernelINS0_14default_configENS1_25partition_config_selectorILNS1_17partition_subalgoE9EllbEEZZNS1_14partition_implILS5_9ELb0ES3_jPlS8_PNS0_10empty_typeENS0_5tupleIJS8_S9_EEENSB_IJS8_SA_EEENS0_18inequality_wrapperIZN2at6native12_GLOBAL__N_124unique_dim_cuda_templateIlEESt5tupleIJNSF_6TensorESK_SK_EERKSK_lbbbEUlllE0_EEPmJS9_EEE10hipError_tPvRmT3_T4_T5_T6_T7_T9_mT8_P12ihipStream_tbDpT10_ENKUlT_T0_E_clISt17integral_constantIbLb0EES19_IbLb1EEEEDaS15_S16_EUlS15_E_NS1_11comp_targetILNS1_3genE10ELNS1_11target_archE1200ELNS1_3gpuE4ELNS1_3repE0EEENS1_30default_config_static_selectorELNS0_4arch9wavefront6targetE1EEEvT1_.kd
    .uniform_work_group_size: 1
    .uses_dynamic_stack: false
    .vgpr_count:     0
    .vgpr_spill_count: 0
    .wavefront_size: 64
  - .agpr_count:     0
    .args:
      - .offset:         0
        .size:           136
        .value_kind:     by_value
    .group_segment_fixed_size: 0
    .kernarg_segment_align: 8
    .kernarg_segment_size: 136
    .language:       OpenCL C
    .language_version:
      - 2
      - 0
    .max_flat_workgroup_size: 512
    .name:           _ZN7rocprim17ROCPRIM_400000_NS6detail17trampoline_kernelINS0_14default_configENS1_25partition_config_selectorILNS1_17partition_subalgoE9EllbEEZZNS1_14partition_implILS5_9ELb0ES3_jPlS8_PNS0_10empty_typeENS0_5tupleIJS8_S9_EEENSB_IJS8_SA_EEENS0_18inequality_wrapperIZN2at6native12_GLOBAL__N_124unique_dim_cuda_templateIlEESt5tupleIJNSF_6TensorESK_SK_EERKSK_lbbbEUlllE0_EEPmJS9_EEE10hipError_tPvRmT3_T4_T5_T6_T7_T9_mT8_P12ihipStream_tbDpT10_ENKUlT_T0_E_clISt17integral_constantIbLb0EES19_IbLb1EEEEDaS15_S16_EUlS15_E_NS1_11comp_targetILNS1_3genE9ELNS1_11target_archE1100ELNS1_3gpuE3ELNS1_3repE0EEENS1_30default_config_static_selectorELNS0_4arch9wavefront6targetE1EEEvT1_
    .private_segment_fixed_size: 0
    .sgpr_count:     4
    .sgpr_spill_count: 0
    .symbol:         _ZN7rocprim17ROCPRIM_400000_NS6detail17trampoline_kernelINS0_14default_configENS1_25partition_config_selectorILNS1_17partition_subalgoE9EllbEEZZNS1_14partition_implILS5_9ELb0ES3_jPlS8_PNS0_10empty_typeENS0_5tupleIJS8_S9_EEENSB_IJS8_SA_EEENS0_18inequality_wrapperIZN2at6native12_GLOBAL__N_124unique_dim_cuda_templateIlEESt5tupleIJNSF_6TensorESK_SK_EERKSK_lbbbEUlllE0_EEPmJS9_EEE10hipError_tPvRmT3_T4_T5_T6_T7_T9_mT8_P12ihipStream_tbDpT10_ENKUlT_T0_E_clISt17integral_constantIbLb0EES19_IbLb1EEEEDaS15_S16_EUlS15_E_NS1_11comp_targetILNS1_3genE9ELNS1_11target_archE1100ELNS1_3gpuE3ELNS1_3repE0EEENS1_30default_config_static_selectorELNS0_4arch9wavefront6targetE1EEEvT1_.kd
    .uniform_work_group_size: 1
    .uses_dynamic_stack: false
    .vgpr_count:     0
    .vgpr_spill_count: 0
    .wavefront_size: 64
  - .agpr_count:     0
    .args:
      - .offset:         0
        .size:           136
        .value_kind:     by_value
    .group_segment_fixed_size: 0
    .kernarg_segment_align: 8
    .kernarg_segment_size: 136
    .language:       OpenCL C
    .language_version:
      - 2
      - 0
    .max_flat_workgroup_size: 512
    .name:           _ZN7rocprim17ROCPRIM_400000_NS6detail17trampoline_kernelINS0_14default_configENS1_25partition_config_selectorILNS1_17partition_subalgoE9EllbEEZZNS1_14partition_implILS5_9ELb0ES3_jPlS8_PNS0_10empty_typeENS0_5tupleIJS8_S9_EEENSB_IJS8_SA_EEENS0_18inequality_wrapperIZN2at6native12_GLOBAL__N_124unique_dim_cuda_templateIlEESt5tupleIJNSF_6TensorESK_SK_EERKSK_lbbbEUlllE0_EEPmJS9_EEE10hipError_tPvRmT3_T4_T5_T6_T7_T9_mT8_P12ihipStream_tbDpT10_ENKUlT_T0_E_clISt17integral_constantIbLb0EES19_IbLb1EEEEDaS15_S16_EUlS15_E_NS1_11comp_targetILNS1_3genE8ELNS1_11target_archE1030ELNS1_3gpuE2ELNS1_3repE0EEENS1_30default_config_static_selectorELNS0_4arch9wavefront6targetE1EEEvT1_
    .private_segment_fixed_size: 0
    .sgpr_count:     4
    .sgpr_spill_count: 0
    .symbol:         _ZN7rocprim17ROCPRIM_400000_NS6detail17trampoline_kernelINS0_14default_configENS1_25partition_config_selectorILNS1_17partition_subalgoE9EllbEEZZNS1_14partition_implILS5_9ELb0ES3_jPlS8_PNS0_10empty_typeENS0_5tupleIJS8_S9_EEENSB_IJS8_SA_EEENS0_18inequality_wrapperIZN2at6native12_GLOBAL__N_124unique_dim_cuda_templateIlEESt5tupleIJNSF_6TensorESK_SK_EERKSK_lbbbEUlllE0_EEPmJS9_EEE10hipError_tPvRmT3_T4_T5_T6_T7_T9_mT8_P12ihipStream_tbDpT10_ENKUlT_T0_E_clISt17integral_constantIbLb0EES19_IbLb1EEEEDaS15_S16_EUlS15_E_NS1_11comp_targetILNS1_3genE8ELNS1_11target_archE1030ELNS1_3gpuE2ELNS1_3repE0EEENS1_30default_config_static_selectorELNS0_4arch9wavefront6targetE1EEEvT1_.kd
    .uniform_work_group_size: 1
    .uses_dynamic_stack: false
    .vgpr_count:     0
    .vgpr_spill_count: 0
    .wavefront_size: 64
  - .agpr_count:     0
    .args:
      - .offset:         0
        .size:           72
        .value_kind:     by_value
    .group_segment_fixed_size: 0
    .kernarg_segment_align: 8
    .kernarg_segment_size: 72
    .language:       OpenCL C
    .language_version:
      - 2
      - 0
    .max_flat_workgroup_size: 256
    .name:           _ZN7rocprim17ROCPRIM_400000_NS6detail17trampoline_kernelINS0_14default_configENS1_37merge_sort_block_sort_config_selectorIlNS0_10empty_typeEEEZNS1_21merge_sort_block_sortIS3_PlS8_PS5_S9_ZN2at6native12_GLOBAL__N_124unique_dim_cuda_templateIsEESt5tupleIJNSA_6TensorESF_SF_EERKSF_lbbbEUlllE_EE10hipError_tT0_T1_T2_T3_mRjT4_P12ihipStream_tbNS1_7vsmem_tEEUlT_E_NS1_11comp_targetILNS1_3genE0ELNS1_11target_archE4294967295ELNS1_3gpuE0ELNS1_3repE0EEENS1_30default_config_static_selectorELNS0_4arch9wavefront6targetE1EEEvSM_
    .private_segment_fixed_size: 0
    .sgpr_count:     4
    .sgpr_spill_count: 0
    .symbol:         _ZN7rocprim17ROCPRIM_400000_NS6detail17trampoline_kernelINS0_14default_configENS1_37merge_sort_block_sort_config_selectorIlNS0_10empty_typeEEEZNS1_21merge_sort_block_sortIS3_PlS8_PS5_S9_ZN2at6native12_GLOBAL__N_124unique_dim_cuda_templateIsEESt5tupleIJNSA_6TensorESF_SF_EERKSF_lbbbEUlllE_EE10hipError_tT0_T1_T2_T3_mRjT4_P12ihipStream_tbNS1_7vsmem_tEEUlT_E_NS1_11comp_targetILNS1_3genE0ELNS1_11target_archE4294967295ELNS1_3gpuE0ELNS1_3repE0EEENS1_30default_config_static_selectorELNS0_4arch9wavefront6targetE1EEEvSM_.kd
    .uniform_work_group_size: 1
    .uses_dynamic_stack: false
    .vgpr_count:     0
    .vgpr_spill_count: 0
    .wavefront_size: 64
  - .agpr_count:     0
    .args:
      - .offset:         0
        .size:           72
        .value_kind:     by_value
    .group_segment_fixed_size: 0
    .kernarg_segment_align: 8
    .kernarg_segment_size: 72
    .language:       OpenCL C
    .language_version:
      - 2
      - 0
    .max_flat_workgroup_size: 256
    .name:           _ZN7rocprim17ROCPRIM_400000_NS6detail17trampoline_kernelINS0_14default_configENS1_37merge_sort_block_sort_config_selectorIlNS0_10empty_typeEEEZNS1_21merge_sort_block_sortIS3_PlS8_PS5_S9_ZN2at6native12_GLOBAL__N_124unique_dim_cuda_templateIsEESt5tupleIJNSA_6TensorESF_SF_EERKSF_lbbbEUlllE_EE10hipError_tT0_T1_T2_T3_mRjT4_P12ihipStream_tbNS1_7vsmem_tEEUlT_E_NS1_11comp_targetILNS1_3genE5ELNS1_11target_archE942ELNS1_3gpuE9ELNS1_3repE0EEENS1_30default_config_static_selectorELNS0_4arch9wavefront6targetE1EEEvSM_
    .private_segment_fixed_size: 0
    .sgpr_count:     4
    .sgpr_spill_count: 0
    .symbol:         _ZN7rocprim17ROCPRIM_400000_NS6detail17trampoline_kernelINS0_14default_configENS1_37merge_sort_block_sort_config_selectorIlNS0_10empty_typeEEEZNS1_21merge_sort_block_sortIS3_PlS8_PS5_S9_ZN2at6native12_GLOBAL__N_124unique_dim_cuda_templateIsEESt5tupleIJNSA_6TensorESF_SF_EERKSF_lbbbEUlllE_EE10hipError_tT0_T1_T2_T3_mRjT4_P12ihipStream_tbNS1_7vsmem_tEEUlT_E_NS1_11comp_targetILNS1_3genE5ELNS1_11target_archE942ELNS1_3gpuE9ELNS1_3repE0EEENS1_30default_config_static_selectorELNS0_4arch9wavefront6targetE1EEEvSM_.kd
    .uniform_work_group_size: 1
    .uses_dynamic_stack: false
    .vgpr_count:     0
    .vgpr_spill_count: 0
    .wavefront_size: 64
  - .agpr_count:     0
    .args:
      - .offset:         0
        .size:           72
        .value_kind:     by_value
      - .offset:         72
        .size:           4
        .value_kind:     hidden_block_count_x
      - .offset:         76
        .size:           4
        .value_kind:     hidden_block_count_y
      - .offset:         80
        .size:           4
        .value_kind:     hidden_block_count_z
      - .offset:         84
        .size:           2
        .value_kind:     hidden_group_size_x
      - .offset:         86
        .size:           2
        .value_kind:     hidden_group_size_y
      - .offset:         88
        .size:           2
        .value_kind:     hidden_group_size_z
      - .offset:         90
        .size:           2
        .value_kind:     hidden_remainder_x
      - .offset:         92
        .size:           2
        .value_kind:     hidden_remainder_y
      - .offset:         94
        .size:           2
        .value_kind:     hidden_remainder_z
      - .offset:         112
        .size:           8
        .value_kind:     hidden_global_offset_x
      - .offset:         120
        .size:           8
        .value_kind:     hidden_global_offset_y
      - .offset:         128
        .size:           8
        .value_kind:     hidden_global_offset_z
      - .offset:         136
        .size:           2
        .value_kind:     hidden_grid_dims
    .group_segment_fixed_size: 8448
    .kernarg_segment_align: 8
    .kernarg_segment_size: 328
    .language:       OpenCL C
    .language_version:
      - 2
      - 0
    .max_flat_workgroup_size: 256
    .name:           _ZN7rocprim17ROCPRIM_400000_NS6detail17trampoline_kernelINS0_14default_configENS1_37merge_sort_block_sort_config_selectorIlNS0_10empty_typeEEEZNS1_21merge_sort_block_sortIS3_PlS8_PS5_S9_ZN2at6native12_GLOBAL__N_124unique_dim_cuda_templateIsEESt5tupleIJNSA_6TensorESF_SF_EERKSF_lbbbEUlllE_EE10hipError_tT0_T1_T2_T3_mRjT4_P12ihipStream_tbNS1_7vsmem_tEEUlT_E_NS1_11comp_targetILNS1_3genE4ELNS1_11target_archE910ELNS1_3gpuE8ELNS1_3repE0EEENS1_30default_config_static_selectorELNS0_4arch9wavefront6targetE1EEEvSM_
    .private_segment_fixed_size: 0
    .sgpr_count:     58
    .sgpr_spill_count: 0
    .symbol:         _ZN7rocprim17ROCPRIM_400000_NS6detail17trampoline_kernelINS0_14default_configENS1_37merge_sort_block_sort_config_selectorIlNS0_10empty_typeEEEZNS1_21merge_sort_block_sortIS3_PlS8_PS5_S9_ZN2at6native12_GLOBAL__N_124unique_dim_cuda_templateIsEESt5tupleIJNSA_6TensorESF_SF_EERKSF_lbbbEUlllE_EE10hipError_tT0_T1_T2_T3_mRjT4_P12ihipStream_tbNS1_7vsmem_tEEUlT_E_NS1_11comp_targetILNS1_3genE4ELNS1_11target_archE910ELNS1_3gpuE8ELNS1_3repE0EEENS1_30default_config_static_selectorELNS0_4arch9wavefront6targetE1EEEvSM_.kd
    .uniform_work_group_size: 1
    .uses_dynamic_stack: false
    .vgpr_count:     46
    .vgpr_spill_count: 0
    .wavefront_size: 64
  - .agpr_count:     0
    .args:
      - .offset:         0
        .size:           72
        .value_kind:     by_value
    .group_segment_fixed_size: 0
    .kernarg_segment_align: 8
    .kernarg_segment_size: 72
    .language:       OpenCL C
    .language_version:
      - 2
      - 0
    .max_flat_workgroup_size: 256
    .name:           _ZN7rocprim17ROCPRIM_400000_NS6detail17trampoline_kernelINS0_14default_configENS1_37merge_sort_block_sort_config_selectorIlNS0_10empty_typeEEEZNS1_21merge_sort_block_sortIS3_PlS8_PS5_S9_ZN2at6native12_GLOBAL__N_124unique_dim_cuda_templateIsEESt5tupleIJNSA_6TensorESF_SF_EERKSF_lbbbEUlllE_EE10hipError_tT0_T1_T2_T3_mRjT4_P12ihipStream_tbNS1_7vsmem_tEEUlT_E_NS1_11comp_targetILNS1_3genE3ELNS1_11target_archE908ELNS1_3gpuE7ELNS1_3repE0EEENS1_30default_config_static_selectorELNS0_4arch9wavefront6targetE1EEEvSM_
    .private_segment_fixed_size: 0
    .sgpr_count:     4
    .sgpr_spill_count: 0
    .symbol:         _ZN7rocprim17ROCPRIM_400000_NS6detail17trampoline_kernelINS0_14default_configENS1_37merge_sort_block_sort_config_selectorIlNS0_10empty_typeEEEZNS1_21merge_sort_block_sortIS3_PlS8_PS5_S9_ZN2at6native12_GLOBAL__N_124unique_dim_cuda_templateIsEESt5tupleIJNSA_6TensorESF_SF_EERKSF_lbbbEUlllE_EE10hipError_tT0_T1_T2_T3_mRjT4_P12ihipStream_tbNS1_7vsmem_tEEUlT_E_NS1_11comp_targetILNS1_3genE3ELNS1_11target_archE908ELNS1_3gpuE7ELNS1_3repE0EEENS1_30default_config_static_selectorELNS0_4arch9wavefront6targetE1EEEvSM_.kd
    .uniform_work_group_size: 1
    .uses_dynamic_stack: false
    .vgpr_count:     0
    .vgpr_spill_count: 0
    .wavefront_size: 64
  - .agpr_count:     0
    .args:
      - .offset:         0
        .size:           72
        .value_kind:     by_value
    .group_segment_fixed_size: 0
    .kernarg_segment_align: 8
    .kernarg_segment_size: 72
    .language:       OpenCL C
    .language_version:
      - 2
      - 0
    .max_flat_workgroup_size: 256
    .name:           _ZN7rocprim17ROCPRIM_400000_NS6detail17trampoline_kernelINS0_14default_configENS1_37merge_sort_block_sort_config_selectorIlNS0_10empty_typeEEEZNS1_21merge_sort_block_sortIS3_PlS8_PS5_S9_ZN2at6native12_GLOBAL__N_124unique_dim_cuda_templateIsEESt5tupleIJNSA_6TensorESF_SF_EERKSF_lbbbEUlllE_EE10hipError_tT0_T1_T2_T3_mRjT4_P12ihipStream_tbNS1_7vsmem_tEEUlT_E_NS1_11comp_targetILNS1_3genE2ELNS1_11target_archE906ELNS1_3gpuE6ELNS1_3repE0EEENS1_30default_config_static_selectorELNS0_4arch9wavefront6targetE1EEEvSM_
    .private_segment_fixed_size: 0
    .sgpr_count:     4
    .sgpr_spill_count: 0
    .symbol:         _ZN7rocprim17ROCPRIM_400000_NS6detail17trampoline_kernelINS0_14default_configENS1_37merge_sort_block_sort_config_selectorIlNS0_10empty_typeEEEZNS1_21merge_sort_block_sortIS3_PlS8_PS5_S9_ZN2at6native12_GLOBAL__N_124unique_dim_cuda_templateIsEESt5tupleIJNSA_6TensorESF_SF_EERKSF_lbbbEUlllE_EE10hipError_tT0_T1_T2_T3_mRjT4_P12ihipStream_tbNS1_7vsmem_tEEUlT_E_NS1_11comp_targetILNS1_3genE2ELNS1_11target_archE906ELNS1_3gpuE6ELNS1_3repE0EEENS1_30default_config_static_selectorELNS0_4arch9wavefront6targetE1EEEvSM_.kd
    .uniform_work_group_size: 1
    .uses_dynamic_stack: false
    .vgpr_count:     0
    .vgpr_spill_count: 0
    .wavefront_size: 64
  - .agpr_count:     0
    .args:
      - .offset:         0
        .size:           72
        .value_kind:     by_value
    .group_segment_fixed_size: 0
    .kernarg_segment_align: 8
    .kernarg_segment_size: 72
    .language:       OpenCL C
    .language_version:
      - 2
      - 0
    .max_flat_workgroup_size: 256
    .name:           _ZN7rocprim17ROCPRIM_400000_NS6detail17trampoline_kernelINS0_14default_configENS1_37merge_sort_block_sort_config_selectorIlNS0_10empty_typeEEEZNS1_21merge_sort_block_sortIS3_PlS8_PS5_S9_ZN2at6native12_GLOBAL__N_124unique_dim_cuda_templateIsEESt5tupleIJNSA_6TensorESF_SF_EERKSF_lbbbEUlllE_EE10hipError_tT0_T1_T2_T3_mRjT4_P12ihipStream_tbNS1_7vsmem_tEEUlT_E_NS1_11comp_targetILNS1_3genE10ELNS1_11target_archE1201ELNS1_3gpuE5ELNS1_3repE0EEENS1_30default_config_static_selectorELNS0_4arch9wavefront6targetE1EEEvSM_
    .private_segment_fixed_size: 0
    .sgpr_count:     4
    .sgpr_spill_count: 0
    .symbol:         _ZN7rocprim17ROCPRIM_400000_NS6detail17trampoline_kernelINS0_14default_configENS1_37merge_sort_block_sort_config_selectorIlNS0_10empty_typeEEEZNS1_21merge_sort_block_sortIS3_PlS8_PS5_S9_ZN2at6native12_GLOBAL__N_124unique_dim_cuda_templateIsEESt5tupleIJNSA_6TensorESF_SF_EERKSF_lbbbEUlllE_EE10hipError_tT0_T1_T2_T3_mRjT4_P12ihipStream_tbNS1_7vsmem_tEEUlT_E_NS1_11comp_targetILNS1_3genE10ELNS1_11target_archE1201ELNS1_3gpuE5ELNS1_3repE0EEENS1_30default_config_static_selectorELNS0_4arch9wavefront6targetE1EEEvSM_.kd
    .uniform_work_group_size: 1
    .uses_dynamic_stack: false
    .vgpr_count:     0
    .vgpr_spill_count: 0
    .wavefront_size: 64
  - .agpr_count:     0
    .args:
      - .offset:         0
        .size:           72
        .value_kind:     by_value
    .group_segment_fixed_size: 0
    .kernarg_segment_align: 8
    .kernarg_segment_size: 72
    .language:       OpenCL C
    .language_version:
      - 2
      - 0
    .max_flat_workgroup_size: 512
    .name:           _ZN7rocprim17ROCPRIM_400000_NS6detail17trampoline_kernelINS0_14default_configENS1_37merge_sort_block_sort_config_selectorIlNS0_10empty_typeEEEZNS1_21merge_sort_block_sortIS3_PlS8_PS5_S9_ZN2at6native12_GLOBAL__N_124unique_dim_cuda_templateIsEESt5tupleIJNSA_6TensorESF_SF_EERKSF_lbbbEUlllE_EE10hipError_tT0_T1_T2_T3_mRjT4_P12ihipStream_tbNS1_7vsmem_tEEUlT_E_NS1_11comp_targetILNS1_3genE10ELNS1_11target_archE1200ELNS1_3gpuE4ELNS1_3repE0EEENS1_30default_config_static_selectorELNS0_4arch9wavefront6targetE1EEEvSM_
    .private_segment_fixed_size: 0
    .sgpr_count:     4
    .sgpr_spill_count: 0
    .symbol:         _ZN7rocprim17ROCPRIM_400000_NS6detail17trampoline_kernelINS0_14default_configENS1_37merge_sort_block_sort_config_selectorIlNS0_10empty_typeEEEZNS1_21merge_sort_block_sortIS3_PlS8_PS5_S9_ZN2at6native12_GLOBAL__N_124unique_dim_cuda_templateIsEESt5tupleIJNSA_6TensorESF_SF_EERKSF_lbbbEUlllE_EE10hipError_tT0_T1_T2_T3_mRjT4_P12ihipStream_tbNS1_7vsmem_tEEUlT_E_NS1_11comp_targetILNS1_3genE10ELNS1_11target_archE1200ELNS1_3gpuE4ELNS1_3repE0EEENS1_30default_config_static_selectorELNS0_4arch9wavefront6targetE1EEEvSM_.kd
    .uniform_work_group_size: 1
    .uses_dynamic_stack: false
    .vgpr_count:     0
    .vgpr_spill_count: 0
    .wavefront_size: 64
  - .agpr_count:     0
    .args:
      - .offset:         0
        .size:           72
        .value_kind:     by_value
    .group_segment_fixed_size: 0
    .kernarg_segment_align: 8
    .kernarg_segment_size: 72
    .language:       OpenCL C
    .language_version:
      - 2
      - 0
    .max_flat_workgroup_size: 256
    .name:           _ZN7rocprim17ROCPRIM_400000_NS6detail17trampoline_kernelINS0_14default_configENS1_37merge_sort_block_sort_config_selectorIlNS0_10empty_typeEEEZNS1_21merge_sort_block_sortIS3_PlS8_PS5_S9_ZN2at6native12_GLOBAL__N_124unique_dim_cuda_templateIsEESt5tupleIJNSA_6TensorESF_SF_EERKSF_lbbbEUlllE_EE10hipError_tT0_T1_T2_T3_mRjT4_P12ihipStream_tbNS1_7vsmem_tEEUlT_E_NS1_11comp_targetILNS1_3genE9ELNS1_11target_archE1100ELNS1_3gpuE3ELNS1_3repE0EEENS1_30default_config_static_selectorELNS0_4arch9wavefront6targetE1EEEvSM_
    .private_segment_fixed_size: 0
    .sgpr_count:     4
    .sgpr_spill_count: 0
    .symbol:         _ZN7rocprim17ROCPRIM_400000_NS6detail17trampoline_kernelINS0_14default_configENS1_37merge_sort_block_sort_config_selectorIlNS0_10empty_typeEEEZNS1_21merge_sort_block_sortIS3_PlS8_PS5_S9_ZN2at6native12_GLOBAL__N_124unique_dim_cuda_templateIsEESt5tupleIJNSA_6TensorESF_SF_EERKSF_lbbbEUlllE_EE10hipError_tT0_T1_T2_T3_mRjT4_P12ihipStream_tbNS1_7vsmem_tEEUlT_E_NS1_11comp_targetILNS1_3genE9ELNS1_11target_archE1100ELNS1_3gpuE3ELNS1_3repE0EEENS1_30default_config_static_selectorELNS0_4arch9wavefront6targetE1EEEvSM_.kd
    .uniform_work_group_size: 1
    .uses_dynamic_stack: false
    .vgpr_count:     0
    .vgpr_spill_count: 0
    .wavefront_size: 64
  - .agpr_count:     0
    .args:
      - .offset:         0
        .size:           72
        .value_kind:     by_value
    .group_segment_fixed_size: 0
    .kernarg_segment_align: 8
    .kernarg_segment_size: 72
    .language:       OpenCL C
    .language_version:
      - 2
      - 0
    .max_flat_workgroup_size: 256
    .name:           _ZN7rocprim17ROCPRIM_400000_NS6detail17trampoline_kernelINS0_14default_configENS1_37merge_sort_block_sort_config_selectorIlNS0_10empty_typeEEEZNS1_21merge_sort_block_sortIS3_PlS8_PS5_S9_ZN2at6native12_GLOBAL__N_124unique_dim_cuda_templateIsEESt5tupleIJNSA_6TensorESF_SF_EERKSF_lbbbEUlllE_EE10hipError_tT0_T1_T2_T3_mRjT4_P12ihipStream_tbNS1_7vsmem_tEEUlT_E_NS1_11comp_targetILNS1_3genE8ELNS1_11target_archE1030ELNS1_3gpuE2ELNS1_3repE0EEENS1_30default_config_static_selectorELNS0_4arch9wavefront6targetE1EEEvSM_
    .private_segment_fixed_size: 0
    .sgpr_count:     4
    .sgpr_spill_count: 0
    .symbol:         _ZN7rocprim17ROCPRIM_400000_NS6detail17trampoline_kernelINS0_14default_configENS1_37merge_sort_block_sort_config_selectorIlNS0_10empty_typeEEEZNS1_21merge_sort_block_sortIS3_PlS8_PS5_S9_ZN2at6native12_GLOBAL__N_124unique_dim_cuda_templateIsEESt5tupleIJNSA_6TensorESF_SF_EERKSF_lbbbEUlllE_EE10hipError_tT0_T1_T2_T3_mRjT4_P12ihipStream_tbNS1_7vsmem_tEEUlT_E_NS1_11comp_targetILNS1_3genE8ELNS1_11target_archE1030ELNS1_3gpuE2ELNS1_3repE0EEENS1_30default_config_static_selectorELNS0_4arch9wavefront6targetE1EEEvSM_.kd
    .uniform_work_group_size: 1
    .uses_dynamic_stack: false
    .vgpr_count:     0
    .vgpr_spill_count: 0
    .wavefront_size: 64
  - .agpr_count:     0
    .args:
      - .offset:         0
        .size:           56
        .value_kind:     by_value
    .group_segment_fixed_size: 0
    .kernarg_segment_align: 8
    .kernarg_segment_size: 56
    .language:       OpenCL C
    .language_version:
      - 2
      - 0
    .max_flat_workgroup_size: 128
    .name:           _ZN7rocprim17ROCPRIM_400000_NS6detail17trampoline_kernelINS0_14default_configENS1_38merge_sort_block_merge_config_selectorIlNS0_10empty_typeEEEZZNS1_27merge_sort_block_merge_implIS3_PlPS5_mZN2at6native12_GLOBAL__N_124unique_dim_cuda_templateIsEESt5tupleIJNSA_6TensorESF_SF_EERKSF_lbbbEUlllE_EE10hipError_tT0_T1_T2_jT3_P12ihipStream_tbPNSt15iterator_traitsISL_E10value_typeEPNSR_ISM_E10value_typeEPSN_NS1_7vsmem_tEENKUlT_SL_SM_SN_E_clIS8_S8_S9_S9_EESK_S10_SL_SM_SN_EUlS10_E_NS1_11comp_targetILNS1_3genE0ELNS1_11target_archE4294967295ELNS1_3gpuE0ELNS1_3repE0EEENS1_48merge_mergepath_partition_config_static_selectorELNS0_4arch9wavefront6targetE1EEEvSM_
    .private_segment_fixed_size: 0
    .sgpr_count:     4
    .sgpr_spill_count: 0
    .symbol:         _ZN7rocprim17ROCPRIM_400000_NS6detail17trampoline_kernelINS0_14default_configENS1_38merge_sort_block_merge_config_selectorIlNS0_10empty_typeEEEZZNS1_27merge_sort_block_merge_implIS3_PlPS5_mZN2at6native12_GLOBAL__N_124unique_dim_cuda_templateIsEESt5tupleIJNSA_6TensorESF_SF_EERKSF_lbbbEUlllE_EE10hipError_tT0_T1_T2_jT3_P12ihipStream_tbPNSt15iterator_traitsISL_E10value_typeEPNSR_ISM_E10value_typeEPSN_NS1_7vsmem_tEENKUlT_SL_SM_SN_E_clIS8_S8_S9_S9_EESK_S10_SL_SM_SN_EUlS10_E_NS1_11comp_targetILNS1_3genE0ELNS1_11target_archE4294967295ELNS1_3gpuE0ELNS1_3repE0EEENS1_48merge_mergepath_partition_config_static_selectorELNS0_4arch9wavefront6targetE1EEEvSM_.kd
    .uniform_work_group_size: 1
    .uses_dynamic_stack: false
    .vgpr_count:     0
    .vgpr_spill_count: 0
    .wavefront_size: 64
  - .agpr_count:     0
    .args:
      - .offset:         0
        .size:           56
        .value_kind:     by_value
    .group_segment_fixed_size: 0
    .kernarg_segment_align: 8
    .kernarg_segment_size: 56
    .language:       OpenCL C
    .language_version:
      - 2
      - 0
    .max_flat_workgroup_size: 128
    .name:           _ZN7rocprim17ROCPRIM_400000_NS6detail17trampoline_kernelINS0_14default_configENS1_38merge_sort_block_merge_config_selectorIlNS0_10empty_typeEEEZZNS1_27merge_sort_block_merge_implIS3_PlPS5_mZN2at6native12_GLOBAL__N_124unique_dim_cuda_templateIsEESt5tupleIJNSA_6TensorESF_SF_EERKSF_lbbbEUlllE_EE10hipError_tT0_T1_T2_jT3_P12ihipStream_tbPNSt15iterator_traitsISL_E10value_typeEPNSR_ISM_E10value_typeEPSN_NS1_7vsmem_tEENKUlT_SL_SM_SN_E_clIS8_S8_S9_S9_EESK_S10_SL_SM_SN_EUlS10_E_NS1_11comp_targetILNS1_3genE10ELNS1_11target_archE1201ELNS1_3gpuE5ELNS1_3repE0EEENS1_48merge_mergepath_partition_config_static_selectorELNS0_4arch9wavefront6targetE1EEEvSM_
    .private_segment_fixed_size: 0
    .sgpr_count:     4
    .sgpr_spill_count: 0
    .symbol:         _ZN7rocprim17ROCPRIM_400000_NS6detail17trampoline_kernelINS0_14default_configENS1_38merge_sort_block_merge_config_selectorIlNS0_10empty_typeEEEZZNS1_27merge_sort_block_merge_implIS3_PlPS5_mZN2at6native12_GLOBAL__N_124unique_dim_cuda_templateIsEESt5tupleIJNSA_6TensorESF_SF_EERKSF_lbbbEUlllE_EE10hipError_tT0_T1_T2_jT3_P12ihipStream_tbPNSt15iterator_traitsISL_E10value_typeEPNSR_ISM_E10value_typeEPSN_NS1_7vsmem_tEENKUlT_SL_SM_SN_E_clIS8_S8_S9_S9_EESK_S10_SL_SM_SN_EUlS10_E_NS1_11comp_targetILNS1_3genE10ELNS1_11target_archE1201ELNS1_3gpuE5ELNS1_3repE0EEENS1_48merge_mergepath_partition_config_static_selectorELNS0_4arch9wavefront6targetE1EEEvSM_.kd
    .uniform_work_group_size: 1
    .uses_dynamic_stack: false
    .vgpr_count:     0
    .vgpr_spill_count: 0
    .wavefront_size: 64
  - .agpr_count:     0
    .args:
      - .offset:         0
        .size:           56
        .value_kind:     by_value
    .group_segment_fixed_size: 0
    .kernarg_segment_align: 8
    .kernarg_segment_size: 56
    .language:       OpenCL C
    .language_version:
      - 2
      - 0
    .max_flat_workgroup_size: 128
    .name:           _ZN7rocprim17ROCPRIM_400000_NS6detail17trampoline_kernelINS0_14default_configENS1_38merge_sort_block_merge_config_selectorIlNS0_10empty_typeEEEZZNS1_27merge_sort_block_merge_implIS3_PlPS5_mZN2at6native12_GLOBAL__N_124unique_dim_cuda_templateIsEESt5tupleIJNSA_6TensorESF_SF_EERKSF_lbbbEUlllE_EE10hipError_tT0_T1_T2_jT3_P12ihipStream_tbPNSt15iterator_traitsISL_E10value_typeEPNSR_ISM_E10value_typeEPSN_NS1_7vsmem_tEENKUlT_SL_SM_SN_E_clIS8_S8_S9_S9_EESK_S10_SL_SM_SN_EUlS10_E_NS1_11comp_targetILNS1_3genE5ELNS1_11target_archE942ELNS1_3gpuE9ELNS1_3repE0EEENS1_48merge_mergepath_partition_config_static_selectorELNS0_4arch9wavefront6targetE1EEEvSM_
    .private_segment_fixed_size: 0
    .sgpr_count:     4
    .sgpr_spill_count: 0
    .symbol:         _ZN7rocprim17ROCPRIM_400000_NS6detail17trampoline_kernelINS0_14default_configENS1_38merge_sort_block_merge_config_selectorIlNS0_10empty_typeEEEZZNS1_27merge_sort_block_merge_implIS3_PlPS5_mZN2at6native12_GLOBAL__N_124unique_dim_cuda_templateIsEESt5tupleIJNSA_6TensorESF_SF_EERKSF_lbbbEUlllE_EE10hipError_tT0_T1_T2_jT3_P12ihipStream_tbPNSt15iterator_traitsISL_E10value_typeEPNSR_ISM_E10value_typeEPSN_NS1_7vsmem_tEENKUlT_SL_SM_SN_E_clIS8_S8_S9_S9_EESK_S10_SL_SM_SN_EUlS10_E_NS1_11comp_targetILNS1_3genE5ELNS1_11target_archE942ELNS1_3gpuE9ELNS1_3repE0EEENS1_48merge_mergepath_partition_config_static_selectorELNS0_4arch9wavefront6targetE1EEEvSM_.kd
    .uniform_work_group_size: 1
    .uses_dynamic_stack: false
    .vgpr_count:     0
    .vgpr_spill_count: 0
    .wavefront_size: 64
  - .agpr_count:     0
    .args:
      - .offset:         0
        .size:           56
        .value_kind:     by_value
    .group_segment_fixed_size: 0
    .kernarg_segment_align: 8
    .kernarg_segment_size: 56
    .language:       OpenCL C
    .language_version:
      - 2
      - 0
    .max_flat_workgroup_size: 128
    .name:           _ZN7rocprim17ROCPRIM_400000_NS6detail17trampoline_kernelINS0_14default_configENS1_38merge_sort_block_merge_config_selectorIlNS0_10empty_typeEEEZZNS1_27merge_sort_block_merge_implIS3_PlPS5_mZN2at6native12_GLOBAL__N_124unique_dim_cuda_templateIsEESt5tupleIJNSA_6TensorESF_SF_EERKSF_lbbbEUlllE_EE10hipError_tT0_T1_T2_jT3_P12ihipStream_tbPNSt15iterator_traitsISL_E10value_typeEPNSR_ISM_E10value_typeEPSN_NS1_7vsmem_tEENKUlT_SL_SM_SN_E_clIS8_S8_S9_S9_EESK_S10_SL_SM_SN_EUlS10_E_NS1_11comp_targetILNS1_3genE4ELNS1_11target_archE910ELNS1_3gpuE8ELNS1_3repE0EEENS1_48merge_mergepath_partition_config_static_selectorELNS0_4arch9wavefront6targetE1EEEvSM_
    .private_segment_fixed_size: 0
    .sgpr_count:     40
    .sgpr_spill_count: 0
    .symbol:         _ZN7rocprim17ROCPRIM_400000_NS6detail17trampoline_kernelINS0_14default_configENS1_38merge_sort_block_merge_config_selectorIlNS0_10empty_typeEEEZZNS1_27merge_sort_block_merge_implIS3_PlPS5_mZN2at6native12_GLOBAL__N_124unique_dim_cuda_templateIsEESt5tupleIJNSA_6TensorESF_SF_EERKSF_lbbbEUlllE_EE10hipError_tT0_T1_T2_jT3_P12ihipStream_tbPNSt15iterator_traitsISL_E10value_typeEPNSR_ISM_E10value_typeEPSN_NS1_7vsmem_tEENKUlT_SL_SM_SN_E_clIS8_S8_S9_S9_EESK_S10_SL_SM_SN_EUlS10_E_NS1_11comp_targetILNS1_3genE4ELNS1_11target_archE910ELNS1_3gpuE8ELNS1_3repE0EEENS1_48merge_mergepath_partition_config_static_selectorELNS0_4arch9wavefront6targetE1EEEvSM_.kd
    .uniform_work_group_size: 1
    .uses_dynamic_stack: false
    .vgpr_count:     23
    .vgpr_spill_count: 0
    .wavefront_size: 64
  - .agpr_count:     0
    .args:
      - .offset:         0
        .size:           56
        .value_kind:     by_value
    .group_segment_fixed_size: 0
    .kernarg_segment_align: 8
    .kernarg_segment_size: 56
    .language:       OpenCL C
    .language_version:
      - 2
      - 0
    .max_flat_workgroup_size: 128
    .name:           _ZN7rocprim17ROCPRIM_400000_NS6detail17trampoline_kernelINS0_14default_configENS1_38merge_sort_block_merge_config_selectorIlNS0_10empty_typeEEEZZNS1_27merge_sort_block_merge_implIS3_PlPS5_mZN2at6native12_GLOBAL__N_124unique_dim_cuda_templateIsEESt5tupleIJNSA_6TensorESF_SF_EERKSF_lbbbEUlllE_EE10hipError_tT0_T1_T2_jT3_P12ihipStream_tbPNSt15iterator_traitsISL_E10value_typeEPNSR_ISM_E10value_typeEPSN_NS1_7vsmem_tEENKUlT_SL_SM_SN_E_clIS8_S8_S9_S9_EESK_S10_SL_SM_SN_EUlS10_E_NS1_11comp_targetILNS1_3genE3ELNS1_11target_archE908ELNS1_3gpuE7ELNS1_3repE0EEENS1_48merge_mergepath_partition_config_static_selectorELNS0_4arch9wavefront6targetE1EEEvSM_
    .private_segment_fixed_size: 0
    .sgpr_count:     4
    .sgpr_spill_count: 0
    .symbol:         _ZN7rocprim17ROCPRIM_400000_NS6detail17trampoline_kernelINS0_14default_configENS1_38merge_sort_block_merge_config_selectorIlNS0_10empty_typeEEEZZNS1_27merge_sort_block_merge_implIS3_PlPS5_mZN2at6native12_GLOBAL__N_124unique_dim_cuda_templateIsEESt5tupleIJNSA_6TensorESF_SF_EERKSF_lbbbEUlllE_EE10hipError_tT0_T1_T2_jT3_P12ihipStream_tbPNSt15iterator_traitsISL_E10value_typeEPNSR_ISM_E10value_typeEPSN_NS1_7vsmem_tEENKUlT_SL_SM_SN_E_clIS8_S8_S9_S9_EESK_S10_SL_SM_SN_EUlS10_E_NS1_11comp_targetILNS1_3genE3ELNS1_11target_archE908ELNS1_3gpuE7ELNS1_3repE0EEENS1_48merge_mergepath_partition_config_static_selectorELNS0_4arch9wavefront6targetE1EEEvSM_.kd
    .uniform_work_group_size: 1
    .uses_dynamic_stack: false
    .vgpr_count:     0
    .vgpr_spill_count: 0
    .wavefront_size: 64
  - .agpr_count:     0
    .args:
      - .offset:         0
        .size:           56
        .value_kind:     by_value
    .group_segment_fixed_size: 0
    .kernarg_segment_align: 8
    .kernarg_segment_size: 56
    .language:       OpenCL C
    .language_version:
      - 2
      - 0
    .max_flat_workgroup_size: 128
    .name:           _ZN7rocprim17ROCPRIM_400000_NS6detail17trampoline_kernelINS0_14default_configENS1_38merge_sort_block_merge_config_selectorIlNS0_10empty_typeEEEZZNS1_27merge_sort_block_merge_implIS3_PlPS5_mZN2at6native12_GLOBAL__N_124unique_dim_cuda_templateIsEESt5tupleIJNSA_6TensorESF_SF_EERKSF_lbbbEUlllE_EE10hipError_tT0_T1_T2_jT3_P12ihipStream_tbPNSt15iterator_traitsISL_E10value_typeEPNSR_ISM_E10value_typeEPSN_NS1_7vsmem_tEENKUlT_SL_SM_SN_E_clIS8_S8_S9_S9_EESK_S10_SL_SM_SN_EUlS10_E_NS1_11comp_targetILNS1_3genE2ELNS1_11target_archE906ELNS1_3gpuE6ELNS1_3repE0EEENS1_48merge_mergepath_partition_config_static_selectorELNS0_4arch9wavefront6targetE1EEEvSM_
    .private_segment_fixed_size: 0
    .sgpr_count:     4
    .sgpr_spill_count: 0
    .symbol:         _ZN7rocprim17ROCPRIM_400000_NS6detail17trampoline_kernelINS0_14default_configENS1_38merge_sort_block_merge_config_selectorIlNS0_10empty_typeEEEZZNS1_27merge_sort_block_merge_implIS3_PlPS5_mZN2at6native12_GLOBAL__N_124unique_dim_cuda_templateIsEESt5tupleIJNSA_6TensorESF_SF_EERKSF_lbbbEUlllE_EE10hipError_tT0_T1_T2_jT3_P12ihipStream_tbPNSt15iterator_traitsISL_E10value_typeEPNSR_ISM_E10value_typeEPSN_NS1_7vsmem_tEENKUlT_SL_SM_SN_E_clIS8_S8_S9_S9_EESK_S10_SL_SM_SN_EUlS10_E_NS1_11comp_targetILNS1_3genE2ELNS1_11target_archE906ELNS1_3gpuE6ELNS1_3repE0EEENS1_48merge_mergepath_partition_config_static_selectorELNS0_4arch9wavefront6targetE1EEEvSM_.kd
    .uniform_work_group_size: 1
    .uses_dynamic_stack: false
    .vgpr_count:     0
    .vgpr_spill_count: 0
    .wavefront_size: 64
  - .agpr_count:     0
    .args:
      - .offset:         0
        .size:           56
        .value_kind:     by_value
    .group_segment_fixed_size: 0
    .kernarg_segment_align: 8
    .kernarg_segment_size: 56
    .language:       OpenCL C
    .language_version:
      - 2
      - 0
    .max_flat_workgroup_size: 128
    .name:           _ZN7rocprim17ROCPRIM_400000_NS6detail17trampoline_kernelINS0_14default_configENS1_38merge_sort_block_merge_config_selectorIlNS0_10empty_typeEEEZZNS1_27merge_sort_block_merge_implIS3_PlPS5_mZN2at6native12_GLOBAL__N_124unique_dim_cuda_templateIsEESt5tupleIJNSA_6TensorESF_SF_EERKSF_lbbbEUlllE_EE10hipError_tT0_T1_T2_jT3_P12ihipStream_tbPNSt15iterator_traitsISL_E10value_typeEPNSR_ISM_E10value_typeEPSN_NS1_7vsmem_tEENKUlT_SL_SM_SN_E_clIS8_S8_S9_S9_EESK_S10_SL_SM_SN_EUlS10_E_NS1_11comp_targetILNS1_3genE9ELNS1_11target_archE1100ELNS1_3gpuE3ELNS1_3repE0EEENS1_48merge_mergepath_partition_config_static_selectorELNS0_4arch9wavefront6targetE1EEEvSM_
    .private_segment_fixed_size: 0
    .sgpr_count:     4
    .sgpr_spill_count: 0
    .symbol:         _ZN7rocprim17ROCPRIM_400000_NS6detail17trampoline_kernelINS0_14default_configENS1_38merge_sort_block_merge_config_selectorIlNS0_10empty_typeEEEZZNS1_27merge_sort_block_merge_implIS3_PlPS5_mZN2at6native12_GLOBAL__N_124unique_dim_cuda_templateIsEESt5tupleIJNSA_6TensorESF_SF_EERKSF_lbbbEUlllE_EE10hipError_tT0_T1_T2_jT3_P12ihipStream_tbPNSt15iterator_traitsISL_E10value_typeEPNSR_ISM_E10value_typeEPSN_NS1_7vsmem_tEENKUlT_SL_SM_SN_E_clIS8_S8_S9_S9_EESK_S10_SL_SM_SN_EUlS10_E_NS1_11comp_targetILNS1_3genE9ELNS1_11target_archE1100ELNS1_3gpuE3ELNS1_3repE0EEENS1_48merge_mergepath_partition_config_static_selectorELNS0_4arch9wavefront6targetE1EEEvSM_.kd
    .uniform_work_group_size: 1
    .uses_dynamic_stack: false
    .vgpr_count:     0
    .vgpr_spill_count: 0
    .wavefront_size: 64
  - .agpr_count:     0
    .args:
      - .offset:         0
        .size:           56
        .value_kind:     by_value
    .group_segment_fixed_size: 0
    .kernarg_segment_align: 8
    .kernarg_segment_size: 56
    .language:       OpenCL C
    .language_version:
      - 2
      - 0
    .max_flat_workgroup_size: 128
    .name:           _ZN7rocprim17ROCPRIM_400000_NS6detail17trampoline_kernelINS0_14default_configENS1_38merge_sort_block_merge_config_selectorIlNS0_10empty_typeEEEZZNS1_27merge_sort_block_merge_implIS3_PlPS5_mZN2at6native12_GLOBAL__N_124unique_dim_cuda_templateIsEESt5tupleIJNSA_6TensorESF_SF_EERKSF_lbbbEUlllE_EE10hipError_tT0_T1_T2_jT3_P12ihipStream_tbPNSt15iterator_traitsISL_E10value_typeEPNSR_ISM_E10value_typeEPSN_NS1_7vsmem_tEENKUlT_SL_SM_SN_E_clIS8_S8_S9_S9_EESK_S10_SL_SM_SN_EUlS10_E_NS1_11comp_targetILNS1_3genE8ELNS1_11target_archE1030ELNS1_3gpuE2ELNS1_3repE0EEENS1_48merge_mergepath_partition_config_static_selectorELNS0_4arch9wavefront6targetE1EEEvSM_
    .private_segment_fixed_size: 0
    .sgpr_count:     4
    .sgpr_spill_count: 0
    .symbol:         _ZN7rocprim17ROCPRIM_400000_NS6detail17trampoline_kernelINS0_14default_configENS1_38merge_sort_block_merge_config_selectorIlNS0_10empty_typeEEEZZNS1_27merge_sort_block_merge_implIS3_PlPS5_mZN2at6native12_GLOBAL__N_124unique_dim_cuda_templateIsEESt5tupleIJNSA_6TensorESF_SF_EERKSF_lbbbEUlllE_EE10hipError_tT0_T1_T2_jT3_P12ihipStream_tbPNSt15iterator_traitsISL_E10value_typeEPNSR_ISM_E10value_typeEPSN_NS1_7vsmem_tEENKUlT_SL_SM_SN_E_clIS8_S8_S9_S9_EESK_S10_SL_SM_SN_EUlS10_E_NS1_11comp_targetILNS1_3genE8ELNS1_11target_archE1030ELNS1_3gpuE2ELNS1_3repE0EEENS1_48merge_mergepath_partition_config_static_selectorELNS0_4arch9wavefront6targetE1EEEvSM_.kd
    .uniform_work_group_size: 1
    .uses_dynamic_stack: false
    .vgpr_count:     0
    .vgpr_spill_count: 0
    .wavefront_size: 64
  - .agpr_count:     0
    .args:
      - .offset:         0
        .size:           88
        .value_kind:     by_value
    .group_segment_fixed_size: 0
    .kernarg_segment_align: 8
    .kernarg_segment_size: 88
    .language:       OpenCL C
    .language_version:
      - 2
      - 0
    .max_flat_workgroup_size: 128
    .name:           _ZN7rocprim17ROCPRIM_400000_NS6detail17trampoline_kernelINS0_14default_configENS1_38merge_sort_block_merge_config_selectorIlNS0_10empty_typeEEEZZNS1_27merge_sort_block_merge_implIS3_PlPS5_mZN2at6native12_GLOBAL__N_124unique_dim_cuda_templateIsEESt5tupleIJNSA_6TensorESF_SF_EERKSF_lbbbEUlllE_EE10hipError_tT0_T1_T2_jT3_P12ihipStream_tbPNSt15iterator_traitsISL_E10value_typeEPNSR_ISM_E10value_typeEPSN_NS1_7vsmem_tEENKUlT_SL_SM_SN_E_clIS8_S8_S9_S9_EESK_S10_SL_SM_SN_EUlS10_E0_NS1_11comp_targetILNS1_3genE0ELNS1_11target_archE4294967295ELNS1_3gpuE0ELNS1_3repE0EEENS1_38merge_mergepath_config_static_selectorELNS0_4arch9wavefront6targetE1EEEvSM_
    .private_segment_fixed_size: 0
    .sgpr_count:     4
    .sgpr_spill_count: 0
    .symbol:         _ZN7rocprim17ROCPRIM_400000_NS6detail17trampoline_kernelINS0_14default_configENS1_38merge_sort_block_merge_config_selectorIlNS0_10empty_typeEEEZZNS1_27merge_sort_block_merge_implIS3_PlPS5_mZN2at6native12_GLOBAL__N_124unique_dim_cuda_templateIsEESt5tupleIJNSA_6TensorESF_SF_EERKSF_lbbbEUlllE_EE10hipError_tT0_T1_T2_jT3_P12ihipStream_tbPNSt15iterator_traitsISL_E10value_typeEPNSR_ISM_E10value_typeEPSN_NS1_7vsmem_tEENKUlT_SL_SM_SN_E_clIS8_S8_S9_S9_EESK_S10_SL_SM_SN_EUlS10_E0_NS1_11comp_targetILNS1_3genE0ELNS1_11target_archE4294967295ELNS1_3gpuE0ELNS1_3repE0EEENS1_38merge_mergepath_config_static_selectorELNS0_4arch9wavefront6targetE1EEEvSM_.kd
    .uniform_work_group_size: 1
    .uses_dynamic_stack: false
    .vgpr_count:     0
    .vgpr_spill_count: 0
    .wavefront_size: 64
  - .agpr_count:     0
    .args:
      - .offset:         0
        .size:           88
        .value_kind:     by_value
    .group_segment_fixed_size: 0
    .kernarg_segment_align: 8
    .kernarg_segment_size: 88
    .language:       OpenCL C
    .language_version:
      - 2
      - 0
    .max_flat_workgroup_size: 512
    .name:           _ZN7rocprim17ROCPRIM_400000_NS6detail17trampoline_kernelINS0_14default_configENS1_38merge_sort_block_merge_config_selectorIlNS0_10empty_typeEEEZZNS1_27merge_sort_block_merge_implIS3_PlPS5_mZN2at6native12_GLOBAL__N_124unique_dim_cuda_templateIsEESt5tupleIJNSA_6TensorESF_SF_EERKSF_lbbbEUlllE_EE10hipError_tT0_T1_T2_jT3_P12ihipStream_tbPNSt15iterator_traitsISL_E10value_typeEPNSR_ISM_E10value_typeEPSN_NS1_7vsmem_tEENKUlT_SL_SM_SN_E_clIS8_S8_S9_S9_EESK_S10_SL_SM_SN_EUlS10_E0_NS1_11comp_targetILNS1_3genE10ELNS1_11target_archE1201ELNS1_3gpuE5ELNS1_3repE0EEENS1_38merge_mergepath_config_static_selectorELNS0_4arch9wavefront6targetE1EEEvSM_
    .private_segment_fixed_size: 0
    .sgpr_count:     4
    .sgpr_spill_count: 0
    .symbol:         _ZN7rocprim17ROCPRIM_400000_NS6detail17trampoline_kernelINS0_14default_configENS1_38merge_sort_block_merge_config_selectorIlNS0_10empty_typeEEEZZNS1_27merge_sort_block_merge_implIS3_PlPS5_mZN2at6native12_GLOBAL__N_124unique_dim_cuda_templateIsEESt5tupleIJNSA_6TensorESF_SF_EERKSF_lbbbEUlllE_EE10hipError_tT0_T1_T2_jT3_P12ihipStream_tbPNSt15iterator_traitsISL_E10value_typeEPNSR_ISM_E10value_typeEPSN_NS1_7vsmem_tEENKUlT_SL_SM_SN_E_clIS8_S8_S9_S9_EESK_S10_SL_SM_SN_EUlS10_E0_NS1_11comp_targetILNS1_3genE10ELNS1_11target_archE1201ELNS1_3gpuE5ELNS1_3repE0EEENS1_38merge_mergepath_config_static_selectorELNS0_4arch9wavefront6targetE1EEEvSM_.kd
    .uniform_work_group_size: 1
    .uses_dynamic_stack: false
    .vgpr_count:     0
    .vgpr_spill_count: 0
    .wavefront_size: 64
  - .agpr_count:     0
    .args:
      - .offset:         0
        .size:           88
        .value_kind:     by_value
    .group_segment_fixed_size: 0
    .kernarg_segment_align: 8
    .kernarg_segment_size: 88
    .language:       OpenCL C
    .language_version:
      - 2
      - 0
    .max_flat_workgroup_size: 128
    .name:           _ZN7rocprim17ROCPRIM_400000_NS6detail17trampoline_kernelINS0_14default_configENS1_38merge_sort_block_merge_config_selectorIlNS0_10empty_typeEEEZZNS1_27merge_sort_block_merge_implIS3_PlPS5_mZN2at6native12_GLOBAL__N_124unique_dim_cuda_templateIsEESt5tupleIJNSA_6TensorESF_SF_EERKSF_lbbbEUlllE_EE10hipError_tT0_T1_T2_jT3_P12ihipStream_tbPNSt15iterator_traitsISL_E10value_typeEPNSR_ISM_E10value_typeEPSN_NS1_7vsmem_tEENKUlT_SL_SM_SN_E_clIS8_S8_S9_S9_EESK_S10_SL_SM_SN_EUlS10_E0_NS1_11comp_targetILNS1_3genE5ELNS1_11target_archE942ELNS1_3gpuE9ELNS1_3repE0EEENS1_38merge_mergepath_config_static_selectorELNS0_4arch9wavefront6targetE1EEEvSM_
    .private_segment_fixed_size: 0
    .sgpr_count:     4
    .sgpr_spill_count: 0
    .symbol:         _ZN7rocprim17ROCPRIM_400000_NS6detail17trampoline_kernelINS0_14default_configENS1_38merge_sort_block_merge_config_selectorIlNS0_10empty_typeEEEZZNS1_27merge_sort_block_merge_implIS3_PlPS5_mZN2at6native12_GLOBAL__N_124unique_dim_cuda_templateIsEESt5tupleIJNSA_6TensorESF_SF_EERKSF_lbbbEUlllE_EE10hipError_tT0_T1_T2_jT3_P12ihipStream_tbPNSt15iterator_traitsISL_E10value_typeEPNSR_ISM_E10value_typeEPSN_NS1_7vsmem_tEENKUlT_SL_SM_SN_E_clIS8_S8_S9_S9_EESK_S10_SL_SM_SN_EUlS10_E0_NS1_11comp_targetILNS1_3genE5ELNS1_11target_archE942ELNS1_3gpuE9ELNS1_3repE0EEENS1_38merge_mergepath_config_static_selectorELNS0_4arch9wavefront6targetE1EEEvSM_.kd
    .uniform_work_group_size: 1
    .uses_dynamic_stack: false
    .vgpr_count:     0
    .vgpr_spill_count: 0
    .wavefront_size: 64
  - .agpr_count:     0
    .args:
      - .offset:         0
        .size:           88
        .value_kind:     by_value
      - .offset:         88
        .size:           4
        .value_kind:     hidden_block_count_x
      - .offset:         92
        .size:           4
        .value_kind:     hidden_block_count_y
      - .offset:         96
        .size:           4
        .value_kind:     hidden_block_count_z
      - .offset:         100
        .size:           2
        .value_kind:     hidden_group_size_x
      - .offset:         102
        .size:           2
        .value_kind:     hidden_group_size_y
      - .offset:         104
        .size:           2
        .value_kind:     hidden_group_size_z
      - .offset:         106
        .size:           2
        .value_kind:     hidden_remainder_x
      - .offset:         108
        .size:           2
        .value_kind:     hidden_remainder_y
      - .offset:         110
        .size:           2
        .value_kind:     hidden_remainder_z
      - .offset:         128
        .size:           8
        .value_kind:     hidden_global_offset_x
      - .offset:         136
        .size:           8
        .value_kind:     hidden_global_offset_y
      - .offset:         144
        .size:           8
        .value_kind:     hidden_global_offset_z
      - .offset:         152
        .size:           2
        .value_kind:     hidden_grid_dims
    .group_segment_fixed_size: 8448
    .kernarg_segment_align: 8
    .kernarg_segment_size: 344
    .language:       OpenCL C
    .language_version:
      - 2
      - 0
    .max_flat_workgroup_size: 256
    .name:           _ZN7rocprim17ROCPRIM_400000_NS6detail17trampoline_kernelINS0_14default_configENS1_38merge_sort_block_merge_config_selectorIlNS0_10empty_typeEEEZZNS1_27merge_sort_block_merge_implIS3_PlPS5_mZN2at6native12_GLOBAL__N_124unique_dim_cuda_templateIsEESt5tupleIJNSA_6TensorESF_SF_EERKSF_lbbbEUlllE_EE10hipError_tT0_T1_T2_jT3_P12ihipStream_tbPNSt15iterator_traitsISL_E10value_typeEPNSR_ISM_E10value_typeEPSN_NS1_7vsmem_tEENKUlT_SL_SM_SN_E_clIS8_S8_S9_S9_EESK_S10_SL_SM_SN_EUlS10_E0_NS1_11comp_targetILNS1_3genE4ELNS1_11target_archE910ELNS1_3gpuE8ELNS1_3repE0EEENS1_38merge_mergepath_config_static_selectorELNS0_4arch9wavefront6targetE1EEEvSM_
    .private_segment_fixed_size: 0
    .sgpr_count:     50
    .sgpr_spill_count: 0
    .symbol:         _ZN7rocprim17ROCPRIM_400000_NS6detail17trampoline_kernelINS0_14default_configENS1_38merge_sort_block_merge_config_selectorIlNS0_10empty_typeEEEZZNS1_27merge_sort_block_merge_implIS3_PlPS5_mZN2at6native12_GLOBAL__N_124unique_dim_cuda_templateIsEESt5tupleIJNSA_6TensorESF_SF_EERKSF_lbbbEUlllE_EE10hipError_tT0_T1_T2_jT3_P12ihipStream_tbPNSt15iterator_traitsISL_E10value_typeEPNSR_ISM_E10value_typeEPSN_NS1_7vsmem_tEENKUlT_SL_SM_SN_E_clIS8_S8_S9_S9_EESK_S10_SL_SM_SN_EUlS10_E0_NS1_11comp_targetILNS1_3genE4ELNS1_11target_archE910ELNS1_3gpuE8ELNS1_3repE0EEENS1_38merge_mergepath_config_static_selectorELNS0_4arch9wavefront6targetE1EEEvSM_.kd
    .uniform_work_group_size: 1
    .uses_dynamic_stack: false
    .vgpr_count:     24
    .vgpr_spill_count: 0
    .wavefront_size: 64
  - .agpr_count:     0
    .args:
      - .offset:         0
        .size:           88
        .value_kind:     by_value
    .group_segment_fixed_size: 0
    .kernarg_segment_align: 8
    .kernarg_segment_size: 88
    .language:       OpenCL C
    .language_version:
      - 2
      - 0
    .max_flat_workgroup_size: 128
    .name:           _ZN7rocprim17ROCPRIM_400000_NS6detail17trampoline_kernelINS0_14default_configENS1_38merge_sort_block_merge_config_selectorIlNS0_10empty_typeEEEZZNS1_27merge_sort_block_merge_implIS3_PlPS5_mZN2at6native12_GLOBAL__N_124unique_dim_cuda_templateIsEESt5tupleIJNSA_6TensorESF_SF_EERKSF_lbbbEUlllE_EE10hipError_tT0_T1_T2_jT3_P12ihipStream_tbPNSt15iterator_traitsISL_E10value_typeEPNSR_ISM_E10value_typeEPSN_NS1_7vsmem_tEENKUlT_SL_SM_SN_E_clIS8_S8_S9_S9_EESK_S10_SL_SM_SN_EUlS10_E0_NS1_11comp_targetILNS1_3genE3ELNS1_11target_archE908ELNS1_3gpuE7ELNS1_3repE0EEENS1_38merge_mergepath_config_static_selectorELNS0_4arch9wavefront6targetE1EEEvSM_
    .private_segment_fixed_size: 0
    .sgpr_count:     4
    .sgpr_spill_count: 0
    .symbol:         _ZN7rocprim17ROCPRIM_400000_NS6detail17trampoline_kernelINS0_14default_configENS1_38merge_sort_block_merge_config_selectorIlNS0_10empty_typeEEEZZNS1_27merge_sort_block_merge_implIS3_PlPS5_mZN2at6native12_GLOBAL__N_124unique_dim_cuda_templateIsEESt5tupleIJNSA_6TensorESF_SF_EERKSF_lbbbEUlllE_EE10hipError_tT0_T1_T2_jT3_P12ihipStream_tbPNSt15iterator_traitsISL_E10value_typeEPNSR_ISM_E10value_typeEPSN_NS1_7vsmem_tEENKUlT_SL_SM_SN_E_clIS8_S8_S9_S9_EESK_S10_SL_SM_SN_EUlS10_E0_NS1_11comp_targetILNS1_3genE3ELNS1_11target_archE908ELNS1_3gpuE7ELNS1_3repE0EEENS1_38merge_mergepath_config_static_selectorELNS0_4arch9wavefront6targetE1EEEvSM_.kd
    .uniform_work_group_size: 1
    .uses_dynamic_stack: false
    .vgpr_count:     0
    .vgpr_spill_count: 0
    .wavefront_size: 64
  - .agpr_count:     0
    .args:
      - .offset:         0
        .size:           88
        .value_kind:     by_value
    .group_segment_fixed_size: 0
    .kernarg_segment_align: 8
    .kernarg_segment_size: 88
    .language:       OpenCL C
    .language_version:
      - 2
      - 0
    .max_flat_workgroup_size: 256
    .name:           _ZN7rocprim17ROCPRIM_400000_NS6detail17trampoline_kernelINS0_14default_configENS1_38merge_sort_block_merge_config_selectorIlNS0_10empty_typeEEEZZNS1_27merge_sort_block_merge_implIS3_PlPS5_mZN2at6native12_GLOBAL__N_124unique_dim_cuda_templateIsEESt5tupleIJNSA_6TensorESF_SF_EERKSF_lbbbEUlllE_EE10hipError_tT0_T1_T2_jT3_P12ihipStream_tbPNSt15iterator_traitsISL_E10value_typeEPNSR_ISM_E10value_typeEPSN_NS1_7vsmem_tEENKUlT_SL_SM_SN_E_clIS8_S8_S9_S9_EESK_S10_SL_SM_SN_EUlS10_E0_NS1_11comp_targetILNS1_3genE2ELNS1_11target_archE906ELNS1_3gpuE6ELNS1_3repE0EEENS1_38merge_mergepath_config_static_selectorELNS0_4arch9wavefront6targetE1EEEvSM_
    .private_segment_fixed_size: 0
    .sgpr_count:     4
    .sgpr_spill_count: 0
    .symbol:         _ZN7rocprim17ROCPRIM_400000_NS6detail17trampoline_kernelINS0_14default_configENS1_38merge_sort_block_merge_config_selectorIlNS0_10empty_typeEEEZZNS1_27merge_sort_block_merge_implIS3_PlPS5_mZN2at6native12_GLOBAL__N_124unique_dim_cuda_templateIsEESt5tupleIJNSA_6TensorESF_SF_EERKSF_lbbbEUlllE_EE10hipError_tT0_T1_T2_jT3_P12ihipStream_tbPNSt15iterator_traitsISL_E10value_typeEPNSR_ISM_E10value_typeEPSN_NS1_7vsmem_tEENKUlT_SL_SM_SN_E_clIS8_S8_S9_S9_EESK_S10_SL_SM_SN_EUlS10_E0_NS1_11comp_targetILNS1_3genE2ELNS1_11target_archE906ELNS1_3gpuE6ELNS1_3repE0EEENS1_38merge_mergepath_config_static_selectorELNS0_4arch9wavefront6targetE1EEEvSM_.kd
    .uniform_work_group_size: 1
    .uses_dynamic_stack: false
    .vgpr_count:     0
    .vgpr_spill_count: 0
    .wavefront_size: 64
  - .agpr_count:     0
    .args:
      - .offset:         0
        .size:           88
        .value_kind:     by_value
    .group_segment_fixed_size: 0
    .kernarg_segment_align: 8
    .kernarg_segment_size: 88
    .language:       OpenCL C
    .language_version:
      - 2
      - 0
    .max_flat_workgroup_size: 512
    .name:           _ZN7rocprim17ROCPRIM_400000_NS6detail17trampoline_kernelINS0_14default_configENS1_38merge_sort_block_merge_config_selectorIlNS0_10empty_typeEEEZZNS1_27merge_sort_block_merge_implIS3_PlPS5_mZN2at6native12_GLOBAL__N_124unique_dim_cuda_templateIsEESt5tupleIJNSA_6TensorESF_SF_EERKSF_lbbbEUlllE_EE10hipError_tT0_T1_T2_jT3_P12ihipStream_tbPNSt15iterator_traitsISL_E10value_typeEPNSR_ISM_E10value_typeEPSN_NS1_7vsmem_tEENKUlT_SL_SM_SN_E_clIS8_S8_S9_S9_EESK_S10_SL_SM_SN_EUlS10_E0_NS1_11comp_targetILNS1_3genE9ELNS1_11target_archE1100ELNS1_3gpuE3ELNS1_3repE0EEENS1_38merge_mergepath_config_static_selectorELNS0_4arch9wavefront6targetE1EEEvSM_
    .private_segment_fixed_size: 0
    .sgpr_count:     4
    .sgpr_spill_count: 0
    .symbol:         _ZN7rocprim17ROCPRIM_400000_NS6detail17trampoline_kernelINS0_14default_configENS1_38merge_sort_block_merge_config_selectorIlNS0_10empty_typeEEEZZNS1_27merge_sort_block_merge_implIS3_PlPS5_mZN2at6native12_GLOBAL__N_124unique_dim_cuda_templateIsEESt5tupleIJNSA_6TensorESF_SF_EERKSF_lbbbEUlllE_EE10hipError_tT0_T1_T2_jT3_P12ihipStream_tbPNSt15iterator_traitsISL_E10value_typeEPNSR_ISM_E10value_typeEPSN_NS1_7vsmem_tEENKUlT_SL_SM_SN_E_clIS8_S8_S9_S9_EESK_S10_SL_SM_SN_EUlS10_E0_NS1_11comp_targetILNS1_3genE9ELNS1_11target_archE1100ELNS1_3gpuE3ELNS1_3repE0EEENS1_38merge_mergepath_config_static_selectorELNS0_4arch9wavefront6targetE1EEEvSM_.kd
    .uniform_work_group_size: 1
    .uses_dynamic_stack: false
    .vgpr_count:     0
    .vgpr_spill_count: 0
    .wavefront_size: 64
  - .agpr_count:     0
    .args:
      - .offset:         0
        .size:           88
        .value_kind:     by_value
    .group_segment_fixed_size: 0
    .kernarg_segment_align: 8
    .kernarg_segment_size: 88
    .language:       OpenCL C
    .language_version:
      - 2
      - 0
    .max_flat_workgroup_size: 1024
    .name:           _ZN7rocprim17ROCPRIM_400000_NS6detail17trampoline_kernelINS0_14default_configENS1_38merge_sort_block_merge_config_selectorIlNS0_10empty_typeEEEZZNS1_27merge_sort_block_merge_implIS3_PlPS5_mZN2at6native12_GLOBAL__N_124unique_dim_cuda_templateIsEESt5tupleIJNSA_6TensorESF_SF_EERKSF_lbbbEUlllE_EE10hipError_tT0_T1_T2_jT3_P12ihipStream_tbPNSt15iterator_traitsISL_E10value_typeEPNSR_ISM_E10value_typeEPSN_NS1_7vsmem_tEENKUlT_SL_SM_SN_E_clIS8_S8_S9_S9_EESK_S10_SL_SM_SN_EUlS10_E0_NS1_11comp_targetILNS1_3genE8ELNS1_11target_archE1030ELNS1_3gpuE2ELNS1_3repE0EEENS1_38merge_mergepath_config_static_selectorELNS0_4arch9wavefront6targetE1EEEvSM_
    .private_segment_fixed_size: 0
    .sgpr_count:     4
    .sgpr_spill_count: 0
    .symbol:         _ZN7rocprim17ROCPRIM_400000_NS6detail17trampoline_kernelINS0_14default_configENS1_38merge_sort_block_merge_config_selectorIlNS0_10empty_typeEEEZZNS1_27merge_sort_block_merge_implIS3_PlPS5_mZN2at6native12_GLOBAL__N_124unique_dim_cuda_templateIsEESt5tupleIJNSA_6TensorESF_SF_EERKSF_lbbbEUlllE_EE10hipError_tT0_T1_T2_jT3_P12ihipStream_tbPNSt15iterator_traitsISL_E10value_typeEPNSR_ISM_E10value_typeEPSN_NS1_7vsmem_tEENKUlT_SL_SM_SN_E_clIS8_S8_S9_S9_EESK_S10_SL_SM_SN_EUlS10_E0_NS1_11comp_targetILNS1_3genE8ELNS1_11target_archE1030ELNS1_3gpuE2ELNS1_3repE0EEENS1_38merge_mergepath_config_static_selectorELNS0_4arch9wavefront6targetE1EEEvSM_.kd
    .uniform_work_group_size: 1
    .uses_dynamic_stack: false
    .vgpr_count:     0
    .vgpr_spill_count: 0
    .wavefront_size: 64
  - .agpr_count:     0
    .args:
      - .offset:         0
        .size:           64
        .value_kind:     by_value
    .group_segment_fixed_size: 0
    .kernarg_segment_align: 8
    .kernarg_segment_size: 64
    .language:       OpenCL C
    .language_version:
      - 2
      - 0
    .max_flat_workgroup_size: 256
    .name:           _ZN7rocprim17ROCPRIM_400000_NS6detail17trampoline_kernelINS0_14default_configENS1_38merge_sort_block_merge_config_selectorIlNS0_10empty_typeEEEZZNS1_27merge_sort_block_merge_implIS3_PlPS5_mZN2at6native12_GLOBAL__N_124unique_dim_cuda_templateIsEESt5tupleIJNSA_6TensorESF_SF_EERKSF_lbbbEUlllE_EE10hipError_tT0_T1_T2_jT3_P12ihipStream_tbPNSt15iterator_traitsISL_E10value_typeEPNSR_ISM_E10value_typeEPSN_NS1_7vsmem_tEENKUlT_SL_SM_SN_E_clIS8_S8_S9_S9_EESK_S10_SL_SM_SN_EUlS10_E1_NS1_11comp_targetILNS1_3genE0ELNS1_11target_archE4294967295ELNS1_3gpuE0ELNS1_3repE0EEENS1_36merge_oddeven_config_static_selectorELNS0_4arch9wavefront6targetE1EEEvSM_
    .private_segment_fixed_size: 0
    .sgpr_count:     4
    .sgpr_spill_count: 0
    .symbol:         _ZN7rocprim17ROCPRIM_400000_NS6detail17trampoline_kernelINS0_14default_configENS1_38merge_sort_block_merge_config_selectorIlNS0_10empty_typeEEEZZNS1_27merge_sort_block_merge_implIS3_PlPS5_mZN2at6native12_GLOBAL__N_124unique_dim_cuda_templateIsEESt5tupleIJNSA_6TensorESF_SF_EERKSF_lbbbEUlllE_EE10hipError_tT0_T1_T2_jT3_P12ihipStream_tbPNSt15iterator_traitsISL_E10value_typeEPNSR_ISM_E10value_typeEPSN_NS1_7vsmem_tEENKUlT_SL_SM_SN_E_clIS8_S8_S9_S9_EESK_S10_SL_SM_SN_EUlS10_E1_NS1_11comp_targetILNS1_3genE0ELNS1_11target_archE4294967295ELNS1_3gpuE0ELNS1_3repE0EEENS1_36merge_oddeven_config_static_selectorELNS0_4arch9wavefront6targetE1EEEvSM_.kd
    .uniform_work_group_size: 1
    .uses_dynamic_stack: false
    .vgpr_count:     0
    .vgpr_spill_count: 0
    .wavefront_size: 64
  - .agpr_count:     0
    .args:
      - .offset:         0
        .size:           64
        .value_kind:     by_value
    .group_segment_fixed_size: 0
    .kernarg_segment_align: 8
    .kernarg_segment_size: 64
    .language:       OpenCL C
    .language_version:
      - 2
      - 0
    .max_flat_workgroup_size: 256
    .name:           _ZN7rocprim17ROCPRIM_400000_NS6detail17trampoline_kernelINS0_14default_configENS1_38merge_sort_block_merge_config_selectorIlNS0_10empty_typeEEEZZNS1_27merge_sort_block_merge_implIS3_PlPS5_mZN2at6native12_GLOBAL__N_124unique_dim_cuda_templateIsEESt5tupleIJNSA_6TensorESF_SF_EERKSF_lbbbEUlllE_EE10hipError_tT0_T1_T2_jT3_P12ihipStream_tbPNSt15iterator_traitsISL_E10value_typeEPNSR_ISM_E10value_typeEPSN_NS1_7vsmem_tEENKUlT_SL_SM_SN_E_clIS8_S8_S9_S9_EESK_S10_SL_SM_SN_EUlS10_E1_NS1_11comp_targetILNS1_3genE10ELNS1_11target_archE1201ELNS1_3gpuE5ELNS1_3repE0EEENS1_36merge_oddeven_config_static_selectorELNS0_4arch9wavefront6targetE1EEEvSM_
    .private_segment_fixed_size: 0
    .sgpr_count:     4
    .sgpr_spill_count: 0
    .symbol:         _ZN7rocprim17ROCPRIM_400000_NS6detail17trampoline_kernelINS0_14default_configENS1_38merge_sort_block_merge_config_selectorIlNS0_10empty_typeEEEZZNS1_27merge_sort_block_merge_implIS3_PlPS5_mZN2at6native12_GLOBAL__N_124unique_dim_cuda_templateIsEESt5tupleIJNSA_6TensorESF_SF_EERKSF_lbbbEUlllE_EE10hipError_tT0_T1_T2_jT3_P12ihipStream_tbPNSt15iterator_traitsISL_E10value_typeEPNSR_ISM_E10value_typeEPSN_NS1_7vsmem_tEENKUlT_SL_SM_SN_E_clIS8_S8_S9_S9_EESK_S10_SL_SM_SN_EUlS10_E1_NS1_11comp_targetILNS1_3genE10ELNS1_11target_archE1201ELNS1_3gpuE5ELNS1_3repE0EEENS1_36merge_oddeven_config_static_selectorELNS0_4arch9wavefront6targetE1EEEvSM_.kd
    .uniform_work_group_size: 1
    .uses_dynamic_stack: false
    .vgpr_count:     0
    .vgpr_spill_count: 0
    .wavefront_size: 64
  - .agpr_count:     0
    .args:
      - .offset:         0
        .size:           64
        .value_kind:     by_value
    .group_segment_fixed_size: 0
    .kernarg_segment_align: 8
    .kernarg_segment_size: 64
    .language:       OpenCL C
    .language_version:
      - 2
      - 0
    .max_flat_workgroup_size: 256
    .name:           _ZN7rocprim17ROCPRIM_400000_NS6detail17trampoline_kernelINS0_14default_configENS1_38merge_sort_block_merge_config_selectorIlNS0_10empty_typeEEEZZNS1_27merge_sort_block_merge_implIS3_PlPS5_mZN2at6native12_GLOBAL__N_124unique_dim_cuda_templateIsEESt5tupleIJNSA_6TensorESF_SF_EERKSF_lbbbEUlllE_EE10hipError_tT0_T1_T2_jT3_P12ihipStream_tbPNSt15iterator_traitsISL_E10value_typeEPNSR_ISM_E10value_typeEPSN_NS1_7vsmem_tEENKUlT_SL_SM_SN_E_clIS8_S8_S9_S9_EESK_S10_SL_SM_SN_EUlS10_E1_NS1_11comp_targetILNS1_3genE5ELNS1_11target_archE942ELNS1_3gpuE9ELNS1_3repE0EEENS1_36merge_oddeven_config_static_selectorELNS0_4arch9wavefront6targetE1EEEvSM_
    .private_segment_fixed_size: 0
    .sgpr_count:     4
    .sgpr_spill_count: 0
    .symbol:         _ZN7rocprim17ROCPRIM_400000_NS6detail17trampoline_kernelINS0_14default_configENS1_38merge_sort_block_merge_config_selectorIlNS0_10empty_typeEEEZZNS1_27merge_sort_block_merge_implIS3_PlPS5_mZN2at6native12_GLOBAL__N_124unique_dim_cuda_templateIsEESt5tupleIJNSA_6TensorESF_SF_EERKSF_lbbbEUlllE_EE10hipError_tT0_T1_T2_jT3_P12ihipStream_tbPNSt15iterator_traitsISL_E10value_typeEPNSR_ISM_E10value_typeEPSN_NS1_7vsmem_tEENKUlT_SL_SM_SN_E_clIS8_S8_S9_S9_EESK_S10_SL_SM_SN_EUlS10_E1_NS1_11comp_targetILNS1_3genE5ELNS1_11target_archE942ELNS1_3gpuE9ELNS1_3repE0EEENS1_36merge_oddeven_config_static_selectorELNS0_4arch9wavefront6targetE1EEEvSM_.kd
    .uniform_work_group_size: 1
    .uses_dynamic_stack: false
    .vgpr_count:     0
    .vgpr_spill_count: 0
    .wavefront_size: 64
  - .agpr_count:     0
    .args:
      - .offset:         0
        .size:           64
        .value_kind:     by_value
    .group_segment_fixed_size: 0
    .kernarg_segment_align: 8
    .kernarg_segment_size: 64
    .language:       OpenCL C
    .language_version:
      - 2
      - 0
    .max_flat_workgroup_size: 256
    .name:           _ZN7rocprim17ROCPRIM_400000_NS6detail17trampoline_kernelINS0_14default_configENS1_38merge_sort_block_merge_config_selectorIlNS0_10empty_typeEEEZZNS1_27merge_sort_block_merge_implIS3_PlPS5_mZN2at6native12_GLOBAL__N_124unique_dim_cuda_templateIsEESt5tupleIJNSA_6TensorESF_SF_EERKSF_lbbbEUlllE_EE10hipError_tT0_T1_T2_jT3_P12ihipStream_tbPNSt15iterator_traitsISL_E10value_typeEPNSR_ISM_E10value_typeEPSN_NS1_7vsmem_tEENKUlT_SL_SM_SN_E_clIS8_S8_S9_S9_EESK_S10_SL_SM_SN_EUlS10_E1_NS1_11comp_targetILNS1_3genE4ELNS1_11target_archE910ELNS1_3gpuE8ELNS1_3repE0EEENS1_36merge_oddeven_config_static_selectorELNS0_4arch9wavefront6targetE1EEEvSM_
    .private_segment_fixed_size: 0
    .sgpr_count:     50
    .sgpr_spill_count: 0
    .symbol:         _ZN7rocprim17ROCPRIM_400000_NS6detail17trampoline_kernelINS0_14default_configENS1_38merge_sort_block_merge_config_selectorIlNS0_10empty_typeEEEZZNS1_27merge_sort_block_merge_implIS3_PlPS5_mZN2at6native12_GLOBAL__N_124unique_dim_cuda_templateIsEESt5tupleIJNSA_6TensorESF_SF_EERKSF_lbbbEUlllE_EE10hipError_tT0_T1_T2_jT3_P12ihipStream_tbPNSt15iterator_traitsISL_E10value_typeEPNSR_ISM_E10value_typeEPSN_NS1_7vsmem_tEENKUlT_SL_SM_SN_E_clIS8_S8_S9_S9_EESK_S10_SL_SM_SN_EUlS10_E1_NS1_11comp_targetILNS1_3genE4ELNS1_11target_archE910ELNS1_3gpuE8ELNS1_3repE0EEENS1_36merge_oddeven_config_static_selectorELNS0_4arch9wavefront6targetE1EEEvSM_.kd
    .uniform_work_group_size: 1
    .uses_dynamic_stack: false
    .vgpr_count:     18
    .vgpr_spill_count: 0
    .wavefront_size: 64
  - .agpr_count:     0
    .args:
      - .offset:         0
        .size:           64
        .value_kind:     by_value
    .group_segment_fixed_size: 0
    .kernarg_segment_align: 8
    .kernarg_segment_size: 64
    .language:       OpenCL C
    .language_version:
      - 2
      - 0
    .max_flat_workgroup_size: 256
    .name:           _ZN7rocprim17ROCPRIM_400000_NS6detail17trampoline_kernelINS0_14default_configENS1_38merge_sort_block_merge_config_selectorIlNS0_10empty_typeEEEZZNS1_27merge_sort_block_merge_implIS3_PlPS5_mZN2at6native12_GLOBAL__N_124unique_dim_cuda_templateIsEESt5tupleIJNSA_6TensorESF_SF_EERKSF_lbbbEUlllE_EE10hipError_tT0_T1_T2_jT3_P12ihipStream_tbPNSt15iterator_traitsISL_E10value_typeEPNSR_ISM_E10value_typeEPSN_NS1_7vsmem_tEENKUlT_SL_SM_SN_E_clIS8_S8_S9_S9_EESK_S10_SL_SM_SN_EUlS10_E1_NS1_11comp_targetILNS1_3genE3ELNS1_11target_archE908ELNS1_3gpuE7ELNS1_3repE0EEENS1_36merge_oddeven_config_static_selectorELNS0_4arch9wavefront6targetE1EEEvSM_
    .private_segment_fixed_size: 0
    .sgpr_count:     4
    .sgpr_spill_count: 0
    .symbol:         _ZN7rocprim17ROCPRIM_400000_NS6detail17trampoline_kernelINS0_14default_configENS1_38merge_sort_block_merge_config_selectorIlNS0_10empty_typeEEEZZNS1_27merge_sort_block_merge_implIS3_PlPS5_mZN2at6native12_GLOBAL__N_124unique_dim_cuda_templateIsEESt5tupleIJNSA_6TensorESF_SF_EERKSF_lbbbEUlllE_EE10hipError_tT0_T1_T2_jT3_P12ihipStream_tbPNSt15iterator_traitsISL_E10value_typeEPNSR_ISM_E10value_typeEPSN_NS1_7vsmem_tEENKUlT_SL_SM_SN_E_clIS8_S8_S9_S9_EESK_S10_SL_SM_SN_EUlS10_E1_NS1_11comp_targetILNS1_3genE3ELNS1_11target_archE908ELNS1_3gpuE7ELNS1_3repE0EEENS1_36merge_oddeven_config_static_selectorELNS0_4arch9wavefront6targetE1EEEvSM_.kd
    .uniform_work_group_size: 1
    .uses_dynamic_stack: false
    .vgpr_count:     0
    .vgpr_spill_count: 0
    .wavefront_size: 64
  - .agpr_count:     0
    .args:
      - .offset:         0
        .size:           64
        .value_kind:     by_value
    .group_segment_fixed_size: 0
    .kernarg_segment_align: 8
    .kernarg_segment_size: 64
    .language:       OpenCL C
    .language_version:
      - 2
      - 0
    .max_flat_workgroup_size: 256
    .name:           _ZN7rocprim17ROCPRIM_400000_NS6detail17trampoline_kernelINS0_14default_configENS1_38merge_sort_block_merge_config_selectorIlNS0_10empty_typeEEEZZNS1_27merge_sort_block_merge_implIS3_PlPS5_mZN2at6native12_GLOBAL__N_124unique_dim_cuda_templateIsEESt5tupleIJNSA_6TensorESF_SF_EERKSF_lbbbEUlllE_EE10hipError_tT0_T1_T2_jT3_P12ihipStream_tbPNSt15iterator_traitsISL_E10value_typeEPNSR_ISM_E10value_typeEPSN_NS1_7vsmem_tEENKUlT_SL_SM_SN_E_clIS8_S8_S9_S9_EESK_S10_SL_SM_SN_EUlS10_E1_NS1_11comp_targetILNS1_3genE2ELNS1_11target_archE906ELNS1_3gpuE6ELNS1_3repE0EEENS1_36merge_oddeven_config_static_selectorELNS0_4arch9wavefront6targetE1EEEvSM_
    .private_segment_fixed_size: 0
    .sgpr_count:     4
    .sgpr_spill_count: 0
    .symbol:         _ZN7rocprim17ROCPRIM_400000_NS6detail17trampoline_kernelINS0_14default_configENS1_38merge_sort_block_merge_config_selectorIlNS0_10empty_typeEEEZZNS1_27merge_sort_block_merge_implIS3_PlPS5_mZN2at6native12_GLOBAL__N_124unique_dim_cuda_templateIsEESt5tupleIJNSA_6TensorESF_SF_EERKSF_lbbbEUlllE_EE10hipError_tT0_T1_T2_jT3_P12ihipStream_tbPNSt15iterator_traitsISL_E10value_typeEPNSR_ISM_E10value_typeEPSN_NS1_7vsmem_tEENKUlT_SL_SM_SN_E_clIS8_S8_S9_S9_EESK_S10_SL_SM_SN_EUlS10_E1_NS1_11comp_targetILNS1_3genE2ELNS1_11target_archE906ELNS1_3gpuE6ELNS1_3repE0EEENS1_36merge_oddeven_config_static_selectorELNS0_4arch9wavefront6targetE1EEEvSM_.kd
    .uniform_work_group_size: 1
    .uses_dynamic_stack: false
    .vgpr_count:     0
    .vgpr_spill_count: 0
    .wavefront_size: 64
  - .agpr_count:     0
    .args:
      - .offset:         0
        .size:           64
        .value_kind:     by_value
    .group_segment_fixed_size: 0
    .kernarg_segment_align: 8
    .kernarg_segment_size: 64
    .language:       OpenCL C
    .language_version:
      - 2
      - 0
    .max_flat_workgroup_size: 256
    .name:           _ZN7rocprim17ROCPRIM_400000_NS6detail17trampoline_kernelINS0_14default_configENS1_38merge_sort_block_merge_config_selectorIlNS0_10empty_typeEEEZZNS1_27merge_sort_block_merge_implIS3_PlPS5_mZN2at6native12_GLOBAL__N_124unique_dim_cuda_templateIsEESt5tupleIJNSA_6TensorESF_SF_EERKSF_lbbbEUlllE_EE10hipError_tT0_T1_T2_jT3_P12ihipStream_tbPNSt15iterator_traitsISL_E10value_typeEPNSR_ISM_E10value_typeEPSN_NS1_7vsmem_tEENKUlT_SL_SM_SN_E_clIS8_S8_S9_S9_EESK_S10_SL_SM_SN_EUlS10_E1_NS1_11comp_targetILNS1_3genE9ELNS1_11target_archE1100ELNS1_3gpuE3ELNS1_3repE0EEENS1_36merge_oddeven_config_static_selectorELNS0_4arch9wavefront6targetE1EEEvSM_
    .private_segment_fixed_size: 0
    .sgpr_count:     4
    .sgpr_spill_count: 0
    .symbol:         _ZN7rocprim17ROCPRIM_400000_NS6detail17trampoline_kernelINS0_14default_configENS1_38merge_sort_block_merge_config_selectorIlNS0_10empty_typeEEEZZNS1_27merge_sort_block_merge_implIS3_PlPS5_mZN2at6native12_GLOBAL__N_124unique_dim_cuda_templateIsEESt5tupleIJNSA_6TensorESF_SF_EERKSF_lbbbEUlllE_EE10hipError_tT0_T1_T2_jT3_P12ihipStream_tbPNSt15iterator_traitsISL_E10value_typeEPNSR_ISM_E10value_typeEPSN_NS1_7vsmem_tEENKUlT_SL_SM_SN_E_clIS8_S8_S9_S9_EESK_S10_SL_SM_SN_EUlS10_E1_NS1_11comp_targetILNS1_3genE9ELNS1_11target_archE1100ELNS1_3gpuE3ELNS1_3repE0EEENS1_36merge_oddeven_config_static_selectorELNS0_4arch9wavefront6targetE1EEEvSM_.kd
    .uniform_work_group_size: 1
    .uses_dynamic_stack: false
    .vgpr_count:     0
    .vgpr_spill_count: 0
    .wavefront_size: 64
  - .agpr_count:     0
    .args:
      - .offset:         0
        .size:           64
        .value_kind:     by_value
    .group_segment_fixed_size: 0
    .kernarg_segment_align: 8
    .kernarg_segment_size: 64
    .language:       OpenCL C
    .language_version:
      - 2
      - 0
    .max_flat_workgroup_size: 256
    .name:           _ZN7rocprim17ROCPRIM_400000_NS6detail17trampoline_kernelINS0_14default_configENS1_38merge_sort_block_merge_config_selectorIlNS0_10empty_typeEEEZZNS1_27merge_sort_block_merge_implIS3_PlPS5_mZN2at6native12_GLOBAL__N_124unique_dim_cuda_templateIsEESt5tupleIJNSA_6TensorESF_SF_EERKSF_lbbbEUlllE_EE10hipError_tT0_T1_T2_jT3_P12ihipStream_tbPNSt15iterator_traitsISL_E10value_typeEPNSR_ISM_E10value_typeEPSN_NS1_7vsmem_tEENKUlT_SL_SM_SN_E_clIS8_S8_S9_S9_EESK_S10_SL_SM_SN_EUlS10_E1_NS1_11comp_targetILNS1_3genE8ELNS1_11target_archE1030ELNS1_3gpuE2ELNS1_3repE0EEENS1_36merge_oddeven_config_static_selectorELNS0_4arch9wavefront6targetE1EEEvSM_
    .private_segment_fixed_size: 0
    .sgpr_count:     4
    .sgpr_spill_count: 0
    .symbol:         _ZN7rocprim17ROCPRIM_400000_NS6detail17trampoline_kernelINS0_14default_configENS1_38merge_sort_block_merge_config_selectorIlNS0_10empty_typeEEEZZNS1_27merge_sort_block_merge_implIS3_PlPS5_mZN2at6native12_GLOBAL__N_124unique_dim_cuda_templateIsEESt5tupleIJNSA_6TensorESF_SF_EERKSF_lbbbEUlllE_EE10hipError_tT0_T1_T2_jT3_P12ihipStream_tbPNSt15iterator_traitsISL_E10value_typeEPNSR_ISM_E10value_typeEPSN_NS1_7vsmem_tEENKUlT_SL_SM_SN_E_clIS8_S8_S9_S9_EESK_S10_SL_SM_SN_EUlS10_E1_NS1_11comp_targetILNS1_3genE8ELNS1_11target_archE1030ELNS1_3gpuE2ELNS1_3repE0EEENS1_36merge_oddeven_config_static_selectorELNS0_4arch9wavefront6targetE1EEEvSM_.kd
    .uniform_work_group_size: 1
    .uses_dynamic_stack: false
    .vgpr_count:     0
    .vgpr_spill_count: 0
    .wavefront_size: 64
  - .agpr_count:     0
    .args:
      - .offset:         0
        .size:           64
        .value_kind:     by_value
    .group_segment_fixed_size: 0
    .kernarg_segment_align: 8
    .kernarg_segment_size: 64
    .language:       OpenCL C
    .language_version:
      - 2
      - 0
    .max_flat_workgroup_size: 128
    .name:           _ZN7rocprim17ROCPRIM_400000_NS6detail17trampoline_kernelINS0_14default_configENS1_35adjacent_difference_config_selectorILb0ElEEZNS1_24adjacent_difference_implIS3_Lb0ELb0EPlS7_ZN2at6native12_GLOBAL__N_124unique_dim_cuda_templateIsEESt5tupleIJNS8_6TensorESD_SD_EERKSD_lbbbEUlllE1_EE10hipError_tPvRmT2_T3_mT4_P12ihipStream_tbEUlT_E_NS1_11comp_targetILNS1_3genE0ELNS1_11target_archE4294967295ELNS1_3gpuE0ELNS1_3repE0EEENS1_30default_config_static_selectorELNS0_4arch9wavefront6targetE1EEEvT1_
    .private_segment_fixed_size: 0
    .sgpr_count:     4
    .sgpr_spill_count: 0
    .symbol:         _ZN7rocprim17ROCPRIM_400000_NS6detail17trampoline_kernelINS0_14default_configENS1_35adjacent_difference_config_selectorILb0ElEEZNS1_24adjacent_difference_implIS3_Lb0ELb0EPlS7_ZN2at6native12_GLOBAL__N_124unique_dim_cuda_templateIsEESt5tupleIJNS8_6TensorESD_SD_EERKSD_lbbbEUlllE1_EE10hipError_tPvRmT2_T3_mT4_P12ihipStream_tbEUlT_E_NS1_11comp_targetILNS1_3genE0ELNS1_11target_archE4294967295ELNS1_3gpuE0ELNS1_3repE0EEENS1_30default_config_static_selectorELNS0_4arch9wavefront6targetE1EEEvT1_.kd
    .uniform_work_group_size: 1
    .uses_dynamic_stack: false
    .vgpr_count:     0
    .vgpr_spill_count: 0
    .wavefront_size: 64
  - .agpr_count:     0
    .args:
      - .offset:         0
        .size:           64
        .value_kind:     by_value
    .group_segment_fixed_size: 0
    .kernarg_segment_align: 8
    .kernarg_segment_size: 64
    .language:       OpenCL C
    .language_version:
      - 2
      - 0
    .max_flat_workgroup_size: 128
    .name:           _ZN7rocprim17ROCPRIM_400000_NS6detail17trampoline_kernelINS0_14default_configENS1_35adjacent_difference_config_selectorILb0ElEEZNS1_24adjacent_difference_implIS3_Lb0ELb0EPlS7_ZN2at6native12_GLOBAL__N_124unique_dim_cuda_templateIsEESt5tupleIJNS8_6TensorESD_SD_EERKSD_lbbbEUlllE1_EE10hipError_tPvRmT2_T3_mT4_P12ihipStream_tbEUlT_E_NS1_11comp_targetILNS1_3genE10ELNS1_11target_archE1201ELNS1_3gpuE5ELNS1_3repE0EEENS1_30default_config_static_selectorELNS0_4arch9wavefront6targetE1EEEvT1_
    .private_segment_fixed_size: 0
    .sgpr_count:     4
    .sgpr_spill_count: 0
    .symbol:         _ZN7rocprim17ROCPRIM_400000_NS6detail17trampoline_kernelINS0_14default_configENS1_35adjacent_difference_config_selectorILb0ElEEZNS1_24adjacent_difference_implIS3_Lb0ELb0EPlS7_ZN2at6native12_GLOBAL__N_124unique_dim_cuda_templateIsEESt5tupleIJNS8_6TensorESD_SD_EERKSD_lbbbEUlllE1_EE10hipError_tPvRmT2_T3_mT4_P12ihipStream_tbEUlT_E_NS1_11comp_targetILNS1_3genE10ELNS1_11target_archE1201ELNS1_3gpuE5ELNS1_3repE0EEENS1_30default_config_static_selectorELNS0_4arch9wavefront6targetE1EEEvT1_.kd
    .uniform_work_group_size: 1
    .uses_dynamic_stack: false
    .vgpr_count:     0
    .vgpr_spill_count: 0
    .wavefront_size: 64
  - .agpr_count:     0
    .args:
      - .offset:         0
        .size:           64
        .value_kind:     by_value
    .group_segment_fixed_size: 0
    .kernarg_segment_align: 8
    .kernarg_segment_size: 64
    .language:       OpenCL C
    .language_version:
      - 2
      - 0
    .max_flat_workgroup_size: 64
    .name:           _ZN7rocprim17ROCPRIM_400000_NS6detail17trampoline_kernelINS0_14default_configENS1_35adjacent_difference_config_selectorILb0ElEEZNS1_24adjacent_difference_implIS3_Lb0ELb0EPlS7_ZN2at6native12_GLOBAL__N_124unique_dim_cuda_templateIsEESt5tupleIJNS8_6TensorESD_SD_EERKSD_lbbbEUlllE1_EE10hipError_tPvRmT2_T3_mT4_P12ihipStream_tbEUlT_E_NS1_11comp_targetILNS1_3genE5ELNS1_11target_archE942ELNS1_3gpuE9ELNS1_3repE0EEENS1_30default_config_static_selectorELNS0_4arch9wavefront6targetE1EEEvT1_
    .private_segment_fixed_size: 0
    .sgpr_count:     4
    .sgpr_spill_count: 0
    .symbol:         _ZN7rocprim17ROCPRIM_400000_NS6detail17trampoline_kernelINS0_14default_configENS1_35adjacent_difference_config_selectorILb0ElEEZNS1_24adjacent_difference_implIS3_Lb0ELb0EPlS7_ZN2at6native12_GLOBAL__N_124unique_dim_cuda_templateIsEESt5tupleIJNS8_6TensorESD_SD_EERKSD_lbbbEUlllE1_EE10hipError_tPvRmT2_T3_mT4_P12ihipStream_tbEUlT_E_NS1_11comp_targetILNS1_3genE5ELNS1_11target_archE942ELNS1_3gpuE9ELNS1_3repE0EEENS1_30default_config_static_selectorELNS0_4arch9wavefront6targetE1EEEvT1_.kd
    .uniform_work_group_size: 1
    .uses_dynamic_stack: false
    .vgpr_count:     0
    .vgpr_spill_count: 0
    .wavefront_size: 64
  - .agpr_count:     0
    .args:
      - .offset:         0
        .size:           64
        .value_kind:     by_value
    .group_segment_fixed_size: 4224
    .kernarg_segment_align: 8
    .kernarg_segment_size: 64
    .language:       OpenCL C
    .language_version:
      - 2
      - 0
    .max_flat_workgroup_size: 256
    .name:           _ZN7rocprim17ROCPRIM_400000_NS6detail17trampoline_kernelINS0_14default_configENS1_35adjacent_difference_config_selectorILb0ElEEZNS1_24adjacent_difference_implIS3_Lb0ELb0EPlS7_ZN2at6native12_GLOBAL__N_124unique_dim_cuda_templateIsEESt5tupleIJNS8_6TensorESD_SD_EERKSD_lbbbEUlllE1_EE10hipError_tPvRmT2_T3_mT4_P12ihipStream_tbEUlT_E_NS1_11comp_targetILNS1_3genE4ELNS1_11target_archE910ELNS1_3gpuE8ELNS1_3repE0EEENS1_30default_config_static_selectorELNS0_4arch9wavefront6targetE1EEEvT1_
    .private_segment_fixed_size: 0
    .sgpr_count:     42
    .sgpr_spill_count: 0
    .symbol:         _ZN7rocprim17ROCPRIM_400000_NS6detail17trampoline_kernelINS0_14default_configENS1_35adjacent_difference_config_selectorILb0ElEEZNS1_24adjacent_difference_implIS3_Lb0ELb0EPlS7_ZN2at6native12_GLOBAL__N_124unique_dim_cuda_templateIsEESt5tupleIJNS8_6TensorESD_SD_EERKSD_lbbbEUlllE1_EE10hipError_tPvRmT2_T3_mT4_P12ihipStream_tbEUlT_E_NS1_11comp_targetILNS1_3genE4ELNS1_11target_archE910ELNS1_3gpuE8ELNS1_3repE0EEENS1_30default_config_static_selectorELNS0_4arch9wavefront6targetE1EEEvT1_.kd
    .uniform_work_group_size: 1
    .uses_dynamic_stack: false
    .vgpr_count:     17
    .vgpr_spill_count: 0
    .wavefront_size: 64
  - .agpr_count:     0
    .args:
      - .offset:         0
        .size:           64
        .value_kind:     by_value
    .group_segment_fixed_size: 0
    .kernarg_segment_align: 8
    .kernarg_segment_size: 64
    .language:       OpenCL C
    .language_version:
      - 2
      - 0
    .max_flat_workgroup_size: 128
    .name:           _ZN7rocprim17ROCPRIM_400000_NS6detail17trampoline_kernelINS0_14default_configENS1_35adjacent_difference_config_selectorILb0ElEEZNS1_24adjacent_difference_implIS3_Lb0ELb0EPlS7_ZN2at6native12_GLOBAL__N_124unique_dim_cuda_templateIsEESt5tupleIJNS8_6TensorESD_SD_EERKSD_lbbbEUlllE1_EE10hipError_tPvRmT2_T3_mT4_P12ihipStream_tbEUlT_E_NS1_11comp_targetILNS1_3genE3ELNS1_11target_archE908ELNS1_3gpuE7ELNS1_3repE0EEENS1_30default_config_static_selectorELNS0_4arch9wavefront6targetE1EEEvT1_
    .private_segment_fixed_size: 0
    .sgpr_count:     4
    .sgpr_spill_count: 0
    .symbol:         _ZN7rocprim17ROCPRIM_400000_NS6detail17trampoline_kernelINS0_14default_configENS1_35adjacent_difference_config_selectorILb0ElEEZNS1_24adjacent_difference_implIS3_Lb0ELb0EPlS7_ZN2at6native12_GLOBAL__N_124unique_dim_cuda_templateIsEESt5tupleIJNS8_6TensorESD_SD_EERKSD_lbbbEUlllE1_EE10hipError_tPvRmT2_T3_mT4_P12ihipStream_tbEUlT_E_NS1_11comp_targetILNS1_3genE3ELNS1_11target_archE908ELNS1_3gpuE7ELNS1_3repE0EEENS1_30default_config_static_selectorELNS0_4arch9wavefront6targetE1EEEvT1_.kd
    .uniform_work_group_size: 1
    .uses_dynamic_stack: false
    .vgpr_count:     0
    .vgpr_spill_count: 0
    .wavefront_size: 64
  - .agpr_count:     0
    .args:
      - .offset:         0
        .size:           64
        .value_kind:     by_value
    .group_segment_fixed_size: 0
    .kernarg_segment_align: 8
    .kernarg_segment_size: 64
    .language:       OpenCL C
    .language_version:
      - 2
      - 0
    .max_flat_workgroup_size: 128
    .name:           _ZN7rocprim17ROCPRIM_400000_NS6detail17trampoline_kernelINS0_14default_configENS1_35adjacent_difference_config_selectorILb0ElEEZNS1_24adjacent_difference_implIS3_Lb0ELb0EPlS7_ZN2at6native12_GLOBAL__N_124unique_dim_cuda_templateIsEESt5tupleIJNS8_6TensorESD_SD_EERKSD_lbbbEUlllE1_EE10hipError_tPvRmT2_T3_mT4_P12ihipStream_tbEUlT_E_NS1_11comp_targetILNS1_3genE2ELNS1_11target_archE906ELNS1_3gpuE6ELNS1_3repE0EEENS1_30default_config_static_selectorELNS0_4arch9wavefront6targetE1EEEvT1_
    .private_segment_fixed_size: 0
    .sgpr_count:     4
    .sgpr_spill_count: 0
    .symbol:         _ZN7rocprim17ROCPRIM_400000_NS6detail17trampoline_kernelINS0_14default_configENS1_35adjacent_difference_config_selectorILb0ElEEZNS1_24adjacent_difference_implIS3_Lb0ELb0EPlS7_ZN2at6native12_GLOBAL__N_124unique_dim_cuda_templateIsEESt5tupleIJNS8_6TensorESD_SD_EERKSD_lbbbEUlllE1_EE10hipError_tPvRmT2_T3_mT4_P12ihipStream_tbEUlT_E_NS1_11comp_targetILNS1_3genE2ELNS1_11target_archE906ELNS1_3gpuE6ELNS1_3repE0EEENS1_30default_config_static_selectorELNS0_4arch9wavefront6targetE1EEEvT1_.kd
    .uniform_work_group_size: 1
    .uses_dynamic_stack: false
    .vgpr_count:     0
    .vgpr_spill_count: 0
    .wavefront_size: 64
  - .agpr_count:     0
    .args:
      - .offset:         0
        .size:           64
        .value_kind:     by_value
    .group_segment_fixed_size: 0
    .kernarg_segment_align: 8
    .kernarg_segment_size: 64
    .language:       OpenCL C
    .language_version:
      - 2
      - 0
    .max_flat_workgroup_size: 512
    .name:           _ZN7rocprim17ROCPRIM_400000_NS6detail17trampoline_kernelINS0_14default_configENS1_35adjacent_difference_config_selectorILb0ElEEZNS1_24adjacent_difference_implIS3_Lb0ELb0EPlS7_ZN2at6native12_GLOBAL__N_124unique_dim_cuda_templateIsEESt5tupleIJNS8_6TensorESD_SD_EERKSD_lbbbEUlllE1_EE10hipError_tPvRmT2_T3_mT4_P12ihipStream_tbEUlT_E_NS1_11comp_targetILNS1_3genE9ELNS1_11target_archE1100ELNS1_3gpuE3ELNS1_3repE0EEENS1_30default_config_static_selectorELNS0_4arch9wavefront6targetE1EEEvT1_
    .private_segment_fixed_size: 0
    .sgpr_count:     4
    .sgpr_spill_count: 0
    .symbol:         _ZN7rocprim17ROCPRIM_400000_NS6detail17trampoline_kernelINS0_14default_configENS1_35adjacent_difference_config_selectorILb0ElEEZNS1_24adjacent_difference_implIS3_Lb0ELb0EPlS7_ZN2at6native12_GLOBAL__N_124unique_dim_cuda_templateIsEESt5tupleIJNS8_6TensorESD_SD_EERKSD_lbbbEUlllE1_EE10hipError_tPvRmT2_T3_mT4_P12ihipStream_tbEUlT_E_NS1_11comp_targetILNS1_3genE9ELNS1_11target_archE1100ELNS1_3gpuE3ELNS1_3repE0EEENS1_30default_config_static_selectorELNS0_4arch9wavefront6targetE1EEEvT1_.kd
    .uniform_work_group_size: 1
    .uses_dynamic_stack: false
    .vgpr_count:     0
    .vgpr_spill_count: 0
    .wavefront_size: 64
  - .agpr_count:     0
    .args:
      - .offset:         0
        .size:           64
        .value_kind:     by_value
    .group_segment_fixed_size: 0
    .kernarg_segment_align: 8
    .kernarg_segment_size: 64
    .language:       OpenCL C
    .language_version:
      - 2
      - 0
    .max_flat_workgroup_size: 1024
    .name:           _ZN7rocprim17ROCPRIM_400000_NS6detail17trampoline_kernelINS0_14default_configENS1_35adjacent_difference_config_selectorILb0ElEEZNS1_24adjacent_difference_implIS3_Lb0ELb0EPlS7_ZN2at6native12_GLOBAL__N_124unique_dim_cuda_templateIsEESt5tupleIJNS8_6TensorESD_SD_EERKSD_lbbbEUlllE1_EE10hipError_tPvRmT2_T3_mT4_P12ihipStream_tbEUlT_E_NS1_11comp_targetILNS1_3genE8ELNS1_11target_archE1030ELNS1_3gpuE2ELNS1_3repE0EEENS1_30default_config_static_selectorELNS0_4arch9wavefront6targetE1EEEvT1_
    .private_segment_fixed_size: 0
    .sgpr_count:     4
    .sgpr_spill_count: 0
    .symbol:         _ZN7rocprim17ROCPRIM_400000_NS6detail17trampoline_kernelINS0_14default_configENS1_35adjacent_difference_config_selectorILb0ElEEZNS1_24adjacent_difference_implIS3_Lb0ELb0EPlS7_ZN2at6native12_GLOBAL__N_124unique_dim_cuda_templateIsEESt5tupleIJNS8_6TensorESD_SD_EERKSD_lbbbEUlllE1_EE10hipError_tPvRmT2_T3_mT4_P12ihipStream_tbEUlT_E_NS1_11comp_targetILNS1_3genE8ELNS1_11target_archE1030ELNS1_3gpuE2ELNS1_3repE0EEENS1_30default_config_static_selectorELNS0_4arch9wavefront6targetE1EEEvT1_.kd
    .uniform_work_group_size: 1
    .uses_dynamic_stack: false
    .vgpr_count:     0
    .vgpr_spill_count: 0
    .wavefront_size: 64
  - .agpr_count:     0
    .args:
      - .offset:         0
        .size:           56
        .value_kind:     by_value
    .group_segment_fixed_size: 0
    .kernarg_segment_align: 8
    .kernarg_segment_size: 56
    .language:       OpenCL C
    .language_version:
      - 2
      - 0
    .max_flat_workgroup_size: 128
    .name:           _ZN7rocprim17ROCPRIM_400000_NS6detail17trampoline_kernelINS0_14default_configENS1_25transform_config_selectorIlLb0EEEZNS1_14transform_implILb0ES3_S5_NS0_18transform_iteratorINS0_17counting_iteratorImlEEZNS1_24adjacent_difference_implIS3_Lb1ELb0EPlSB_ZN2at6native12_GLOBAL__N_124unique_dim_cuda_templateIsEESt5tupleIJNSC_6TensorESH_SH_EERKSH_lbbbEUlllE1_EE10hipError_tPvRmT2_T3_mT4_P12ihipStream_tbEUlmE_lEESB_NS0_8identityIvEEEESM_SP_SQ_mSR_ST_bEUlT_E_NS1_11comp_targetILNS1_3genE0ELNS1_11target_archE4294967295ELNS1_3gpuE0ELNS1_3repE0EEENS1_30default_config_static_selectorELNS0_4arch9wavefront6targetE1EEEvT1_
    .private_segment_fixed_size: 0
    .sgpr_count:     4
    .sgpr_spill_count: 0
    .symbol:         _ZN7rocprim17ROCPRIM_400000_NS6detail17trampoline_kernelINS0_14default_configENS1_25transform_config_selectorIlLb0EEEZNS1_14transform_implILb0ES3_S5_NS0_18transform_iteratorINS0_17counting_iteratorImlEEZNS1_24adjacent_difference_implIS3_Lb1ELb0EPlSB_ZN2at6native12_GLOBAL__N_124unique_dim_cuda_templateIsEESt5tupleIJNSC_6TensorESH_SH_EERKSH_lbbbEUlllE1_EE10hipError_tPvRmT2_T3_mT4_P12ihipStream_tbEUlmE_lEESB_NS0_8identityIvEEEESM_SP_SQ_mSR_ST_bEUlT_E_NS1_11comp_targetILNS1_3genE0ELNS1_11target_archE4294967295ELNS1_3gpuE0ELNS1_3repE0EEENS1_30default_config_static_selectorELNS0_4arch9wavefront6targetE1EEEvT1_.kd
    .uniform_work_group_size: 1
    .uses_dynamic_stack: false
    .vgpr_count:     0
    .vgpr_spill_count: 0
    .wavefront_size: 64
  - .agpr_count:     0
    .args:
      - .offset:         0
        .size:           56
        .value_kind:     by_value
    .group_segment_fixed_size: 0
    .kernarg_segment_align: 8
    .kernarg_segment_size: 56
    .language:       OpenCL C
    .language_version:
      - 2
      - 0
    .max_flat_workgroup_size: 512
    .name:           _ZN7rocprim17ROCPRIM_400000_NS6detail17trampoline_kernelINS0_14default_configENS1_25transform_config_selectorIlLb0EEEZNS1_14transform_implILb0ES3_S5_NS0_18transform_iteratorINS0_17counting_iteratorImlEEZNS1_24adjacent_difference_implIS3_Lb1ELb0EPlSB_ZN2at6native12_GLOBAL__N_124unique_dim_cuda_templateIsEESt5tupleIJNSC_6TensorESH_SH_EERKSH_lbbbEUlllE1_EE10hipError_tPvRmT2_T3_mT4_P12ihipStream_tbEUlmE_lEESB_NS0_8identityIvEEEESM_SP_SQ_mSR_ST_bEUlT_E_NS1_11comp_targetILNS1_3genE5ELNS1_11target_archE942ELNS1_3gpuE9ELNS1_3repE0EEENS1_30default_config_static_selectorELNS0_4arch9wavefront6targetE1EEEvT1_
    .private_segment_fixed_size: 0
    .sgpr_count:     4
    .sgpr_spill_count: 0
    .symbol:         _ZN7rocprim17ROCPRIM_400000_NS6detail17trampoline_kernelINS0_14default_configENS1_25transform_config_selectorIlLb0EEEZNS1_14transform_implILb0ES3_S5_NS0_18transform_iteratorINS0_17counting_iteratorImlEEZNS1_24adjacent_difference_implIS3_Lb1ELb0EPlSB_ZN2at6native12_GLOBAL__N_124unique_dim_cuda_templateIsEESt5tupleIJNSC_6TensorESH_SH_EERKSH_lbbbEUlllE1_EE10hipError_tPvRmT2_T3_mT4_P12ihipStream_tbEUlmE_lEESB_NS0_8identityIvEEEESM_SP_SQ_mSR_ST_bEUlT_E_NS1_11comp_targetILNS1_3genE5ELNS1_11target_archE942ELNS1_3gpuE9ELNS1_3repE0EEENS1_30default_config_static_selectorELNS0_4arch9wavefront6targetE1EEEvT1_.kd
    .uniform_work_group_size: 1
    .uses_dynamic_stack: false
    .vgpr_count:     0
    .vgpr_spill_count: 0
    .wavefront_size: 64
  - .agpr_count:     0
    .args:
      - .offset:         0
        .size:           56
        .value_kind:     by_value
      - .offset:         56
        .size:           4
        .value_kind:     hidden_block_count_x
      - .offset:         60
        .size:           4
        .value_kind:     hidden_block_count_y
      - .offset:         64
        .size:           4
        .value_kind:     hidden_block_count_z
      - .offset:         68
        .size:           2
        .value_kind:     hidden_group_size_x
      - .offset:         70
        .size:           2
        .value_kind:     hidden_group_size_y
      - .offset:         72
        .size:           2
        .value_kind:     hidden_group_size_z
      - .offset:         74
        .size:           2
        .value_kind:     hidden_remainder_x
      - .offset:         76
        .size:           2
        .value_kind:     hidden_remainder_y
      - .offset:         78
        .size:           2
        .value_kind:     hidden_remainder_z
      - .offset:         96
        .size:           8
        .value_kind:     hidden_global_offset_x
      - .offset:         104
        .size:           8
        .value_kind:     hidden_global_offset_y
      - .offset:         112
        .size:           8
        .value_kind:     hidden_global_offset_z
      - .offset:         120
        .size:           2
        .value_kind:     hidden_grid_dims
    .group_segment_fixed_size: 0
    .kernarg_segment_align: 8
    .kernarg_segment_size: 312
    .language:       OpenCL C
    .language_version:
      - 2
      - 0
    .max_flat_workgroup_size: 256
    .name:           _ZN7rocprim17ROCPRIM_400000_NS6detail17trampoline_kernelINS0_14default_configENS1_25transform_config_selectorIlLb0EEEZNS1_14transform_implILb0ES3_S5_NS0_18transform_iteratorINS0_17counting_iteratorImlEEZNS1_24adjacent_difference_implIS3_Lb1ELb0EPlSB_ZN2at6native12_GLOBAL__N_124unique_dim_cuda_templateIsEESt5tupleIJNSC_6TensorESH_SH_EERKSH_lbbbEUlllE1_EE10hipError_tPvRmT2_T3_mT4_P12ihipStream_tbEUlmE_lEESB_NS0_8identityIvEEEESM_SP_SQ_mSR_ST_bEUlT_E_NS1_11comp_targetILNS1_3genE4ELNS1_11target_archE910ELNS1_3gpuE8ELNS1_3repE0EEENS1_30default_config_static_selectorELNS0_4arch9wavefront6targetE1EEEvT1_
    .private_segment_fixed_size: 0
    .sgpr_count:     22
    .sgpr_spill_count: 0
    .symbol:         _ZN7rocprim17ROCPRIM_400000_NS6detail17trampoline_kernelINS0_14default_configENS1_25transform_config_selectorIlLb0EEEZNS1_14transform_implILb0ES3_S5_NS0_18transform_iteratorINS0_17counting_iteratorImlEEZNS1_24adjacent_difference_implIS3_Lb1ELb0EPlSB_ZN2at6native12_GLOBAL__N_124unique_dim_cuda_templateIsEESt5tupleIJNSC_6TensorESH_SH_EERKSH_lbbbEUlllE1_EE10hipError_tPvRmT2_T3_mT4_P12ihipStream_tbEUlmE_lEESB_NS0_8identityIvEEEESM_SP_SQ_mSR_ST_bEUlT_E_NS1_11comp_targetILNS1_3genE4ELNS1_11target_archE910ELNS1_3gpuE8ELNS1_3repE0EEENS1_30default_config_static_selectorELNS0_4arch9wavefront6targetE1EEEvT1_.kd
    .uniform_work_group_size: 1
    .uses_dynamic_stack: false
    .vgpr_count:     10
    .vgpr_spill_count: 0
    .wavefront_size: 64
  - .agpr_count:     0
    .args:
      - .offset:         0
        .size:           56
        .value_kind:     by_value
    .group_segment_fixed_size: 0
    .kernarg_segment_align: 8
    .kernarg_segment_size: 56
    .language:       OpenCL C
    .language_version:
      - 2
      - 0
    .max_flat_workgroup_size: 128
    .name:           _ZN7rocprim17ROCPRIM_400000_NS6detail17trampoline_kernelINS0_14default_configENS1_25transform_config_selectorIlLb0EEEZNS1_14transform_implILb0ES3_S5_NS0_18transform_iteratorINS0_17counting_iteratorImlEEZNS1_24adjacent_difference_implIS3_Lb1ELb0EPlSB_ZN2at6native12_GLOBAL__N_124unique_dim_cuda_templateIsEESt5tupleIJNSC_6TensorESH_SH_EERKSH_lbbbEUlllE1_EE10hipError_tPvRmT2_T3_mT4_P12ihipStream_tbEUlmE_lEESB_NS0_8identityIvEEEESM_SP_SQ_mSR_ST_bEUlT_E_NS1_11comp_targetILNS1_3genE3ELNS1_11target_archE908ELNS1_3gpuE7ELNS1_3repE0EEENS1_30default_config_static_selectorELNS0_4arch9wavefront6targetE1EEEvT1_
    .private_segment_fixed_size: 0
    .sgpr_count:     4
    .sgpr_spill_count: 0
    .symbol:         _ZN7rocprim17ROCPRIM_400000_NS6detail17trampoline_kernelINS0_14default_configENS1_25transform_config_selectorIlLb0EEEZNS1_14transform_implILb0ES3_S5_NS0_18transform_iteratorINS0_17counting_iteratorImlEEZNS1_24adjacent_difference_implIS3_Lb1ELb0EPlSB_ZN2at6native12_GLOBAL__N_124unique_dim_cuda_templateIsEESt5tupleIJNSC_6TensorESH_SH_EERKSH_lbbbEUlllE1_EE10hipError_tPvRmT2_T3_mT4_P12ihipStream_tbEUlmE_lEESB_NS0_8identityIvEEEESM_SP_SQ_mSR_ST_bEUlT_E_NS1_11comp_targetILNS1_3genE3ELNS1_11target_archE908ELNS1_3gpuE7ELNS1_3repE0EEENS1_30default_config_static_selectorELNS0_4arch9wavefront6targetE1EEEvT1_.kd
    .uniform_work_group_size: 1
    .uses_dynamic_stack: false
    .vgpr_count:     0
    .vgpr_spill_count: 0
    .wavefront_size: 64
  - .agpr_count:     0
    .args:
      - .offset:         0
        .size:           56
        .value_kind:     by_value
    .group_segment_fixed_size: 0
    .kernarg_segment_align: 8
    .kernarg_segment_size: 56
    .language:       OpenCL C
    .language_version:
      - 2
      - 0
    .max_flat_workgroup_size: 512
    .name:           _ZN7rocprim17ROCPRIM_400000_NS6detail17trampoline_kernelINS0_14default_configENS1_25transform_config_selectorIlLb0EEEZNS1_14transform_implILb0ES3_S5_NS0_18transform_iteratorINS0_17counting_iteratorImlEEZNS1_24adjacent_difference_implIS3_Lb1ELb0EPlSB_ZN2at6native12_GLOBAL__N_124unique_dim_cuda_templateIsEESt5tupleIJNSC_6TensorESH_SH_EERKSH_lbbbEUlllE1_EE10hipError_tPvRmT2_T3_mT4_P12ihipStream_tbEUlmE_lEESB_NS0_8identityIvEEEESM_SP_SQ_mSR_ST_bEUlT_E_NS1_11comp_targetILNS1_3genE2ELNS1_11target_archE906ELNS1_3gpuE6ELNS1_3repE0EEENS1_30default_config_static_selectorELNS0_4arch9wavefront6targetE1EEEvT1_
    .private_segment_fixed_size: 0
    .sgpr_count:     4
    .sgpr_spill_count: 0
    .symbol:         _ZN7rocprim17ROCPRIM_400000_NS6detail17trampoline_kernelINS0_14default_configENS1_25transform_config_selectorIlLb0EEEZNS1_14transform_implILb0ES3_S5_NS0_18transform_iteratorINS0_17counting_iteratorImlEEZNS1_24adjacent_difference_implIS3_Lb1ELb0EPlSB_ZN2at6native12_GLOBAL__N_124unique_dim_cuda_templateIsEESt5tupleIJNSC_6TensorESH_SH_EERKSH_lbbbEUlllE1_EE10hipError_tPvRmT2_T3_mT4_P12ihipStream_tbEUlmE_lEESB_NS0_8identityIvEEEESM_SP_SQ_mSR_ST_bEUlT_E_NS1_11comp_targetILNS1_3genE2ELNS1_11target_archE906ELNS1_3gpuE6ELNS1_3repE0EEENS1_30default_config_static_selectorELNS0_4arch9wavefront6targetE1EEEvT1_.kd
    .uniform_work_group_size: 1
    .uses_dynamic_stack: false
    .vgpr_count:     0
    .vgpr_spill_count: 0
    .wavefront_size: 64
  - .agpr_count:     0
    .args:
      - .offset:         0
        .size:           56
        .value_kind:     by_value
    .group_segment_fixed_size: 0
    .kernarg_segment_align: 8
    .kernarg_segment_size: 56
    .language:       OpenCL C
    .language_version:
      - 2
      - 0
    .max_flat_workgroup_size: 1024
    .name:           _ZN7rocprim17ROCPRIM_400000_NS6detail17trampoline_kernelINS0_14default_configENS1_25transform_config_selectorIlLb0EEEZNS1_14transform_implILb0ES3_S5_NS0_18transform_iteratorINS0_17counting_iteratorImlEEZNS1_24adjacent_difference_implIS3_Lb1ELb0EPlSB_ZN2at6native12_GLOBAL__N_124unique_dim_cuda_templateIsEESt5tupleIJNSC_6TensorESH_SH_EERKSH_lbbbEUlllE1_EE10hipError_tPvRmT2_T3_mT4_P12ihipStream_tbEUlmE_lEESB_NS0_8identityIvEEEESM_SP_SQ_mSR_ST_bEUlT_E_NS1_11comp_targetILNS1_3genE10ELNS1_11target_archE1201ELNS1_3gpuE5ELNS1_3repE0EEENS1_30default_config_static_selectorELNS0_4arch9wavefront6targetE1EEEvT1_
    .private_segment_fixed_size: 0
    .sgpr_count:     4
    .sgpr_spill_count: 0
    .symbol:         _ZN7rocprim17ROCPRIM_400000_NS6detail17trampoline_kernelINS0_14default_configENS1_25transform_config_selectorIlLb0EEEZNS1_14transform_implILb0ES3_S5_NS0_18transform_iteratorINS0_17counting_iteratorImlEEZNS1_24adjacent_difference_implIS3_Lb1ELb0EPlSB_ZN2at6native12_GLOBAL__N_124unique_dim_cuda_templateIsEESt5tupleIJNSC_6TensorESH_SH_EERKSH_lbbbEUlllE1_EE10hipError_tPvRmT2_T3_mT4_P12ihipStream_tbEUlmE_lEESB_NS0_8identityIvEEEESM_SP_SQ_mSR_ST_bEUlT_E_NS1_11comp_targetILNS1_3genE10ELNS1_11target_archE1201ELNS1_3gpuE5ELNS1_3repE0EEENS1_30default_config_static_selectorELNS0_4arch9wavefront6targetE1EEEvT1_.kd
    .uniform_work_group_size: 1
    .uses_dynamic_stack: false
    .vgpr_count:     0
    .vgpr_spill_count: 0
    .wavefront_size: 64
  - .agpr_count:     0
    .args:
      - .offset:         0
        .size:           56
        .value_kind:     by_value
    .group_segment_fixed_size: 0
    .kernarg_segment_align: 8
    .kernarg_segment_size: 56
    .language:       OpenCL C
    .language_version:
      - 2
      - 0
    .max_flat_workgroup_size: 512
    .name:           _ZN7rocprim17ROCPRIM_400000_NS6detail17trampoline_kernelINS0_14default_configENS1_25transform_config_selectorIlLb0EEEZNS1_14transform_implILb0ES3_S5_NS0_18transform_iteratorINS0_17counting_iteratorImlEEZNS1_24adjacent_difference_implIS3_Lb1ELb0EPlSB_ZN2at6native12_GLOBAL__N_124unique_dim_cuda_templateIsEESt5tupleIJNSC_6TensorESH_SH_EERKSH_lbbbEUlllE1_EE10hipError_tPvRmT2_T3_mT4_P12ihipStream_tbEUlmE_lEESB_NS0_8identityIvEEEESM_SP_SQ_mSR_ST_bEUlT_E_NS1_11comp_targetILNS1_3genE10ELNS1_11target_archE1200ELNS1_3gpuE4ELNS1_3repE0EEENS1_30default_config_static_selectorELNS0_4arch9wavefront6targetE1EEEvT1_
    .private_segment_fixed_size: 0
    .sgpr_count:     4
    .sgpr_spill_count: 0
    .symbol:         _ZN7rocprim17ROCPRIM_400000_NS6detail17trampoline_kernelINS0_14default_configENS1_25transform_config_selectorIlLb0EEEZNS1_14transform_implILb0ES3_S5_NS0_18transform_iteratorINS0_17counting_iteratorImlEEZNS1_24adjacent_difference_implIS3_Lb1ELb0EPlSB_ZN2at6native12_GLOBAL__N_124unique_dim_cuda_templateIsEESt5tupleIJNSC_6TensorESH_SH_EERKSH_lbbbEUlllE1_EE10hipError_tPvRmT2_T3_mT4_P12ihipStream_tbEUlmE_lEESB_NS0_8identityIvEEEESM_SP_SQ_mSR_ST_bEUlT_E_NS1_11comp_targetILNS1_3genE10ELNS1_11target_archE1200ELNS1_3gpuE4ELNS1_3repE0EEENS1_30default_config_static_selectorELNS0_4arch9wavefront6targetE1EEEvT1_.kd
    .uniform_work_group_size: 1
    .uses_dynamic_stack: false
    .vgpr_count:     0
    .vgpr_spill_count: 0
    .wavefront_size: 64
  - .agpr_count:     0
    .args:
      - .offset:         0
        .size:           56
        .value_kind:     by_value
    .group_segment_fixed_size: 0
    .kernarg_segment_align: 8
    .kernarg_segment_size: 56
    .language:       OpenCL C
    .language_version:
      - 2
      - 0
    .max_flat_workgroup_size: 512
    .name:           _ZN7rocprim17ROCPRIM_400000_NS6detail17trampoline_kernelINS0_14default_configENS1_25transform_config_selectorIlLb0EEEZNS1_14transform_implILb0ES3_S5_NS0_18transform_iteratorINS0_17counting_iteratorImlEEZNS1_24adjacent_difference_implIS3_Lb1ELb0EPlSB_ZN2at6native12_GLOBAL__N_124unique_dim_cuda_templateIsEESt5tupleIJNSC_6TensorESH_SH_EERKSH_lbbbEUlllE1_EE10hipError_tPvRmT2_T3_mT4_P12ihipStream_tbEUlmE_lEESB_NS0_8identityIvEEEESM_SP_SQ_mSR_ST_bEUlT_E_NS1_11comp_targetILNS1_3genE9ELNS1_11target_archE1100ELNS1_3gpuE3ELNS1_3repE0EEENS1_30default_config_static_selectorELNS0_4arch9wavefront6targetE1EEEvT1_
    .private_segment_fixed_size: 0
    .sgpr_count:     4
    .sgpr_spill_count: 0
    .symbol:         _ZN7rocprim17ROCPRIM_400000_NS6detail17trampoline_kernelINS0_14default_configENS1_25transform_config_selectorIlLb0EEEZNS1_14transform_implILb0ES3_S5_NS0_18transform_iteratorINS0_17counting_iteratorImlEEZNS1_24adjacent_difference_implIS3_Lb1ELb0EPlSB_ZN2at6native12_GLOBAL__N_124unique_dim_cuda_templateIsEESt5tupleIJNSC_6TensorESH_SH_EERKSH_lbbbEUlllE1_EE10hipError_tPvRmT2_T3_mT4_P12ihipStream_tbEUlmE_lEESB_NS0_8identityIvEEEESM_SP_SQ_mSR_ST_bEUlT_E_NS1_11comp_targetILNS1_3genE9ELNS1_11target_archE1100ELNS1_3gpuE3ELNS1_3repE0EEENS1_30default_config_static_selectorELNS0_4arch9wavefront6targetE1EEEvT1_.kd
    .uniform_work_group_size: 1
    .uses_dynamic_stack: false
    .vgpr_count:     0
    .vgpr_spill_count: 0
    .wavefront_size: 64
  - .agpr_count:     0
    .args:
      - .offset:         0
        .size:           56
        .value_kind:     by_value
    .group_segment_fixed_size: 0
    .kernarg_segment_align: 8
    .kernarg_segment_size: 56
    .language:       OpenCL C
    .language_version:
      - 2
      - 0
    .max_flat_workgroup_size: 512
    .name:           _ZN7rocprim17ROCPRIM_400000_NS6detail17trampoline_kernelINS0_14default_configENS1_25transform_config_selectorIlLb0EEEZNS1_14transform_implILb0ES3_S5_NS0_18transform_iteratorINS0_17counting_iteratorImlEEZNS1_24adjacent_difference_implIS3_Lb1ELb0EPlSB_ZN2at6native12_GLOBAL__N_124unique_dim_cuda_templateIsEESt5tupleIJNSC_6TensorESH_SH_EERKSH_lbbbEUlllE1_EE10hipError_tPvRmT2_T3_mT4_P12ihipStream_tbEUlmE_lEESB_NS0_8identityIvEEEESM_SP_SQ_mSR_ST_bEUlT_E_NS1_11comp_targetILNS1_3genE8ELNS1_11target_archE1030ELNS1_3gpuE2ELNS1_3repE0EEENS1_30default_config_static_selectorELNS0_4arch9wavefront6targetE1EEEvT1_
    .private_segment_fixed_size: 0
    .sgpr_count:     4
    .sgpr_spill_count: 0
    .symbol:         _ZN7rocprim17ROCPRIM_400000_NS6detail17trampoline_kernelINS0_14default_configENS1_25transform_config_selectorIlLb0EEEZNS1_14transform_implILb0ES3_S5_NS0_18transform_iteratorINS0_17counting_iteratorImlEEZNS1_24adjacent_difference_implIS3_Lb1ELb0EPlSB_ZN2at6native12_GLOBAL__N_124unique_dim_cuda_templateIsEESt5tupleIJNSC_6TensorESH_SH_EERKSH_lbbbEUlllE1_EE10hipError_tPvRmT2_T3_mT4_P12ihipStream_tbEUlmE_lEESB_NS0_8identityIvEEEESM_SP_SQ_mSR_ST_bEUlT_E_NS1_11comp_targetILNS1_3genE8ELNS1_11target_archE1030ELNS1_3gpuE2ELNS1_3repE0EEENS1_30default_config_static_selectorELNS0_4arch9wavefront6targetE1EEEvT1_.kd
    .uniform_work_group_size: 1
    .uses_dynamic_stack: false
    .vgpr_count:     0
    .vgpr_spill_count: 0
    .wavefront_size: 64
  - .agpr_count:     0
    .args:
      - .offset:         0
        .size:           64
        .value_kind:     by_value
    .group_segment_fixed_size: 0
    .kernarg_segment_align: 8
    .kernarg_segment_size: 64
    .language:       OpenCL C
    .language_version:
      - 2
      - 0
    .max_flat_workgroup_size: 512
    .name:           _ZN7rocprim17ROCPRIM_400000_NS6detail17trampoline_kernelINS0_14default_configENS1_35adjacent_difference_config_selectorILb1ElEEZNS1_24adjacent_difference_implIS3_Lb1ELb0EPlS7_ZN2at6native12_GLOBAL__N_124unique_dim_cuda_templateIsEESt5tupleIJNS8_6TensorESD_SD_EERKSD_lbbbEUlllE1_EE10hipError_tPvRmT2_T3_mT4_P12ihipStream_tbEUlT_E_NS1_11comp_targetILNS1_3genE0ELNS1_11target_archE4294967295ELNS1_3gpuE0ELNS1_3repE0EEENS1_30default_config_static_selectorELNS0_4arch9wavefront6targetE1EEEvT1_
    .private_segment_fixed_size: 0
    .sgpr_count:     4
    .sgpr_spill_count: 0
    .symbol:         _ZN7rocprim17ROCPRIM_400000_NS6detail17trampoline_kernelINS0_14default_configENS1_35adjacent_difference_config_selectorILb1ElEEZNS1_24adjacent_difference_implIS3_Lb1ELb0EPlS7_ZN2at6native12_GLOBAL__N_124unique_dim_cuda_templateIsEESt5tupleIJNS8_6TensorESD_SD_EERKSD_lbbbEUlllE1_EE10hipError_tPvRmT2_T3_mT4_P12ihipStream_tbEUlT_E_NS1_11comp_targetILNS1_3genE0ELNS1_11target_archE4294967295ELNS1_3gpuE0ELNS1_3repE0EEENS1_30default_config_static_selectorELNS0_4arch9wavefront6targetE1EEEvT1_.kd
    .uniform_work_group_size: 1
    .uses_dynamic_stack: false
    .vgpr_count:     0
    .vgpr_spill_count: 0
    .wavefront_size: 64
  - .agpr_count:     0
    .args:
      - .offset:         0
        .size:           64
        .value_kind:     by_value
    .group_segment_fixed_size: 0
    .kernarg_segment_align: 8
    .kernarg_segment_size: 64
    .language:       OpenCL C
    .language_version:
      - 2
      - 0
    .max_flat_workgroup_size: 32
    .name:           _ZN7rocprim17ROCPRIM_400000_NS6detail17trampoline_kernelINS0_14default_configENS1_35adjacent_difference_config_selectorILb1ElEEZNS1_24adjacent_difference_implIS3_Lb1ELb0EPlS7_ZN2at6native12_GLOBAL__N_124unique_dim_cuda_templateIsEESt5tupleIJNS8_6TensorESD_SD_EERKSD_lbbbEUlllE1_EE10hipError_tPvRmT2_T3_mT4_P12ihipStream_tbEUlT_E_NS1_11comp_targetILNS1_3genE10ELNS1_11target_archE1201ELNS1_3gpuE5ELNS1_3repE0EEENS1_30default_config_static_selectorELNS0_4arch9wavefront6targetE1EEEvT1_
    .private_segment_fixed_size: 0
    .sgpr_count:     4
    .sgpr_spill_count: 0
    .symbol:         _ZN7rocprim17ROCPRIM_400000_NS6detail17trampoline_kernelINS0_14default_configENS1_35adjacent_difference_config_selectorILb1ElEEZNS1_24adjacent_difference_implIS3_Lb1ELb0EPlS7_ZN2at6native12_GLOBAL__N_124unique_dim_cuda_templateIsEESt5tupleIJNS8_6TensorESD_SD_EERKSD_lbbbEUlllE1_EE10hipError_tPvRmT2_T3_mT4_P12ihipStream_tbEUlT_E_NS1_11comp_targetILNS1_3genE10ELNS1_11target_archE1201ELNS1_3gpuE5ELNS1_3repE0EEENS1_30default_config_static_selectorELNS0_4arch9wavefront6targetE1EEEvT1_.kd
    .uniform_work_group_size: 1
    .uses_dynamic_stack: false
    .vgpr_count:     0
    .vgpr_spill_count: 0
    .wavefront_size: 64
  - .agpr_count:     0
    .args:
      - .offset:         0
        .size:           64
        .value_kind:     by_value
    .group_segment_fixed_size: 0
    .kernarg_segment_align: 8
    .kernarg_segment_size: 64
    .language:       OpenCL C
    .language_version:
      - 2
      - 0
    .max_flat_workgroup_size: 256
    .name:           _ZN7rocprim17ROCPRIM_400000_NS6detail17trampoline_kernelINS0_14default_configENS1_35adjacent_difference_config_selectorILb1ElEEZNS1_24adjacent_difference_implIS3_Lb1ELb0EPlS7_ZN2at6native12_GLOBAL__N_124unique_dim_cuda_templateIsEESt5tupleIJNS8_6TensorESD_SD_EERKSD_lbbbEUlllE1_EE10hipError_tPvRmT2_T3_mT4_P12ihipStream_tbEUlT_E_NS1_11comp_targetILNS1_3genE5ELNS1_11target_archE942ELNS1_3gpuE9ELNS1_3repE0EEENS1_30default_config_static_selectorELNS0_4arch9wavefront6targetE1EEEvT1_
    .private_segment_fixed_size: 0
    .sgpr_count:     4
    .sgpr_spill_count: 0
    .symbol:         _ZN7rocprim17ROCPRIM_400000_NS6detail17trampoline_kernelINS0_14default_configENS1_35adjacent_difference_config_selectorILb1ElEEZNS1_24adjacent_difference_implIS3_Lb1ELb0EPlS7_ZN2at6native12_GLOBAL__N_124unique_dim_cuda_templateIsEESt5tupleIJNS8_6TensorESD_SD_EERKSD_lbbbEUlllE1_EE10hipError_tPvRmT2_T3_mT4_P12ihipStream_tbEUlT_E_NS1_11comp_targetILNS1_3genE5ELNS1_11target_archE942ELNS1_3gpuE9ELNS1_3repE0EEENS1_30default_config_static_selectorELNS0_4arch9wavefront6targetE1EEEvT1_.kd
    .uniform_work_group_size: 1
    .uses_dynamic_stack: false
    .vgpr_count:     0
    .vgpr_spill_count: 0
    .wavefront_size: 64
  - .agpr_count:     0
    .args:
      - .offset:         0
        .size:           64
        .value_kind:     by_value
    .group_segment_fixed_size: 8448
    .kernarg_segment_align: 8
    .kernarg_segment_size: 64
    .language:       OpenCL C
    .language_version:
      - 2
      - 0
    .max_flat_workgroup_size: 512
    .name:           _ZN7rocprim17ROCPRIM_400000_NS6detail17trampoline_kernelINS0_14default_configENS1_35adjacent_difference_config_selectorILb1ElEEZNS1_24adjacent_difference_implIS3_Lb1ELb0EPlS7_ZN2at6native12_GLOBAL__N_124unique_dim_cuda_templateIsEESt5tupleIJNS8_6TensorESD_SD_EERKSD_lbbbEUlllE1_EE10hipError_tPvRmT2_T3_mT4_P12ihipStream_tbEUlT_E_NS1_11comp_targetILNS1_3genE4ELNS1_11target_archE910ELNS1_3gpuE8ELNS1_3repE0EEENS1_30default_config_static_selectorELNS0_4arch9wavefront6targetE1EEEvT1_
    .private_segment_fixed_size: 0
    .sgpr_count:     42
    .sgpr_spill_count: 0
    .symbol:         _ZN7rocprim17ROCPRIM_400000_NS6detail17trampoline_kernelINS0_14default_configENS1_35adjacent_difference_config_selectorILb1ElEEZNS1_24adjacent_difference_implIS3_Lb1ELb0EPlS7_ZN2at6native12_GLOBAL__N_124unique_dim_cuda_templateIsEESt5tupleIJNS8_6TensorESD_SD_EERKSD_lbbbEUlllE1_EE10hipError_tPvRmT2_T3_mT4_P12ihipStream_tbEUlT_E_NS1_11comp_targetILNS1_3genE4ELNS1_11target_archE910ELNS1_3gpuE8ELNS1_3repE0EEENS1_30default_config_static_selectorELNS0_4arch9wavefront6targetE1EEEvT1_.kd
    .uniform_work_group_size: 1
    .uses_dynamic_stack: false
    .vgpr_count:     17
    .vgpr_spill_count: 0
    .wavefront_size: 64
  - .agpr_count:     0
    .args:
      - .offset:         0
        .size:           64
        .value_kind:     by_value
    .group_segment_fixed_size: 0
    .kernarg_segment_align: 8
    .kernarg_segment_size: 64
    .language:       OpenCL C
    .language_version:
      - 2
      - 0
    .max_flat_workgroup_size: 512
    .name:           _ZN7rocprim17ROCPRIM_400000_NS6detail17trampoline_kernelINS0_14default_configENS1_35adjacent_difference_config_selectorILb1ElEEZNS1_24adjacent_difference_implIS3_Lb1ELb0EPlS7_ZN2at6native12_GLOBAL__N_124unique_dim_cuda_templateIsEESt5tupleIJNS8_6TensorESD_SD_EERKSD_lbbbEUlllE1_EE10hipError_tPvRmT2_T3_mT4_P12ihipStream_tbEUlT_E_NS1_11comp_targetILNS1_3genE3ELNS1_11target_archE908ELNS1_3gpuE7ELNS1_3repE0EEENS1_30default_config_static_selectorELNS0_4arch9wavefront6targetE1EEEvT1_
    .private_segment_fixed_size: 0
    .sgpr_count:     4
    .sgpr_spill_count: 0
    .symbol:         _ZN7rocprim17ROCPRIM_400000_NS6detail17trampoline_kernelINS0_14default_configENS1_35adjacent_difference_config_selectorILb1ElEEZNS1_24adjacent_difference_implIS3_Lb1ELb0EPlS7_ZN2at6native12_GLOBAL__N_124unique_dim_cuda_templateIsEESt5tupleIJNS8_6TensorESD_SD_EERKSD_lbbbEUlllE1_EE10hipError_tPvRmT2_T3_mT4_P12ihipStream_tbEUlT_E_NS1_11comp_targetILNS1_3genE3ELNS1_11target_archE908ELNS1_3gpuE7ELNS1_3repE0EEENS1_30default_config_static_selectorELNS0_4arch9wavefront6targetE1EEEvT1_.kd
    .uniform_work_group_size: 1
    .uses_dynamic_stack: false
    .vgpr_count:     0
    .vgpr_spill_count: 0
    .wavefront_size: 64
  - .agpr_count:     0
    .args:
      - .offset:         0
        .size:           64
        .value_kind:     by_value
    .group_segment_fixed_size: 0
    .kernarg_segment_align: 8
    .kernarg_segment_size: 64
    .language:       OpenCL C
    .language_version:
      - 2
      - 0
    .max_flat_workgroup_size: 128
    .name:           _ZN7rocprim17ROCPRIM_400000_NS6detail17trampoline_kernelINS0_14default_configENS1_35adjacent_difference_config_selectorILb1ElEEZNS1_24adjacent_difference_implIS3_Lb1ELb0EPlS7_ZN2at6native12_GLOBAL__N_124unique_dim_cuda_templateIsEESt5tupleIJNS8_6TensorESD_SD_EERKSD_lbbbEUlllE1_EE10hipError_tPvRmT2_T3_mT4_P12ihipStream_tbEUlT_E_NS1_11comp_targetILNS1_3genE2ELNS1_11target_archE906ELNS1_3gpuE6ELNS1_3repE0EEENS1_30default_config_static_selectorELNS0_4arch9wavefront6targetE1EEEvT1_
    .private_segment_fixed_size: 0
    .sgpr_count:     4
    .sgpr_spill_count: 0
    .symbol:         _ZN7rocprim17ROCPRIM_400000_NS6detail17trampoline_kernelINS0_14default_configENS1_35adjacent_difference_config_selectorILb1ElEEZNS1_24adjacent_difference_implIS3_Lb1ELb0EPlS7_ZN2at6native12_GLOBAL__N_124unique_dim_cuda_templateIsEESt5tupleIJNS8_6TensorESD_SD_EERKSD_lbbbEUlllE1_EE10hipError_tPvRmT2_T3_mT4_P12ihipStream_tbEUlT_E_NS1_11comp_targetILNS1_3genE2ELNS1_11target_archE906ELNS1_3gpuE6ELNS1_3repE0EEENS1_30default_config_static_selectorELNS0_4arch9wavefront6targetE1EEEvT1_.kd
    .uniform_work_group_size: 1
    .uses_dynamic_stack: false
    .vgpr_count:     0
    .vgpr_spill_count: 0
    .wavefront_size: 64
  - .agpr_count:     0
    .args:
      - .offset:         0
        .size:           64
        .value_kind:     by_value
    .group_segment_fixed_size: 0
    .kernarg_segment_align: 8
    .kernarg_segment_size: 64
    .language:       OpenCL C
    .language_version:
      - 2
      - 0
    .max_flat_workgroup_size: 128
    .name:           _ZN7rocprim17ROCPRIM_400000_NS6detail17trampoline_kernelINS0_14default_configENS1_35adjacent_difference_config_selectorILb1ElEEZNS1_24adjacent_difference_implIS3_Lb1ELb0EPlS7_ZN2at6native12_GLOBAL__N_124unique_dim_cuda_templateIsEESt5tupleIJNS8_6TensorESD_SD_EERKSD_lbbbEUlllE1_EE10hipError_tPvRmT2_T3_mT4_P12ihipStream_tbEUlT_E_NS1_11comp_targetILNS1_3genE9ELNS1_11target_archE1100ELNS1_3gpuE3ELNS1_3repE0EEENS1_30default_config_static_selectorELNS0_4arch9wavefront6targetE1EEEvT1_
    .private_segment_fixed_size: 0
    .sgpr_count:     4
    .sgpr_spill_count: 0
    .symbol:         _ZN7rocprim17ROCPRIM_400000_NS6detail17trampoline_kernelINS0_14default_configENS1_35adjacent_difference_config_selectorILb1ElEEZNS1_24adjacent_difference_implIS3_Lb1ELb0EPlS7_ZN2at6native12_GLOBAL__N_124unique_dim_cuda_templateIsEESt5tupleIJNS8_6TensorESD_SD_EERKSD_lbbbEUlllE1_EE10hipError_tPvRmT2_T3_mT4_P12ihipStream_tbEUlT_E_NS1_11comp_targetILNS1_3genE9ELNS1_11target_archE1100ELNS1_3gpuE3ELNS1_3repE0EEENS1_30default_config_static_selectorELNS0_4arch9wavefront6targetE1EEEvT1_.kd
    .uniform_work_group_size: 1
    .uses_dynamic_stack: false
    .vgpr_count:     0
    .vgpr_spill_count: 0
    .wavefront_size: 64
  - .agpr_count:     0
    .args:
      - .offset:         0
        .size:           64
        .value_kind:     by_value
    .group_segment_fixed_size: 0
    .kernarg_segment_align: 8
    .kernarg_segment_size: 64
    .language:       OpenCL C
    .language_version:
      - 2
      - 0
    .max_flat_workgroup_size: 32
    .name:           _ZN7rocprim17ROCPRIM_400000_NS6detail17trampoline_kernelINS0_14default_configENS1_35adjacent_difference_config_selectorILb1ElEEZNS1_24adjacent_difference_implIS3_Lb1ELb0EPlS7_ZN2at6native12_GLOBAL__N_124unique_dim_cuda_templateIsEESt5tupleIJNS8_6TensorESD_SD_EERKSD_lbbbEUlllE1_EE10hipError_tPvRmT2_T3_mT4_P12ihipStream_tbEUlT_E_NS1_11comp_targetILNS1_3genE8ELNS1_11target_archE1030ELNS1_3gpuE2ELNS1_3repE0EEENS1_30default_config_static_selectorELNS0_4arch9wavefront6targetE1EEEvT1_
    .private_segment_fixed_size: 0
    .sgpr_count:     4
    .sgpr_spill_count: 0
    .symbol:         _ZN7rocprim17ROCPRIM_400000_NS6detail17trampoline_kernelINS0_14default_configENS1_35adjacent_difference_config_selectorILb1ElEEZNS1_24adjacent_difference_implIS3_Lb1ELb0EPlS7_ZN2at6native12_GLOBAL__N_124unique_dim_cuda_templateIsEESt5tupleIJNS8_6TensorESD_SD_EERKSD_lbbbEUlllE1_EE10hipError_tPvRmT2_T3_mT4_P12ihipStream_tbEUlT_E_NS1_11comp_targetILNS1_3genE8ELNS1_11target_archE1030ELNS1_3gpuE2ELNS1_3repE0EEENS1_30default_config_static_selectorELNS0_4arch9wavefront6targetE1EEEvT1_.kd
    .uniform_work_group_size: 1
    .uses_dynamic_stack: false
    .vgpr_count:     0
    .vgpr_spill_count: 0
    .wavefront_size: 64
  - .agpr_count:     0
    .args:
      - .offset:         0
        .size:           120
        .value_kind:     by_value
    .group_segment_fixed_size: 0
    .kernarg_segment_align: 8
    .kernarg_segment_size: 120
    .language:       OpenCL C
    .language_version:
      - 2
      - 0
    .max_flat_workgroup_size: 512
    .name:           _ZN7rocprim17ROCPRIM_400000_NS6detail17trampoline_kernelINS0_14default_configENS1_25partition_config_selectorILNS1_17partition_subalgoE8ElNS0_10empty_typeEbEEZZNS1_14partition_implILS5_8ELb0ES3_jPlPS6_PKS6_NS0_5tupleIJS9_S6_EEENSD_IJSA_SA_EEENS0_18inequality_wrapperIZN2at6native12_GLOBAL__N_124unique_dim_cuda_templateIsEESt5tupleIJNSH_6TensorESM_SM_EERKSM_lbbbEUlllE0_EEPmJS6_EEE10hipError_tPvRmT3_T4_T5_T6_T7_T9_mT8_P12ihipStream_tbDpT10_ENKUlT_T0_E_clISt17integral_constantIbLb0EES1C_EEDaS17_S18_EUlS17_E_NS1_11comp_targetILNS1_3genE0ELNS1_11target_archE4294967295ELNS1_3gpuE0ELNS1_3repE0EEENS1_30default_config_static_selectorELNS0_4arch9wavefront6targetE1EEEvT1_
    .private_segment_fixed_size: 0
    .sgpr_count:     4
    .sgpr_spill_count: 0
    .symbol:         _ZN7rocprim17ROCPRIM_400000_NS6detail17trampoline_kernelINS0_14default_configENS1_25partition_config_selectorILNS1_17partition_subalgoE8ElNS0_10empty_typeEbEEZZNS1_14partition_implILS5_8ELb0ES3_jPlPS6_PKS6_NS0_5tupleIJS9_S6_EEENSD_IJSA_SA_EEENS0_18inequality_wrapperIZN2at6native12_GLOBAL__N_124unique_dim_cuda_templateIsEESt5tupleIJNSH_6TensorESM_SM_EERKSM_lbbbEUlllE0_EEPmJS6_EEE10hipError_tPvRmT3_T4_T5_T6_T7_T9_mT8_P12ihipStream_tbDpT10_ENKUlT_T0_E_clISt17integral_constantIbLb0EES1C_EEDaS17_S18_EUlS17_E_NS1_11comp_targetILNS1_3genE0ELNS1_11target_archE4294967295ELNS1_3gpuE0ELNS1_3repE0EEENS1_30default_config_static_selectorELNS0_4arch9wavefront6targetE1EEEvT1_.kd
    .uniform_work_group_size: 1
    .uses_dynamic_stack: false
    .vgpr_count:     0
    .vgpr_spill_count: 0
    .wavefront_size: 64
  - .agpr_count:     0
    .args:
      - .offset:         0
        .size:           120
        .value_kind:     by_value
    .group_segment_fixed_size: 0
    .kernarg_segment_align: 8
    .kernarg_segment_size: 120
    .language:       OpenCL C
    .language_version:
      - 2
      - 0
    .max_flat_workgroup_size: 512
    .name:           _ZN7rocprim17ROCPRIM_400000_NS6detail17trampoline_kernelINS0_14default_configENS1_25partition_config_selectorILNS1_17partition_subalgoE8ElNS0_10empty_typeEbEEZZNS1_14partition_implILS5_8ELb0ES3_jPlPS6_PKS6_NS0_5tupleIJS9_S6_EEENSD_IJSA_SA_EEENS0_18inequality_wrapperIZN2at6native12_GLOBAL__N_124unique_dim_cuda_templateIsEESt5tupleIJNSH_6TensorESM_SM_EERKSM_lbbbEUlllE0_EEPmJS6_EEE10hipError_tPvRmT3_T4_T5_T6_T7_T9_mT8_P12ihipStream_tbDpT10_ENKUlT_T0_E_clISt17integral_constantIbLb0EES1C_EEDaS17_S18_EUlS17_E_NS1_11comp_targetILNS1_3genE5ELNS1_11target_archE942ELNS1_3gpuE9ELNS1_3repE0EEENS1_30default_config_static_selectorELNS0_4arch9wavefront6targetE1EEEvT1_
    .private_segment_fixed_size: 0
    .sgpr_count:     4
    .sgpr_spill_count: 0
    .symbol:         _ZN7rocprim17ROCPRIM_400000_NS6detail17trampoline_kernelINS0_14default_configENS1_25partition_config_selectorILNS1_17partition_subalgoE8ElNS0_10empty_typeEbEEZZNS1_14partition_implILS5_8ELb0ES3_jPlPS6_PKS6_NS0_5tupleIJS9_S6_EEENSD_IJSA_SA_EEENS0_18inequality_wrapperIZN2at6native12_GLOBAL__N_124unique_dim_cuda_templateIsEESt5tupleIJNSH_6TensorESM_SM_EERKSM_lbbbEUlllE0_EEPmJS6_EEE10hipError_tPvRmT3_T4_T5_T6_T7_T9_mT8_P12ihipStream_tbDpT10_ENKUlT_T0_E_clISt17integral_constantIbLb0EES1C_EEDaS17_S18_EUlS17_E_NS1_11comp_targetILNS1_3genE5ELNS1_11target_archE942ELNS1_3gpuE9ELNS1_3repE0EEENS1_30default_config_static_selectorELNS0_4arch9wavefront6targetE1EEEvT1_.kd
    .uniform_work_group_size: 1
    .uses_dynamic_stack: false
    .vgpr_count:     0
    .vgpr_spill_count: 0
    .wavefront_size: 64
  - .agpr_count:     0
    .args:
      - .offset:         0
        .size:           120
        .value_kind:     by_value
    .group_segment_fixed_size: 10252
    .kernarg_segment_align: 8
    .kernarg_segment_size: 120
    .language:       OpenCL C
    .language_version:
      - 2
      - 0
    .max_flat_workgroup_size: 256
    .name:           _ZN7rocprim17ROCPRIM_400000_NS6detail17trampoline_kernelINS0_14default_configENS1_25partition_config_selectorILNS1_17partition_subalgoE8ElNS0_10empty_typeEbEEZZNS1_14partition_implILS5_8ELb0ES3_jPlPS6_PKS6_NS0_5tupleIJS9_S6_EEENSD_IJSA_SA_EEENS0_18inequality_wrapperIZN2at6native12_GLOBAL__N_124unique_dim_cuda_templateIsEESt5tupleIJNSH_6TensorESM_SM_EERKSM_lbbbEUlllE0_EEPmJS6_EEE10hipError_tPvRmT3_T4_T5_T6_T7_T9_mT8_P12ihipStream_tbDpT10_ENKUlT_T0_E_clISt17integral_constantIbLb0EES1C_EEDaS17_S18_EUlS17_E_NS1_11comp_targetILNS1_3genE4ELNS1_11target_archE910ELNS1_3gpuE8ELNS1_3repE0EEENS1_30default_config_static_selectorELNS0_4arch9wavefront6targetE1EEEvT1_
    .private_segment_fixed_size: 0
    .sgpr_count:     52
    .sgpr_spill_count: 0
    .symbol:         _ZN7rocprim17ROCPRIM_400000_NS6detail17trampoline_kernelINS0_14default_configENS1_25partition_config_selectorILNS1_17partition_subalgoE8ElNS0_10empty_typeEbEEZZNS1_14partition_implILS5_8ELb0ES3_jPlPS6_PKS6_NS0_5tupleIJS9_S6_EEENSD_IJSA_SA_EEENS0_18inequality_wrapperIZN2at6native12_GLOBAL__N_124unique_dim_cuda_templateIsEESt5tupleIJNSH_6TensorESM_SM_EERKSM_lbbbEUlllE0_EEPmJS6_EEE10hipError_tPvRmT3_T4_T5_T6_T7_T9_mT8_P12ihipStream_tbDpT10_ENKUlT_T0_E_clISt17integral_constantIbLb0EES1C_EEDaS17_S18_EUlS17_E_NS1_11comp_targetILNS1_3genE4ELNS1_11target_archE910ELNS1_3gpuE8ELNS1_3repE0EEENS1_30default_config_static_selectorELNS0_4arch9wavefront6targetE1EEEvT1_.kd
    .uniform_work_group_size: 1
    .uses_dynamic_stack: false
    .vgpr_count:     46
    .vgpr_spill_count: 0
    .wavefront_size: 64
  - .agpr_count:     0
    .args:
      - .offset:         0
        .size:           120
        .value_kind:     by_value
    .group_segment_fixed_size: 0
    .kernarg_segment_align: 8
    .kernarg_segment_size: 120
    .language:       OpenCL C
    .language_version:
      - 2
      - 0
    .max_flat_workgroup_size: 512
    .name:           _ZN7rocprim17ROCPRIM_400000_NS6detail17trampoline_kernelINS0_14default_configENS1_25partition_config_selectorILNS1_17partition_subalgoE8ElNS0_10empty_typeEbEEZZNS1_14partition_implILS5_8ELb0ES3_jPlPS6_PKS6_NS0_5tupleIJS9_S6_EEENSD_IJSA_SA_EEENS0_18inequality_wrapperIZN2at6native12_GLOBAL__N_124unique_dim_cuda_templateIsEESt5tupleIJNSH_6TensorESM_SM_EERKSM_lbbbEUlllE0_EEPmJS6_EEE10hipError_tPvRmT3_T4_T5_T6_T7_T9_mT8_P12ihipStream_tbDpT10_ENKUlT_T0_E_clISt17integral_constantIbLb0EES1C_EEDaS17_S18_EUlS17_E_NS1_11comp_targetILNS1_3genE3ELNS1_11target_archE908ELNS1_3gpuE7ELNS1_3repE0EEENS1_30default_config_static_selectorELNS0_4arch9wavefront6targetE1EEEvT1_
    .private_segment_fixed_size: 0
    .sgpr_count:     4
    .sgpr_spill_count: 0
    .symbol:         _ZN7rocprim17ROCPRIM_400000_NS6detail17trampoline_kernelINS0_14default_configENS1_25partition_config_selectorILNS1_17partition_subalgoE8ElNS0_10empty_typeEbEEZZNS1_14partition_implILS5_8ELb0ES3_jPlPS6_PKS6_NS0_5tupleIJS9_S6_EEENSD_IJSA_SA_EEENS0_18inequality_wrapperIZN2at6native12_GLOBAL__N_124unique_dim_cuda_templateIsEESt5tupleIJNSH_6TensorESM_SM_EERKSM_lbbbEUlllE0_EEPmJS6_EEE10hipError_tPvRmT3_T4_T5_T6_T7_T9_mT8_P12ihipStream_tbDpT10_ENKUlT_T0_E_clISt17integral_constantIbLb0EES1C_EEDaS17_S18_EUlS17_E_NS1_11comp_targetILNS1_3genE3ELNS1_11target_archE908ELNS1_3gpuE7ELNS1_3repE0EEENS1_30default_config_static_selectorELNS0_4arch9wavefront6targetE1EEEvT1_.kd
    .uniform_work_group_size: 1
    .uses_dynamic_stack: false
    .vgpr_count:     0
    .vgpr_spill_count: 0
    .wavefront_size: 64
  - .agpr_count:     0
    .args:
      - .offset:         0
        .size:           120
        .value_kind:     by_value
    .group_segment_fixed_size: 0
    .kernarg_segment_align: 8
    .kernarg_segment_size: 120
    .language:       OpenCL C
    .language_version:
      - 2
      - 0
    .max_flat_workgroup_size: 256
    .name:           _ZN7rocprim17ROCPRIM_400000_NS6detail17trampoline_kernelINS0_14default_configENS1_25partition_config_selectorILNS1_17partition_subalgoE8ElNS0_10empty_typeEbEEZZNS1_14partition_implILS5_8ELb0ES3_jPlPS6_PKS6_NS0_5tupleIJS9_S6_EEENSD_IJSA_SA_EEENS0_18inequality_wrapperIZN2at6native12_GLOBAL__N_124unique_dim_cuda_templateIsEESt5tupleIJNSH_6TensorESM_SM_EERKSM_lbbbEUlllE0_EEPmJS6_EEE10hipError_tPvRmT3_T4_T5_T6_T7_T9_mT8_P12ihipStream_tbDpT10_ENKUlT_T0_E_clISt17integral_constantIbLb0EES1C_EEDaS17_S18_EUlS17_E_NS1_11comp_targetILNS1_3genE2ELNS1_11target_archE906ELNS1_3gpuE6ELNS1_3repE0EEENS1_30default_config_static_selectorELNS0_4arch9wavefront6targetE1EEEvT1_
    .private_segment_fixed_size: 0
    .sgpr_count:     4
    .sgpr_spill_count: 0
    .symbol:         _ZN7rocprim17ROCPRIM_400000_NS6detail17trampoline_kernelINS0_14default_configENS1_25partition_config_selectorILNS1_17partition_subalgoE8ElNS0_10empty_typeEbEEZZNS1_14partition_implILS5_8ELb0ES3_jPlPS6_PKS6_NS0_5tupleIJS9_S6_EEENSD_IJSA_SA_EEENS0_18inequality_wrapperIZN2at6native12_GLOBAL__N_124unique_dim_cuda_templateIsEESt5tupleIJNSH_6TensorESM_SM_EERKSM_lbbbEUlllE0_EEPmJS6_EEE10hipError_tPvRmT3_T4_T5_T6_T7_T9_mT8_P12ihipStream_tbDpT10_ENKUlT_T0_E_clISt17integral_constantIbLb0EES1C_EEDaS17_S18_EUlS17_E_NS1_11comp_targetILNS1_3genE2ELNS1_11target_archE906ELNS1_3gpuE6ELNS1_3repE0EEENS1_30default_config_static_selectorELNS0_4arch9wavefront6targetE1EEEvT1_.kd
    .uniform_work_group_size: 1
    .uses_dynamic_stack: false
    .vgpr_count:     0
    .vgpr_spill_count: 0
    .wavefront_size: 64
  - .agpr_count:     0
    .args:
      - .offset:         0
        .size:           120
        .value_kind:     by_value
    .group_segment_fixed_size: 0
    .kernarg_segment_align: 8
    .kernarg_segment_size: 120
    .language:       OpenCL C
    .language_version:
      - 2
      - 0
    .max_flat_workgroup_size: 384
    .name:           _ZN7rocprim17ROCPRIM_400000_NS6detail17trampoline_kernelINS0_14default_configENS1_25partition_config_selectorILNS1_17partition_subalgoE8ElNS0_10empty_typeEbEEZZNS1_14partition_implILS5_8ELb0ES3_jPlPS6_PKS6_NS0_5tupleIJS9_S6_EEENSD_IJSA_SA_EEENS0_18inequality_wrapperIZN2at6native12_GLOBAL__N_124unique_dim_cuda_templateIsEESt5tupleIJNSH_6TensorESM_SM_EERKSM_lbbbEUlllE0_EEPmJS6_EEE10hipError_tPvRmT3_T4_T5_T6_T7_T9_mT8_P12ihipStream_tbDpT10_ENKUlT_T0_E_clISt17integral_constantIbLb0EES1C_EEDaS17_S18_EUlS17_E_NS1_11comp_targetILNS1_3genE10ELNS1_11target_archE1200ELNS1_3gpuE4ELNS1_3repE0EEENS1_30default_config_static_selectorELNS0_4arch9wavefront6targetE1EEEvT1_
    .private_segment_fixed_size: 0
    .sgpr_count:     4
    .sgpr_spill_count: 0
    .symbol:         _ZN7rocprim17ROCPRIM_400000_NS6detail17trampoline_kernelINS0_14default_configENS1_25partition_config_selectorILNS1_17partition_subalgoE8ElNS0_10empty_typeEbEEZZNS1_14partition_implILS5_8ELb0ES3_jPlPS6_PKS6_NS0_5tupleIJS9_S6_EEENSD_IJSA_SA_EEENS0_18inequality_wrapperIZN2at6native12_GLOBAL__N_124unique_dim_cuda_templateIsEESt5tupleIJNSH_6TensorESM_SM_EERKSM_lbbbEUlllE0_EEPmJS6_EEE10hipError_tPvRmT3_T4_T5_T6_T7_T9_mT8_P12ihipStream_tbDpT10_ENKUlT_T0_E_clISt17integral_constantIbLb0EES1C_EEDaS17_S18_EUlS17_E_NS1_11comp_targetILNS1_3genE10ELNS1_11target_archE1200ELNS1_3gpuE4ELNS1_3repE0EEENS1_30default_config_static_selectorELNS0_4arch9wavefront6targetE1EEEvT1_.kd
    .uniform_work_group_size: 1
    .uses_dynamic_stack: false
    .vgpr_count:     0
    .vgpr_spill_count: 0
    .wavefront_size: 64
  - .agpr_count:     0
    .args:
      - .offset:         0
        .size:           120
        .value_kind:     by_value
    .group_segment_fixed_size: 0
    .kernarg_segment_align: 8
    .kernarg_segment_size: 120
    .language:       OpenCL C
    .language_version:
      - 2
      - 0
    .max_flat_workgroup_size: 512
    .name:           _ZN7rocprim17ROCPRIM_400000_NS6detail17trampoline_kernelINS0_14default_configENS1_25partition_config_selectorILNS1_17partition_subalgoE8ElNS0_10empty_typeEbEEZZNS1_14partition_implILS5_8ELb0ES3_jPlPS6_PKS6_NS0_5tupleIJS9_S6_EEENSD_IJSA_SA_EEENS0_18inequality_wrapperIZN2at6native12_GLOBAL__N_124unique_dim_cuda_templateIsEESt5tupleIJNSH_6TensorESM_SM_EERKSM_lbbbEUlllE0_EEPmJS6_EEE10hipError_tPvRmT3_T4_T5_T6_T7_T9_mT8_P12ihipStream_tbDpT10_ENKUlT_T0_E_clISt17integral_constantIbLb0EES1C_EEDaS17_S18_EUlS17_E_NS1_11comp_targetILNS1_3genE9ELNS1_11target_archE1100ELNS1_3gpuE3ELNS1_3repE0EEENS1_30default_config_static_selectorELNS0_4arch9wavefront6targetE1EEEvT1_
    .private_segment_fixed_size: 0
    .sgpr_count:     4
    .sgpr_spill_count: 0
    .symbol:         _ZN7rocprim17ROCPRIM_400000_NS6detail17trampoline_kernelINS0_14default_configENS1_25partition_config_selectorILNS1_17partition_subalgoE8ElNS0_10empty_typeEbEEZZNS1_14partition_implILS5_8ELb0ES3_jPlPS6_PKS6_NS0_5tupleIJS9_S6_EEENSD_IJSA_SA_EEENS0_18inequality_wrapperIZN2at6native12_GLOBAL__N_124unique_dim_cuda_templateIsEESt5tupleIJNSH_6TensorESM_SM_EERKSM_lbbbEUlllE0_EEPmJS6_EEE10hipError_tPvRmT3_T4_T5_T6_T7_T9_mT8_P12ihipStream_tbDpT10_ENKUlT_T0_E_clISt17integral_constantIbLb0EES1C_EEDaS17_S18_EUlS17_E_NS1_11comp_targetILNS1_3genE9ELNS1_11target_archE1100ELNS1_3gpuE3ELNS1_3repE0EEENS1_30default_config_static_selectorELNS0_4arch9wavefront6targetE1EEEvT1_.kd
    .uniform_work_group_size: 1
    .uses_dynamic_stack: false
    .vgpr_count:     0
    .vgpr_spill_count: 0
    .wavefront_size: 64
  - .agpr_count:     0
    .args:
      - .offset:         0
        .size:           120
        .value_kind:     by_value
    .group_segment_fixed_size: 0
    .kernarg_segment_align: 8
    .kernarg_segment_size: 120
    .language:       OpenCL C
    .language_version:
      - 2
      - 0
    .max_flat_workgroup_size: 512
    .name:           _ZN7rocprim17ROCPRIM_400000_NS6detail17trampoline_kernelINS0_14default_configENS1_25partition_config_selectorILNS1_17partition_subalgoE8ElNS0_10empty_typeEbEEZZNS1_14partition_implILS5_8ELb0ES3_jPlPS6_PKS6_NS0_5tupleIJS9_S6_EEENSD_IJSA_SA_EEENS0_18inequality_wrapperIZN2at6native12_GLOBAL__N_124unique_dim_cuda_templateIsEESt5tupleIJNSH_6TensorESM_SM_EERKSM_lbbbEUlllE0_EEPmJS6_EEE10hipError_tPvRmT3_T4_T5_T6_T7_T9_mT8_P12ihipStream_tbDpT10_ENKUlT_T0_E_clISt17integral_constantIbLb0EES1C_EEDaS17_S18_EUlS17_E_NS1_11comp_targetILNS1_3genE8ELNS1_11target_archE1030ELNS1_3gpuE2ELNS1_3repE0EEENS1_30default_config_static_selectorELNS0_4arch9wavefront6targetE1EEEvT1_
    .private_segment_fixed_size: 0
    .sgpr_count:     4
    .sgpr_spill_count: 0
    .symbol:         _ZN7rocprim17ROCPRIM_400000_NS6detail17trampoline_kernelINS0_14default_configENS1_25partition_config_selectorILNS1_17partition_subalgoE8ElNS0_10empty_typeEbEEZZNS1_14partition_implILS5_8ELb0ES3_jPlPS6_PKS6_NS0_5tupleIJS9_S6_EEENSD_IJSA_SA_EEENS0_18inequality_wrapperIZN2at6native12_GLOBAL__N_124unique_dim_cuda_templateIsEESt5tupleIJNSH_6TensorESM_SM_EERKSM_lbbbEUlllE0_EEPmJS6_EEE10hipError_tPvRmT3_T4_T5_T6_T7_T9_mT8_P12ihipStream_tbDpT10_ENKUlT_T0_E_clISt17integral_constantIbLb0EES1C_EEDaS17_S18_EUlS17_E_NS1_11comp_targetILNS1_3genE8ELNS1_11target_archE1030ELNS1_3gpuE2ELNS1_3repE0EEENS1_30default_config_static_selectorELNS0_4arch9wavefront6targetE1EEEvT1_.kd
    .uniform_work_group_size: 1
    .uses_dynamic_stack: false
    .vgpr_count:     0
    .vgpr_spill_count: 0
    .wavefront_size: 64
  - .agpr_count:     0
    .args:
      - .offset:         0
        .size:           136
        .value_kind:     by_value
    .group_segment_fixed_size: 0
    .kernarg_segment_align: 8
    .kernarg_segment_size: 136
    .language:       OpenCL C
    .language_version:
      - 2
      - 0
    .max_flat_workgroup_size: 512
    .name:           _ZN7rocprim17ROCPRIM_400000_NS6detail17trampoline_kernelINS0_14default_configENS1_25partition_config_selectorILNS1_17partition_subalgoE8ElNS0_10empty_typeEbEEZZNS1_14partition_implILS5_8ELb0ES3_jPlPS6_PKS6_NS0_5tupleIJS9_S6_EEENSD_IJSA_SA_EEENS0_18inequality_wrapperIZN2at6native12_GLOBAL__N_124unique_dim_cuda_templateIsEESt5tupleIJNSH_6TensorESM_SM_EERKSM_lbbbEUlllE0_EEPmJS6_EEE10hipError_tPvRmT3_T4_T5_T6_T7_T9_mT8_P12ihipStream_tbDpT10_ENKUlT_T0_E_clISt17integral_constantIbLb1EES1C_EEDaS17_S18_EUlS17_E_NS1_11comp_targetILNS1_3genE0ELNS1_11target_archE4294967295ELNS1_3gpuE0ELNS1_3repE0EEENS1_30default_config_static_selectorELNS0_4arch9wavefront6targetE1EEEvT1_
    .private_segment_fixed_size: 0
    .sgpr_count:     4
    .sgpr_spill_count: 0
    .symbol:         _ZN7rocprim17ROCPRIM_400000_NS6detail17trampoline_kernelINS0_14default_configENS1_25partition_config_selectorILNS1_17partition_subalgoE8ElNS0_10empty_typeEbEEZZNS1_14partition_implILS5_8ELb0ES3_jPlPS6_PKS6_NS0_5tupleIJS9_S6_EEENSD_IJSA_SA_EEENS0_18inequality_wrapperIZN2at6native12_GLOBAL__N_124unique_dim_cuda_templateIsEESt5tupleIJNSH_6TensorESM_SM_EERKSM_lbbbEUlllE0_EEPmJS6_EEE10hipError_tPvRmT3_T4_T5_T6_T7_T9_mT8_P12ihipStream_tbDpT10_ENKUlT_T0_E_clISt17integral_constantIbLb1EES1C_EEDaS17_S18_EUlS17_E_NS1_11comp_targetILNS1_3genE0ELNS1_11target_archE4294967295ELNS1_3gpuE0ELNS1_3repE0EEENS1_30default_config_static_selectorELNS0_4arch9wavefront6targetE1EEEvT1_.kd
    .uniform_work_group_size: 1
    .uses_dynamic_stack: false
    .vgpr_count:     0
    .vgpr_spill_count: 0
    .wavefront_size: 64
  - .agpr_count:     0
    .args:
      - .offset:         0
        .size:           136
        .value_kind:     by_value
    .group_segment_fixed_size: 0
    .kernarg_segment_align: 8
    .kernarg_segment_size: 136
    .language:       OpenCL C
    .language_version:
      - 2
      - 0
    .max_flat_workgroup_size: 512
    .name:           _ZN7rocprim17ROCPRIM_400000_NS6detail17trampoline_kernelINS0_14default_configENS1_25partition_config_selectorILNS1_17partition_subalgoE8ElNS0_10empty_typeEbEEZZNS1_14partition_implILS5_8ELb0ES3_jPlPS6_PKS6_NS0_5tupleIJS9_S6_EEENSD_IJSA_SA_EEENS0_18inequality_wrapperIZN2at6native12_GLOBAL__N_124unique_dim_cuda_templateIsEESt5tupleIJNSH_6TensorESM_SM_EERKSM_lbbbEUlllE0_EEPmJS6_EEE10hipError_tPvRmT3_T4_T5_T6_T7_T9_mT8_P12ihipStream_tbDpT10_ENKUlT_T0_E_clISt17integral_constantIbLb1EES1C_EEDaS17_S18_EUlS17_E_NS1_11comp_targetILNS1_3genE5ELNS1_11target_archE942ELNS1_3gpuE9ELNS1_3repE0EEENS1_30default_config_static_selectorELNS0_4arch9wavefront6targetE1EEEvT1_
    .private_segment_fixed_size: 0
    .sgpr_count:     4
    .sgpr_spill_count: 0
    .symbol:         _ZN7rocprim17ROCPRIM_400000_NS6detail17trampoline_kernelINS0_14default_configENS1_25partition_config_selectorILNS1_17partition_subalgoE8ElNS0_10empty_typeEbEEZZNS1_14partition_implILS5_8ELb0ES3_jPlPS6_PKS6_NS0_5tupleIJS9_S6_EEENSD_IJSA_SA_EEENS0_18inequality_wrapperIZN2at6native12_GLOBAL__N_124unique_dim_cuda_templateIsEESt5tupleIJNSH_6TensorESM_SM_EERKSM_lbbbEUlllE0_EEPmJS6_EEE10hipError_tPvRmT3_T4_T5_T6_T7_T9_mT8_P12ihipStream_tbDpT10_ENKUlT_T0_E_clISt17integral_constantIbLb1EES1C_EEDaS17_S18_EUlS17_E_NS1_11comp_targetILNS1_3genE5ELNS1_11target_archE942ELNS1_3gpuE9ELNS1_3repE0EEENS1_30default_config_static_selectorELNS0_4arch9wavefront6targetE1EEEvT1_.kd
    .uniform_work_group_size: 1
    .uses_dynamic_stack: false
    .vgpr_count:     0
    .vgpr_spill_count: 0
    .wavefront_size: 64
  - .agpr_count:     0
    .args:
      - .offset:         0
        .size:           136
        .value_kind:     by_value
    .group_segment_fixed_size: 10252
    .kernarg_segment_align: 8
    .kernarg_segment_size: 136
    .language:       OpenCL C
    .language_version:
      - 2
      - 0
    .max_flat_workgroup_size: 256
    .name:           _ZN7rocprim17ROCPRIM_400000_NS6detail17trampoline_kernelINS0_14default_configENS1_25partition_config_selectorILNS1_17partition_subalgoE8ElNS0_10empty_typeEbEEZZNS1_14partition_implILS5_8ELb0ES3_jPlPS6_PKS6_NS0_5tupleIJS9_S6_EEENSD_IJSA_SA_EEENS0_18inequality_wrapperIZN2at6native12_GLOBAL__N_124unique_dim_cuda_templateIsEESt5tupleIJNSH_6TensorESM_SM_EERKSM_lbbbEUlllE0_EEPmJS6_EEE10hipError_tPvRmT3_T4_T5_T6_T7_T9_mT8_P12ihipStream_tbDpT10_ENKUlT_T0_E_clISt17integral_constantIbLb1EES1C_EEDaS17_S18_EUlS17_E_NS1_11comp_targetILNS1_3genE4ELNS1_11target_archE910ELNS1_3gpuE8ELNS1_3repE0EEENS1_30default_config_static_selectorELNS0_4arch9wavefront6targetE1EEEvT1_
    .private_segment_fixed_size: 0
    .sgpr_count:     56
    .sgpr_spill_count: 0
    .symbol:         _ZN7rocprim17ROCPRIM_400000_NS6detail17trampoline_kernelINS0_14default_configENS1_25partition_config_selectorILNS1_17partition_subalgoE8ElNS0_10empty_typeEbEEZZNS1_14partition_implILS5_8ELb0ES3_jPlPS6_PKS6_NS0_5tupleIJS9_S6_EEENSD_IJSA_SA_EEENS0_18inequality_wrapperIZN2at6native12_GLOBAL__N_124unique_dim_cuda_templateIsEESt5tupleIJNSH_6TensorESM_SM_EERKSM_lbbbEUlllE0_EEPmJS6_EEE10hipError_tPvRmT3_T4_T5_T6_T7_T9_mT8_P12ihipStream_tbDpT10_ENKUlT_T0_E_clISt17integral_constantIbLb1EES1C_EEDaS17_S18_EUlS17_E_NS1_11comp_targetILNS1_3genE4ELNS1_11target_archE910ELNS1_3gpuE8ELNS1_3repE0EEENS1_30default_config_static_selectorELNS0_4arch9wavefront6targetE1EEEvT1_.kd
    .uniform_work_group_size: 1
    .uses_dynamic_stack: false
    .vgpr_count:     46
    .vgpr_spill_count: 0
    .wavefront_size: 64
  - .agpr_count:     0
    .args:
      - .offset:         0
        .size:           136
        .value_kind:     by_value
    .group_segment_fixed_size: 0
    .kernarg_segment_align: 8
    .kernarg_segment_size: 136
    .language:       OpenCL C
    .language_version:
      - 2
      - 0
    .max_flat_workgroup_size: 512
    .name:           _ZN7rocprim17ROCPRIM_400000_NS6detail17trampoline_kernelINS0_14default_configENS1_25partition_config_selectorILNS1_17partition_subalgoE8ElNS0_10empty_typeEbEEZZNS1_14partition_implILS5_8ELb0ES3_jPlPS6_PKS6_NS0_5tupleIJS9_S6_EEENSD_IJSA_SA_EEENS0_18inequality_wrapperIZN2at6native12_GLOBAL__N_124unique_dim_cuda_templateIsEESt5tupleIJNSH_6TensorESM_SM_EERKSM_lbbbEUlllE0_EEPmJS6_EEE10hipError_tPvRmT3_T4_T5_T6_T7_T9_mT8_P12ihipStream_tbDpT10_ENKUlT_T0_E_clISt17integral_constantIbLb1EES1C_EEDaS17_S18_EUlS17_E_NS1_11comp_targetILNS1_3genE3ELNS1_11target_archE908ELNS1_3gpuE7ELNS1_3repE0EEENS1_30default_config_static_selectorELNS0_4arch9wavefront6targetE1EEEvT1_
    .private_segment_fixed_size: 0
    .sgpr_count:     4
    .sgpr_spill_count: 0
    .symbol:         _ZN7rocprim17ROCPRIM_400000_NS6detail17trampoline_kernelINS0_14default_configENS1_25partition_config_selectorILNS1_17partition_subalgoE8ElNS0_10empty_typeEbEEZZNS1_14partition_implILS5_8ELb0ES3_jPlPS6_PKS6_NS0_5tupleIJS9_S6_EEENSD_IJSA_SA_EEENS0_18inequality_wrapperIZN2at6native12_GLOBAL__N_124unique_dim_cuda_templateIsEESt5tupleIJNSH_6TensorESM_SM_EERKSM_lbbbEUlllE0_EEPmJS6_EEE10hipError_tPvRmT3_T4_T5_T6_T7_T9_mT8_P12ihipStream_tbDpT10_ENKUlT_T0_E_clISt17integral_constantIbLb1EES1C_EEDaS17_S18_EUlS17_E_NS1_11comp_targetILNS1_3genE3ELNS1_11target_archE908ELNS1_3gpuE7ELNS1_3repE0EEENS1_30default_config_static_selectorELNS0_4arch9wavefront6targetE1EEEvT1_.kd
    .uniform_work_group_size: 1
    .uses_dynamic_stack: false
    .vgpr_count:     0
    .vgpr_spill_count: 0
    .wavefront_size: 64
  - .agpr_count:     0
    .args:
      - .offset:         0
        .size:           136
        .value_kind:     by_value
    .group_segment_fixed_size: 0
    .kernarg_segment_align: 8
    .kernarg_segment_size: 136
    .language:       OpenCL C
    .language_version:
      - 2
      - 0
    .max_flat_workgroup_size: 256
    .name:           _ZN7rocprim17ROCPRIM_400000_NS6detail17trampoline_kernelINS0_14default_configENS1_25partition_config_selectorILNS1_17partition_subalgoE8ElNS0_10empty_typeEbEEZZNS1_14partition_implILS5_8ELb0ES3_jPlPS6_PKS6_NS0_5tupleIJS9_S6_EEENSD_IJSA_SA_EEENS0_18inequality_wrapperIZN2at6native12_GLOBAL__N_124unique_dim_cuda_templateIsEESt5tupleIJNSH_6TensorESM_SM_EERKSM_lbbbEUlllE0_EEPmJS6_EEE10hipError_tPvRmT3_T4_T5_T6_T7_T9_mT8_P12ihipStream_tbDpT10_ENKUlT_T0_E_clISt17integral_constantIbLb1EES1C_EEDaS17_S18_EUlS17_E_NS1_11comp_targetILNS1_3genE2ELNS1_11target_archE906ELNS1_3gpuE6ELNS1_3repE0EEENS1_30default_config_static_selectorELNS0_4arch9wavefront6targetE1EEEvT1_
    .private_segment_fixed_size: 0
    .sgpr_count:     4
    .sgpr_spill_count: 0
    .symbol:         _ZN7rocprim17ROCPRIM_400000_NS6detail17trampoline_kernelINS0_14default_configENS1_25partition_config_selectorILNS1_17partition_subalgoE8ElNS0_10empty_typeEbEEZZNS1_14partition_implILS5_8ELb0ES3_jPlPS6_PKS6_NS0_5tupleIJS9_S6_EEENSD_IJSA_SA_EEENS0_18inequality_wrapperIZN2at6native12_GLOBAL__N_124unique_dim_cuda_templateIsEESt5tupleIJNSH_6TensorESM_SM_EERKSM_lbbbEUlllE0_EEPmJS6_EEE10hipError_tPvRmT3_T4_T5_T6_T7_T9_mT8_P12ihipStream_tbDpT10_ENKUlT_T0_E_clISt17integral_constantIbLb1EES1C_EEDaS17_S18_EUlS17_E_NS1_11comp_targetILNS1_3genE2ELNS1_11target_archE906ELNS1_3gpuE6ELNS1_3repE0EEENS1_30default_config_static_selectorELNS0_4arch9wavefront6targetE1EEEvT1_.kd
    .uniform_work_group_size: 1
    .uses_dynamic_stack: false
    .vgpr_count:     0
    .vgpr_spill_count: 0
    .wavefront_size: 64
  - .agpr_count:     0
    .args:
      - .offset:         0
        .size:           136
        .value_kind:     by_value
    .group_segment_fixed_size: 0
    .kernarg_segment_align: 8
    .kernarg_segment_size: 136
    .language:       OpenCL C
    .language_version:
      - 2
      - 0
    .max_flat_workgroup_size: 384
    .name:           _ZN7rocprim17ROCPRIM_400000_NS6detail17trampoline_kernelINS0_14default_configENS1_25partition_config_selectorILNS1_17partition_subalgoE8ElNS0_10empty_typeEbEEZZNS1_14partition_implILS5_8ELb0ES3_jPlPS6_PKS6_NS0_5tupleIJS9_S6_EEENSD_IJSA_SA_EEENS0_18inequality_wrapperIZN2at6native12_GLOBAL__N_124unique_dim_cuda_templateIsEESt5tupleIJNSH_6TensorESM_SM_EERKSM_lbbbEUlllE0_EEPmJS6_EEE10hipError_tPvRmT3_T4_T5_T6_T7_T9_mT8_P12ihipStream_tbDpT10_ENKUlT_T0_E_clISt17integral_constantIbLb1EES1C_EEDaS17_S18_EUlS17_E_NS1_11comp_targetILNS1_3genE10ELNS1_11target_archE1200ELNS1_3gpuE4ELNS1_3repE0EEENS1_30default_config_static_selectorELNS0_4arch9wavefront6targetE1EEEvT1_
    .private_segment_fixed_size: 0
    .sgpr_count:     4
    .sgpr_spill_count: 0
    .symbol:         _ZN7rocprim17ROCPRIM_400000_NS6detail17trampoline_kernelINS0_14default_configENS1_25partition_config_selectorILNS1_17partition_subalgoE8ElNS0_10empty_typeEbEEZZNS1_14partition_implILS5_8ELb0ES3_jPlPS6_PKS6_NS0_5tupleIJS9_S6_EEENSD_IJSA_SA_EEENS0_18inequality_wrapperIZN2at6native12_GLOBAL__N_124unique_dim_cuda_templateIsEESt5tupleIJNSH_6TensorESM_SM_EERKSM_lbbbEUlllE0_EEPmJS6_EEE10hipError_tPvRmT3_T4_T5_T6_T7_T9_mT8_P12ihipStream_tbDpT10_ENKUlT_T0_E_clISt17integral_constantIbLb1EES1C_EEDaS17_S18_EUlS17_E_NS1_11comp_targetILNS1_3genE10ELNS1_11target_archE1200ELNS1_3gpuE4ELNS1_3repE0EEENS1_30default_config_static_selectorELNS0_4arch9wavefront6targetE1EEEvT1_.kd
    .uniform_work_group_size: 1
    .uses_dynamic_stack: false
    .vgpr_count:     0
    .vgpr_spill_count: 0
    .wavefront_size: 64
  - .agpr_count:     0
    .args:
      - .offset:         0
        .size:           136
        .value_kind:     by_value
    .group_segment_fixed_size: 0
    .kernarg_segment_align: 8
    .kernarg_segment_size: 136
    .language:       OpenCL C
    .language_version:
      - 2
      - 0
    .max_flat_workgroup_size: 512
    .name:           _ZN7rocprim17ROCPRIM_400000_NS6detail17trampoline_kernelINS0_14default_configENS1_25partition_config_selectorILNS1_17partition_subalgoE8ElNS0_10empty_typeEbEEZZNS1_14partition_implILS5_8ELb0ES3_jPlPS6_PKS6_NS0_5tupleIJS9_S6_EEENSD_IJSA_SA_EEENS0_18inequality_wrapperIZN2at6native12_GLOBAL__N_124unique_dim_cuda_templateIsEESt5tupleIJNSH_6TensorESM_SM_EERKSM_lbbbEUlllE0_EEPmJS6_EEE10hipError_tPvRmT3_T4_T5_T6_T7_T9_mT8_P12ihipStream_tbDpT10_ENKUlT_T0_E_clISt17integral_constantIbLb1EES1C_EEDaS17_S18_EUlS17_E_NS1_11comp_targetILNS1_3genE9ELNS1_11target_archE1100ELNS1_3gpuE3ELNS1_3repE0EEENS1_30default_config_static_selectorELNS0_4arch9wavefront6targetE1EEEvT1_
    .private_segment_fixed_size: 0
    .sgpr_count:     4
    .sgpr_spill_count: 0
    .symbol:         _ZN7rocprim17ROCPRIM_400000_NS6detail17trampoline_kernelINS0_14default_configENS1_25partition_config_selectorILNS1_17partition_subalgoE8ElNS0_10empty_typeEbEEZZNS1_14partition_implILS5_8ELb0ES3_jPlPS6_PKS6_NS0_5tupleIJS9_S6_EEENSD_IJSA_SA_EEENS0_18inequality_wrapperIZN2at6native12_GLOBAL__N_124unique_dim_cuda_templateIsEESt5tupleIJNSH_6TensorESM_SM_EERKSM_lbbbEUlllE0_EEPmJS6_EEE10hipError_tPvRmT3_T4_T5_T6_T7_T9_mT8_P12ihipStream_tbDpT10_ENKUlT_T0_E_clISt17integral_constantIbLb1EES1C_EEDaS17_S18_EUlS17_E_NS1_11comp_targetILNS1_3genE9ELNS1_11target_archE1100ELNS1_3gpuE3ELNS1_3repE0EEENS1_30default_config_static_selectorELNS0_4arch9wavefront6targetE1EEEvT1_.kd
    .uniform_work_group_size: 1
    .uses_dynamic_stack: false
    .vgpr_count:     0
    .vgpr_spill_count: 0
    .wavefront_size: 64
  - .agpr_count:     0
    .args:
      - .offset:         0
        .size:           136
        .value_kind:     by_value
    .group_segment_fixed_size: 0
    .kernarg_segment_align: 8
    .kernarg_segment_size: 136
    .language:       OpenCL C
    .language_version:
      - 2
      - 0
    .max_flat_workgroup_size: 512
    .name:           _ZN7rocprim17ROCPRIM_400000_NS6detail17trampoline_kernelINS0_14default_configENS1_25partition_config_selectorILNS1_17partition_subalgoE8ElNS0_10empty_typeEbEEZZNS1_14partition_implILS5_8ELb0ES3_jPlPS6_PKS6_NS0_5tupleIJS9_S6_EEENSD_IJSA_SA_EEENS0_18inequality_wrapperIZN2at6native12_GLOBAL__N_124unique_dim_cuda_templateIsEESt5tupleIJNSH_6TensorESM_SM_EERKSM_lbbbEUlllE0_EEPmJS6_EEE10hipError_tPvRmT3_T4_T5_T6_T7_T9_mT8_P12ihipStream_tbDpT10_ENKUlT_T0_E_clISt17integral_constantIbLb1EES1C_EEDaS17_S18_EUlS17_E_NS1_11comp_targetILNS1_3genE8ELNS1_11target_archE1030ELNS1_3gpuE2ELNS1_3repE0EEENS1_30default_config_static_selectorELNS0_4arch9wavefront6targetE1EEEvT1_
    .private_segment_fixed_size: 0
    .sgpr_count:     4
    .sgpr_spill_count: 0
    .symbol:         _ZN7rocprim17ROCPRIM_400000_NS6detail17trampoline_kernelINS0_14default_configENS1_25partition_config_selectorILNS1_17partition_subalgoE8ElNS0_10empty_typeEbEEZZNS1_14partition_implILS5_8ELb0ES3_jPlPS6_PKS6_NS0_5tupleIJS9_S6_EEENSD_IJSA_SA_EEENS0_18inequality_wrapperIZN2at6native12_GLOBAL__N_124unique_dim_cuda_templateIsEESt5tupleIJNSH_6TensorESM_SM_EERKSM_lbbbEUlllE0_EEPmJS6_EEE10hipError_tPvRmT3_T4_T5_T6_T7_T9_mT8_P12ihipStream_tbDpT10_ENKUlT_T0_E_clISt17integral_constantIbLb1EES1C_EEDaS17_S18_EUlS17_E_NS1_11comp_targetILNS1_3genE8ELNS1_11target_archE1030ELNS1_3gpuE2ELNS1_3repE0EEENS1_30default_config_static_selectorELNS0_4arch9wavefront6targetE1EEEvT1_.kd
    .uniform_work_group_size: 1
    .uses_dynamic_stack: false
    .vgpr_count:     0
    .vgpr_spill_count: 0
    .wavefront_size: 64
  - .agpr_count:     0
    .args:
      - .offset:         0
        .size:           120
        .value_kind:     by_value
    .group_segment_fixed_size: 0
    .kernarg_segment_align: 8
    .kernarg_segment_size: 120
    .language:       OpenCL C
    .language_version:
      - 2
      - 0
    .max_flat_workgroup_size: 512
    .name:           _ZN7rocprim17ROCPRIM_400000_NS6detail17trampoline_kernelINS0_14default_configENS1_25partition_config_selectorILNS1_17partition_subalgoE8ElNS0_10empty_typeEbEEZZNS1_14partition_implILS5_8ELb0ES3_jPlPS6_PKS6_NS0_5tupleIJS9_S6_EEENSD_IJSA_SA_EEENS0_18inequality_wrapperIZN2at6native12_GLOBAL__N_124unique_dim_cuda_templateIsEESt5tupleIJNSH_6TensorESM_SM_EERKSM_lbbbEUlllE0_EEPmJS6_EEE10hipError_tPvRmT3_T4_T5_T6_T7_T9_mT8_P12ihipStream_tbDpT10_ENKUlT_T0_E_clISt17integral_constantIbLb1EES1B_IbLb0EEEEDaS17_S18_EUlS17_E_NS1_11comp_targetILNS1_3genE0ELNS1_11target_archE4294967295ELNS1_3gpuE0ELNS1_3repE0EEENS1_30default_config_static_selectorELNS0_4arch9wavefront6targetE1EEEvT1_
    .private_segment_fixed_size: 0
    .sgpr_count:     4
    .sgpr_spill_count: 0
    .symbol:         _ZN7rocprim17ROCPRIM_400000_NS6detail17trampoline_kernelINS0_14default_configENS1_25partition_config_selectorILNS1_17partition_subalgoE8ElNS0_10empty_typeEbEEZZNS1_14partition_implILS5_8ELb0ES3_jPlPS6_PKS6_NS0_5tupleIJS9_S6_EEENSD_IJSA_SA_EEENS0_18inequality_wrapperIZN2at6native12_GLOBAL__N_124unique_dim_cuda_templateIsEESt5tupleIJNSH_6TensorESM_SM_EERKSM_lbbbEUlllE0_EEPmJS6_EEE10hipError_tPvRmT3_T4_T5_T6_T7_T9_mT8_P12ihipStream_tbDpT10_ENKUlT_T0_E_clISt17integral_constantIbLb1EES1B_IbLb0EEEEDaS17_S18_EUlS17_E_NS1_11comp_targetILNS1_3genE0ELNS1_11target_archE4294967295ELNS1_3gpuE0ELNS1_3repE0EEENS1_30default_config_static_selectorELNS0_4arch9wavefront6targetE1EEEvT1_.kd
    .uniform_work_group_size: 1
    .uses_dynamic_stack: false
    .vgpr_count:     0
    .vgpr_spill_count: 0
    .wavefront_size: 64
  - .agpr_count:     0
    .args:
      - .offset:         0
        .size:           120
        .value_kind:     by_value
    .group_segment_fixed_size: 0
    .kernarg_segment_align: 8
    .kernarg_segment_size: 120
    .language:       OpenCL C
    .language_version:
      - 2
      - 0
    .max_flat_workgroup_size: 512
    .name:           _ZN7rocprim17ROCPRIM_400000_NS6detail17trampoline_kernelINS0_14default_configENS1_25partition_config_selectorILNS1_17partition_subalgoE8ElNS0_10empty_typeEbEEZZNS1_14partition_implILS5_8ELb0ES3_jPlPS6_PKS6_NS0_5tupleIJS9_S6_EEENSD_IJSA_SA_EEENS0_18inequality_wrapperIZN2at6native12_GLOBAL__N_124unique_dim_cuda_templateIsEESt5tupleIJNSH_6TensorESM_SM_EERKSM_lbbbEUlllE0_EEPmJS6_EEE10hipError_tPvRmT3_T4_T5_T6_T7_T9_mT8_P12ihipStream_tbDpT10_ENKUlT_T0_E_clISt17integral_constantIbLb1EES1B_IbLb0EEEEDaS17_S18_EUlS17_E_NS1_11comp_targetILNS1_3genE5ELNS1_11target_archE942ELNS1_3gpuE9ELNS1_3repE0EEENS1_30default_config_static_selectorELNS0_4arch9wavefront6targetE1EEEvT1_
    .private_segment_fixed_size: 0
    .sgpr_count:     4
    .sgpr_spill_count: 0
    .symbol:         _ZN7rocprim17ROCPRIM_400000_NS6detail17trampoline_kernelINS0_14default_configENS1_25partition_config_selectorILNS1_17partition_subalgoE8ElNS0_10empty_typeEbEEZZNS1_14partition_implILS5_8ELb0ES3_jPlPS6_PKS6_NS0_5tupleIJS9_S6_EEENSD_IJSA_SA_EEENS0_18inequality_wrapperIZN2at6native12_GLOBAL__N_124unique_dim_cuda_templateIsEESt5tupleIJNSH_6TensorESM_SM_EERKSM_lbbbEUlllE0_EEPmJS6_EEE10hipError_tPvRmT3_T4_T5_T6_T7_T9_mT8_P12ihipStream_tbDpT10_ENKUlT_T0_E_clISt17integral_constantIbLb1EES1B_IbLb0EEEEDaS17_S18_EUlS17_E_NS1_11comp_targetILNS1_3genE5ELNS1_11target_archE942ELNS1_3gpuE9ELNS1_3repE0EEENS1_30default_config_static_selectorELNS0_4arch9wavefront6targetE1EEEvT1_.kd
    .uniform_work_group_size: 1
    .uses_dynamic_stack: false
    .vgpr_count:     0
    .vgpr_spill_count: 0
    .wavefront_size: 64
  - .agpr_count:     0
    .args:
      - .offset:         0
        .size:           120
        .value_kind:     by_value
    .group_segment_fixed_size: 10252
    .kernarg_segment_align: 8
    .kernarg_segment_size: 120
    .language:       OpenCL C
    .language_version:
      - 2
      - 0
    .max_flat_workgroup_size: 256
    .name:           _ZN7rocprim17ROCPRIM_400000_NS6detail17trampoline_kernelINS0_14default_configENS1_25partition_config_selectorILNS1_17partition_subalgoE8ElNS0_10empty_typeEbEEZZNS1_14partition_implILS5_8ELb0ES3_jPlPS6_PKS6_NS0_5tupleIJS9_S6_EEENSD_IJSA_SA_EEENS0_18inequality_wrapperIZN2at6native12_GLOBAL__N_124unique_dim_cuda_templateIsEESt5tupleIJNSH_6TensorESM_SM_EERKSM_lbbbEUlllE0_EEPmJS6_EEE10hipError_tPvRmT3_T4_T5_T6_T7_T9_mT8_P12ihipStream_tbDpT10_ENKUlT_T0_E_clISt17integral_constantIbLb1EES1B_IbLb0EEEEDaS17_S18_EUlS17_E_NS1_11comp_targetILNS1_3genE4ELNS1_11target_archE910ELNS1_3gpuE8ELNS1_3repE0EEENS1_30default_config_static_selectorELNS0_4arch9wavefront6targetE1EEEvT1_
    .private_segment_fixed_size: 0
    .sgpr_count:     52
    .sgpr_spill_count: 0
    .symbol:         _ZN7rocprim17ROCPRIM_400000_NS6detail17trampoline_kernelINS0_14default_configENS1_25partition_config_selectorILNS1_17partition_subalgoE8ElNS0_10empty_typeEbEEZZNS1_14partition_implILS5_8ELb0ES3_jPlPS6_PKS6_NS0_5tupleIJS9_S6_EEENSD_IJSA_SA_EEENS0_18inequality_wrapperIZN2at6native12_GLOBAL__N_124unique_dim_cuda_templateIsEESt5tupleIJNSH_6TensorESM_SM_EERKSM_lbbbEUlllE0_EEPmJS6_EEE10hipError_tPvRmT3_T4_T5_T6_T7_T9_mT8_P12ihipStream_tbDpT10_ENKUlT_T0_E_clISt17integral_constantIbLb1EES1B_IbLb0EEEEDaS17_S18_EUlS17_E_NS1_11comp_targetILNS1_3genE4ELNS1_11target_archE910ELNS1_3gpuE8ELNS1_3repE0EEENS1_30default_config_static_selectorELNS0_4arch9wavefront6targetE1EEEvT1_.kd
    .uniform_work_group_size: 1
    .uses_dynamic_stack: false
    .vgpr_count:     46
    .vgpr_spill_count: 0
    .wavefront_size: 64
  - .agpr_count:     0
    .args:
      - .offset:         0
        .size:           120
        .value_kind:     by_value
    .group_segment_fixed_size: 0
    .kernarg_segment_align: 8
    .kernarg_segment_size: 120
    .language:       OpenCL C
    .language_version:
      - 2
      - 0
    .max_flat_workgroup_size: 512
    .name:           _ZN7rocprim17ROCPRIM_400000_NS6detail17trampoline_kernelINS0_14default_configENS1_25partition_config_selectorILNS1_17partition_subalgoE8ElNS0_10empty_typeEbEEZZNS1_14partition_implILS5_8ELb0ES3_jPlPS6_PKS6_NS0_5tupleIJS9_S6_EEENSD_IJSA_SA_EEENS0_18inequality_wrapperIZN2at6native12_GLOBAL__N_124unique_dim_cuda_templateIsEESt5tupleIJNSH_6TensorESM_SM_EERKSM_lbbbEUlllE0_EEPmJS6_EEE10hipError_tPvRmT3_T4_T5_T6_T7_T9_mT8_P12ihipStream_tbDpT10_ENKUlT_T0_E_clISt17integral_constantIbLb1EES1B_IbLb0EEEEDaS17_S18_EUlS17_E_NS1_11comp_targetILNS1_3genE3ELNS1_11target_archE908ELNS1_3gpuE7ELNS1_3repE0EEENS1_30default_config_static_selectorELNS0_4arch9wavefront6targetE1EEEvT1_
    .private_segment_fixed_size: 0
    .sgpr_count:     4
    .sgpr_spill_count: 0
    .symbol:         _ZN7rocprim17ROCPRIM_400000_NS6detail17trampoline_kernelINS0_14default_configENS1_25partition_config_selectorILNS1_17partition_subalgoE8ElNS0_10empty_typeEbEEZZNS1_14partition_implILS5_8ELb0ES3_jPlPS6_PKS6_NS0_5tupleIJS9_S6_EEENSD_IJSA_SA_EEENS0_18inequality_wrapperIZN2at6native12_GLOBAL__N_124unique_dim_cuda_templateIsEESt5tupleIJNSH_6TensorESM_SM_EERKSM_lbbbEUlllE0_EEPmJS6_EEE10hipError_tPvRmT3_T4_T5_T6_T7_T9_mT8_P12ihipStream_tbDpT10_ENKUlT_T0_E_clISt17integral_constantIbLb1EES1B_IbLb0EEEEDaS17_S18_EUlS17_E_NS1_11comp_targetILNS1_3genE3ELNS1_11target_archE908ELNS1_3gpuE7ELNS1_3repE0EEENS1_30default_config_static_selectorELNS0_4arch9wavefront6targetE1EEEvT1_.kd
    .uniform_work_group_size: 1
    .uses_dynamic_stack: false
    .vgpr_count:     0
    .vgpr_spill_count: 0
    .wavefront_size: 64
  - .agpr_count:     0
    .args:
      - .offset:         0
        .size:           120
        .value_kind:     by_value
    .group_segment_fixed_size: 0
    .kernarg_segment_align: 8
    .kernarg_segment_size: 120
    .language:       OpenCL C
    .language_version:
      - 2
      - 0
    .max_flat_workgroup_size: 256
    .name:           _ZN7rocprim17ROCPRIM_400000_NS6detail17trampoline_kernelINS0_14default_configENS1_25partition_config_selectorILNS1_17partition_subalgoE8ElNS0_10empty_typeEbEEZZNS1_14partition_implILS5_8ELb0ES3_jPlPS6_PKS6_NS0_5tupleIJS9_S6_EEENSD_IJSA_SA_EEENS0_18inequality_wrapperIZN2at6native12_GLOBAL__N_124unique_dim_cuda_templateIsEESt5tupleIJNSH_6TensorESM_SM_EERKSM_lbbbEUlllE0_EEPmJS6_EEE10hipError_tPvRmT3_T4_T5_T6_T7_T9_mT8_P12ihipStream_tbDpT10_ENKUlT_T0_E_clISt17integral_constantIbLb1EES1B_IbLb0EEEEDaS17_S18_EUlS17_E_NS1_11comp_targetILNS1_3genE2ELNS1_11target_archE906ELNS1_3gpuE6ELNS1_3repE0EEENS1_30default_config_static_selectorELNS0_4arch9wavefront6targetE1EEEvT1_
    .private_segment_fixed_size: 0
    .sgpr_count:     4
    .sgpr_spill_count: 0
    .symbol:         _ZN7rocprim17ROCPRIM_400000_NS6detail17trampoline_kernelINS0_14default_configENS1_25partition_config_selectorILNS1_17partition_subalgoE8ElNS0_10empty_typeEbEEZZNS1_14partition_implILS5_8ELb0ES3_jPlPS6_PKS6_NS0_5tupleIJS9_S6_EEENSD_IJSA_SA_EEENS0_18inequality_wrapperIZN2at6native12_GLOBAL__N_124unique_dim_cuda_templateIsEESt5tupleIJNSH_6TensorESM_SM_EERKSM_lbbbEUlllE0_EEPmJS6_EEE10hipError_tPvRmT3_T4_T5_T6_T7_T9_mT8_P12ihipStream_tbDpT10_ENKUlT_T0_E_clISt17integral_constantIbLb1EES1B_IbLb0EEEEDaS17_S18_EUlS17_E_NS1_11comp_targetILNS1_3genE2ELNS1_11target_archE906ELNS1_3gpuE6ELNS1_3repE0EEENS1_30default_config_static_selectorELNS0_4arch9wavefront6targetE1EEEvT1_.kd
    .uniform_work_group_size: 1
    .uses_dynamic_stack: false
    .vgpr_count:     0
    .vgpr_spill_count: 0
    .wavefront_size: 64
  - .agpr_count:     0
    .args:
      - .offset:         0
        .size:           120
        .value_kind:     by_value
    .group_segment_fixed_size: 0
    .kernarg_segment_align: 8
    .kernarg_segment_size: 120
    .language:       OpenCL C
    .language_version:
      - 2
      - 0
    .max_flat_workgroup_size: 384
    .name:           _ZN7rocprim17ROCPRIM_400000_NS6detail17trampoline_kernelINS0_14default_configENS1_25partition_config_selectorILNS1_17partition_subalgoE8ElNS0_10empty_typeEbEEZZNS1_14partition_implILS5_8ELb0ES3_jPlPS6_PKS6_NS0_5tupleIJS9_S6_EEENSD_IJSA_SA_EEENS0_18inequality_wrapperIZN2at6native12_GLOBAL__N_124unique_dim_cuda_templateIsEESt5tupleIJNSH_6TensorESM_SM_EERKSM_lbbbEUlllE0_EEPmJS6_EEE10hipError_tPvRmT3_T4_T5_T6_T7_T9_mT8_P12ihipStream_tbDpT10_ENKUlT_T0_E_clISt17integral_constantIbLb1EES1B_IbLb0EEEEDaS17_S18_EUlS17_E_NS1_11comp_targetILNS1_3genE10ELNS1_11target_archE1200ELNS1_3gpuE4ELNS1_3repE0EEENS1_30default_config_static_selectorELNS0_4arch9wavefront6targetE1EEEvT1_
    .private_segment_fixed_size: 0
    .sgpr_count:     4
    .sgpr_spill_count: 0
    .symbol:         _ZN7rocprim17ROCPRIM_400000_NS6detail17trampoline_kernelINS0_14default_configENS1_25partition_config_selectorILNS1_17partition_subalgoE8ElNS0_10empty_typeEbEEZZNS1_14partition_implILS5_8ELb0ES3_jPlPS6_PKS6_NS0_5tupleIJS9_S6_EEENSD_IJSA_SA_EEENS0_18inequality_wrapperIZN2at6native12_GLOBAL__N_124unique_dim_cuda_templateIsEESt5tupleIJNSH_6TensorESM_SM_EERKSM_lbbbEUlllE0_EEPmJS6_EEE10hipError_tPvRmT3_T4_T5_T6_T7_T9_mT8_P12ihipStream_tbDpT10_ENKUlT_T0_E_clISt17integral_constantIbLb1EES1B_IbLb0EEEEDaS17_S18_EUlS17_E_NS1_11comp_targetILNS1_3genE10ELNS1_11target_archE1200ELNS1_3gpuE4ELNS1_3repE0EEENS1_30default_config_static_selectorELNS0_4arch9wavefront6targetE1EEEvT1_.kd
    .uniform_work_group_size: 1
    .uses_dynamic_stack: false
    .vgpr_count:     0
    .vgpr_spill_count: 0
    .wavefront_size: 64
  - .agpr_count:     0
    .args:
      - .offset:         0
        .size:           120
        .value_kind:     by_value
    .group_segment_fixed_size: 0
    .kernarg_segment_align: 8
    .kernarg_segment_size: 120
    .language:       OpenCL C
    .language_version:
      - 2
      - 0
    .max_flat_workgroup_size: 512
    .name:           _ZN7rocprim17ROCPRIM_400000_NS6detail17trampoline_kernelINS0_14default_configENS1_25partition_config_selectorILNS1_17partition_subalgoE8ElNS0_10empty_typeEbEEZZNS1_14partition_implILS5_8ELb0ES3_jPlPS6_PKS6_NS0_5tupleIJS9_S6_EEENSD_IJSA_SA_EEENS0_18inequality_wrapperIZN2at6native12_GLOBAL__N_124unique_dim_cuda_templateIsEESt5tupleIJNSH_6TensorESM_SM_EERKSM_lbbbEUlllE0_EEPmJS6_EEE10hipError_tPvRmT3_T4_T5_T6_T7_T9_mT8_P12ihipStream_tbDpT10_ENKUlT_T0_E_clISt17integral_constantIbLb1EES1B_IbLb0EEEEDaS17_S18_EUlS17_E_NS1_11comp_targetILNS1_3genE9ELNS1_11target_archE1100ELNS1_3gpuE3ELNS1_3repE0EEENS1_30default_config_static_selectorELNS0_4arch9wavefront6targetE1EEEvT1_
    .private_segment_fixed_size: 0
    .sgpr_count:     4
    .sgpr_spill_count: 0
    .symbol:         _ZN7rocprim17ROCPRIM_400000_NS6detail17trampoline_kernelINS0_14default_configENS1_25partition_config_selectorILNS1_17partition_subalgoE8ElNS0_10empty_typeEbEEZZNS1_14partition_implILS5_8ELb0ES3_jPlPS6_PKS6_NS0_5tupleIJS9_S6_EEENSD_IJSA_SA_EEENS0_18inequality_wrapperIZN2at6native12_GLOBAL__N_124unique_dim_cuda_templateIsEESt5tupleIJNSH_6TensorESM_SM_EERKSM_lbbbEUlllE0_EEPmJS6_EEE10hipError_tPvRmT3_T4_T5_T6_T7_T9_mT8_P12ihipStream_tbDpT10_ENKUlT_T0_E_clISt17integral_constantIbLb1EES1B_IbLb0EEEEDaS17_S18_EUlS17_E_NS1_11comp_targetILNS1_3genE9ELNS1_11target_archE1100ELNS1_3gpuE3ELNS1_3repE0EEENS1_30default_config_static_selectorELNS0_4arch9wavefront6targetE1EEEvT1_.kd
    .uniform_work_group_size: 1
    .uses_dynamic_stack: false
    .vgpr_count:     0
    .vgpr_spill_count: 0
    .wavefront_size: 64
  - .agpr_count:     0
    .args:
      - .offset:         0
        .size:           120
        .value_kind:     by_value
    .group_segment_fixed_size: 0
    .kernarg_segment_align: 8
    .kernarg_segment_size: 120
    .language:       OpenCL C
    .language_version:
      - 2
      - 0
    .max_flat_workgroup_size: 512
    .name:           _ZN7rocprim17ROCPRIM_400000_NS6detail17trampoline_kernelINS0_14default_configENS1_25partition_config_selectorILNS1_17partition_subalgoE8ElNS0_10empty_typeEbEEZZNS1_14partition_implILS5_8ELb0ES3_jPlPS6_PKS6_NS0_5tupleIJS9_S6_EEENSD_IJSA_SA_EEENS0_18inequality_wrapperIZN2at6native12_GLOBAL__N_124unique_dim_cuda_templateIsEESt5tupleIJNSH_6TensorESM_SM_EERKSM_lbbbEUlllE0_EEPmJS6_EEE10hipError_tPvRmT3_T4_T5_T6_T7_T9_mT8_P12ihipStream_tbDpT10_ENKUlT_T0_E_clISt17integral_constantIbLb1EES1B_IbLb0EEEEDaS17_S18_EUlS17_E_NS1_11comp_targetILNS1_3genE8ELNS1_11target_archE1030ELNS1_3gpuE2ELNS1_3repE0EEENS1_30default_config_static_selectorELNS0_4arch9wavefront6targetE1EEEvT1_
    .private_segment_fixed_size: 0
    .sgpr_count:     4
    .sgpr_spill_count: 0
    .symbol:         _ZN7rocprim17ROCPRIM_400000_NS6detail17trampoline_kernelINS0_14default_configENS1_25partition_config_selectorILNS1_17partition_subalgoE8ElNS0_10empty_typeEbEEZZNS1_14partition_implILS5_8ELb0ES3_jPlPS6_PKS6_NS0_5tupleIJS9_S6_EEENSD_IJSA_SA_EEENS0_18inequality_wrapperIZN2at6native12_GLOBAL__N_124unique_dim_cuda_templateIsEESt5tupleIJNSH_6TensorESM_SM_EERKSM_lbbbEUlllE0_EEPmJS6_EEE10hipError_tPvRmT3_T4_T5_T6_T7_T9_mT8_P12ihipStream_tbDpT10_ENKUlT_T0_E_clISt17integral_constantIbLb1EES1B_IbLb0EEEEDaS17_S18_EUlS17_E_NS1_11comp_targetILNS1_3genE8ELNS1_11target_archE1030ELNS1_3gpuE2ELNS1_3repE0EEENS1_30default_config_static_selectorELNS0_4arch9wavefront6targetE1EEEvT1_.kd
    .uniform_work_group_size: 1
    .uses_dynamic_stack: false
    .vgpr_count:     0
    .vgpr_spill_count: 0
    .wavefront_size: 64
  - .agpr_count:     0
    .args:
      - .offset:         0
        .size:           136
        .value_kind:     by_value
    .group_segment_fixed_size: 0
    .kernarg_segment_align: 8
    .kernarg_segment_size: 136
    .language:       OpenCL C
    .language_version:
      - 2
      - 0
    .max_flat_workgroup_size: 512
    .name:           _ZN7rocprim17ROCPRIM_400000_NS6detail17trampoline_kernelINS0_14default_configENS1_25partition_config_selectorILNS1_17partition_subalgoE8ElNS0_10empty_typeEbEEZZNS1_14partition_implILS5_8ELb0ES3_jPlPS6_PKS6_NS0_5tupleIJS9_S6_EEENSD_IJSA_SA_EEENS0_18inequality_wrapperIZN2at6native12_GLOBAL__N_124unique_dim_cuda_templateIsEESt5tupleIJNSH_6TensorESM_SM_EERKSM_lbbbEUlllE0_EEPmJS6_EEE10hipError_tPvRmT3_T4_T5_T6_T7_T9_mT8_P12ihipStream_tbDpT10_ENKUlT_T0_E_clISt17integral_constantIbLb0EES1B_IbLb1EEEEDaS17_S18_EUlS17_E_NS1_11comp_targetILNS1_3genE0ELNS1_11target_archE4294967295ELNS1_3gpuE0ELNS1_3repE0EEENS1_30default_config_static_selectorELNS0_4arch9wavefront6targetE1EEEvT1_
    .private_segment_fixed_size: 0
    .sgpr_count:     4
    .sgpr_spill_count: 0
    .symbol:         _ZN7rocprim17ROCPRIM_400000_NS6detail17trampoline_kernelINS0_14default_configENS1_25partition_config_selectorILNS1_17partition_subalgoE8ElNS0_10empty_typeEbEEZZNS1_14partition_implILS5_8ELb0ES3_jPlPS6_PKS6_NS0_5tupleIJS9_S6_EEENSD_IJSA_SA_EEENS0_18inequality_wrapperIZN2at6native12_GLOBAL__N_124unique_dim_cuda_templateIsEESt5tupleIJNSH_6TensorESM_SM_EERKSM_lbbbEUlllE0_EEPmJS6_EEE10hipError_tPvRmT3_T4_T5_T6_T7_T9_mT8_P12ihipStream_tbDpT10_ENKUlT_T0_E_clISt17integral_constantIbLb0EES1B_IbLb1EEEEDaS17_S18_EUlS17_E_NS1_11comp_targetILNS1_3genE0ELNS1_11target_archE4294967295ELNS1_3gpuE0ELNS1_3repE0EEENS1_30default_config_static_selectorELNS0_4arch9wavefront6targetE1EEEvT1_.kd
    .uniform_work_group_size: 1
    .uses_dynamic_stack: false
    .vgpr_count:     0
    .vgpr_spill_count: 0
    .wavefront_size: 64
  - .agpr_count:     0
    .args:
      - .offset:         0
        .size:           136
        .value_kind:     by_value
    .group_segment_fixed_size: 0
    .kernarg_segment_align: 8
    .kernarg_segment_size: 136
    .language:       OpenCL C
    .language_version:
      - 2
      - 0
    .max_flat_workgroup_size: 512
    .name:           _ZN7rocprim17ROCPRIM_400000_NS6detail17trampoline_kernelINS0_14default_configENS1_25partition_config_selectorILNS1_17partition_subalgoE8ElNS0_10empty_typeEbEEZZNS1_14partition_implILS5_8ELb0ES3_jPlPS6_PKS6_NS0_5tupleIJS9_S6_EEENSD_IJSA_SA_EEENS0_18inequality_wrapperIZN2at6native12_GLOBAL__N_124unique_dim_cuda_templateIsEESt5tupleIJNSH_6TensorESM_SM_EERKSM_lbbbEUlllE0_EEPmJS6_EEE10hipError_tPvRmT3_T4_T5_T6_T7_T9_mT8_P12ihipStream_tbDpT10_ENKUlT_T0_E_clISt17integral_constantIbLb0EES1B_IbLb1EEEEDaS17_S18_EUlS17_E_NS1_11comp_targetILNS1_3genE5ELNS1_11target_archE942ELNS1_3gpuE9ELNS1_3repE0EEENS1_30default_config_static_selectorELNS0_4arch9wavefront6targetE1EEEvT1_
    .private_segment_fixed_size: 0
    .sgpr_count:     4
    .sgpr_spill_count: 0
    .symbol:         _ZN7rocprim17ROCPRIM_400000_NS6detail17trampoline_kernelINS0_14default_configENS1_25partition_config_selectorILNS1_17partition_subalgoE8ElNS0_10empty_typeEbEEZZNS1_14partition_implILS5_8ELb0ES3_jPlPS6_PKS6_NS0_5tupleIJS9_S6_EEENSD_IJSA_SA_EEENS0_18inequality_wrapperIZN2at6native12_GLOBAL__N_124unique_dim_cuda_templateIsEESt5tupleIJNSH_6TensorESM_SM_EERKSM_lbbbEUlllE0_EEPmJS6_EEE10hipError_tPvRmT3_T4_T5_T6_T7_T9_mT8_P12ihipStream_tbDpT10_ENKUlT_T0_E_clISt17integral_constantIbLb0EES1B_IbLb1EEEEDaS17_S18_EUlS17_E_NS1_11comp_targetILNS1_3genE5ELNS1_11target_archE942ELNS1_3gpuE9ELNS1_3repE0EEENS1_30default_config_static_selectorELNS0_4arch9wavefront6targetE1EEEvT1_.kd
    .uniform_work_group_size: 1
    .uses_dynamic_stack: false
    .vgpr_count:     0
    .vgpr_spill_count: 0
    .wavefront_size: 64
  - .agpr_count:     0
    .args:
      - .offset:         0
        .size:           136
        .value_kind:     by_value
    .group_segment_fixed_size: 10252
    .kernarg_segment_align: 8
    .kernarg_segment_size: 136
    .language:       OpenCL C
    .language_version:
      - 2
      - 0
    .max_flat_workgroup_size: 256
    .name:           _ZN7rocprim17ROCPRIM_400000_NS6detail17trampoline_kernelINS0_14default_configENS1_25partition_config_selectorILNS1_17partition_subalgoE8ElNS0_10empty_typeEbEEZZNS1_14partition_implILS5_8ELb0ES3_jPlPS6_PKS6_NS0_5tupleIJS9_S6_EEENSD_IJSA_SA_EEENS0_18inequality_wrapperIZN2at6native12_GLOBAL__N_124unique_dim_cuda_templateIsEESt5tupleIJNSH_6TensorESM_SM_EERKSM_lbbbEUlllE0_EEPmJS6_EEE10hipError_tPvRmT3_T4_T5_T6_T7_T9_mT8_P12ihipStream_tbDpT10_ENKUlT_T0_E_clISt17integral_constantIbLb0EES1B_IbLb1EEEEDaS17_S18_EUlS17_E_NS1_11comp_targetILNS1_3genE4ELNS1_11target_archE910ELNS1_3gpuE8ELNS1_3repE0EEENS1_30default_config_static_selectorELNS0_4arch9wavefront6targetE1EEEvT1_
    .private_segment_fixed_size: 0
    .sgpr_count:     56
    .sgpr_spill_count: 0
    .symbol:         _ZN7rocprim17ROCPRIM_400000_NS6detail17trampoline_kernelINS0_14default_configENS1_25partition_config_selectorILNS1_17partition_subalgoE8ElNS0_10empty_typeEbEEZZNS1_14partition_implILS5_8ELb0ES3_jPlPS6_PKS6_NS0_5tupleIJS9_S6_EEENSD_IJSA_SA_EEENS0_18inequality_wrapperIZN2at6native12_GLOBAL__N_124unique_dim_cuda_templateIsEESt5tupleIJNSH_6TensorESM_SM_EERKSM_lbbbEUlllE0_EEPmJS6_EEE10hipError_tPvRmT3_T4_T5_T6_T7_T9_mT8_P12ihipStream_tbDpT10_ENKUlT_T0_E_clISt17integral_constantIbLb0EES1B_IbLb1EEEEDaS17_S18_EUlS17_E_NS1_11comp_targetILNS1_3genE4ELNS1_11target_archE910ELNS1_3gpuE8ELNS1_3repE0EEENS1_30default_config_static_selectorELNS0_4arch9wavefront6targetE1EEEvT1_.kd
    .uniform_work_group_size: 1
    .uses_dynamic_stack: false
    .vgpr_count:     46
    .vgpr_spill_count: 0
    .wavefront_size: 64
  - .agpr_count:     0
    .args:
      - .offset:         0
        .size:           136
        .value_kind:     by_value
    .group_segment_fixed_size: 0
    .kernarg_segment_align: 8
    .kernarg_segment_size: 136
    .language:       OpenCL C
    .language_version:
      - 2
      - 0
    .max_flat_workgroup_size: 512
    .name:           _ZN7rocprim17ROCPRIM_400000_NS6detail17trampoline_kernelINS0_14default_configENS1_25partition_config_selectorILNS1_17partition_subalgoE8ElNS0_10empty_typeEbEEZZNS1_14partition_implILS5_8ELb0ES3_jPlPS6_PKS6_NS0_5tupleIJS9_S6_EEENSD_IJSA_SA_EEENS0_18inequality_wrapperIZN2at6native12_GLOBAL__N_124unique_dim_cuda_templateIsEESt5tupleIJNSH_6TensorESM_SM_EERKSM_lbbbEUlllE0_EEPmJS6_EEE10hipError_tPvRmT3_T4_T5_T6_T7_T9_mT8_P12ihipStream_tbDpT10_ENKUlT_T0_E_clISt17integral_constantIbLb0EES1B_IbLb1EEEEDaS17_S18_EUlS17_E_NS1_11comp_targetILNS1_3genE3ELNS1_11target_archE908ELNS1_3gpuE7ELNS1_3repE0EEENS1_30default_config_static_selectorELNS0_4arch9wavefront6targetE1EEEvT1_
    .private_segment_fixed_size: 0
    .sgpr_count:     4
    .sgpr_spill_count: 0
    .symbol:         _ZN7rocprim17ROCPRIM_400000_NS6detail17trampoline_kernelINS0_14default_configENS1_25partition_config_selectorILNS1_17partition_subalgoE8ElNS0_10empty_typeEbEEZZNS1_14partition_implILS5_8ELb0ES3_jPlPS6_PKS6_NS0_5tupleIJS9_S6_EEENSD_IJSA_SA_EEENS0_18inequality_wrapperIZN2at6native12_GLOBAL__N_124unique_dim_cuda_templateIsEESt5tupleIJNSH_6TensorESM_SM_EERKSM_lbbbEUlllE0_EEPmJS6_EEE10hipError_tPvRmT3_T4_T5_T6_T7_T9_mT8_P12ihipStream_tbDpT10_ENKUlT_T0_E_clISt17integral_constantIbLb0EES1B_IbLb1EEEEDaS17_S18_EUlS17_E_NS1_11comp_targetILNS1_3genE3ELNS1_11target_archE908ELNS1_3gpuE7ELNS1_3repE0EEENS1_30default_config_static_selectorELNS0_4arch9wavefront6targetE1EEEvT1_.kd
    .uniform_work_group_size: 1
    .uses_dynamic_stack: false
    .vgpr_count:     0
    .vgpr_spill_count: 0
    .wavefront_size: 64
  - .agpr_count:     0
    .args:
      - .offset:         0
        .size:           136
        .value_kind:     by_value
    .group_segment_fixed_size: 0
    .kernarg_segment_align: 8
    .kernarg_segment_size: 136
    .language:       OpenCL C
    .language_version:
      - 2
      - 0
    .max_flat_workgroup_size: 256
    .name:           _ZN7rocprim17ROCPRIM_400000_NS6detail17trampoline_kernelINS0_14default_configENS1_25partition_config_selectorILNS1_17partition_subalgoE8ElNS0_10empty_typeEbEEZZNS1_14partition_implILS5_8ELb0ES3_jPlPS6_PKS6_NS0_5tupleIJS9_S6_EEENSD_IJSA_SA_EEENS0_18inequality_wrapperIZN2at6native12_GLOBAL__N_124unique_dim_cuda_templateIsEESt5tupleIJNSH_6TensorESM_SM_EERKSM_lbbbEUlllE0_EEPmJS6_EEE10hipError_tPvRmT3_T4_T5_T6_T7_T9_mT8_P12ihipStream_tbDpT10_ENKUlT_T0_E_clISt17integral_constantIbLb0EES1B_IbLb1EEEEDaS17_S18_EUlS17_E_NS1_11comp_targetILNS1_3genE2ELNS1_11target_archE906ELNS1_3gpuE6ELNS1_3repE0EEENS1_30default_config_static_selectorELNS0_4arch9wavefront6targetE1EEEvT1_
    .private_segment_fixed_size: 0
    .sgpr_count:     4
    .sgpr_spill_count: 0
    .symbol:         _ZN7rocprim17ROCPRIM_400000_NS6detail17trampoline_kernelINS0_14default_configENS1_25partition_config_selectorILNS1_17partition_subalgoE8ElNS0_10empty_typeEbEEZZNS1_14partition_implILS5_8ELb0ES3_jPlPS6_PKS6_NS0_5tupleIJS9_S6_EEENSD_IJSA_SA_EEENS0_18inequality_wrapperIZN2at6native12_GLOBAL__N_124unique_dim_cuda_templateIsEESt5tupleIJNSH_6TensorESM_SM_EERKSM_lbbbEUlllE0_EEPmJS6_EEE10hipError_tPvRmT3_T4_T5_T6_T7_T9_mT8_P12ihipStream_tbDpT10_ENKUlT_T0_E_clISt17integral_constantIbLb0EES1B_IbLb1EEEEDaS17_S18_EUlS17_E_NS1_11comp_targetILNS1_3genE2ELNS1_11target_archE906ELNS1_3gpuE6ELNS1_3repE0EEENS1_30default_config_static_selectorELNS0_4arch9wavefront6targetE1EEEvT1_.kd
    .uniform_work_group_size: 1
    .uses_dynamic_stack: false
    .vgpr_count:     0
    .vgpr_spill_count: 0
    .wavefront_size: 64
  - .agpr_count:     0
    .args:
      - .offset:         0
        .size:           136
        .value_kind:     by_value
    .group_segment_fixed_size: 0
    .kernarg_segment_align: 8
    .kernarg_segment_size: 136
    .language:       OpenCL C
    .language_version:
      - 2
      - 0
    .max_flat_workgroup_size: 384
    .name:           _ZN7rocprim17ROCPRIM_400000_NS6detail17trampoline_kernelINS0_14default_configENS1_25partition_config_selectorILNS1_17partition_subalgoE8ElNS0_10empty_typeEbEEZZNS1_14partition_implILS5_8ELb0ES3_jPlPS6_PKS6_NS0_5tupleIJS9_S6_EEENSD_IJSA_SA_EEENS0_18inequality_wrapperIZN2at6native12_GLOBAL__N_124unique_dim_cuda_templateIsEESt5tupleIJNSH_6TensorESM_SM_EERKSM_lbbbEUlllE0_EEPmJS6_EEE10hipError_tPvRmT3_T4_T5_T6_T7_T9_mT8_P12ihipStream_tbDpT10_ENKUlT_T0_E_clISt17integral_constantIbLb0EES1B_IbLb1EEEEDaS17_S18_EUlS17_E_NS1_11comp_targetILNS1_3genE10ELNS1_11target_archE1200ELNS1_3gpuE4ELNS1_3repE0EEENS1_30default_config_static_selectorELNS0_4arch9wavefront6targetE1EEEvT1_
    .private_segment_fixed_size: 0
    .sgpr_count:     4
    .sgpr_spill_count: 0
    .symbol:         _ZN7rocprim17ROCPRIM_400000_NS6detail17trampoline_kernelINS0_14default_configENS1_25partition_config_selectorILNS1_17partition_subalgoE8ElNS0_10empty_typeEbEEZZNS1_14partition_implILS5_8ELb0ES3_jPlPS6_PKS6_NS0_5tupleIJS9_S6_EEENSD_IJSA_SA_EEENS0_18inequality_wrapperIZN2at6native12_GLOBAL__N_124unique_dim_cuda_templateIsEESt5tupleIJNSH_6TensorESM_SM_EERKSM_lbbbEUlllE0_EEPmJS6_EEE10hipError_tPvRmT3_T4_T5_T6_T7_T9_mT8_P12ihipStream_tbDpT10_ENKUlT_T0_E_clISt17integral_constantIbLb0EES1B_IbLb1EEEEDaS17_S18_EUlS17_E_NS1_11comp_targetILNS1_3genE10ELNS1_11target_archE1200ELNS1_3gpuE4ELNS1_3repE0EEENS1_30default_config_static_selectorELNS0_4arch9wavefront6targetE1EEEvT1_.kd
    .uniform_work_group_size: 1
    .uses_dynamic_stack: false
    .vgpr_count:     0
    .vgpr_spill_count: 0
    .wavefront_size: 64
  - .agpr_count:     0
    .args:
      - .offset:         0
        .size:           136
        .value_kind:     by_value
    .group_segment_fixed_size: 0
    .kernarg_segment_align: 8
    .kernarg_segment_size: 136
    .language:       OpenCL C
    .language_version:
      - 2
      - 0
    .max_flat_workgroup_size: 512
    .name:           _ZN7rocprim17ROCPRIM_400000_NS6detail17trampoline_kernelINS0_14default_configENS1_25partition_config_selectorILNS1_17partition_subalgoE8ElNS0_10empty_typeEbEEZZNS1_14partition_implILS5_8ELb0ES3_jPlPS6_PKS6_NS0_5tupleIJS9_S6_EEENSD_IJSA_SA_EEENS0_18inequality_wrapperIZN2at6native12_GLOBAL__N_124unique_dim_cuda_templateIsEESt5tupleIJNSH_6TensorESM_SM_EERKSM_lbbbEUlllE0_EEPmJS6_EEE10hipError_tPvRmT3_T4_T5_T6_T7_T9_mT8_P12ihipStream_tbDpT10_ENKUlT_T0_E_clISt17integral_constantIbLb0EES1B_IbLb1EEEEDaS17_S18_EUlS17_E_NS1_11comp_targetILNS1_3genE9ELNS1_11target_archE1100ELNS1_3gpuE3ELNS1_3repE0EEENS1_30default_config_static_selectorELNS0_4arch9wavefront6targetE1EEEvT1_
    .private_segment_fixed_size: 0
    .sgpr_count:     4
    .sgpr_spill_count: 0
    .symbol:         _ZN7rocprim17ROCPRIM_400000_NS6detail17trampoline_kernelINS0_14default_configENS1_25partition_config_selectorILNS1_17partition_subalgoE8ElNS0_10empty_typeEbEEZZNS1_14partition_implILS5_8ELb0ES3_jPlPS6_PKS6_NS0_5tupleIJS9_S6_EEENSD_IJSA_SA_EEENS0_18inequality_wrapperIZN2at6native12_GLOBAL__N_124unique_dim_cuda_templateIsEESt5tupleIJNSH_6TensorESM_SM_EERKSM_lbbbEUlllE0_EEPmJS6_EEE10hipError_tPvRmT3_T4_T5_T6_T7_T9_mT8_P12ihipStream_tbDpT10_ENKUlT_T0_E_clISt17integral_constantIbLb0EES1B_IbLb1EEEEDaS17_S18_EUlS17_E_NS1_11comp_targetILNS1_3genE9ELNS1_11target_archE1100ELNS1_3gpuE3ELNS1_3repE0EEENS1_30default_config_static_selectorELNS0_4arch9wavefront6targetE1EEEvT1_.kd
    .uniform_work_group_size: 1
    .uses_dynamic_stack: false
    .vgpr_count:     0
    .vgpr_spill_count: 0
    .wavefront_size: 64
  - .agpr_count:     0
    .args:
      - .offset:         0
        .size:           136
        .value_kind:     by_value
    .group_segment_fixed_size: 0
    .kernarg_segment_align: 8
    .kernarg_segment_size: 136
    .language:       OpenCL C
    .language_version:
      - 2
      - 0
    .max_flat_workgroup_size: 512
    .name:           _ZN7rocprim17ROCPRIM_400000_NS6detail17trampoline_kernelINS0_14default_configENS1_25partition_config_selectorILNS1_17partition_subalgoE8ElNS0_10empty_typeEbEEZZNS1_14partition_implILS5_8ELb0ES3_jPlPS6_PKS6_NS0_5tupleIJS9_S6_EEENSD_IJSA_SA_EEENS0_18inequality_wrapperIZN2at6native12_GLOBAL__N_124unique_dim_cuda_templateIsEESt5tupleIJNSH_6TensorESM_SM_EERKSM_lbbbEUlllE0_EEPmJS6_EEE10hipError_tPvRmT3_T4_T5_T6_T7_T9_mT8_P12ihipStream_tbDpT10_ENKUlT_T0_E_clISt17integral_constantIbLb0EES1B_IbLb1EEEEDaS17_S18_EUlS17_E_NS1_11comp_targetILNS1_3genE8ELNS1_11target_archE1030ELNS1_3gpuE2ELNS1_3repE0EEENS1_30default_config_static_selectorELNS0_4arch9wavefront6targetE1EEEvT1_
    .private_segment_fixed_size: 0
    .sgpr_count:     4
    .sgpr_spill_count: 0
    .symbol:         _ZN7rocprim17ROCPRIM_400000_NS6detail17trampoline_kernelINS0_14default_configENS1_25partition_config_selectorILNS1_17partition_subalgoE8ElNS0_10empty_typeEbEEZZNS1_14partition_implILS5_8ELb0ES3_jPlPS6_PKS6_NS0_5tupleIJS9_S6_EEENSD_IJSA_SA_EEENS0_18inequality_wrapperIZN2at6native12_GLOBAL__N_124unique_dim_cuda_templateIsEESt5tupleIJNSH_6TensorESM_SM_EERKSM_lbbbEUlllE0_EEPmJS6_EEE10hipError_tPvRmT3_T4_T5_T6_T7_T9_mT8_P12ihipStream_tbDpT10_ENKUlT_T0_E_clISt17integral_constantIbLb0EES1B_IbLb1EEEEDaS17_S18_EUlS17_E_NS1_11comp_targetILNS1_3genE8ELNS1_11target_archE1030ELNS1_3gpuE2ELNS1_3repE0EEENS1_30default_config_static_selectorELNS0_4arch9wavefront6targetE1EEEvT1_.kd
    .uniform_work_group_size: 1
    .uses_dynamic_stack: false
    .vgpr_count:     0
    .vgpr_spill_count: 0
    .wavefront_size: 64
  - .agpr_count:     0
    .args:
      - .offset:         0
        .size:           120
        .value_kind:     by_value
    .group_segment_fixed_size: 0
    .kernarg_segment_align: 8
    .kernarg_segment_size: 120
    .language:       OpenCL C
    .language_version:
      - 2
      - 0
    .max_flat_workgroup_size: 128
    .name:           _ZN7rocprim17ROCPRIM_400000_NS6detail17trampoline_kernelINS0_14default_configENS1_25partition_config_selectorILNS1_17partition_subalgoE9EllbEEZZNS1_14partition_implILS5_9ELb0ES3_jPlS8_PNS0_10empty_typeENS0_5tupleIJS8_S9_EEENSB_IJS8_SA_EEENS0_18inequality_wrapperIZN2at6native12_GLOBAL__N_124unique_dim_cuda_templateIsEESt5tupleIJNSF_6TensorESK_SK_EERKSK_lbbbEUlllE0_EEPmJS9_EEE10hipError_tPvRmT3_T4_T5_T6_T7_T9_mT8_P12ihipStream_tbDpT10_ENKUlT_T0_E_clISt17integral_constantIbLb0EES1A_EEDaS15_S16_EUlS15_E_NS1_11comp_targetILNS1_3genE0ELNS1_11target_archE4294967295ELNS1_3gpuE0ELNS1_3repE0EEENS1_30default_config_static_selectorELNS0_4arch9wavefront6targetE1EEEvT1_
    .private_segment_fixed_size: 0
    .sgpr_count:     4
    .sgpr_spill_count: 0
    .symbol:         _ZN7rocprim17ROCPRIM_400000_NS6detail17trampoline_kernelINS0_14default_configENS1_25partition_config_selectorILNS1_17partition_subalgoE9EllbEEZZNS1_14partition_implILS5_9ELb0ES3_jPlS8_PNS0_10empty_typeENS0_5tupleIJS8_S9_EEENSB_IJS8_SA_EEENS0_18inequality_wrapperIZN2at6native12_GLOBAL__N_124unique_dim_cuda_templateIsEESt5tupleIJNSF_6TensorESK_SK_EERKSK_lbbbEUlllE0_EEPmJS9_EEE10hipError_tPvRmT3_T4_T5_T6_T7_T9_mT8_P12ihipStream_tbDpT10_ENKUlT_T0_E_clISt17integral_constantIbLb0EES1A_EEDaS15_S16_EUlS15_E_NS1_11comp_targetILNS1_3genE0ELNS1_11target_archE4294967295ELNS1_3gpuE0ELNS1_3repE0EEENS1_30default_config_static_selectorELNS0_4arch9wavefront6targetE1EEEvT1_.kd
    .uniform_work_group_size: 1
    .uses_dynamic_stack: false
    .vgpr_count:     0
    .vgpr_spill_count: 0
    .wavefront_size: 64
  - .agpr_count:     0
    .args:
      - .offset:         0
        .size:           120
        .value_kind:     by_value
    .group_segment_fixed_size: 0
    .kernarg_segment_align: 8
    .kernarg_segment_size: 120
    .language:       OpenCL C
    .language_version:
      - 2
      - 0
    .max_flat_workgroup_size: 512
    .name:           _ZN7rocprim17ROCPRIM_400000_NS6detail17trampoline_kernelINS0_14default_configENS1_25partition_config_selectorILNS1_17partition_subalgoE9EllbEEZZNS1_14partition_implILS5_9ELb0ES3_jPlS8_PNS0_10empty_typeENS0_5tupleIJS8_S9_EEENSB_IJS8_SA_EEENS0_18inequality_wrapperIZN2at6native12_GLOBAL__N_124unique_dim_cuda_templateIsEESt5tupleIJNSF_6TensorESK_SK_EERKSK_lbbbEUlllE0_EEPmJS9_EEE10hipError_tPvRmT3_T4_T5_T6_T7_T9_mT8_P12ihipStream_tbDpT10_ENKUlT_T0_E_clISt17integral_constantIbLb0EES1A_EEDaS15_S16_EUlS15_E_NS1_11comp_targetILNS1_3genE5ELNS1_11target_archE942ELNS1_3gpuE9ELNS1_3repE0EEENS1_30default_config_static_selectorELNS0_4arch9wavefront6targetE1EEEvT1_
    .private_segment_fixed_size: 0
    .sgpr_count:     4
    .sgpr_spill_count: 0
    .symbol:         _ZN7rocprim17ROCPRIM_400000_NS6detail17trampoline_kernelINS0_14default_configENS1_25partition_config_selectorILNS1_17partition_subalgoE9EllbEEZZNS1_14partition_implILS5_9ELb0ES3_jPlS8_PNS0_10empty_typeENS0_5tupleIJS8_S9_EEENSB_IJS8_SA_EEENS0_18inequality_wrapperIZN2at6native12_GLOBAL__N_124unique_dim_cuda_templateIsEESt5tupleIJNSF_6TensorESK_SK_EERKSK_lbbbEUlllE0_EEPmJS9_EEE10hipError_tPvRmT3_T4_T5_T6_T7_T9_mT8_P12ihipStream_tbDpT10_ENKUlT_T0_E_clISt17integral_constantIbLb0EES1A_EEDaS15_S16_EUlS15_E_NS1_11comp_targetILNS1_3genE5ELNS1_11target_archE942ELNS1_3gpuE9ELNS1_3repE0EEENS1_30default_config_static_selectorELNS0_4arch9wavefront6targetE1EEEvT1_.kd
    .uniform_work_group_size: 1
    .uses_dynamic_stack: false
    .vgpr_count:     0
    .vgpr_spill_count: 0
    .wavefront_size: 64
  - .agpr_count:     0
    .args:
      - .offset:         0
        .size:           120
        .value_kind:     by_value
    .group_segment_fixed_size: 4236
    .kernarg_segment_align: 8
    .kernarg_segment_size: 120
    .language:       OpenCL C
    .language_version:
      - 2
      - 0
    .max_flat_workgroup_size: 128
    .name:           _ZN7rocprim17ROCPRIM_400000_NS6detail17trampoline_kernelINS0_14default_configENS1_25partition_config_selectorILNS1_17partition_subalgoE9EllbEEZZNS1_14partition_implILS5_9ELb0ES3_jPlS8_PNS0_10empty_typeENS0_5tupleIJS8_S9_EEENSB_IJS8_SA_EEENS0_18inequality_wrapperIZN2at6native12_GLOBAL__N_124unique_dim_cuda_templateIsEESt5tupleIJNSF_6TensorESK_SK_EERKSK_lbbbEUlllE0_EEPmJS9_EEE10hipError_tPvRmT3_T4_T5_T6_T7_T9_mT8_P12ihipStream_tbDpT10_ENKUlT_T0_E_clISt17integral_constantIbLb0EES1A_EEDaS15_S16_EUlS15_E_NS1_11comp_targetILNS1_3genE4ELNS1_11target_archE910ELNS1_3gpuE8ELNS1_3repE0EEENS1_30default_config_static_selectorELNS0_4arch9wavefront6targetE1EEEvT1_
    .private_segment_fixed_size: 0
    .sgpr_count:     50
    .sgpr_spill_count: 0
    .symbol:         _ZN7rocprim17ROCPRIM_400000_NS6detail17trampoline_kernelINS0_14default_configENS1_25partition_config_selectorILNS1_17partition_subalgoE9EllbEEZZNS1_14partition_implILS5_9ELb0ES3_jPlS8_PNS0_10empty_typeENS0_5tupleIJS8_S9_EEENSB_IJS8_SA_EEENS0_18inequality_wrapperIZN2at6native12_GLOBAL__N_124unique_dim_cuda_templateIsEESt5tupleIJNSF_6TensorESK_SK_EERKSK_lbbbEUlllE0_EEPmJS9_EEE10hipError_tPvRmT3_T4_T5_T6_T7_T9_mT8_P12ihipStream_tbDpT10_ENKUlT_T0_E_clISt17integral_constantIbLb0EES1A_EEDaS15_S16_EUlS15_E_NS1_11comp_targetILNS1_3genE4ELNS1_11target_archE910ELNS1_3gpuE8ELNS1_3repE0EEENS1_30default_config_static_selectorELNS0_4arch9wavefront6targetE1EEEvT1_.kd
    .uniform_work_group_size: 1
    .uses_dynamic_stack: false
    .vgpr_count:     50
    .vgpr_spill_count: 0
    .wavefront_size: 64
  - .agpr_count:     0
    .args:
      - .offset:         0
        .size:           120
        .value_kind:     by_value
    .group_segment_fixed_size: 0
    .kernarg_segment_align: 8
    .kernarg_segment_size: 120
    .language:       OpenCL C
    .language_version:
      - 2
      - 0
    .max_flat_workgroup_size: 128
    .name:           _ZN7rocprim17ROCPRIM_400000_NS6detail17trampoline_kernelINS0_14default_configENS1_25partition_config_selectorILNS1_17partition_subalgoE9EllbEEZZNS1_14partition_implILS5_9ELb0ES3_jPlS8_PNS0_10empty_typeENS0_5tupleIJS8_S9_EEENSB_IJS8_SA_EEENS0_18inequality_wrapperIZN2at6native12_GLOBAL__N_124unique_dim_cuda_templateIsEESt5tupleIJNSF_6TensorESK_SK_EERKSK_lbbbEUlllE0_EEPmJS9_EEE10hipError_tPvRmT3_T4_T5_T6_T7_T9_mT8_P12ihipStream_tbDpT10_ENKUlT_T0_E_clISt17integral_constantIbLb0EES1A_EEDaS15_S16_EUlS15_E_NS1_11comp_targetILNS1_3genE3ELNS1_11target_archE908ELNS1_3gpuE7ELNS1_3repE0EEENS1_30default_config_static_selectorELNS0_4arch9wavefront6targetE1EEEvT1_
    .private_segment_fixed_size: 0
    .sgpr_count:     4
    .sgpr_spill_count: 0
    .symbol:         _ZN7rocprim17ROCPRIM_400000_NS6detail17trampoline_kernelINS0_14default_configENS1_25partition_config_selectorILNS1_17partition_subalgoE9EllbEEZZNS1_14partition_implILS5_9ELb0ES3_jPlS8_PNS0_10empty_typeENS0_5tupleIJS8_S9_EEENSB_IJS8_SA_EEENS0_18inequality_wrapperIZN2at6native12_GLOBAL__N_124unique_dim_cuda_templateIsEESt5tupleIJNSF_6TensorESK_SK_EERKSK_lbbbEUlllE0_EEPmJS9_EEE10hipError_tPvRmT3_T4_T5_T6_T7_T9_mT8_P12ihipStream_tbDpT10_ENKUlT_T0_E_clISt17integral_constantIbLb0EES1A_EEDaS15_S16_EUlS15_E_NS1_11comp_targetILNS1_3genE3ELNS1_11target_archE908ELNS1_3gpuE7ELNS1_3repE0EEENS1_30default_config_static_selectorELNS0_4arch9wavefront6targetE1EEEvT1_.kd
    .uniform_work_group_size: 1
    .uses_dynamic_stack: false
    .vgpr_count:     0
    .vgpr_spill_count: 0
    .wavefront_size: 64
  - .agpr_count:     0
    .args:
      - .offset:         0
        .size:           120
        .value_kind:     by_value
    .group_segment_fixed_size: 0
    .kernarg_segment_align: 8
    .kernarg_segment_size: 120
    .language:       OpenCL C
    .language_version:
      - 2
      - 0
    .max_flat_workgroup_size: 192
    .name:           _ZN7rocprim17ROCPRIM_400000_NS6detail17trampoline_kernelINS0_14default_configENS1_25partition_config_selectorILNS1_17partition_subalgoE9EllbEEZZNS1_14partition_implILS5_9ELb0ES3_jPlS8_PNS0_10empty_typeENS0_5tupleIJS8_S9_EEENSB_IJS8_SA_EEENS0_18inequality_wrapperIZN2at6native12_GLOBAL__N_124unique_dim_cuda_templateIsEESt5tupleIJNSF_6TensorESK_SK_EERKSK_lbbbEUlllE0_EEPmJS9_EEE10hipError_tPvRmT3_T4_T5_T6_T7_T9_mT8_P12ihipStream_tbDpT10_ENKUlT_T0_E_clISt17integral_constantIbLb0EES1A_EEDaS15_S16_EUlS15_E_NS1_11comp_targetILNS1_3genE2ELNS1_11target_archE906ELNS1_3gpuE6ELNS1_3repE0EEENS1_30default_config_static_selectorELNS0_4arch9wavefront6targetE1EEEvT1_
    .private_segment_fixed_size: 0
    .sgpr_count:     4
    .sgpr_spill_count: 0
    .symbol:         _ZN7rocprim17ROCPRIM_400000_NS6detail17trampoline_kernelINS0_14default_configENS1_25partition_config_selectorILNS1_17partition_subalgoE9EllbEEZZNS1_14partition_implILS5_9ELb0ES3_jPlS8_PNS0_10empty_typeENS0_5tupleIJS8_S9_EEENSB_IJS8_SA_EEENS0_18inequality_wrapperIZN2at6native12_GLOBAL__N_124unique_dim_cuda_templateIsEESt5tupleIJNSF_6TensorESK_SK_EERKSK_lbbbEUlllE0_EEPmJS9_EEE10hipError_tPvRmT3_T4_T5_T6_T7_T9_mT8_P12ihipStream_tbDpT10_ENKUlT_T0_E_clISt17integral_constantIbLb0EES1A_EEDaS15_S16_EUlS15_E_NS1_11comp_targetILNS1_3genE2ELNS1_11target_archE906ELNS1_3gpuE6ELNS1_3repE0EEENS1_30default_config_static_selectorELNS0_4arch9wavefront6targetE1EEEvT1_.kd
    .uniform_work_group_size: 1
    .uses_dynamic_stack: false
    .vgpr_count:     0
    .vgpr_spill_count: 0
    .wavefront_size: 64
  - .agpr_count:     0
    .args:
      - .offset:         0
        .size:           120
        .value_kind:     by_value
    .group_segment_fixed_size: 0
    .kernarg_segment_align: 8
    .kernarg_segment_size: 120
    .language:       OpenCL C
    .language_version:
      - 2
      - 0
    .max_flat_workgroup_size: 384
    .name:           _ZN7rocprim17ROCPRIM_400000_NS6detail17trampoline_kernelINS0_14default_configENS1_25partition_config_selectorILNS1_17partition_subalgoE9EllbEEZZNS1_14partition_implILS5_9ELb0ES3_jPlS8_PNS0_10empty_typeENS0_5tupleIJS8_S9_EEENSB_IJS8_SA_EEENS0_18inequality_wrapperIZN2at6native12_GLOBAL__N_124unique_dim_cuda_templateIsEESt5tupleIJNSF_6TensorESK_SK_EERKSK_lbbbEUlllE0_EEPmJS9_EEE10hipError_tPvRmT3_T4_T5_T6_T7_T9_mT8_P12ihipStream_tbDpT10_ENKUlT_T0_E_clISt17integral_constantIbLb0EES1A_EEDaS15_S16_EUlS15_E_NS1_11comp_targetILNS1_3genE10ELNS1_11target_archE1200ELNS1_3gpuE4ELNS1_3repE0EEENS1_30default_config_static_selectorELNS0_4arch9wavefront6targetE1EEEvT1_
    .private_segment_fixed_size: 0
    .sgpr_count:     4
    .sgpr_spill_count: 0
    .symbol:         _ZN7rocprim17ROCPRIM_400000_NS6detail17trampoline_kernelINS0_14default_configENS1_25partition_config_selectorILNS1_17partition_subalgoE9EllbEEZZNS1_14partition_implILS5_9ELb0ES3_jPlS8_PNS0_10empty_typeENS0_5tupleIJS8_S9_EEENSB_IJS8_SA_EEENS0_18inequality_wrapperIZN2at6native12_GLOBAL__N_124unique_dim_cuda_templateIsEESt5tupleIJNSF_6TensorESK_SK_EERKSK_lbbbEUlllE0_EEPmJS9_EEE10hipError_tPvRmT3_T4_T5_T6_T7_T9_mT8_P12ihipStream_tbDpT10_ENKUlT_T0_E_clISt17integral_constantIbLb0EES1A_EEDaS15_S16_EUlS15_E_NS1_11comp_targetILNS1_3genE10ELNS1_11target_archE1200ELNS1_3gpuE4ELNS1_3repE0EEENS1_30default_config_static_selectorELNS0_4arch9wavefront6targetE1EEEvT1_.kd
    .uniform_work_group_size: 1
    .uses_dynamic_stack: false
    .vgpr_count:     0
    .vgpr_spill_count: 0
    .wavefront_size: 64
  - .agpr_count:     0
    .args:
      - .offset:         0
        .size:           120
        .value_kind:     by_value
    .group_segment_fixed_size: 0
    .kernarg_segment_align: 8
    .kernarg_segment_size: 120
    .language:       OpenCL C
    .language_version:
      - 2
      - 0
    .max_flat_workgroup_size: 512
    .name:           _ZN7rocprim17ROCPRIM_400000_NS6detail17trampoline_kernelINS0_14default_configENS1_25partition_config_selectorILNS1_17partition_subalgoE9EllbEEZZNS1_14partition_implILS5_9ELb0ES3_jPlS8_PNS0_10empty_typeENS0_5tupleIJS8_S9_EEENSB_IJS8_SA_EEENS0_18inequality_wrapperIZN2at6native12_GLOBAL__N_124unique_dim_cuda_templateIsEESt5tupleIJNSF_6TensorESK_SK_EERKSK_lbbbEUlllE0_EEPmJS9_EEE10hipError_tPvRmT3_T4_T5_T6_T7_T9_mT8_P12ihipStream_tbDpT10_ENKUlT_T0_E_clISt17integral_constantIbLb0EES1A_EEDaS15_S16_EUlS15_E_NS1_11comp_targetILNS1_3genE9ELNS1_11target_archE1100ELNS1_3gpuE3ELNS1_3repE0EEENS1_30default_config_static_selectorELNS0_4arch9wavefront6targetE1EEEvT1_
    .private_segment_fixed_size: 0
    .sgpr_count:     4
    .sgpr_spill_count: 0
    .symbol:         _ZN7rocprim17ROCPRIM_400000_NS6detail17trampoline_kernelINS0_14default_configENS1_25partition_config_selectorILNS1_17partition_subalgoE9EllbEEZZNS1_14partition_implILS5_9ELb0ES3_jPlS8_PNS0_10empty_typeENS0_5tupleIJS8_S9_EEENSB_IJS8_SA_EEENS0_18inequality_wrapperIZN2at6native12_GLOBAL__N_124unique_dim_cuda_templateIsEESt5tupleIJNSF_6TensorESK_SK_EERKSK_lbbbEUlllE0_EEPmJS9_EEE10hipError_tPvRmT3_T4_T5_T6_T7_T9_mT8_P12ihipStream_tbDpT10_ENKUlT_T0_E_clISt17integral_constantIbLb0EES1A_EEDaS15_S16_EUlS15_E_NS1_11comp_targetILNS1_3genE9ELNS1_11target_archE1100ELNS1_3gpuE3ELNS1_3repE0EEENS1_30default_config_static_selectorELNS0_4arch9wavefront6targetE1EEEvT1_.kd
    .uniform_work_group_size: 1
    .uses_dynamic_stack: false
    .vgpr_count:     0
    .vgpr_spill_count: 0
    .wavefront_size: 64
  - .agpr_count:     0
    .args:
      - .offset:         0
        .size:           120
        .value_kind:     by_value
    .group_segment_fixed_size: 0
    .kernarg_segment_align: 8
    .kernarg_segment_size: 120
    .language:       OpenCL C
    .language_version:
      - 2
      - 0
    .max_flat_workgroup_size: 512
    .name:           _ZN7rocprim17ROCPRIM_400000_NS6detail17trampoline_kernelINS0_14default_configENS1_25partition_config_selectorILNS1_17partition_subalgoE9EllbEEZZNS1_14partition_implILS5_9ELb0ES3_jPlS8_PNS0_10empty_typeENS0_5tupleIJS8_S9_EEENSB_IJS8_SA_EEENS0_18inequality_wrapperIZN2at6native12_GLOBAL__N_124unique_dim_cuda_templateIsEESt5tupleIJNSF_6TensorESK_SK_EERKSK_lbbbEUlllE0_EEPmJS9_EEE10hipError_tPvRmT3_T4_T5_T6_T7_T9_mT8_P12ihipStream_tbDpT10_ENKUlT_T0_E_clISt17integral_constantIbLb0EES1A_EEDaS15_S16_EUlS15_E_NS1_11comp_targetILNS1_3genE8ELNS1_11target_archE1030ELNS1_3gpuE2ELNS1_3repE0EEENS1_30default_config_static_selectorELNS0_4arch9wavefront6targetE1EEEvT1_
    .private_segment_fixed_size: 0
    .sgpr_count:     4
    .sgpr_spill_count: 0
    .symbol:         _ZN7rocprim17ROCPRIM_400000_NS6detail17trampoline_kernelINS0_14default_configENS1_25partition_config_selectorILNS1_17partition_subalgoE9EllbEEZZNS1_14partition_implILS5_9ELb0ES3_jPlS8_PNS0_10empty_typeENS0_5tupleIJS8_S9_EEENSB_IJS8_SA_EEENS0_18inequality_wrapperIZN2at6native12_GLOBAL__N_124unique_dim_cuda_templateIsEESt5tupleIJNSF_6TensorESK_SK_EERKSK_lbbbEUlllE0_EEPmJS9_EEE10hipError_tPvRmT3_T4_T5_T6_T7_T9_mT8_P12ihipStream_tbDpT10_ENKUlT_T0_E_clISt17integral_constantIbLb0EES1A_EEDaS15_S16_EUlS15_E_NS1_11comp_targetILNS1_3genE8ELNS1_11target_archE1030ELNS1_3gpuE2ELNS1_3repE0EEENS1_30default_config_static_selectorELNS0_4arch9wavefront6targetE1EEEvT1_.kd
    .uniform_work_group_size: 1
    .uses_dynamic_stack: false
    .vgpr_count:     0
    .vgpr_spill_count: 0
    .wavefront_size: 64
  - .agpr_count:     0
    .args:
      - .offset:         0
        .size:           136
        .value_kind:     by_value
    .group_segment_fixed_size: 0
    .kernarg_segment_align: 8
    .kernarg_segment_size: 136
    .language:       OpenCL C
    .language_version:
      - 2
      - 0
    .max_flat_workgroup_size: 128
    .name:           _ZN7rocprim17ROCPRIM_400000_NS6detail17trampoline_kernelINS0_14default_configENS1_25partition_config_selectorILNS1_17partition_subalgoE9EllbEEZZNS1_14partition_implILS5_9ELb0ES3_jPlS8_PNS0_10empty_typeENS0_5tupleIJS8_S9_EEENSB_IJS8_SA_EEENS0_18inequality_wrapperIZN2at6native12_GLOBAL__N_124unique_dim_cuda_templateIsEESt5tupleIJNSF_6TensorESK_SK_EERKSK_lbbbEUlllE0_EEPmJS9_EEE10hipError_tPvRmT3_T4_T5_T6_T7_T9_mT8_P12ihipStream_tbDpT10_ENKUlT_T0_E_clISt17integral_constantIbLb1EES1A_EEDaS15_S16_EUlS15_E_NS1_11comp_targetILNS1_3genE0ELNS1_11target_archE4294967295ELNS1_3gpuE0ELNS1_3repE0EEENS1_30default_config_static_selectorELNS0_4arch9wavefront6targetE1EEEvT1_
    .private_segment_fixed_size: 0
    .sgpr_count:     4
    .sgpr_spill_count: 0
    .symbol:         _ZN7rocprim17ROCPRIM_400000_NS6detail17trampoline_kernelINS0_14default_configENS1_25partition_config_selectorILNS1_17partition_subalgoE9EllbEEZZNS1_14partition_implILS5_9ELb0ES3_jPlS8_PNS0_10empty_typeENS0_5tupleIJS8_S9_EEENSB_IJS8_SA_EEENS0_18inequality_wrapperIZN2at6native12_GLOBAL__N_124unique_dim_cuda_templateIsEESt5tupleIJNSF_6TensorESK_SK_EERKSK_lbbbEUlllE0_EEPmJS9_EEE10hipError_tPvRmT3_T4_T5_T6_T7_T9_mT8_P12ihipStream_tbDpT10_ENKUlT_T0_E_clISt17integral_constantIbLb1EES1A_EEDaS15_S16_EUlS15_E_NS1_11comp_targetILNS1_3genE0ELNS1_11target_archE4294967295ELNS1_3gpuE0ELNS1_3repE0EEENS1_30default_config_static_selectorELNS0_4arch9wavefront6targetE1EEEvT1_.kd
    .uniform_work_group_size: 1
    .uses_dynamic_stack: false
    .vgpr_count:     0
    .vgpr_spill_count: 0
    .wavefront_size: 64
  - .agpr_count:     0
    .args:
      - .offset:         0
        .size:           136
        .value_kind:     by_value
    .group_segment_fixed_size: 0
    .kernarg_segment_align: 8
    .kernarg_segment_size: 136
    .language:       OpenCL C
    .language_version:
      - 2
      - 0
    .max_flat_workgroup_size: 512
    .name:           _ZN7rocprim17ROCPRIM_400000_NS6detail17trampoline_kernelINS0_14default_configENS1_25partition_config_selectorILNS1_17partition_subalgoE9EllbEEZZNS1_14partition_implILS5_9ELb0ES3_jPlS8_PNS0_10empty_typeENS0_5tupleIJS8_S9_EEENSB_IJS8_SA_EEENS0_18inequality_wrapperIZN2at6native12_GLOBAL__N_124unique_dim_cuda_templateIsEESt5tupleIJNSF_6TensorESK_SK_EERKSK_lbbbEUlllE0_EEPmJS9_EEE10hipError_tPvRmT3_T4_T5_T6_T7_T9_mT8_P12ihipStream_tbDpT10_ENKUlT_T0_E_clISt17integral_constantIbLb1EES1A_EEDaS15_S16_EUlS15_E_NS1_11comp_targetILNS1_3genE5ELNS1_11target_archE942ELNS1_3gpuE9ELNS1_3repE0EEENS1_30default_config_static_selectorELNS0_4arch9wavefront6targetE1EEEvT1_
    .private_segment_fixed_size: 0
    .sgpr_count:     4
    .sgpr_spill_count: 0
    .symbol:         _ZN7rocprim17ROCPRIM_400000_NS6detail17trampoline_kernelINS0_14default_configENS1_25partition_config_selectorILNS1_17partition_subalgoE9EllbEEZZNS1_14partition_implILS5_9ELb0ES3_jPlS8_PNS0_10empty_typeENS0_5tupleIJS8_S9_EEENSB_IJS8_SA_EEENS0_18inequality_wrapperIZN2at6native12_GLOBAL__N_124unique_dim_cuda_templateIsEESt5tupleIJNSF_6TensorESK_SK_EERKSK_lbbbEUlllE0_EEPmJS9_EEE10hipError_tPvRmT3_T4_T5_T6_T7_T9_mT8_P12ihipStream_tbDpT10_ENKUlT_T0_E_clISt17integral_constantIbLb1EES1A_EEDaS15_S16_EUlS15_E_NS1_11comp_targetILNS1_3genE5ELNS1_11target_archE942ELNS1_3gpuE9ELNS1_3repE0EEENS1_30default_config_static_selectorELNS0_4arch9wavefront6targetE1EEEvT1_.kd
    .uniform_work_group_size: 1
    .uses_dynamic_stack: false
    .vgpr_count:     0
    .vgpr_spill_count: 0
    .wavefront_size: 64
  - .agpr_count:     0
    .args:
      - .offset:         0
        .size:           136
        .value_kind:     by_value
    .group_segment_fixed_size: 4236
    .kernarg_segment_align: 8
    .kernarg_segment_size: 136
    .language:       OpenCL C
    .language_version:
      - 2
      - 0
    .max_flat_workgroup_size: 128
    .name:           _ZN7rocprim17ROCPRIM_400000_NS6detail17trampoline_kernelINS0_14default_configENS1_25partition_config_selectorILNS1_17partition_subalgoE9EllbEEZZNS1_14partition_implILS5_9ELb0ES3_jPlS8_PNS0_10empty_typeENS0_5tupleIJS8_S9_EEENSB_IJS8_SA_EEENS0_18inequality_wrapperIZN2at6native12_GLOBAL__N_124unique_dim_cuda_templateIsEESt5tupleIJNSF_6TensorESK_SK_EERKSK_lbbbEUlllE0_EEPmJS9_EEE10hipError_tPvRmT3_T4_T5_T6_T7_T9_mT8_P12ihipStream_tbDpT10_ENKUlT_T0_E_clISt17integral_constantIbLb1EES1A_EEDaS15_S16_EUlS15_E_NS1_11comp_targetILNS1_3genE4ELNS1_11target_archE910ELNS1_3gpuE8ELNS1_3repE0EEENS1_30default_config_static_selectorELNS0_4arch9wavefront6targetE1EEEvT1_
    .private_segment_fixed_size: 0
    .sgpr_count:     56
    .sgpr_spill_count: 0
    .symbol:         _ZN7rocprim17ROCPRIM_400000_NS6detail17trampoline_kernelINS0_14default_configENS1_25partition_config_selectorILNS1_17partition_subalgoE9EllbEEZZNS1_14partition_implILS5_9ELb0ES3_jPlS8_PNS0_10empty_typeENS0_5tupleIJS8_S9_EEENSB_IJS8_SA_EEENS0_18inequality_wrapperIZN2at6native12_GLOBAL__N_124unique_dim_cuda_templateIsEESt5tupleIJNSF_6TensorESK_SK_EERKSK_lbbbEUlllE0_EEPmJS9_EEE10hipError_tPvRmT3_T4_T5_T6_T7_T9_mT8_P12ihipStream_tbDpT10_ENKUlT_T0_E_clISt17integral_constantIbLb1EES1A_EEDaS15_S16_EUlS15_E_NS1_11comp_targetILNS1_3genE4ELNS1_11target_archE910ELNS1_3gpuE8ELNS1_3repE0EEENS1_30default_config_static_selectorELNS0_4arch9wavefront6targetE1EEEvT1_.kd
    .uniform_work_group_size: 1
    .uses_dynamic_stack: false
    .vgpr_count:     50
    .vgpr_spill_count: 0
    .wavefront_size: 64
  - .agpr_count:     0
    .args:
      - .offset:         0
        .size:           136
        .value_kind:     by_value
    .group_segment_fixed_size: 0
    .kernarg_segment_align: 8
    .kernarg_segment_size: 136
    .language:       OpenCL C
    .language_version:
      - 2
      - 0
    .max_flat_workgroup_size: 128
    .name:           _ZN7rocprim17ROCPRIM_400000_NS6detail17trampoline_kernelINS0_14default_configENS1_25partition_config_selectorILNS1_17partition_subalgoE9EllbEEZZNS1_14partition_implILS5_9ELb0ES3_jPlS8_PNS0_10empty_typeENS0_5tupleIJS8_S9_EEENSB_IJS8_SA_EEENS0_18inequality_wrapperIZN2at6native12_GLOBAL__N_124unique_dim_cuda_templateIsEESt5tupleIJNSF_6TensorESK_SK_EERKSK_lbbbEUlllE0_EEPmJS9_EEE10hipError_tPvRmT3_T4_T5_T6_T7_T9_mT8_P12ihipStream_tbDpT10_ENKUlT_T0_E_clISt17integral_constantIbLb1EES1A_EEDaS15_S16_EUlS15_E_NS1_11comp_targetILNS1_3genE3ELNS1_11target_archE908ELNS1_3gpuE7ELNS1_3repE0EEENS1_30default_config_static_selectorELNS0_4arch9wavefront6targetE1EEEvT1_
    .private_segment_fixed_size: 0
    .sgpr_count:     4
    .sgpr_spill_count: 0
    .symbol:         _ZN7rocprim17ROCPRIM_400000_NS6detail17trampoline_kernelINS0_14default_configENS1_25partition_config_selectorILNS1_17partition_subalgoE9EllbEEZZNS1_14partition_implILS5_9ELb0ES3_jPlS8_PNS0_10empty_typeENS0_5tupleIJS8_S9_EEENSB_IJS8_SA_EEENS0_18inequality_wrapperIZN2at6native12_GLOBAL__N_124unique_dim_cuda_templateIsEESt5tupleIJNSF_6TensorESK_SK_EERKSK_lbbbEUlllE0_EEPmJS9_EEE10hipError_tPvRmT3_T4_T5_T6_T7_T9_mT8_P12ihipStream_tbDpT10_ENKUlT_T0_E_clISt17integral_constantIbLb1EES1A_EEDaS15_S16_EUlS15_E_NS1_11comp_targetILNS1_3genE3ELNS1_11target_archE908ELNS1_3gpuE7ELNS1_3repE0EEENS1_30default_config_static_selectorELNS0_4arch9wavefront6targetE1EEEvT1_.kd
    .uniform_work_group_size: 1
    .uses_dynamic_stack: false
    .vgpr_count:     0
    .vgpr_spill_count: 0
    .wavefront_size: 64
  - .agpr_count:     0
    .args:
      - .offset:         0
        .size:           136
        .value_kind:     by_value
    .group_segment_fixed_size: 0
    .kernarg_segment_align: 8
    .kernarg_segment_size: 136
    .language:       OpenCL C
    .language_version:
      - 2
      - 0
    .max_flat_workgroup_size: 192
    .name:           _ZN7rocprim17ROCPRIM_400000_NS6detail17trampoline_kernelINS0_14default_configENS1_25partition_config_selectorILNS1_17partition_subalgoE9EllbEEZZNS1_14partition_implILS5_9ELb0ES3_jPlS8_PNS0_10empty_typeENS0_5tupleIJS8_S9_EEENSB_IJS8_SA_EEENS0_18inequality_wrapperIZN2at6native12_GLOBAL__N_124unique_dim_cuda_templateIsEESt5tupleIJNSF_6TensorESK_SK_EERKSK_lbbbEUlllE0_EEPmJS9_EEE10hipError_tPvRmT3_T4_T5_T6_T7_T9_mT8_P12ihipStream_tbDpT10_ENKUlT_T0_E_clISt17integral_constantIbLb1EES1A_EEDaS15_S16_EUlS15_E_NS1_11comp_targetILNS1_3genE2ELNS1_11target_archE906ELNS1_3gpuE6ELNS1_3repE0EEENS1_30default_config_static_selectorELNS0_4arch9wavefront6targetE1EEEvT1_
    .private_segment_fixed_size: 0
    .sgpr_count:     4
    .sgpr_spill_count: 0
    .symbol:         _ZN7rocprim17ROCPRIM_400000_NS6detail17trampoline_kernelINS0_14default_configENS1_25partition_config_selectorILNS1_17partition_subalgoE9EllbEEZZNS1_14partition_implILS5_9ELb0ES3_jPlS8_PNS0_10empty_typeENS0_5tupleIJS8_S9_EEENSB_IJS8_SA_EEENS0_18inequality_wrapperIZN2at6native12_GLOBAL__N_124unique_dim_cuda_templateIsEESt5tupleIJNSF_6TensorESK_SK_EERKSK_lbbbEUlllE0_EEPmJS9_EEE10hipError_tPvRmT3_T4_T5_T6_T7_T9_mT8_P12ihipStream_tbDpT10_ENKUlT_T0_E_clISt17integral_constantIbLb1EES1A_EEDaS15_S16_EUlS15_E_NS1_11comp_targetILNS1_3genE2ELNS1_11target_archE906ELNS1_3gpuE6ELNS1_3repE0EEENS1_30default_config_static_selectorELNS0_4arch9wavefront6targetE1EEEvT1_.kd
    .uniform_work_group_size: 1
    .uses_dynamic_stack: false
    .vgpr_count:     0
    .vgpr_spill_count: 0
    .wavefront_size: 64
  - .agpr_count:     0
    .args:
      - .offset:         0
        .size:           136
        .value_kind:     by_value
    .group_segment_fixed_size: 0
    .kernarg_segment_align: 8
    .kernarg_segment_size: 136
    .language:       OpenCL C
    .language_version:
      - 2
      - 0
    .max_flat_workgroup_size: 384
    .name:           _ZN7rocprim17ROCPRIM_400000_NS6detail17trampoline_kernelINS0_14default_configENS1_25partition_config_selectorILNS1_17partition_subalgoE9EllbEEZZNS1_14partition_implILS5_9ELb0ES3_jPlS8_PNS0_10empty_typeENS0_5tupleIJS8_S9_EEENSB_IJS8_SA_EEENS0_18inequality_wrapperIZN2at6native12_GLOBAL__N_124unique_dim_cuda_templateIsEESt5tupleIJNSF_6TensorESK_SK_EERKSK_lbbbEUlllE0_EEPmJS9_EEE10hipError_tPvRmT3_T4_T5_T6_T7_T9_mT8_P12ihipStream_tbDpT10_ENKUlT_T0_E_clISt17integral_constantIbLb1EES1A_EEDaS15_S16_EUlS15_E_NS1_11comp_targetILNS1_3genE10ELNS1_11target_archE1200ELNS1_3gpuE4ELNS1_3repE0EEENS1_30default_config_static_selectorELNS0_4arch9wavefront6targetE1EEEvT1_
    .private_segment_fixed_size: 0
    .sgpr_count:     4
    .sgpr_spill_count: 0
    .symbol:         _ZN7rocprim17ROCPRIM_400000_NS6detail17trampoline_kernelINS0_14default_configENS1_25partition_config_selectorILNS1_17partition_subalgoE9EllbEEZZNS1_14partition_implILS5_9ELb0ES3_jPlS8_PNS0_10empty_typeENS0_5tupleIJS8_S9_EEENSB_IJS8_SA_EEENS0_18inequality_wrapperIZN2at6native12_GLOBAL__N_124unique_dim_cuda_templateIsEESt5tupleIJNSF_6TensorESK_SK_EERKSK_lbbbEUlllE0_EEPmJS9_EEE10hipError_tPvRmT3_T4_T5_T6_T7_T9_mT8_P12ihipStream_tbDpT10_ENKUlT_T0_E_clISt17integral_constantIbLb1EES1A_EEDaS15_S16_EUlS15_E_NS1_11comp_targetILNS1_3genE10ELNS1_11target_archE1200ELNS1_3gpuE4ELNS1_3repE0EEENS1_30default_config_static_selectorELNS0_4arch9wavefront6targetE1EEEvT1_.kd
    .uniform_work_group_size: 1
    .uses_dynamic_stack: false
    .vgpr_count:     0
    .vgpr_spill_count: 0
    .wavefront_size: 64
  - .agpr_count:     0
    .args:
      - .offset:         0
        .size:           136
        .value_kind:     by_value
    .group_segment_fixed_size: 0
    .kernarg_segment_align: 8
    .kernarg_segment_size: 136
    .language:       OpenCL C
    .language_version:
      - 2
      - 0
    .max_flat_workgroup_size: 512
    .name:           _ZN7rocprim17ROCPRIM_400000_NS6detail17trampoline_kernelINS0_14default_configENS1_25partition_config_selectorILNS1_17partition_subalgoE9EllbEEZZNS1_14partition_implILS5_9ELb0ES3_jPlS8_PNS0_10empty_typeENS0_5tupleIJS8_S9_EEENSB_IJS8_SA_EEENS0_18inequality_wrapperIZN2at6native12_GLOBAL__N_124unique_dim_cuda_templateIsEESt5tupleIJNSF_6TensorESK_SK_EERKSK_lbbbEUlllE0_EEPmJS9_EEE10hipError_tPvRmT3_T4_T5_T6_T7_T9_mT8_P12ihipStream_tbDpT10_ENKUlT_T0_E_clISt17integral_constantIbLb1EES1A_EEDaS15_S16_EUlS15_E_NS1_11comp_targetILNS1_3genE9ELNS1_11target_archE1100ELNS1_3gpuE3ELNS1_3repE0EEENS1_30default_config_static_selectorELNS0_4arch9wavefront6targetE1EEEvT1_
    .private_segment_fixed_size: 0
    .sgpr_count:     4
    .sgpr_spill_count: 0
    .symbol:         _ZN7rocprim17ROCPRIM_400000_NS6detail17trampoline_kernelINS0_14default_configENS1_25partition_config_selectorILNS1_17partition_subalgoE9EllbEEZZNS1_14partition_implILS5_9ELb0ES3_jPlS8_PNS0_10empty_typeENS0_5tupleIJS8_S9_EEENSB_IJS8_SA_EEENS0_18inequality_wrapperIZN2at6native12_GLOBAL__N_124unique_dim_cuda_templateIsEESt5tupleIJNSF_6TensorESK_SK_EERKSK_lbbbEUlllE0_EEPmJS9_EEE10hipError_tPvRmT3_T4_T5_T6_T7_T9_mT8_P12ihipStream_tbDpT10_ENKUlT_T0_E_clISt17integral_constantIbLb1EES1A_EEDaS15_S16_EUlS15_E_NS1_11comp_targetILNS1_3genE9ELNS1_11target_archE1100ELNS1_3gpuE3ELNS1_3repE0EEENS1_30default_config_static_selectorELNS0_4arch9wavefront6targetE1EEEvT1_.kd
    .uniform_work_group_size: 1
    .uses_dynamic_stack: false
    .vgpr_count:     0
    .vgpr_spill_count: 0
    .wavefront_size: 64
  - .agpr_count:     0
    .args:
      - .offset:         0
        .size:           136
        .value_kind:     by_value
    .group_segment_fixed_size: 0
    .kernarg_segment_align: 8
    .kernarg_segment_size: 136
    .language:       OpenCL C
    .language_version:
      - 2
      - 0
    .max_flat_workgroup_size: 512
    .name:           _ZN7rocprim17ROCPRIM_400000_NS6detail17trampoline_kernelINS0_14default_configENS1_25partition_config_selectorILNS1_17partition_subalgoE9EllbEEZZNS1_14partition_implILS5_9ELb0ES3_jPlS8_PNS0_10empty_typeENS0_5tupleIJS8_S9_EEENSB_IJS8_SA_EEENS0_18inequality_wrapperIZN2at6native12_GLOBAL__N_124unique_dim_cuda_templateIsEESt5tupleIJNSF_6TensorESK_SK_EERKSK_lbbbEUlllE0_EEPmJS9_EEE10hipError_tPvRmT3_T4_T5_T6_T7_T9_mT8_P12ihipStream_tbDpT10_ENKUlT_T0_E_clISt17integral_constantIbLb1EES1A_EEDaS15_S16_EUlS15_E_NS1_11comp_targetILNS1_3genE8ELNS1_11target_archE1030ELNS1_3gpuE2ELNS1_3repE0EEENS1_30default_config_static_selectorELNS0_4arch9wavefront6targetE1EEEvT1_
    .private_segment_fixed_size: 0
    .sgpr_count:     4
    .sgpr_spill_count: 0
    .symbol:         _ZN7rocprim17ROCPRIM_400000_NS6detail17trampoline_kernelINS0_14default_configENS1_25partition_config_selectorILNS1_17partition_subalgoE9EllbEEZZNS1_14partition_implILS5_9ELb0ES3_jPlS8_PNS0_10empty_typeENS0_5tupleIJS8_S9_EEENSB_IJS8_SA_EEENS0_18inequality_wrapperIZN2at6native12_GLOBAL__N_124unique_dim_cuda_templateIsEESt5tupleIJNSF_6TensorESK_SK_EERKSK_lbbbEUlllE0_EEPmJS9_EEE10hipError_tPvRmT3_T4_T5_T6_T7_T9_mT8_P12ihipStream_tbDpT10_ENKUlT_T0_E_clISt17integral_constantIbLb1EES1A_EEDaS15_S16_EUlS15_E_NS1_11comp_targetILNS1_3genE8ELNS1_11target_archE1030ELNS1_3gpuE2ELNS1_3repE0EEENS1_30default_config_static_selectorELNS0_4arch9wavefront6targetE1EEEvT1_.kd
    .uniform_work_group_size: 1
    .uses_dynamic_stack: false
    .vgpr_count:     0
    .vgpr_spill_count: 0
    .wavefront_size: 64
  - .agpr_count:     0
    .args:
      - .offset:         0
        .size:           120
        .value_kind:     by_value
    .group_segment_fixed_size: 0
    .kernarg_segment_align: 8
    .kernarg_segment_size: 120
    .language:       OpenCL C
    .language_version:
      - 2
      - 0
    .max_flat_workgroup_size: 128
    .name:           _ZN7rocprim17ROCPRIM_400000_NS6detail17trampoline_kernelINS0_14default_configENS1_25partition_config_selectorILNS1_17partition_subalgoE9EllbEEZZNS1_14partition_implILS5_9ELb0ES3_jPlS8_PNS0_10empty_typeENS0_5tupleIJS8_S9_EEENSB_IJS8_SA_EEENS0_18inequality_wrapperIZN2at6native12_GLOBAL__N_124unique_dim_cuda_templateIsEESt5tupleIJNSF_6TensorESK_SK_EERKSK_lbbbEUlllE0_EEPmJS9_EEE10hipError_tPvRmT3_T4_T5_T6_T7_T9_mT8_P12ihipStream_tbDpT10_ENKUlT_T0_E_clISt17integral_constantIbLb1EES19_IbLb0EEEEDaS15_S16_EUlS15_E_NS1_11comp_targetILNS1_3genE0ELNS1_11target_archE4294967295ELNS1_3gpuE0ELNS1_3repE0EEENS1_30default_config_static_selectorELNS0_4arch9wavefront6targetE1EEEvT1_
    .private_segment_fixed_size: 0
    .sgpr_count:     4
    .sgpr_spill_count: 0
    .symbol:         _ZN7rocprim17ROCPRIM_400000_NS6detail17trampoline_kernelINS0_14default_configENS1_25partition_config_selectorILNS1_17partition_subalgoE9EllbEEZZNS1_14partition_implILS5_9ELb0ES3_jPlS8_PNS0_10empty_typeENS0_5tupleIJS8_S9_EEENSB_IJS8_SA_EEENS0_18inequality_wrapperIZN2at6native12_GLOBAL__N_124unique_dim_cuda_templateIsEESt5tupleIJNSF_6TensorESK_SK_EERKSK_lbbbEUlllE0_EEPmJS9_EEE10hipError_tPvRmT3_T4_T5_T6_T7_T9_mT8_P12ihipStream_tbDpT10_ENKUlT_T0_E_clISt17integral_constantIbLb1EES19_IbLb0EEEEDaS15_S16_EUlS15_E_NS1_11comp_targetILNS1_3genE0ELNS1_11target_archE4294967295ELNS1_3gpuE0ELNS1_3repE0EEENS1_30default_config_static_selectorELNS0_4arch9wavefront6targetE1EEEvT1_.kd
    .uniform_work_group_size: 1
    .uses_dynamic_stack: false
    .vgpr_count:     0
    .vgpr_spill_count: 0
    .wavefront_size: 64
  - .agpr_count:     0
    .args:
      - .offset:         0
        .size:           120
        .value_kind:     by_value
    .group_segment_fixed_size: 0
    .kernarg_segment_align: 8
    .kernarg_segment_size: 120
    .language:       OpenCL C
    .language_version:
      - 2
      - 0
    .max_flat_workgroup_size: 512
    .name:           _ZN7rocprim17ROCPRIM_400000_NS6detail17trampoline_kernelINS0_14default_configENS1_25partition_config_selectorILNS1_17partition_subalgoE9EllbEEZZNS1_14partition_implILS5_9ELb0ES3_jPlS8_PNS0_10empty_typeENS0_5tupleIJS8_S9_EEENSB_IJS8_SA_EEENS0_18inequality_wrapperIZN2at6native12_GLOBAL__N_124unique_dim_cuda_templateIsEESt5tupleIJNSF_6TensorESK_SK_EERKSK_lbbbEUlllE0_EEPmJS9_EEE10hipError_tPvRmT3_T4_T5_T6_T7_T9_mT8_P12ihipStream_tbDpT10_ENKUlT_T0_E_clISt17integral_constantIbLb1EES19_IbLb0EEEEDaS15_S16_EUlS15_E_NS1_11comp_targetILNS1_3genE5ELNS1_11target_archE942ELNS1_3gpuE9ELNS1_3repE0EEENS1_30default_config_static_selectorELNS0_4arch9wavefront6targetE1EEEvT1_
    .private_segment_fixed_size: 0
    .sgpr_count:     4
    .sgpr_spill_count: 0
    .symbol:         _ZN7rocprim17ROCPRIM_400000_NS6detail17trampoline_kernelINS0_14default_configENS1_25partition_config_selectorILNS1_17partition_subalgoE9EllbEEZZNS1_14partition_implILS5_9ELb0ES3_jPlS8_PNS0_10empty_typeENS0_5tupleIJS8_S9_EEENSB_IJS8_SA_EEENS0_18inequality_wrapperIZN2at6native12_GLOBAL__N_124unique_dim_cuda_templateIsEESt5tupleIJNSF_6TensorESK_SK_EERKSK_lbbbEUlllE0_EEPmJS9_EEE10hipError_tPvRmT3_T4_T5_T6_T7_T9_mT8_P12ihipStream_tbDpT10_ENKUlT_T0_E_clISt17integral_constantIbLb1EES19_IbLb0EEEEDaS15_S16_EUlS15_E_NS1_11comp_targetILNS1_3genE5ELNS1_11target_archE942ELNS1_3gpuE9ELNS1_3repE0EEENS1_30default_config_static_selectorELNS0_4arch9wavefront6targetE1EEEvT1_.kd
    .uniform_work_group_size: 1
    .uses_dynamic_stack: false
    .vgpr_count:     0
    .vgpr_spill_count: 0
    .wavefront_size: 64
  - .agpr_count:     0
    .args:
      - .offset:         0
        .size:           120
        .value_kind:     by_value
    .group_segment_fixed_size: 4236
    .kernarg_segment_align: 8
    .kernarg_segment_size: 120
    .language:       OpenCL C
    .language_version:
      - 2
      - 0
    .max_flat_workgroup_size: 128
    .name:           _ZN7rocprim17ROCPRIM_400000_NS6detail17trampoline_kernelINS0_14default_configENS1_25partition_config_selectorILNS1_17partition_subalgoE9EllbEEZZNS1_14partition_implILS5_9ELb0ES3_jPlS8_PNS0_10empty_typeENS0_5tupleIJS8_S9_EEENSB_IJS8_SA_EEENS0_18inequality_wrapperIZN2at6native12_GLOBAL__N_124unique_dim_cuda_templateIsEESt5tupleIJNSF_6TensorESK_SK_EERKSK_lbbbEUlllE0_EEPmJS9_EEE10hipError_tPvRmT3_T4_T5_T6_T7_T9_mT8_P12ihipStream_tbDpT10_ENKUlT_T0_E_clISt17integral_constantIbLb1EES19_IbLb0EEEEDaS15_S16_EUlS15_E_NS1_11comp_targetILNS1_3genE4ELNS1_11target_archE910ELNS1_3gpuE8ELNS1_3repE0EEENS1_30default_config_static_selectorELNS0_4arch9wavefront6targetE1EEEvT1_
    .private_segment_fixed_size: 0
    .sgpr_count:     50
    .sgpr_spill_count: 0
    .symbol:         _ZN7rocprim17ROCPRIM_400000_NS6detail17trampoline_kernelINS0_14default_configENS1_25partition_config_selectorILNS1_17partition_subalgoE9EllbEEZZNS1_14partition_implILS5_9ELb0ES3_jPlS8_PNS0_10empty_typeENS0_5tupleIJS8_S9_EEENSB_IJS8_SA_EEENS0_18inequality_wrapperIZN2at6native12_GLOBAL__N_124unique_dim_cuda_templateIsEESt5tupleIJNSF_6TensorESK_SK_EERKSK_lbbbEUlllE0_EEPmJS9_EEE10hipError_tPvRmT3_T4_T5_T6_T7_T9_mT8_P12ihipStream_tbDpT10_ENKUlT_T0_E_clISt17integral_constantIbLb1EES19_IbLb0EEEEDaS15_S16_EUlS15_E_NS1_11comp_targetILNS1_3genE4ELNS1_11target_archE910ELNS1_3gpuE8ELNS1_3repE0EEENS1_30default_config_static_selectorELNS0_4arch9wavefront6targetE1EEEvT1_.kd
    .uniform_work_group_size: 1
    .uses_dynamic_stack: false
    .vgpr_count:     50
    .vgpr_spill_count: 0
    .wavefront_size: 64
  - .agpr_count:     0
    .args:
      - .offset:         0
        .size:           120
        .value_kind:     by_value
    .group_segment_fixed_size: 0
    .kernarg_segment_align: 8
    .kernarg_segment_size: 120
    .language:       OpenCL C
    .language_version:
      - 2
      - 0
    .max_flat_workgroup_size: 128
    .name:           _ZN7rocprim17ROCPRIM_400000_NS6detail17trampoline_kernelINS0_14default_configENS1_25partition_config_selectorILNS1_17partition_subalgoE9EllbEEZZNS1_14partition_implILS5_9ELb0ES3_jPlS8_PNS0_10empty_typeENS0_5tupleIJS8_S9_EEENSB_IJS8_SA_EEENS0_18inequality_wrapperIZN2at6native12_GLOBAL__N_124unique_dim_cuda_templateIsEESt5tupleIJNSF_6TensorESK_SK_EERKSK_lbbbEUlllE0_EEPmJS9_EEE10hipError_tPvRmT3_T4_T5_T6_T7_T9_mT8_P12ihipStream_tbDpT10_ENKUlT_T0_E_clISt17integral_constantIbLb1EES19_IbLb0EEEEDaS15_S16_EUlS15_E_NS1_11comp_targetILNS1_3genE3ELNS1_11target_archE908ELNS1_3gpuE7ELNS1_3repE0EEENS1_30default_config_static_selectorELNS0_4arch9wavefront6targetE1EEEvT1_
    .private_segment_fixed_size: 0
    .sgpr_count:     4
    .sgpr_spill_count: 0
    .symbol:         _ZN7rocprim17ROCPRIM_400000_NS6detail17trampoline_kernelINS0_14default_configENS1_25partition_config_selectorILNS1_17partition_subalgoE9EllbEEZZNS1_14partition_implILS5_9ELb0ES3_jPlS8_PNS0_10empty_typeENS0_5tupleIJS8_S9_EEENSB_IJS8_SA_EEENS0_18inequality_wrapperIZN2at6native12_GLOBAL__N_124unique_dim_cuda_templateIsEESt5tupleIJNSF_6TensorESK_SK_EERKSK_lbbbEUlllE0_EEPmJS9_EEE10hipError_tPvRmT3_T4_T5_T6_T7_T9_mT8_P12ihipStream_tbDpT10_ENKUlT_T0_E_clISt17integral_constantIbLb1EES19_IbLb0EEEEDaS15_S16_EUlS15_E_NS1_11comp_targetILNS1_3genE3ELNS1_11target_archE908ELNS1_3gpuE7ELNS1_3repE0EEENS1_30default_config_static_selectorELNS0_4arch9wavefront6targetE1EEEvT1_.kd
    .uniform_work_group_size: 1
    .uses_dynamic_stack: false
    .vgpr_count:     0
    .vgpr_spill_count: 0
    .wavefront_size: 64
  - .agpr_count:     0
    .args:
      - .offset:         0
        .size:           120
        .value_kind:     by_value
    .group_segment_fixed_size: 0
    .kernarg_segment_align: 8
    .kernarg_segment_size: 120
    .language:       OpenCL C
    .language_version:
      - 2
      - 0
    .max_flat_workgroup_size: 192
    .name:           _ZN7rocprim17ROCPRIM_400000_NS6detail17trampoline_kernelINS0_14default_configENS1_25partition_config_selectorILNS1_17partition_subalgoE9EllbEEZZNS1_14partition_implILS5_9ELb0ES3_jPlS8_PNS0_10empty_typeENS0_5tupleIJS8_S9_EEENSB_IJS8_SA_EEENS0_18inequality_wrapperIZN2at6native12_GLOBAL__N_124unique_dim_cuda_templateIsEESt5tupleIJNSF_6TensorESK_SK_EERKSK_lbbbEUlllE0_EEPmJS9_EEE10hipError_tPvRmT3_T4_T5_T6_T7_T9_mT8_P12ihipStream_tbDpT10_ENKUlT_T0_E_clISt17integral_constantIbLb1EES19_IbLb0EEEEDaS15_S16_EUlS15_E_NS1_11comp_targetILNS1_3genE2ELNS1_11target_archE906ELNS1_3gpuE6ELNS1_3repE0EEENS1_30default_config_static_selectorELNS0_4arch9wavefront6targetE1EEEvT1_
    .private_segment_fixed_size: 0
    .sgpr_count:     4
    .sgpr_spill_count: 0
    .symbol:         _ZN7rocprim17ROCPRIM_400000_NS6detail17trampoline_kernelINS0_14default_configENS1_25partition_config_selectorILNS1_17partition_subalgoE9EllbEEZZNS1_14partition_implILS5_9ELb0ES3_jPlS8_PNS0_10empty_typeENS0_5tupleIJS8_S9_EEENSB_IJS8_SA_EEENS0_18inequality_wrapperIZN2at6native12_GLOBAL__N_124unique_dim_cuda_templateIsEESt5tupleIJNSF_6TensorESK_SK_EERKSK_lbbbEUlllE0_EEPmJS9_EEE10hipError_tPvRmT3_T4_T5_T6_T7_T9_mT8_P12ihipStream_tbDpT10_ENKUlT_T0_E_clISt17integral_constantIbLb1EES19_IbLb0EEEEDaS15_S16_EUlS15_E_NS1_11comp_targetILNS1_3genE2ELNS1_11target_archE906ELNS1_3gpuE6ELNS1_3repE0EEENS1_30default_config_static_selectorELNS0_4arch9wavefront6targetE1EEEvT1_.kd
    .uniform_work_group_size: 1
    .uses_dynamic_stack: false
    .vgpr_count:     0
    .vgpr_spill_count: 0
    .wavefront_size: 64
  - .agpr_count:     0
    .args:
      - .offset:         0
        .size:           120
        .value_kind:     by_value
    .group_segment_fixed_size: 0
    .kernarg_segment_align: 8
    .kernarg_segment_size: 120
    .language:       OpenCL C
    .language_version:
      - 2
      - 0
    .max_flat_workgroup_size: 384
    .name:           _ZN7rocprim17ROCPRIM_400000_NS6detail17trampoline_kernelINS0_14default_configENS1_25partition_config_selectorILNS1_17partition_subalgoE9EllbEEZZNS1_14partition_implILS5_9ELb0ES3_jPlS8_PNS0_10empty_typeENS0_5tupleIJS8_S9_EEENSB_IJS8_SA_EEENS0_18inequality_wrapperIZN2at6native12_GLOBAL__N_124unique_dim_cuda_templateIsEESt5tupleIJNSF_6TensorESK_SK_EERKSK_lbbbEUlllE0_EEPmJS9_EEE10hipError_tPvRmT3_T4_T5_T6_T7_T9_mT8_P12ihipStream_tbDpT10_ENKUlT_T0_E_clISt17integral_constantIbLb1EES19_IbLb0EEEEDaS15_S16_EUlS15_E_NS1_11comp_targetILNS1_3genE10ELNS1_11target_archE1200ELNS1_3gpuE4ELNS1_3repE0EEENS1_30default_config_static_selectorELNS0_4arch9wavefront6targetE1EEEvT1_
    .private_segment_fixed_size: 0
    .sgpr_count:     4
    .sgpr_spill_count: 0
    .symbol:         _ZN7rocprim17ROCPRIM_400000_NS6detail17trampoline_kernelINS0_14default_configENS1_25partition_config_selectorILNS1_17partition_subalgoE9EllbEEZZNS1_14partition_implILS5_9ELb0ES3_jPlS8_PNS0_10empty_typeENS0_5tupleIJS8_S9_EEENSB_IJS8_SA_EEENS0_18inequality_wrapperIZN2at6native12_GLOBAL__N_124unique_dim_cuda_templateIsEESt5tupleIJNSF_6TensorESK_SK_EERKSK_lbbbEUlllE0_EEPmJS9_EEE10hipError_tPvRmT3_T4_T5_T6_T7_T9_mT8_P12ihipStream_tbDpT10_ENKUlT_T0_E_clISt17integral_constantIbLb1EES19_IbLb0EEEEDaS15_S16_EUlS15_E_NS1_11comp_targetILNS1_3genE10ELNS1_11target_archE1200ELNS1_3gpuE4ELNS1_3repE0EEENS1_30default_config_static_selectorELNS0_4arch9wavefront6targetE1EEEvT1_.kd
    .uniform_work_group_size: 1
    .uses_dynamic_stack: false
    .vgpr_count:     0
    .vgpr_spill_count: 0
    .wavefront_size: 64
  - .agpr_count:     0
    .args:
      - .offset:         0
        .size:           120
        .value_kind:     by_value
    .group_segment_fixed_size: 0
    .kernarg_segment_align: 8
    .kernarg_segment_size: 120
    .language:       OpenCL C
    .language_version:
      - 2
      - 0
    .max_flat_workgroup_size: 512
    .name:           _ZN7rocprim17ROCPRIM_400000_NS6detail17trampoline_kernelINS0_14default_configENS1_25partition_config_selectorILNS1_17partition_subalgoE9EllbEEZZNS1_14partition_implILS5_9ELb0ES3_jPlS8_PNS0_10empty_typeENS0_5tupleIJS8_S9_EEENSB_IJS8_SA_EEENS0_18inequality_wrapperIZN2at6native12_GLOBAL__N_124unique_dim_cuda_templateIsEESt5tupleIJNSF_6TensorESK_SK_EERKSK_lbbbEUlllE0_EEPmJS9_EEE10hipError_tPvRmT3_T4_T5_T6_T7_T9_mT8_P12ihipStream_tbDpT10_ENKUlT_T0_E_clISt17integral_constantIbLb1EES19_IbLb0EEEEDaS15_S16_EUlS15_E_NS1_11comp_targetILNS1_3genE9ELNS1_11target_archE1100ELNS1_3gpuE3ELNS1_3repE0EEENS1_30default_config_static_selectorELNS0_4arch9wavefront6targetE1EEEvT1_
    .private_segment_fixed_size: 0
    .sgpr_count:     4
    .sgpr_spill_count: 0
    .symbol:         _ZN7rocprim17ROCPRIM_400000_NS6detail17trampoline_kernelINS0_14default_configENS1_25partition_config_selectorILNS1_17partition_subalgoE9EllbEEZZNS1_14partition_implILS5_9ELb0ES3_jPlS8_PNS0_10empty_typeENS0_5tupleIJS8_S9_EEENSB_IJS8_SA_EEENS0_18inequality_wrapperIZN2at6native12_GLOBAL__N_124unique_dim_cuda_templateIsEESt5tupleIJNSF_6TensorESK_SK_EERKSK_lbbbEUlllE0_EEPmJS9_EEE10hipError_tPvRmT3_T4_T5_T6_T7_T9_mT8_P12ihipStream_tbDpT10_ENKUlT_T0_E_clISt17integral_constantIbLb1EES19_IbLb0EEEEDaS15_S16_EUlS15_E_NS1_11comp_targetILNS1_3genE9ELNS1_11target_archE1100ELNS1_3gpuE3ELNS1_3repE0EEENS1_30default_config_static_selectorELNS0_4arch9wavefront6targetE1EEEvT1_.kd
    .uniform_work_group_size: 1
    .uses_dynamic_stack: false
    .vgpr_count:     0
    .vgpr_spill_count: 0
    .wavefront_size: 64
  - .agpr_count:     0
    .args:
      - .offset:         0
        .size:           120
        .value_kind:     by_value
    .group_segment_fixed_size: 0
    .kernarg_segment_align: 8
    .kernarg_segment_size: 120
    .language:       OpenCL C
    .language_version:
      - 2
      - 0
    .max_flat_workgroup_size: 512
    .name:           _ZN7rocprim17ROCPRIM_400000_NS6detail17trampoline_kernelINS0_14default_configENS1_25partition_config_selectorILNS1_17partition_subalgoE9EllbEEZZNS1_14partition_implILS5_9ELb0ES3_jPlS8_PNS0_10empty_typeENS0_5tupleIJS8_S9_EEENSB_IJS8_SA_EEENS0_18inequality_wrapperIZN2at6native12_GLOBAL__N_124unique_dim_cuda_templateIsEESt5tupleIJNSF_6TensorESK_SK_EERKSK_lbbbEUlllE0_EEPmJS9_EEE10hipError_tPvRmT3_T4_T5_T6_T7_T9_mT8_P12ihipStream_tbDpT10_ENKUlT_T0_E_clISt17integral_constantIbLb1EES19_IbLb0EEEEDaS15_S16_EUlS15_E_NS1_11comp_targetILNS1_3genE8ELNS1_11target_archE1030ELNS1_3gpuE2ELNS1_3repE0EEENS1_30default_config_static_selectorELNS0_4arch9wavefront6targetE1EEEvT1_
    .private_segment_fixed_size: 0
    .sgpr_count:     4
    .sgpr_spill_count: 0
    .symbol:         _ZN7rocprim17ROCPRIM_400000_NS6detail17trampoline_kernelINS0_14default_configENS1_25partition_config_selectorILNS1_17partition_subalgoE9EllbEEZZNS1_14partition_implILS5_9ELb0ES3_jPlS8_PNS0_10empty_typeENS0_5tupleIJS8_S9_EEENSB_IJS8_SA_EEENS0_18inequality_wrapperIZN2at6native12_GLOBAL__N_124unique_dim_cuda_templateIsEESt5tupleIJNSF_6TensorESK_SK_EERKSK_lbbbEUlllE0_EEPmJS9_EEE10hipError_tPvRmT3_T4_T5_T6_T7_T9_mT8_P12ihipStream_tbDpT10_ENKUlT_T0_E_clISt17integral_constantIbLb1EES19_IbLb0EEEEDaS15_S16_EUlS15_E_NS1_11comp_targetILNS1_3genE8ELNS1_11target_archE1030ELNS1_3gpuE2ELNS1_3repE0EEENS1_30default_config_static_selectorELNS0_4arch9wavefront6targetE1EEEvT1_.kd
    .uniform_work_group_size: 1
    .uses_dynamic_stack: false
    .vgpr_count:     0
    .vgpr_spill_count: 0
    .wavefront_size: 64
  - .agpr_count:     0
    .args:
      - .offset:         0
        .size:           136
        .value_kind:     by_value
    .group_segment_fixed_size: 0
    .kernarg_segment_align: 8
    .kernarg_segment_size: 136
    .language:       OpenCL C
    .language_version:
      - 2
      - 0
    .max_flat_workgroup_size: 128
    .name:           _ZN7rocprim17ROCPRIM_400000_NS6detail17trampoline_kernelINS0_14default_configENS1_25partition_config_selectorILNS1_17partition_subalgoE9EllbEEZZNS1_14partition_implILS5_9ELb0ES3_jPlS8_PNS0_10empty_typeENS0_5tupleIJS8_S9_EEENSB_IJS8_SA_EEENS0_18inequality_wrapperIZN2at6native12_GLOBAL__N_124unique_dim_cuda_templateIsEESt5tupleIJNSF_6TensorESK_SK_EERKSK_lbbbEUlllE0_EEPmJS9_EEE10hipError_tPvRmT3_T4_T5_T6_T7_T9_mT8_P12ihipStream_tbDpT10_ENKUlT_T0_E_clISt17integral_constantIbLb0EES19_IbLb1EEEEDaS15_S16_EUlS15_E_NS1_11comp_targetILNS1_3genE0ELNS1_11target_archE4294967295ELNS1_3gpuE0ELNS1_3repE0EEENS1_30default_config_static_selectorELNS0_4arch9wavefront6targetE1EEEvT1_
    .private_segment_fixed_size: 0
    .sgpr_count:     4
    .sgpr_spill_count: 0
    .symbol:         _ZN7rocprim17ROCPRIM_400000_NS6detail17trampoline_kernelINS0_14default_configENS1_25partition_config_selectorILNS1_17partition_subalgoE9EllbEEZZNS1_14partition_implILS5_9ELb0ES3_jPlS8_PNS0_10empty_typeENS0_5tupleIJS8_S9_EEENSB_IJS8_SA_EEENS0_18inequality_wrapperIZN2at6native12_GLOBAL__N_124unique_dim_cuda_templateIsEESt5tupleIJNSF_6TensorESK_SK_EERKSK_lbbbEUlllE0_EEPmJS9_EEE10hipError_tPvRmT3_T4_T5_T6_T7_T9_mT8_P12ihipStream_tbDpT10_ENKUlT_T0_E_clISt17integral_constantIbLb0EES19_IbLb1EEEEDaS15_S16_EUlS15_E_NS1_11comp_targetILNS1_3genE0ELNS1_11target_archE4294967295ELNS1_3gpuE0ELNS1_3repE0EEENS1_30default_config_static_selectorELNS0_4arch9wavefront6targetE1EEEvT1_.kd
    .uniform_work_group_size: 1
    .uses_dynamic_stack: false
    .vgpr_count:     0
    .vgpr_spill_count: 0
    .wavefront_size: 64
  - .agpr_count:     0
    .args:
      - .offset:         0
        .size:           136
        .value_kind:     by_value
    .group_segment_fixed_size: 0
    .kernarg_segment_align: 8
    .kernarg_segment_size: 136
    .language:       OpenCL C
    .language_version:
      - 2
      - 0
    .max_flat_workgroup_size: 512
    .name:           _ZN7rocprim17ROCPRIM_400000_NS6detail17trampoline_kernelINS0_14default_configENS1_25partition_config_selectorILNS1_17partition_subalgoE9EllbEEZZNS1_14partition_implILS5_9ELb0ES3_jPlS8_PNS0_10empty_typeENS0_5tupleIJS8_S9_EEENSB_IJS8_SA_EEENS0_18inequality_wrapperIZN2at6native12_GLOBAL__N_124unique_dim_cuda_templateIsEESt5tupleIJNSF_6TensorESK_SK_EERKSK_lbbbEUlllE0_EEPmJS9_EEE10hipError_tPvRmT3_T4_T5_T6_T7_T9_mT8_P12ihipStream_tbDpT10_ENKUlT_T0_E_clISt17integral_constantIbLb0EES19_IbLb1EEEEDaS15_S16_EUlS15_E_NS1_11comp_targetILNS1_3genE5ELNS1_11target_archE942ELNS1_3gpuE9ELNS1_3repE0EEENS1_30default_config_static_selectorELNS0_4arch9wavefront6targetE1EEEvT1_
    .private_segment_fixed_size: 0
    .sgpr_count:     4
    .sgpr_spill_count: 0
    .symbol:         _ZN7rocprim17ROCPRIM_400000_NS6detail17trampoline_kernelINS0_14default_configENS1_25partition_config_selectorILNS1_17partition_subalgoE9EllbEEZZNS1_14partition_implILS5_9ELb0ES3_jPlS8_PNS0_10empty_typeENS0_5tupleIJS8_S9_EEENSB_IJS8_SA_EEENS0_18inequality_wrapperIZN2at6native12_GLOBAL__N_124unique_dim_cuda_templateIsEESt5tupleIJNSF_6TensorESK_SK_EERKSK_lbbbEUlllE0_EEPmJS9_EEE10hipError_tPvRmT3_T4_T5_T6_T7_T9_mT8_P12ihipStream_tbDpT10_ENKUlT_T0_E_clISt17integral_constantIbLb0EES19_IbLb1EEEEDaS15_S16_EUlS15_E_NS1_11comp_targetILNS1_3genE5ELNS1_11target_archE942ELNS1_3gpuE9ELNS1_3repE0EEENS1_30default_config_static_selectorELNS0_4arch9wavefront6targetE1EEEvT1_.kd
    .uniform_work_group_size: 1
    .uses_dynamic_stack: false
    .vgpr_count:     0
    .vgpr_spill_count: 0
    .wavefront_size: 64
  - .agpr_count:     0
    .args:
      - .offset:         0
        .size:           136
        .value_kind:     by_value
    .group_segment_fixed_size: 4236
    .kernarg_segment_align: 8
    .kernarg_segment_size: 136
    .language:       OpenCL C
    .language_version:
      - 2
      - 0
    .max_flat_workgroup_size: 128
    .name:           _ZN7rocprim17ROCPRIM_400000_NS6detail17trampoline_kernelINS0_14default_configENS1_25partition_config_selectorILNS1_17partition_subalgoE9EllbEEZZNS1_14partition_implILS5_9ELb0ES3_jPlS8_PNS0_10empty_typeENS0_5tupleIJS8_S9_EEENSB_IJS8_SA_EEENS0_18inequality_wrapperIZN2at6native12_GLOBAL__N_124unique_dim_cuda_templateIsEESt5tupleIJNSF_6TensorESK_SK_EERKSK_lbbbEUlllE0_EEPmJS9_EEE10hipError_tPvRmT3_T4_T5_T6_T7_T9_mT8_P12ihipStream_tbDpT10_ENKUlT_T0_E_clISt17integral_constantIbLb0EES19_IbLb1EEEEDaS15_S16_EUlS15_E_NS1_11comp_targetILNS1_3genE4ELNS1_11target_archE910ELNS1_3gpuE8ELNS1_3repE0EEENS1_30default_config_static_selectorELNS0_4arch9wavefront6targetE1EEEvT1_
    .private_segment_fixed_size: 0
    .sgpr_count:     56
    .sgpr_spill_count: 0
    .symbol:         _ZN7rocprim17ROCPRIM_400000_NS6detail17trampoline_kernelINS0_14default_configENS1_25partition_config_selectorILNS1_17partition_subalgoE9EllbEEZZNS1_14partition_implILS5_9ELb0ES3_jPlS8_PNS0_10empty_typeENS0_5tupleIJS8_S9_EEENSB_IJS8_SA_EEENS0_18inequality_wrapperIZN2at6native12_GLOBAL__N_124unique_dim_cuda_templateIsEESt5tupleIJNSF_6TensorESK_SK_EERKSK_lbbbEUlllE0_EEPmJS9_EEE10hipError_tPvRmT3_T4_T5_T6_T7_T9_mT8_P12ihipStream_tbDpT10_ENKUlT_T0_E_clISt17integral_constantIbLb0EES19_IbLb1EEEEDaS15_S16_EUlS15_E_NS1_11comp_targetILNS1_3genE4ELNS1_11target_archE910ELNS1_3gpuE8ELNS1_3repE0EEENS1_30default_config_static_selectorELNS0_4arch9wavefront6targetE1EEEvT1_.kd
    .uniform_work_group_size: 1
    .uses_dynamic_stack: false
    .vgpr_count:     50
    .vgpr_spill_count: 0
    .wavefront_size: 64
  - .agpr_count:     0
    .args:
      - .offset:         0
        .size:           136
        .value_kind:     by_value
    .group_segment_fixed_size: 0
    .kernarg_segment_align: 8
    .kernarg_segment_size: 136
    .language:       OpenCL C
    .language_version:
      - 2
      - 0
    .max_flat_workgroup_size: 128
    .name:           _ZN7rocprim17ROCPRIM_400000_NS6detail17trampoline_kernelINS0_14default_configENS1_25partition_config_selectorILNS1_17partition_subalgoE9EllbEEZZNS1_14partition_implILS5_9ELb0ES3_jPlS8_PNS0_10empty_typeENS0_5tupleIJS8_S9_EEENSB_IJS8_SA_EEENS0_18inequality_wrapperIZN2at6native12_GLOBAL__N_124unique_dim_cuda_templateIsEESt5tupleIJNSF_6TensorESK_SK_EERKSK_lbbbEUlllE0_EEPmJS9_EEE10hipError_tPvRmT3_T4_T5_T6_T7_T9_mT8_P12ihipStream_tbDpT10_ENKUlT_T0_E_clISt17integral_constantIbLb0EES19_IbLb1EEEEDaS15_S16_EUlS15_E_NS1_11comp_targetILNS1_3genE3ELNS1_11target_archE908ELNS1_3gpuE7ELNS1_3repE0EEENS1_30default_config_static_selectorELNS0_4arch9wavefront6targetE1EEEvT1_
    .private_segment_fixed_size: 0
    .sgpr_count:     4
    .sgpr_spill_count: 0
    .symbol:         _ZN7rocprim17ROCPRIM_400000_NS6detail17trampoline_kernelINS0_14default_configENS1_25partition_config_selectorILNS1_17partition_subalgoE9EllbEEZZNS1_14partition_implILS5_9ELb0ES3_jPlS8_PNS0_10empty_typeENS0_5tupleIJS8_S9_EEENSB_IJS8_SA_EEENS0_18inequality_wrapperIZN2at6native12_GLOBAL__N_124unique_dim_cuda_templateIsEESt5tupleIJNSF_6TensorESK_SK_EERKSK_lbbbEUlllE0_EEPmJS9_EEE10hipError_tPvRmT3_T4_T5_T6_T7_T9_mT8_P12ihipStream_tbDpT10_ENKUlT_T0_E_clISt17integral_constantIbLb0EES19_IbLb1EEEEDaS15_S16_EUlS15_E_NS1_11comp_targetILNS1_3genE3ELNS1_11target_archE908ELNS1_3gpuE7ELNS1_3repE0EEENS1_30default_config_static_selectorELNS0_4arch9wavefront6targetE1EEEvT1_.kd
    .uniform_work_group_size: 1
    .uses_dynamic_stack: false
    .vgpr_count:     0
    .vgpr_spill_count: 0
    .wavefront_size: 64
  - .agpr_count:     0
    .args:
      - .offset:         0
        .size:           136
        .value_kind:     by_value
    .group_segment_fixed_size: 0
    .kernarg_segment_align: 8
    .kernarg_segment_size: 136
    .language:       OpenCL C
    .language_version:
      - 2
      - 0
    .max_flat_workgroup_size: 192
    .name:           _ZN7rocprim17ROCPRIM_400000_NS6detail17trampoline_kernelINS0_14default_configENS1_25partition_config_selectorILNS1_17partition_subalgoE9EllbEEZZNS1_14partition_implILS5_9ELb0ES3_jPlS8_PNS0_10empty_typeENS0_5tupleIJS8_S9_EEENSB_IJS8_SA_EEENS0_18inequality_wrapperIZN2at6native12_GLOBAL__N_124unique_dim_cuda_templateIsEESt5tupleIJNSF_6TensorESK_SK_EERKSK_lbbbEUlllE0_EEPmJS9_EEE10hipError_tPvRmT3_T4_T5_T6_T7_T9_mT8_P12ihipStream_tbDpT10_ENKUlT_T0_E_clISt17integral_constantIbLb0EES19_IbLb1EEEEDaS15_S16_EUlS15_E_NS1_11comp_targetILNS1_3genE2ELNS1_11target_archE906ELNS1_3gpuE6ELNS1_3repE0EEENS1_30default_config_static_selectorELNS0_4arch9wavefront6targetE1EEEvT1_
    .private_segment_fixed_size: 0
    .sgpr_count:     4
    .sgpr_spill_count: 0
    .symbol:         _ZN7rocprim17ROCPRIM_400000_NS6detail17trampoline_kernelINS0_14default_configENS1_25partition_config_selectorILNS1_17partition_subalgoE9EllbEEZZNS1_14partition_implILS5_9ELb0ES3_jPlS8_PNS0_10empty_typeENS0_5tupleIJS8_S9_EEENSB_IJS8_SA_EEENS0_18inequality_wrapperIZN2at6native12_GLOBAL__N_124unique_dim_cuda_templateIsEESt5tupleIJNSF_6TensorESK_SK_EERKSK_lbbbEUlllE0_EEPmJS9_EEE10hipError_tPvRmT3_T4_T5_T6_T7_T9_mT8_P12ihipStream_tbDpT10_ENKUlT_T0_E_clISt17integral_constantIbLb0EES19_IbLb1EEEEDaS15_S16_EUlS15_E_NS1_11comp_targetILNS1_3genE2ELNS1_11target_archE906ELNS1_3gpuE6ELNS1_3repE0EEENS1_30default_config_static_selectorELNS0_4arch9wavefront6targetE1EEEvT1_.kd
    .uniform_work_group_size: 1
    .uses_dynamic_stack: false
    .vgpr_count:     0
    .vgpr_spill_count: 0
    .wavefront_size: 64
  - .agpr_count:     0
    .args:
      - .offset:         0
        .size:           136
        .value_kind:     by_value
    .group_segment_fixed_size: 0
    .kernarg_segment_align: 8
    .kernarg_segment_size: 136
    .language:       OpenCL C
    .language_version:
      - 2
      - 0
    .max_flat_workgroup_size: 384
    .name:           _ZN7rocprim17ROCPRIM_400000_NS6detail17trampoline_kernelINS0_14default_configENS1_25partition_config_selectorILNS1_17partition_subalgoE9EllbEEZZNS1_14partition_implILS5_9ELb0ES3_jPlS8_PNS0_10empty_typeENS0_5tupleIJS8_S9_EEENSB_IJS8_SA_EEENS0_18inequality_wrapperIZN2at6native12_GLOBAL__N_124unique_dim_cuda_templateIsEESt5tupleIJNSF_6TensorESK_SK_EERKSK_lbbbEUlllE0_EEPmJS9_EEE10hipError_tPvRmT3_T4_T5_T6_T7_T9_mT8_P12ihipStream_tbDpT10_ENKUlT_T0_E_clISt17integral_constantIbLb0EES19_IbLb1EEEEDaS15_S16_EUlS15_E_NS1_11comp_targetILNS1_3genE10ELNS1_11target_archE1200ELNS1_3gpuE4ELNS1_3repE0EEENS1_30default_config_static_selectorELNS0_4arch9wavefront6targetE1EEEvT1_
    .private_segment_fixed_size: 0
    .sgpr_count:     4
    .sgpr_spill_count: 0
    .symbol:         _ZN7rocprim17ROCPRIM_400000_NS6detail17trampoline_kernelINS0_14default_configENS1_25partition_config_selectorILNS1_17partition_subalgoE9EllbEEZZNS1_14partition_implILS5_9ELb0ES3_jPlS8_PNS0_10empty_typeENS0_5tupleIJS8_S9_EEENSB_IJS8_SA_EEENS0_18inequality_wrapperIZN2at6native12_GLOBAL__N_124unique_dim_cuda_templateIsEESt5tupleIJNSF_6TensorESK_SK_EERKSK_lbbbEUlllE0_EEPmJS9_EEE10hipError_tPvRmT3_T4_T5_T6_T7_T9_mT8_P12ihipStream_tbDpT10_ENKUlT_T0_E_clISt17integral_constantIbLb0EES19_IbLb1EEEEDaS15_S16_EUlS15_E_NS1_11comp_targetILNS1_3genE10ELNS1_11target_archE1200ELNS1_3gpuE4ELNS1_3repE0EEENS1_30default_config_static_selectorELNS0_4arch9wavefront6targetE1EEEvT1_.kd
    .uniform_work_group_size: 1
    .uses_dynamic_stack: false
    .vgpr_count:     0
    .vgpr_spill_count: 0
    .wavefront_size: 64
  - .agpr_count:     0
    .args:
      - .offset:         0
        .size:           136
        .value_kind:     by_value
    .group_segment_fixed_size: 0
    .kernarg_segment_align: 8
    .kernarg_segment_size: 136
    .language:       OpenCL C
    .language_version:
      - 2
      - 0
    .max_flat_workgroup_size: 512
    .name:           _ZN7rocprim17ROCPRIM_400000_NS6detail17trampoline_kernelINS0_14default_configENS1_25partition_config_selectorILNS1_17partition_subalgoE9EllbEEZZNS1_14partition_implILS5_9ELb0ES3_jPlS8_PNS0_10empty_typeENS0_5tupleIJS8_S9_EEENSB_IJS8_SA_EEENS0_18inequality_wrapperIZN2at6native12_GLOBAL__N_124unique_dim_cuda_templateIsEESt5tupleIJNSF_6TensorESK_SK_EERKSK_lbbbEUlllE0_EEPmJS9_EEE10hipError_tPvRmT3_T4_T5_T6_T7_T9_mT8_P12ihipStream_tbDpT10_ENKUlT_T0_E_clISt17integral_constantIbLb0EES19_IbLb1EEEEDaS15_S16_EUlS15_E_NS1_11comp_targetILNS1_3genE9ELNS1_11target_archE1100ELNS1_3gpuE3ELNS1_3repE0EEENS1_30default_config_static_selectorELNS0_4arch9wavefront6targetE1EEEvT1_
    .private_segment_fixed_size: 0
    .sgpr_count:     4
    .sgpr_spill_count: 0
    .symbol:         _ZN7rocprim17ROCPRIM_400000_NS6detail17trampoline_kernelINS0_14default_configENS1_25partition_config_selectorILNS1_17partition_subalgoE9EllbEEZZNS1_14partition_implILS5_9ELb0ES3_jPlS8_PNS0_10empty_typeENS0_5tupleIJS8_S9_EEENSB_IJS8_SA_EEENS0_18inequality_wrapperIZN2at6native12_GLOBAL__N_124unique_dim_cuda_templateIsEESt5tupleIJNSF_6TensorESK_SK_EERKSK_lbbbEUlllE0_EEPmJS9_EEE10hipError_tPvRmT3_T4_T5_T6_T7_T9_mT8_P12ihipStream_tbDpT10_ENKUlT_T0_E_clISt17integral_constantIbLb0EES19_IbLb1EEEEDaS15_S16_EUlS15_E_NS1_11comp_targetILNS1_3genE9ELNS1_11target_archE1100ELNS1_3gpuE3ELNS1_3repE0EEENS1_30default_config_static_selectorELNS0_4arch9wavefront6targetE1EEEvT1_.kd
    .uniform_work_group_size: 1
    .uses_dynamic_stack: false
    .vgpr_count:     0
    .vgpr_spill_count: 0
    .wavefront_size: 64
  - .agpr_count:     0
    .args:
      - .offset:         0
        .size:           136
        .value_kind:     by_value
    .group_segment_fixed_size: 0
    .kernarg_segment_align: 8
    .kernarg_segment_size: 136
    .language:       OpenCL C
    .language_version:
      - 2
      - 0
    .max_flat_workgroup_size: 512
    .name:           _ZN7rocprim17ROCPRIM_400000_NS6detail17trampoline_kernelINS0_14default_configENS1_25partition_config_selectorILNS1_17partition_subalgoE9EllbEEZZNS1_14partition_implILS5_9ELb0ES3_jPlS8_PNS0_10empty_typeENS0_5tupleIJS8_S9_EEENSB_IJS8_SA_EEENS0_18inequality_wrapperIZN2at6native12_GLOBAL__N_124unique_dim_cuda_templateIsEESt5tupleIJNSF_6TensorESK_SK_EERKSK_lbbbEUlllE0_EEPmJS9_EEE10hipError_tPvRmT3_T4_T5_T6_T7_T9_mT8_P12ihipStream_tbDpT10_ENKUlT_T0_E_clISt17integral_constantIbLb0EES19_IbLb1EEEEDaS15_S16_EUlS15_E_NS1_11comp_targetILNS1_3genE8ELNS1_11target_archE1030ELNS1_3gpuE2ELNS1_3repE0EEENS1_30default_config_static_selectorELNS0_4arch9wavefront6targetE1EEEvT1_
    .private_segment_fixed_size: 0
    .sgpr_count:     4
    .sgpr_spill_count: 0
    .symbol:         _ZN7rocprim17ROCPRIM_400000_NS6detail17trampoline_kernelINS0_14default_configENS1_25partition_config_selectorILNS1_17partition_subalgoE9EllbEEZZNS1_14partition_implILS5_9ELb0ES3_jPlS8_PNS0_10empty_typeENS0_5tupleIJS8_S9_EEENSB_IJS8_SA_EEENS0_18inequality_wrapperIZN2at6native12_GLOBAL__N_124unique_dim_cuda_templateIsEESt5tupleIJNSF_6TensorESK_SK_EERKSK_lbbbEUlllE0_EEPmJS9_EEE10hipError_tPvRmT3_T4_T5_T6_T7_T9_mT8_P12ihipStream_tbDpT10_ENKUlT_T0_E_clISt17integral_constantIbLb0EES19_IbLb1EEEEDaS15_S16_EUlS15_E_NS1_11comp_targetILNS1_3genE8ELNS1_11target_archE1030ELNS1_3gpuE2ELNS1_3repE0EEENS1_30default_config_static_selectorELNS0_4arch9wavefront6targetE1EEEvT1_.kd
    .uniform_work_group_size: 1
    .uses_dynamic_stack: false
    .vgpr_count:     0
    .vgpr_spill_count: 0
    .wavefront_size: 64
  - .agpr_count:     0
    .args:
      - .offset:         0
        .size:           72
        .value_kind:     by_value
    .group_segment_fixed_size: 0
    .kernarg_segment_align: 8
    .kernarg_segment_size: 72
    .language:       OpenCL C
    .language_version:
      - 2
      - 0
    .max_flat_workgroup_size: 256
    .name:           _ZN7rocprim17ROCPRIM_400000_NS6detail17trampoline_kernelINS0_14default_configENS1_37merge_sort_block_sort_config_selectorIlNS0_10empty_typeEEEZNS1_21merge_sort_block_sortIS3_PlS8_PS5_S9_ZN2at6native12_GLOBAL__N_124unique_dim_cuda_templateIdEESt5tupleIJNSA_6TensorESF_SF_EERKSF_lbbbEUlllE_EE10hipError_tT0_T1_T2_T3_mRjT4_P12ihipStream_tbNS1_7vsmem_tEEUlT_E_NS1_11comp_targetILNS1_3genE0ELNS1_11target_archE4294967295ELNS1_3gpuE0ELNS1_3repE0EEENS1_30default_config_static_selectorELNS0_4arch9wavefront6targetE1EEEvSM_
    .private_segment_fixed_size: 0
    .sgpr_count:     4
    .sgpr_spill_count: 0
    .symbol:         _ZN7rocprim17ROCPRIM_400000_NS6detail17trampoline_kernelINS0_14default_configENS1_37merge_sort_block_sort_config_selectorIlNS0_10empty_typeEEEZNS1_21merge_sort_block_sortIS3_PlS8_PS5_S9_ZN2at6native12_GLOBAL__N_124unique_dim_cuda_templateIdEESt5tupleIJNSA_6TensorESF_SF_EERKSF_lbbbEUlllE_EE10hipError_tT0_T1_T2_T3_mRjT4_P12ihipStream_tbNS1_7vsmem_tEEUlT_E_NS1_11comp_targetILNS1_3genE0ELNS1_11target_archE4294967295ELNS1_3gpuE0ELNS1_3repE0EEENS1_30default_config_static_selectorELNS0_4arch9wavefront6targetE1EEEvSM_.kd
    .uniform_work_group_size: 1
    .uses_dynamic_stack: false
    .vgpr_count:     0
    .vgpr_spill_count: 0
    .wavefront_size: 64
  - .agpr_count:     0
    .args:
      - .offset:         0
        .size:           72
        .value_kind:     by_value
    .group_segment_fixed_size: 0
    .kernarg_segment_align: 8
    .kernarg_segment_size: 72
    .language:       OpenCL C
    .language_version:
      - 2
      - 0
    .max_flat_workgroup_size: 256
    .name:           _ZN7rocprim17ROCPRIM_400000_NS6detail17trampoline_kernelINS0_14default_configENS1_37merge_sort_block_sort_config_selectorIlNS0_10empty_typeEEEZNS1_21merge_sort_block_sortIS3_PlS8_PS5_S9_ZN2at6native12_GLOBAL__N_124unique_dim_cuda_templateIdEESt5tupleIJNSA_6TensorESF_SF_EERKSF_lbbbEUlllE_EE10hipError_tT0_T1_T2_T3_mRjT4_P12ihipStream_tbNS1_7vsmem_tEEUlT_E_NS1_11comp_targetILNS1_3genE5ELNS1_11target_archE942ELNS1_3gpuE9ELNS1_3repE0EEENS1_30default_config_static_selectorELNS0_4arch9wavefront6targetE1EEEvSM_
    .private_segment_fixed_size: 0
    .sgpr_count:     4
    .sgpr_spill_count: 0
    .symbol:         _ZN7rocprim17ROCPRIM_400000_NS6detail17trampoline_kernelINS0_14default_configENS1_37merge_sort_block_sort_config_selectorIlNS0_10empty_typeEEEZNS1_21merge_sort_block_sortIS3_PlS8_PS5_S9_ZN2at6native12_GLOBAL__N_124unique_dim_cuda_templateIdEESt5tupleIJNSA_6TensorESF_SF_EERKSF_lbbbEUlllE_EE10hipError_tT0_T1_T2_T3_mRjT4_P12ihipStream_tbNS1_7vsmem_tEEUlT_E_NS1_11comp_targetILNS1_3genE5ELNS1_11target_archE942ELNS1_3gpuE9ELNS1_3repE0EEENS1_30default_config_static_selectorELNS0_4arch9wavefront6targetE1EEEvSM_.kd
    .uniform_work_group_size: 1
    .uses_dynamic_stack: false
    .vgpr_count:     0
    .vgpr_spill_count: 0
    .wavefront_size: 64
  - .agpr_count:     0
    .args:
      - .offset:         0
        .size:           72
        .value_kind:     by_value
      - .offset:         72
        .size:           4
        .value_kind:     hidden_block_count_x
      - .offset:         76
        .size:           4
        .value_kind:     hidden_block_count_y
      - .offset:         80
        .size:           4
        .value_kind:     hidden_block_count_z
      - .offset:         84
        .size:           2
        .value_kind:     hidden_group_size_x
      - .offset:         86
        .size:           2
        .value_kind:     hidden_group_size_y
      - .offset:         88
        .size:           2
        .value_kind:     hidden_group_size_z
      - .offset:         90
        .size:           2
        .value_kind:     hidden_remainder_x
      - .offset:         92
        .size:           2
        .value_kind:     hidden_remainder_y
      - .offset:         94
        .size:           2
        .value_kind:     hidden_remainder_z
      - .offset:         112
        .size:           8
        .value_kind:     hidden_global_offset_x
      - .offset:         120
        .size:           8
        .value_kind:     hidden_global_offset_y
      - .offset:         128
        .size:           8
        .value_kind:     hidden_global_offset_z
      - .offset:         136
        .size:           2
        .value_kind:     hidden_grid_dims
    .group_segment_fixed_size: 8448
    .kernarg_segment_align: 8
    .kernarg_segment_size: 328
    .language:       OpenCL C
    .language_version:
      - 2
      - 0
    .max_flat_workgroup_size: 256
    .name:           _ZN7rocprim17ROCPRIM_400000_NS6detail17trampoline_kernelINS0_14default_configENS1_37merge_sort_block_sort_config_selectorIlNS0_10empty_typeEEEZNS1_21merge_sort_block_sortIS3_PlS8_PS5_S9_ZN2at6native12_GLOBAL__N_124unique_dim_cuda_templateIdEESt5tupleIJNSA_6TensorESF_SF_EERKSF_lbbbEUlllE_EE10hipError_tT0_T1_T2_T3_mRjT4_P12ihipStream_tbNS1_7vsmem_tEEUlT_E_NS1_11comp_targetILNS1_3genE4ELNS1_11target_archE910ELNS1_3gpuE8ELNS1_3repE0EEENS1_30default_config_static_selectorELNS0_4arch9wavefront6targetE1EEEvSM_
    .private_segment_fixed_size: 0
    .sgpr_count:     61
    .sgpr_spill_count: 0
    .symbol:         _ZN7rocprim17ROCPRIM_400000_NS6detail17trampoline_kernelINS0_14default_configENS1_37merge_sort_block_sort_config_selectorIlNS0_10empty_typeEEEZNS1_21merge_sort_block_sortIS3_PlS8_PS5_S9_ZN2at6native12_GLOBAL__N_124unique_dim_cuda_templateIdEESt5tupleIJNSA_6TensorESF_SF_EERKSF_lbbbEUlllE_EE10hipError_tT0_T1_T2_T3_mRjT4_P12ihipStream_tbNS1_7vsmem_tEEUlT_E_NS1_11comp_targetILNS1_3genE4ELNS1_11target_archE910ELNS1_3gpuE8ELNS1_3repE0EEENS1_30default_config_static_selectorELNS0_4arch9wavefront6targetE1EEEvSM_.kd
    .uniform_work_group_size: 1
    .uses_dynamic_stack: false
    .vgpr_count:     42
    .vgpr_spill_count: 0
    .wavefront_size: 64
  - .agpr_count:     0
    .args:
      - .offset:         0
        .size:           72
        .value_kind:     by_value
    .group_segment_fixed_size: 0
    .kernarg_segment_align: 8
    .kernarg_segment_size: 72
    .language:       OpenCL C
    .language_version:
      - 2
      - 0
    .max_flat_workgroup_size: 256
    .name:           _ZN7rocprim17ROCPRIM_400000_NS6detail17trampoline_kernelINS0_14default_configENS1_37merge_sort_block_sort_config_selectorIlNS0_10empty_typeEEEZNS1_21merge_sort_block_sortIS3_PlS8_PS5_S9_ZN2at6native12_GLOBAL__N_124unique_dim_cuda_templateIdEESt5tupleIJNSA_6TensorESF_SF_EERKSF_lbbbEUlllE_EE10hipError_tT0_T1_T2_T3_mRjT4_P12ihipStream_tbNS1_7vsmem_tEEUlT_E_NS1_11comp_targetILNS1_3genE3ELNS1_11target_archE908ELNS1_3gpuE7ELNS1_3repE0EEENS1_30default_config_static_selectorELNS0_4arch9wavefront6targetE1EEEvSM_
    .private_segment_fixed_size: 0
    .sgpr_count:     4
    .sgpr_spill_count: 0
    .symbol:         _ZN7rocprim17ROCPRIM_400000_NS6detail17trampoline_kernelINS0_14default_configENS1_37merge_sort_block_sort_config_selectorIlNS0_10empty_typeEEEZNS1_21merge_sort_block_sortIS3_PlS8_PS5_S9_ZN2at6native12_GLOBAL__N_124unique_dim_cuda_templateIdEESt5tupleIJNSA_6TensorESF_SF_EERKSF_lbbbEUlllE_EE10hipError_tT0_T1_T2_T3_mRjT4_P12ihipStream_tbNS1_7vsmem_tEEUlT_E_NS1_11comp_targetILNS1_3genE3ELNS1_11target_archE908ELNS1_3gpuE7ELNS1_3repE0EEENS1_30default_config_static_selectorELNS0_4arch9wavefront6targetE1EEEvSM_.kd
    .uniform_work_group_size: 1
    .uses_dynamic_stack: false
    .vgpr_count:     0
    .vgpr_spill_count: 0
    .wavefront_size: 64
  - .agpr_count:     0
    .args:
      - .offset:         0
        .size:           72
        .value_kind:     by_value
    .group_segment_fixed_size: 0
    .kernarg_segment_align: 8
    .kernarg_segment_size: 72
    .language:       OpenCL C
    .language_version:
      - 2
      - 0
    .max_flat_workgroup_size: 256
    .name:           _ZN7rocprim17ROCPRIM_400000_NS6detail17trampoline_kernelINS0_14default_configENS1_37merge_sort_block_sort_config_selectorIlNS0_10empty_typeEEEZNS1_21merge_sort_block_sortIS3_PlS8_PS5_S9_ZN2at6native12_GLOBAL__N_124unique_dim_cuda_templateIdEESt5tupleIJNSA_6TensorESF_SF_EERKSF_lbbbEUlllE_EE10hipError_tT0_T1_T2_T3_mRjT4_P12ihipStream_tbNS1_7vsmem_tEEUlT_E_NS1_11comp_targetILNS1_3genE2ELNS1_11target_archE906ELNS1_3gpuE6ELNS1_3repE0EEENS1_30default_config_static_selectorELNS0_4arch9wavefront6targetE1EEEvSM_
    .private_segment_fixed_size: 0
    .sgpr_count:     4
    .sgpr_spill_count: 0
    .symbol:         _ZN7rocprim17ROCPRIM_400000_NS6detail17trampoline_kernelINS0_14default_configENS1_37merge_sort_block_sort_config_selectorIlNS0_10empty_typeEEEZNS1_21merge_sort_block_sortIS3_PlS8_PS5_S9_ZN2at6native12_GLOBAL__N_124unique_dim_cuda_templateIdEESt5tupleIJNSA_6TensorESF_SF_EERKSF_lbbbEUlllE_EE10hipError_tT0_T1_T2_T3_mRjT4_P12ihipStream_tbNS1_7vsmem_tEEUlT_E_NS1_11comp_targetILNS1_3genE2ELNS1_11target_archE906ELNS1_3gpuE6ELNS1_3repE0EEENS1_30default_config_static_selectorELNS0_4arch9wavefront6targetE1EEEvSM_.kd
    .uniform_work_group_size: 1
    .uses_dynamic_stack: false
    .vgpr_count:     0
    .vgpr_spill_count: 0
    .wavefront_size: 64
  - .agpr_count:     0
    .args:
      - .offset:         0
        .size:           72
        .value_kind:     by_value
    .group_segment_fixed_size: 0
    .kernarg_segment_align: 8
    .kernarg_segment_size: 72
    .language:       OpenCL C
    .language_version:
      - 2
      - 0
    .max_flat_workgroup_size: 256
    .name:           _ZN7rocprim17ROCPRIM_400000_NS6detail17trampoline_kernelINS0_14default_configENS1_37merge_sort_block_sort_config_selectorIlNS0_10empty_typeEEEZNS1_21merge_sort_block_sortIS3_PlS8_PS5_S9_ZN2at6native12_GLOBAL__N_124unique_dim_cuda_templateIdEESt5tupleIJNSA_6TensorESF_SF_EERKSF_lbbbEUlllE_EE10hipError_tT0_T1_T2_T3_mRjT4_P12ihipStream_tbNS1_7vsmem_tEEUlT_E_NS1_11comp_targetILNS1_3genE10ELNS1_11target_archE1201ELNS1_3gpuE5ELNS1_3repE0EEENS1_30default_config_static_selectorELNS0_4arch9wavefront6targetE1EEEvSM_
    .private_segment_fixed_size: 0
    .sgpr_count:     4
    .sgpr_spill_count: 0
    .symbol:         _ZN7rocprim17ROCPRIM_400000_NS6detail17trampoline_kernelINS0_14default_configENS1_37merge_sort_block_sort_config_selectorIlNS0_10empty_typeEEEZNS1_21merge_sort_block_sortIS3_PlS8_PS5_S9_ZN2at6native12_GLOBAL__N_124unique_dim_cuda_templateIdEESt5tupleIJNSA_6TensorESF_SF_EERKSF_lbbbEUlllE_EE10hipError_tT0_T1_T2_T3_mRjT4_P12ihipStream_tbNS1_7vsmem_tEEUlT_E_NS1_11comp_targetILNS1_3genE10ELNS1_11target_archE1201ELNS1_3gpuE5ELNS1_3repE0EEENS1_30default_config_static_selectorELNS0_4arch9wavefront6targetE1EEEvSM_.kd
    .uniform_work_group_size: 1
    .uses_dynamic_stack: false
    .vgpr_count:     0
    .vgpr_spill_count: 0
    .wavefront_size: 64
  - .agpr_count:     0
    .args:
      - .offset:         0
        .size:           72
        .value_kind:     by_value
    .group_segment_fixed_size: 0
    .kernarg_segment_align: 8
    .kernarg_segment_size: 72
    .language:       OpenCL C
    .language_version:
      - 2
      - 0
    .max_flat_workgroup_size: 512
    .name:           _ZN7rocprim17ROCPRIM_400000_NS6detail17trampoline_kernelINS0_14default_configENS1_37merge_sort_block_sort_config_selectorIlNS0_10empty_typeEEEZNS1_21merge_sort_block_sortIS3_PlS8_PS5_S9_ZN2at6native12_GLOBAL__N_124unique_dim_cuda_templateIdEESt5tupleIJNSA_6TensorESF_SF_EERKSF_lbbbEUlllE_EE10hipError_tT0_T1_T2_T3_mRjT4_P12ihipStream_tbNS1_7vsmem_tEEUlT_E_NS1_11comp_targetILNS1_3genE10ELNS1_11target_archE1200ELNS1_3gpuE4ELNS1_3repE0EEENS1_30default_config_static_selectorELNS0_4arch9wavefront6targetE1EEEvSM_
    .private_segment_fixed_size: 0
    .sgpr_count:     4
    .sgpr_spill_count: 0
    .symbol:         _ZN7rocprim17ROCPRIM_400000_NS6detail17trampoline_kernelINS0_14default_configENS1_37merge_sort_block_sort_config_selectorIlNS0_10empty_typeEEEZNS1_21merge_sort_block_sortIS3_PlS8_PS5_S9_ZN2at6native12_GLOBAL__N_124unique_dim_cuda_templateIdEESt5tupleIJNSA_6TensorESF_SF_EERKSF_lbbbEUlllE_EE10hipError_tT0_T1_T2_T3_mRjT4_P12ihipStream_tbNS1_7vsmem_tEEUlT_E_NS1_11comp_targetILNS1_3genE10ELNS1_11target_archE1200ELNS1_3gpuE4ELNS1_3repE0EEENS1_30default_config_static_selectorELNS0_4arch9wavefront6targetE1EEEvSM_.kd
    .uniform_work_group_size: 1
    .uses_dynamic_stack: false
    .vgpr_count:     0
    .vgpr_spill_count: 0
    .wavefront_size: 64
  - .agpr_count:     0
    .args:
      - .offset:         0
        .size:           72
        .value_kind:     by_value
    .group_segment_fixed_size: 0
    .kernarg_segment_align: 8
    .kernarg_segment_size: 72
    .language:       OpenCL C
    .language_version:
      - 2
      - 0
    .max_flat_workgroup_size: 256
    .name:           _ZN7rocprim17ROCPRIM_400000_NS6detail17trampoline_kernelINS0_14default_configENS1_37merge_sort_block_sort_config_selectorIlNS0_10empty_typeEEEZNS1_21merge_sort_block_sortIS3_PlS8_PS5_S9_ZN2at6native12_GLOBAL__N_124unique_dim_cuda_templateIdEESt5tupleIJNSA_6TensorESF_SF_EERKSF_lbbbEUlllE_EE10hipError_tT0_T1_T2_T3_mRjT4_P12ihipStream_tbNS1_7vsmem_tEEUlT_E_NS1_11comp_targetILNS1_3genE9ELNS1_11target_archE1100ELNS1_3gpuE3ELNS1_3repE0EEENS1_30default_config_static_selectorELNS0_4arch9wavefront6targetE1EEEvSM_
    .private_segment_fixed_size: 0
    .sgpr_count:     4
    .sgpr_spill_count: 0
    .symbol:         _ZN7rocprim17ROCPRIM_400000_NS6detail17trampoline_kernelINS0_14default_configENS1_37merge_sort_block_sort_config_selectorIlNS0_10empty_typeEEEZNS1_21merge_sort_block_sortIS3_PlS8_PS5_S9_ZN2at6native12_GLOBAL__N_124unique_dim_cuda_templateIdEESt5tupleIJNSA_6TensorESF_SF_EERKSF_lbbbEUlllE_EE10hipError_tT0_T1_T2_T3_mRjT4_P12ihipStream_tbNS1_7vsmem_tEEUlT_E_NS1_11comp_targetILNS1_3genE9ELNS1_11target_archE1100ELNS1_3gpuE3ELNS1_3repE0EEENS1_30default_config_static_selectorELNS0_4arch9wavefront6targetE1EEEvSM_.kd
    .uniform_work_group_size: 1
    .uses_dynamic_stack: false
    .vgpr_count:     0
    .vgpr_spill_count: 0
    .wavefront_size: 64
  - .agpr_count:     0
    .args:
      - .offset:         0
        .size:           72
        .value_kind:     by_value
    .group_segment_fixed_size: 0
    .kernarg_segment_align: 8
    .kernarg_segment_size: 72
    .language:       OpenCL C
    .language_version:
      - 2
      - 0
    .max_flat_workgroup_size: 256
    .name:           _ZN7rocprim17ROCPRIM_400000_NS6detail17trampoline_kernelINS0_14default_configENS1_37merge_sort_block_sort_config_selectorIlNS0_10empty_typeEEEZNS1_21merge_sort_block_sortIS3_PlS8_PS5_S9_ZN2at6native12_GLOBAL__N_124unique_dim_cuda_templateIdEESt5tupleIJNSA_6TensorESF_SF_EERKSF_lbbbEUlllE_EE10hipError_tT0_T1_T2_T3_mRjT4_P12ihipStream_tbNS1_7vsmem_tEEUlT_E_NS1_11comp_targetILNS1_3genE8ELNS1_11target_archE1030ELNS1_3gpuE2ELNS1_3repE0EEENS1_30default_config_static_selectorELNS0_4arch9wavefront6targetE1EEEvSM_
    .private_segment_fixed_size: 0
    .sgpr_count:     4
    .sgpr_spill_count: 0
    .symbol:         _ZN7rocprim17ROCPRIM_400000_NS6detail17trampoline_kernelINS0_14default_configENS1_37merge_sort_block_sort_config_selectorIlNS0_10empty_typeEEEZNS1_21merge_sort_block_sortIS3_PlS8_PS5_S9_ZN2at6native12_GLOBAL__N_124unique_dim_cuda_templateIdEESt5tupleIJNSA_6TensorESF_SF_EERKSF_lbbbEUlllE_EE10hipError_tT0_T1_T2_T3_mRjT4_P12ihipStream_tbNS1_7vsmem_tEEUlT_E_NS1_11comp_targetILNS1_3genE8ELNS1_11target_archE1030ELNS1_3gpuE2ELNS1_3repE0EEENS1_30default_config_static_selectorELNS0_4arch9wavefront6targetE1EEEvSM_.kd
    .uniform_work_group_size: 1
    .uses_dynamic_stack: false
    .vgpr_count:     0
    .vgpr_spill_count: 0
    .wavefront_size: 64
  - .agpr_count:     0
    .args:
      - .offset:         0
        .size:           56
        .value_kind:     by_value
    .group_segment_fixed_size: 0
    .kernarg_segment_align: 8
    .kernarg_segment_size: 56
    .language:       OpenCL C
    .language_version:
      - 2
      - 0
    .max_flat_workgroup_size: 128
    .name:           _ZN7rocprim17ROCPRIM_400000_NS6detail17trampoline_kernelINS0_14default_configENS1_38merge_sort_block_merge_config_selectorIlNS0_10empty_typeEEEZZNS1_27merge_sort_block_merge_implIS3_PlPS5_mZN2at6native12_GLOBAL__N_124unique_dim_cuda_templateIdEESt5tupleIJNSA_6TensorESF_SF_EERKSF_lbbbEUlllE_EE10hipError_tT0_T1_T2_jT3_P12ihipStream_tbPNSt15iterator_traitsISL_E10value_typeEPNSR_ISM_E10value_typeEPSN_NS1_7vsmem_tEENKUlT_SL_SM_SN_E_clIS8_S8_S9_S9_EESK_S10_SL_SM_SN_EUlS10_E_NS1_11comp_targetILNS1_3genE0ELNS1_11target_archE4294967295ELNS1_3gpuE0ELNS1_3repE0EEENS1_48merge_mergepath_partition_config_static_selectorELNS0_4arch9wavefront6targetE1EEEvSM_
    .private_segment_fixed_size: 0
    .sgpr_count:     4
    .sgpr_spill_count: 0
    .symbol:         _ZN7rocprim17ROCPRIM_400000_NS6detail17trampoline_kernelINS0_14default_configENS1_38merge_sort_block_merge_config_selectorIlNS0_10empty_typeEEEZZNS1_27merge_sort_block_merge_implIS3_PlPS5_mZN2at6native12_GLOBAL__N_124unique_dim_cuda_templateIdEESt5tupleIJNSA_6TensorESF_SF_EERKSF_lbbbEUlllE_EE10hipError_tT0_T1_T2_jT3_P12ihipStream_tbPNSt15iterator_traitsISL_E10value_typeEPNSR_ISM_E10value_typeEPSN_NS1_7vsmem_tEENKUlT_SL_SM_SN_E_clIS8_S8_S9_S9_EESK_S10_SL_SM_SN_EUlS10_E_NS1_11comp_targetILNS1_3genE0ELNS1_11target_archE4294967295ELNS1_3gpuE0ELNS1_3repE0EEENS1_48merge_mergepath_partition_config_static_selectorELNS0_4arch9wavefront6targetE1EEEvSM_.kd
    .uniform_work_group_size: 1
    .uses_dynamic_stack: false
    .vgpr_count:     0
    .vgpr_spill_count: 0
    .wavefront_size: 64
  - .agpr_count:     0
    .args:
      - .offset:         0
        .size:           56
        .value_kind:     by_value
    .group_segment_fixed_size: 0
    .kernarg_segment_align: 8
    .kernarg_segment_size: 56
    .language:       OpenCL C
    .language_version:
      - 2
      - 0
    .max_flat_workgroup_size: 128
    .name:           _ZN7rocprim17ROCPRIM_400000_NS6detail17trampoline_kernelINS0_14default_configENS1_38merge_sort_block_merge_config_selectorIlNS0_10empty_typeEEEZZNS1_27merge_sort_block_merge_implIS3_PlPS5_mZN2at6native12_GLOBAL__N_124unique_dim_cuda_templateIdEESt5tupleIJNSA_6TensorESF_SF_EERKSF_lbbbEUlllE_EE10hipError_tT0_T1_T2_jT3_P12ihipStream_tbPNSt15iterator_traitsISL_E10value_typeEPNSR_ISM_E10value_typeEPSN_NS1_7vsmem_tEENKUlT_SL_SM_SN_E_clIS8_S8_S9_S9_EESK_S10_SL_SM_SN_EUlS10_E_NS1_11comp_targetILNS1_3genE10ELNS1_11target_archE1201ELNS1_3gpuE5ELNS1_3repE0EEENS1_48merge_mergepath_partition_config_static_selectorELNS0_4arch9wavefront6targetE1EEEvSM_
    .private_segment_fixed_size: 0
    .sgpr_count:     4
    .sgpr_spill_count: 0
    .symbol:         _ZN7rocprim17ROCPRIM_400000_NS6detail17trampoline_kernelINS0_14default_configENS1_38merge_sort_block_merge_config_selectorIlNS0_10empty_typeEEEZZNS1_27merge_sort_block_merge_implIS3_PlPS5_mZN2at6native12_GLOBAL__N_124unique_dim_cuda_templateIdEESt5tupleIJNSA_6TensorESF_SF_EERKSF_lbbbEUlllE_EE10hipError_tT0_T1_T2_jT3_P12ihipStream_tbPNSt15iterator_traitsISL_E10value_typeEPNSR_ISM_E10value_typeEPSN_NS1_7vsmem_tEENKUlT_SL_SM_SN_E_clIS8_S8_S9_S9_EESK_S10_SL_SM_SN_EUlS10_E_NS1_11comp_targetILNS1_3genE10ELNS1_11target_archE1201ELNS1_3gpuE5ELNS1_3repE0EEENS1_48merge_mergepath_partition_config_static_selectorELNS0_4arch9wavefront6targetE1EEEvSM_.kd
    .uniform_work_group_size: 1
    .uses_dynamic_stack: false
    .vgpr_count:     0
    .vgpr_spill_count: 0
    .wavefront_size: 64
  - .agpr_count:     0
    .args:
      - .offset:         0
        .size:           56
        .value_kind:     by_value
    .group_segment_fixed_size: 0
    .kernarg_segment_align: 8
    .kernarg_segment_size: 56
    .language:       OpenCL C
    .language_version:
      - 2
      - 0
    .max_flat_workgroup_size: 128
    .name:           _ZN7rocprim17ROCPRIM_400000_NS6detail17trampoline_kernelINS0_14default_configENS1_38merge_sort_block_merge_config_selectorIlNS0_10empty_typeEEEZZNS1_27merge_sort_block_merge_implIS3_PlPS5_mZN2at6native12_GLOBAL__N_124unique_dim_cuda_templateIdEESt5tupleIJNSA_6TensorESF_SF_EERKSF_lbbbEUlllE_EE10hipError_tT0_T1_T2_jT3_P12ihipStream_tbPNSt15iterator_traitsISL_E10value_typeEPNSR_ISM_E10value_typeEPSN_NS1_7vsmem_tEENKUlT_SL_SM_SN_E_clIS8_S8_S9_S9_EESK_S10_SL_SM_SN_EUlS10_E_NS1_11comp_targetILNS1_3genE5ELNS1_11target_archE942ELNS1_3gpuE9ELNS1_3repE0EEENS1_48merge_mergepath_partition_config_static_selectorELNS0_4arch9wavefront6targetE1EEEvSM_
    .private_segment_fixed_size: 0
    .sgpr_count:     4
    .sgpr_spill_count: 0
    .symbol:         _ZN7rocprim17ROCPRIM_400000_NS6detail17trampoline_kernelINS0_14default_configENS1_38merge_sort_block_merge_config_selectorIlNS0_10empty_typeEEEZZNS1_27merge_sort_block_merge_implIS3_PlPS5_mZN2at6native12_GLOBAL__N_124unique_dim_cuda_templateIdEESt5tupleIJNSA_6TensorESF_SF_EERKSF_lbbbEUlllE_EE10hipError_tT0_T1_T2_jT3_P12ihipStream_tbPNSt15iterator_traitsISL_E10value_typeEPNSR_ISM_E10value_typeEPSN_NS1_7vsmem_tEENKUlT_SL_SM_SN_E_clIS8_S8_S9_S9_EESK_S10_SL_SM_SN_EUlS10_E_NS1_11comp_targetILNS1_3genE5ELNS1_11target_archE942ELNS1_3gpuE9ELNS1_3repE0EEENS1_48merge_mergepath_partition_config_static_selectorELNS0_4arch9wavefront6targetE1EEEvSM_.kd
    .uniform_work_group_size: 1
    .uses_dynamic_stack: false
    .vgpr_count:     0
    .vgpr_spill_count: 0
    .wavefront_size: 64
  - .agpr_count:     0
    .args:
      - .offset:         0
        .size:           56
        .value_kind:     by_value
    .group_segment_fixed_size: 0
    .kernarg_segment_align: 8
    .kernarg_segment_size: 56
    .language:       OpenCL C
    .language_version:
      - 2
      - 0
    .max_flat_workgroup_size: 128
    .name:           _ZN7rocprim17ROCPRIM_400000_NS6detail17trampoline_kernelINS0_14default_configENS1_38merge_sort_block_merge_config_selectorIlNS0_10empty_typeEEEZZNS1_27merge_sort_block_merge_implIS3_PlPS5_mZN2at6native12_GLOBAL__N_124unique_dim_cuda_templateIdEESt5tupleIJNSA_6TensorESF_SF_EERKSF_lbbbEUlllE_EE10hipError_tT0_T1_T2_jT3_P12ihipStream_tbPNSt15iterator_traitsISL_E10value_typeEPNSR_ISM_E10value_typeEPSN_NS1_7vsmem_tEENKUlT_SL_SM_SN_E_clIS8_S8_S9_S9_EESK_S10_SL_SM_SN_EUlS10_E_NS1_11comp_targetILNS1_3genE4ELNS1_11target_archE910ELNS1_3gpuE8ELNS1_3repE0EEENS1_48merge_mergepath_partition_config_static_selectorELNS0_4arch9wavefront6targetE1EEEvSM_
    .private_segment_fixed_size: 0
    .sgpr_count:     40
    .sgpr_spill_count: 0
    .symbol:         _ZN7rocprim17ROCPRIM_400000_NS6detail17trampoline_kernelINS0_14default_configENS1_38merge_sort_block_merge_config_selectorIlNS0_10empty_typeEEEZZNS1_27merge_sort_block_merge_implIS3_PlPS5_mZN2at6native12_GLOBAL__N_124unique_dim_cuda_templateIdEESt5tupleIJNSA_6TensorESF_SF_EERKSF_lbbbEUlllE_EE10hipError_tT0_T1_T2_jT3_P12ihipStream_tbPNSt15iterator_traitsISL_E10value_typeEPNSR_ISM_E10value_typeEPSN_NS1_7vsmem_tEENKUlT_SL_SM_SN_E_clIS8_S8_S9_S9_EESK_S10_SL_SM_SN_EUlS10_E_NS1_11comp_targetILNS1_3genE4ELNS1_11target_archE910ELNS1_3gpuE8ELNS1_3repE0EEENS1_48merge_mergepath_partition_config_static_selectorELNS0_4arch9wavefront6targetE1EEEvSM_.kd
    .uniform_work_group_size: 1
    .uses_dynamic_stack: false
    .vgpr_count:     23
    .vgpr_spill_count: 0
    .wavefront_size: 64
  - .agpr_count:     0
    .args:
      - .offset:         0
        .size:           56
        .value_kind:     by_value
    .group_segment_fixed_size: 0
    .kernarg_segment_align: 8
    .kernarg_segment_size: 56
    .language:       OpenCL C
    .language_version:
      - 2
      - 0
    .max_flat_workgroup_size: 128
    .name:           _ZN7rocprim17ROCPRIM_400000_NS6detail17trampoline_kernelINS0_14default_configENS1_38merge_sort_block_merge_config_selectorIlNS0_10empty_typeEEEZZNS1_27merge_sort_block_merge_implIS3_PlPS5_mZN2at6native12_GLOBAL__N_124unique_dim_cuda_templateIdEESt5tupleIJNSA_6TensorESF_SF_EERKSF_lbbbEUlllE_EE10hipError_tT0_T1_T2_jT3_P12ihipStream_tbPNSt15iterator_traitsISL_E10value_typeEPNSR_ISM_E10value_typeEPSN_NS1_7vsmem_tEENKUlT_SL_SM_SN_E_clIS8_S8_S9_S9_EESK_S10_SL_SM_SN_EUlS10_E_NS1_11comp_targetILNS1_3genE3ELNS1_11target_archE908ELNS1_3gpuE7ELNS1_3repE0EEENS1_48merge_mergepath_partition_config_static_selectorELNS0_4arch9wavefront6targetE1EEEvSM_
    .private_segment_fixed_size: 0
    .sgpr_count:     4
    .sgpr_spill_count: 0
    .symbol:         _ZN7rocprim17ROCPRIM_400000_NS6detail17trampoline_kernelINS0_14default_configENS1_38merge_sort_block_merge_config_selectorIlNS0_10empty_typeEEEZZNS1_27merge_sort_block_merge_implIS3_PlPS5_mZN2at6native12_GLOBAL__N_124unique_dim_cuda_templateIdEESt5tupleIJNSA_6TensorESF_SF_EERKSF_lbbbEUlllE_EE10hipError_tT0_T1_T2_jT3_P12ihipStream_tbPNSt15iterator_traitsISL_E10value_typeEPNSR_ISM_E10value_typeEPSN_NS1_7vsmem_tEENKUlT_SL_SM_SN_E_clIS8_S8_S9_S9_EESK_S10_SL_SM_SN_EUlS10_E_NS1_11comp_targetILNS1_3genE3ELNS1_11target_archE908ELNS1_3gpuE7ELNS1_3repE0EEENS1_48merge_mergepath_partition_config_static_selectorELNS0_4arch9wavefront6targetE1EEEvSM_.kd
    .uniform_work_group_size: 1
    .uses_dynamic_stack: false
    .vgpr_count:     0
    .vgpr_spill_count: 0
    .wavefront_size: 64
  - .agpr_count:     0
    .args:
      - .offset:         0
        .size:           56
        .value_kind:     by_value
    .group_segment_fixed_size: 0
    .kernarg_segment_align: 8
    .kernarg_segment_size: 56
    .language:       OpenCL C
    .language_version:
      - 2
      - 0
    .max_flat_workgroup_size: 128
    .name:           _ZN7rocprim17ROCPRIM_400000_NS6detail17trampoline_kernelINS0_14default_configENS1_38merge_sort_block_merge_config_selectorIlNS0_10empty_typeEEEZZNS1_27merge_sort_block_merge_implIS3_PlPS5_mZN2at6native12_GLOBAL__N_124unique_dim_cuda_templateIdEESt5tupleIJNSA_6TensorESF_SF_EERKSF_lbbbEUlllE_EE10hipError_tT0_T1_T2_jT3_P12ihipStream_tbPNSt15iterator_traitsISL_E10value_typeEPNSR_ISM_E10value_typeEPSN_NS1_7vsmem_tEENKUlT_SL_SM_SN_E_clIS8_S8_S9_S9_EESK_S10_SL_SM_SN_EUlS10_E_NS1_11comp_targetILNS1_3genE2ELNS1_11target_archE906ELNS1_3gpuE6ELNS1_3repE0EEENS1_48merge_mergepath_partition_config_static_selectorELNS0_4arch9wavefront6targetE1EEEvSM_
    .private_segment_fixed_size: 0
    .sgpr_count:     4
    .sgpr_spill_count: 0
    .symbol:         _ZN7rocprim17ROCPRIM_400000_NS6detail17trampoline_kernelINS0_14default_configENS1_38merge_sort_block_merge_config_selectorIlNS0_10empty_typeEEEZZNS1_27merge_sort_block_merge_implIS3_PlPS5_mZN2at6native12_GLOBAL__N_124unique_dim_cuda_templateIdEESt5tupleIJNSA_6TensorESF_SF_EERKSF_lbbbEUlllE_EE10hipError_tT0_T1_T2_jT3_P12ihipStream_tbPNSt15iterator_traitsISL_E10value_typeEPNSR_ISM_E10value_typeEPSN_NS1_7vsmem_tEENKUlT_SL_SM_SN_E_clIS8_S8_S9_S9_EESK_S10_SL_SM_SN_EUlS10_E_NS1_11comp_targetILNS1_3genE2ELNS1_11target_archE906ELNS1_3gpuE6ELNS1_3repE0EEENS1_48merge_mergepath_partition_config_static_selectorELNS0_4arch9wavefront6targetE1EEEvSM_.kd
    .uniform_work_group_size: 1
    .uses_dynamic_stack: false
    .vgpr_count:     0
    .vgpr_spill_count: 0
    .wavefront_size: 64
  - .agpr_count:     0
    .args:
      - .offset:         0
        .size:           56
        .value_kind:     by_value
    .group_segment_fixed_size: 0
    .kernarg_segment_align: 8
    .kernarg_segment_size: 56
    .language:       OpenCL C
    .language_version:
      - 2
      - 0
    .max_flat_workgroup_size: 128
    .name:           _ZN7rocprim17ROCPRIM_400000_NS6detail17trampoline_kernelINS0_14default_configENS1_38merge_sort_block_merge_config_selectorIlNS0_10empty_typeEEEZZNS1_27merge_sort_block_merge_implIS3_PlPS5_mZN2at6native12_GLOBAL__N_124unique_dim_cuda_templateIdEESt5tupleIJNSA_6TensorESF_SF_EERKSF_lbbbEUlllE_EE10hipError_tT0_T1_T2_jT3_P12ihipStream_tbPNSt15iterator_traitsISL_E10value_typeEPNSR_ISM_E10value_typeEPSN_NS1_7vsmem_tEENKUlT_SL_SM_SN_E_clIS8_S8_S9_S9_EESK_S10_SL_SM_SN_EUlS10_E_NS1_11comp_targetILNS1_3genE9ELNS1_11target_archE1100ELNS1_3gpuE3ELNS1_3repE0EEENS1_48merge_mergepath_partition_config_static_selectorELNS0_4arch9wavefront6targetE1EEEvSM_
    .private_segment_fixed_size: 0
    .sgpr_count:     4
    .sgpr_spill_count: 0
    .symbol:         _ZN7rocprim17ROCPRIM_400000_NS6detail17trampoline_kernelINS0_14default_configENS1_38merge_sort_block_merge_config_selectorIlNS0_10empty_typeEEEZZNS1_27merge_sort_block_merge_implIS3_PlPS5_mZN2at6native12_GLOBAL__N_124unique_dim_cuda_templateIdEESt5tupleIJNSA_6TensorESF_SF_EERKSF_lbbbEUlllE_EE10hipError_tT0_T1_T2_jT3_P12ihipStream_tbPNSt15iterator_traitsISL_E10value_typeEPNSR_ISM_E10value_typeEPSN_NS1_7vsmem_tEENKUlT_SL_SM_SN_E_clIS8_S8_S9_S9_EESK_S10_SL_SM_SN_EUlS10_E_NS1_11comp_targetILNS1_3genE9ELNS1_11target_archE1100ELNS1_3gpuE3ELNS1_3repE0EEENS1_48merge_mergepath_partition_config_static_selectorELNS0_4arch9wavefront6targetE1EEEvSM_.kd
    .uniform_work_group_size: 1
    .uses_dynamic_stack: false
    .vgpr_count:     0
    .vgpr_spill_count: 0
    .wavefront_size: 64
  - .agpr_count:     0
    .args:
      - .offset:         0
        .size:           56
        .value_kind:     by_value
    .group_segment_fixed_size: 0
    .kernarg_segment_align: 8
    .kernarg_segment_size: 56
    .language:       OpenCL C
    .language_version:
      - 2
      - 0
    .max_flat_workgroup_size: 128
    .name:           _ZN7rocprim17ROCPRIM_400000_NS6detail17trampoline_kernelINS0_14default_configENS1_38merge_sort_block_merge_config_selectorIlNS0_10empty_typeEEEZZNS1_27merge_sort_block_merge_implIS3_PlPS5_mZN2at6native12_GLOBAL__N_124unique_dim_cuda_templateIdEESt5tupleIJNSA_6TensorESF_SF_EERKSF_lbbbEUlllE_EE10hipError_tT0_T1_T2_jT3_P12ihipStream_tbPNSt15iterator_traitsISL_E10value_typeEPNSR_ISM_E10value_typeEPSN_NS1_7vsmem_tEENKUlT_SL_SM_SN_E_clIS8_S8_S9_S9_EESK_S10_SL_SM_SN_EUlS10_E_NS1_11comp_targetILNS1_3genE8ELNS1_11target_archE1030ELNS1_3gpuE2ELNS1_3repE0EEENS1_48merge_mergepath_partition_config_static_selectorELNS0_4arch9wavefront6targetE1EEEvSM_
    .private_segment_fixed_size: 0
    .sgpr_count:     4
    .sgpr_spill_count: 0
    .symbol:         _ZN7rocprim17ROCPRIM_400000_NS6detail17trampoline_kernelINS0_14default_configENS1_38merge_sort_block_merge_config_selectorIlNS0_10empty_typeEEEZZNS1_27merge_sort_block_merge_implIS3_PlPS5_mZN2at6native12_GLOBAL__N_124unique_dim_cuda_templateIdEESt5tupleIJNSA_6TensorESF_SF_EERKSF_lbbbEUlllE_EE10hipError_tT0_T1_T2_jT3_P12ihipStream_tbPNSt15iterator_traitsISL_E10value_typeEPNSR_ISM_E10value_typeEPSN_NS1_7vsmem_tEENKUlT_SL_SM_SN_E_clIS8_S8_S9_S9_EESK_S10_SL_SM_SN_EUlS10_E_NS1_11comp_targetILNS1_3genE8ELNS1_11target_archE1030ELNS1_3gpuE2ELNS1_3repE0EEENS1_48merge_mergepath_partition_config_static_selectorELNS0_4arch9wavefront6targetE1EEEvSM_.kd
    .uniform_work_group_size: 1
    .uses_dynamic_stack: false
    .vgpr_count:     0
    .vgpr_spill_count: 0
    .wavefront_size: 64
  - .agpr_count:     0
    .args:
      - .offset:         0
        .size:           88
        .value_kind:     by_value
    .group_segment_fixed_size: 0
    .kernarg_segment_align: 8
    .kernarg_segment_size: 88
    .language:       OpenCL C
    .language_version:
      - 2
      - 0
    .max_flat_workgroup_size: 128
    .name:           _ZN7rocprim17ROCPRIM_400000_NS6detail17trampoline_kernelINS0_14default_configENS1_38merge_sort_block_merge_config_selectorIlNS0_10empty_typeEEEZZNS1_27merge_sort_block_merge_implIS3_PlPS5_mZN2at6native12_GLOBAL__N_124unique_dim_cuda_templateIdEESt5tupleIJNSA_6TensorESF_SF_EERKSF_lbbbEUlllE_EE10hipError_tT0_T1_T2_jT3_P12ihipStream_tbPNSt15iterator_traitsISL_E10value_typeEPNSR_ISM_E10value_typeEPSN_NS1_7vsmem_tEENKUlT_SL_SM_SN_E_clIS8_S8_S9_S9_EESK_S10_SL_SM_SN_EUlS10_E0_NS1_11comp_targetILNS1_3genE0ELNS1_11target_archE4294967295ELNS1_3gpuE0ELNS1_3repE0EEENS1_38merge_mergepath_config_static_selectorELNS0_4arch9wavefront6targetE1EEEvSM_
    .private_segment_fixed_size: 0
    .sgpr_count:     4
    .sgpr_spill_count: 0
    .symbol:         _ZN7rocprim17ROCPRIM_400000_NS6detail17trampoline_kernelINS0_14default_configENS1_38merge_sort_block_merge_config_selectorIlNS0_10empty_typeEEEZZNS1_27merge_sort_block_merge_implIS3_PlPS5_mZN2at6native12_GLOBAL__N_124unique_dim_cuda_templateIdEESt5tupleIJNSA_6TensorESF_SF_EERKSF_lbbbEUlllE_EE10hipError_tT0_T1_T2_jT3_P12ihipStream_tbPNSt15iterator_traitsISL_E10value_typeEPNSR_ISM_E10value_typeEPSN_NS1_7vsmem_tEENKUlT_SL_SM_SN_E_clIS8_S8_S9_S9_EESK_S10_SL_SM_SN_EUlS10_E0_NS1_11comp_targetILNS1_3genE0ELNS1_11target_archE4294967295ELNS1_3gpuE0ELNS1_3repE0EEENS1_38merge_mergepath_config_static_selectorELNS0_4arch9wavefront6targetE1EEEvSM_.kd
    .uniform_work_group_size: 1
    .uses_dynamic_stack: false
    .vgpr_count:     0
    .vgpr_spill_count: 0
    .wavefront_size: 64
  - .agpr_count:     0
    .args:
      - .offset:         0
        .size:           88
        .value_kind:     by_value
    .group_segment_fixed_size: 0
    .kernarg_segment_align: 8
    .kernarg_segment_size: 88
    .language:       OpenCL C
    .language_version:
      - 2
      - 0
    .max_flat_workgroup_size: 512
    .name:           _ZN7rocprim17ROCPRIM_400000_NS6detail17trampoline_kernelINS0_14default_configENS1_38merge_sort_block_merge_config_selectorIlNS0_10empty_typeEEEZZNS1_27merge_sort_block_merge_implIS3_PlPS5_mZN2at6native12_GLOBAL__N_124unique_dim_cuda_templateIdEESt5tupleIJNSA_6TensorESF_SF_EERKSF_lbbbEUlllE_EE10hipError_tT0_T1_T2_jT3_P12ihipStream_tbPNSt15iterator_traitsISL_E10value_typeEPNSR_ISM_E10value_typeEPSN_NS1_7vsmem_tEENKUlT_SL_SM_SN_E_clIS8_S8_S9_S9_EESK_S10_SL_SM_SN_EUlS10_E0_NS1_11comp_targetILNS1_3genE10ELNS1_11target_archE1201ELNS1_3gpuE5ELNS1_3repE0EEENS1_38merge_mergepath_config_static_selectorELNS0_4arch9wavefront6targetE1EEEvSM_
    .private_segment_fixed_size: 0
    .sgpr_count:     4
    .sgpr_spill_count: 0
    .symbol:         _ZN7rocprim17ROCPRIM_400000_NS6detail17trampoline_kernelINS0_14default_configENS1_38merge_sort_block_merge_config_selectorIlNS0_10empty_typeEEEZZNS1_27merge_sort_block_merge_implIS3_PlPS5_mZN2at6native12_GLOBAL__N_124unique_dim_cuda_templateIdEESt5tupleIJNSA_6TensorESF_SF_EERKSF_lbbbEUlllE_EE10hipError_tT0_T1_T2_jT3_P12ihipStream_tbPNSt15iterator_traitsISL_E10value_typeEPNSR_ISM_E10value_typeEPSN_NS1_7vsmem_tEENKUlT_SL_SM_SN_E_clIS8_S8_S9_S9_EESK_S10_SL_SM_SN_EUlS10_E0_NS1_11comp_targetILNS1_3genE10ELNS1_11target_archE1201ELNS1_3gpuE5ELNS1_3repE0EEENS1_38merge_mergepath_config_static_selectorELNS0_4arch9wavefront6targetE1EEEvSM_.kd
    .uniform_work_group_size: 1
    .uses_dynamic_stack: false
    .vgpr_count:     0
    .vgpr_spill_count: 0
    .wavefront_size: 64
  - .agpr_count:     0
    .args:
      - .offset:         0
        .size:           88
        .value_kind:     by_value
    .group_segment_fixed_size: 0
    .kernarg_segment_align: 8
    .kernarg_segment_size: 88
    .language:       OpenCL C
    .language_version:
      - 2
      - 0
    .max_flat_workgroup_size: 128
    .name:           _ZN7rocprim17ROCPRIM_400000_NS6detail17trampoline_kernelINS0_14default_configENS1_38merge_sort_block_merge_config_selectorIlNS0_10empty_typeEEEZZNS1_27merge_sort_block_merge_implIS3_PlPS5_mZN2at6native12_GLOBAL__N_124unique_dim_cuda_templateIdEESt5tupleIJNSA_6TensorESF_SF_EERKSF_lbbbEUlllE_EE10hipError_tT0_T1_T2_jT3_P12ihipStream_tbPNSt15iterator_traitsISL_E10value_typeEPNSR_ISM_E10value_typeEPSN_NS1_7vsmem_tEENKUlT_SL_SM_SN_E_clIS8_S8_S9_S9_EESK_S10_SL_SM_SN_EUlS10_E0_NS1_11comp_targetILNS1_3genE5ELNS1_11target_archE942ELNS1_3gpuE9ELNS1_3repE0EEENS1_38merge_mergepath_config_static_selectorELNS0_4arch9wavefront6targetE1EEEvSM_
    .private_segment_fixed_size: 0
    .sgpr_count:     4
    .sgpr_spill_count: 0
    .symbol:         _ZN7rocprim17ROCPRIM_400000_NS6detail17trampoline_kernelINS0_14default_configENS1_38merge_sort_block_merge_config_selectorIlNS0_10empty_typeEEEZZNS1_27merge_sort_block_merge_implIS3_PlPS5_mZN2at6native12_GLOBAL__N_124unique_dim_cuda_templateIdEESt5tupleIJNSA_6TensorESF_SF_EERKSF_lbbbEUlllE_EE10hipError_tT0_T1_T2_jT3_P12ihipStream_tbPNSt15iterator_traitsISL_E10value_typeEPNSR_ISM_E10value_typeEPSN_NS1_7vsmem_tEENKUlT_SL_SM_SN_E_clIS8_S8_S9_S9_EESK_S10_SL_SM_SN_EUlS10_E0_NS1_11comp_targetILNS1_3genE5ELNS1_11target_archE942ELNS1_3gpuE9ELNS1_3repE0EEENS1_38merge_mergepath_config_static_selectorELNS0_4arch9wavefront6targetE1EEEvSM_.kd
    .uniform_work_group_size: 1
    .uses_dynamic_stack: false
    .vgpr_count:     0
    .vgpr_spill_count: 0
    .wavefront_size: 64
  - .agpr_count:     0
    .args:
      - .offset:         0
        .size:           88
        .value_kind:     by_value
      - .offset:         88
        .size:           4
        .value_kind:     hidden_block_count_x
      - .offset:         92
        .size:           4
        .value_kind:     hidden_block_count_y
      - .offset:         96
        .size:           4
        .value_kind:     hidden_block_count_z
      - .offset:         100
        .size:           2
        .value_kind:     hidden_group_size_x
      - .offset:         102
        .size:           2
        .value_kind:     hidden_group_size_y
      - .offset:         104
        .size:           2
        .value_kind:     hidden_group_size_z
      - .offset:         106
        .size:           2
        .value_kind:     hidden_remainder_x
      - .offset:         108
        .size:           2
        .value_kind:     hidden_remainder_y
      - .offset:         110
        .size:           2
        .value_kind:     hidden_remainder_z
      - .offset:         128
        .size:           8
        .value_kind:     hidden_global_offset_x
      - .offset:         136
        .size:           8
        .value_kind:     hidden_global_offset_y
      - .offset:         144
        .size:           8
        .value_kind:     hidden_global_offset_z
      - .offset:         152
        .size:           2
        .value_kind:     hidden_grid_dims
    .group_segment_fixed_size: 8448
    .kernarg_segment_align: 8
    .kernarg_segment_size: 344
    .language:       OpenCL C
    .language_version:
      - 2
      - 0
    .max_flat_workgroup_size: 256
    .name:           _ZN7rocprim17ROCPRIM_400000_NS6detail17trampoline_kernelINS0_14default_configENS1_38merge_sort_block_merge_config_selectorIlNS0_10empty_typeEEEZZNS1_27merge_sort_block_merge_implIS3_PlPS5_mZN2at6native12_GLOBAL__N_124unique_dim_cuda_templateIdEESt5tupleIJNSA_6TensorESF_SF_EERKSF_lbbbEUlllE_EE10hipError_tT0_T1_T2_jT3_P12ihipStream_tbPNSt15iterator_traitsISL_E10value_typeEPNSR_ISM_E10value_typeEPSN_NS1_7vsmem_tEENKUlT_SL_SM_SN_E_clIS8_S8_S9_S9_EESK_S10_SL_SM_SN_EUlS10_E0_NS1_11comp_targetILNS1_3genE4ELNS1_11target_archE910ELNS1_3gpuE8ELNS1_3repE0EEENS1_38merge_mergepath_config_static_selectorELNS0_4arch9wavefront6targetE1EEEvSM_
    .private_segment_fixed_size: 0
    .sgpr_count:     52
    .sgpr_spill_count: 0
    .symbol:         _ZN7rocprim17ROCPRIM_400000_NS6detail17trampoline_kernelINS0_14default_configENS1_38merge_sort_block_merge_config_selectorIlNS0_10empty_typeEEEZZNS1_27merge_sort_block_merge_implIS3_PlPS5_mZN2at6native12_GLOBAL__N_124unique_dim_cuda_templateIdEESt5tupleIJNSA_6TensorESF_SF_EERKSF_lbbbEUlllE_EE10hipError_tT0_T1_T2_jT3_P12ihipStream_tbPNSt15iterator_traitsISL_E10value_typeEPNSR_ISM_E10value_typeEPSN_NS1_7vsmem_tEENKUlT_SL_SM_SN_E_clIS8_S8_S9_S9_EESK_S10_SL_SM_SN_EUlS10_E0_NS1_11comp_targetILNS1_3genE4ELNS1_11target_archE910ELNS1_3gpuE8ELNS1_3repE0EEENS1_38merge_mergepath_config_static_selectorELNS0_4arch9wavefront6targetE1EEEvSM_.kd
    .uniform_work_group_size: 1
    .uses_dynamic_stack: false
    .vgpr_count:     28
    .vgpr_spill_count: 0
    .wavefront_size: 64
  - .agpr_count:     0
    .args:
      - .offset:         0
        .size:           88
        .value_kind:     by_value
    .group_segment_fixed_size: 0
    .kernarg_segment_align: 8
    .kernarg_segment_size: 88
    .language:       OpenCL C
    .language_version:
      - 2
      - 0
    .max_flat_workgroup_size: 128
    .name:           _ZN7rocprim17ROCPRIM_400000_NS6detail17trampoline_kernelINS0_14default_configENS1_38merge_sort_block_merge_config_selectorIlNS0_10empty_typeEEEZZNS1_27merge_sort_block_merge_implIS3_PlPS5_mZN2at6native12_GLOBAL__N_124unique_dim_cuda_templateIdEESt5tupleIJNSA_6TensorESF_SF_EERKSF_lbbbEUlllE_EE10hipError_tT0_T1_T2_jT3_P12ihipStream_tbPNSt15iterator_traitsISL_E10value_typeEPNSR_ISM_E10value_typeEPSN_NS1_7vsmem_tEENKUlT_SL_SM_SN_E_clIS8_S8_S9_S9_EESK_S10_SL_SM_SN_EUlS10_E0_NS1_11comp_targetILNS1_3genE3ELNS1_11target_archE908ELNS1_3gpuE7ELNS1_3repE0EEENS1_38merge_mergepath_config_static_selectorELNS0_4arch9wavefront6targetE1EEEvSM_
    .private_segment_fixed_size: 0
    .sgpr_count:     4
    .sgpr_spill_count: 0
    .symbol:         _ZN7rocprim17ROCPRIM_400000_NS6detail17trampoline_kernelINS0_14default_configENS1_38merge_sort_block_merge_config_selectorIlNS0_10empty_typeEEEZZNS1_27merge_sort_block_merge_implIS3_PlPS5_mZN2at6native12_GLOBAL__N_124unique_dim_cuda_templateIdEESt5tupleIJNSA_6TensorESF_SF_EERKSF_lbbbEUlllE_EE10hipError_tT0_T1_T2_jT3_P12ihipStream_tbPNSt15iterator_traitsISL_E10value_typeEPNSR_ISM_E10value_typeEPSN_NS1_7vsmem_tEENKUlT_SL_SM_SN_E_clIS8_S8_S9_S9_EESK_S10_SL_SM_SN_EUlS10_E0_NS1_11comp_targetILNS1_3genE3ELNS1_11target_archE908ELNS1_3gpuE7ELNS1_3repE0EEENS1_38merge_mergepath_config_static_selectorELNS0_4arch9wavefront6targetE1EEEvSM_.kd
    .uniform_work_group_size: 1
    .uses_dynamic_stack: false
    .vgpr_count:     0
    .vgpr_spill_count: 0
    .wavefront_size: 64
  - .agpr_count:     0
    .args:
      - .offset:         0
        .size:           88
        .value_kind:     by_value
    .group_segment_fixed_size: 0
    .kernarg_segment_align: 8
    .kernarg_segment_size: 88
    .language:       OpenCL C
    .language_version:
      - 2
      - 0
    .max_flat_workgroup_size: 256
    .name:           _ZN7rocprim17ROCPRIM_400000_NS6detail17trampoline_kernelINS0_14default_configENS1_38merge_sort_block_merge_config_selectorIlNS0_10empty_typeEEEZZNS1_27merge_sort_block_merge_implIS3_PlPS5_mZN2at6native12_GLOBAL__N_124unique_dim_cuda_templateIdEESt5tupleIJNSA_6TensorESF_SF_EERKSF_lbbbEUlllE_EE10hipError_tT0_T1_T2_jT3_P12ihipStream_tbPNSt15iterator_traitsISL_E10value_typeEPNSR_ISM_E10value_typeEPSN_NS1_7vsmem_tEENKUlT_SL_SM_SN_E_clIS8_S8_S9_S9_EESK_S10_SL_SM_SN_EUlS10_E0_NS1_11comp_targetILNS1_3genE2ELNS1_11target_archE906ELNS1_3gpuE6ELNS1_3repE0EEENS1_38merge_mergepath_config_static_selectorELNS0_4arch9wavefront6targetE1EEEvSM_
    .private_segment_fixed_size: 0
    .sgpr_count:     4
    .sgpr_spill_count: 0
    .symbol:         _ZN7rocprim17ROCPRIM_400000_NS6detail17trampoline_kernelINS0_14default_configENS1_38merge_sort_block_merge_config_selectorIlNS0_10empty_typeEEEZZNS1_27merge_sort_block_merge_implIS3_PlPS5_mZN2at6native12_GLOBAL__N_124unique_dim_cuda_templateIdEESt5tupleIJNSA_6TensorESF_SF_EERKSF_lbbbEUlllE_EE10hipError_tT0_T1_T2_jT3_P12ihipStream_tbPNSt15iterator_traitsISL_E10value_typeEPNSR_ISM_E10value_typeEPSN_NS1_7vsmem_tEENKUlT_SL_SM_SN_E_clIS8_S8_S9_S9_EESK_S10_SL_SM_SN_EUlS10_E0_NS1_11comp_targetILNS1_3genE2ELNS1_11target_archE906ELNS1_3gpuE6ELNS1_3repE0EEENS1_38merge_mergepath_config_static_selectorELNS0_4arch9wavefront6targetE1EEEvSM_.kd
    .uniform_work_group_size: 1
    .uses_dynamic_stack: false
    .vgpr_count:     0
    .vgpr_spill_count: 0
    .wavefront_size: 64
  - .agpr_count:     0
    .args:
      - .offset:         0
        .size:           88
        .value_kind:     by_value
    .group_segment_fixed_size: 0
    .kernarg_segment_align: 8
    .kernarg_segment_size: 88
    .language:       OpenCL C
    .language_version:
      - 2
      - 0
    .max_flat_workgroup_size: 512
    .name:           _ZN7rocprim17ROCPRIM_400000_NS6detail17trampoline_kernelINS0_14default_configENS1_38merge_sort_block_merge_config_selectorIlNS0_10empty_typeEEEZZNS1_27merge_sort_block_merge_implIS3_PlPS5_mZN2at6native12_GLOBAL__N_124unique_dim_cuda_templateIdEESt5tupleIJNSA_6TensorESF_SF_EERKSF_lbbbEUlllE_EE10hipError_tT0_T1_T2_jT3_P12ihipStream_tbPNSt15iterator_traitsISL_E10value_typeEPNSR_ISM_E10value_typeEPSN_NS1_7vsmem_tEENKUlT_SL_SM_SN_E_clIS8_S8_S9_S9_EESK_S10_SL_SM_SN_EUlS10_E0_NS1_11comp_targetILNS1_3genE9ELNS1_11target_archE1100ELNS1_3gpuE3ELNS1_3repE0EEENS1_38merge_mergepath_config_static_selectorELNS0_4arch9wavefront6targetE1EEEvSM_
    .private_segment_fixed_size: 0
    .sgpr_count:     4
    .sgpr_spill_count: 0
    .symbol:         _ZN7rocprim17ROCPRIM_400000_NS6detail17trampoline_kernelINS0_14default_configENS1_38merge_sort_block_merge_config_selectorIlNS0_10empty_typeEEEZZNS1_27merge_sort_block_merge_implIS3_PlPS5_mZN2at6native12_GLOBAL__N_124unique_dim_cuda_templateIdEESt5tupleIJNSA_6TensorESF_SF_EERKSF_lbbbEUlllE_EE10hipError_tT0_T1_T2_jT3_P12ihipStream_tbPNSt15iterator_traitsISL_E10value_typeEPNSR_ISM_E10value_typeEPSN_NS1_7vsmem_tEENKUlT_SL_SM_SN_E_clIS8_S8_S9_S9_EESK_S10_SL_SM_SN_EUlS10_E0_NS1_11comp_targetILNS1_3genE9ELNS1_11target_archE1100ELNS1_3gpuE3ELNS1_3repE0EEENS1_38merge_mergepath_config_static_selectorELNS0_4arch9wavefront6targetE1EEEvSM_.kd
    .uniform_work_group_size: 1
    .uses_dynamic_stack: false
    .vgpr_count:     0
    .vgpr_spill_count: 0
    .wavefront_size: 64
  - .agpr_count:     0
    .args:
      - .offset:         0
        .size:           88
        .value_kind:     by_value
    .group_segment_fixed_size: 0
    .kernarg_segment_align: 8
    .kernarg_segment_size: 88
    .language:       OpenCL C
    .language_version:
      - 2
      - 0
    .max_flat_workgroup_size: 1024
    .name:           _ZN7rocprim17ROCPRIM_400000_NS6detail17trampoline_kernelINS0_14default_configENS1_38merge_sort_block_merge_config_selectorIlNS0_10empty_typeEEEZZNS1_27merge_sort_block_merge_implIS3_PlPS5_mZN2at6native12_GLOBAL__N_124unique_dim_cuda_templateIdEESt5tupleIJNSA_6TensorESF_SF_EERKSF_lbbbEUlllE_EE10hipError_tT0_T1_T2_jT3_P12ihipStream_tbPNSt15iterator_traitsISL_E10value_typeEPNSR_ISM_E10value_typeEPSN_NS1_7vsmem_tEENKUlT_SL_SM_SN_E_clIS8_S8_S9_S9_EESK_S10_SL_SM_SN_EUlS10_E0_NS1_11comp_targetILNS1_3genE8ELNS1_11target_archE1030ELNS1_3gpuE2ELNS1_3repE0EEENS1_38merge_mergepath_config_static_selectorELNS0_4arch9wavefront6targetE1EEEvSM_
    .private_segment_fixed_size: 0
    .sgpr_count:     4
    .sgpr_spill_count: 0
    .symbol:         _ZN7rocprim17ROCPRIM_400000_NS6detail17trampoline_kernelINS0_14default_configENS1_38merge_sort_block_merge_config_selectorIlNS0_10empty_typeEEEZZNS1_27merge_sort_block_merge_implIS3_PlPS5_mZN2at6native12_GLOBAL__N_124unique_dim_cuda_templateIdEESt5tupleIJNSA_6TensorESF_SF_EERKSF_lbbbEUlllE_EE10hipError_tT0_T1_T2_jT3_P12ihipStream_tbPNSt15iterator_traitsISL_E10value_typeEPNSR_ISM_E10value_typeEPSN_NS1_7vsmem_tEENKUlT_SL_SM_SN_E_clIS8_S8_S9_S9_EESK_S10_SL_SM_SN_EUlS10_E0_NS1_11comp_targetILNS1_3genE8ELNS1_11target_archE1030ELNS1_3gpuE2ELNS1_3repE0EEENS1_38merge_mergepath_config_static_selectorELNS0_4arch9wavefront6targetE1EEEvSM_.kd
    .uniform_work_group_size: 1
    .uses_dynamic_stack: false
    .vgpr_count:     0
    .vgpr_spill_count: 0
    .wavefront_size: 64
  - .agpr_count:     0
    .args:
      - .offset:         0
        .size:           64
        .value_kind:     by_value
    .group_segment_fixed_size: 0
    .kernarg_segment_align: 8
    .kernarg_segment_size: 64
    .language:       OpenCL C
    .language_version:
      - 2
      - 0
    .max_flat_workgroup_size: 256
    .name:           _ZN7rocprim17ROCPRIM_400000_NS6detail17trampoline_kernelINS0_14default_configENS1_38merge_sort_block_merge_config_selectorIlNS0_10empty_typeEEEZZNS1_27merge_sort_block_merge_implIS3_PlPS5_mZN2at6native12_GLOBAL__N_124unique_dim_cuda_templateIdEESt5tupleIJNSA_6TensorESF_SF_EERKSF_lbbbEUlllE_EE10hipError_tT0_T1_T2_jT3_P12ihipStream_tbPNSt15iterator_traitsISL_E10value_typeEPNSR_ISM_E10value_typeEPSN_NS1_7vsmem_tEENKUlT_SL_SM_SN_E_clIS8_S8_S9_S9_EESK_S10_SL_SM_SN_EUlS10_E1_NS1_11comp_targetILNS1_3genE0ELNS1_11target_archE4294967295ELNS1_3gpuE0ELNS1_3repE0EEENS1_36merge_oddeven_config_static_selectorELNS0_4arch9wavefront6targetE1EEEvSM_
    .private_segment_fixed_size: 0
    .sgpr_count:     4
    .sgpr_spill_count: 0
    .symbol:         _ZN7rocprim17ROCPRIM_400000_NS6detail17trampoline_kernelINS0_14default_configENS1_38merge_sort_block_merge_config_selectorIlNS0_10empty_typeEEEZZNS1_27merge_sort_block_merge_implIS3_PlPS5_mZN2at6native12_GLOBAL__N_124unique_dim_cuda_templateIdEESt5tupleIJNSA_6TensorESF_SF_EERKSF_lbbbEUlllE_EE10hipError_tT0_T1_T2_jT3_P12ihipStream_tbPNSt15iterator_traitsISL_E10value_typeEPNSR_ISM_E10value_typeEPSN_NS1_7vsmem_tEENKUlT_SL_SM_SN_E_clIS8_S8_S9_S9_EESK_S10_SL_SM_SN_EUlS10_E1_NS1_11comp_targetILNS1_3genE0ELNS1_11target_archE4294967295ELNS1_3gpuE0ELNS1_3repE0EEENS1_36merge_oddeven_config_static_selectorELNS0_4arch9wavefront6targetE1EEEvSM_.kd
    .uniform_work_group_size: 1
    .uses_dynamic_stack: false
    .vgpr_count:     0
    .vgpr_spill_count: 0
    .wavefront_size: 64
  - .agpr_count:     0
    .args:
      - .offset:         0
        .size:           64
        .value_kind:     by_value
    .group_segment_fixed_size: 0
    .kernarg_segment_align: 8
    .kernarg_segment_size: 64
    .language:       OpenCL C
    .language_version:
      - 2
      - 0
    .max_flat_workgroup_size: 256
    .name:           _ZN7rocprim17ROCPRIM_400000_NS6detail17trampoline_kernelINS0_14default_configENS1_38merge_sort_block_merge_config_selectorIlNS0_10empty_typeEEEZZNS1_27merge_sort_block_merge_implIS3_PlPS5_mZN2at6native12_GLOBAL__N_124unique_dim_cuda_templateIdEESt5tupleIJNSA_6TensorESF_SF_EERKSF_lbbbEUlllE_EE10hipError_tT0_T1_T2_jT3_P12ihipStream_tbPNSt15iterator_traitsISL_E10value_typeEPNSR_ISM_E10value_typeEPSN_NS1_7vsmem_tEENKUlT_SL_SM_SN_E_clIS8_S8_S9_S9_EESK_S10_SL_SM_SN_EUlS10_E1_NS1_11comp_targetILNS1_3genE10ELNS1_11target_archE1201ELNS1_3gpuE5ELNS1_3repE0EEENS1_36merge_oddeven_config_static_selectorELNS0_4arch9wavefront6targetE1EEEvSM_
    .private_segment_fixed_size: 0
    .sgpr_count:     4
    .sgpr_spill_count: 0
    .symbol:         _ZN7rocprim17ROCPRIM_400000_NS6detail17trampoline_kernelINS0_14default_configENS1_38merge_sort_block_merge_config_selectorIlNS0_10empty_typeEEEZZNS1_27merge_sort_block_merge_implIS3_PlPS5_mZN2at6native12_GLOBAL__N_124unique_dim_cuda_templateIdEESt5tupleIJNSA_6TensorESF_SF_EERKSF_lbbbEUlllE_EE10hipError_tT0_T1_T2_jT3_P12ihipStream_tbPNSt15iterator_traitsISL_E10value_typeEPNSR_ISM_E10value_typeEPSN_NS1_7vsmem_tEENKUlT_SL_SM_SN_E_clIS8_S8_S9_S9_EESK_S10_SL_SM_SN_EUlS10_E1_NS1_11comp_targetILNS1_3genE10ELNS1_11target_archE1201ELNS1_3gpuE5ELNS1_3repE0EEENS1_36merge_oddeven_config_static_selectorELNS0_4arch9wavefront6targetE1EEEvSM_.kd
    .uniform_work_group_size: 1
    .uses_dynamic_stack: false
    .vgpr_count:     0
    .vgpr_spill_count: 0
    .wavefront_size: 64
  - .agpr_count:     0
    .args:
      - .offset:         0
        .size:           64
        .value_kind:     by_value
    .group_segment_fixed_size: 0
    .kernarg_segment_align: 8
    .kernarg_segment_size: 64
    .language:       OpenCL C
    .language_version:
      - 2
      - 0
    .max_flat_workgroup_size: 256
    .name:           _ZN7rocprim17ROCPRIM_400000_NS6detail17trampoline_kernelINS0_14default_configENS1_38merge_sort_block_merge_config_selectorIlNS0_10empty_typeEEEZZNS1_27merge_sort_block_merge_implIS3_PlPS5_mZN2at6native12_GLOBAL__N_124unique_dim_cuda_templateIdEESt5tupleIJNSA_6TensorESF_SF_EERKSF_lbbbEUlllE_EE10hipError_tT0_T1_T2_jT3_P12ihipStream_tbPNSt15iterator_traitsISL_E10value_typeEPNSR_ISM_E10value_typeEPSN_NS1_7vsmem_tEENKUlT_SL_SM_SN_E_clIS8_S8_S9_S9_EESK_S10_SL_SM_SN_EUlS10_E1_NS1_11comp_targetILNS1_3genE5ELNS1_11target_archE942ELNS1_3gpuE9ELNS1_3repE0EEENS1_36merge_oddeven_config_static_selectorELNS0_4arch9wavefront6targetE1EEEvSM_
    .private_segment_fixed_size: 0
    .sgpr_count:     4
    .sgpr_spill_count: 0
    .symbol:         _ZN7rocprim17ROCPRIM_400000_NS6detail17trampoline_kernelINS0_14default_configENS1_38merge_sort_block_merge_config_selectorIlNS0_10empty_typeEEEZZNS1_27merge_sort_block_merge_implIS3_PlPS5_mZN2at6native12_GLOBAL__N_124unique_dim_cuda_templateIdEESt5tupleIJNSA_6TensorESF_SF_EERKSF_lbbbEUlllE_EE10hipError_tT0_T1_T2_jT3_P12ihipStream_tbPNSt15iterator_traitsISL_E10value_typeEPNSR_ISM_E10value_typeEPSN_NS1_7vsmem_tEENKUlT_SL_SM_SN_E_clIS8_S8_S9_S9_EESK_S10_SL_SM_SN_EUlS10_E1_NS1_11comp_targetILNS1_3genE5ELNS1_11target_archE942ELNS1_3gpuE9ELNS1_3repE0EEENS1_36merge_oddeven_config_static_selectorELNS0_4arch9wavefront6targetE1EEEvSM_.kd
    .uniform_work_group_size: 1
    .uses_dynamic_stack: false
    .vgpr_count:     0
    .vgpr_spill_count: 0
    .wavefront_size: 64
  - .agpr_count:     0
    .args:
      - .offset:         0
        .size:           64
        .value_kind:     by_value
    .group_segment_fixed_size: 0
    .kernarg_segment_align: 8
    .kernarg_segment_size: 64
    .language:       OpenCL C
    .language_version:
      - 2
      - 0
    .max_flat_workgroup_size: 256
    .name:           _ZN7rocprim17ROCPRIM_400000_NS6detail17trampoline_kernelINS0_14default_configENS1_38merge_sort_block_merge_config_selectorIlNS0_10empty_typeEEEZZNS1_27merge_sort_block_merge_implIS3_PlPS5_mZN2at6native12_GLOBAL__N_124unique_dim_cuda_templateIdEESt5tupleIJNSA_6TensorESF_SF_EERKSF_lbbbEUlllE_EE10hipError_tT0_T1_T2_jT3_P12ihipStream_tbPNSt15iterator_traitsISL_E10value_typeEPNSR_ISM_E10value_typeEPSN_NS1_7vsmem_tEENKUlT_SL_SM_SN_E_clIS8_S8_S9_S9_EESK_S10_SL_SM_SN_EUlS10_E1_NS1_11comp_targetILNS1_3genE4ELNS1_11target_archE910ELNS1_3gpuE8ELNS1_3repE0EEENS1_36merge_oddeven_config_static_selectorELNS0_4arch9wavefront6targetE1EEEvSM_
    .private_segment_fixed_size: 0
    .sgpr_count:     50
    .sgpr_spill_count: 0
    .symbol:         _ZN7rocprim17ROCPRIM_400000_NS6detail17trampoline_kernelINS0_14default_configENS1_38merge_sort_block_merge_config_selectorIlNS0_10empty_typeEEEZZNS1_27merge_sort_block_merge_implIS3_PlPS5_mZN2at6native12_GLOBAL__N_124unique_dim_cuda_templateIdEESt5tupleIJNSA_6TensorESF_SF_EERKSF_lbbbEUlllE_EE10hipError_tT0_T1_T2_jT3_P12ihipStream_tbPNSt15iterator_traitsISL_E10value_typeEPNSR_ISM_E10value_typeEPSN_NS1_7vsmem_tEENKUlT_SL_SM_SN_E_clIS8_S8_S9_S9_EESK_S10_SL_SM_SN_EUlS10_E1_NS1_11comp_targetILNS1_3genE4ELNS1_11target_archE910ELNS1_3gpuE8ELNS1_3repE0EEENS1_36merge_oddeven_config_static_selectorELNS0_4arch9wavefront6targetE1EEEvSM_.kd
    .uniform_work_group_size: 1
    .uses_dynamic_stack: false
    .vgpr_count:     20
    .vgpr_spill_count: 0
    .wavefront_size: 64
  - .agpr_count:     0
    .args:
      - .offset:         0
        .size:           64
        .value_kind:     by_value
    .group_segment_fixed_size: 0
    .kernarg_segment_align: 8
    .kernarg_segment_size: 64
    .language:       OpenCL C
    .language_version:
      - 2
      - 0
    .max_flat_workgroup_size: 256
    .name:           _ZN7rocprim17ROCPRIM_400000_NS6detail17trampoline_kernelINS0_14default_configENS1_38merge_sort_block_merge_config_selectorIlNS0_10empty_typeEEEZZNS1_27merge_sort_block_merge_implIS3_PlPS5_mZN2at6native12_GLOBAL__N_124unique_dim_cuda_templateIdEESt5tupleIJNSA_6TensorESF_SF_EERKSF_lbbbEUlllE_EE10hipError_tT0_T1_T2_jT3_P12ihipStream_tbPNSt15iterator_traitsISL_E10value_typeEPNSR_ISM_E10value_typeEPSN_NS1_7vsmem_tEENKUlT_SL_SM_SN_E_clIS8_S8_S9_S9_EESK_S10_SL_SM_SN_EUlS10_E1_NS1_11comp_targetILNS1_3genE3ELNS1_11target_archE908ELNS1_3gpuE7ELNS1_3repE0EEENS1_36merge_oddeven_config_static_selectorELNS0_4arch9wavefront6targetE1EEEvSM_
    .private_segment_fixed_size: 0
    .sgpr_count:     4
    .sgpr_spill_count: 0
    .symbol:         _ZN7rocprim17ROCPRIM_400000_NS6detail17trampoline_kernelINS0_14default_configENS1_38merge_sort_block_merge_config_selectorIlNS0_10empty_typeEEEZZNS1_27merge_sort_block_merge_implIS3_PlPS5_mZN2at6native12_GLOBAL__N_124unique_dim_cuda_templateIdEESt5tupleIJNSA_6TensorESF_SF_EERKSF_lbbbEUlllE_EE10hipError_tT0_T1_T2_jT3_P12ihipStream_tbPNSt15iterator_traitsISL_E10value_typeEPNSR_ISM_E10value_typeEPSN_NS1_7vsmem_tEENKUlT_SL_SM_SN_E_clIS8_S8_S9_S9_EESK_S10_SL_SM_SN_EUlS10_E1_NS1_11comp_targetILNS1_3genE3ELNS1_11target_archE908ELNS1_3gpuE7ELNS1_3repE0EEENS1_36merge_oddeven_config_static_selectorELNS0_4arch9wavefront6targetE1EEEvSM_.kd
    .uniform_work_group_size: 1
    .uses_dynamic_stack: false
    .vgpr_count:     0
    .vgpr_spill_count: 0
    .wavefront_size: 64
  - .agpr_count:     0
    .args:
      - .offset:         0
        .size:           64
        .value_kind:     by_value
    .group_segment_fixed_size: 0
    .kernarg_segment_align: 8
    .kernarg_segment_size: 64
    .language:       OpenCL C
    .language_version:
      - 2
      - 0
    .max_flat_workgroup_size: 256
    .name:           _ZN7rocprim17ROCPRIM_400000_NS6detail17trampoline_kernelINS0_14default_configENS1_38merge_sort_block_merge_config_selectorIlNS0_10empty_typeEEEZZNS1_27merge_sort_block_merge_implIS3_PlPS5_mZN2at6native12_GLOBAL__N_124unique_dim_cuda_templateIdEESt5tupleIJNSA_6TensorESF_SF_EERKSF_lbbbEUlllE_EE10hipError_tT0_T1_T2_jT3_P12ihipStream_tbPNSt15iterator_traitsISL_E10value_typeEPNSR_ISM_E10value_typeEPSN_NS1_7vsmem_tEENKUlT_SL_SM_SN_E_clIS8_S8_S9_S9_EESK_S10_SL_SM_SN_EUlS10_E1_NS1_11comp_targetILNS1_3genE2ELNS1_11target_archE906ELNS1_3gpuE6ELNS1_3repE0EEENS1_36merge_oddeven_config_static_selectorELNS0_4arch9wavefront6targetE1EEEvSM_
    .private_segment_fixed_size: 0
    .sgpr_count:     4
    .sgpr_spill_count: 0
    .symbol:         _ZN7rocprim17ROCPRIM_400000_NS6detail17trampoline_kernelINS0_14default_configENS1_38merge_sort_block_merge_config_selectorIlNS0_10empty_typeEEEZZNS1_27merge_sort_block_merge_implIS3_PlPS5_mZN2at6native12_GLOBAL__N_124unique_dim_cuda_templateIdEESt5tupleIJNSA_6TensorESF_SF_EERKSF_lbbbEUlllE_EE10hipError_tT0_T1_T2_jT3_P12ihipStream_tbPNSt15iterator_traitsISL_E10value_typeEPNSR_ISM_E10value_typeEPSN_NS1_7vsmem_tEENKUlT_SL_SM_SN_E_clIS8_S8_S9_S9_EESK_S10_SL_SM_SN_EUlS10_E1_NS1_11comp_targetILNS1_3genE2ELNS1_11target_archE906ELNS1_3gpuE6ELNS1_3repE0EEENS1_36merge_oddeven_config_static_selectorELNS0_4arch9wavefront6targetE1EEEvSM_.kd
    .uniform_work_group_size: 1
    .uses_dynamic_stack: false
    .vgpr_count:     0
    .vgpr_spill_count: 0
    .wavefront_size: 64
  - .agpr_count:     0
    .args:
      - .offset:         0
        .size:           64
        .value_kind:     by_value
    .group_segment_fixed_size: 0
    .kernarg_segment_align: 8
    .kernarg_segment_size: 64
    .language:       OpenCL C
    .language_version:
      - 2
      - 0
    .max_flat_workgroup_size: 256
    .name:           _ZN7rocprim17ROCPRIM_400000_NS6detail17trampoline_kernelINS0_14default_configENS1_38merge_sort_block_merge_config_selectorIlNS0_10empty_typeEEEZZNS1_27merge_sort_block_merge_implIS3_PlPS5_mZN2at6native12_GLOBAL__N_124unique_dim_cuda_templateIdEESt5tupleIJNSA_6TensorESF_SF_EERKSF_lbbbEUlllE_EE10hipError_tT0_T1_T2_jT3_P12ihipStream_tbPNSt15iterator_traitsISL_E10value_typeEPNSR_ISM_E10value_typeEPSN_NS1_7vsmem_tEENKUlT_SL_SM_SN_E_clIS8_S8_S9_S9_EESK_S10_SL_SM_SN_EUlS10_E1_NS1_11comp_targetILNS1_3genE9ELNS1_11target_archE1100ELNS1_3gpuE3ELNS1_3repE0EEENS1_36merge_oddeven_config_static_selectorELNS0_4arch9wavefront6targetE1EEEvSM_
    .private_segment_fixed_size: 0
    .sgpr_count:     4
    .sgpr_spill_count: 0
    .symbol:         _ZN7rocprim17ROCPRIM_400000_NS6detail17trampoline_kernelINS0_14default_configENS1_38merge_sort_block_merge_config_selectorIlNS0_10empty_typeEEEZZNS1_27merge_sort_block_merge_implIS3_PlPS5_mZN2at6native12_GLOBAL__N_124unique_dim_cuda_templateIdEESt5tupleIJNSA_6TensorESF_SF_EERKSF_lbbbEUlllE_EE10hipError_tT0_T1_T2_jT3_P12ihipStream_tbPNSt15iterator_traitsISL_E10value_typeEPNSR_ISM_E10value_typeEPSN_NS1_7vsmem_tEENKUlT_SL_SM_SN_E_clIS8_S8_S9_S9_EESK_S10_SL_SM_SN_EUlS10_E1_NS1_11comp_targetILNS1_3genE9ELNS1_11target_archE1100ELNS1_3gpuE3ELNS1_3repE0EEENS1_36merge_oddeven_config_static_selectorELNS0_4arch9wavefront6targetE1EEEvSM_.kd
    .uniform_work_group_size: 1
    .uses_dynamic_stack: false
    .vgpr_count:     0
    .vgpr_spill_count: 0
    .wavefront_size: 64
  - .agpr_count:     0
    .args:
      - .offset:         0
        .size:           64
        .value_kind:     by_value
    .group_segment_fixed_size: 0
    .kernarg_segment_align: 8
    .kernarg_segment_size: 64
    .language:       OpenCL C
    .language_version:
      - 2
      - 0
    .max_flat_workgroup_size: 256
    .name:           _ZN7rocprim17ROCPRIM_400000_NS6detail17trampoline_kernelINS0_14default_configENS1_38merge_sort_block_merge_config_selectorIlNS0_10empty_typeEEEZZNS1_27merge_sort_block_merge_implIS3_PlPS5_mZN2at6native12_GLOBAL__N_124unique_dim_cuda_templateIdEESt5tupleIJNSA_6TensorESF_SF_EERKSF_lbbbEUlllE_EE10hipError_tT0_T1_T2_jT3_P12ihipStream_tbPNSt15iterator_traitsISL_E10value_typeEPNSR_ISM_E10value_typeEPSN_NS1_7vsmem_tEENKUlT_SL_SM_SN_E_clIS8_S8_S9_S9_EESK_S10_SL_SM_SN_EUlS10_E1_NS1_11comp_targetILNS1_3genE8ELNS1_11target_archE1030ELNS1_3gpuE2ELNS1_3repE0EEENS1_36merge_oddeven_config_static_selectorELNS0_4arch9wavefront6targetE1EEEvSM_
    .private_segment_fixed_size: 0
    .sgpr_count:     4
    .sgpr_spill_count: 0
    .symbol:         _ZN7rocprim17ROCPRIM_400000_NS6detail17trampoline_kernelINS0_14default_configENS1_38merge_sort_block_merge_config_selectorIlNS0_10empty_typeEEEZZNS1_27merge_sort_block_merge_implIS3_PlPS5_mZN2at6native12_GLOBAL__N_124unique_dim_cuda_templateIdEESt5tupleIJNSA_6TensorESF_SF_EERKSF_lbbbEUlllE_EE10hipError_tT0_T1_T2_jT3_P12ihipStream_tbPNSt15iterator_traitsISL_E10value_typeEPNSR_ISM_E10value_typeEPSN_NS1_7vsmem_tEENKUlT_SL_SM_SN_E_clIS8_S8_S9_S9_EESK_S10_SL_SM_SN_EUlS10_E1_NS1_11comp_targetILNS1_3genE8ELNS1_11target_archE1030ELNS1_3gpuE2ELNS1_3repE0EEENS1_36merge_oddeven_config_static_selectorELNS0_4arch9wavefront6targetE1EEEvSM_.kd
    .uniform_work_group_size: 1
    .uses_dynamic_stack: false
    .vgpr_count:     0
    .vgpr_spill_count: 0
    .wavefront_size: 64
  - .agpr_count:     0
    .args:
      - .offset:         0
        .size:           64
        .value_kind:     by_value
    .group_segment_fixed_size: 0
    .kernarg_segment_align: 8
    .kernarg_segment_size: 64
    .language:       OpenCL C
    .language_version:
      - 2
      - 0
    .max_flat_workgroup_size: 128
    .name:           _ZN7rocprim17ROCPRIM_400000_NS6detail17trampoline_kernelINS0_14default_configENS1_35adjacent_difference_config_selectorILb0ElEEZNS1_24adjacent_difference_implIS3_Lb0ELb0EPlS7_ZN2at6native12_GLOBAL__N_124unique_dim_cuda_templateIdEESt5tupleIJNS8_6TensorESD_SD_EERKSD_lbbbEUlllE1_EE10hipError_tPvRmT2_T3_mT4_P12ihipStream_tbEUlT_E_NS1_11comp_targetILNS1_3genE0ELNS1_11target_archE4294967295ELNS1_3gpuE0ELNS1_3repE0EEENS1_30default_config_static_selectorELNS0_4arch9wavefront6targetE1EEEvT1_
    .private_segment_fixed_size: 0
    .sgpr_count:     4
    .sgpr_spill_count: 0
    .symbol:         _ZN7rocprim17ROCPRIM_400000_NS6detail17trampoline_kernelINS0_14default_configENS1_35adjacent_difference_config_selectorILb0ElEEZNS1_24adjacent_difference_implIS3_Lb0ELb0EPlS7_ZN2at6native12_GLOBAL__N_124unique_dim_cuda_templateIdEESt5tupleIJNS8_6TensorESD_SD_EERKSD_lbbbEUlllE1_EE10hipError_tPvRmT2_T3_mT4_P12ihipStream_tbEUlT_E_NS1_11comp_targetILNS1_3genE0ELNS1_11target_archE4294967295ELNS1_3gpuE0ELNS1_3repE0EEENS1_30default_config_static_selectorELNS0_4arch9wavefront6targetE1EEEvT1_.kd
    .uniform_work_group_size: 1
    .uses_dynamic_stack: false
    .vgpr_count:     0
    .vgpr_spill_count: 0
    .wavefront_size: 64
  - .agpr_count:     0
    .args:
      - .offset:         0
        .size:           64
        .value_kind:     by_value
    .group_segment_fixed_size: 0
    .kernarg_segment_align: 8
    .kernarg_segment_size: 64
    .language:       OpenCL C
    .language_version:
      - 2
      - 0
    .max_flat_workgroup_size: 128
    .name:           _ZN7rocprim17ROCPRIM_400000_NS6detail17trampoline_kernelINS0_14default_configENS1_35adjacent_difference_config_selectorILb0ElEEZNS1_24adjacent_difference_implIS3_Lb0ELb0EPlS7_ZN2at6native12_GLOBAL__N_124unique_dim_cuda_templateIdEESt5tupleIJNS8_6TensorESD_SD_EERKSD_lbbbEUlllE1_EE10hipError_tPvRmT2_T3_mT4_P12ihipStream_tbEUlT_E_NS1_11comp_targetILNS1_3genE10ELNS1_11target_archE1201ELNS1_3gpuE5ELNS1_3repE0EEENS1_30default_config_static_selectorELNS0_4arch9wavefront6targetE1EEEvT1_
    .private_segment_fixed_size: 0
    .sgpr_count:     4
    .sgpr_spill_count: 0
    .symbol:         _ZN7rocprim17ROCPRIM_400000_NS6detail17trampoline_kernelINS0_14default_configENS1_35adjacent_difference_config_selectorILb0ElEEZNS1_24adjacent_difference_implIS3_Lb0ELb0EPlS7_ZN2at6native12_GLOBAL__N_124unique_dim_cuda_templateIdEESt5tupleIJNS8_6TensorESD_SD_EERKSD_lbbbEUlllE1_EE10hipError_tPvRmT2_T3_mT4_P12ihipStream_tbEUlT_E_NS1_11comp_targetILNS1_3genE10ELNS1_11target_archE1201ELNS1_3gpuE5ELNS1_3repE0EEENS1_30default_config_static_selectorELNS0_4arch9wavefront6targetE1EEEvT1_.kd
    .uniform_work_group_size: 1
    .uses_dynamic_stack: false
    .vgpr_count:     0
    .vgpr_spill_count: 0
    .wavefront_size: 64
  - .agpr_count:     0
    .args:
      - .offset:         0
        .size:           64
        .value_kind:     by_value
    .group_segment_fixed_size: 0
    .kernarg_segment_align: 8
    .kernarg_segment_size: 64
    .language:       OpenCL C
    .language_version:
      - 2
      - 0
    .max_flat_workgroup_size: 64
    .name:           _ZN7rocprim17ROCPRIM_400000_NS6detail17trampoline_kernelINS0_14default_configENS1_35adjacent_difference_config_selectorILb0ElEEZNS1_24adjacent_difference_implIS3_Lb0ELb0EPlS7_ZN2at6native12_GLOBAL__N_124unique_dim_cuda_templateIdEESt5tupleIJNS8_6TensorESD_SD_EERKSD_lbbbEUlllE1_EE10hipError_tPvRmT2_T3_mT4_P12ihipStream_tbEUlT_E_NS1_11comp_targetILNS1_3genE5ELNS1_11target_archE942ELNS1_3gpuE9ELNS1_3repE0EEENS1_30default_config_static_selectorELNS0_4arch9wavefront6targetE1EEEvT1_
    .private_segment_fixed_size: 0
    .sgpr_count:     4
    .sgpr_spill_count: 0
    .symbol:         _ZN7rocprim17ROCPRIM_400000_NS6detail17trampoline_kernelINS0_14default_configENS1_35adjacent_difference_config_selectorILb0ElEEZNS1_24adjacent_difference_implIS3_Lb0ELb0EPlS7_ZN2at6native12_GLOBAL__N_124unique_dim_cuda_templateIdEESt5tupleIJNS8_6TensorESD_SD_EERKSD_lbbbEUlllE1_EE10hipError_tPvRmT2_T3_mT4_P12ihipStream_tbEUlT_E_NS1_11comp_targetILNS1_3genE5ELNS1_11target_archE942ELNS1_3gpuE9ELNS1_3repE0EEENS1_30default_config_static_selectorELNS0_4arch9wavefront6targetE1EEEvT1_.kd
    .uniform_work_group_size: 1
    .uses_dynamic_stack: false
    .vgpr_count:     0
    .vgpr_spill_count: 0
    .wavefront_size: 64
  - .agpr_count:     0
    .args:
      - .offset:         0
        .size:           64
        .value_kind:     by_value
    .group_segment_fixed_size: 4224
    .kernarg_segment_align: 8
    .kernarg_segment_size: 64
    .language:       OpenCL C
    .language_version:
      - 2
      - 0
    .max_flat_workgroup_size: 256
    .name:           _ZN7rocprim17ROCPRIM_400000_NS6detail17trampoline_kernelINS0_14default_configENS1_35adjacent_difference_config_selectorILb0ElEEZNS1_24adjacent_difference_implIS3_Lb0ELb0EPlS7_ZN2at6native12_GLOBAL__N_124unique_dim_cuda_templateIdEESt5tupleIJNS8_6TensorESD_SD_EERKSD_lbbbEUlllE1_EE10hipError_tPvRmT2_T3_mT4_P12ihipStream_tbEUlT_E_NS1_11comp_targetILNS1_3genE4ELNS1_11target_archE910ELNS1_3gpuE8ELNS1_3repE0EEENS1_30default_config_static_selectorELNS0_4arch9wavefront6targetE1EEEvT1_
    .private_segment_fixed_size: 0
    .sgpr_count:     42
    .sgpr_spill_count: 0
    .symbol:         _ZN7rocprim17ROCPRIM_400000_NS6detail17trampoline_kernelINS0_14default_configENS1_35adjacent_difference_config_selectorILb0ElEEZNS1_24adjacent_difference_implIS3_Lb0ELb0EPlS7_ZN2at6native12_GLOBAL__N_124unique_dim_cuda_templateIdEESt5tupleIJNS8_6TensorESD_SD_EERKSD_lbbbEUlllE1_EE10hipError_tPvRmT2_T3_mT4_P12ihipStream_tbEUlT_E_NS1_11comp_targetILNS1_3genE4ELNS1_11target_archE910ELNS1_3gpuE8ELNS1_3repE0EEENS1_30default_config_static_selectorELNS0_4arch9wavefront6targetE1EEEvT1_.kd
    .uniform_work_group_size: 1
    .uses_dynamic_stack: false
    .vgpr_count:     20
    .vgpr_spill_count: 0
    .wavefront_size: 64
  - .agpr_count:     0
    .args:
      - .offset:         0
        .size:           64
        .value_kind:     by_value
    .group_segment_fixed_size: 0
    .kernarg_segment_align: 8
    .kernarg_segment_size: 64
    .language:       OpenCL C
    .language_version:
      - 2
      - 0
    .max_flat_workgroup_size: 128
    .name:           _ZN7rocprim17ROCPRIM_400000_NS6detail17trampoline_kernelINS0_14default_configENS1_35adjacent_difference_config_selectorILb0ElEEZNS1_24adjacent_difference_implIS3_Lb0ELb0EPlS7_ZN2at6native12_GLOBAL__N_124unique_dim_cuda_templateIdEESt5tupleIJNS8_6TensorESD_SD_EERKSD_lbbbEUlllE1_EE10hipError_tPvRmT2_T3_mT4_P12ihipStream_tbEUlT_E_NS1_11comp_targetILNS1_3genE3ELNS1_11target_archE908ELNS1_3gpuE7ELNS1_3repE0EEENS1_30default_config_static_selectorELNS0_4arch9wavefront6targetE1EEEvT1_
    .private_segment_fixed_size: 0
    .sgpr_count:     4
    .sgpr_spill_count: 0
    .symbol:         _ZN7rocprim17ROCPRIM_400000_NS6detail17trampoline_kernelINS0_14default_configENS1_35adjacent_difference_config_selectorILb0ElEEZNS1_24adjacent_difference_implIS3_Lb0ELb0EPlS7_ZN2at6native12_GLOBAL__N_124unique_dim_cuda_templateIdEESt5tupleIJNS8_6TensorESD_SD_EERKSD_lbbbEUlllE1_EE10hipError_tPvRmT2_T3_mT4_P12ihipStream_tbEUlT_E_NS1_11comp_targetILNS1_3genE3ELNS1_11target_archE908ELNS1_3gpuE7ELNS1_3repE0EEENS1_30default_config_static_selectorELNS0_4arch9wavefront6targetE1EEEvT1_.kd
    .uniform_work_group_size: 1
    .uses_dynamic_stack: false
    .vgpr_count:     0
    .vgpr_spill_count: 0
    .wavefront_size: 64
  - .agpr_count:     0
    .args:
      - .offset:         0
        .size:           64
        .value_kind:     by_value
    .group_segment_fixed_size: 0
    .kernarg_segment_align: 8
    .kernarg_segment_size: 64
    .language:       OpenCL C
    .language_version:
      - 2
      - 0
    .max_flat_workgroup_size: 128
    .name:           _ZN7rocprim17ROCPRIM_400000_NS6detail17trampoline_kernelINS0_14default_configENS1_35adjacent_difference_config_selectorILb0ElEEZNS1_24adjacent_difference_implIS3_Lb0ELb0EPlS7_ZN2at6native12_GLOBAL__N_124unique_dim_cuda_templateIdEESt5tupleIJNS8_6TensorESD_SD_EERKSD_lbbbEUlllE1_EE10hipError_tPvRmT2_T3_mT4_P12ihipStream_tbEUlT_E_NS1_11comp_targetILNS1_3genE2ELNS1_11target_archE906ELNS1_3gpuE6ELNS1_3repE0EEENS1_30default_config_static_selectorELNS0_4arch9wavefront6targetE1EEEvT1_
    .private_segment_fixed_size: 0
    .sgpr_count:     4
    .sgpr_spill_count: 0
    .symbol:         _ZN7rocprim17ROCPRIM_400000_NS6detail17trampoline_kernelINS0_14default_configENS1_35adjacent_difference_config_selectorILb0ElEEZNS1_24adjacent_difference_implIS3_Lb0ELb0EPlS7_ZN2at6native12_GLOBAL__N_124unique_dim_cuda_templateIdEESt5tupleIJNS8_6TensorESD_SD_EERKSD_lbbbEUlllE1_EE10hipError_tPvRmT2_T3_mT4_P12ihipStream_tbEUlT_E_NS1_11comp_targetILNS1_3genE2ELNS1_11target_archE906ELNS1_3gpuE6ELNS1_3repE0EEENS1_30default_config_static_selectorELNS0_4arch9wavefront6targetE1EEEvT1_.kd
    .uniform_work_group_size: 1
    .uses_dynamic_stack: false
    .vgpr_count:     0
    .vgpr_spill_count: 0
    .wavefront_size: 64
  - .agpr_count:     0
    .args:
      - .offset:         0
        .size:           64
        .value_kind:     by_value
    .group_segment_fixed_size: 0
    .kernarg_segment_align: 8
    .kernarg_segment_size: 64
    .language:       OpenCL C
    .language_version:
      - 2
      - 0
    .max_flat_workgroup_size: 512
    .name:           _ZN7rocprim17ROCPRIM_400000_NS6detail17trampoline_kernelINS0_14default_configENS1_35adjacent_difference_config_selectorILb0ElEEZNS1_24adjacent_difference_implIS3_Lb0ELb0EPlS7_ZN2at6native12_GLOBAL__N_124unique_dim_cuda_templateIdEESt5tupleIJNS8_6TensorESD_SD_EERKSD_lbbbEUlllE1_EE10hipError_tPvRmT2_T3_mT4_P12ihipStream_tbEUlT_E_NS1_11comp_targetILNS1_3genE9ELNS1_11target_archE1100ELNS1_3gpuE3ELNS1_3repE0EEENS1_30default_config_static_selectorELNS0_4arch9wavefront6targetE1EEEvT1_
    .private_segment_fixed_size: 0
    .sgpr_count:     4
    .sgpr_spill_count: 0
    .symbol:         _ZN7rocprim17ROCPRIM_400000_NS6detail17trampoline_kernelINS0_14default_configENS1_35adjacent_difference_config_selectorILb0ElEEZNS1_24adjacent_difference_implIS3_Lb0ELb0EPlS7_ZN2at6native12_GLOBAL__N_124unique_dim_cuda_templateIdEESt5tupleIJNS8_6TensorESD_SD_EERKSD_lbbbEUlllE1_EE10hipError_tPvRmT2_T3_mT4_P12ihipStream_tbEUlT_E_NS1_11comp_targetILNS1_3genE9ELNS1_11target_archE1100ELNS1_3gpuE3ELNS1_3repE0EEENS1_30default_config_static_selectorELNS0_4arch9wavefront6targetE1EEEvT1_.kd
    .uniform_work_group_size: 1
    .uses_dynamic_stack: false
    .vgpr_count:     0
    .vgpr_spill_count: 0
    .wavefront_size: 64
  - .agpr_count:     0
    .args:
      - .offset:         0
        .size:           64
        .value_kind:     by_value
    .group_segment_fixed_size: 0
    .kernarg_segment_align: 8
    .kernarg_segment_size: 64
    .language:       OpenCL C
    .language_version:
      - 2
      - 0
    .max_flat_workgroup_size: 1024
    .name:           _ZN7rocprim17ROCPRIM_400000_NS6detail17trampoline_kernelINS0_14default_configENS1_35adjacent_difference_config_selectorILb0ElEEZNS1_24adjacent_difference_implIS3_Lb0ELb0EPlS7_ZN2at6native12_GLOBAL__N_124unique_dim_cuda_templateIdEESt5tupleIJNS8_6TensorESD_SD_EERKSD_lbbbEUlllE1_EE10hipError_tPvRmT2_T3_mT4_P12ihipStream_tbEUlT_E_NS1_11comp_targetILNS1_3genE8ELNS1_11target_archE1030ELNS1_3gpuE2ELNS1_3repE0EEENS1_30default_config_static_selectorELNS0_4arch9wavefront6targetE1EEEvT1_
    .private_segment_fixed_size: 0
    .sgpr_count:     4
    .sgpr_spill_count: 0
    .symbol:         _ZN7rocprim17ROCPRIM_400000_NS6detail17trampoline_kernelINS0_14default_configENS1_35adjacent_difference_config_selectorILb0ElEEZNS1_24adjacent_difference_implIS3_Lb0ELb0EPlS7_ZN2at6native12_GLOBAL__N_124unique_dim_cuda_templateIdEESt5tupleIJNS8_6TensorESD_SD_EERKSD_lbbbEUlllE1_EE10hipError_tPvRmT2_T3_mT4_P12ihipStream_tbEUlT_E_NS1_11comp_targetILNS1_3genE8ELNS1_11target_archE1030ELNS1_3gpuE2ELNS1_3repE0EEENS1_30default_config_static_selectorELNS0_4arch9wavefront6targetE1EEEvT1_.kd
    .uniform_work_group_size: 1
    .uses_dynamic_stack: false
    .vgpr_count:     0
    .vgpr_spill_count: 0
    .wavefront_size: 64
  - .agpr_count:     0
    .args:
      - .offset:         0
        .size:           56
        .value_kind:     by_value
    .group_segment_fixed_size: 0
    .kernarg_segment_align: 8
    .kernarg_segment_size: 56
    .language:       OpenCL C
    .language_version:
      - 2
      - 0
    .max_flat_workgroup_size: 128
    .name:           _ZN7rocprim17ROCPRIM_400000_NS6detail17trampoline_kernelINS0_14default_configENS1_25transform_config_selectorIlLb0EEEZNS1_14transform_implILb0ES3_S5_NS0_18transform_iteratorINS0_17counting_iteratorImlEEZNS1_24adjacent_difference_implIS3_Lb1ELb0EPlSB_ZN2at6native12_GLOBAL__N_124unique_dim_cuda_templateIdEESt5tupleIJNSC_6TensorESH_SH_EERKSH_lbbbEUlllE1_EE10hipError_tPvRmT2_T3_mT4_P12ihipStream_tbEUlmE_lEESB_NS0_8identityIvEEEESM_SP_SQ_mSR_ST_bEUlT_E_NS1_11comp_targetILNS1_3genE0ELNS1_11target_archE4294967295ELNS1_3gpuE0ELNS1_3repE0EEENS1_30default_config_static_selectorELNS0_4arch9wavefront6targetE1EEEvT1_
    .private_segment_fixed_size: 0
    .sgpr_count:     4
    .sgpr_spill_count: 0
    .symbol:         _ZN7rocprim17ROCPRIM_400000_NS6detail17trampoline_kernelINS0_14default_configENS1_25transform_config_selectorIlLb0EEEZNS1_14transform_implILb0ES3_S5_NS0_18transform_iteratorINS0_17counting_iteratorImlEEZNS1_24adjacent_difference_implIS3_Lb1ELb0EPlSB_ZN2at6native12_GLOBAL__N_124unique_dim_cuda_templateIdEESt5tupleIJNSC_6TensorESH_SH_EERKSH_lbbbEUlllE1_EE10hipError_tPvRmT2_T3_mT4_P12ihipStream_tbEUlmE_lEESB_NS0_8identityIvEEEESM_SP_SQ_mSR_ST_bEUlT_E_NS1_11comp_targetILNS1_3genE0ELNS1_11target_archE4294967295ELNS1_3gpuE0ELNS1_3repE0EEENS1_30default_config_static_selectorELNS0_4arch9wavefront6targetE1EEEvT1_.kd
    .uniform_work_group_size: 1
    .uses_dynamic_stack: false
    .vgpr_count:     0
    .vgpr_spill_count: 0
    .wavefront_size: 64
  - .agpr_count:     0
    .args:
      - .offset:         0
        .size:           56
        .value_kind:     by_value
    .group_segment_fixed_size: 0
    .kernarg_segment_align: 8
    .kernarg_segment_size: 56
    .language:       OpenCL C
    .language_version:
      - 2
      - 0
    .max_flat_workgroup_size: 512
    .name:           _ZN7rocprim17ROCPRIM_400000_NS6detail17trampoline_kernelINS0_14default_configENS1_25transform_config_selectorIlLb0EEEZNS1_14transform_implILb0ES3_S5_NS0_18transform_iteratorINS0_17counting_iteratorImlEEZNS1_24adjacent_difference_implIS3_Lb1ELb0EPlSB_ZN2at6native12_GLOBAL__N_124unique_dim_cuda_templateIdEESt5tupleIJNSC_6TensorESH_SH_EERKSH_lbbbEUlllE1_EE10hipError_tPvRmT2_T3_mT4_P12ihipStream_tbEUlmE_lEESB_NS0_8identityIvEEEESM_SP_SQ_mSR_ST_bEUlT_E_NS1_11comp_targetILNS1_3genE5ELNS1_11target_archE942ELNS1_3gpuE9ELNS1_3repE0EEENS1_30default_config_static_selectorELNS0_4arch9wavefront6targetE1EEEvT1_
    .private_segment_fixed_size: 0
    .sgpr_count:     4
    .sgpr_spill_count: 0
    .symbol:         _ZN7rocprim17ROCPRIM_400000_NS6detail17trampoline_kernelINS0_14default_configENS1_25transform_config_selectorIlLb0EEEZNS1_14transform_implILb0ES3_S5_NS0_18transform_iteratorINS0_17counting_iteratorImlEEZNS1_24adjacent_difference_implIS3_Lb1ELb0EPlSB_ZN2at6native12_GLOBAL__N_124unique_dim_cuda_templateIdEESt5tupleIJNSC_6TensorESH_SH_EERKSH_lbbbEUlllE1_EE10hipError_tPvRmT2_T3_mT4_P12ihipStream_tbEUlmE_lEESB_NS0_8identityIvEEEESM_SP_SQ_mSR_ST_bEUlT_E_NS1_11comp_targetILNS1_3genE5ELNS1_11target_archE942ELNS1_3gpuE9ELNS1_3repE0EEENS1_30default_config_static_selectorELNS0_4arch9wavefront6targetE1EEEvT1_.kd
    .uniform_work_group_size: 1
    .uses_dynamic_stack: false
    .vgpr_count:     0
    .vgpr_spill_count: 0
    .wavefront_size: 64
  - .agpr_count:     0
    .args:
      - .offset:         0
        .size:           56
        .value_kind:     by_value
      - .offset:         56
        .size:           4
        .value_kind:     hidden_block_count_x
      - .offset:         60
        .size:           4
        .value_kind:     hidden_block_count_y
      - .offset:         64
        .size:           4
        .value_kind:     hidden_block_count_z
      - .offset:         68
        .size:           2
        .value_kind:     hidden_group_size_x
      - .offset:         70
        .size:           2
        .value_kind:     hidden_group_size_y
      - .offset:         72
        .size:           2
        .value_kind:     hidden_group_size_z
      - .offset:         74
        .size:           2
        .value_kind:     hidden_remainder_x
      - .offset:         76
        .size:           2
        .value_kind:     hidden_remainder_y
      - .offset:         78
        .size:           2
        .value_kind:     hidden_remainder_z
      - .offset:         96
        .size:           8
        .value_kind:     hidden_global_offset_x
      - .offset:         104
        .size:           8
        .value_kind:     hidden_global_offset_y
      - .offset:         112
        .size:           8
        .value_kind:     hidden_global_offset_z
      - .offset:         120
        .size:           2
        .value_kind:     hidden_grid_dims
    .group_segment_fixed_size: 0
    .kernarg_segment_align: 8
    .kernarg_segment_size: 312
    .language:       OpenCL C
    .language_version:
      - 2
      - 0
    .max_flat_workgroup_size: 256
    .name:           _ZN7rocprim17ROCPRIM_400000_NS6detail17trampoline_kernelINS0_14default_configENS1_25transform_config_selectorIlLb0EEEZNS1_14transform_implILb0ES3_S5_NS0_18transform_iteratorINS0_17counting_iteratorImlEEZNS1_24adjacent_difference_implIS3_Lb1ELb0EPlSB_ZN2at6native12_GLOBAL__N_124unique_dim_cuda_templateIdEESt5tupleIJNSC_6TensorESH_SH_EERKSH_lbbbEUlllE1_EE10hipError_tPvRmT2_T3_mT4_P12ihipStream_tbEUlmE_lEESB_NS0_8identityIvEEEESM_SP_SQ_mSR_ST_bEUlT_E_NS1_11comp_targetILNS1_3genE4ELNS1_11target_archE910ELNS1_3gpuE8ELNS1_3repE0EEENS1_30default_config_static_selectorELNS0_4arch9wavefront6targetE1EEEvT1_
    .private_segment_fixed_size: 0
    .sgpr_count:     22
    .sgpr_spill_count: 0
    .symbol:         _ZN7rocprim17ROCPRIM_400000_NS6detail17trampoline_kernelINS0_14default_configENS1_25transform_config_selectorIlLb0EEEZNS1_14transform_implILb0ES3_S5_NS0_18transform_iteratorINS0_17counting_iteratorImlEEZNS1_24adjacent_difference_implIS3_Lb1ELb0EPlSB_ZN2at6native12_GLOBAL__N_124unique_dim_cuda_templateIdEESt5tupleIJNSC_6TensorESH_SH_EERKSH_lbbbEUlllE1_EE10hipError_tPvRmT2_T3_mT4_P12ihipStream_tbEUlmE_lEESB_NS0_8identityIvEEEESM_SP_SQ_mSR_ST_bEUlT_E_NS1_11comp_targetILNS1_3genE4ELNS1_11target_archE910ELNS1_3gpuE8ELNS1_3repE0EEENS1_30default_config_static_selectorELNS0_4arch9wavefront6targetE1EEEvT1_.kd
    .uniform_work_group_size: 1
    .uses_dynamic_stack: false
    .vgpr_count:     10
    .vgpr_spill_count: 0
    .wavefront_size: 64
  - .agpr_count:     0
    .args:
      - .offset:         0
        .size:           56
        .value_kind:     by_value
    .group_segment_fixed_size: 0
    .kernarg_segment_align: 8
    .kernarg_segment_size: 56
    .language:       OpenCL C
    .language_version:
      - 2
      - 0
    .max_flat_workgroup_size: 128
    .name:           _ZN7rocprim17ROCPRIM_400000_NS6detail17trampoline_kernelINS0_14default_configENS1_25transform_config_selectorIlLb0EEEZNS1_14transform_implILb0ES3_S5_NS0_18transform_iteratorINS0_17counting_iteratorImlEEZNS1_24adjacent_difference_implIS3_Lb1ELb0EPlSB_ZN2at6native12_GLOBAL__N_124unique_dim_cuda_templateIdEESt5tupleIJNSC_6TensorESH_SH_EERKSH_lbbbEUlllE1_EE10hipError_tPvRmT2_T3_mT4_P12ihipStream_tbEUlmE_lEESB_NS0_8identityIvEEEESM_SP_SQ_mSR_ST_bEUlT_E_NS1_11comp_targetILNS1_3genE3ELNS1_11target_archE908ELNS1_3gpuE7ELNS1_3repE0EEENS1_30default_config_static_selectorELNS0_4arch9wavefront6targetE1EEEvT1_
    .private_segment_fixed_size: 0
    .sgpr_count:     4
    .sgpr_spill_count: 0
    .symbol:         _ZN7rocprim17ROCPRIM_400000_NS6detail17trampoline_kernelINS0_14default_configENS1_25transform_config_selectorIlLb0EEEZNS1_14transform_implILb0ES3_S5_NS0_18transform_iteratorINS0_17counting_iteratorImlEEZNS1_24adjacent_difference_implIS3_Lb1ELb0EPlSB_ZN2at6native12_GLOBAL__N_124unique_dim_cuda_templateIdEESt5tupleIJNSC_6TensorESH_SH_EERKSH_lbbbEUlllE1_EE10hipError_tPvRmT2_T3_mT4_P12ihipStream_tbEUlmE_lEESB_NS0_8identityIvEEEESM_SP_SQ_mSR_ST_bEUlT_E_NS1_11comp_targetILNS1_3genE3ELNS1_11target_archE908ELNS1_3gpuE7ELNS1_3repE0EEENS1_30default_config_static_selectorELNS0_4arch9wavefront6targetE1EEEvT1_.kd
    .uniform_work_group_size: 1
    .uses_dynamic_stack: false
    .vgpr_count:     0
    .vgpr_spill_count: 0
    .wavefront_size: 64
  - .agpr_count:     0
    .args:
      - .offset:         0
        .size:           56
        .value_kind:     by_value
    .group_segment_fixed_size: 0
    .kernarg_segment_align: 8
    .kernarg_segment_size: 56
    .language:       OpenCL C
    .language_version:
      - 2
      - 0
    .max_flat_workgroup_size: 512
    .name:           _ZN7rocprim17ROCPRIM_400000_NS6detail17trampoline_kernelINS0_14default_configENS1_25transform_config_selectorIlLb0EEEZNS1_14transform_implILb0ES3_S5_NS0_18transform_iteratorINS0_17counting_iteratorImlEEZNS1_24adjacent_difference_implIS3_Lb1ELb0EPlSB_ZN2at6native12_GLOBAL__N_124unique_dim_cuda_templateIdEESt5tupleIJNSC_6TensorESH_SH_EERKSH_lbbbEUlllE1_EE10hipError_tPvRmT2_T3_mT4_P12ihipStream_tbEUlmE_lEESB_NS0_8identityIvEEEESM_SP_SQ_mSR_ST_bEUlT_E_NS1_11comp_targetILNS1_3genE2ELNS1_11target_archE906ELNS1_3gpuE6ELNS1_3repE0EEENS1_30default_config_static_selectorELNS0_4arch9wavefront6targetE1EEEvT1_
    .private_segment_fixed_size: 0
    .sgpr_count:     4
    .sgpr_spill_count: 0
    .symbol:         _ZN7rocprim17ROCPRIM_400000_NS6detail17trampoline_kernelINS0_14default_configENS1_25transform_config_selectorIlLb0EEEZNS1_14transform_implILb0ES3_S5_NS0_18transform_iteratorINS0_17counting_iteratorImlEEZNS1_24adjacent_difference_implIS3_Lb1ELb0EPlSB_ZN2at6native12_GLOBAL__N_124unique_dim_cuda_templateIdEESt5tupleIJNSC_6TensorESH_SH_EERKSH_lbbbEUlllE1_EE10hipError_tPvRmT2_T3_mT4_P12ihipStream_tbEUlmE_lEESB_NS0_8identityIvEEEESM_SP_SQ_mSR_ST_bEUlT_E_NS1_11comp_targetILNS1_3genE2ELNS1_11target_archE906ELNS1_3gpuE6ELNS1_3repE0EEENS1_30default_config_static_selectorELNS0_4arch9wavefront6targetE1EEEvT1_.kd
    .uniform_work_group_size: 1
    .uses_dynamic_stack: false
    .vgpr_count:     0
    .vgpr_spill_count: 0
    .wavefront_size: 64
  - .agpr_count:     0
    .args:
      - .offset:         0
        .size:           56
        .value_kind:     by_value
    .group_segment_fixed_size: 0
    .kernarg_segment_align: 8
    .kernarg_segment_size: 56
    .language:       OpenCL C
    .language_version:
      - 2
      - 0
    .max_flat_workgroup_size: 1024
    .name:           _ZN7rocprim17ROCPRIM_400000_NS6detail17trampoline_kernelINS0_14default_configENS1_25transform_config_selectorIlLb0EEEZNS1_14transform_implILb0ES3_S5_NS0_18transform_iteratorINS0_17counting_iteratorImlEEZNS1_24adjacent_difference_implIS3_Lb1ELb0EPlSB_ZN2at6native12_GLOBAL__N_124unique_dim_cuda_templateIdEESt5tupleIJNSC_6TensorESH_SH_EERKSH_lbbbEUlllE1_EE10hipError_tPvRmT2_T3_mT4_P12ihipStream_tbEUlmE_lEESB_NS0_8identityIvEEEESM_SP_SQ_mSR_ST_bEUlT_E_NS1_11comp_targetILNS1_3genE10ELNS1_11target_archE1201ELNS1_3gpuE5ELNS1_3repE0EEENS1_30default_config_static_selectorELNS0_4arch9wavefront6targetE1EEEvT1_
    .private_segment_fixed_size: 0
    .sgpr_count:     4
    .sgpr_spill_count: 0
    .symbol:         _ZN7rocprim17ROCPRIM_400000_NS6detail17trampoline_kernelINS0_14default_configENS1_25transform_config_selectorIlLb0EEEZNS1_14transform_implILb0ES3_S5_NS0_18transform_iteratorINS0_17counting_iteratorImlEEZNS1_24adjacent_difference_implIS3_Lb1ELb0EPlSB_ZN2at6native12_GLOBAL__N_124unique_dim_cuda_templateIdEESt5tupleIJNSC_6TensorESH_SH_EERKSH_lbbbEUlllE1_EE10hipError_tPvRmT2_T3_mT4_P12ihipStream_tbEUlmE_lEESB_NS0_8identityIvEEEESM_SP_SQ_mSR_ST_bEUlT_E_NS1_11comp_targetILNS1_3genE10ELNS1_11target_archE1201ELNS1_3gpuE5ELNS1_3repE0EEENS1_30default_config_static_selectorELNS0_4arch9wavefront6targetE1EEEvT1_.kd
    .uniform_work_group_size: 1
    .uses_dynamic_stack: false
    .vgpr_count:     0
    .vgpr_spill_count: 0
    .wavefront_size: 64
  - .agpr_count:     0
    .args:
      - .offset:         0
        .size:           56
        .value_kind:     by_value
    .group_segment_fixed_size: 0
    .kernarg_segment_align: 8
    .kernarg_segment_size: 56
    .language:       OpenCL C
    .language_version:
      - 2
      - 0
    .max_flat_workgroup_size: 512
    .name:           _ZN7rocprim17ROCPRIM_400000_NS6detail17trampoline_kernelINS0_14default_configENS1_25transform_config_selectorIlLb0EEEZNS1_14transform_implILb0ES3_S5_NS0_18transform_iteratorINS0_17counting_iteratorImlEEZNS1_24adjacent_difference_implIS3_Lb1ELb0EPlSB_ZN2at6native12_GLOBAL__N_124unique_dim_cuda_templateIdEESt5tupleIJNSC_6TensorESH_SH_EERKSH_lbbbEUlllE1_EE10hipError_tPvRmT2_T3_mT4_P12ihipStream_tbEUlmE_lEESB_NS0_8identityIvEEEESM_SP_SQ_mSR_ST_bEUlT_E_NS1_11comp_targetILNS1_3genE10ELNS1_11target_archE1200ELNS1_3gpuE4ELNS1_3repE0EEENS1_30default_config_static_selectorELNS0_4arch9wavefront6targetE1EEEvT1_
    .private_segment_fixed_size: 0
    .sgpr_count:     4
    .sgpr_spill_count: 0
    .symbol:         _ZN7rocprim17ROCPRIM_400000_NS6detail17trampoline_kernelINS0_14default_configENS1_25transform_config_selectorIlLb0EEEZNS1_14transform_implILb0ES3_S5_NS0_18transform_iteratorINS0_17counting_iteratorImlEEZNS1_24adjacent_difference_implIS3_Lb1ELb0EPlSB_ZN2at6native12_GLOBAL__N_124unique_dim_cuda_templateIdEESt5tupleIJNSC_6TensorESH_SH_EERKSH_lbbbEUlllE1_EE10hipError_tPvRmT2_T3_mT4_P12ihipStream_tbEUlmE_lEESB_NS0_8identityIvEEEESM_SP_SQ_mSR_ST_bEUlT_E_NS1_11comp_targetILNS1_3genE10ELNS1_11target_archE1200ELNS1_3gpuE4ELNS1_3repE0EEENS1_30default_config_static_selectorELNS0_4arch9wavefront6targetE1EEEvT1_.kd
    .uniform_work_group_size: 1
    .uses_dynamic_stack: false
    .vgpr_count:     0
    .vgpr_spill_count: 0
    .wavefront_size: 64
  - .agpr_count:     0
    .args:
      - .offset:         0
        .size:           56
        .value_kind:     by_value
    .group_segment_fixed_size: 0
    .kernarg_segment_align: 8
    .kernarg_segment_size: 56
    .language:       OpenCL C
    .language_version:
      - 2
      - 0
    .max_flat_workgroup_size: 512
    .name:           _ZN7rocprim17ROCPRIM_400000_NS6detail17trampoline_kernelINS0_14default_configENS1_25transform_config_selectorIlLb0EEEZNS1_14transform_implILb0ES3_S5_NS0_18transform_iteratorINS0_17counting_iteratorImlEEZNS1_24adjacent_difference_implIS3_Lb1ELb0EPlSB_ZN2at6native12_GLOBAL__N_124unique_dim_cuda_templateIdEESt5tupleIJNSC_6TensorESH_SH_EERKSH_lbbbEUlllE1_EE10hipError_tPvRmT2_T3_mT4_P12ihipStream_tbEUlmE_lEESB_NS0_8identityIvEEEESM_SP_SQ_mSR_ST_bEUlT_E_NS1_11comp_targetILNS1_3genE9ELNS1_11target_archE1100ELNS1_3gpuE3ELNS1_3repE0EEENS1_30default_config_static_selectorELNS0_4arch9wavefront6targetE1EEEvT1_
    .private_segment_fixed_size: 0
    .sgpr_count:     4
    .sgpr_spill_count: 0
    .symbol:         _ZN7rocprim17ROCPRIM_400000_NS6detail17trampoline_kernelINS0_14default_configENS1_25transform_config_selectorIlLb0EEEZNS1_14transform_implILb0ES3_S5_NS0_18transform_iteratorINS0_17counting_iteratorImlEEZNS1_24adjacent_difference_implIS3_Lb1ELb0EPlSB_ZN2at6native12_GLOBAL__N_124unique_dim_cuda_templateIdEESt5tupleIJNSC_6TensorESH_SH_EERKSH_lbbbEUlllE1_EE10hipError_tPvRmT2_T3_mT4_P12ihipStream_tbEUlmE_lEESB_NS0_8identityIvEEEESM_SP_SQ_mSR_ST_bEUlT_E_NS1_11comp_targetILNS1_3genE9ELNS1_11target_archE1100ELNS1_3gpuE3ELNS1_3repE0EEENS1_30default_config_static_selectorELNS0_4arch9wavefront6targetE1EEEvT1_.kd
    .uniform_work_group_size: 1
    .uses_dynamic_stack: false
    .vgpr_count:     0
    .vgpr_spill_count: 0
    .wavefront_size: 64
  - .agpr_count:     0
    .args:
      - .offset:         0
        .size:           56
        .value_kind:     by_value
    .group_segment_fixed_size: 0
    .kernarg_segment_align: 8
    .kernarg_segment_size: 56
    .language:       OpenCL C
    .language_version:
      - 2
      - 0
    .max_flat_workgroup_size: 512
    .name:           _ZN7rocprim17ROCPRIM_400000_NS6detail17trampoline_kernelINS0_14default_configENS1_25transform_config_selectorIlLb0EEEZNS1_14transform_implILb0ES3_S5_NS0_18transform_iteratorINS0_17counting_iteratorImlEEZNS1_24adjacent_difference_implIS3_Lb1ELb0EPlSB_ZN2at6native12_GLOBAL__N_124unique_dim_cuda_templateIdEESt5tupleIJNSC_6TensorESH_SH_EERKSH_lbbbEUlllE1_EE10hipError_tPvRmT2_T3_mT4_P12ihipStream_tbEUlmE_lEESB_NS0_8identityIvEEEESM_SP_SQ_mSR_ST_bEUlT_E_NS1_11comp_targetILNS1_3genE8ELNS1_11target_archE1030ELNS1_3gpuE2ELNS1_3repE0EEENS1_30default_config_static_selectorELNS0_4arch9wavefront6targetE1EEEvT1_
    .private_segment_fixed_size: 0
    .sgpr_count:     4
    .sgpr_spill_count: 0
    .symbol:         _ZN7rocprim17ROCPRIM_400000_NS6detail17trampoline_kernelINS0_14default_configENS1_25transform_config_selectorIlLb0EEEZNS1_14transform_implILb0ES3_S5_NS0_18transform_iteratorINS0_17counting_iteratorImlEEZNS1_24adjacent_difference_implIS3_Lb1ELb0EPlSB_ZN2at6native12_GLOBAL__N_124unique_dim_cuda_templateIdEESt5tupleIJNSC_6TensorESH_SH_EERKSH_lbbbEUlllE1_EE10hipError_tPvRmT2_T3_mT4_P12ihipStream_tbEUlmE_lEESB_NS0_8identityIvEEEESM_SP_SQ_mSR_ST_bEUlT_E_NS1_11comp_targetILNS1_3genE8ELNS1_11target_archE1030ELNS1_3gpuE2ELNS1_3repE0EEENS1_30default_config_static_selectorELNS0_4arch9wavefront6targetE1EEEvT1_.kd
    .uniform_work_group_size: 1
    .uses_dynamic_stack: false
    .vgpr_count:     0
    .vgpr_spill_count: 0
    .wavefront_size: 64
  - .agpr_count:     0
    .args:
      - .offset:         0
        .size:           64
        .value_kind:     by_value
    .group_segment_fixed_size: 0
    .kernarg_segment_align: 8
    .kernarg_segment_size: 64
    .language:       OpenCL C
    .language_version:
      - 2
      - 0
    .max_flat_workgroup_size: 512
    .name:           _ZN7rocprim17ROCPRIM_400000_NS6detail17trampoline_kernelINS0_14default_configENS1_35adjacent_difference_config_selectorILb1ElEEZNS1_24adjacent_difference_implIS3_Lb1ELb0EPlS7_ZN2at6native12_GLOBAL__N_124unique_dim_cuda_templateIdEESt5tupleIJNS8_6TensorESD_SD_EERKSD_lbbbEUlllE1_EE10hipError_tPvRmT2_T3_mT4_P12ihipStream_tbEUlT_E_NS1_11comp_targetILNS1_3genE0ELNS1_11target_archE4294967295ELNS1_3gpuE0ELNS1_3repE0EEENS1_30default_config_static_selectorELNS0_4arch9wavefront6targetE1EEEvT1_
    .private_segment_fixed_size: 0
    .sgpr_count:     4
    .sgpr_spill_count: 0
    .symbol:         _ZN7rocprim17ROCPRIM_400000_NS6detail17trampoline_kernelINS0_14default_configENS1_35adjacent_difference_config_selectorILb1ElEEZNS1_24adjacent_difference_implIS3_Lb1ELb0EPlS7_ZN2at6native12_GLOBAL__N_124unique_dim_cuda_templateIdEESt5tupleIJNS8_6TensorESD_SD_EERKSD_lbbbEUlllE1_EE10hipError_tPvRmT2_T3_mT4_P12ihipStream_tbEUlT_E_NS1_11comp_targetILNS1_3genE0ELNS1_11target_archE4294967295ELNS1_3gpuE0ELNS1_3repE0EEENS1_30default_config_static_selectorELNS0_4arch9wavefront6targetE1EEEvT1_.kd
    .uniform_work_group_size: 1
    .uses_dynamic_stack: false
    .vgpr_count:     0
    .vgpr_spill_count: 0
    .wavefront_size: 64
  - .agpr_count:     0
    .args:
      - .offset:         0
        .size:           64
        .value_kind:     by_value
    .group_segment_fixed_size: 0
    .kernarg_segment_align: 8
    .kernarg_segment_size: 64
    .language:       OpenCL C
    .language_version:
      - 2
      - 0
    .max_flat_workgroup_size: 32
    .name:           _ZN7rocprim17ROCPRIM_400000_NS6detail17trampoline_kernelINS0_14default_configENS1_35adjacent_difference_config_selectorILb1ElEEZNS1_24adjacent_difference_implIS3_Lb1ELb0EPlS7_ZN2at6native12_GLOBAL__N_124unique_dim_cuda_templateIdEESt5tupleIJNS8_6TensorESD_SD_EERKSD_lbbbEUlllE1_EE10hipError_tPvRmT2_T3_mT4_P12ihipStream_tbEUlT_E_NS1_11comp_targetILNS1_3genE10ELNS1_11target_archE1201ELNS1_3gpuE5ELNS1_3repE0EEENS1_30default_config_static_selectorELNS0_4arch9wavefront6targetE1EEEvT1_
    .private_segment_fixed_size: 0
    .sgpr_count:     4
    .sgpr_spill_count: 0
    .symbol:         _ZN7rocprim17ROCPRIM_400000_NS6detail17trampoline_kernelINS0_14default_configENS1_35adjacent_difference_config_selectorILb1ElEEZNS1_24adjacent_difference_implIS3_Lb1ELb0EPlS7_ZN2at6native12_GLOBAL__N_124unique_dim_cuda_templateIdEESt5tupleIJNS8_6TensorESD_SD_EERKSD_lbbbEUlllE1_EE10hipError_tPvRmT2_T3_mT4_P12ihipStream_tbEUlT_E_NS1_11comp_targetILNS1_3genE10ELNS1_11target_archE1201ELNS1_3gpuE5ELNS1_3repE0EEENS1_30default_config_static_selectorELNS0_4arch9wavefront6targetE1EEEvT1_.kd
    .uniform_work_group_size: 1
    .uses_dynamic_stack: false
    .vgpr_count:     0
    .vgpr_spill_count: 0
    .wavefront_size: 64
  - .agpr_count:     0
    .args:
      - .offset:         0
        .size:           64
        .value_kind:     by_value
    .group_segment_fixed_size: 0
    .kernarg_segment_align: 8
    .kernarg_segment_size: 64
    .language:       OpenCL C
    .language_version:
      - 2
      - 0
    .max_flat_workgroup_size: 256
    .name:           _ZN7rocprim17ROCPRIM_400000_NS6detail17trampoline_kernelINS0_14default_configENS1_35adjacent_difference_config_selectorILb1ElEEZNS1_24adjacent_difference_implIS3_Lb1ELb0EPlS7_ZN2at6native12_GLOBAL__N_124unique_dim_cuda_templateIdEESt5tupleIJNS8_6TensorESD_SD_EERKSD_lbbbEUlllE1_EE10hipError_tPvRmT2_T3_mT4_P12ihipStream_tbEUlT_E_NS1_11comp_targetILNS1_3genE5ELNS1_11target_archE942ELNS1_3gpuE9ELNS1_3repE0EEENS1_30default_config_static_selectorELNS0_4arch9wavefront6targetE1EEEvT1_
    .private_segment_fixed_size: 0
    .sgpr_count:     4
    .sgpr_spill_count: 0
    .symbol:         _ZN7rocprim17ROCPRIM_400000_NS6detail17trampoline_kernelINS0_14default_configENS1_35adjacent_difference_config_selectorILb1ElEEZNS1_24adjacent_difference_implIS3_Lb1ELb0EPlS7_ZN2at6native12_GLOBAL__N_124unique_dim_cuda_templateIdEESt5tupleIJNS8_6TensorESD_SD_EERKSD_lbbbEUlllE1_EE10hipError_tPvRmT2_T3_mT4_P12ihipStream_tbEUlT_E_NS1_11comp_targetILNS1_3genE5ELNS1_11target_archE942ELNS1_3gpuE9ELNS1_3repE0EEENS1_30default_config_static_selectorELNS0_4arch9wavefront6targetE1EEEvT1_.kd
    .uniform_work_group_size: 1
    .uses_dynamic_stack: false
    .vgpr_count:     0
    .vgpr_spill_count: 0
    .wavefront_size: 64
  - .agpr_count:     0
    .args:
      - .offset:         0
        .size:           64
        .value_kind:     by_value
    .group_segment_fixed_size: 8448
    .kernarg_segment_align: 8
    .kernarg_segment_size: 64
    .language:       OpenCL C
    .language_version:
      - 2
      - 0
    .max_flat_workgroup_size: 512
    .name:           _ZN7rocprim17ROCPRIM_400000_NS6detail17trampoline_kernelINS0_14default_configENS1_35adjacent_difference_config_selectorILb1ElEEZNS1_24adjacent_difference_implIS3_Lb1ELb0EPlS7_ZN2at6native12_GLOBAL__N_124unique_dim_cuda_templateIdEESt5tupleIJNS8_6TensorESD_SD_EERKSD_lbbbEUlllE1_EE10hipError_tPvRmT2_T3_mT4_P12ihipStream_tbEUlT_E_NS1_11comp_targetILNS1_3genE4ELNS1_11target_archE910ELNS1_3gpuE8ELNS1_3repE0EEENS1_30default_config_static_selectorELNS0_4arch9wavefront6targetE1EEEvT1_
    .private_segment_fixed_size: 0
    .sgpr_count:     42
    .sgpr_spill_count: 0
    .symbol:         _ZN7rocprim17ROCPRIM_400000_NS6detail17trampoline_kernelINS0_14default_configENS1_35adjacent_difference_config_selectorILb1ElEEZNS1_24adjacent_difference_implIS3_Lb1ELb0EPlS7_ZN2at6native12_GLOBAL__N_124unique_dim_cuda_templateIdEESt5tupleIJNS8_6TensorESD_SD_EERKSD_lbbbEUlllE1_EE10hipError_tPvRmT2_T3_mT4_P12ihipStream_tbEUlT_E_NS1_11comp_targetILNS1_3genE4ELNS1_11target_archE910ELNS1_3gpuE8ELNS1_3repE0EEENS1_30default_config_static_selectorELNS0_4arch9wavefront6targetE1EEEvT1_.kd
    .uniform_work_group_size: 1
    .uses_dynamic_stack: false
    .vgpr_count:     20
    .vgpr_spill_count: 0
    .wavefront_size: 64
  - .agpr_count:     0
    .args:
      - .offset:         0
        .size:           64
        .value_kind:     by_value
    .group_segment_fixed_size: 0
    .kernarg_segment_align: 8
    .kernarg_segment_size: 64
    .language:       OpenCL C
    .language_version:
      - 2
      - 0
    .max_flat_workgroup_size: 512
    .name:           _ZN7rocprim17ROCPRIM_400000_NS6detail17trampoline_kernelINS0_14default_configENS1_35adjacent_difference_config_selectorILb1ElEEZNS1_24adjacent_difference_implIS3_Lb1ELb0EPlS7_ZN2at6native12_GLOBAL__N_124unique_dim_cuda_templateIdEESt5tupleIJNS8_6TensorESD_SD_EERKSD_lbbbEUlllE1_EE10hipError_tPvRmT2_T3_mT4_P12ihipStream_tbEUlT_E_NS1_11comp_targetILNS1_3genE3ELNS1_11target_archE908ELNS1_3gpuE7ELNS1_3repE0EEENS1_30default_config_static_selectorELNS0_4arch9wavefront6targetE1EEEvT1_
    .private_segment_fixed_size: 0
    .sgpr_count:     4
    .sgpr_spill_count: 0
    .symbol:         _ZN7rocprim17ROCPRIM_400000_NS6detail17trampoline_kernelINS0_14default_configENS1_35adjacent_difference_config_selectorILb1ElEEZNS1_24adjacent_difference_implIS3_Lb1ELb0EPlS7_ZN2at6native12_GLOBAL__N_124unique_dim_cuda_templateIdEESt5tupleIJNS8_6TensorESD_SD_EERKSD_lbbbEUlllE1_EE10hipError_tPvRmT2_T3_mT4_P12ihipStream_tbEUlT_E_NS1_11comp_targetILNS1_3genE3ELNS1_11target_archE908ELNS1_3gpuE7ELNS1_3repE0EEENS1_30default_config_static_selectorELNS0_4arch9wavefront6targetE1EEEvT1_.kd
    .uniform_work_group_size: 1
    .uses_dynamic_stack: false
    .vgpr_count:     0
    .vgpr_spill_count: 0
    .wavefront_size: 64
  - .agpr_count:     0
    .args:
      - .offset:         0
        .size:           64
        .value_kind:     by_value
    .group_segment_fixed_size: 0
    .kernarg_segment_align: 8
    .kernarg_segment_size: 64
    .language:       OpenCL C
    .language_version:
      - 2
      - 0
    .max_flat_workgroup_size: 128
    .name:           _ZN7rocprim17ROCPRIM_400000_NS6detail17trampoline_kernelINS0_14default_configENS1_35adjacent_difference_config_selectorILb1ElEEZNS1_24adjacent_difference_implIS3_Lb1ELb0EPlS7_ZN2at6native12_GLOBAL__N_124unique_dim_cuda_templateIdEESt5tupleIJNS8_6TensorESD_SD_EERKSD_lbbbEUlllE1_EE10hipError_tPvRmT2_T3_mT4_P12ihipStream_tbEUlT_E_NS1_11comp_targetILNS1_3genE2ELNS1_11target_archE906ELNS1_3gpuE6ELNS1_3repE0EEENS1_30default_config_static_selectorELNS0_4arch9wavefront6targetE1EEEvT1_
    .private_segment_fixed_size: 0
    .sgpr_count:     4
    .sgpr_spill_count: 0
    .symbol:         _ZN7rocprim17ROCPRIM_400000_NS6detail17trampoline_kernelINS0_14default_configENS1_35adjacent_difference_config_selectorILb1ElEEZNS1_24adjacent_difference_implIS3_Lb1ELb0EPlS7_ZN2at6native12_GLOBAL__N_124unique_dim_cuda_templateIdEESt5tupleIJNS8_6TensorESD_SD_EERKSD_lbbbEUlllE1_EE10hipError_tPvRmT2_T3_mT4_P12ihipStream_tbEUlT_E_NS1_11comp_targetILNS1_3genE2ELNS1_11target_archE906ELNS1_3gpuE6ELNS1_3repE0EEENS1_30default_config_static_selectorELNS0_4arch9wavefront6targetE1EEEvT1_.kd
    .uniform_work_group_size: 1
    .uses_dynamic_stack: false
    .vgpr_count:     0
    .vgpr_spill_count: 0
    .wavefront_size: 64
  - .agpr_count:     0
    .args:
      - .offset:         0
        .size:           64
        .value_kind:     by_value
    .group_segment_fixed_size: 0
    .kernarg_segment_align: 8
    .kernarg_segment_size: 64
    .language:       OpenCL C
    .language_version:
      - 2
      - 0
    .max_flat_workgroup_size: 128
    .name:           _ZN7rocprim17ROCPRIM_400000_NS6detail17trampoline_kernelINS0_14default_configENS1_35adjacent_difference_config_selectorILb1ElEEZNS1_24adjacent_difference_implIS3_Lb1ELb0EPlS7_ZN2at6native12_GLOBAL__N_124unique_dim_cuda_templateIdEESt5tupleIJNS8_6TensorESD_SD_EERKSD_lbbbEUlllE1_EE10hipError_tPvRmT2_T3_mT4_P12ihipStream_tbEUlT_E_NS1_11comp_targetILNS1_3genE9ELNS1_11target_archE1100ELNS1_3gpuE3ELNS1_3repE0EEENS1_30default_config_static_selectorELNS0_4arch9wavefront6targetE1EEEvT1_
    .private_segment_fixed_size: 0
    .sgpr_count:     4
    .sgpr_spill_count: 0
    .symbol:         _ZN7rocprim17ROCPRIM_400000_NS6detail17trampoline_kernelINS0_14default_configENS1_35adjacent_difference_config_selectorILb1ElEEZNS1_24adjacent_difference_implIS3_Lb1ELb0EPlS7_ZN2at6native12_GLOBAL__N_124unique_dim_cuda_templateIdEESt5tupleIJNS8_6TensorESD_SD_EERKSD_lbbbEUlllE1_EE10hipError_tPvRmT2_T3_mT4_P12ihipStream_tbEUlT_E_NS1_11comp_targetILNS1_3genE9ELNS1_11target_archE1100ELNS1_3gpuE3ELNS1_3repE0EEENS1_30default_config_static_selectorELNS0_4arch9wavefront6targetE1EEEvT1_.kd
    .uniform_work_group_size: 1
    .uses_dynamic_stack: false
    .vgpr_count:     0
    .vgpr_spill_count: 0
    .wavefront_size: 64
  - .agpr_count:     0
    .args:
      - .offset:         0
        .size:           64
        .value_kind:     by_value
    .group_segment_fixed_size: 0
    .kernarg_segment_align: 8
    .kernarg_segment_size: 64
    .language:       OpenCL C
    .language_version:
      - 2
      - 0
    .max_flat_workgroup_size: 32
    .name:           _ZN7rocprim17ROCPRIM_400000_NS6detail17trampoline_kernelINS0_14default_configENS1_35adjacent_difference_config_selectorILb1ElEEZNS1_24adjacent_difference_implIS3_Lb1ELb0EPlS7_ZN2at6native12_GLOBAL__N_124unique_dim_cuda_templateIdEESt5tupleIJNS8_6TensorESD_SD_EERKSD_lbbbEUlllE1_EE10hipError_tPvRmT2_T3_mT4_P12ihipStream_tbEUlT_E_NS1_11comp_targetILNS1_3genE8ELNS1_11target_archE1030ELNS1_3gpuE2ELNS1_3repE0EEENS1_30default_config_static_selectorELNS0_4arch9wavefront6targetE1EEEvT1_
    .private_segment_fixed_size: 0
    .sgpr_count:     4
    .sgpr_spill_count: 0
    .symbol:         _ZN7rocprim17ROCPRIM_400000_NS6detail17trampoline_kernelINS0_14default_configENS1_35adjacent_difference_config_selectorILb1ElEEZNS1_24adjacent_difference_implIS3_Lb1ELb0EPlS7_ZN2at6native12_GLOBAL__N_124unique_dim_cuda_templateIdEESt5tupleIJNS8_6TensorESD_SD_EERKSD_lbbbEUlllE1_EE10hipError_tPvRmT2_T3_mT4_P12ihipStream_tbEUlT_E_NS1_11comp_targetILNS1_3genE8ELNS1_11target_archE1030ELNS1_3gpuE2ELNS1_3repE0EEENS1_30default_config_static_selectorELNS0_4arch9wavefront6targetE1EEEvT1_.kd
    .uniform_work_group_size: 1
    .uses_dynamic_stack: false
    .vgpr_count:     0
    .vgpr_spill_count: 0
    .wavefront_size: 64
  - .agpr_count:     0
    .args:
      - .offset:         0
        .size:           120
        .value_kind:     by_value
    .group_segment_fixed_size: 0
    .kernarg_segment_align: 8
    .kernarg_segment_size: 120
    .language:       OpenCL C
    .language_version:
      - 2
      - 0
    .max_flat_workgroup_size: 512
    .name:           _ZN7rocprim17ROCPRIM_400000_NS6detail17trampoline_kernelINS0_14default_configENS1_25partition_config_selectorILNS1_17partition_subalgoE8ElNS0_10empty_typeEbEEZZNS1_14partition_implILS5_8ELb0ES3_jPlPS6_PKS6_NS0_5tupleIJS9_S6_EEENSD_IJSA_SA_EEENS0_18inequality_wrapperIZN2at6native12_GLOBAL__N_124unique_dim_cuda_templateIdEESt5tupleIJNSH_6TensorESM_SM_EERKSM_lbbbEUlllE0_EEPmJS6_EEE10hipError_tPvRmT3_T4_T5_T6_T7_T9_mT8_P12ihipStream_tbDpT10_ENKUlT_T0_E_clISt17integral_constantIbLb0EES1C_EEDaS17_S18_EUlS17_E_NS1_11comp_targetILNS1_3genE0ELNS1_11target_archE4294967295ELNS1_3gpuE0ELNS1_3repE0EEENS1_30default_config_static_selectorELNS0_4arch9wavefront6targetE1EEEvT1_
    .private_segment_fixed_size: 0
    .sgpr_count:     4
    .sgpr_spill_count: 0
    .symbol:         _ZN7rocprim17ROCPRIM_400000_NS6detail17trampoline_kernelINS0_14default_configENS1_25partition_config_selectorILNS1_17partition_subalgoE8ElNS0_10empty_typeEbEEZZNS1_14partition_implILS5_8ELb0ES3_jPlPS6_PKS6_NS0_5tupleIJS9_S6_EEENSD_IJSA_SA_EEENS0_18inequality_wrapperIZN2at6native12_GLOBAL__N_124unique_dim_cuda_templateIdEESt5tupleIJNSH_6TensorESM_SM_EERKSM_lbbbEUlllE0_EEPmJS6_EEE10hipError_tPvRmT3_T4_T5_T6_T7_T9_mT8_P12ihipStream_tbDpT10_ENKUlT_T0_E_clISt17integral_constantIbLb0EES1C_EEDaS17_S18_EUlS17_E_NS1_11comp_targetILNS1_3genE0ELNS1_11target_archE4294967295ELNS1_3gpuE0ELNS1_3repE0EEENS1_30default_config_static_selectorELNS0_4arch9wavefront6targetE1EEEvT1_.kd
    .uniform_work_group_size: 1
    .uses_dynamic_stack: false
    .vgpr_count:     0
    .vgpr_spill_count: 0
    .wavefront_size: 64
  - .agpr_count:     0
    .args:
      - .offset:         0
        .size:           120
        .value_kind:     by_value
    .group_segment_fixed_size: 0
    .kernarg_segment_align: 8
    .kernarg_segment_size: 120
    .language:       OpenCL C
    .language_version:
      - 2
      - 0
    .max_flat_workgroup_size: 512
    .name:           _ZN7rocprim17ROCPRIM_400000_NS6detail17trampoline_kernelINS0_14default_configENS1_25partition_config_selectorILNS1_17partition_subalgoE8ElNS0_10empty_typeEbEEZZNS1_14partition_implILS5_8ELb0ES3_jPlPS6_PKS6_NS0_5tupleIJS9_S6_EEENSD_IJSA_SA_EEENS0_18inequality_wrapperIZN2at6native12_GLOBAL__N_124unique_dim_cuda_templateIdEESt5tupleIJNSH_6TensorESM_SM_EERKSM_lbbbEUlllE0_EEPmJS6_EEE10hipError_tPvRmT3_T4_T5_T6_T7_T9_mT8_P12ihipStream_tbDpT10_ENKUlT_T0_E_clISt17integral_constantIbLb0EES1C_EEDaS17_S18_EUlS17_E_NS1_11comp_targetILNS1_3genE5ELNS1_11target_archE942ELNS1_3gpuE9ELNS1_3repE0EEENS1_30default_config_static_selectorELNS0_4arch9wavefront6targetE1EEEvT1_
    .private_segment_fixed_size: 0
    .sgpr_count:     4
    .sgpr_spill_count: 0
    .symbol:         _ZN7rocprim17ROCPRIM_400000_NS6detail17trampoline_kernelINS0_14default_configENS1_25partition_config_selectorILNS1_17partition_subalgoE8ElNS0_10empty_typeEbEEZZNS1_14partition_implILS5_8ELb0ES3_jPlPS6_PKS6_NS0_5tupleIJS9_S6_EEENSD_IJSA_SA_EEENS0_18inequality_wrapperIZN2at6native12_GLOBAL__N_124unique_dim_cuda_templateIdEESt5tupleIJNSH_6TensorESM_SM_EERKSM_lbbbEUlllE0_EEPmJS6_EEE10hipError_tPvRmT3_T4_T5_T6_T7_T9_mT8_P12ihipStream_tbDpT10_ENKUlT_T0_E_clISt17integral_constantIbLb0EES1C_EEDaS17_S18_EUlS17_E_NS1_11comp_targetILNS1_3genE5ELNS1_11target_archE942ELNS1_3gpuE9ELNS1_3repE0EEENS1_30default_config_static_selectorELNS0_4arch9wavefront6targetE1EEEvT1_.kd
    .uniform_work_group_size: 1
    .uses_dynamic_stack: false
    .vgpr_count:     0
    .vgpr_spill_count: 0
    .wavefront_size: 64
  - .agpr_count:     0
    .args:
      - .offset:         0
        .size:           120
        .value_kind:     by_value
    .group_segment_fixed_size: 10252
    .kernarg_segment_align: 8
    .kernarg_segment_size: 120
    .language:       OpenCL C
    .language_version:
      - 2
      - 0
    .max_flat_workgroup_size: 256
    .name:           _ZN7rocprim17ROCPRIM_400000_NS6detail17trampoline_kernelINS0_14default_configENS1_25partition_config_selectorILNS1_17partition_subalgoE8ElNS0_10empty_typeEbEEZZNS1_14partition_implILS5_8ELb0ES3_jPlPS6_PKS6_NS0_5tupleIJS9_S6_EEENSD_IJSA_SA_EEENS0_18inequality_wrapperIZN2at6native12_GLOBAL__N_124unique_dim_cuda_templateIdEESt5tupleIJNSH_6TensorESM_SM_EERKSM_lbbbEUlllE0_EEPmJS6_EEE10hipError_tPvRmT3_T4_T5_T6_T7_T9_mT8_P12ihipStream_tbDpT10_ENKUlT_T0_E_clISt17integral_constantIbLb0EES1C_EEDaS17_S18_EUlS17_E_NS1_11comp_targetILNS1_3genE4ELNS1_11target_archE910ELNS1_3gpuE8ELNS1_3repE0EEENS1_30default_config_static_selectorELNS0_4arch9wavefront6targetE1EEEvT1_
    .private_segment_fixed_size: 0
    .sgpr_count:     52
    .sgpr_spill_count: 0
    .symbol:         _ZN7rocprim17ROCPRIM_400000_NS6detail17trampoline_kernelINS0_14default_configENS1_25partition_config_selectorILNS1_17partition_subalgoE8ElNS0_10empty_typeEbEEZZNS1_14partition_implILS5_8ELb0ES3_jPlPS6_PKS6_NS0_5tupleIJS9_S6_EEENSD_IJSA_SA_EEENS0_18inequality_wrapperIZN2at6native12_GLOBAL__N_124unique_dim_cuda_templateIdEESt5tupleIJNSH_6TensorESM_SM_EERKSM_lbbbEUlllE0_EEPmJS6_EEE10hipError_tPvRmT3_T4_T5_T6_T7_T9_mT8_P12ihipStream_tbDpT10_ENKUlT_T0_E_clISt17integral_constantIbLb0EES1C_EEDaS17_S18_EUlS17_E_NS1_11comp_targetILNS1_3genE4ELNS1_11target_archE910ELNS1_3gpuE8ELNS1_3repE0EEENS1_30default_config_static_selectorELNS0_4arch9wavefront6targetE1EEEvT1_.kd
    .uniform_work_group_size: 1
    .uses_dynamic_stack: false
    .vgpr_count:     46
    .vgpr_spill_count: 0
    .wavefront_size: 64
  - .agpr_count:     0
    .args:
      - .offset:         0
        .size:           120
        .value_kind:     by_value
    .group_segment_fixed_size: 0
    .kernarg_segment_align: 8
    .kernarg_segment_size: 120
    .language:       OpenCL C
    .language_version:
      - 2
      - 0
    .max_flat_workgroup_size: 512
    .name:           _ZN7rocprim17ROCPRIM_400000_NS6detail17trampoline_kernelINS0_14default_configENS1_25partition_config_selectorILNS1_17partition_subalgoE8ElNS0_10empty_typeEbEEZZNS1_14partition_implILS5_8ELb0ES3_jPlPS6_PKS6_NS0_5tupleIJS9_S6_EEENSD_IJSA_SA_EEENS0_18inequality_wrapperIZN2at6native12_GLOBAL__N_124unique_dim_cuda_templateIdEESt5tupleIJNSH_6TensorESM_SM_EERKSM_lbbbEUlllE0_EEPmJS6_EEE10hipError_tPvRmT3_T4_T5_T6_T7_T9_mT8_P12ihipStream_tbDpT10_ENKUlT_T0_E_clISt17integral_constantIbLb0EES1C_EEDaS17_S18_EUlS17_E_NS1_11comp_targetILNS1_3genE3ELNS1_11target_archE908ELNS1_3gpuE7ELNS1_3repE0EEENS1_30default_config_static_selectorELNS0_4arch9wavefront6targetE1EEEvT1_
    .private_segment_fixed_size: 0
    .sgpr_count:     4
    .sgpr_spill_count: 0
    .symbol:         _ZN7rocprim17ROCPRIM_400000_NS6detail17trampoline_kernelINS0_14default_configENS1_25partition_config_selectorILNS1_17partition_subalgoE8ElNS0_10empty_typeEbEEZZNS1_14partition_implILS5_8ELb0ES3_jPlPS6_PKS6_NS0_5tupleIJS9_S6_EEENSD_IJSA_SA_EEENS0_18inequality_wrapperIZN2at6native12_GLOBAL__N_124unique_dim_cuda_templateIdEESt5tupleIJNSH_6TensorESM_SM_EERKSM_lbbbEUlllE0_EEPmJS6_EEE10hipError_tPvRmT3_T4_T5_T6_T7_T9_mT8_P12ihipStream_tbDpT10_ENKUlT_T0_E_clISt17integral_constantIbLb0EES1C_EEDaS17_S18_EUlS17_E_NS1_11comp_targetILNS1_3genE3ELNS1_11target_archE908ELNS1_3gpuE7ELNS1_3repE0EEENS1_30default_config_static_selectorELNS0_4arch9wavefront6targetE1EEEvT1_.kd
    .uniform_work_group_size: 1
    .uses_dynamic_stack: false
    .vgpr_count:     0
    .vgpr_spill_count: 0
    .wavefront_size: 64
  - .agpr_count:     0
    .args:
      - .offset:         0
        .size:           120
        .value_kind:     by_value
    .group_segment_fixed_size: 0
    .kernarg_segment_align: 8
    .kernarg_segment_size: 120
    .language:       OpenCL C
    .language_version:
      - 2
      - 0
    .max_flat_workgroup_size: 256
    .name:           _ZN7rocprim17ROCPRIM_400000_NS6detail17trampoline_kernelINS0_14default_configENS1_25partition_config_selectorILNS1_17partition_subalgoE8ElNS0_10empty_typeEbEEZZNS1_14partition_implILS5_8ELb0ES3_jPlPS6_PKS6_NS0_5tupleIJS9_S6_EEENSD_IJSA_SA_EEENS0_18inequality_wrapperIZN2at6native12_GLOBAL__N_124unique_dim_cuda_templateIdEESt5tupleIJNSH_6TensorESM_SM_EERKSM_lbbbEUlllE0_EEPmJS6_EEE10hipError_tPvRmT3_T4_T5_T6_T7_T9_mT8_P12ihipStream_tbDpT10_ENKUlT_T0_E_clISt17integral_constantIbLb0EES1C_EEDaS17_S18_EUlS17_E_NS1_11comp_targetILNS1_3genE2ELNS1_11target_archE906ELNS1_3gpuE6ELNS1_3repE0EEENS1_30default_config_static_selectorELNS0_4arch9wavefront6targetE1EEEvT1_
    .private_segment_fixed_size: 0
    .sgpr_count:     4
    .sgpr_spill_count: 0
    .symbol:         _ZN7rocprim17ROCPRIM_400000_NS6detail17trampoline_kernelINS0_14default_configENS1_25partition_config_selectorILNS1_17partition_subalgoE8ElNS0_10empty_typeEbEEZZNS1_14partition_implILS5_8ELb0ES3_jPlPS6_PKS6_NS0_5tupleIJS9_S6_EEENSD_IJSA_SA_EEENS0_18inequality_wrapperIZN2at6native12_GLOBAL__N_124unique_dim_cuda_templateIdEESt5tupleIJNSH_6TensorESM_SM_EERKSM_lbbbEUlllE0_EEPmJS6_EEE10hipError_tPvRmT3_T4_T5_T6_T7_T9_mT8_P12ihipStream_tbDpT10_ENKUlT_T0_E_clISt17integral_constantIbLb0EES1C_EEDaS17_S18_EUlS17_E_NS1_11comp_targetILNS1_3genE2ELNS1_11target_archE906ELNS1_3gpuE6ELNS1_3repE0EEENS1_30default_config_static_selectorELNS0_4arch9wavefront6targetE1EEEvT1_.kd
    .uniform_work_group_size: 1
    .uses_dynamic_stack: false
    .vgpr_count:     0
    .vgpr_spill_count: 0
    .wavefront_size: 64
  - .agpr_count:     0
    .args:
      - .offset:         0
        .size:           120
        .value_kind:     by_value
    .group_segment_fixed_size: 0
    .kernarg_segment_align: 8
    .kernarg_segment_size: 120
    .language:       OpenCL C
    .language_version:
      - 2
      - 0
    .max_flat_workgroup_size: 384
    .name:           _ZN7rocprim17ROCPRIM_400000_NS6detail17trampoline_kernelINS0_14default_configENS1_25partition_config_selectorILNS1_17partition_subalgoE8ElNS0_10empty_typeEbEEZZNS1_14partition_implILS5_8ELb0ES3_jPlPS6_PKS6_NS0_5tupleIJS9_S6_EEENSD_IJSA_SA_EEENS0_18inequality_wrapperIZN2at6native12_GLOBAL__N_124unique_dim_cuda_templateIdEESt5tupleIJNSH_6TensorESM_SM_EERKSM_lbbbEUlllE0_EEPmJS6_EEE10hipError_tPvRmT3_T4_T5_T6_T7_T9_mT8_P12ihipStream_tbDpT10_ENKUlT_T0_E_clISt17integral_constantIbLb0EES1C_EEDaS17_S18_EUlS17_E_NS1_11comp_targetILNS1_3genE10ELNS1_11target_archE1200ELNS1_3gpuE4ELNS1_3repE0EEENS1_30default_config_static_selectorELNS0_4arch9wavefront6targetE1EEEvT1_
    .private_segment_fixed_size: 0
    .sgpr_count:     4
    .sgpr_spill_count: 0
    .symbol:         _ZN7rocprim17ROCPRIM_400000_NS6detail17trampoline_kernelINS0_14default_configENS1_25partition_config_selectorILNS1_17partition_subalgoE8ElNS0_10empty_typeEbEEZZNS1_14partition_implILS5_8ELb0ES3_jPlPS6_PKS6_NS0_5tupleIJS9_S6_EEENSD_IJSA_SA_EEENS0_18inequality_wrapperIZN2at6native12_GLOBAL__N_124unique_dim_cuda_templateIdEESt5tupleIJNSH_6TensorESM_SM_EERKSM_lbbbEUlllE0_EEPmJS6_EEE10hipError_tPvRmT3_T4_T5_T6_T7_T9_mT8_P12ihipStream_tbDpT10_ENKUlT_T0_E_clISt17integral_constantIbLb0EES1C_EEDaS17_S18_EUlS17_E_NS1_11comp_targetILNS1_3genE10ELNS1_11target_archE1200ELNS1_3gpuE4ELNS1_3repE0EEENS1_30default_config_static_selectorELNS0_4arch9wavefront6targetE1EEEvT1_.kd
    .uniform_work_group_size: 1
    .uses_dynamic_stack: false
    .vgpr_count:     0
    .vgpr_spill_count: 0
    .wavefront_size: 64
  - .agpr_count:     0
    .args:
      - .offset:         0
        .size:           120
        .value_kind:     by_value
    .group_segment_fixed_size: 0
    .kernarg_segment_align: 8
    .kernarg_segment_size: 120
    .language:       OpenCL C
    .language_version:
      - 2
      - 0
    .max_flat_workgroup_size: 512
    .name:           _ZN7rocprim17ROCPRIM_400000_NS6detail17trampoline_kernelINS0_14default_configENS1_25partition_config_selectorILNS1_17partition_subalgoE8ElNS0_10empty_typeEbEEZZNS1_14partition_implILS5_8ELb0ES3_jPlPS6_PKS6_NS0_5tupleIJS9_S6_EEENSD_IJSA_SA_EEENS0_18inequality_wrapperIZN2at6native12_GLOBAL__N_124unique_dim_cuda_templateIdEESt5tupleIJNSH_6TensorESM_SM_EERKSM_lbbbEUlllE0_EEPmJS6_EEE10hipError_tPvRmT3_T4_T5_T6_T7_T9_mT8_P12ihipStream_tbDpT10_ENKUlT_T0_E_clISt17integral_constantIbLb0EES1C_EEDaS17_S18_EUlS17_E_NS1_11comp_targetILNS1_3genE9ELNS1_11target_archE1100ELNS1_3gpuE3ELNS1_3repE0EEENS1_30default_config_static_selectorELNS0_4arch9wavefront6targetE1EEEvT1_
    .private_segment_fixed_size: 0
    .sgpr_count:     4
    .sgpr_spill_count: 0
    .symbol:         _ZN7rocprim17ROCPRIM_400000_NS6detail17trampoline_kernelINS0_14default_configENS1_25partition_config_selectorILNS1_17partition_subalgoE8ElNS0_10empty_typeEbEEZZNS1_14partition_implILS5_8ELb0ES3_jPlPS6_PKS6_NS0_5tupleIJS9_S6_EEENSD_IJSA_SA_EEENS0_18inequality_wrapperIZN2at6native12_GLOBAL__N_124unique_dim_cuda_templateIdEESt5tupleIJNSH_6TensorESM_SM_EERKSM_lbbbEUlllE0_EEPmJS6_EEE10hipError_tPvRmT3_T4_T5_T6_T7_T9_mT8_P12ihipStream_tbDpT10_ENKUlT_T0_E_clISt17integral_constantIbLb0EES1C_EEDaS17_S18_EUlS17_E_NS1_11comp_targetILNS1_3genE9ELNS1_11target_archE1100ELNS1_3gpuE3ELNS1_3repE0EEENS1_30default_config_static_selectorELNS0_4arch9wavefront6targetE1EEEvT1_.kd
    .uniform_work_group_size: 1
    .uses_dynamic_stack: false
    .vgpr_count:     0
    .vgpr_spill_count: 0
    .wavefront_size: 64
  - .agpr_count:     0
    .args:
      - .offset:         0
        .size:           120
        .value_kind:     by_value
    .group_segment_fixed_size: 0
    .kernarg_segment_align: 8
    .kernarg_segment_size: 120
    .language:       OpenCL C
    .language_version:
      - 2
      - 0
    .max_flat_workgroup_size: 512
    .name:           _ZN7rocprim17ROCPRIM_400000_NS6detail17trampoline_kernelINS0_14default_configENS1_25partition_config_selectorILNS1_17partition_subalgoE8ElNS0_10empty_typeEbEEZZNS1_14partition_implILS5_8ELb0ES3_jPlPS6_PKS6_NS0_5tupleIJS9_S6_EEENSD_IJSA_SA_EEENS0_18inequality_wrapperIZN2at6native12_GLOBAL__N_124unique_dim_cuda_templateIdEESt5tupleIJNSH_6TensorESM_SM_EERKSM_lbbbEUlllE0_EEPmJS6_EEE10hipError_tPvRmT3_T4_T5_T6_T7_T9_mT8_P12ihipStream_tbDpT10_ENKUlT_T0_E_clISt17integral_constantIbLb0EES1C_EEDaS17_S18_EUlS17_E_NS1_11comp_targetILNS1_3genE8ELNS1_11target_archE1030ELNS1_3gpuE2ELNS1_3repE0EEENS1_30default_config_static_selectorELNS0_4arch9wavefront6targetE1EEEvT1_
    .private_segment_fixed_size: 0
    .sgpr_count:     4
    .sgpr_spill_count: 0
    .symbol:         _ZN7rocprim17ROCPRIM_400000_NS6detail17trampoline_kernelINS0_14default_configENS1_25partition_config_selectorILNS1_17partition_subalgoE8ElNS0_10empty_typeEbEEZZNS1_14partition_implILS5_8ELb0ES3_jPlPS6_PKS6_NS0_5tupleIJS9_S6_EEENSD_IJSA_SA_EEENS0_18inequality_wrapperIZN2at6native12_GLOBAL__N_124unique_dim_cuda_templateIdEESt5tupleIJNSH_6TensorESM_SM_EERKSM_lbbbEUlllE0_EEPmJS6_EEE10hipError_tPvRmT3_T4_T5_T6_T7_T9_mT8_P12ihipStream_tbDpT10_ENKUlT_T0_E_clISt17integral_constantIbLb0EES1C_EEDaS17_S18_EUlS17_E_NS1_11comp_targetILNS1_3genE8ELNS1_11target_archE1030ELNS1_3gpuE2ELNS1_3repE0EEENS1_30default_config_static_selectorELNS0_4arch9wavefront6targetE1EEEvT1_.kd
    .uniform_work_group_size: 1
    .uses_dynamic_stack: false
    .vgpr_count:     0
    .vgpr_spill_count: 0
    .wavefront_size: 64
  - .agpr_count:     0
    .args:
      - .offset:         0
        .size:           136
        .value_kind:     by_value
    .group_segment_fixed_size: 0
    .kernarg_segment_align: 8
    .kernarg_segment_size: 136
    .language:       OpenCL C
    .language_version:
      - 2
      - 0
    .max_flat_workgroup_size: 512
    .name:           _ZN7rocprim17ROCPRIM_400000_NS6detail17trampoline_kernelINS0_14default_configENS1_25partition_config_selectorILNS1_17partition_subalgoE8ElNS0_10empty_typeEbEEZZNS1_14partition_implILS5_8ELb0ES3_jPlPS6_PKS6_NS0_5tupleIJS9_S6_EEENSD_IJSA_SA_EEENS0_18inequality_wrapperIZN2at6native12_GLOBAL__N_124unique_dim_cuda_templateIdEESt5tupleIJNSH_6TensorESM_SM_EERKSM_lbbbEUlllE0_EEPmJS6_EEE10hipError_tPvRmT3_T4_T5_T6_T7_T9_mT8_P12ihipStream_tbDpT10_ENKUlT_T0_E_clISt17integral_constantIbLb1EES1C_EEDaS17_S18_EUlS17_E_NS1_11comp_targetILNS1_3genE0ELNS1_11target_archE4294967295ELNS1_3gpuE0ELNS1_3repE0EEENS1_30default_config_static_selectorELNS0_4arch9wavefront6targetE1EEEvT1_
    .private_segment_fixed_size: 0
    .sgpr_count:     4
    .sgpr_spill_count: 0
    .symbol:         _ZN7rocprim17ROCPRIM_400000_NS6detail17trampoline_kernelINS0_14default_configENS1_25partition_config_selectorILNS1_17partition_subalgoE8ElNS0_10empty_typeEbEEZZNS1_14partition_implILS5_8ELb0ES3_jPlPS6_PKS6_NS0_5tupleIJS9_S6_EEENSD_IJSA_SA_EEENS0_18inequality_wrapperIZN2at6native12_GLOBAL__N_124unique_dim_cuda_templateIdEESt5tupleIJNSH_6TensorESM_SM_EERKSM_lbbbEUlllE0_EEPmJS6_EEE10hipError_tPvRmT3_T4_T5_T6_T7_T9_mT8_P12ihipStream_tbDpT10_ENKUlT_T0_E_clISt17integral_constantIbLb1EES1C_EEDaS17_S18_EUlS17_E_NS1_11comp_targetILNS1_3genE0ELNS1_11target_archE4294967295ELNS1_3gpuE0ELNS1_3repE0EEENS1_30default_config_static_selectorELNS0_4arch9wavefront6targetE1EEEvT1_.kd
    .uniform_work_group_size: 1
    .uses_dynamic_stack: false
    .vgpr_count:     0
    .vgpr_spill_count: 0
    .wavefront_size: 64
  - .agpr_count:     0
    .args:
      - .offset:         0
        .size:           136
        .value_kind:     by_value
    .group_segment_fixed_size: 0
    .kernarg_segment_align: 8
    .kernarg_segment_size: 136
    .language:       OpenCL C
    .language_version:
      - 2
      - 0
    .max_flat_workgroup_size: 512
    .name:           _ZN7rocprim17ROCPRIM_400000_NS6detail17trampoline_kernelINS0_14default_configENS1_25partition_config_selectorILNS1_17partition_subalgoE8ElNS0_10empty_typeEbEEZZNS1_14partition_implILS5_8ELb0ES3_jPlPS6_PKS6_NS0_5tupleIJS9_S6_EEENSD_IJSA_SA_EEENS0_18inequality_wrapperIZN2at6native12_GLOBAL__N_124unique_dim_cuda_templateIdEESt5tupleIJNSH_6TensorESM_SM_EERKSM_lbbbEUlllE0_EEPmJS6_EEE10hipError_tPvRmT3_T4_T5_T6_T7_T9_mT8_P12ihipStream_tbDpT10_ENKUlT_T0_E_clISt17integral_constantIbLb1EES1C_EEDaS17_S18_EUlS17_E_NS1_11comp_targetILNS1_3genE5ELNS1_11target_archE942ELNS1_3gpuE9ELNS1_3repE0EEENS1_30default_config_static_selectorELNS0_4arch9wavefront6targetE1EEEvT1_
    .private_segment_fixed_size: 0
    .sgpr_count:     4
    .sgpr_spill_count: 0
    .symbol:         _ZN7rocprim17ROCPRIM_400000_NS6detail17trampoline_kernelINS0_14default_configENS1_25partition_config_selectorILNS1_17partition_subalgoE8ElNS0_10empty_typeEbEEZZNS1_14partition_implILS5_8ELb0ES3_jPlPS6_PKS6_NS0_5tupleIJS9_S6_EEENSD_IJSA_SA_EEENS0_18inequality_wrapperIZN2at6native12_GLOBAL__N_124unique_dim_cuda_templateIdEESt5tupleIJNSH_6TensorESM_SM_EERKSM_lbbbEUlllE0_EEPmJS6_EEE10hipError_tPvRmT3_T4_T5_T6_T7_T9_mT8_P12ihipStream_tbDpT10_ENKUlT_T0_E_clISt17integral_constantIbLb1EES1C_EEDaS17_S18_EUlS17_E_NS1_11comp_targetILNS1_3genE5ELNS1_11target_archE942ELNS1_3gpuE9ELNS1_3repE0EEENS1_30default_config_static_selectorELNS0_4arch9wavefront6targetE1EEEvT1_.kd
    .uniform_work_group_size: 1
    .uses_dynamic_stack: false
    .vgpr_count:     0
    .vgpr_spill_count: 0
    .wavefront_size: 64
  - .agpr_count:     0
    .args:
      - .offset:         0
        .size:           136
        .value_kind:     by_value
    .group_segment_fixed_size: 10252
    .kernarg_segment_align: 8
    .kernarg_segment_size: 136
    .language:       OpenCL C
    .language_version:
      - 2
      - 0
    .max_flat_workgroup_size: 256
    .name:           _ZN7rocprim17ROCPRIM_400000_NS6detail17trampoline_kernelINS0_14default_configENS1_25partition_config_selectorILNS1_17partition_subalgoE8ElNS0_10empty_typeEbEEZZNS1_14partition_implILS5_8ELb0ES3_jPlPS6_PKS6_NS0_5tupleIJS9_S6_EEENSD_IJSA_SA_EEENS0_18inequality_wrapperIZN2at6native12_GLOBAL__N_124unique_dim_cuda_templateIdEESt5tupleIJNSH_6TensorESM_SM_EERKSM_lbbbEUlllE0_EEPmJS6_EEE10hipError_tPvRmT3_T4_T5_T6_T7_T9_mT8_P12ihipStream_tbDpT10_ENKUlT_T0_E_clISt17integral_constantIbLb1EES1C_EEDaS17_S18_EUlS17_E_NS1_11comp_targetILNS1_3genE4ELNS1_11target_archE910ELNS1_3gpuE8ELNS1_3repE0EEENS1_30default_config_static_selectorELNS0_4arch9wavefront6targetE1EEEvT1_
    .private_segment_fixed_size: 0
    .sgpr_count:     56
    .sgpr_spill_count: 0
    .symbol:         _ZN7rocprim17ROCPRIM_400000_NS6detail17trampoline_kernelINS0_14default_configENS1_25partition_config_selectorILNS1_17partition_subalgoE8ElNS0_10empty_typeEbEEZZNS1_14partition_implILS5_8ELb0ES3_jPlPS6_PKS6_NS0_5tupleIJS9_S6_EEENSD_IJSA_SA_EEENS0_18inequality_wrapperIZN2at6native12_GLOBAL__N_124unique_dim_cuda_templateIdEESt5tupleIJNSH_6TensorESM_SM_EERKSM_lbbbEUlllE0_EEPmJS6_EEE10hipError_tPvRmT3_T4_T5_T6_T7_T9_mT8_P12ihipStream_tbDpT10_ENKUlT_T0_E_clISt17integral_constantIbLb1EES1C_EEDaS17_S18_EUlS17_E_NS1_11comp_targetILNS1_3genE4ELNS1_11target_archE910ELNS1_3gpuE8ELNS1_3repE0EEENS1_30default_config_static_selectorELNS0_4arch9wavefront6targetE1EEEvT1_.kd
    .uniform_work_group_size: 1
    .uses_dynamic_stack: false
    .vgpr_count:     46
    .vgpr_spill_count: 0
    .wavefront_size: 64
  - .agpr_count:     0
    .args:
      - .offset:         0
        .size:           136
        .value_kind:     by_value
    .group_segment_fixed_size: 0
    .kernarg_segment_align: 8
    .kernarg_segment_size: 136
    .language:       OpenCL C
    .language_version:
      - 2
      - 0
    .max_flat_workgroup_size: 512
    .name:           _ZN7rocprim17ROCPRIM_400000_NS6detail17trampoline_kernelINS0_14default_configENS1_25partition_config_selectorILNS1_17partition_subalgoE8ElNS0_10empty_typeEbEEZZNS1_14partition_implILS5_8ELb0ES3_jPlPS6_PKS6_NS0_5tupleIJS9_S6_EEENSD_IJSA_SA_EEENS0_18inequality_wrapperIZN2at6native12_GLOBAL__N_124unique_dim_cuda_templateIdEESt5tupleIJNSH_6TensorESM_SM_EERKSM_lbbbEUlllE0_EEPmJS6_EEE10hipError_tPvRmT3_T4_T5_T6_T7_T9_mT8_P12ihipStream_tbDpT10_ENKUlT_T0_E_clISt17integral_constantIbLb1EES1C_EEDaS17_S18_EUlS17_E_NS1_11comp_targetILNS1_3genE3ELNS1_11target_archE908ELNS1_3gpuE7ELNS1_3repE0EEENS1_30default_config_static_selectorELNS0_4arch9wavefront6targetE1EEEvT1_
    .private_segment_fixed_size: 0
    .sgpr_count:     4
    .sgpr_spill_count: 0
    .symbol:         _ZN7rocprim17ROCPRIM_400000_NS6detail17trampoline_kernelINS0_14default_configENS1_25partition_config_selectorILNS1_17partition_subalgoE8ElNS0_10empty_typeEbEEZZNS1_14partition_implILS5_8ELb0ES3_jPlPS6_PKS6_NS0_5tupleIJS9_S6_EEENSD_IJSA_SA_EEENS0_18inequality_wrapperIZN2at6native12_GLOBAL__N_124unique_dim_cuda_templateIdEESt5tupleIJNSH_6TensorESM_SM_EERKSM_lbbbEUlllE0_EEPmJS6_EEE10hipError_tPvRmT3_T4_T5_T6_T7_T9_mT8_P12ihipStream_tbDpT10_ENKUlT_T0_E_clISt17integral_constantIbLb1EES1C_EEDaS17_S18_EUlS17_E_NS1_11comp_targetILNS1_3genE3ELNS1_11target_archE908ELNS1_3gpuE7ELNS1_3repE0EEENS1_30default_config_static_selectorELNS0_4arch9wavefront6targetE1EEEvT1_.kd
    .uniform_work_group_size: 1
    .uses_dynamic_stack: false
    .vgpr_count:     0
    .vgpr_spill_count: 0
    .wavefront_size: 64
  - .agpr_count:     0
    .args:
      - .offset:         0
        .size:           136
        .value_kind:     by_value
    .group_segment_fixed_size: 0
    .kernarg_segment_align: 8
    .kernarg_segment_size: 136
    .language:       OpenCL C
    .language_version:
      - 2
      - 0
    .max_flat_workgroup_size: 256
    .name:           _ZN7rocprim17ROCPRIM_400000_NS6detail17trampoline_kernelINS0_14default_configENS1_25partition_config_selectorILNS1_17partition_subalgoE8ElNS0_10empty_typeEbEEZZNS1_14partition_implILS5_8ELb0ES3_jPlPS6_PKS6_NS0_5tupleIJS9_S6_EEENSD_IJSA_SA_EEENS0_18inequality_wrapperIZN2at6native12_GLOBAL__N_124unique_dim_cuda_templateIdEESt5tupleIJNSH_6TensorESM_SM_EERKSM_lbbbEUlllE0_EEPmJS6_EEE10hipError_tPvRmT3_T4_T5_T6_T7_T9_mT8_P12ihipStream_tbDpT10_ENKUlT_T0_E_clISt17integral_constantIbLb1EES1C_EEDaS17_S18_EUlS17_E_NS1_11comp_targetILNS1_3genE2ELNS1_11target_archE906ELNS1_3gpuE6ELNS1_3repE0EEENS1_30default_config_static_selectorELNS0_4arch9wavefront6targetE1EEEvT1_
    .private_segment_fixed_size: 0
    .sgpr_count:     4
    .sgpr_spill_count: 0
    .symbol:         _ZN7rocprim17ROCPRIM_400000_NS6detail17trampoline_kernelINS0_14default_configENS1_25partition_config_selectorILNS1_17partition_subalgoE8ElNS0_10empty_typeEbEEZZNS1_14partition_implILS5_8ELb0ES3_jPlPS6_PKS6_NS0_5tupleIJS9_S6_EEENSD_IJSA_SA_EEENS0_18inequality_wrapperIZN2at6native12_GLOBAL__N_124unique_dim_cuda_templateIdEESt5tupleIJNSH_6TensorESM_SM_EERKSM_lbbbEUlllE0_EEPmJS6_EEE10hipError_tPvRmT3_T4_T5_T6_T7_T9_mT8_P12ihipStream_tbDpT10_ENKUlT_T0_E_clISt17integral_constantIbLb1EES1C_EEDaS17_S18_EUlS17_E_NS1_11comp_targetILNS1_3genE2ELNS1_11target_archE906ELNS1_3gpuE6ELNS1_3repE0EEENS1_30default_config_static_selectorELNS0_4arch9wavefront6targetE1EEEvT1_.kd
    .uniform_work_group_size: 1
    .uses_dynamic_stack: false
    .vgpr_count:     0
    .vgpr_spill_count: 0
    .wavefront_size: 64
  - .agpr_count:     0
    .args:
      - .offset:         0
        .size:           136
        .value_kind:     by_value
    .group_segment_fixed_size: 0
    .kernarg_segment_align: 8
    .kernarg_segment_size: 136
    .language:       OpenCL C
    .language_version:
      - 2
      - 0
    .max_flat_workgroup_size: 384
    .name:           _ZN7rocprim17ROCPRIM_400000_NS6detail17trampoline_kernelINS0_14default_configENS1_25partition_config_selectorILNS1_17partition_subalgoE8ElNS0_10empty_typeEbEEZZNS1_14partition_implILS5_8ELb0ES3_jPlPS6_PKS6_NS0_5tupleIJS9_S6_EEENSD_IJSA_SA_EEENS0_18inequality_wrapperIZN2at6native12_GLOBAL__N_124unique_dim_cuda_templateIdEESt5tupleIJNSH_6TensorESM_SM_EERKSM_lbbbEUlllE0_EEPmJS6_EEE10hipError_tPvRmT3_T4_T5_T6_T7_T9_mT8_P12ihipStream_tbDpT10_ENKUlT_T0_E_clISt17integral_constantIbLb1EES1C_EEDaS17_S18_EUlS17_E_NS1_11comp_targetILNS1_3genE10ELNS1_11target_archE1200ELNS1_3gpuE4ELNS1_3repE0EEENS1_30default_config_static_selectorELNS0_4arch9wavefront6targetE1EEEvT1_
    .private_segment_fixed_size: 0
    .sgpr_count:     4
    .sgpr_spill_count: 0
    .symbol:         _ZN7rocprim17ROCPRIM_400000_NS6detail17trampoline_kernelINS0_14default_configENS1_25partition_config_selectorILNS1_17partition_subalgoE8ElNS0_10empty_typeEbEEZZNS1_14partition_implILS5_8ELb0ES3_jPlPS6_PKS6_NS0_5tupleIJS9_S6_EEENSD_IJSA_SA_EEENS0_18inequality_wrapperIZN2at6native12_GLOBAL__N_124unique_dim_cuda_templateIdEESt5tupleIJNSH_6TensorESM_SM_EERKSM_lbbbEUlllE0_EEPmJS6_EEE10hipError_tPvRmT3_T4_T5_T6_T7_T9_mT8_P12ihipStream_tbDpT10_ENKUlT_T0_E_clISt17integral_constantIbLb1EES1C_EEDaS17_S18_EUlS17_E_NS1_11comp_targetILNS1_3genE10ELNS1_11target_archE1200ELNS1_3gpuE4ELNS1_3repE0EEENS1_30default_config_static_selectorELNS0_4arch9wavefront6targetE1EEEvT1_.kd
    .uniform_work_group_size: 1
    .uses_dynamic_stack: false
    .vgpr_count:     0
    .vgpr_spill_count: 0
    .wavefront_size: 64
  - .agpr_count:     0
    .args:
      - .offset:         0
        .size:           136
        .value_kind:     by_value
    .group_segment_fixed_size: 0
    .kernarg_segment_align: 8
    .kernarg_segment_size: 136
    .language:       OpenCL C
    .language_version:
      - 2
      - 0
    .max_flat_workgroup_size: 512
    .name:           _ZN7rocprim17ROCPRIM_400000_NS6detail17trampoline_kernelINS0_14default_configENS1_25partition_config_selectorILNS1_17partition_subalgoE8ElNS0_10empty_typeEbEEZZNS1_14partition_implILS5_8ELb0ES3_jPlPS6_PKS6_NS0_5tupleIJS9_S6_EEENSD_IJSA_SA_EEENS0_18inequality_wrapperIZN2at6native12_GLOBAL__N_124unique_dim_cuda_templateIdEESt5tupleIJNSH_6TensorESM_SM_EERKSM_lbbbEUlllE0_EEPmJS6_EEE10hipError_tPvRmT3_T4_T5_T6_T7_T9_mT8_P12ihipStream_tbDpT10_ENKUlT_T0_E_clISt17integral_constantIbLb1EES1C_EEDaS17_S18_EUlS17_E_NS1_11comp_targetILNS1_3genE9ELNS1_11target_archE1100ELNS1_3gpuE3ELNS1_3repE0EEENS1_30default_config_static_selectorELNS0_4arch9wavefront6targetE1EEEvT1_
    .private_segment_fixed_size: 0
    .sgpr_count:     4
    .sgpr_spill_count: 0
    .symbol:         _ZN7rocprim17ROCPRIM_400000_NS6detail17trampoline_kernelINS0_14default_configENS1_25partition_config_selectorILNS1_17partition_subalgoE8ElNS0_10empty_typeEbEEZZNS1_14partition_implILS5_8ELb0ES3_jPlPS6_PKS6_NS0_5tupleIJS9_S6_EEENSD_IJSA_SA_EEENS0_18inequality_wrapperIZN2at6native12_GLOBAL__N_124unique_dim_cuda_templateIdEESt5tupleIJNSH_6TensorESM_SM_EERKSM_lbbbEUlllE0_EEPmJS6_EEE10hipError_tPvRmT3_T4_T5_T6_T7_T9_mT8_P12ihipStream_tbDpT10_ENKUlT_T0_E_clISt17integral_constantIbLb1EES1C_EEDaS17_S18_EUlS17_E_NS1_11comp_targetILNS1_3genE9ELNS1_11target_archE1100ELNS1_3gpuE3ELNS1_3repE0EEENS1_30default_config_static_selectorELNS0_4arch9wavefront6targetE1EEEvT1_.kd
    .uniform_work_group_size: 1
    .uses_dynamic_stack: false
    .vgpr_count:     0
    .vgpr_spill_count: 0
    .wavefront_size: 64
  - .agpr_count:     0
    .args:
      - .offset:         0
        .size:           136
        .value_kind:     by_value
    .group_segment_fixed_size: 0
    .kernarg_segment_align: 8
    .kernarg_segment_size: 136
    .language:       OpenCL C
    .language_version:
      - 2
      - 0
    .max_flat_workgroup_size: 512
    .name:           _ZN7rocprim17ROCPRIM_400000_NS6detail17trampoline_kernelINS0_14default_configENS1_25partition_config_selectorILNS1_17partition_subalgoE8ElNS0_10empty_typeEbEEZZNS1_14partition_implILS5_8ELb0ES3_jPlPS6_PKS6_NS0_5tupleIJS9_S6_EEENSD_IJSA_SA_EEENS0_18inequality_wrapperIZN2at6native12_GLOBAL__N_124unique_dim_cuda_templateIdEESt5tupleIJNSH_6TensorESM_SM_EERKSM_lbbbEUlllE0_EEPmJS6_EEE10hipError_tPvRmT3_T4_T5_T6_T7_T9_mT8_P12ihipStream_tbDpT10_ENKUlT_T0_E_clISt17integral_constantIbLb1EES1C_EEDaS17_S18_EUlS17_E_NS1_11comp_targetILNS1_3genE8ELNS1_11target_archE1030ELNS1_3gpuE2ELNS1_3repE0EEENS1_30default_config_static_selectorELNS0_4arch9wavefront6targetE1EEEvT1_
    .private_segment_fixed_size: 0
    .sgpr_count:     4
    .sgpr_spill_count: 0
    .symbol:         _ZN7rocprim17ROCPRIM_400000_NS6detail17trampoline_kernelINS0_14default_configENS1_25partition_config_selectorILNS1_17partition_subalgoE8ElNS0_10empty_typeEbEEZZNS1_14partition_implILS5_8ELb0ES3_jPlPS6_PKS6_NS0_5tupleIJS9_S6_EEENSD_IJSA_SA_EEENS0_18inequality_wrapperIZN2at6native12_GLOBAL__N_124unique_dim_cuda_templateIdEESt5tupleIJNSH_6TensorESM_SM_EERKSM_lbbbEUlllE0_EEPmJS6_EEE10hipError_tPvRmT3_T4_T5_T6_T7_T9_mT8_P12ihipStream_tbDpT10_ENKUlT_T0_E_clISt17integral_constantIbLb1EES1C_EEDaS17_S18_EUlS17_E_NS1_11comp_targetILNS1_3genE8ELNS1_11target_archE1030ELNS1_3gpuE2ELNS1_3repE0EEENS1_30default_config_static_selectorELNS0_4arch9wavefront6targetE1EEEvT1_.kd
    .uniform_work_group_size: 1
    .uses_dynamic_stack: false
    .vgpr_count:     0
    .vgpr_spill_count: 0
    .wavefront_size: 64
  - .agpr_count:     0
    .args:
      - .offset:         0
        .size:           120
        .value_kind:     by_value
    .group_segment_fixed_size: 0
    .kernarg_segment_align: 8
    .kernarg_segment_size: 120
    .language:       OpenCL C
    .language_version:
      - 2
      - 0
    .max_flat_workgroup_size: 512
    .name:           _ZN7rocprim17ROCPRIM_400000_NS6detail17trampoline_kernelINS0_14default_configENS1_25partition_config_selectorILNS1_17partition_subalgoE8ElNS0_10empty_typeEbEEZZNS1_14partition_implILS5_8ELb0ES3_jPlPS6_PKS6_NS0_5tupleIJS9_S6_EEENSD_IJSA_SA_EEENS0_18inequality_wrapperIZN2at6native12_GLOBAL__N_124unique_dim_cuda_templateIdEESt5tupleIJNSH_6TensorESM_SM_EERKSM_lbbbEUlllE0_EEPmJS6_EEE10hipError_tPvRmT3_T4_T5_T6_T7_T9_mT8_P12ihipStream_tbDpT10_ENKUlT_T0_E_clISt17integral_constantIbLb1EES1B_IbLb0EEEEDaS17_S18_EUlS17_E_NS1_11comp_targetILNS1_3genE0ELNS1_11target_archE4294967295ELNS1_3gpuE0ELNS1_3repE0EEENS1_30default_config_static_selectorELNS0_4arch9wavefront6targetE1EEEvT1_
    .private_segment_fixed_size: 0
    .sgpr_count:     4
    .sgpr_spill_count: 0
    .symbol:         _ZN7rocprim17ROCPRIM_400000_NS6detail17trampoline_kernelINS0_14default_configENS1_25partition_config_selectorILNS1_17partition_subalgoE8ElNS0_10empty_typeEbEEZZNS1_14partition_implILS5_8ELb0ES3_jPlPS6_PKS6_NS0_5tupleIJS9_S6_EEENSD_IJSA_SA_EEENS0_18inequality_wrapperIZN2at6native12_GLOBAL__N_124unique_dim_cuda_templateIdEESt5tupleIJNSH_6TensorESM_SM_EERKSM_lbbbEUlllE0_EEPmJS6_EEE10hipError_tPvRmT3_T4_T5_T6_T7_T9_mT8_P12ihipStream_tbDpT10_ENKUlT_T0_E_clISt17integral_constantIbLb1EES1B_IbLb0EEEEDaS17_S18_EUlS17_E_NS1_11comp_targetILNS1_3genE0ELNS1_11target_archE4294967295ELNS1_3gpuE0ELNS1_3repE0EEENS1_30default_config_static_selectorELNS0_4arch9wavefront6targetE1EEEvT1_.kd
    .uniform_work_group_size: 1
    .uses_dynamic_stack: false
    .vgpr_count:     0
    .vgpr_spill_count: 0
    .wavefront_size: 64
  - .agpr_count:     0
    .args:
      - .offset:         0
        .size:           120
        .value_kind:     by_value
    .group_segment_fixed_size: 0
    .kernarg_segment_align: 8
    .kernarg_segment_size: 120
    .language:       OpenCL C
    .language_version:
      - 2
      - 0
    .max_flat_workgroup_size: 512
    .name:           _ZN7rocprim17ROCPRIM_400000_NS6detail17trampoline_kernelINS0_14default_configENS1_25partition_config_selectorILNS1_17partition_subalgoE8ElNS0_10empty_typeEbEEZZNS1_14partition_implILS5_8ELb0ES3_jPlPS6_PKS6_NS0_5tupleIJS9_S6_EEENSD_IJSA_SA_EEENS0_18inequality_wrapperIZN2at6native12_GLOBAL__N_124unique_dim_cuda_templateIdEESt5tupleIJNSH_6TensorESM_SM_EERKSM_lbbbEUlllE0_EEPmJS6_EEE10hipError_tPvRmT3_T4_T5_T6_T7_T9_mT8_P12ihipStream_tbDpT10_ENKUlT_T0_E_clISt17integral_constantIbLb1EES1B_IbLb0EEEEDaS17_S18_EUlS17_E_NS1_11comp_targetILNS1_3genE5ELNS1_11target_archE942ELNS1_3gpuE9ELNS1_3repE0EEENS1_30default_config_static_selectorELNS0_4arch9wavefront6targetE1EEEvT1_
    .private_segment_fixed_size: 0
    .sgpr_count:     4
    .sgpr_spill_count: 0
    .symbol:         _ZN7rocprim17ROCPRIM_400000_NS6detail17trampoline_kernelINS0_14default_configENS1_25partition_config_selectorILNS1_17partition_subalgoE8ElNS0_10empty_typeEbEEZZNS1_14partition_implILS5_8ELb0ES3_jPlPS6_PKS6_NS0_5tupleIJS9_S6_EEENSD_IJSA_SA_EEENS0_18inequality_wrapperIZN2at6native12_GLOBAL__N_124unique_dim_cuda_templateIdEESt5tupleIJNSH_6TensorESM_SM_EERKSM_lbbbEUlllE0_EEPmJS6_EEE10hipError_tPvRmT3_T4_T5_T6_T7_T9_mT8_P12ihipStream_tbDpT10_ENKUlT_T0_E_clISt17integral_constantIbLb1EES1B_IbLb0EEEEDaS17_S18_EUlS17_E_NS1_11comp_targetILNS1_3genE5ELNS1_11target_archE942ELNS1_3gpuE9ELNS1_3repE0EEENS1_30default_config_static_selectorELNS0_4arch9wavefront6targetE1EEEvT1_.kd
    .uniform_work_group_size: 1
    .uses_dynamic_stack: false
    .vgpr_count:     0
    .vgpr_spill_count: 0
    .wavefront_size: 64
  - .agpr_count:     0
    .args:
      - .offset:         0
        .size:           120
        .value_kind:     by_value
    .group_segment_fixed_size: 10252
    .kernarg_segment_align: 8
    .kernarg_segment_size: 120
    .language:       OpenCL C
    .language_version:
      - 2
      - 0
    .max_flat_workgroup_size: 256
    .name:           _ZN7rocprim17ROCPRIM_400000_NS6detail17trampoline_kernelINS0_14default_configENS1_25partition_config_selectorILNS1_17partition_subalgoE8ElNS0_10empty_typeEbEEZZNS1_14partition_implILS5_8ELb0ES3_jPlPS6_PKS6_NS0_5tupleIJS9_S6_EEENSD_IJSA_SA_EEENS0_18inequality_wrapperIZN2at6native12_GLOBAL__N_124unique_dim_cuda_templateIdEESt5tupleIJNSH_6TensorESM_SM_EERKSM_lbbbEUlllE0_EEPmJS6_EEE10hipError_tPvRmT3_T4_T5_T6_T7_T9_mT8_P12ihipStream_tbDpT10_ENKUlT_T0_E_clISt17integral_constantIbLb1EES1B_IbLb0EEEEDaS17_S18_EUlS17_E_NS1_11comp_targetILNS1_3genE4ELNS1_11target_archE910ELNS1_3gpuE8ELNS1_3repE0EEENS1_30default_config_static_selectorELNS0_4arch9wavefront6targetE1EEEvT1_
    .private_segment_fixed_size: 0
    .sgpr_count:     52
    .sgpr_spill_count: 0
    .symbol:         _ZN7rocprim17ROCPRIM_400000_NS6detail17trampoline_kernelINS0_14default_configENS1_25partition_config_selectorILNS1_17partition_subalgoE8ElNS0_10empty_typeEbEEZZNS1_14partition_implILS5_8ELb0ES3_jPlPS6_PKS6_NS0_5tupleIJS9_S6_EEENSD_IJSA_SA_EEENS0_18inequality_wrapperIZN2at6native12_GLOBAL__N_124unique_dim_cuda_templateIdEESt5tupleIJNSH_6TensorESM_SM_EERKSM_lbbbEUlllE0_EEPmJS6_EEE10hipError_tPvRmT3_T4_T5_T6_T7_T9_mT8_P12ihipStream_tbDpT10_ENKUlT_T0_E_clISt17integral_constantIbLb1EES1B_IbLb0EEEEDaS17_S18_EUlS17_E_NS1_11comp_targetILNS1_3genE4ELNS1_11target_archE910ELNS1_3gpuE8ELNS1_3repE0EEENS1_30default_config_static_selectorELNS0_4arch9wavefront6targetE1EEEvT1_.kd
    .uniform_work_group_size: 1
    .uses_dynamic_stack: false
    .vgpr_count:     46
    .vgpr_spill_count: 0
    .wavefront_size: 64
  - .agpr_count:     0
    .args:
      - .offset:         0
        .size:           120
        .value_kind:     by_value
    .group_segment_fixed_size: 0
    .kernarg_segment_align: 8
    .kernarg_segment_size: 120
    .language:       OpenCL C
    .language_version:
      - 2
      - 0
    .max_flat_workgroup_size: 512
    .name:           _ZN7rocprim17ROCPRIM_400000_NS6detail17trampoline_kernelINS0_14default_configENS1_25partition_config_selectorILNS1_17partition_subalgoE8ElNS0_10empty_typeEbEEZZNS1_14partition_implILS5_8ELb0ES3_jPlPS6_PKS6_NS0_5tupleIJS9_S6_EEENSD_IJSA_SA_EEENS0_18inequality_wrapperIZN2at6native12_GLOBAL__N_124unique_dim_cuda_templateIdEESt5tupleIJNSH_6TensorESM_SM_EERKSM_lbbbEUlllE0_EEPmJS6_EEE10hipError_tPvRmT3_T4_T5_T6_T7_T9_mT8_P12ihipStream_tbDpT10_ENKUlT_T0_E_clISt17integral_constantIbLb1EES1B_IbLb0EEEEDaS17_S18_EUlS17_E_NS1_11comp_targetILNS1_3genE3ELNS1_11target_archE908ELNS1_3gpuE7ELNS1_3repE0EEENS1_30default_config_static_selectorELNS0_4arch9wavefront6targetE1EEEvT1_
    .private_segment_fixed_size: 0
    .sgpr_count:     4
    .sgpr_spill_count: 0
    .symbol:         _ZN7rocprim17ROCPRIM_400000_NS6detail17trampoline_kernelINS0_14default_configENS1_25partition_config_selectorILNS1_17partition_subalgoE8ElNS0_10empty_typeEbEEZZNS1_14partition_implILS5_8ELb0ES3_jPlPS6_PKS6_NS0_5tupleIJS9_S6_EEENSD_IJSA_SA_EEENS0_18inequality_wrapperIZN2at6native12_GLOBAL__N_124unique_dim_cuda_templateIdEESt5tupleIJNSH_6TensorESM_SM_EERKSM_lbbbEUlllE0_EEPmJS6_EEE10hipError_tPvRmT3_T4_T5_T6_T7_T9_mT8_P12ihipStream_tbDpT10_ENKUlT_T0_E_clISt17integral_constantIbLb1EES1B_IbLb0EEEEDaS17_S18_EUlS17_E_NS1_11comp_targetILNS1_3genE3ELNS1_11target_archE908ELNS1_3gpuE7ELNS1_3repE0EEENS1_30default_config_static_selectorELNS0_4arch9wavefront6targetE1EEEvT1_.kd
    .uniform_work_group_size: 1
    .uses_dynamic_stack: false
    .vgpr_count:     0
    .vgpr_spill_count: 0
    .wavefront_size: 64
  - .agpr_count:     0
    .args:
      - .offset:         0
        .size:           120
        .value_kind:     by_value
    .group_segment_fixed_size: 0
    .kernarg_segment_align: 8
    .kernarg_segment_size: 120
    .language:       OpenCL C
    .language_version:
      - 2
      - 0
    .max_flat_workgroup_size: 256
    .name:           _ZN7rocprim17ROCPRIM_400000_NS6detail17trampoline_kernelINS0_14default_configENS1_25partition_config_selectorILNS1_17partition_subalgoE8ElNS0_10empty_typeEbEEZZNS1_14partition_implILS5_8ELb0ES3_jPlPS6_PKS6_NS0_5tupleIJS9_S6_EEENSD_IJSA_SA_EEENS0_18inequality_wrapperIZN2at6native12_GLOBAL__N_124unique_dim_cuda_templateIdEESt5tupleIJNSH_6TensorESM_SM_EERKSM_lbbbEUlllE0_EEPmJS6_EEE10hipError_tPvRmT3_T4_T5_T6_T7_T9_mT8_P12ihipStream_tbDpT10_ENKUlT_T0_E_clISt17integral_constantIbLb1EES1B_IbLb0EEEEDaS17_S18_EUlS17_E_NS1_11comp_targetILNS1_3genE2ELNS1_11target_archE906ELNS1_3gpuE6ELNS1_3repE0EEENS1_30default_config_static_selectorELNS0_4arch9wavefront6targetE1EEEvT1_
    .private_segment_fixed_size: 0
    .sgpr_count:     4
    .sgpr_spill_count: 0
    .symbol:         _ZN7rocprim17ROCPRIM_400000_NS6detail17trampoline_kernelINS0_14default_configENS1_25partition_config_selectorILNS1_17partition_subalgoE8ElNS0_10empty_typeEbEEZZNS1_14partition_implILS5_8ELb0ES3_jPlPS6_PKS6_NS0_5tupleIJS9_S6_EEENSD_IJSA_SA_EEENS0_18inequality_wrapperIZN2at6native12_GLOBAL__N_124unique_dim_cuda_templateIdEESt5tupleIJNSH_6TensorESM_SM_EERKSM_lbbbEUlllE0_EEPmJS6_EEE10hipError_tPvRmT3_T4_T5_T6_T7_T9_mT8_P12ihipStream_tbDpT10_ENKUlT_T0_E_clISt17integral_constantIbLb1EES1B_IbLb0EEEEDaS17_S18_EUlS17_E_NS1_11comp_targetILNS1_3genE2ELNS1_11target_archE906ELNS1_3gpuE6ELNS1_3repE0EEENS1_30default_config_static_selectorELNS0_4arch9wavefront6targetE1EEEvT1_.kd
    .uniform_work_group_size: 1
    .uses_dynamic_stack: false
    .vgpr_count:     0
    .vgpr_spill_count: 0
    .wavefront_size: 64
  - .agpr_count:     0
    .args:
      - .offset:         0
        .size:           120
        .value_kind:     by_value
    .group_segment_fixed_size: 0
    .kernarg_segment_align: 8
    .kernarg_segment_size: 120
    .language:       OpenCL C
    .language_version:
      - 2
      - 0
    .max_flat_workgroup_size: 384
    .name:           _ZN7rocprim17ROCPRIM_400000_NS6detail17trampoline_kernelINS0_14default_configENS1_25partition_config_selectorILNS1_17partition_subalgoE8ElNS0_10empty_typeEbEEZZNS1_14partition_implILS5_8ELb0ES3_jPlPS6_PKS6_NS0_5tupleIJS9_S6_EEENSD_IJSA_SA_EEENS0_18inequality_wrapperIZN2at6native12_GLOBAL__N_124unique_dim_cuda_templateIdEESt5tupleIJNSH_6TensorESM_SM_EERKSM_lbbbEUlllE0_EEPmJS6_EEE10hipError_tPvRmT3_T4_T5_T6_T7_T9_mT8_P12ihipStream_tbDpT10_ENKUlT_T0_E_clISt17integral_constantIbLb1EES1B_IbLb0EEEEDaS17_S18_EUlS17_E_NS1_11comp_targetILNS1_3genE10ELNS1_11target_archE1200ELNS1_3gpuE4ELNS1_3repE0EEENS1_30default_config_static_selectorELNS0_4arch9wavefront6targetE1EEEvT1_
    .private_segment_fixed_size: 0
    .sgpr_count:     4
    .sgpr_spill_count: 0
    .symbol:         _ZN7rocprim17ROCPRIM_400000_NS6detail17trampoline_kernelINS0_14default_configENS1_25partition_config_selectorILNS1_17partition_subalgoE8ElNS0_10empty_typeEbEEZZNS1_14partition_implILS5_8ELb0ES3_jPlPS6_PKS6_NS0_5tupleIJS9_S6_EEENSD_IJSA_SA_EEENS0_18inequality_wrapperIZN2at6native12_GLOBAL__N_124unique_dim_cuda_templateIdEESt5tupleIJNSH_6TensorESM_SM_EERKSM_lbbbEUlllE0_EEPmJS6_EEE10hipError_tPvRmT3_T4_T5_T6_T7_T9_mT8_P12ihipStream_tbDpT10_ENKUlT_T0_E_clISt17integral_constantIbLb1EES1B_IbLb0EEEEDaS17_S18_EUlS17_E_NS1_11comp_targetILNS1_3genE10ELNS1_11target_archE1200ELNS1_3gpuE4ELNS1_3repE0EEENS1_30default_config_static_selectorELNS0_4arch9wavefront6targetE1EEEvT1_.kd
    .uniform_work_group_size: 1
    .uses_dynamic_stack: false
    .vgpr_count:     0
    .vgpr_spill_count: 0
    .wavefront_size: 64
  - .agpr_count:     0
    .args:
      - .offset:         0
        .size:           120
        .value_kind:     by_value
    .group_segment_fixed_size: 0
    .kernarg_segment_align: 8
    .kernarg_segment_size: 120
    .language:       OpenCL C
    .language_version:
      - 2
      - 0
    .max_flat_workgroup_size: 512
    .name:           _ZN7rocprim17ROCPRIM_400000_NS6detail17trampoline_kernelINS0_14default_configENS1_25partition_config_selectorILNS1_17partition_subalgoE8ElNS0_10empty_typeEbEEZZNS1_14partition_implILS5_8ELb0ES3_jPlPS6_PKS6_NS0_5tupleIJS9_S6_EEENSD_IJSA_SA_EEENS0_18inequality_wrapperIZN2at6native12_GLOBAL__N_124unique_dim_cuda_templateIdEESt5tupleIJNSH_6TensorESM_SM_EERKSM_lbbbEUlllE0_EEPmJS6_EEE10hipError_tPvRmT3_T4_T5_T6_T7_T9_mT8_P12ihipStream_tbDpT10_ENKUlT_T0_E_clISt17integral_constantIbLb1EES1B_IbLb0EEEEDaS17_S18_EUlS17_E_NS1_11comp_targetILNS1_3genE9ELNS1_11target_archE1100ELNS1_3gpuE3ELNS1_3repE0EEENS1_30default_config_static_selectorELNS0_4arch9wavefront6targetE1EEEvT1_
    .private_segment_fixed_size: 0
    .sgpr_count:     4
    .sgpr_spill_count: 0
    .symbol:         _ZN7rocprim17ROCPRIM_400000_NS6detail17trampoline_kernelINS0_14default_configENS1_25partition_config_selectorILNS1_17partition_subalgoE8ElNS0_10empty_typeEbEEZZNS1_14partition_implILS5_8ELb0ES3_jPlPS6_PKS6_NS0_5tupleIJS9_S6_EEENSD_IJSA_SA_EEENS0_18inequality_wrapperIZN2at6native12_GLOBAL__N_124unique_dim_cuda_templateIdEESt5tupleIJNSH_6TensorESM_SM_EERKSM_lbbbEUlllE0_EEPmJS6_EEE10hipError_tPvRmT3_T4_T5_T6_T7_T9_mT8_P12ihipStream_tbDpT10_ENKUlT_T0_E_clISt17integral_constantIbLb1EES1B_IbLb0EEEEDaS17_S18_EUlS17_E_NS1_11comp_targetILNS1_3genE9ELNS1_11target_archE1100ELNS1_3gpuE3ELNS1_3repE0EEENS1_30default_config_static_selectorELNS0_4arch9wavefront6targetE1EEEvT1_.kd
    .uniform_work_group_size: 1
    .uses_dynamic_stack: false
    .vgpr_count:     0
    .vgpr_spill_count: 0
    .wavefront_size: 64
  - .agpr_count:     0
    .args:
      - .offset:         0
        .size:           120
        .value_kind:     by_value
    .group_segment_fixed_size: 0
    .kernarg_segment_align: 8
    .kernarg_segment_size: 120
    .language:       OpenCL C
    .language_version:
      - 2
      - 0
    .max_flat_workgroup_size: 512
    .name:           _ZN7rocprim17ROCPRIM_400000_NS6detail17trampoline_kernelINS0_14default_configENS1_25partition_config_selectorILNS1_17partition_subalgoE8ElNS0_10empty_typeEbEEZZNS1_14partition_implILS5_8ELb0ES3_jPlPS6_PKS6_NS0_5tupleIJS9_S6_EEENSD_IJSA_SA_EEENS0_18inequality_wrapperIZN2at6native12_GLOBAL__N_124unique_dim_cuda_templateIdEESt5tupleIJNSH_6TensorESM_SM_EERKSM_lbbbEUlllE0_EEPmJS6_EEE10hipError_tPvRmT3_T4_T5_T6_T7_T9_mT8_P12ihipStream_tbDpT10_ENKUlT_T0_E_clISt17integral_constantIbLb1EES1B_IbLb0EEEEDaS17_S18_EUlS17_E_NS1_11comp_targetILNS1_3genE8ELNS1_11target_archE1030ELNS1_3gpuE2ELNS1_3repE0EEENS1_30default_config_static_selectorELNS0_4arch9wavefront6targetE1EEEvT1_
    .private_segment_fixed_size: 0
    .sgpr_count:     4
    .sgpr_spill_count: 0
    .symbol:         _ZN7rocprim17ROCPRIM_400000_NS6detail17trampoline_kernelINS0_14default_configENS1_25partition_config_selectorILNS1_17partition_subalgoE8ElNS0_10empty_typeEbEEZZNS1_14partition_implILS5_8ELb0ES3_jPlPS6_PKS6_NS0_5tupleIJS9_S6_EEENSD_IJSA_SA_EEENS0_18inequality_wrapperIZN2at6native12_GLOBAL__N_124unique_dim_cuda_templateIdEESt5tupleIJNSH_6TensorESM_SM_EERKSM_lbbbEUlllE0_EEPmJS6_EEE10hipError_tPvRmT3_T4_T5_T6_T7_T9_mT8_P12ihipStream_tbDpT10_ENKUlT_T0_E_clISt17integral_constantIbLb1EES1B_IbLb0EEEEDaS17_S18_EUlS17_E_NS1_11comp_targetILNS1_3genE8ELNS1_11target_archE1030ELNS1_3gpuE2ELNS1_3repE0EEENS1_30default_config_static_selectorELNS0_4arch9wavefront6targetE1EEEvT1_.kd
    .uniform_work_group_size: 1
    .uses_dynamic_stack: false
    .vgpr_count:     0
    .vgpr_spill_count: 0
    .wavefront_size: 64
  - .agpr_count:     0
    .args:
      - .offset:         0
        .size:           136
        .value_kind:     by_value
    .group_segment_fixed_size: 0
    .kernarg_segment_align: 8
    .kernarg_segment_size: 136
    .language:       OpenCL C
    .language_version:
      - 2
      - 0
    .max_flat_workgroup_size: 512
    .name:           _ZN7rocprim17ROCPRIM_400000_NS6detail17trampoline_kernelINS0_14default_configENS1_25partition_config_selectorILNS1_17partition_subalgoE8ElNS0_10empty_typeEbEEZZNS1_14partition_implILS5_8ELb0ES3_jPlPS6_PKS6_NS0_5tupleIJS9_S6_EEENSD_IJSA_SA_EEENS0_18inequality_wrapperIZN2at6native12_GLOBAL__N_124unique_dim_cuda_templateIdEESt5tupleIJNSH_6TensorESM_SM_EERKSM_lbbbEUlllE0_EEPmJS6_EEE10hipError_tPvRmT3_T4_T5_T6_T7_T9_mT8_P12ihipStream_tbDpT10_ENKUlT_T0_E_clISt17integral_constantIbLb0EES1B_IbLb1EEEEDaS17_S18_EUlS17_E_NS1_11comp_targetILNS1_3genE0ELNS1_11target_archE4294967295ELNS1_3gpuE0ELNS1_3repE0EEENS1_30default_config_static_selectorELNS0_4arch9wavefront6targetE1EEEvT1_
    .private_segment_fixed_size: 0
    .sgpr_count:     4
    .sgpr_spill_count: 0
    .symbol:         _ZN7rocprim17ROCPRIM_400000_NS6detail17trampoline_kernelINS0_14default_configENS1_25partition_config_selectorILNS1_17partition_subalgoE8ElNS0_10empty_typeEbEEZZNS1_14partition_implILS5_8ELb0ES3_jPlPS6_PKS6_NS0_5tupleIJS9_S6_EEENSD_IJSA_SA_EEENS0_18inequality_wrapperIZN2at6native12_GLOBAL__N_124unique_dim_cuda_templateIdEESt5tupleIJNSH_6TensorESM_SM_EERKSM_lbbbEUlllE0_EEPmJS6_EEE10hipError_tPvRmT3_T4_T5_T6_T7_T9_mT8_P12ihipStream_tbDpT10_ENKUlT_T0_E_clISt17integral_constantIbLb0EES1B_IbLb1EEEEDaS17_S18_EUlS17_E_NS1_11comp_targetILNS1_3genE0ELNS1_11target_archE4294967295ELNS1_3gpuE0ELNS1_3repE0EEENS1_30default_config_static_selectorELNS0_4arch9wavefront6targetE1EEEvT1_.kd
    .uniform_work_group_size: 1
    .uses_dynamic_stack: false
    .vgpr_count:     0
    .vgpr_spill_count: 0
    .wavefront_size: 64
  - .agpr_count:     0
    .args:
      - .offset:         0
        .size:           136
        .value_kind:     by_value
    .group_segment_fixed_size: 0
    .kernarg_segment_align: 8
    .kernarg_segment_size: 136
    .language:       OpenCL C
    .language_version:
      - 2
      - 0
    .max_flat_workgroup_size: 512
    .name:           _ZN7rocprim17ROCPRIM_400000_NS6detail17trampoline_kernelINS0_14default_configENS1_25partition_config_selectorILNS1_17partition_subalgoE8ElNS0_10empty_typeEbEEZZNS1_14partition_implILS5_8ELb0ES3_jPlPS6_PKS6_NS0_5tupleIJS9_S6_EEENSD_IJSA_SA_EEENS0_18inequality_wrapperIZN2at6native12_GLOBAL__N_124unique_dim_cuda_templateIdEESt5tupleIJNSH_6TensorESM_SM_EERKSM_lbbbEUlllE0_EEPmJS6_EEE10hipError_tPvRmT3_T4_T5_T6_T7_T9_mT8_P12ihipStream_tbDpT10_ENKUlT_T0_E_clISt17integral_constantIbLb0EES1B_IbLb1EEEEDaS17_S18_EUlS17_E_NS1_11comp_targetILNS1_3genE5ELNS1_11target_archE942ELNS1_3gpuE9ELNS1_3repE0EEENS1_30default_config_static_selectorELNS0_4arch9wavefront6targetE1EEEvT1_
    .private_segment_fixed_size: 0
    .sgpr_count:     4
    .sgpr_spill_count: 0
    .symbol:         _ZN7rocprim17ROCPRIM_400000_NS6detail17trampoline_kernelINS0_14default_configENS1_25partition_config_selectorILNS1_17partition_subalgoE8ElNS0_10empty_typeEbEEZZNS1_14partition_implILS5_8ELb0ES3_jPlPS6_PKS6_NS0_5tupleIJS9_S6_EEENSD_IJSA_SA_EEENS0_18inequality_wrapperIZN2at6native12_GLOBAL__N_124unique_dim_cuda_templateIdEESt5tupleIJNSH_6TensorESM_SM_EERKSM_lbbbEUlllE0_EEPmJS6_EEE10hipError_tPvRmT3_T4_T5_T6_T7_T9_mT8_P12ihipStream_tbDpT10_ENKUlT_T0_E_clISt17integral_constantIbLb0EES1B_IbLb1EEEEDaS17_S18_EUlS17_E_NS1_11comp_targetILNS1_3genE5ELNS1_11target_archE942ELNS1_3gpuE9ELNS1_3repE0EEENS1_30default_config_static_selectorELNS0_4arch9wavefront6targetE1EEEvT1_.kd
    .uniform_work_group_size: 1
    .uses_dynamic_stack: false
    .vgpr_count:     0
    .vgpr_spill_count: 0
    .wavefront_size: 64
  - .agpr_count:     0
    .args:
      - .offset:         0
        .size:           136
        .value_kind:     by_value
    .group_segment_fixed_size: 10252
    .kernarg_segment_align: 8
    .kernarg_segment_size: 136
    .language:       OpenCL C
    .language_version:
      - 2
      - 0
    .max_flat_workgroup_size: 256
    .name:           _ZN7rocprim17ROCPRIM_400000_NS6detail17trampoline_kernelINS0_14default_configENS1_25partition_config_selectorILNS1_17partition_subalgoE8ElNS0_10empty_typeEbEEZZNS1_14partition_implILS5_8ELb0ES3_jPlPS6_PKS6_NS0_5tupleIJS9_S6_EEENSD_IJSA_SA_EEENS0_18inequality_wrapperIZN2at6native12_GLOBAL__N_124unique_dim_cuda_templateIdEESt5tupleIJNSH_6TensorESM_SM_EERKSM_lbbbEUlllE0_EEPmJS6_EEE10hipError_tPvRmT3_T4_T5_T6_T7_T9_mT8_P12ihipStream_tbDpT10_ENKUlT_T0_E_clISt17integral_constantIbLb0EES1B_IbLb1EEEEDaS17_S18_EUlS17_E_NS1_11comp_targetILNS1_3genE4ELNS1_11target_archE910ELNS1_3gpuE8ELNS1_3repE0EEENS1_30default_config_static_selectorELNS0_4arch9wavefront6targetE1EEEvT1_
    .private_segment_fixed_size: 0
    .sgpr_count:     56
    .sgpr_spill_count: 0
    .symbol:         _ZN7rocprim17ROCPRIM_400000_NS6detail17trampoline_kernelINS0_14default_configENS1_25partition_config_selectorILNS1_17partition_subalgoE8ElNS0_10empty_typeEbEEZZNS1_14partition_implILS5_8ELb0ES3_jPlPS6_PKS6_NS0_5tupleIJS9_S6_EEENSD_IJSA_SA_EEENS0_18inequality_wrapperIZN2at6native12_GLOBAL__N_124unique_dim_cuda_templateIdEESt5tupleIJNSH_6TensorESM_SM_EERKSM_lbbbEUlllE0_EEPmJS6_EEE10hipError_tPvRmT3_T4_T5_T6_T7_T9_mT8_P12ihipStream_tbDpT10_ENKUlT_T0_E_clISt17integral_constantIbLb0EES1B_IbLb1EEEEDaS17_S18_EUlS17_E_NS1_11comp_targetILNS1_3genE4ELNS1_11target_archE910ELNS1_3gpuE8ELNS1_3repE0EEENS1_30default_config_static_selectorELNS0_4arch9wavefront6targetE1EEEvT1_.kd
    .uniform_work_group_size: 1
    .uses_dynamic_stack: false
    .vgpr_count:     46
    .vgpr_spill_count: 0
    .wavefront_size: 64
  - .agpr_count:     0
    .args:
      - .offset:         0
        .size:           136
        .value_kind:     by_value
    .group_segment_fixed_size: 0
    .kernarg_segment_align: 8
    .kernarg_segment_size: 136
    .language:       OpenCL C
    .language_version:
      - 2
      - 0
    .max_flat_workgroup_size: 512
    .name:           _ZN7rocprim17ROCPRIM_400000_NS6detail17trampoline_kernelINS0_14default_configENS1_25partition_config_selectorILNS1_17partition_subalgoE8ElNS0_10empty_typeEbEEZZNS1_14partition_implILS5_8ELb0ES3_jPlPS6_PKS6_NS0_5tupleIJS9_S6_EEENSD_IJSA_SA_EEENS0_18inequality_wrapperIZN2at6native12_GLOBAL__N_124unique_dim_cuda_templateIdEESt5tupleIJNSH_6TensorESM_SM_EERKSM_lbbbEUlllE0_EEPmJS6_EEE10hipError_tPvRmT3_T4_T5_T6_T7_T9_mT8_P12ihipStream_tbDpT10_ENKUlT_T0_E_clISt17integral_constantIbLb0EES1B_IbLb1EEEEDaS17_S18_EUlS17_E_NS1_11comp_targetILNS1_3genE3ELNS1_11target_archE908ELNS1_3gpuE7ELNS1_3repE0EEENS1_30default_config_static_selectorELNS0_4arch9wavefront6targetE1EEEvT1_
    .private_segment_fixed_size: 0
    .sgpr_count:     4
    .sgpr_spill_count: 0
    .symbol:         _ZN7rocprim17ROCPRIM_400000_NS6detail17trampoline_kernelINS0_14default_configENS1_25partition_config_selectorILNS1_17partition_subalgoE8ElNS0_10empty_typeEbEEZZNS1_14partition_implILS5_8ELb0ES3_jPlPS6_PKS6_NS0_5tupleIJS9_S6_EEENSD_IJSA_SA_EEENS0_18inequality_wrapperIZN2at6native12_GLOBAL__N_124unique_dim_cuda_templateIdEESt5tupleIJNSH_6TensorESM_SM_EERKSM_lbbbEUlllE0_EEPmJS6_EEE10hipError_tPvRmT3_T4_T5_T6_T7_T9_mT8_P12ihipStream_tbDpT10_ENKUlT_T0_E_clISt17integral_constantIbLb0EES1B_IbLb1EEEEDaS17_S18_EUlS17_E_NS1_11comp_targetILNS1_3genE3ELNS1_11target_archE908ELNS1_3gpuE7ELNS1_3repE0EEENS1_30default_config_static_selectorELNS0_4arch9wavefront6targetE1EEEvT1_.kd
    .uniform_work_group_size: 1
    .uses_dynamic_stack: false
    .vgpr_count:     0
    .vgpr_spill_count: 0
    .wavefront_size: 64
  - .agpr_count:     0
    .args:
      - .offset:         0
        .size:           136
        .value_kind:     by_value
    .group_segment_fixed_size: 0
    .kernarg_segment_align: 8
    .kernarg_segment_size: 136
    .language:       OpenCL C
    .language_version:
      - 2
      - 0
    .max_flat_workgroup_size: 256
    .name:           _ZN7rocprim17ROCPRIM_400000_NS6detail17trampoline_kernelINS0_14default_configENS1_25partition_config_selectorILNS1_17partition_subalgoE8ElNS0_10empty_typeEbEEZZNS1_14partition_implILS5_8ELb0ES3_jPlPS6_PKS6_NS0_5tupleIJS9_S6_EEENSD_IJSA_SA_EEENS0_18inequality_wrapperIZN2at6native12_GLOBAL__N_124unique_dim_cuda_templateIdEESt5tupleIJNSH_6TensorESM_SM_EERKSM_lbbbEUlllE0_EEPmJS6_EEE10hipError_tPvRmT3_T4_T5_T6_T7_T9_mT8_P12ihipStream_tbDpT10_ENKUlT_T0_E_clISt17integral_constantIbLb0EES1B_IbLb1EEEEDaS17_S18_EUlS17_E_NS1_11comp_targetILNS1_3genE2ELNS1_11target_archE906ELNS1_3gpuE6ELNS1_3repE0EEENS1_30default_config_static_selectorELNS0_4arch9wavefront6targetE1EEEvT1_
    .private_segment_fixed_size: 0
    .sgpr_count:     4
    .sgpr_spill_count: 0
    .symbol:         _ZN7rocprim17ROCPRIM_400000_NS6detail17trampoline_kernelINS0_14default_configENS1_25partition_config_selectorILNS1_17partition_subalgoE8ElNS0_10empty_typeEbEEZZNS1_14partition_implILS5_8ELb0ES3_jPlPS6_PKS6_NS0_5tupleIJS9_S6_EEENSD_IJSA_SA_EEENS0_18inequality_wrapperIZN2at6native12_GLOBAL__N_124unique_dim_cuda_templateIdEESt5tupleIJNSH_6TensorESM_SM_EERKSM_lbbbEUlllE0_EEPmJS6_EEE10hipError_tPvRmT3_T4_T5_T6_T7_T9_mT8_P12ihipStream_tbDpT10_ENKUlT_T0_E_clISt17integral_constantIbLb0EES1B_IbLb1EEEEDaS17_S18_EUlS17_E_NS1_11comp_targetILNS1_3genE2ELNS1_11target_archE906ELNS1_3gpuE6ELNS1_3repE0EEENS1_30default_config_static_selectorELNS0_4arch9wavefront6targetE1EEEvT1_.kd
    .uniform_work_group_size: 1
    .uses_dynamic_stack: false
    .vgpr_count:     0
    .vgpr_spill_count: 0
    .wavefront_size: 64
  - .agpr_count:     0
    .args:
      - .offset:         0
        .size:           136
        .value_kind:     by_value
    .group_segment_fixed_size: 0
    .kernarg_segment_align: 8
    .kernarg_segment_size: 136
    .language:       OpenCL C
    .language_version:
      - 2
      - 0
    .max_flat_workgroup_size: 384
    .name:           _ZN7rocprim17ROCPRIM_400000_NS6detail17trampoline_kernelINS0_14default_configENS1_25partition_config_selectorILNS1_17partition_subalgoE8ElNS0_10empty_typeEbEEZZNS1_14partition_implILS5_8ELb0ES3_jPlPS6_PKS6_NS0_5tupleIJS9_S6_EEENSD_IJSA_SA_EEENS0_18inequality_wrapperIZN2at6native12_GLOBAL__N_124unique_dim_cuda_templateIdEESt5tupleIJNSH_6TensorESM_SM_EERKSM_lbbbEUlllE0_EEPmJS6_EEE10hipError_tPvRmT3_T4_T5_T6_T7_T9_mT8_P12ihipStream_tbDpT10_ENKUlT_T0_E_clISt17integral_constantIbLb0EES1B_IbLb1EEEEDaS17_S18_EUlS17_E_NS1_11comp_targetILNS1_3genE10ELNS1_11target_archE1200ELNS1_3gpuE4ELNS1_3repE0EEENS1_30default_config_static_selectorELNS0_4arch9wavefront6targetE1EEEvT1_
    .private_segment_fixed_size: 0
    .sgpr_count:     4
    .sgpr_spill_count: 0
    .symbol:         _ZN7rocprim17ROCPRIM_400000_NS6detail17trampoline_kernelINS0_14default_configENS1_25partition_config_selectorILNS1_17partition_subalgoE8ElNS0_10empty_typeEbEEZZNS1_14partition_implILS5_8ELb0ES3_jPlPS6_PKS6_NS0_5tupleIJS9_S6_EEENSD_IJSA_SA_EEENS0_18inequality_wrapperIZN2at6native12_GLOBAL__N_124unique_dim_cuda_templateIdEESt5tupleIJNSH_6TensorESM_SM_EERKSM_lbbbEUlllE0_EEPmJS6_EEE10hipError_tPvRmT3_T4_T5_T6_T7_T9_mT8_P12ihipStream_tbDpT10_ENKUlT_T0_E_clISt17integral_constantIbLb0EES1B_IbLb1EEEEDaS17_S18_EUlS17_E_NS1_11comp_targetILNS1_3genE10ELNS1_11target_archE1200ELNS1_3gpuE4ELNS1_3repE0EEENS1_30default_config_static_selectorELNS0_4arch9wavefront6targetE1EEEvT1_.kd
    .uniform_work_group_size: 1
    .uses_dynamic_stack: false
    .vgpr_count:     0
    .vgpr_spill_count: 0
    .wavefront_size: 64
  - .agpr_count:     0
    .args:
      - .offset:         0
        .size:           136
        .value_kind:     by_value
    .group_segment_fixed_size: 0
    .kernarg_segment_align: 8
    .kernarg_segment_size: 136
    .language:       OpenCL C
    .language_version:
      - 2
      - 0
    .max_flat_workgroup_size: 512
    .name:           _ZN7rocprim17ROCPRIM_400000_NS6detail17trampoline_kernelINS0_14default_configENS1_25partition_config_selectorILNS1_17partition_subalgoE8ElNS0_10empty_typeEbEEZZNS1_14partition_implILS5_8ELb0ES3_jPlPS6_PKS6_NS0_5tupleIJS9_S6_EEENSD_IJSA_SA_EEENS0_18inequality_wrapperIZN2at6native12_GLOBAL__N_124unique_dim_cuda_templateIdEESt5tupleIJNSH_6TensorESM_SM_EERKSM_lbbbEUlllE0_EEPmJS6_EEE10hipError_tPvRmT3_T4_T5_T6_T7_T9_mT8_P12ihipStream_tbDpT10_ENKUlT_T0_E_clISt17integral_constantIbLb0EES1B_IbLb1EEEEDaS17_S18_EUlS17_E_NS1_11comp_targetILNS1_3genE9ELNS1_11target_archE1100ELNS1_3gpuE3ELNS1_3repE0EEENS1_30default_config_static_selectorELNS0_4arch9wavefront6targetE1EEEvT1_
    .private_segment_fixed_size: 0
    .sgpr_count:     4
    .sgpr_spill_count: 0
    .symbol:         _ZN7rocprim17ROCPRIM_400000_NS6detail17trampoline_kernelINS0_14default_configENS1_25partition_config_selectorILNS1_17partition_subalgoE8ElNS0_10empty_typeEbEEZZNS1_14partition_implILS5_8ELb0ES3_jPlPS6_PKS6_NS0_5tupleIJS9_S6_EEENSD_IJSA_SA_EEENS0_18inequality_wrapperIZN2at6native12_GLOBAL__N_124unique_dim_cuda_templateIdEESt5tupleIJNSH_6TensorESM_SM_EERKSM_lbbbEUlllE0_EEPmJS6_EEE10hipError_tPvRmT3_T4_T5_T6_T7_T9_mT8_P12ihipStream_tbDpT10_ENKUlT_T0_E_clISt17integral_constantIbLb0EES1B_IbLb1EEEEDaS17_S18_EUlS17_E_NS1_11comp_targetILNS1_3genE9ELNS1_11target_archE1100ELNS1_3gpuE3ELNS1_3repE0EEENS1_30default_config_static_selectorELNS0_4arch9wavefront6targetE1EEEvT1_.kd
    .uniform_work_group_size: 1
    .uses_dynamic_stack: false
    .vgpr_count:     0
    .vgpr_spill_count: 0
    .wavefront_size: 64
  - .agpr_count:     0
    .args:
      - .offset:         0
        .size:           136
        .value_kind:     by_value
    .group_segment_fixed_size: 0
    .kernarg_segment_align: 8
    .kernarg_segment_size: 136
    .language:       OpenCL C
    .language_version:
      - 2
      - 0
    .max_flat_workgroup_size: 512
    .name:           _ZN7rocprim17ROCPRIM_400000_NS6detail17trampoline_kernelINS0_14default_configENS1_25partition_config_selectorILNS1_17partition_subalgoE8ElNS0_10empty_typeEbEEZZNS1_14partition_implILS5_8ELb0ES3_jPlPS6_PKS6_NS0_5tupleIJS9_S6_EEENSD_IJSA_SA_EEENS0_18inequality_wrapperIZN2at6native12_GLOBAL__N_124unique_dim_cuda_templateIdEESt5tupleIJNSH_6TensorESM_SM_EERKSM_lbbbEUlllE0_EEPmJS6_EEE10hipError_tPvRmT3_T4_T5_T6_T7_T9_mT8_P12ihipStream_tbDpT10_ENKUlT_T0_E_clISt17integral_constantIbLb0EES1B_IbLb1EEEEDaS17_S18_EUlS17_E_NS1_11comp_targetILNS1_3genE8ELNS1_11target_archE1030ELNS1_3gpuE2ELNS1_3repE0EEENS1_30default_config_static_selectorELNS0_4arch9wavefront6targetE1EEEvT1_
    .private_segment_fixed_size: 0
    .sgpr_count:     4
    .sgpr_spill_count: 0
    .symbol:         _ZN7rocprim17ROCPRIM_400000_NS6detail17trampoline_kernelINS0_14default_configENS1_25partition_config_selectorILNS1_17partition_subalgoE8ElNS0_10empty_typeEbEEZZNS1_14partition_implILS5_8ELb0ES3_jPlPS6_PKS6_NS0_5tupleIJS9_S6_EEENSD_IJSA_SA_EEENS0_18inequality_wrapperIZN2at6native12_GLOBAL__N_124unique_dim_cuda_templateIdEESt5tupleIJNSH_6TensorESM_SM_EERKSM_lbbbEUlllE0_EEPmJS6_EEE10hipError_tPvRmT3_T4_T5_T6_T7_T9_mT8_P12ihipStream_tbDpT10_ENKUlT_T0_E_clISt17integral_constantIbLb0EES1B_IbLb1EEEEDaS17_S18_EUlS17_E_NS1_11comp_targetILNS1_3genE8ELNS1_11target_archE1030ELNS1_3gpuE2ELNS1_3repE0EEENS1_30default_config_static_selectorELNS0_4arch9wavefront6targetE1EEEvT1_.kd
    .uniform_work_group_size: 1
    .uses_dynamic_stack: false
    .vgpr_count:     0
    .vgpr_spill_count: 0
    .wavefront_size: 64
  - .agpr_count:     0
    .args:
      - .offset:         0
        .size:           120
        .value_kind:     by_value
    .group_segment_fixed_size: 0
    .kernarg_segment_align: 8
    .kernarg_segment_size: 120
    .language:       OpenCL C
    .language_version:
      - 2
      - 0
    .max_flat_workgroup_size: 128
    .name:           _ZN7rocprim17ROCPRIM_400000_NS6detail17trampoline_kernelINS0_14default_configENS1_25partition_config_selectorILNS1_17partition_subalgoE9EllbEEZZNS1_14partition_implILS5_9ELb0ES3_jPlS8_PNS0_10empty_typeENS0_5tupleIJS8_S9_EEENSB_IJS8_SA_EEENS0_18inequality_wrapperIZN2at6native12_GLOBAL__N_124unique_dim_cuda_templateIdEESt5tupleIJNSF_6TensorESK_SK_EERKSK_lbbbEUlllE0_EEPmJS9_EEE10hipError_tPvRmT3_T4_T5_T6_T7_T9_mT8_P12ihipStream_tbDpT10_ENKUlT_T0_E_clISt17integral_constantIbLb0EES1A_EEDaS15_S16_EUlS15_E_NS1_11comp_targetILNS1_3genE0ELNS1_11target_archE4294967295ELNS1_3gpuE0ELNS1_3repE0EEENS1_30default_config_static_selectorELNS0_4arch9wavefront6targetE1EEEvT1_
    .private_segment_fixed_size: 0
    .sgpr_count:     4
    .sgpr_spill_count: 0
    .symbol:         _ZN7rocprim17ROCPRIM_400000_NS6detail17trampoline_kernelINS0_14default_configENS1_25partition_config_selectorILNS1_17partition_subalgoE9EllbEEZZNS1_14partition_implILS5_9ELb0ES3_jPlS8_PNS0_10empty_typeENS0_5tupleIJS8_S9_EEENSB_IJS8_SA_EEENS0_18inequality_wrapperIZN2at6native12_GLOBAL__N_124unique_dim_cuda_templateIdEESt5tupleIJNSF_6TensorESK_SK_EERKSK_lbbbEUlllE0_EEPmJS9_EEE10hipError_tPvRmT3_T4_T5_T6_T7_T9_mT8_P12ihipStream_tbDpT10_ENKUlT_T0_E_clISt17integral_constantIbLb0EES1A_EEDaS15_S16_EUlS15_E_NS1_11comp_targetILNS1_3genE0ELNS1_11target_archE4294967295ELNS1_3gpuE0ELNS1_3repE0EEENS1_30default_config_static_selectorELNS0_4arch9wavefront6targetE1EEEvT1_.kd
    .uniform_work_group_size: 1
    .uses_dynamic_stack: false
    .vgpr_count:     0
    .vgpr_spill_count: 0
    .wavefront_size: 64
  - .agpr_count:     0
    .args:
      - .offset:         0
        .size:           120
        .value_kind:     by_value
    .group_segment_fixed_size: 0
    .kernarg_segment_align: 8
    .kernarg_segment_size: 120
    .language:       OpenCL C
    .language_version:
      - 2
      - 0
    .max_flat_workgroup_size: 512
    .name:           _ZN7rocprim17ROCPRIM_400000_NS6detail17trampoline_kernelINS0_14default_configENS1_25partition_config_selectorILNS1_17partition_subalgoE9EllbEEZZNS1_14partition_implILS5_9ELb0ES3_jPlS8_PNS0_10empty_typeENS0_5tupleIJS8_S9_EEENSB_IJS8_SA_EEENS0_18inequality_wrapperIZN2at6native12_GLOBAL__N_124unique_dim_cuda_templateIdEESt5tupleIJNSF_6TensorESK_SK_EERKSK_lbbbEUlllE0_EEPmJS9_EEE10hipError_tPvRmT3_T4_T5_T6_T7_T9_mT8_P12ihipStream_tbDpT10_ENKUlT_T0_E_clISt17integral_constantIbLb0EES1A_EEDaS15_S16_EUlS15_E_NS1_11comp_targetILNS1_3genE5ELNS1_11target_archE942ELNS1_3gpuE9ELNS1_3repE0EEENS1_30default_config_static_selectorELNS0_4arch9wavefront6targetE1EEEvT1_
    .private_segment_fixed_size: 0
    .sgpr_count:     4
    .sgpr_spill_count: 0
    .symbol:         _ZN7rocprim17ROCPRIM_400000_NS6detail17trampoline_kernelINS0_14default_configENS1_25partition_config_selectorILNS1_17partition_subalgoE9EllbEEZZNS1_14partition_implILS5_9ELb0ES3_jPlS8_PNS0_10empty_typeENS0_5tupleIJS8_S9_EEENSB_IJS8_SA_EEENS0_18inequality_wrapperIZN2at6native12_GLOBAL__N_124unique_dim_cuda_templateIdEESt5tupleIJNSF_6TensorESK_SK_EERKSK_lbbbEUlllE0_EEPmJS9_EEE10hipError_tPvRmT3_T4_T5_T6_T7_T9_mT8_P12ihipStream_tbDpT10_ENKUlT_T0_E_clISt17integral_constantIbLb0EES1A_EEDaS15_S16_EUlS15_E_NS1_11comp_targetILNS1_3genE5ELNS1_11target_archE942ELNS1_3gpuE9ELNS1_3repE0EEENS1_30default_config_static_selectorELNS0_4arch9wavefront6targetE1EEEvT1_.kd
    .uniform_work_group_size: 1
    .uses_dynamic_stack: false
    .vgpr_count:     0
    .vgpr_spill_count: 0
    .wavefront_size: 64
  - .agpr_count:     0
    .args:
      - .offset:         0
        .size:           120
        .value_kind:     by_value
    .group_segment_fixed_size: 4236
    .kernarg_segment_align: 8
    .kernarg_segment_size: 120
    .language:       OpenCL C
    .language_version:
      - 2
      - 0
    .max_flat_workgroup_size: 128
    .name:           _ZN7rocprim17ROCPRIM_400000_NS6detail17trampoline_kernelINS0_14default_configENS1_25partition_config_selectorILNS1_17partition_subalgoE9EllbEEZZNS1_14partition_implILS5_9ELb0ES3_jPlS8_PNS0_10empty_typeENS0_5tupleIJS8_S9_EEENSB_IJS8_SA_EEENS0_18inequality_wrapperIZN2at6native12_GLOBAL__N_124unique_dim_cuda_templateIdEESt5tupleIJNSF_6TensorESK_SK_EERKSK_lbbbEUlllE0_EEPmJS9_EEE10hipError_tPvRmT3_T4_T5_T6_T7_T9_mT8_P12ihipStream_tbDpT10_ENKUlT_T0_E_clISt17integral_constantIbLb0EES1A_EEDaS15_S16_EUlS15_E_NS1_11comp_targetILNS1_3genE4ELNS1_11target_archE910ELNS1_3gpuE8ELNS1_3repE0EEENS1_30default_config_static_selectorELNS0_4arch9wavefront6targetE1EEEvT1_
    .private_segment_fixed_size: 0
    .sgpr_count:     50
    .sgpr_spill_count: 0
    .symbol:         _ZN7rocprim17ROCPRIM_400000_NS6detail17trampoline_kernelINS0_14default_configENS1_25partition_config_selectorILNS1_17partition_subalgoE9EllbEEZZNS1_14partition_implILS5_9ELb0ES3_jPlS8_PNS0_10empty_typeENS0_5tupleIJS8_S9_EEENSB_IJS8_SA_EEENS0_18inequality_wrapperIZN2at6native12_GLOBAL__N_124unique_dim_cuda_templateIdEESt5tupleIJNSF_6TensorESK_SK_EERKSK_lbbbEUlllE0_EEPmJS9_EEE10hipError_tPvRmT3_T4_T5_T6_T7_T9_mT8_P12ihipStream_tbDpT10_ENKUlT_T0_E_clISt17integral_constantIbLb0EES1A_EEDaS15_S16_EUlS15_E_NS1_11comp_targetILNS1_3genE4ELNS1_11target_archE910ELNS1_3gpuE8ELNS1_3repE0EEENS1_30default_config_static_selectorELNS0_4arch9wavefront6targetE1EEEvT1_.kd
    .uniform_work_group_size: 1
    .uses_dynamic_stack: false
    .vgpr_count:     50
    .vgpr_spill_count: 0
    .wavefront_size: 64
  - .agpr_count:     0
    .args:
      - .offset:         0
        .size:           120
        .value_kind:     by_value
    .group_segment_fixed_size: 0
    .kernarg_segment_align: 8
    .kernarg_segment_size: 120
    .language:       OpenCL C
    .language_version:
      - 2
      - 0
    .max_flat_workgroup_size: 128
    .name:           _ZN7rocprim17ROCPRIM_400000_NS6detail17trampoline_kernelINS0_14default_configENS1_25partition_config_selectorILNS1_17partition_subalgoE9EllbEEZZNS1_14partition_implILS5_9ELb0ES3_jPlS8_PNS0_10empty_typeENS0_5tupleIJS8_S9_EEENSB_IJS8_SA_EEENS0_18inequality_wrapperIZN2at6native12_GLOBAL__N_124unique_dim_cuda_templateIdEESt5tupleIJNSF_6TensorESK_SK_EERKSK_lbbbEUlllE0_EEPmJS9_EEE10hipError_tPvRmT3_T4_T5_T6_T7_T9_mT8_P12ihipStream_tbDpT10_ENKUlT_T0_E_clISt17integral_constantIbLb0EES1A_EEDaS15_S16_EUlS15_E_NS1_11comp_targetILNS1_3genE3ELNS1_11target_archE908ELNS1_3gpuE7ELNS1_3repE0EEENS1_30default_config_static_selectorELNS0_4arch9wavefront6targetE1EEEvT1_
    .private_segment_fixed_size: 0
    .sgpr_count:     4
    .sgpr_spill_count: 0
    .symbol:         _ZN7rocprim17ROCPRIM_400000_NS6detail17trampoline_kernelINS0_14default_configENS1_25partition_config_selectorILNS1_17partition_subalgoE9EllbEEZZNS1_14partition_implILS5_9ELb0ES3_jPlS8_PNS0_10empty_typeENS0_5tupleIJS8_S9_EEENSB_IJS8_SA_EEENS0_18inequality_wrapperIZN2at6native12_GLOBAL__N_124unique_dim_cuda_templateIdEESt5tupleIJNSF_6TensorESK_SK_EERKSK_lbbbEUlllE0_EEPmJS9_EEE10hipError_tPvRmT3_T4_T5_T6_T7_T9_mT8_P12ihipStream_tbDpT10_ENKUlT_T0_E_clISt17integral_constantIbLb0EES1A_EEDaS15_S16_EUlS15_E_NS1_11comp_targetILNS1_3genE3ELNS1_11target_archE908ELNS1_3gpuE7ELNS1_3repE0EEENS1_30default_config_static_selectorELNS0_4arch9wavefront6targetE1EEEvT1_.kd
    .uniform_work_group_size: 1
    .uses_dynamic_stack: false
    .vgpr_count:     0
    .vgpr_spill_count: 0
    .wavefront_size: 64
  - .agpr_count:     0
    .args:
      - .offset:         0
        .size:           120
        .value_kind:     by_value
    .group_segment_fixed_size: 0
    .kernarg_segment_align: 8
    .kernarg_segment_size: 120
    .language:       OpenCL C
    .language_version:
      - 2
      - 0
    .max_flat_workgroup_size: 192
    .name:           _ZN7rocprim17ROCPRIM_400000_NS6detail17trampoline_kernelINS0_14default_configENS1_25partition_config_selectorILNS1_17partition_subalgoE9EllbEEZZNS1_14partition_implILS5_9ELb0ES3_jPlS8_PNS0_10empty_typeENS0_5tupleIJS8_S9_EEENSB_IJS8_SA_EEENS0_18inequality_wrapperIZN2at6native12_GLOBAL__N_124unique_dim_cuda_templateIdEESt5tupleIJNSF_6TensorESK_SK_EERKSK_lbbbEUlllE0_EEPmJS9_EEE10hipError_tPvRmT3_T4_T5_T6_T7_T9_mT8_P12ihipStream_tbDpT10_ENKUlT_T0_E_clISt17integral_constantIbLb0EES1A_EEDaS15_S16_EUlS15_E_NS1_11comp_targetILNS1_3genE2ELNS1_11target_archE906ELNS1_3gpuE6ELNS1_3repE0EEENS1_30default_config_static_selectorELNS0_4arch9wavefront6targetE1EEEvT1_
    .private_segment_fixed_size: 0
    .sgpr_count:     4
    .sgpr_spill_count: 0
    .symbol:         _ZN7rocprim17ROCPRIM_400000_NS6detail17trampoline_kernelINS0_14default_configENS1_25partition_config_selectorILNS1_17partition_subalgoE9EllbEEZZNS1_14partition_implILS5_9ELb0ES3_jPlS8_PNS0_10empty_typeENS0_5tupleIJS8_S9_EEENSB_IJS8_SA_EEENS0_18inequality_wrapperIZN2at6native12_GLOBAL__N_124unique_dim_cuda_templateIdEESt5tupleIJNSF_6TensorESK_SK_EERKSK_lbbbEUlllE0_EEPmJS9_EEE10hipError_tPvRmT3_T4_T5_T6_T7_T9_mT8_P12ihipStream_tbDpT10_ENKUlT_T0_E_clISt17integral_constantIbLb0EES1A_EEDaS15_S16_EUlS15_E_NS1_11comp_targetILNS1_3genE2ELNS1_11target_archE906ELNS1_3gpuE6ELNS1_3repE0EEENS1_30default_config_static_selectorELNS0_4arch9wavefront6targetE1EEEvT1_.kd
    .uniform_work_group_size: 1
    .uses_dynamic_stack: false
    .vgpr_count:     0
    .vgpr_spill_count: 0
    .wavefront_size: 64
  - .agpr_count:     0
    .args:
      - .offset:         0
        .size:           120
        .value_kind:     by_value
    .group_segment_fixed_size: 0
    .kernarg_segment_align: 8
    .kernarg_segment_size: 120
    .language:       OpenCL C
    .language_version:
      - 2
      - 0
    .max_flat_workgroup_size: 384
    .name:           _ZN7rocprim17ROCPRIM_400000_NS6detail17trampoline_kernelINS0_14default_configENS1_25partition_config_selectorILNS1_17partition_subalgoE9EllbEEZZNS1_14partition_implILS5_9ELb0ES3_jPlS8_PNS0_10empty_typeENS0_5tupleIJS8_S9_EEENSB_IJS8_SA_EEENS0_18inequality_wrapperIZN2at6native12_GLOBAL__N_124unique_dim_cuda_templateIdEESt5tupleIJNSF_6TensorESK_SK_EERKSK_lbbbEUlllE0_EEPmJS9_EEE10hipError_tPvRmT3_T4_T5_T6_T7_T9_mT8_P12ihipStream_tbDpT10_ENKUlT_T0_E_clISt17integral_constantIbLb0EES1A_EEDaS15_S16_EUlS15_E_NS1_11comp_targetILNS1_3genE10ELNS1_11target_archE1200ELNS1_3gpuE4ELNS1_3repE0EEENS1_30default_config_static_selectorELNS0_4arch9wavefront6targetE1EEEvT1_
    .private_segment_fixed_size: 0
    .sgpr_count:     4
    .sgpr_spill_count: 0
    .symbol:         _ZN7rocprim17ROCPRIM_400000_NS6detail17trampoline_kernelINS0_14default_configENS1_25partition_config_selectorILNS1_17partition_subalgoE9EllbEEZZNS1_14partition_implILS5_9ELb0ES3_jPlS8_PNS0_10empty_typeENS0_5tupleIJS8_S9_EEENSB_IJS8_SA_EEENS0_18inequality_wrapperIZN2at6native12_GLOBAL__N_124unique_dim_cuda_templateIdEESt5tupleIJNSF_6TensorESK_SK_EERKSK_lbbbEUlllE0_EEPmJS9_EEE10hipError_tPvRmT3_T4_T5_T6_T7_T9_mT8_P12ihipStream_tbDpT10_ENKUlT_T0_E_clISt17integral_constantIbLb0EES1A_EEDaS15_S16_EUlS15_E_NS1_11comp_targetILNS1_3genE10ELNS1_11target_archE1200ELNS1_3gpuE4ELNS1_3repE0EEENS1_30default_config_static_selectorELNS0_4arch9wavefront6targetE1EEEvT1_.kd
    .uniform_work_group_size: 1
    .uses_dynamic_stack: false
    .vgpr_count:     0
    .vgpr_spill_count: 0
    .wavefront_size: 64
  - .agpr_count:     0
    .args:
      - .offset:         0
        .size:           120
        .value_kind:     by_value
    .group_segment_fixed_size: 0
    .kernarg_segment_align: 8
    .kernarg_segment_size: 120
    .language:       OpenCL C
    .language_version:
      - 2
      - 0
    .max_flat_workgroup_size: 512
    .name:           _ZN7rocprim17ROCPRIM_400000_NS6detail17trampoline_kernelINS0_14default_configENS1_25partition_config_selectorILNS1_17partition_subalgoE9EllbEEZZNS1_14partition_implILS5_9ELb0ES3_jPlS8_PNS0_10empty_typeENS0_5tupleIJS8_S9_EEENSB_IJS8_SA_EEENS0_18inequality_wrapperIZN2at6native12_GLOBAL__N_124unique_dim_cuda_templateIdEESt5tupleIJNSF_6TensorESK_SK_EERKSK_lbbbEUlllE0_EEPmJS9_EEE10hipError_tPvRmT3_T4_T5_T6_T7_T9_mT8_P12ihipStream_tbDpT10_ENKUlT_T0_E_clISt17integral_constantIbLb0EES1A_EEDaS15_S16_EUlS15_E_NS1_11comp_targetILNS1_3genE9ELNS1_11target_archE1100ELNS1_3gpuE3ELNS1_3repE0EEENS1_30default_config_static_selectorELNS0_4arch9wavefront6targetE1EEEvT1_
    .private_segment_fixed_size: 0
    .sgpr_count:     4
    .sgpr_spill_count: 0
    .symbol:         _ZN7rocprim17ROCPRIM_400000_NS6detail17trampoline_kernelINS0_14default_configENS1_25partition_config_selectorILNS1_17partition_subalgoE9EllbEEZZNS1_14partition_implILS5_9ELb0ES3_jPlS8_PNS0_10empty_typeENS0_5tupleIJS8_S9_EEENSB_IJS8_SA_EEENS0_18inequality_wrapperIZN2at6native12_GLOBAL__N_124unique_dim_cuda_templateIdEESt5tupleIJNSF_6TensorESK_SK_EERKSK_lbbbEUlllE0_EEPmJS9_EEE10hipError_tPvRmT3_T4_T5_T6_T7_T9_mT8_P12ihipStream_tbDpT10_ENKUlT_T0_E_clISt17integral_constantIbLb0EES1A_EEDaS15_S16_EUlS15_E_NS1_11comp_targetILNS1_3genE9ELNS1_11target_archE1100ELNS1_3gpuE3ELNS1_3repE0EEENS1_30default_config_static_selectorELNS0_4arch9wavefront6targetE1EEEvT1_.kd
    .uniform_work_group_size: 1
    .uses_dynamic_stack: false
    .vgpr_count:     0
    .vgpr_spill_count: 0
    .wavefront_size: 64
  - .agpr_count:     0
    .args:
      - .offset:         0
        .size:           120
        .value_kind:     by_value
    .group_segment_fixed_size: 0
    .kernarg_segment_align: 8
    .kernarg_segment_size: 120
    .language:       OpenCL C
    .language_version:
      - 2
      - 0
    .max_flat_workgroup_size: 512
    .name:           _ZN7rocprim17ROCPRIM_400000_NS6detail17trampoline_kernelINS0_14default_configENS1_25partition_config_selectorILNS1_17partition_subalgoE9EllbEEZZNS1_14partition_implILS5_9ELb0ES3_jPlS8_PNS0_10empty_typeENS0_5tupleIJS8_S9_EEENSB_IJS8_SA_EEENS0_18inequality_wrapperIZN2at6native12_GLOBAL__N_124unique_dim_cuda_templateIdEESt5tupleIJNSF_6TensorESK_SK_EERKSK_lbbbEUlllE0_EEPmJS9_EEE10hipError_tPvRmT3_T4_T5_T6_T7_T9_mT8_P12ihipStream_tbDpT10_ENKUlT_T0_E_clISt17integral_constantIbLb0EES1A_EEDaS15_S16_EUlS15_E_NS1_11comp_targetILNS1_3genE8ELNS1_11target_archE1030ELNS1_3gpuE2ELNS1_3repE0EEENS1_30default_config_static_selectorELNS0_4arch9wavefront6targetE1EEEvT1_
    .private_segment_fixed_size: 0
    .sgpr_count:     4
    .sgpr_spill_count: 0
    .symbol:         _ZN7rocprim17ROCPRIM_400000_NS6detail17trampoline_kernelINS0_14default_configENS1_25partition_config_selectorILNS1_17partition_subalgoE9EllbEEZZNS1_14partition_implILS5_9ELb0ES3_jPlS8_PNS0_10empty_typeENS0_5tupleIJS8_S9_EEENSB_IJS8_SA_EEENS0_18inequality_wrapperIZN2at6native12_GLOBAL__N_124unique_dim_cuda_templateIdEESt5tupleIJNSF_6TensorESK_SK_EERKSK_lbbbEUlllE0_EEPmJS9_EEE10hipError_tPvRmT3_T4_T5_T6_T7_T9_mT8_P12ihipStream_tbDpT10_ENKUlT_T0_E_clISt17integral_constantIbLb0EES1A_EEDaS15_S16_EUlS15_E_NS1_11comp_targetILNS1_3genE8ELNS1_11target_archE1030ELNS1_3gpuE2ELNS1_3repE0EEENS1_30default_config_static_selectorELNS0_4arch9wavefront6targetE1EEEvT1_.kd
    .uniform_work_group_size: 1
    .uses_dynamic_stack: false
    .vgpr_count:     0
    .vgpr_spill_count: 0
    .wavefront_size: 64
  - .agpr_count:     0
    .args:
      - .offset:         0
        .size:           136
        .value_kind:     by_value
    .group_segment_fixed_size: 0
    .kernarg_segment_align: 8
    .kernarg_segment_size: 136
    .language:       OpenCL C
    .language_version:
      - 2
      - 0
    .max_flat_workgroup_size: 128
    .name:           _ZN7rocprim17ROCPRIM_400000_NS6detail17trampoline_kernelINS0_14default_configENS1_25partition_config_selectorILNS1_17partition_subalgoE9EllbEEZZNS1_14partition_implILS5_9ELb0ES3_jPlS8_PNS0_10empty_typeENS0_5tupleIJS8_S9_EEENSB_IJS8_SA_EEENS0_18inequality_wrapperIZN2at6native12_GLOBAL__N_124unique_dim_cuda_templateIdEESt5tupleIJNSF_6TensorESK_SK_EERKSK_lbbbEUlllE0_EEPmJS9_EEE10hipError_tPvRmT3_T4_T5_T6_T7_T9_mT8_P12ihipStream_tbDpT10_ENKUlT_T0_E_clISt17integral_constantIbLb1EES1A_EEDaS15_S16_EUlS15_E_NS1_11comp_targetILNS1_3genE0ELNS1_11target_archE4294967295ELNS1_3gpuE0ELNS1_3repE0EEENS1_30default_config_static_selectorELNS0_4arch9wavefront6targetE1EEEvT1_
    .private_segment_fixed_size: 0
    .sgpr_count:     4
    .sgpr_spill_count: 0
    .symbol:         _ZN7rocprim17ROCPRIM_400000_NS6detail17trampoline_kernelINS0_14default_configENS1_25partition_config_selectorILNS1_17partition_subalgoE9EllbEEZZNS1_14partition_implILS5_9ELb0ES3_jPlS8_PNS0_10empty_typeENS0_5tupleIJS8_S9_EEENSB_IJS8_SA_EEENS0_18inequality_wrapperIZN2at6native12_GLOBAL__N_124unique_dim_cuda_templateIdEESt5tupleIJNSF_6TensorESK_SK_EERKSK_lbbbEUlllE0_EEPmJS9_EEE10hipError_tPvRmT3_T4_T5_T6_T7_T9_mT8_P12ihipStream_tbDpT10_ENKUlT_T0_E_clISt17integral_constantIbLb1EES1A_EEDaS15_S16_EUlS15_E_NS1_11comp_targetILNS1_3genE0ELNS1_11target_archE4294967295ELNS1_3gpuE0ELNS1_3repE0EEENS1_30default_config_static_selectorELNS0_4arch9wavefront6targetE1EEEvT1_.kd
    .uniform_work_group_size: 1
    .uses_dynamic_stack: false
    .vgpr_count:     0
    .vgpr_spill_count: 0
    .wavefront_size: 64
  - .agpr_count:     0
    .args:
      - .offset:         0
        .size:           136
        .value_kind:     by_value
    .group_segment_fixed_size: 0
    .kernarg_segment_align: 8
    .kernarg_segment_size: 136
    .language:       OpenCL C
    .language_version:
      - 2
      - 0
    .max_flat_workgroup_size: 512
    .name:           _ZN7rocprim17ROCPRIM_400000_NS6detail17trampoline_kernelINS0_14default_configENS1_25partition_config_selectorILNS1_17partition_subalgoE9EllbEEZZNS1_14partition_implILS5_9ELb0ES3_jPlS8_PNS0_10empty_typeENS0_5tupleIJS8_S9_EEENSB_IJS8_SA_EEENS0_18inequality_wrapperIZN2at6native12_GLOBAL__N_124unique_dim_cuda_templateIdEESt5tupleIJNSF_6TensorESK_SK_EERKSK_lbbbEUlllE0_EEPmJS9_EEE10hipError_tPvRmT3_T4_T5_T6_T7_T9_mT8_P12ihipStream_tbDpT10_ENKUlT_T0_E_clISt17integral_constantIbLb1EES1A_EEDaS15_S16_EUlS15_E_NS1_11comp_targetILNS1_3genE5ELNS1_11target_archE942ELNS1_3gpuE9ELNS1_3repE0EEENS1_30default_config_static_selectorELNS0_4arch9wavefront6targetE1EEEvT1_
    .private_segment_fixed_size: 0
    .sgpr_count:     4
    .sgpr_spill_count: 0
    .symbol:         _ZN7rocprim17ROCPRIM_400000_NS6detail17trampoline_kernelINS0_14default_configENS1_25partition_config_selectorILNS1_17partition_subalgoE9EllbEEZZNS1_14partition_implILS5_9ELb0ES3_jPlS8_PNS0_10empty_typeENS0_5tupleIJS8_S9_EEENSB_IJS8_SA_EEENS0_18inequality_wrapperIZN2at6native12_GLOBAL__N_124unique_dim_cuda_templateIdEESt5tupleIJNSF_6TensorESK_SK_EERKSK_lbbbEUlllE0_EEPmJS9_EEE10hipError_tPvRmT3_T4_T5_T6_T7_T9_mT8_P12ihipStream_tbDpT10_ENKUlT_T0_E_clISt17integral_constantIbLb1EES1A_EEDaS15_S16_EUlS15_E_NS1_11comp_targetILNS1_3genE5ELNS1_11target_archE942ELNS1_3gpuE9ELNS1_3repE0EEENS1_30default_config_static_selectorELNS0_4arch9wavefront6targetE1EEEvT1_.kd
    .uniform_work_group_size: 1
    .uses_dynamic_stack: false
    .vgpr_count:     0
    .vgpr_spill_count: 0
    .wavefront_size: 64
  - .agpr_count:     0
    .args:
      - .offset:         0
        .size:           136
        .value_kind:     by_value
    .group_segment_fixed_size: 4236
    .kernarg_segment_align: 8
    .kernarg_segment_size: 136
    .language:       OpenCL C
    .language_version:
      - 2
      - 0
    .max_flat_workgroup_size: 128
    .name:           _ZN7rocprim17ROCPRIM_400000_NS6detail17trampoline_kernelINS0_14default_configENS1_25partition_config_selectorILNS1_17partition_subalgoE9EllbEEZZNS1_14partition_implILS5_9ELb0ES3_jPlS8_PNS0_10empty_typeENS0_5tupleIJS8_S9_EEENSB_IJS8_SA_EEENS0_18inequality_wrapperIZN2at6native12_GLOBAL__N_124unique_dim_cuda_templateIdEESt5tupleIJNSF_6TensorESK_SK_EERKSK_lbbbEUlllE0_EEPmJS9_EEE10hipError_tPvRmT3_T4_T5_T6_T7_T9_mT8_P12ihipStream_tbDpT10_ENKUlT_T0_E_clISt17integral_constantIbLb1EES1A_EEDaS15_S16_EUlS15_E_NS1_11comp_targetILNS1_3genE4ELNS1_11target_archE910ELNS1_3gpuE8ELNS1_3repE0EEENS1_30default_config_static_selectorELNS0_4arch9wavefront6targetE1EEEvT1_
    .private_segment_fixed_size: 0
    .sgpr_count:     56
    .sgpr_spill_count: 0
    .symbol:         _ZN7rocprim17ROCPRIM_400000_NS6detail17trampoline_kernelINS0_14default_configENS1_25partition_config_selectorILNS1_17partition_subalgoE9EllbEEZZNS1_14partition_implILS5_9ELb0ES3_jPlS8_PNS0_10empty_typeENS0_5tupleIJS8_S9_EEENSB_IJS8_SA_EEENS0_18inequality_wrapperIZN2at6native12_GLOBAL__N_124unique_dim_cuda_templateIdEESt5tupleIJNSF_6TensorESK_SK_EERKSK_lbbbEUlllE0_EEPmJS9_EEE10hipError_tPvRmT3_T4_T5_T6_T7_T9_mT8_P12ihipStream_tbDpT10_ENKUlT_T0_E_clISt17integral_constantIbLb1EES1A_EEDaS15_S16_EUlS15_E_NS1_11comp_targetILNS1_3genE4ELNS1_11target_archE910ELNS1_3gpuE8ELNS1_3repE0EEENS1_30default_config_static_selectorELNS0_4arch9wavefront6targetE1EEEvT1_.kd
    .uniform_work_group_size: 1
    .uses_dynamic_stack: false
    .vgpr_count:     50
    .vgpr_spill_count: 0
    .wavefront_size: 64
  - .agpr_count:     0
    .args:
      - .offset:         0
        .size:           136
        .value_kind:     by_value
    .group_segment_fixed_size: 0
    .kernarg_segment_align: 8
    .kernarg_segment_size: 136
    .language:       OpenCL C
    .language_version:
      - 2
      - 0
    .max_flat_workgroup_size: 128
    .name:           _ZN7rocprim17ROCPRIM_400000_NS6detail17trampoline_kernelINS0_14default_configENS1_25partition_config_selectorILNS1_17partition_subalgoE9EllbEEZZNS1_14partition_implILS5_9ELb0ES3_jPlS8_PNS0_10empty_typeENS0_5tupleIJS8_S9_EEENSB_IJS8_SA_EEENS0_18inequality_wrapperIZN2at6native12_GLOBAL__N_124unique_dim_cuda_templateIdEESt5tupleIJNSF_6TensorESK_SK_EERKSK_lbbbEUlllE0_EEPmJS9_EEE10hipError_tPvRmT3_T4_T5_T6_T7_T9_mT8_P12ihipStream_tbDpT10_ENKUlT_T0_E_clISt17integral_constantIbLb1EES1A_EEDaS15_S16_EUlS15_E_NS1_11comp_targetILNS1_3genE3ELNS1_11target_archE908ELNS1_3gpuE7ELNS1_3repE0EEENS1_30default_config_static_selectorELNS0_4arch9wavefront6targetE1EEEvT1_
    .private_segment_fixed_size: 0
    .sgpr_count:     4
    .sgpr_spill_count: 0
    .symbol:         _ZN7rocprim17ROCPRIM_400000_NS6detail17trampoline_kernelINS0_14default_configENS1_25partition_config_selectorILNS1_17partition_subalgoE9EllbEEZZNS1_14partition_implILS5_9ELb0ES3_jPlS8_PNS0_10empty_typeENS0_5tupleIJS8_S9_EEENSB_IJS8_SA_EEENS0_18inequality_wrapperIZN2at6native12_GLOBAL__N_124unique_dim_cuda_templateIdEESt5tupleIJNSF_6TensorESK_SK_EERKSK_lbbbEUlllE0_EEPmJS9_EEE10hipError_tPvRmT3_T4_T5_T6_T7_T9_mT8_P12ihipStream_tbDpT10_ENKUlT_T0_E_clISt17integral_constantIbLb1EES1A_EEDaS15_S16_EUlS15_E_NS1_11comp_targetILNS1_3genE3ELNS1_11target_archE908ELNS1_3gpuE7ELNS1_3repE0EEENS1_30default_config_static_selectorELNS0_4arch9wavefront6targetE1EEEvT1_.kd
    .uniform_work_group_size: 1
    .uses_dynamic_stack: false
    .vgpr_count:     0
    .vgpr_spill_count: 0
    .wavefront_size: 64
  - .agpr_count:     0
    .args:
      - .offset:         0
        .size:           136
        .value_kind:     by_value
    .group_segment_fixed_size: 0
    .kernarg_segment_align: 8
    .kernarg_segment_size: 136
    .language:       OpenCL C
    .language_version:
      - 2
      - 0
    .max_flat_workgroup_size: 192
    .name:           _ZN7rocprim17ROCPRIM_400000_NS6detail17trampoline_kernelINS0_14default_configENS1_25partition_config_selectorILNS1_17partition_subalgoE9EllbEEZZNS1_14partition_implILS5_9ELb0ES3_jPlS8_PNS0_10empty_typeENS0_5tupleIJS8_S9_EEENSB_IJS8_SA_EEENS0_18inequality_wrapperIZN2at6native12_GLOBAL__N_124unique_dim_cuda_templateIdEESt5tupleIJNSF_6TensorESK_SK_EERKSK_lbbbEUlllE0_EEPmJS9_EEE10hipError_tPvRmT3_T4_T5_T6_T7_T9_mT8_P12ihipStream_tbDpT10_ENKUlT_T0_E_clISt17integral_constantIbLb1EES1A_EEDaS15_S16_EUlS15_E_NS1_11comp_targetILNS1_3genE2ELNS1_11target_archE906ELNS1_3gpuE6ELNS1_3repE0EEENS1_30default_config_static_selectorELNS0_4arch9wavefront6targetE1EEEvT1_
    .private_segment_fixed_size: 0
    .sgpr_count:     4
    .sgpr_spill_count: 0
    .symbol:         _ZN7rocprim17ROCPRIM_400000_NS6detail17trampoline_kernelINS0_14default_configENS1_25partition_config_selectorILNS1_17partition_subalgoE9EllbEEZZNS1_14partition_implILS5_9ELb0ES3_jPlS8_PNS0_10empty_typeENS0_5tupleIJS8_S9_EEENSB_IJS8_SA_EEENS0_18inequality_wrapperIZN2at6native12_GLOBAL__N_124unique_dim_cuda_templateIdEESt5tupleIJNSF_6TensorESK_SK_EERKSK_lbbbEUlllE0_EEPmJS9_EEE10hipError_tPvRmT3_T4_T5_T6_T7_T9_mT8_P12ihipStream_tbDpT10_ENKUlT_T0_E_clISt17integral_constantIbLb1EES1A_EEDaS15_S16_EUlS15_E_NS1_11comp_targetILNS1_3genE2ELNS1_11target_archE906ELNS1_3gpuE6ELNS1_3repE0EEENS1_30default_config_static_selectorELNS0_4arch9wavefront6targetE1EEEvT1_.kd
    .uniform_work_group_size: 1
    .uses_dynamic_stack: false
    .vgpr_count:     0
    .vgpr_spill_count: 0
    .wavefront_size: 64
  - .agpr_count:     0
    .args:
      - .offset:         0
        .size:           136
        .value_kind:     by_value
    .group_segment_fixed_size: 0
    .kernarg_segment_align: 8
    .kernarg_segment_size: 136
    .language:       OpenCL C
    .language_version:
      - 2
      - 0
    .max_flat_workgroup_size: 384
    .name:           _ZN7rocprim17ROCPRIM_400000_NS6detail17trampoline_kernelINS0_14default_configENS1_25partition_config_selectorILNS1_17partition_subalgoE9EllbEEZZNS1_14partition_implILS5_9ELb0ES3_jPlS8_PNS0_10empty_typeENS0_5tupleIJS8_S9_EEENSB_IJS8_SA_EEENS0_18inequality_wrapperIZN2at6native12_GLOBAL__N_124unique_dim_cuda_templateIdEESt5tupleIJNSF_6TensorESK_SK_EERKSK_lbbbEUlllE0_EEPmJS9_EEE10hipError_tPvRmT3_T4_T5_T6_T7_T9_mT8_P12ihipStream_tbDpT10_ENKUlT_T0_E_clISt17integral_constantIbLb1EES1A_EEDaS15_S16_EUlS15_E_NS1_11comp_targetILNS1_3genE10ELNS1_11target_archE1200ELNS1_3gpuE4ELNS1_3repE0EEENS1_30default_config_static_selectorELNS0_4arch9wavefront6targetE1EEEvT1_
    .private_segment_fixed_size: 0
    .sgpr_count:     4
    .sgpr_spill_count: 0
    .symbol:         _ZN7rocprim17ROCPRIM_400000_NS6detail17trampoline_kernelINS0_14default_configENS1_25partition_config_selectorILNS1_17partition_subalgoE9EllbEEZZNS1_14partition_implILS5_9ELb0ES3_jPlS8_PNS0_10empty_typeENS0_5tupleIJS8_S9_EEENSB_IJS8_SA_EEENS0_18inequality_wrapperIZN2at6native12_GLOBAL__N_124unique_dim_cuda_templateIdEESt5tupleIJNSF_6TensorESK_SK_EERKSK_lbbbEUlllE0_EEPmJS9_EEE10hipError_tPvRmT3_T4_T5_T6_T7_T9_mT8_P12ihipStream_tbDpT10_ENKUlT_T0_E_clISt17integral_constantIbLb1EES1A_EEDaS15_S16_EUlS15_E_NS1_11comp_targetILNS1_3genE10ELNS1_11target_archE1200ELNS1_3gpuE4ELNS1_3repE0EEENS1_30default_config_static_selectorELNS0_4arch9wavefront6targetE1EEEvT1_.kd
    .uniform_work_group_size: 1
    .uses_dynamic_stack: false
    .vgpr_count:     0
    .vgpr_spill_count: 0
    .wavefront_size: 64
  - .agpr_count:     0
    .args:
      - .offset:         0
        .size:           136
        .value_kind:     by_value
    .group_segment_fixed_size: 0
    .kernarg_segment_align: 8
    .kernarg_segment_size: 136
    .language:       OpenCL C
    .language_version:
      - 2
      - 0
    .max_flat_workgroup_size: 512
    .name:           _ZN7rocprim17ROCPRIM_400000_NS6detail17trampoline_kernelINS0_14default_configENS1_25partition_config_selectorILNS1_17partition_subalgoE9EllbEEZZNS1_14partition_implILS5_9ELb0ES3_jPlS8_PNS0_10empty_typeENS0_5tupleIJS8_S9_EEENSB_IJS8_SA_EEENS0_18inequality_wrapperIZN2at6native12_GLOBAL__N_124unique_dim_cuda_templateIdEESt5tupleIJNSF_6TensorESK_SK_EERKSK_lbbbEUlllE0_EEPmJS9_EEE10hipError_tPvRmT3_T4_T5_T6_T7_T9_mT8_P12ihipStream_tbDpT10_ENKUlT_T0_E_clISt17integral_constantIbLb1EES1A_EEDaS15_S16_EUlS15_E_NS1_11comp_targetILNS1_3genE9ELNS1_11target_archE1100ELNS1_3gpuE3ELNS1_3repE0EEENS1_30default_config_static_selectorELNS0_4arch9wavefront6targetE1EEEvT1_
    .private_segment_fixed_size: 0
    .sgpr_count:     4
    .sgpr_spill_count: 0
    .symbol:         _ZN7rocprim17ROCPRIM_400000_NS6detail17trampoline_kernelINS0_14default_configENS1_25partition_config_selectorILNS1_17partition_subalgoE9EllbEEZZNS1_14partition_implILS5_9ELb0ES3_jPlS8_PNS0_10empty_typeENS0_5tupleIJS8_S9_EEENSB_IJS8_SA_EEENS0_18inequality_wrapperIZN2at6native12_GLOBAL__N_124unique_dim_cuda_templateIdEESt5tupleIJNSF_6TensorESK_SK_EERKSK_lbbbEUlllE0_EEPmJS9_EEE10hipError_tPvRmT3_T4_T5_T6_T7_T9_mT8_P12ihipStream_tbDpT10_ENKUlT_T0_E_clISt17integral_constantIbLb1EES1A_EEDaS15_S16_EUlS15_E_NS1_11comp_targetILNS1_3genE9ELNS1_11target_archE1100ELNS1_3gpuE3ELNS1_3repE0EEENS1_30default_config_static_selectorELNS0_4arch9wavefront6targetE1EEEvT1_.kd
    .uniform_work_group_size: 1
    .uses_dynamic_stack: false
    .vgpr_count:     0
    .vgpr_spill_count: 0
    .wavefront_size: 64
  - .agpr_count:     0
    .args:
      - .offset:         0
        .size:           136
        .value_kind:     by_value
    .group_segment_fixed_size: 0
    .kernarg_segment_align: 8
    .kernarg_segment_size: 136
    .language:       OpenCL C
    .language_version:
      - 2
      - 0
    .max_flat_workgroup_size: 512
    .name:           _ZN7rocprim17ROCPRIM_400000_NS6detail17trampoline_kernelINS0_14default_configENS1_25partition_config_selectorILNS1_17partition_subalgoE9EllbEEZZNS1_14partition_implILS5_9ELb0ES3_jPlS8_PNS0_10empty_typeENS0_5tupleIJS8_S9_EEENSB_IJS8_SA_EEENS0_18inequality_wrapperIZN2at6native12_GLOBAL__N_124unique_dim_cuda_templateIdEESt5tupleIJNSF_6TensorESK_SK_EERKSK_lbbbEUlllE0_EEPmJS9_EEE10hipError_tPvRmT3_T4_T5_T6_T7_T9_mT8_P12ihipStream_tbDpT10_ENKUlT_T0_E_clISt17integral_constantIbLb1EES1A_EEDaS15_S16_EUlS15_E_NS1_11comp_targetILNS1_3genE8ELNS1_11target_archE1030ELNS1_3gpuE2ELNS1_3repE0EEENS1_30default_config_static_selectorELNS0_4arch9wavefront6targetE1EEEvT1_
    .private_segment_fixed_size: 0
    .sgpr_count:     4
    .sgpr_spill_count: 0
    .symbol:         _ZN7rocprim17ROCPRIM_400000_NS6detail17trampoline_kernelINS0_14default_configENS1_25partition_config_selectorILNS1_17partition_subalgoE9EllbEEZZNS1_14partition_implILS5_9ELb0ES3_jPlS8_PNS0_10empty_typeENS0_5tupleIJS8_S9_EEENSB_IJS8_SA_EEENS0_18inequality_wrapperIZN2at6native12_GLOBAL__N_124unique_dim_cuda_templateIdEESt5tupleIJNSF_6TensorESK_SK_EERKSK_lbbbEUlllE0_EEPmJS9_EEE10hipError_tPvRmT3_T4_T5_T6_T7_T9_mT8_P12ihipStream_tbDpT10_ENKUlT_T0_E_clISt17integral_constantIbLb1EES1A_EEDaS15_S16_EUlS15_E_NS1_11comp_targetILNS1_3genE8ELNS1_11target_archE1030ELNS1_3gpuE2ELNS1_3repE0EEENS1_30default_config_static_selectorELNS0_4arch9wavefront6targetE1EEEvT1_.kd
    .uniform_work_group_size: 1
    .uses_dynamic_stack: false
    .vgpr_count:     0
    .vgpr_spill_count: 0
    .wavefront_size: 64
  - .agpr_count:     0
    .args:
      - .offset:         0
        .size:           120
        .value_kind:     by_value
    .group_segment_fixed_size: 0
    .kernarg_segment_align: 8
    .kernarg_segment_size: 120
    .language:       OpenCL C
    .language_version:
      - 2
      - 0
    .max_flat_workgroup_size: 128
    .name:           _ZN7rocprim17ROCPRIM_400000_NS6detail17trampoline_kernelINS0_14default_configENS1_25partition_config_selectorILNS1_17partition_subalgoE9EllbEEZZNS1_14partition_implILS5_9ELb0ES3_jPlS8_PNS0_10empty_typeENS0_5tupleIJS8_S9_EEENSB_IJS8_SA_EEENS0_18inequality_wrapperIZN2at6native12_GLOBAL__N_124unique_dim_cuda_templateIdEESt5tupleIJNSF_6TensorESK_SK_EERKSK_lbbbEUlllE0_EEPmJS9_EEE10hipError_tPvRmT3_T4_T5_T6_T7_T9_mT8_P12ihipStream_tbDpT10_ENKUlT_T0_E_clISt17integral_constantIbLb1EES19_IbLb0EEEEDaS15_S16_EUlS15_E_NS1_11comp_targetILNS1_3genE0ELNS1_11target_archE4294967295ELNS1_3gpuE0ELNS1_3repE0EEENS1_30default_config_static_selectorELNS0_4arch9wavefront6targetE1EEEvT1_
    .private_segment_fixed_size: 0
    .sgpr_count:     4
    .sgpr_spill_count: 0
    .symbol:         _ZN7rocprim17ROCPRIM_400000_NS6detail17trampoline_kernelINS0_14default_configENS1_25partition_config_selectorILNS1_17partition_subalgoE9EllbEEZZNS1_14partition_implILS5_9ELb0ES3_jPlS8_PNS0_10empty_typeENS0_5tupleIJS8_S9_EEENSB_IJS8_SA_EEENS0_18inequality_wrapperIZN2at6native12_GLOBAL__N_124unique_dim_cuda_templateIdEESt5tupleIJNSF_6TensorESK_SK_EERKSK_lbbbEUlllE0_EEPmJS9_EEE10hipError_tPvRmT3_T4_T5_T6_T7_T9_mT8_P12ihipStream_tbDpT10_ENKUlT_T0_E_clISt17integral_constantIbLb1EES19_IbLb0EEEEDaS15_S16_EUlS15_E_NS1_11comp_targetILNS1_3genE0ELNS1_11target_archE4294967295ELNS1_3gpuE0ELNS1_3repE0EEENS1_30default_config_static_selectorELNS0_4arch9wavefront6targetE1EEEvT1_.kd
    .uniform_work_group_size: 1
    .uses_dynamic_stack: false
    .vgpr_count:     0
    .vgpr_spill_count: 0
    .wavefront_size: 64
  - .agpr_count:     0
    .args:
      - .offset:         0
        .size:           120
        .value_kind:     by_value
    .group_segment_fixed_size: 0
    .kernarg_segment_align: 8
    .kernarg_segment_size: 120
    .language:       OpenCL C
    .language_version:
      - 2
      - 0
    .max_flat_workgroup_size: 512
    .name:           _ZN7rocprim17ROCPRIM_400000_NS6detail17trampoline_kernelINS0_14default_configENS1_25partition_config_selectorILNS1_17partition_subalgoE9EllbEEZZNS1_14partition_implILS5_9ELb0ES3_jPlS8_PNS0_10empty_typeENS0_5tupleIJS8_S9_EEENSB_IJS8_SA_EEENS0_18inequality_wrapperIZN2at6native12_GLOBAL__N_124unique_dim_cuda_templateIdEESt5tupleIJNSF_6TensorESK_SK_EERKSK_lbbbEUlllE0_EEPmJS9_EEE10hipError_tPvRmT3_T4_T5_T6_T7_T9_mT8_P12ihipStream_tbDpT10_ENKUlT_T0_E_clISt17integral_constantIbLb1EES19_IbLb0EEEEDaS15_S16_EUlS15_E_NS1_11comp_targetILNS1_3genE5ELNS1_11target_archE942ELNS1_3gpuE9ELNS1_3repE0EEENS1_30default_config_static_selectorELNS0_4arch9wavefront6targetE1EEEvT1_
    .private_segment_fixed_size: 0
    .sgpr_count:     4
    .sgpr_spill_count: 0
    .symbol:         _ZN7rocprim17ROCPRIM_400000_NS6detail17trampoline_kernelINS0_14default_configENS1_25partition_config_selectorILNS1_17partition_subalgoE9EllbEEZZNS1_14partition_implILS5_9ELb0ES3_jPlS8_PNS0_10empty_typeENS0_5tupleIJS8_S9_EEENSB_IJS8_SA_EEENS0_18inequality_wrapperIZN2at6native12_GLOBAL__N_124unique_dim_cuda_templateIdEESt5tupleIJNSF_6TensorESK_SK_EERKSK_lbbbEUlllE0_EEPmJS9_EEE10hipError_tPvRmT3_T4_T5_T6_T7_T9_mT8_P12ihipStream_tbDpT10_ENKUlT_T0_E_clISt17integral_constantIbLb1EES19_IbLb0EEEEDaS15_S16_EUlS15_E_NS1_11comp_targetILNS1_3genE5ELNS1_11target_archE942ELNS1_3gpuE9ELNS1_3repE0EEENS1_30default_config_static_selectorELNS0_4arch9wavefront6targetE1EEEvT1_.kd
    .uniform_work_group_size: 1
    .uses_dynamic_stack: false
    .vgpr_count:     0
    .vgpr_spill_count: 0
    .wavefront_size: 64
  - .agpr_count:     0
    .args:
      - .offset:         0
        .size:           120
        .value_kind:     by_value
    .group_segment_fixed_size: 4236
    .kernarg_segment_align: 8
    .kernarg_segment_size: 120
    .language:       OpenCL C
    .language_version:
      - 2
      - 0
    .max_flat_workgroup_size: 128
    .name:           _ZN7rocprim17ROCPRIM_400000_NS6detail17trampoline_kernelINS0_14default_configENS1_25partition_config_selectorILNS1_17partition_subalgoE9EllbEEZZNS1_14partition_implILS5_9ELb0ES3_jPlS8_PNS0_10empty_typeENS0_5tupleIJS8_S9_EEENSB_IJS8_SA_EEENS0_18inequality_wrapperIZN2at6native12_GLOBAL__N_124unique_dim_cuda_templateIdEESt5tupleIJNSF_6TensorESK_SK_EERKSK_lbbbEUlllE0_EEPmJS9_EEE10hipError_tPvRmT3_T4_T5_T6_T7_T9_mT8_P12ihipStream_tbDpT10_ENKUlT_T0_E_clISt17integral_constantIbLb1EES19_IbLb0EEEEDaS15_S16_EUlS15_E_NS1_11comp_targetILNS1_3genE4ELNS1_11target_archE910ELNS1_3gpuE8ELNS1_3repE0EEENS1_30default_config_static_selectorELNS0_4arch9wavefront6targetE1EEEvT1_
    .private_segment_fixed_size: 0
    .sgpr_count:     50
    .sgpr_spill_count: 0
    .symbol:         _ZN7rocprim17ROCPRIM_400000_NS6detail17trampoline_kernelINS0_14default_configENS1_25partition_config_selectorILNS1_17partition_subalgoE9EllbEEZZNS1_14partition_implILS5_9ELb0ES3_jPlS8_PNS0_10empty_typeENS0_5tupleIJS8_S9_EEENSB_IJS8_SA_EEENS0_18inequality_wrapperIZN2at6native12_GLOBAL__N_124unique_dim_cuda_templateIdEESt5tupleIJNSF_6TensorESK_SK_EERKSK_lbbbEUlllE0_EEPmJS9_EEE10hipError_tPvRmT3_T4_T5_T6_T7_T9_mT8_P12ihipStream_tbDpT10_ENKUlT_T0_E_clISt17integral_constantIbLb1EES19_IbLb0EEEEDaS15_S16_EUlS15_E_NS1_11comp_targetILNS1_3genE4ELNS1_11target_archE910ELNS1_3gpuE8ELNS1_3repE0EEENS1_30default_config_static_selectorELNS0_4arch9wavefront6targetE1EEEvT1_.kd
    .uniform_work_group_size: 1
    .uses_dynamic_stack: false
    .vgpr_count:     50
    .vgpr_spill_count: 0
    .wavefront_size: 64
  - .agpr_count:     0
    .args:
      - .offset:         0
        .size:           120
        .value_kind:     by_value
    .group_segment_fixed_size: 0
    .kernarg_segment_align: 8
    .kernarg_segment_size: 120
    .language:       OpenCL C
    .language_version:
      - 2
      - 0
    .max_flat_workgroup_size: 128
    .name:           _ZN7rocprim17ROCPRIM_400000_NS6detail17trampoline_kernelINS0_14default_configENS1_25partition_config_selectorILNS1_17partition_subalgoE9EllbEEZZNS1_14partition_implILS5_9ELb0ES3_jPlS8_PNS0_10empty_typeENS0_5tupleIJS8_S9_EEENSB_IJS8_SA_EEENS0_18inequality_wrapperIZN2at6native12_GLOBAL__N_124unique_dim_cuda_templateIdEESt5tupleIJNSF_6TensorESK_SK_EERKSK_lbbbEUlllE0_EEPmJS9_EEE10hipError_tPvRmT3_T4_T5_T6_T7_T9_mT8_P12ihipStream_tbDpT10_ENKUlT_T0_E_clISt17integral_constantIbLb1EES19_IbLb0EEEEDaS15_S16_EUlS15_E_NS1_11comp_targetILNS1_3genE3ELNS1_11target_archE908ELNS1_3gpuE7ELNS1_3repE0EEENS1_30default_config_static_selectorELNS0_4arch9wavefront6targetE1EEEvT1_
    .private_segment_fixed_size: 0
    .sgpr_count:     4
    .sgpr_spill_count: 0
    .symbol:         _ZN7rocprim17ROCPRIM_400000_NS6detail17trampoline_kernelINS0_14default_configENS1_25partition_config_selectorILNS1_17partition_subalgoE9EllbEEZZNS1_14partition_implILS5_9ELb0ES3_jPlS8_PNS0_10empty_typeENS0_5tupleIJS8_S9_EEENSB_IJS8_SA_EEENS0_18inequality_wrapperIZN2at6native12_GLOBAL__N_124unique_dim_cuda_templateIdEESt5tupleIJNSF_6TensorESK_SK_EERKSK_lbbbEUlllE0_EEPmJS9_EEE10hipError_tPvRmT3_T4_T5_T6_T7_T9_mT8_P12ihipStream_tbDpT10_ENKUlT_T0_E_clISt17integral_constantIbLb1EES19_IbLb0EEEEDaS15_S16_EUlS15_E_NS1_11comp_targetILNS1_3genE3ELNS1_11target_archE908ELNS1_3gpuE7ELNS1_3repE0EEENS1_30default_config_static_selectorELNS0_4arch9wavefront6targetE1EEEvT1_.kd
    .uniform_work_group_size: 1
    .uses_dynamic_stack: false
    .vgpr_count:     0
    .vgpr_spill_count: 0
    .wavefront_size: 64
  - .agpr_count:     0
    .args:
      - .offset:         0
        .size:           120
        .value_kind:     by_value
    .group_segment_fixed_size: 0
    .kernarg_segment_align: 8
    .kernarg_segment_size: 120
    .language:       OpenCL C
    .language_version:
      - 2
      - 0
    .max_flat_workgroup_size: 192
    .name:           _ZN7rocprim17ROCPRIM_400000_NS6detail17trampoline_kernelINS0_14default_configENS1_25partition_config_selectorILNS1_17partition_subalgoE9EllbEEZZNS1_14partition_implILS5_9ELb0ES3_jPlS8_PNS0_10empty_typeENS0_5tupleIJS8_S9_EEENSB_IJS8_SA_EEENS0_18inequality_wrapperIZN2at6native12_GLOBAL__N_124unique_dim_cuda_templateIdEESt5tupleIJNSF_6TensorESK_SK_EERKSK_lbbbEUlllE0_EEPmJS9_EEE10hipError_tPvRmT3_T4_T5_T6_T7_T9_mT8_P12ihipStream_tbDpT10_ENKUlT_T0_E_clISt17integral_constantIbLb1EES19_IbLb0EEEEDaS15_S16_EUlS15_E_NS1_11comp_targetILNS1_3genE2ELNS1_11target_archE906ELNS1_3gpuE6ELNS1_3repE0EEENS1_30default_config_static_selectorELNS0_4arch9wavefront6targetE1EEEvT1_
    .private_segment_fixed_size: 0
    .sgpr_count:     4
    .sgpr_spill_count: 0
    .symbol:         _ZN7rocprim17ROCPRIM_400000_NS6detail17trampoline_kernelINS0_14default_configENS1_25partition_config_selectorILNS1_17partition_subalgoE9EllbEEZZNS1_14partition_implILS5_9ELb0ES3_jPlS8_PNS0_10empty_typeENS0_5tupleIJS8_S9_EEENSB_IJS8_SA_EEENS0_18inequality_wrapperIZN2at6native12_GLOBAL__N_124unique_dim_cuda_templateIdEESt5tupleIJNSF_6TensorESK_SK_EERKSK_lbbbEUlllE0_EEPmJS9_EEE10hipError_tPvRmT3_T4_T5_T6_T7_T9_mT8_P12ihipStream_tbDpT10_ENKUlT_T0_E_clISt17integral_constantIbLb1EES19_IbLb0EEEEDaS15_S16_EUlS15_E_NS1_11comp_targetILNS1_3genE2ELNS1_11target_archE906ELNS1_3gpuE6ELNS1_3repE0EEENS1_30default_config_static_selectorELNS0_4arch9wavefront6targetE1EEEvT1_.kd
    .uniform_work_group_size: 1
    .uses_dynamic_stack: false
    .vgpr_count:     0
    .vgpr_spill_count: 0
    .wavefront_size: 64
  - .agpr_count:     0
    .args:
      - .offset:         0
        .size:           120
        .value_kind:     by_value
    .group_segment_fixed_size: 0
    .kernarg_segment_align: 8
    .kernarg_segment_size: 120
    .language:       OpenCL C
    .language_version:
      - 2
      - 0
    .max_flat_workgroup_size: 384
    .name:           _ZN7rocprim17ROCPRIM_400000_NS6detail17trampoline_kernelINS0_14default_configENS1_25partition_config_selectorILNS1_17partition_subalgoE9EllbEEZZNS1_14partition_implILS5_9ELb0ES3_jPlS8_PNS0_10empty_typeENS0_5tupleIJS8_S9_EEENSB_IJS8_SA_EEENS0_18inequality_wrapperIZN2at6native12_GLOBAL__N_124unique_dim_cuda_templateIdEESt5tupleIJNSF_6TensorESK_SK_EERKSK_lbbbEUlllE0_EEPmJS9_EEE10hipError_tPvRmT3_T4_T5_T6_T7_T9_mT8_P12ihipStream_tbDpT10_ENKUlT_T0_E_clISt17integral_constantIbLb1EES19_IbLb0EEEEDaS15_S16_EUlS15_E_NS1_11comp_targetILNS1_3genE10ELNS1_11target_archE1200ELNS1_3gpuE4ELNS1_3repE0EEENS1_30default_config_static_selectorELNS0_4arch9wavefront6targetE1EEEvT1_
    .private_segment_fixed_size: 0
    .sgpr_count:     4
    .sgpr_spill_count: 0
    .symbol:         _ZN7rocprim17ROCPRIM_400000_NS6detail17trampoline_kernelINS0_14default_configENS1_25partition_config_selectorILNS1_17partition_subalgoE9EllbEEZZNS1_14partition_implILS5_9ELb0ES3_jPlS8_PNS0_10empty_typeENS0_5tupleIJS8_S9_EEENSB_IJS8_SA_EEENS0_18inequality_wrapperIZN2at6native12_GLOBAL__N_124unique_dim_cuda_templateIdEESt5tupleIJNSF_6TensorESK_SK_EERKSK_lbbbEUlllE0_EEPmJS9_EEE10hipError_tPvRmT3_T4_T5_T6_T7_T9_mT8_P12ihipStream_tbDpT10_ENKUlT_T0_E_clISt17integral_constantIbLb1EES19_IbLb0EEEEDaS15_S16_EUlS15_E_NS1_11comp_targetILNS1_3genE10ELNS1_11target_archE1200ELNS1_3gpuE4ELNS1_3repE0EEENS1_30default_config_static_selectorELNS0_4arch9wavefront6targetE1EEEvT1_.kd
    .uniform_work_group_size: 1
    .uses_dynamic_stack: false
    .vgpr_count:     0
    .vgpr_spill_count: 0
    .wavefront_size: 64
  - .agpr_count:     0
    .args:
      - .offset:         0
        .size:           120
        .value_kind:     by_value
    .group_segment_fixed_size: 0
    .kernarg_segment_align: 8
    .kernarg_segment_size: 120
    .language:       OpenCL C
    .language_version:
      - 2
      - 0
    .max_flat_workgroup_size: 512
    .name:           _ZN7rocprim17ROCPRIM_400000_NS6detail17trampoline_kernelINS0_14default_configENS1_25partition_config_selectorILNS1_17partition_subalgoE9EllbEEZZNS1_14partition_implILS5_9ELb0ES3_jPlS8_PNS0_10empty_typeENS0_5tupleIJS8_S9_EEENSB_IJS8_SA_EEENS0_18inequality_wrapperIZN2at6native12_GLOBAL__N_124unique_dim_cuda_templateIdEESt5tupleIJNSF_6TensorESK_SK_EERKSK_lbbbEUlllE0_EEPmJS9_EEE10hipError_tPvRmT3_T4_T5_T6_T7_T9_mT8_P12ihipStream_tbDpT10_ENKUlT_T0_E_clISt17integral_constantIbLb1EES19_IbLb0EEEEDaS15_S16_EUlS15_E_NS1_11comp_targetILNS1_3genE9ELNS1_11target_archE1100ELNS1_3gpuE3ELNS1_3repE0EEENS1_30default_config_static_selectorELNS0_4arch9wavefront6targetE1EEEvT1_
    .private_segment_fixed_size: 0
    .sgpr_count:     4
    .sgpr_spill_count: 0
    .symbol:         _ZN7rocprim17ROCPRIM_400000_NS6detail17trampoline_kernelINS0_14default_configENS1_25partition_config_selectorILNS1_17partition_subalgoE9EllbEEZZNS1_14partition_implILS5_9ELb0ES3_jPlS8_PNS0_10empty_typeENS0_5tupleIJS8_S9_EEENSB_IJS8_SA_EEENS0_18inequality_wrapperIZN2at6native12_GLOBAL__N_124unique_dim_cuda_templateIdEESt5tupleIJNSF_6TensorESK_SK_EERKSK_lbbbEUlllE0_EEPmJS9_EEE10hipError_tPvRmT3_T4_T5_T6_T7_T9_mT8_P12ihipStream_tbDpT10_ENKUlT_T0_E_clISt17integral_constantIbLb1EES19_IbLb0EEEEDaS15_S16_EUlS15_E_NS1_11comp_targetILNS1_3genE9ELNS1_11target_archE1100ELNS1_3gpuE3ELNS1_3repE0EEENS1_30default_config_static_selectorELNS0_4arch9wavefront6targetE1EEEvT1_.kd
    .uniform_work_group_size: 1
    .uses_dynamic_stack: false
    .vgpr_count:     0
    .vgpr_spill_count: 0
    .wavefront_size: 64
  - .agpr_count:     0
    .args:
      - .offset:         0
        .size:           120
        .value_kind:     by_value
    .group_segment_fixed_size: 0
    .kernarg_segment_align: 8
    .kernarg_segment_size: 120
    .language:       OpenCL C
    .language_version:
      - 2
      - 0
    .max_flat_workgroup_size: 512
    .name:           _ZN7rocprim17ROCPRIM_400000_NS6detail17trampoline_kernelINS0_14default_configENS1_25partition_config_selectorILNS1_17partition_subalgoE9EllbEEZZNS1_14partition_implILS5_9ELb0ES3_jPlS8_PNS0_10empty_typeENS0_5tupleIJS8_S9_EEENSB_IJS8_SA_EEENS0_18inequality_wrapperIZN2at6native12_GLOBAL__N_124unique_dim_cuda_templateIdEESt5tupleIJNSF_6TensorESK_SK_EERKSK_lbbbEUlllE0_EEPmJS9_EEE10hipError_tPvRmT3_T4_T5_T6_T7_T9_mT8_P12ihipStream_tbDpT10_ENKUlT_T0_E_clISt17integral_constantIbLb1EES19_IbLb0EEEEDaS15_S16_EUlS15_E_NS1_11comp_targetILNS1_3genE8ELNS1_11target_archE1030ELNS1_3gpuE2ELNS1_3repE0EEENS1_30default_config_static_selectorELNS0_4arch9wavefront6targetE1EEEvT1_
    .private_segment_fixed_size: 0
    .sgpr_count:     4
    .sgpr_spill_count: 0
    .symbol:         _ZN7rocprim17ROCPRIM_400000_NS6detail17trampoline_kernelINS0_14default_configENS1_25partition_config_selectorILNS1_17partition_subalgoE9EllbEEZZNS1_14partition_implILS5_9ELb0ES3_jPlS8_PNS0_10empty_typeENS0_5tupleIJS8_S9_EEENSB_IJS8_SA_EEENS0_18inequality_wrapperIZN2at6native12_GLOBAL__N_124unique_dim_cuda_templateIdEESt5tupleIJNSF_6TensorESK_SK_EERKSK_lbbbEUlllE0_EEPmJS9_EEE10hipError_tPvRmT3_T4_T5_T6_T7_T9_mT8_P12ihipStream_tbDpT10_ENKUlT_T0_E_clISt17integral_constantIbLb1EES19_IbLb0EEEEDaS15_S16_EUlS15_E_NS1_11comp_targetILNS1_3genE8ELNS1_11target_archE1030ELNS1_3gpuE2ELNS1_3repE0EEENS1_30default_config_static_selectorELNS0_4arch9wavefront6targetE1EEEvT1_.kd
    .uniform_work_group_size: 1
    .uses_dynamic_stack: false
    .vgpr_count:     0
    .vgpr_spill_count: 0
    .wavefront_size: 64
  - .agpr_count:     0
    .args:
      - .offset:         0
        .size:           136
        .value_kind:     by_value
    .group_segment_fixed_size: 0
    .kernarg_segment_align: 8
    .kernarg_segment_size: 136
    .language:       OpenCL C
    .language_version:
      - 2
      - 0
    .max_flat_workgroup_size: 128
    .name:           _ZN7rocprim17ROCPRIM_400000_NS6detail17trampoline_kernelINS0_14default_configENS1_25partition_config_selectorILNS1_17partition_subalgoE9EllbEEZZNS1_14partition_implILS5_9ELb0ES3_jPlS8_PNS0_10empty_typeENS0_5tupleIJS8_S9_EEENSB_IJS8_SA_EEENS0_18inequality_wrapperIZN2at6native12_GLOBAL__N_124unique_dim_cuda_templateIdEESt5tupleIJNSF_6TensorESK_SK_EERKSK_lbbbEUlllE0_EEPmJS9_EEE10hipError_tPvRmT3_T4_T5_T6_T7_T9_mT8_P12ihipStream_tbDpT10_ENKUlT_T0_E_clISt17integral_constantIbLb0EES19_IbLb1EEEEDaS15_S16_EUlS15_E_NS1_11comp_targetILNS1_3genE0ELNS1_11target_archE4294967295ELNS1_3gpuE0ELNS1_3repE0EEENS1_30default_config_static_selectorELNS0_4arch9wavefront6targetE1EEEvT1_
    .private_segment_fixed_size: 0
    .sgpr_count:     4
    .sgpr_spill_count: 0
    .symbol:         _ZN7rocprim17ROCPRIM_400000_NS6detail17trampoline_kernelINS0_14default_configENS1_25partition_config_selectorILNS1_17partition_subalgoE9EllbEEZZNS1_14partition_implILS5_9ELb0ES3_jPlS8_PNS0_10empty_typeENS0_5tupleIJS8_S9_EEENSB_IJS8_SA_EEENS0_18inequality_wrapperIZN2at6native12_GLOBAL__N_124unique_dim_cuda_templateIdEESt5tupleIJNSF_6TensorESK_SK_EERKSK_lbbbEUlllE0_EEPmJS9_EEE10hipError_tPvRmT3_T4_T5_T6_T7_T9_mT8_P12ihipStream_tbDpT10_ENKUlT_T0_E_clISt17integral_constantIbLb0EES19_IbLb1EEEEDaS15_S16_EUlS15_E_NS1_11comp_targetILNS1_3genE0ELNS1_11target_archE4294967295ELNS1_3gpuE0ELNS1_3repE0EEENS1_30default_config_static_selectorELNS0_4arch9wavefront6targetE1EEEvT1_.kd
    .uniform_work_group_size: 1
    .uses_dynamic_stack: false
    .vgpr_count:     0
    .vgpr_spill_count: 0
    .wavefront_size: 64
  - .agpr_count:     0
    .args:
      - .offset:         0
        .size:           136
        .value_kind:     by_value
    .group_segment_fixed_size: 0
    .kernarg_segment_align: 8
    .kernarg_segment_size: 136
    .language:       OpenCL C
    .language_version:
      - 2
      - 0
    .max_flat_workgroup_size: 512
    .name:           _ZN7rocprim17ROCPRIM_400000_NS6detail17trampoline_kernelINS0_14default_configENS1_25partition_config_selectorILNS1_17partition_subalgoE9EllbEEZZNS1_14partition_implILS5_9ELb0ES3_jPlS8_PNS0_10empty_typeENS0_5tupleIJS8_S9_EEENSB_IJS8_SA_EEENS0_18inequality_wrapperIZN2at6native12_GLOBAL__N_124unique_dim_cuda_templateIdEESt5tupleIJNSF_6TensorESK_SK_EERKSK_lbbbEUlllE0_EEPmJS9_EEE10hipError_tPvRmT3_T4_T5_T6_T7_T9_mT8_P12ihipStream_tbDpT10_ENKUlT_T0_E_clISt17integral_constantIbLb0EES19_IbLb1EEEEDaS15_S16_EUlS15_E_NS1_11comp_targetILNS1_3genE5ELNS1_11target_archE942ELNS1_3gpuE9ELNS1_3repE0EEENS1_30default_config_static_selectorELNS0_4arch9wavefront6targetE1EEEvT1_
    .private_segment_fixed_size: 0
    .sgpr_count:     4
    .sgpr_spill_count: 0
    .symbol:         _ZN7rocprim17ROCPRIM_400000_NS6detail17trampoline_kernelINS0_14default_configENS1_25partition_config_selectorILNS1_17partition_subalgoE9EllbEEZZNS1_14partition_implILS5_9ELb0ES3_jPlS8_PNS0_10empty_typeENS0_5tupleIJS8_S9_EEENSB_IJS8_SA_EEENS0_18inequality_wrapperIZN2at6native12_GLOBAL__N_124unique_dim_cuda_templateIdEESt5tupleIJNSF_6TensorESK_SK_EERKSK_lbbbEUlllE0_EEPmJS9_EEE10hipError_tPvRmT3_T4_T5_T6_T7_T9_mT8_P12ihipStream_tbDpT10_ENKUlT_T0_E_clISt17integral_constantIbLb0EES19_IbLb1EEEEDaS15_S16_EUlS15_E_NS1_11comp_targetILNS1_3genE5ELNS1_11target_archE942ELNS1_3gpuE9ELNS1_3repE0EEENS1_30default_config_static_selectorELNS0_4arch9wavefront6targetE1EEEvT1_.kd
    .uniform_work_group_size: 1
    .uses_dynamic_stack: false
    .vgpr_count:     0
    .vgpr_spill_count: 0
    .wavefront_size: 64
  - .agpr_count:     0
    .args:
      - .offset:         0
        .size:           136
        .value_kind:     by_value
    .group_segment_fixed_size: 4236
    .kernarg_segment_align: 8
    .kernarg_segment_size: 136
    .language:       OpenCL C
    .language_version:
      - 2
      - 0
    .max_flat_workgroup_size: 128
    .name:           _ZN7rocprim17ROCPRIM_400000_NS6detail17trampoline_kernelINS0_14default_configENS1_25partition_config_selectorILNS1_17partition_subalgoE9EllbEEZZNS1_14partition_implILS5_9ELb0ES3_jPlS8_PNS0_10empty_typeENS0_5tupleIJS8_S9_EEENSB_IJS8_SA_EEENS0_18inequality_wrapperIZN2at6native12_GLOBAL__N_124unique_dim_cuda_templateIdEESt5tupleIJNSF_6TensorESK_SK_EERKSK_lbbbEUlllE0_EEPmJS9_EEE10hipError_tPvRmT3_T4_T5_T6_T7_T9_mT8_P12ihipStream_tbDpT10_ENKUlT_T0_E_clISt17integral_constantIbLb0EES19_IbLb1EEEEDaS15_S16_EUlS15_E_NS1_11comp_targetILNS1_3genE4ELNS1_11target_archE910ELNS1_3gpuE8ELNS1_3repE0EEENS1_30default_config_static_selectorELNS0_4arch9wavefront6targetE1EEEvT1_
    .private_segment_fixed_size: 0
    .sgpr_count:     56
    .sgpr_spill_count: 0
    .symbol:         _ZN7rocprim17ROCPRIM_400000_NS6detail17trampoline_kernelINS0_14default_configENS1_25partition_config_selectorILNS1_17partition_subalgoE9EllbEEZZNS1_14partition_implILS5_9ELb0ES3_jPlS8_PNS0_10empty_typeENS0_5tupleIJS8_S9_EEENSB_IJS8_SA_EEENS0_18inequality_wrapperIZN2at6native12_GLOBAL__N_124unique_dim_cuda_templateIdEESt5tupleIJNSF_6TensorESK_SK_EERKSK_lbbbEUlllE0_EEPmJS9_EEE10hipError_tPvRmT3_T4_T5_T6_T7_T9_mT8_P12ihipStream_tbDpT10_ENKUlT_T0_E_clISt17integral_constantIbLb0EES19_IbLb1EEEEDaS15_S16_EUlS15_E_NS1_11comp_targetILNS1_3genE4ELNS1_11target_archE910ELNS1_3gpuE8ELNS1_3repE0EEENS1_30default_config_static_selectorELNS0_4arch9wavefront6targetE1EEEvT1_.kd
    .uniform_work_group_size: 1
    .uses_dynamic_stack: false
    .vgpr_count:     50
    .vgpr_spill_count: 0
    .wavefront_size: 64
  - .agpr_count:     0
    .args:
      - .offset:         0
        .size:           136
        .value_kind:     by_value
    .group_segment_fixed_size: 0
    .kernarg_segment_align: 8
    .kernarg_segment_size: 136
    .language:       OpenCL C
    .language_version:
      - 2
      - 0
    .max_flat_workgroup_size: 128
    .name:           _ZN7rocprim17ROCPRIM_400000_NS6detail17trampoline_kernelINS0_14default_configENS1_25partition_config_selectorILNS1_17partition_subalgoE9EllbEEZZNS1_14partition_implILS5_9ELb0ES3_jPlS8_PNS0_10empty_typeENS0_5tupleIJS8_S9_EEENSB_IJS8_SA_EEENS0_18inequality_wrapperIZN2at6native12_GLOBAL__N_124unique_dim_cuda_templateIdEESt5tupleIJNSF_6TensorESK_SK_EERKSK_lbbbEUlllE0_EEPmJS9_EEE10hipError_tPvRmT3_T4_T5_T6_T7_T9_mT8_P12ihipStream_tbDpT10_ENKUlT_T0_E_clISt17integral_constantIbLb0EES19_IbLb1EEEEDaS15_S16_EUlS15_E_NS1_11comp_targetILNS1_3genE3ELNS1_11target_archE908ELNS1_3gpuE7ELNS1_3repE0EEENS1_30default_config_static_selectorELNS0_4arch9wavefront6targetE1EEEvT1_
    .private_segment_fixed_size: 0
    .sgpr_count:     4
    .sgpr_spill_count: 0
    .symbol:         _ZN7rocprim17ROCPRIM_400000_NS6detail17trampoline_kernelINS0_14default_configENS1_25partition_config_selectorILNS1_17partition_subalgoE9EllbEEZZNS1_14partition_implILS5_9ELb0ES3_jPlS8_PNS0_10empty_typeENS0_5tupleIJS8_S9_EEENSB_IJS8_SA_EEENS0_18inequality_wrapperIZN2at6native12_GLOBAL__N_124unique_dim_cuda_templateIdEESt5tupleIJNSF_6TensorESK_SK_EERKSK_lbbbEUlllE0_EEPmJS9_EEE10hipError_tPvRmT3_T4_T5_T6_T7_T9_mT8_P12ihipStream_tbDpT10_ENKUlT_T0_E_clISt17integral_constantIbLb0EES19_IbLb1EEEEDaS15_S16_EUlS15_E_NS1_11comp_targetILNS1_3genE3ELNS1_11target_archE908ELNS1_3gpuE7ELNS1_3repE0EEENS1_30default_config_static_selectorELNS0_4arch9wavefront6targetE1EEEvT1_.kd
    .uniform_work_group_size: 1
    .uses_dynamic_stack: false
    .vgpr_count:     0
    .vgpr_spill_count: 0
    .wavefront_size: 64
  - .agpr_count:     0
    .args:
      - .offset:         0
        .size:           136
        .value_kind:     by_value
    .group_segment_fixed_size: 0
    .kernarg_segment_align: 8
    .kernarg_segment_size: 136
    .language:       OpenCL C
    .language_version:
      - 2
      - 0
    .max_flat_workgroup_size: 192
    .name:           _ZN7rocprim17ROCPRIM_400000_NS6detail17trampoline_kernelINS0_14default_configENS1_25partition_config_selectorILNS1_17partition_subalgoE9EllbEEZZNS1_14partition_implILS5_9ELb0ES3_jPlS8_PNS0_10empty_typeENS0_5tupleIJS8_S9_EEENSB_IJS8_SA_EEENS0_18inequality_wrapperIZN2at6native12_GLOBAL__N_124unique_dim_cuda_templateIdEESt5tupleIJNSF_6TensorESK_SK_EERKSK_lbbbEUlllE0_EEPmJS9_EEE10hipError_tPvRmT3_T4_T5_T6_T7_T9_mT8_P12ihipStream_tbDpT10_ENKUlT_T0_E_clISt17integral_constantIbLb0EES19_IbLb1EEEEDaS15_S16_EUlS15_E_NS1_11comp_targetILNS1_3genE2ELNS1_11target_archE906ELNS1_3gpuE6ELNS1_3repE0EEENS1_30default_config_static_selectorELNS0_4arch9wavefront6targetE1EEEvT1_
    .private_segment_fixed_size: 0
    .sgpr_count:     4
    .sgpr_spill_count: 0
    .symbol:         _ZN7rocprim17ROCPRIM_400000_NS6detail17trampoline_kernelINS0_14default_configENS1_25partition_config_selectorILNS1_17partition_subalgoE9EllbEEZZNS1_14partition_implILS5_9ELb0ES3_jPlS8_PNS0_10empty_typeENS0_5tupleIJS8_S9_EEENSB_IJS8_SA_EEENS0_18inequality_wrapperIZN2at6native12_GLOBAL__N_124unique_dim_cuda_templateIdEESt5tupleIJNSF_6TensorESK_SK_EERKSK_lbbbEUlllE0_EEPmJS9_EEE10hipError_tPvRmT3_T4_T5_T6_T7_T9_mT8_P12ihipStream_tbDpT10_ENKUlT_T0_E_clISt17integral_constantIbLb0EES19_IbLb1EEEEDaS15_S16_EUlS15_E_NS1_11comp_targetILNS1_3genE2ELNS1_11target_archE906ELNS1_3gpuE6ELNS1_3repE0EEENS1_30default_config_static_selectorELNS0_4arch9wavefront6targetE1EEEvT1_.kd
    .uniform_work_group_size: 1
    .uses_dynamic_stack: false
    .vgpr_count:     0
    .vgpr_spill_count: 0
    .wavefront_size: 64
  - .agpr_count:     0
    .args:
      - .offset:         0
        .size:           136
        .value_kind:     by_value
    .group_segment_fixed_size: 0
    .kernarg_segment_align: 8
    .kernarg_segment_size: 136
    .language:       OpenCL C
    .language_version:
      - 2
      - 0
    .max_flat_workgroup_size: 384
    .name:           _ZN7rocprim17ROCPRIM_400000_NS6detail17trampoline_kernelINS0_14default_configENS1_25partition_config_selectorILNS1_17partition_subalgoE9EllbEEZZNS1_14partition_implILS5_9ELb0ES3_jPlS8_PNS0_10empty_typeENS0_5tupleIJS8_S9_EEENSB_IJS8_SA_EEENS0_18inequality_wrapperIZN2at6native12_GLOBAL__N_124unique_dim_cuda_templateIdEESt5tupleIJNSF_6TensorESK_SK_EERKSK_lbbbEUlllE0_EEPmJS9_EEE10hipError_tPvRmT3_T4_T5_T6_T7_T9_mT8_P12ihipStream_tbDpT10_ENKUlT_T0_E_clISt17integral_constantIbLb0EES19_IbLb1EEEEDaS15_S16_EUlS15_E_NS1_11comp_targetILNS1_3genE10ELNS1_11target_archE1200ELNS1_3gpuE4ELNS1_3repE0EEENS1_30default_config_static_selectorELNS0_4arch9wavefront6targetE1EEEvT1_
    .private_segment_fixed_size: 0
    .sgpr_count:     4
    .sgpr_spill_count: 0
    .symbol:         _ZN7rocprim17ROCPRIM_400000_NS6detail17trampoline_kernelINS0_14default_configENS1_25partition_config_selectorILNS1_17partition_subalgoE9EllbEEZZNS1_14partition_implILS5_9ELb0ES3_jPlS8_PNS0_10empty_typeENS0_5tupleIJS8_S9_EEENSB_IJS8_SA_EEENS0_18inequality_wrapperIZN2at6native12_GLOBAL__N_124unique_dim_cuda_templateIdEESt5tupleIJNSF_6TensorESK_SK_EERKSK_lbbbEUlllE0_EEPmJS9_EEE10hipError_tPvRmT3_T4_T5_T6_T7_T9_mT8_P12ihipStream_tbDpT10_ENKUlT_T0_E_clISt17integral_constantIbLb0EES19_IbLb1EEEEDaS15_S16_EUlS15_E_NS1_11comp_targetILNS1_3genE10ELNS1_11target_archE1200ELNS1_3gpuE4ELNS1_3repE0EEENS1_30default_config_static_selectorELNS0_4arch9wavefront6targetE1EEEvT1_.kd
    .uniform_work_group_size: 1
    .uses_dynamic_stack: false
    .vgpr_count:     0
    .vgpr_spill_count: 0
    .wavefront_size: 64
  - .agpr_count:     0
    .args:
      - .offset:         0
        .size:           136
        .value_kind:     by_value
    .group_segment_fixed_size: 0
    .kernarg_segment_align: 8
    .kernarg_segment_size: 136
    .language:       OpenCL C
    .language_version:
      - 2
      - 0
    .max_flat_workgroup_size: 512
    .name:           _ZN7rocprim17ROCPRIM_400000_NS6detail17trampoline_kernelINS0_14default_configENS1_25partition_config_selectorILNS1_17partition_subalgoE9EllbEEZZNS1_14partition_implILS5_9ELb0ES3_jPlS8_PNS0_10empty_typeENS0_5tupleIJS8_S9_EEENSB_IJS8_SA_EEENS0_18inequality_wrapperIZN2at6native12_GLOBAL__N_124unique_dim_cuda_templateIdEESt5tupleIJNSF_6TensorESK_SK_EERKSK_lbbbEUlllE0_EEPmJS9_EEE10hipError_tPvRmT3_T4_T5_T6_T7_T9_mT8_P12ihipStream_tbDpT10_ENKUlT_T0_E_clISt17integral_constantIbLb0EES19_IbLb1EEEEDaS15_S16_EUlS15_E_NS1_11comp_targetILNS1_3genE9ELNS1_11target_archE1100ELNS1_3gpuE3ELNS1_3repE0EEENS1_30default_config_static_selectorELNS0_4arch9wavefront6targetE1EEEvT1_
    .private_segment_fixed_size: 0
    .sgpr_count:     4
    .sgpr_spill_count: 0
    .symbol:         _ZN7rocprim17ROCPRIM_400000_NS6detail17trampoline_kernelINS0_14default_configENS1_25partition_config_selectorILNS1_17partition_subalgoE9EllbEEZZNS1_14partition_implILS5_9ELb0ES3_jPlS8_PNS0_10empty_typeENS0_5tupleIJS8_S9_EEENSB_IJS8_SA_EEENS0_18inequality_wrapperIZN2at6native12_GLOBAL__N_124unique_dim_cuda_templateIdEESt5tupleIJNSF_6TensorESK_SK_EERKSK_lbbbEUlllE0_EEPmJS9_EEE10hipError_tPvRmT3_T4_T5_T6_T7_T9_mT8_P12ihipStream_tbDpT10_ENKUlT_T0_E_clISt17integral_constantIbLb0EES19_IbLb1EEEEDaS15_S16_EUlS15_E_NS1_11comp_targetILNS1_3genE9ELNS1_11target_archE1100ELNS1_3gpuE3ELNS1_3repE0EEENS1_30default_config_static_selectorELNS0_4arch9wavefront6targetE1EEEvT1_.kd
    .uniform_work_group_size: 1
    .uses_dynamic_stack: false
    .vgpr_count:     0
    .vgpr_spill_count: 0
    .wavefront_size: 64
  - .agpr_count:     0
    .args:
      - .offset:         0
        .size:           136
        .value_kind:     by_value
    .group_segment_fixed_size: 0
    .kernarg_segment_align: 8
    .kernarg_segment_size: 136
    .language:       OpenCL C
    .language_version:
      - 2
      - 0
    .max_flat_workgroup_size: 512
    .name:           _ZN7rocprim17ROCPRIM_400000_NS6detail17trampoline_kernelINS0_14default_configENS1_25partition_config_selectorILNS1_17partition_subalgoE9EllbEEZZNS1_14partition_implILS5_9ELb0ES3_jPlS8_PNS0_10empty_typeENS0_5tupleIJS8_S9_EEENSB_IJS8_SA_EEENS0_18inequality_wrapperIZN2at6native12_GLOBAL__N_124unique_dim_cuda_templateIdEESt5tupleIJNSF_6TensorESK_SK_EERKSK_lbbbEUlllE0_EEPmJS9_EEE10hipError_tPvRmT3_T4_T5_T6_T7_T9_mT8_P12ihipStream_tbDpT10_ENKUlT_T0_E_clISt17integral_constantIbLb0EES19_IbLb1EEEEDaS15_S16_EUlS15_E_NS1_11comp_targetILNS1_3genE8ELNS1_11target_archE1030ELNS1_3gpuE2ELNS1_3repE0EEENS1_30default_config_static_selectorELNS0_4arch9wavefront6targetE1EEEvT1_
    .private_segment_fixed_size: 0
    .sgpr_count:     4
    .sgpr_spill_count: 0
    .symbol:         _ZN7rocprim17ROCPRIM_400000_NS6detail17trampoline_kernelINS0_14default_configENS1_25partition_config_selectorILNS1_17partition_subalgoE9EllbEEZZNS1_14partition_implILS5_9ELb0ES3_jPlS8_PNS0_10empty_typeENS0_5tupleIJS8_S9_EEENSB_IJS8_SA_EEENS0_18inequality_wrapperIZN2at6native12_GLOBAL__N_124unique_dim_cuda_templateIdEESt5tupleIJNSF_6TensorESK_SK_EERKSK_lbbbEUlllE0_EEPmJS9_EEE10hipError_tPvRmT3_T4_T5_T6_T7_T9_mT8_P12ihipStream_tbDpT10_ENKUlT_T0_E_clISt17integral_constantIbLb0EES19_IbLb1EEEEDaS15_S16_EUlS15_E_NS1_11comp_targetILNS1_3genE8ELNS1_11target_archE1030ELNS1_3gpuE2ELNS1_3repE0EEENS1_30default_config_static_selectorELNS0_4arch9wavefront6targetE1EEEvT1_.kd
    .uniform_work_group_size: 1
    .uses_dynamic_stack: false
    .vgpr_count:     0
    .vgpr_spill_count: 0
    .wavefront_size: 64
  - .agpr_count:     0
    .args:
      - .offset:         0
        .size:           72
        .value_kind:     by_value
    .group_segment_fixed_size: 0
    .kernarg_segment_align: 8
    .kernarg_segment_size: 72
    .language:       OpenCL C
    .language_version:
      - 2
      - 0
    .max_flat_workgroup_size: 256
    .name:           _ZN7rocprim17ROCPRIM_400000_NS6detail17trampoline_kernelINS0_14default_configENS1_37merge_sort_block_sort_config_selectorIlNS0_10empty_typeEEEZNS1_21merge_sort_block_sortIS3_PlS8_PS5_S9_ZN2at6native12_GLOBAL__N_124unique_dim_cuda_templateIfEESt5tupleIJNSA_6TensorESF_SF_EERKSF_lbbbEUlllE_EE10hipError_tT0_T1_T2_T3_mRjT4_P12ihipStream_tbNS1_7vsmem_tEEUlT_E_NS1_11comp_targetILNS1_3genE0ELNS1_11target_archE4294967295ELNS1_3gpuE0ELNS1_3repE0EEENS1_30default_config_static_selectorELNS0_4arch9wavefront6targetE1EEEvSM_
    .private_segment_fixed_size: 0
    .sgpr_count:     4
    .sgpr_spill_count: 0
    .symbol:         _ZN7rocprim17ROCPRIM_400000_NS6detail17trampoline_kernelINS0_14default_configENS1_37merge_sort_block_sort_config_selectorIlNS0_10empty_typeEEEZNS1_21merge_sort_block_sortIS3_PlS8_PS5_S9_ZN2at6native12_GLOBAL__N_124unique_dim_cuda_templateIfEESt5tupleIJNSA_6TensorESF_SF_EERKSF_lbbbEUlllE_EE10hipError_tT0_T1_T2_T3_mRjT4_P12ihipStream_tbNS1_7vsmem_tEEUlT_E_NS1_11comp_targetILNS1_3genE0ELNS1_11target_archE4294967295ELNS1_3gpuE0ELNS1_3repE0EEENS1_30default_config_static_selectorELNS0_4arch9wavefront6targetE1EEEvSM_.kd
    .uniform_work_group_size: 1
    .uses_dynamic_stack: false
    .vgpr_count:     0
    .vgpr_spill_count: 0
    .wavefront_size: 64
  - .agpr_count:     0
    .args:
      - .offset:         0
        .size:           72
        .value_kind:     by_value
    .group_segment_fixed_size: 0
    .kernarg_segment_align: 8
    .kernarg_segment_size: 72
    .language:       OpenCL C
    .language_version:
      - 2
      - 0
    .max_flat_workgroup_size: 256
    .name:           _ZN7rocprim17ROCPRIM_400000_NS6detail17trampoline_kernelINS0_14default_configENS1_37merge_sort_block_sort_config_selectorIlNS0_10empty_typeEEEZNS1_21merge_sort_block_sortIS3_PlS8_PS5_S9_ZN2at6native12_GLOBAL__N_124unique_dim_cuda_templateIfEESt5tupleIJNSA_6TensorESF_SF_EERKSF_lbbbEUlllE_EE10hipError_tT0_T1_T2_T3_mRjT4_P12ihipStream_tbNS1_7vsmem_tEEUlT_E_NS1_11comp_targetILNS1_3genE5ELNS1_11target_archE942ELNS1_3gpuE9ELNS1_3repE0EEENS1_30default_config_static_selectorELNS0_4arch9wavefront6targetE1EEEvSM_
    .private_segment_fixed_size: 0
    .sgpr_count:     4
    .sgpr_spill_count: 0
    .symbol:         _ZN7rocprim17ROCPRIM_400000_NS6detail17trampoline_kernelINS0_14default_configENS1_37merge_sort_block_sort_config_selectorIlNS0_10empty_typeEEEZNS1_21merge_sort_block_sortIS3_PlS8_PS5_S9_ZN2at6native12_GLOBAL__N_124unique_dim_cuda_templateIfEESt5tupleIJNSA_6TensorESF_SF_EERKSF_lbbbEUlllE_EE10hipError_tT0_T1_T2_T3_mRjT4_P12ihipStream_tbNS1_7vsmem_tEEUlT_E_NS1_11comp_targetILNS1_3genE5ELNS1_11target_archE942ELNS1_3gpuE9ELNS1_3repE0EEENS1_30default_config_static_selectorELNS0_4arch9wavefront6targetE1EEEvSM_.kd
    .uniform_work_group_size: 1
    .uses_dynamic_stack: false
    .vgpr_count:     0
    .vgpr_spill_count: 0
    .wavefront_size: 64
  - .agpr_count:     0
    .args:
      - .offset:         0
        .size:           72
        .value_kind:     by_value
      - .offset:         72
        .size:           4
        .value_kind:     hidden_block_count_x
      - .offset:         76
        .size:           4
        .value_kind:     hidden_block_count_y
      - .offset:         80
        .size:           4
        .value_kind:     hidden_block_count_z
      - .offset:         84
        .size:           2
        .value_kind:     hidden_group_size_x
      - .offset:         86
        .size:           2
        .value_kind:     hidden_group_size_y
      - .offset:         88
        .size:           2
        .value_kind:     hidden_group_size_z
      - .offset:         90
        .size:           2
        .value_kind:     hidden_remainder_x
      - .offset:         92
        .size:           2
        .value_kind:     hidden_remainder_y
      - .offset:         94
        .size:           2
        .value_kind:     hidden_remainder_z
      - .offset:         112
        .size:           8
        .value_kind:     hidden_global_offset_x
      - .offset:         120
        .size:           8
        .value_kind:     hidden_global_offset_y
      - .offset:         128
        .size:           8
        .value_kind:     hidden_global_offset_z
      - .offset:         136
        .size:           2
        .value_kind:     hidden_grid_dims
    .group_segment_fixed_size: 8448
    .kernarg_segment_align: 8
    .kernarg_segment_size: 328
    .language:       OpenCL C
    .language_version:
      - 2
      - 0
    .max_flat_workgroup_size: 256
    .name:           _ZN7rocprim17ROCPRIM_400000_NS6detail17trampoline_kernelINS0_14default_configENS1_37merge_sort_block_sort_config_selectorIlNS0_10empty_typeEEEZNS1_21merge_sort_block_sortIS3_PlS8_PS5_S9_ZN2at6native12_GLOBAL__N_124unique_dim_cuda_templateIfEESt5tupleIJNSA_6TensorESF_SF_EERKSF_lbbbEUlllE_EE10hipError_tT0_T1_T2_T3_mRjT4_P12ihipStream_tbNS1_7vsmem_tEEUlT_E_NS1_11comp_targetILNS1_3genE4ELNS1_11target_archE910ELNS1_3gpuE8ELNS1_3repE0EEENS1_30default_config_static_selectorELNS0_4arch9wavefront6targetE1EEEvSM_
    .private_segment_fixed_size: 0
    .sgpr_count:     61
    .sgpr_spill_count: 0
    .symbol:         _ZN7rocprim17ROCPRIM_400000_NS6detail17trampoline_kernelINS0_14default_configENS1_37merge_sort_block_sort_config_selectorIlNS0_10empty_typeEEEZNS1_21merge_sort_block_sortIS3_PlS8_PS5_S9_ZN2at6native12_GLOBAL__N_124unique_dim_cuda_templateIfEESt5tupleIJNSA_6TensorESF_SF_EERKSF_lbbbEUlllE_EE10hipError_tT0_T1_T2_T3_mRjT4_P12ihipStream_tbNS1_7vsmem_tEEUlT_E_NS1_11comp_targetILNS1_3genE4ELNS1_11target_archE910ELNS1_3gpuE8ELNS1_3repE0EEENS1_30default_config_static_selectorELNS0_4arch9wavefront6targetE1EEEvSM_.kd
    .uniform_work_group_size: 1
    .uses_dynamic_stack: false
    .vgpr_count:     42
    .vgpr_spill_count: 0
    .wavefront_size: 64
  - .agpr_count:     0
    .args:
      - .offset:         0
        .size:           72
        .value_kind:     by_value
    .group_segment_fixed_size: 0
    .kernarg_segment_align: 8
    .kernarg_segment_size: 72
    .language:       OpenCL C
    .language_version:
      - 2
      - 0
    .max_flat_workgroup_size: 256
    .name:           _ZN7rocprim17ROCPRIM_400000_NS6detail17trampoline_kernelINS0_14default_configENS1_37merge_sort_block_sort_config_selectorIlNS0_10empty_typeEEEZNS1_21merge_sort_block_sortIS3_PlS8_PS5_S9_ZN2at6native12_GLOBAL__N_124unique_dim_cuda_templateIfEESt5tupleIJNSA_6TensorESF_SF_EERKSF_lbbbEUlllE_EE10hipError_tT0_T1_T2_T3_mRjT4_P12ihipStream_tbNS1_7vsmem_tEEUlT_E_NS1_11comp_targetILNS1_3genE3ELNS1_11target_archE908ELNS1_3gpuE7ELNS1_3repE0EEENS1_30default_config_static_selectorELNS0_4arch9wavefront6targetE1EEEvSM_
    .private_segment_fixed_size: 0
    .sgpr_count:     4
    .sgpr_spill_count: 0
    .symbol:         _ZN7rocprim17ROCPRIM_400000_NS6detail17trampoline_kernelINS0_14default_configENS1_37merge_sort_block_sort_config_selectorIlNS0_10empty_typeEEEZNS1_21merge_sort_block_sortIS3_PlS8_PS5_S9_ZN2at6native12_GLOBAL__N_124unique_dim_cuda_templateIfEESt5tupleIJNSA_6TensorESF_SF_EERKSF_lbbbEUlllE_EE10hipError_tT0_T1_T2_T3_mRjT4_P12ihipStream_tbNS1_7vsmem_tEEUlT_E_NS1_11comp_targetILNS1_3genE3ELNS1_11target_archE908ELNS1_3gpuE7ELNS1_3repE0EEENS1_30default_config_static_selectorELNS0_4arch9wavefront6targetE1EEEvSM_.kd
    .uniform_work_group_size: 1
    .uses_dynamic_stack: false
    .vgpr_count:     0
    .vgpr_spill_count: 0
    .wavefront_size: 64
  - .agpr_count:     0
    .args:
      - .offset:         0
        .size:           72
        .value_kind:     by_value
    .group_segment_fixed_size: 0
    .kernarg_segment_align: 8
    .kernarg_segment_size: 72
    .language:       OpenCL C
    .language_version:
      - 2
      - 0
    .max_flat_workgroup_size: 256
    .name:           _ZN7rocprim17ROCPRIM_400000_NS6detail17trampoline_kernelINS0_14default_configENS1_37merge_sort_block_sort_config_selectorIlNS0_10empty_typeEEEZNS1_21merge_sort_block_sortIS3_PlS8_PS5_S9_ZN2at6native12_GLOBAL__N_124unique_dim_cuda_templateIfEESt5tupleIJNSA_6TensorESF_SF_EERKSF_lbbbEUlllE_EE10hipError_tT0_T1_T2_T3_mRjT4_P12ihipStream_tbNS1_7vsmem_tEEUlT_E_NS1_11comp_targetILNS1_3genE2ELNS1_11target_archE906ELNS1_3gpuE6ELNS1_3repE0EEENS1_30default_config_static_selectorELNS0_4arch9wavefront6targetE1EEEvSM_
    .private_segment_fixed_size: 0
    .sgpr_count:     4
    .sgpr_spill_count: 0
    .symbol:         _ZN7rocprim17ROCPRIM_400000_NS6detail17trampoline_kernelINS0_14default_configENS1_37merge_sort_block_sort_config_selectorIlNS0_10empty_typeEEEZNS1_21merge_sort_block_sortIS3_PlS8_PS5_S9_ZN2at6native12_GLOBAL__N_124unique_dim_cuda_templateIfEESt5tupleIJNSA_6TensorESF_SF_EERKSF_lbbbEUlllE_EE10hipError_tT0_T1_T2_T3_mRjT4_P12ihipStream_tbNS1_7vsmem_tEEUlT_E_NS1_11comp_targetILNS1_3genE2ELNS1_11target_archE906ELNS1_3gpuE6ELNS1_3repE0EEENS1_30default_config_static_selectorELNS0_4arch9wavefront6targetE1EEEvSM_.kd
    .uniform_work_group_size: 1
    .uses_dynamic_stack: false
    .vgpr_count:     0
    .vgpr_spill_count: 0
    .wavefront_size: 64
  - .agpr_count:     0
    .args:
      - .offset:         0
        .size:           72
        .value_kind:     by_value
    .group_segment_fixed_size: 0
    .kernarg_segment_align: 8
    .kernarg_segment_size: 72
    .language:       OpenCL C
    .language_version:
      - 2
      - 0
    .max_flat_workgroup_size: 256
    .name:           _ZN7rocprim17ROCPRIM_400000_NS6detail17trampoline_kernelINS0_14default_configENS1_37merge_sort_block_sort_config_selectorIlNS0_10empty_typeEEEZNS1_21merge_sort_block_sortIS3_PlS8_PS5_S9_ZN2at6native12_GLOBAL__N_124unique_dim_cuda_templateIfEESt5tupleIJNSA_6TensorESF_SF_EERKSF_lbbbEUlllE_EE10hipError_tT0_T1_T2_T3_mRjT4_P12ihipStream_tbNS1_7vsmem_tEEUlT_E_NS1_11comp_targetILNS1_3genE10ELNS1_11target_archE1201ELNS1_3gpuE5ELNS1_3repE0EEENS1_30default_config_static_selectorELNS0_4arch9wavefront6targetE1EEEvSM_
    .private_segment_fixed_size: 0
    .sgpr_count:     4
    .sgpr_spill_count: 0
    .symbol:         _ZN7rocprim17ROCPRIM_400000_NS6detail17trampoline_kernelINS0_14default_configENS1_37merge_sort_block_sort_config_selectorIlNS0_10empty_typeEEEZNS1_21merge_sort_block_sortIS3_PlS8_PS5_S9_ZN2at6native12_GLOBAL__N_124unique_dim_cuda_templateIfEESt5tupleIJNSA_6TensorESF_SF_EERKSF_lbbbEUlllE_EE10hipError_tT0_T1_T2_T3_mRjT4_P12ihipStream_tbNS1_7vsmem_tEEUlT_E_NS1_11comp_targetILNS1_3genE10ELNS1_11target_archE1201ELNS1_3gpuE5ELNS1_3repE0EEENS1_30default_config_static_selectorELNS0_4arch9wavefront6targetE1EEEvSM_.kd
    .uniform_work_group_size: 1
    .uses_dynamic_stack: false
    .vgpr_count:     0
    .vgpr_spill_count: 0
    .wavefront_size: 64
  - .agpr_count:     0
    .args:
      - .offset:         0
        .size:           72
        .value_kind:     by_value
    .group_segment_fixed_size: 0
    .kernarg_segment_align: 8
    .kernarg_segment_size: 72
    .language:       OpenCL C
    .language_version:
      - 2
      - 0
    .max_flat_workgroup_size: 512
    .name:           _ZN7rocprim17ROCPRIM_400000_NS6detail17trampoline_kernelINS0_14default_configENS1_37merge_sort_block_sort_config_selectorIlNS0_10empty_typeEEEZNS1_21merge_sort_block_sortIS3_PlS8_PS5_S9_ZN2at6native12_GLOBAL__N_124unique_dim_cuda_templateIfEESt5tupleIJNSA_6TensorESF_SF_EERKSF_lbbbEUlllE_EE10hipError_tT0_T1_T2_T3_mRjT4_P12ihipStream_tbNS1_7vsmem_tEEUlT_E_NS1_11comp_targetILNS1_3genE10ELNS1_11target_archE1200ELNS1_3gpuE4ELNS1_3repE0EEENS1_30default_config_static_selectorELNS0_4arch9wavefront6targetE1EEEvSM_
    .private_segment_fixed_size: 0
    .sgpr_count:     4
    .sgpr_spill_count: 0
    .symbol:         _ZN7rocprim17ROCPRIM_400000_NS6detail17trampoline_kernelINS0_14default_configENS1_37merge_sort_block_sort_config_selectorIlNS0_10empty_typeEEEZNS1_21merge_sort_block_sortIS3_PlS8_PS5_S9_ZN2at6native12_GLOBAL__N_124unique_dim_cuda_templateIfEESt5tupleIJNSA_6TensorESF_SF_EERKSF_lbbbEUlllE_EE10hipError_tT0_T1_T2_T3_mRjT4_P12ihipStream_tbNS1_7vsmem_tEEUlT_E_NS1_11comp_targetILNS1_3genE10ELNS1_11target_archE1200ELNS1_3gpuE4ELNS1_3repE0EEENS1_30default_config_static_selectorELNS0_4arch9wavefront6targetE1EEEvSM_.kd
    .uniform_work_group_size: 1
    .uses_dynamic_stack: false
    .vgpr_count:     0
    .vgpr_spill_count: 0
    .wavefront_size: 64
  - .agpr_count:     0
    .args:
      - .offset:         0
        .size:           72
        .value_kind:     by_value
    .group_segment_fixed_size: 0
    .kernarg_segment_align: 8
    .kernarg_segment_size: 72
    .language:       OpenCL C
    .language_version:
      - 2
      - 0
    .max_flat_workgroup_size: 256
    .name:           _ZN7rocprim17ROCPRIM_400000_NS6detail17trampoline_kernelINS0_14default_configENS1_37merge_sort_block_sort_config_selectorIlNS0_10empty_typeEEEZNS1_21merge_sort_block_sortIS3_PlS8_PS5_S9_ZN2at6native12_GLOBAL__N_124unique_dim_cuda_templateIfEESt5tupleIJNSA_6TensorESF_SF_EERKSF_lbbbEUlllE_EE10hipError_tT0_T1_T2_T3_mRjT4_P12ihipStream_tbNS1_7vsmem_tEEUlT_E_NS1_11comp_targetILNS1_3genE9ELNS1_11target_archE1100ELNS1_3gpuE3ELNS1_3repE0EEENS1_30default_config_static_selectorELNS0_4arch9wavefront6targetE1EEEvSM_
    .private_segment_fixed_size: 0
    .sgpr_count:     4
    .sgpr_spill_count: 0
    .symbol:         _ZN7rocprim17ROCPRIM_400000_NS6detail17trampoline_kernelINS0_14default_configENS1_37merge_sort_block_sort_config_selectorIlNS0_10empty_typeEEEZNS1_21merge_sort_block_sortIS3_PlS8_PS5_S9_ZN2at6native12_GLOBAL__N_124unique_dim_cuda_templateIfEESt5tupleIJNSA_6TensorESF_SF_EERKSF_lbbbEUlllE_EE10hipError_tT0_T1_T2_T3_mRjT4_P12ihipStream_tbNS1_7vsmem_tEEUlT_E_NS1_11comp_targetILNS1_3genE9ELNS1_11target_archE1100ELNS1_3gpuE3ELNS1_3repE0EEENS1_30default_config_static_selectorELNS0_4arch9wavefront6targetE1EEEvSM_.kd
    .uniform_work_group_size: 1
    .uses_dynamic_stack: false
    .vgpr_count:     0
    .vgpr_spill_count: 0
    .wavefront_size: 64
  - .agpr_count:     0
    .args:
      - .offset:         0
        .size:           72
        .value_kind:     by_value
    .group_segment_fixed_size: 0
    .kernarg_segment_align: 8
    .kernarg_segment_size: 72
    .language:       OpenCL C
    .language_version:
      - 2
      - 0
    .max_flat_workgroup_size: 256
    .name:           _ZN7rocprim17ROCPRIM_400000_NS6detail17trampoline_kernelINS0_14default_configENS1_37merge_sort_block_sort_config_selectorIlNS0_10empty_typeEEEZNS1_21merge_sort_block_sortIS3_PlS8_PS5_S9_ZN2at6native12_GLOBAL__N_124unique_dim_cuda_templateIfEESt5tupleIJNSA_6TensorESF_SF_EERKSF_lbbbEUlllE_EE10hipError_tT0_T1_T2_T3_mRjT4_P12ihipStream_tbNS1_7vsmem_tEEUlT_E_NS1_11comp_targetILNS1_3genE8ELNS1_11target_archE1030ELNS1_3gpuE2ELNS1_3repE0EEENS1_30default_config_static_selectorELNS0_4arch9wavefront6targetE1EEEvSM_
    .private_segment_fixed_size: 0
    .sgpr_count:     4
    .sgpr_spill_count: 0
    .symbol:         _ZN7rocprim17ROCPRIM_400000_NS6detail17trampoline_kernelINS0_14default_configENS1_37merge_sort_block_sort_config_selectorIlNS0_10empty_typeEEEZNS1_21merge_sort_block_sortIS3_PlS8_PS5_S9_ZN2at6native12_GLOBAL__N_124unique_dim_cuda_templateIfEESt5tupleIJNSA_6TensorESF_SF_EERKSF_lbbbEUlllE_EE10hipError_tT0_T1_T2_T3_mRjT4_P12ihipStream_tbNS1_7vsmem_tEEUlT_E_NS1_11comp_targetILNS1_3genE8ELNS1_11target_archE1030ELNS1_3gpuE2ELNS1_3repE0EEENS1_30default_config_static_selectorELNS0_4arch9wavefront6targetE1EEEvSM_.kd
    .uniform_work_group_size: 1
    .uses_dynamic_stack: false
    .vgpr_count:     0
    .vgpr_spill_count: 0
    .wavefront_size: 64
  - .agpr_count:     0
    .args:
      - .offset:         0
        .size:           56
        .value_kind:     by_value
    .group_segment_fixed_size: 0
    .kernarg_segment_align: 8
    .kernarg_segment_size: 56
    .language:       OpenCL C
    .language_version:
      - 2
      - 0
    .max_flat_workgroup_size: 128
    .name:           _ZN7rocprim17ROCPRIM_400000_NS6detail17trampoline_kernelINS0_14default_configENS1_38merge_sort_block_merge_config_selectorIlNS0_10empty_typeEEEZZNS1_27merge_sort_block_merge_implIS3_PlPS5_mZN2at6native12_GLOBAL__N_124unique_dim_cuda_templateIfEESt5tupleIJNSA_6TensorESF_SF_EERKSF_lbbbEUlllE_EE10hipError_tT0_T1_T2_jT3_P12ihipStream_tbPNSt15iterator_traitsISL_E10value_typeEPNSR_ISM_E10value_typeEPSN_NS1_7vsmem_tEENKUlT_SL_SM_SN_E_clIS8_S8_S9_S9_EESK_S10_SL_SM_SN_EUlS10_E_NS1_11comp_targetILNS1_3genE0ELNS1_11target_archE4294967295ELNS1_3gpuE0ELNS1_3repE0EEENS1_48merge_mergepath_partition_config_static_selectorELNS0_4arch9wavefront6targetE1EEEvSM_
    .private_segment_fixed_size: 0
    .sgpr_count:     4
    .sgpr_spill_count: 0
    .symbol:         _ZN7rocprim17ROCPRIM_400000_NS6detail17trampoline_kernelINS0_14default_configENS1_38merge_sort_block_merge_config_selectorIlNS0_10empty_typeEEEZZNS1_27merge_sort_block_merge_implIS3_PlPS5_mZN2at6native12_GLOBAL__N_124unique_dim_cuda_templateIfEESt5tupleIJNSA_6TensorESF_SF_EERKSF_lbbbEUlllE_EE10hipError_tT0_T1_T2_jT3_P12ihipStream_tbPNSt15iterator_traitsISL_E10value_typeEPNSR_ISM_E10value_typeEPSN_NS1_7vsmem_tEENKUlT_SL_SM_SN_E_clIS8_S8_S9_S9_EESK_S10_SL_SM_SN_EUlS10_E_NS1_11comp_targetILNS1_3genE0ELNS1_11target_archE4294967295ELNS1_3gpuE0ELNS1_3repE0EEENS1_48merge_mergepath_partition_config_static_selectorELNS0_4arch9wavefront6targetE1EEEvSM_.kd
    .uniform_work_group_size: 1
    .uses_dynamic_stack: false
    .vgpr_count:     0
    .vgpr_spill_count: 0
    .wavefront_size: 64
  - .agpr_count:     0
    .args:
      - .offset:         0
        .size:           56
        .value_kind:     by_value
    .group_segment_fixed_size: 0
    .kernarg_segment_align: 8
    .kernarg_segment_size: 56
    .language:       OpenCL C
    .language_version:
      - 2
      - 0
    .max_flat_workgroup_size: 128
    .name:           _ZN7rocprim17ROCPRIM_400000_NS6detail17trampoline_kernelINS0_14default_configENS1_38merge_sort_block_merge_config_selectorIlNS0_10empty_typeEEEZZNS1_27merge_sort_block_merge_implIS3_PlPS5_mZN2at6native12_GLOBAL__N_124unique_dim_cuda_templateIfEESt5tupleIJNSA_6TensorESF_SF_EERKSF_lbbbEUlllE_EE10hipError_tT0_T1_T2_jT3_P12ihipStream_tbPNSt15iterator_traitsISL_E10value_typeEPNSR_ISM_E10value_typeEPSN_NS1_7vsmem_tEENKUlT_SL_SM_SN_E_clIS8_S8_S9_S9_EESK_S10_SL_SM_SN_EUlS10_E_NS1_11comp_targetILNS1_3genE10ELNS1_11target_archE1201ELNS1_3gpuE5ELNS1_3repE0EEENS1_48merge_mergepath_partition_config_static_selectorELNS0_4arch9wavefront6targetE1EEEvSM_
    .private_segment_fixed_size: 0
    .sgpr_count:     4
    .sgpr_spill_count: 0
    .symbol:         _ZN7rocprim17ROCPRIM_400000_NS6detail17trampoline_kernelINS0_14default_configENS1_38merge_sort_block_merge_config_selectorIlNS0_10empty_typeEEEZZNS1_27merge_sort_block_merge_implIS3_PlPS5_mZN2at6native12_GLOBAL__N_124unique_dim_cuda_templateIfEESt5tupleIJNSA_6TensorESF_SF_EERKSF_lbbbEUlllE_EE10hipError_tT0_T1_T2_jT3_P12ihipStream_tbPNSt15iterator_traitsISL_E10value_typeEPNSR_ISM_E10value_typeEPSN_NS1_7vsmem_tEENKUlT_SL_SM_SN_E_clIS8_S8_S9_S9_EESK_S10_SL_SM_SN_EUlS10_E_NS1_11comp_targetILNS1_3genE10ELNS1_11target_archE1201ELNS1_3gpuE5ELNS1_3repE0EEENS1_48merge_mergepath_partition_config_static_selectorELNS0_4arch9wavefront6targetE1EEEvSM_.kd
    .uniform_work_group_size: 1
    .uses_dynamic_stack: false
    .vgpr_count:     0
    .vgpr_spill_count: 0
    .wavefront_size: 64
  - .agpr_count:     0
    .args:
      - .offset:         0
        .size:           56
        .value_kind:     by_value
    .group_segment_fixed_size: 0
    .kernarg_segment_align: 8
    .kernarg_segment_size: 56
    .language:       OpenCL C
    .language_version:
      - 2
      - 0
    .max_flat_workgroup_size: 128
    .name:           _ZN7rocprim17ROCPRIM_400000_NS6detail17trampoline_kernelINS0_14default_configENS1_38merge_sort_block_merge_config_selectorIlNS0_10empty_typeEEEZZNS1_27merge_sort_block_merge_implIS3_PlPS5_mZN2at6native12_GLOBAL__N_124unique_dim_cuda_templateIfEESt5tupleIJNSA_6TensorESF_SF_EERKSF_lbbbEUlllE_EE10hipError_tT0_T1_T2_jT3_P12ihipStream_tbPNSt15iterator_traitsISL_E10value_typeEPNSR_ISM_E10value_typeEPSN_NS1_7vsmem_tEENKUlT_SL_SM_SN_E_clIS8_S8_S9_S9_EESK_S10_SL_SM_SN_EUlS10_E_NS1_11comp_targetILNS1_3genE5ELNS1_11target_archE942ELNS1_3gpuE9ELNS1_3repE0EEENS1_48merge_mergepath_partition_config_static_selectorELNS0_4arch9wavefront6targetE1EEEvSM_
    .private_segment_fixed_size: 0
    .sgpr_count:     4
    .sgpr_spill_count: 0
    .symbol:         _ZN7rocprim17ROCPRIM_400000_NS6detail17trampoline_kernelINS0_14default_configENS1_38merge_sort_block_merge_config_selectorIlNS0_10empty_typeEEEZZNS1_27merge_sort_block_merge_implIS3_PlPS5_mZN2at6native12_GLOBAL__N_124unique_dim_cuda_templateIfEESt5tupleIJNSA_6TensorESF_SF_EERKSF_lbbbEUlllE_EE10hipError_tT0_T1_T2_jT3_P12ihipStream_tbPNSt15iterator_traitsISL_E10value_typeEPNSR_ISM_E10value_typeEPSN_NS1_7vsmem_tEENKUlT_SL_SM_SN_E_clIS8_S8_S9_S9_EESK_S10_SL_SM_SN_EUlS10_E_NS1_11comp_targetILNS1_3genE5ELNS1_11target_archE942ELNS1_3gpuE9ELNS1_3repE0EEENS1_48merge_mergepath_partition_config_static_selectorELNS0_4arch9wavefront6targetE1EEEvSM_.kd
    .uniform_work_group_size: 1
    .uses_dynamic_stack: false
    .vgpr_count:     0
    .vgpr_spill_count: 0
    .wavefront_size: 64
  - .agpr_count:     0
    .args:
      - .offset:         0
        .size:           56
        .value_kind:     by_value
    .group_segment_fixed_size: 0
    .kernarg_segment_align: 8
    .kernarg_segment_size: 56
    .language:       OpenCL C
    .language_version:
      - 2
      - 0
    .max_flat_workgroup_size: 128
    .name:           _ZN7rocprim17ROCPRIM_400000_NS6detail17trampoline_kernelINS0_14default_configENS1_38merge_sort_block_merge_config_selectorIlNS0_10empty_typeEEEZZNS1_27merge_sort_block_merge_implIS3_PlPS5_mZN2at6native12_GLOBAL__N_124unique_dim_cuda_templateIfEESt5tupleIJNSA_6TensorESF_SF_EERKSF_lbbbEUlllE_EE10hipError_tT0_T1_T2_jT3_P12ihipStream_tbPNSt15iterator_traitsISL_E10value_typeEPNSR_ISM_E10value_typeEPSN_NS1_7vsmem_tEENKUlT_SL_SM_SN_E_clIS8_S8_S9_S9_EESK_S10_SL_SM_SN_EUlS10_E_NS1_11comp_targetILNS1_3genE4ELNS1_11target_archE910ELNS1_3gpuE8ELNS1_3repE0EEENS1_48merge_mergepath_partition_config_static_selectorELNS0_4arch9wavefront6targetE1EEEvSM_
    .private_segment_fixed_size: 0
    .sgpr_count:     40
    .sgpr_spill_count: 0
    .symbol:         _ZN7rocprim17ROCPRIM_400000_NS6detail17trampoline_kernelINS0_14default_configENS1_38merge_sort_block_merge_config_selectorIlNS0_10empty_typeEEEZZNS1_27merge_sort_block_merge_implIS3_PlPS5_mZN2at6native12_GLOBAL__N_124unique_dim_cuda_templateIfEESt5tupleIJNSA_6TensorESF_SF_EERKSF_lbbbEUlllE_EE10hipError_tT0_T1_T2_jT3_P12ihipStream_tbPNSt15iterator_traitsISL_E10value_typeEPNSR_ISM_E10value_typeEPSN_NS1_7vsmem_tEENKUlT_SL_SM_SN_E_clIS8_S8_S9_S9_EESK_S10_SL_SM_SN_EUlS10_E_NS1_11comp_targetILNS1_3genE4ELNS1_11target_archE910ELNS1_3gpuE8ELNS1_3repE0EEENS1_48merge_mergepath_partition_config_static_selectorELNS0_4arch9wavefront6targetE1EEEvSM_.kd
    .uniform_work_group_size: 1
    .uses_dynamic_stack: false
    .vgpr_count:     23
    .vgpr_spill_count: 0
    .wavefront_size: 64
  - .agpr_count:     0
    .args:
      - .offset:         0
        .size:           56
        .value_kind:     by_value
    .group_segment_fixed_size: 0
    .kernarg_segment_align: 8
    .kernarg_segment_size: 56
    .language:       OpenCL C
    .language_version:
      - 2
      - 0
    .max_flat_workgroup_size: 128
    .name:           _ZN7rocprim17ROCPRIM_400000_NS6detail17trampoline_kernelINS0_14default_configENS1_38merge_sort_block_merge_config_selectorIlNS0_10empty_typeEEEZZNS1_27merge_sort_block_merge_implIS3_PlPS5_mZN2at6native12_GLOBAL__N_124unique_dim_cuda_templateIfEESt5tupleIJNSA_6TensorESF_SF_EERKSF_lbbbEUlllE_EE10hipError_tT0_T1_T2_jT3_P12ihipStream_tbPNSt15iterator_traitsISL_E10value_typeEPNSR_ISM_E10value_typeEPSN_NS1_7vsmem_tEENKUlT_SL_SM_SN_E_clIS8_S8_S9_S9_EESK_S10_SL_SM_SN_EUlS10_E_NS1_11comp_targetILNS1_3genE3ELNS1_11target_archE908ELNS1_3gpuE7ELNS1_3repE0EEENS1_48merge_mergepath_partition_config_static_selectorELNS0_4arch9wavefront6targetE1EEEvSM_
    .private_segment_fixed_size: 0
    .sgpr_count:     4
    .sgpr_spill_count: 0
    .symbol:         _ZN7rocprim17ROCPRIM_400000_NS6detail17trampoline_kernelINS0_14default_configENS1_38merge_sort_block_merge_config_selectorIlNS0_10empty_typeEEEZZNS1_27merge_sort_block_merge_implIS3_PlPS5_mZN2at6native12_GLOBAL__N_124unique_dim_cuda_templateIfEESt5tupleIJNSA_6TensorESF_SF_EERKSF_lbbbEUlllE_EE10hipError_tT0_T1_T2_jT3_P12ihipStream_tbPNSt15iterator_traitsISL_E10value_typeEPNSR_ISM_E10value_typeEPSN_NS1_7vsmem_tEENKUlT_SL_SM_SN_E_clIS8_S8_S9_S9_EESK_S10_SL_SM_SN_EUlS10_E_NS1_11comp_targetILNS1_3genE3ELNS1_11target_archE908ELNS1_3gpuE7ELNS1_3repE0EEENS1_48merge_mergepath_partition_config_static_selectorELNS0_4arch9wavefront6targetE1EEEvSM_.kd
    .uniform_work_group_size: 1
    .uses_dynamic_stack: false
    .vgpr_count:     0
    .vgpr_spill_count: 0
    .wavefront_size: 64
  - .agpr_count:     0
    .args:
      - .offset:         0
        .size:           56
        .value_kind:     by_value
    .group_segment_fixed_size: 0
    .kernarg_segment_align: 8
    .kernarg_segment_size: 56
    .language:       OpenCL C
    .language_version:
      - 2
      - 0
    .max_flat_workgroup_size: 128
    .name:           _ZN7rocprim17ROCPRIM_400000_NS6detail17trampoline_kernelINS0_14default_configENS1_38merge_sort_block_merge_config_selectorIlNS0_10empty_typeEEEZZNS1_27merge_sort_block_merge_implIS3_PlPS5_mZN2at6native12_GLOBAL__N_124unique_dim_cuda_templateIfEESt5tupleIJNSA_6TensorESF_SF_EERKSF_lbbbEUlllE_EE10hipError_tT0_T1_T2_jT3_P12ihipStream_tbPNSt15iterator_traitsISL_E10value_typeEPNSR_ISM_E10value_typeEPSN_NS1_7vsmem_tEENKUlT_SL_SM_SN_E_clIS8_S8_S9_S9_EESK_S10_SL_SM_SN_EUlS10_E_NS1_11comp_targetILNS1_3genE2ELNS1_11target_archE906ELNS1_3gpuE6ELNS1_3repE0EEENS1_48merge_mergepath_partition_config_static_selectorELNS0_4arch9wavefront6targetE1EEEvSM_
    .private_segment_fixed_size: 0
    .sgpr_count:     4
    .sgpr_spill_count: 0
    .symbol:         _ZN7rocprim17ROCPRIM_400000_NS6detail17trampoline_kernelINS0_14default_configENS1_38merge_sort_block_merge_config_selectorIlNS0_10empty_typeEEEZZNS1_27merge_sort_block_merge_implIS3_PlPS5_mZN2at6native12_GLOBAL__N_124unique_dim_cuda_templateIfEESt5tupleIJNSA_6TensorESF_SF_EERKSF_lbbbEUlllE_EE10hipError_tT0_T1_T2_jT3_P12ihipStream_tbPNSt15iterator_traitsISL_E10value_typeEPNSR_ISM_E10value_typeEPSN_NS1_7vsmem_tEENKUlT_SL_SM_SN_E_clIS8_S8_S9_S9_EESK_S10_SL_SM_SN_EUlS10_E_NS1_11comp_targetILNS1_3genE2ELNS1_11target_archE906ELNS1_3gpuE6ELNS1_3repE0EEENS1_48merge_mergepath_partition_config_static_selectorELNS0_4arch9wavefront6targetE1EEEvSM_.kd
    .uniform_work_group_size: 1
    .uses_dynamic_stack: false
    .vgpr_count:     0
    .vgpr_spill_count: 0
    .wavefront_size: 64
  - .agpr_count:     0
    .args:
      - .offset:         0
        .size:           56
        .value_kind:     by_value
    .group_segment_fixed_size: 0
    .kernarg_segment_align: 8
    .kernarg_segment_size: 56
    .language:       OpenCL C
    .language_version:
      - 2
      - 0
    .max_flat_workgroup_size: 128
    .name:           _ZN7rocprim17ROCPRIM_400000_NS6detail17trampoline_kernelINS0_14default_configENS1_38merge_sort_block_merge_config_selectorIlNS0_10empty_typeEEEZZNS1_27merge_sort_block_merge_implIS3_PlPS5_mZN2at6native12_GLOBAL__N_124unique_dim_cuda_templateIfEESt5tupleIJNSA_6TensorESF_SF_EERKSF_lbbbEUlllE_EE10hipError_tT0_T1_T2_jT3_P12ihipStream_tbPNSt15iterator_traitsISL_E10value_typeEPNSR_ISM_E10value_typeEPSN_NS1_7vsmem_tEENKUlT_SL_SM_SN_E_clIS8_S8_S9_S9_EESK_S10_SL_SM_SN_EUlS10_E_NS1_11comp_targetILNS1_3genE9ELNS1_11target_archE1100ELNS1_3gpuE3ELNS1_3repE0EEENS1_48merge_mergepath_partition_config_static_selectorELNS0_4arch9wavefront6targetE1EEEvSM_
    .private_segment_fixed_size: 0
    .sgpr_count:     4
    .sgpr_spill_count: 0
    .symbol:         _ZN7rocprim17ROCPRIM_400000_NS6detail17trampoline_kernelINS0_14default_configENS1_38merge_sort_block_merge_config_selectorIlNS0_10empty_typeEEEZZNS1_27merge_sort_block_merge_implIS3_PlPS5_mZN2at6native12_GLOBAL__N_124unique_dim_cuda_templateIfEESt5tupleIJNSA_6TensorESF_SF_EERKSF_lbbbEUlllE_EE10hipError_tT0_T1_T2_jT3_P12ihipStream_tbPNSt15iterator_traitsISL_E10value_typeEPNSR_ISM_E10value_typeEPSN_NS1_7vsmem_tEENKUlT_SL_SM_SN_E_clIS8_S8_S9_S9_EESK_S10_SL_SM_SN_EUlS10_E_NS1_11comp_targetILNS1_3genE9ELNS1_11target_archE1100ELNS1_3gpuE3ELNS1_3repE0EEENS1_48merge_mergepath_partition_config_static_selectorELNS0_4arch9wavefront6targetE1EEEvSM_.kd
    .uniform_work_group_size: 1
    .uses_dynamic_stack: false
    .vgpr_count:     0
    .vgpr_spill_count: 0
    .wavefront_size: 64
  - .agpr_count:     0
    .args:
      - .offset:         0
        .size:           56
        .value_kind:     by_value
    .group_segment_fixed_size: 0
    .kernarg_segment_align: 8
    .kernarg_segment_size: 56
    .language:       OpenCL C
    .language_version:
      - 2
      - 0
    .max_flat_workgroup_size: 128
    .name:           _ZN7rocprim17ROCPRIM_400000_NS6detail17trampoline_kernelINS0_14default_configENS1_38merge_sort_block_merge_config_selectorIlNS0_10empty_typeEEEZZNS1_27merge_sort_block_merge_implIS3_PlPS5_mZN2at6native12_GLOBAL__N_124unique_dim_cuda_templateIfEESt5tupleIJNSA_6TensorESF_SF_EERKSF_lbbbEUlllE_EE10hipError_tT0_T1_T2_jT3_P12ihipStream_tbPNSt15iterator_traitsISL_E10value_typeEPNSR_ISM_E10value_typeEPSN_NS1_7vsmem_tEENKUlT_SL_SM_SN_E_clIS8_S8_S9_S9_EESK_S10_SL_SM_SN_EUlS10_E_NS1_11comp_targetILNS1_3genE8ELNS1_11target_archE1030ELNS1_3gpuE2ELNS1_3repE0EEENS1_48merge_mergepath_partition_config_static_selectorELNS0_4arch9wavefront6targetE1EEEvSM_
    .private_segment_fixed_size: 0
    .sgpr_count:     4
    .sgpr_spill_count: 0
    .symbol:         _ZN7rocprim17ROCPRIM_400000_NS6detail17trampoline_kernelINS0_14default_configENS1_38merge_sort_block_merge_config_selectorIlNS0_10empty_typeEEEZZNS1_27merge_sort_block_merge_implIS3_PlPS5_mZN2at6native12_GLOBAL__N_124unique_dim_cuda_templateIfEESt5tupleIJNSA_6TensorESF_SF_EERKSF_lbbbEUlllE_EE10hipError_tT0_T1_T2_jT3_P12ihipStream_tbPNSt15iterator_traitsISL_E10value_typeEPNSR_ISM_E10value_typeEPSN_NS1_7vsmem_tEENKUlT_SL_SM_SN_E_clIS8_S8_S9_S9_EESK_S10_SL_SM_SN_EUlS10_E_NS1_11comp_targetILNS1_3genE8ELNS1_11target_archE1030ELNS1_3gpuE2ELNS1_3repE0EEENS1_48merge_mergepath_partition_config_static_selectorELNS0_4arch9wavefront6targetE1EEEvSM_.kd
    .uniform_work_group_size: 1
    .uses_dynamic_stack: false
    .vgpr_count:     0
    .vgpr_spill_count: 0
    .wavefront_size: 64
  - .agpr_count:     0
    .args:
      - .offset:         0
        .size:           88
        .value_kind:     by_value
    .group_segment_fixed_size: 0
    .kernarg_segment_align: 8
    .kernarg_segment_size: 88
    .language:       OpenCL C
    .language_version:
      - 2
      - 0
    .max_flat_workgroup_size: 128
    .name:           _ZN7rocprim17ROCPRIM_400000_NS6detail17trampoline_kernelINS0_14default_configENS1_38merge_sort_block_merge_config_selectorIlNS0_10empty_typeEEEZZNS1_27merge_sort_block_merge_implIS3_PlPS5_mZN2at6native12_GLOBAL__N_124unique_dim_cuda_templateIfEESt5tupleIJNSA_6TensorESF_SF_EERKSF_lbbbEUlllE_EE10hipError_tT0_T1_T2_jT3_P12ihipStream_tbPNSt15iterator_traitsISL_E10value_typeEPNSR_ISM_E10value_typeEPSN_NS1_7vsmem_tEENKUlT_SL_SM_SN_E_clIS8_S8_S9_S9_EESK_S10_SL_SM_SN_EUlS10_E0_NS1_11comp_targetILNS1_3genE0ELNS1_11target_archE4294967295ELNS1_3gpuE0ELNS1_3repE0EEENS1_38merge_mergepath_config_static_selectorELNS0_4arch9wavefront6targetE1EEEvSM_
    .private_segment_fixed_size: 0
    .sgpr_count:     4
    .sgpr_spill_count: 0
    .symbol:         _ZN7rocprim17ROCPRIM_400000_NS6detail17trampoline_kernelINS0_14default_configENS1_38merge_sort_block_merge_config_selectorIlNS0_10empty_typeEEEZZNS1_27merge_sort_block_merge_implIS3_PlPS5_mZN2at6native12_GLOBAL__N_124unique_dim_cuda_templateIfEESt5tupleIJNSA_6TensorESF_SF_EERKSF_lbbbEUlllE_EE10hipError_tT0_T1_T2_jT3_P12ihipStream_tbPNSt15iterator_traitsISL_E10value_typeEPNSR_ISM_E10value_typeEPSN_NS1_7vsmem_tEENKUlT_SL_SM_SN_E_clIS8_S8_S9_S9_EESK_S10_SL_SM_SN_EUlS10_E0_NS1_11comp_targetILNS1_3genE0ELNS1_11target_archE4294967295ELNS1_3gpuE0ELNS1_3repE0EEENS1_38merge_mergepath_config_static_selectorELNS0_4arch9wavefront6targetE1EEEvSM_.kd
    .uniform_work_group_size: 1
    .uses_dynamic_stack: false
    .vgpr_count:     0
    .vgpr_spill_count: 0
    .wavefront_size: 64
  - .agpr_count:     0
    .args:
      - .offset:         0
        .size:           88
        .value_kind:     by_value
    .group_segment_fixed_size: 0
    .kernarg_segment_align: 8
    .kernarg_segment_size: 88
    .language:       OpenCL C
    .language_version:
      - 2
      - 0
    .max_flat_workgroup_size: 512
    .name:           _ZN7rocprim17ROCPRIM_400000_NS6detail17trampoline_kernelINS0_14default_configENS1_38merge_sort_block_merge_config_selectorIlNS0_10empty_typeEEEZZNS1_27merge_sort_block_merge_implIS3_PlPS5_mZN2at6native12_GLOBAL__N_124unique_dim_cuda_templateIfEESt5tupleIJNSA_6TensorESF_SF_EERKSF_lbbbEUlllE_EE10hipError_tT0_T1_T2_jT3_P12ihipStream_tbPNSt15iterator_traitsISL_E10value_typeEPNSR_ISM_E10value_typeEPSN_NS1_7vsmem_tEENKUlT_SL_SM_SN_E_clIS8_S8_S9_S9_EESK_S10_SL_SM_SN_EUlS10_E0_NS1_11comp_targetILNS1_3genE10ELNS1_11target_archE1201ELNS1_3gpuE5ELNS1_3repE0EEENS1_38merge_mergepath_config_static_selectorELNS0_4arch9wavefront6targetE1EEEvSM_
    .private_segment_fixed_size: 0
    .sgpr_count:     4
    .sgpr_spill_count: 0
    .symbol:         _ZN7rocprim17ROCPRIM_400000_NS6detail17trampoline_kernelINS0_14default_configENS1_38merge_sort_block_merge_config_selectorIlNS0_10empty_typeEEEZZNS1_27merge_sort_block_merge_implIS3_PlPS5_mZN2at6native12_GLOBAL__N_124unique_dim_cuda_templateIfEESt5tupleIJNSA_6TensorESF_SF_EERKSF_lbbbEUlllE_EE10hipError_tT0_T1_T2_jT3_P12ihipStream_tbPNSt15iterator_traitsISL_E10value_typeEPNSR_ISM_E10value_typeEPSN_NS1_7vsmem_tEENKUlT_SL_SM_SN_E_clIS8_S8_S9_S9_EESK_S10_SL_SM_SN_EUlS10_E0_NS1_11comp_targetILNS1_3genE10ELNS1_11target_archE1201ELNS1_3gpuE5ELNS1_3repE0EEENS1_38merge_mergepath_config_static_selectorELNS0_4arch9wavefront6targetE1EEEvSM_.kd
    .uniform_work_group_size: 1
    .uses_dynamic_stack: false
    .vgpr_count:     0
    .vgpr_spill_count: 0
    .wavefront_size: 64
  - .agpr_count:     0
    .args:
      - .offset:         0
        .size:           88
        .value_kind:     by_value
    .group_segment_fixed_size: 0
    .kernarg_segment_align: 8
    .kernarg_segment_size: 88
    .language:       OpenCL C
    .language_version:
      - 2
      - 0
    .max_flat_workgroup_size: 128
    .name:           _ZN7rocprim17ROCPRIM_400000_NS6detail17trampoline_kernelINS0_14default_configENS1_38merge_sort_block_merge_config_selectorIlNS0_10empty_typeEEEZZNS1_27merge_sort_block_merge_implIS3_PlPS5_mZN2at6native12_GLOBAL__N_124unique_dim_cuda_templateIfEESt5tupleIJNSA_6TensorESF_SF_EERKSF_lbbbEUlllE_EE10hipError_tT0_T1_T2_jT3_P12ihipStream_tbPNSt15iterator_traitsISL_E10value_typeEPNSR_ISM_E10value_typeEPSN_NS1_7vsmem_tEENKUlT_SL_SM_SN_E_clIS8_S8_S9_S9_EESK_S10_SL_SM_SN_EUlS10_E0_NS1_11comp_targetILNS1_3genE5ELNS1_11target_archE942ELNS1_3gpuE9ELNS1_3repE0EEENS1_38merge_mergepath_config_static_selectorELNS0_4arch9wavefront6targetE1EEEvSM_
    .private_segment_fixed_size: 0
    .sgpr_count:     4
    .sgpr_spill_count: 0
    .symbol:         _ZN7rocprim17ROCPRIM_400000_NS6detail17trampoline_kernelINS0_14default_configENS1_38merge_sort_block_merge_config_selectorIlNS0_10empty_typeEEEZZNS1_27merge_sort_block_merge_implIS3_PlPS5_mZN2at6native12_GLOBAL__N_124unique_dim_cuda_templateIfEESt5tupleIJNSA_6TensorESF_SF_EERKSF_lbbbEUlllE_EE10hipError_tT0_T1_T2_jT3_P12ihipStream_tbPNSt15iterator_traitsISL_E10value_typeEPNSR_ISM_E10value_typeEPSN_NS1_7vsmem_tEENKUlT_SL_SM_SN_E_clIS8_S8_S9_S9_EESK_S10_SL_SM_SN_EUlS10_E0_NS1_11comp_targetILNS1_3genE5ELNS1_11target_archE942ELNS1_3gpuE9ELNS1_3repE0EEENS1_38merge_mergepath_config_static_selectorELNS0_4arch9wavefront6targetE1EEEvSM_.kd
    .uniform_work_group_size: 1
    .uses_dynamic_stack: false
    .vgpr_count:     0
    .vgpr_spill_count: 0
    .wavefront_size: 64
  - .agpr_count:     0
    .args:
      - .offset:         0
        .size:           88
        .value_kind:     by_value
      - .offset:         88
        .size:           4
        .value_kind:     hidden_block_count_x
      - .offset:         92
        .size:           4
        .value_kind:     hidden_block_count_y
      - .offset:         96
        .size:           4
        .value_kind:     hidden_block_count_z
      - .offset:         100
        .size:           2
        .value_kind:     hidden_group_size_x
      - .offset:         102
        .size:           2
        .value_kind:     hidden_group_size_y
      - .offset:         104
        .size:           2
        .value_kind:     hidden_group_size_z
      - .offset:         106
        .size:           2
        .value_kind:     hidden_remainder_x
      - .offset:         108
        .size:           2
        .value_kind:     hidden_remainder_y
      - .offset:         110
        .size:           2
        .value_kind:     hidden_remainder_z
      - .offset:         128
        .size:           8
        .value_kind:     hidden_global_offset_x
      - .offset:         136
        .size:           8
        .value_kind:     hidden_global_offset_y
      - .offset:         144
        .size:           8
        .value_kind:     hidden_global_offset_z
      - .offset:         152
        .size:           2
        .value_kind:     hidden_grid_dims
    .group_segment_fixed_size: 8448
    .kernarg_segment_align: 8
    .kernarg_segment_size: 344
    .language:       OpenCL C
    .language_version:
      - 2
      - 0
    .max_flat_workgroup_size: 256
    .name:           _ZN7rocprim17ROCPRIM_400000_NS6detail17trampoline_kernelINS0_14default_configENS1_38merge_sort_block_merge_config_selectorIlNS0_10empty_typeEEEZZNS1_27merge_sort_block_merge_implIS3_PlPS5_mZN2at6native12_GLOBAL__N_124unique_dim_cuda_templateIfEESt5tupleIJNSA_6TensorESF_SF_EERKSF_lbbbEUlllE_EE10hipError_tT0_T1_T2_jT3_P12ihipStream_tbPNSt15iterator_traitsISL_E10value_typeEPNSR_ISM_E10value_typeEPSN_NS1_7vsmem_tEENKUlT_SL_SM_SN_E_clIS8_S8_S9_S9_EESK_S10_SL_SM_SN_EUlS10_E0_NS1_11comp_targetILNS1_3genE4ELNS1_11target_archE910ELNS1_3gpuE8ELNS1_3repE0EEENS1_38merge_mergepath_config_static_selectorELNS0_4arch9wavefront6targetE1EEEvSM_
    .private_segment_fixed_size: 0
    .sgpr_count:     52
    .sgpr_spill_count: 0
    .symbol:         _ZN7rocprim17ROCPRIM_400000_NS6detail17trampoline_kernelINS0_14default_configENS1_38merge_sort_block_merge_config_selectorIlNS0_10empty_typeEEEZZNS1_27merge_sort_block_merge_implIS3_PlPS5_mZN2at6native12_GLOBAL__N_124unique_dim_cuda_templateIfEESt5tupleIJNSA_6TensorESF_SF_EERKSF_lbbbEUlllE_EE10hipError_tT0_T1_T2_jT3_P12ihipStream_tbPNSt15iterator_traitsISL_E10value_typeEPNSR_ISM_E10value_typeEPSN_NS1_7vsmem_tEENKUlT_SL_SM_SN_E_clIS8_S8_S9_S9_EESK_S10_SL_SM_SN_EUlS10_E0_NS1_11comp_targetILNS1_3genE4ELNS1_11target_archE910ELNS1_3gpuE8ELNS1_3repE0EEENS1_38merge_mergepath_config_static_selectorELNS0_4arch9wavefront6targetE1EEEvSM_.kd
    .uniform_work_group_size: 1
    .uses_dynamic_stack: false
    .vgpr_count:     25
    .vgpr_spill_count: 0
    .wavefront_size: 64
  - .agpr_count:     0
    .args:
      - .offset:         0
        .size:           88
        .value_kind:     by_value
    .group_segment_fixed_size: 0
    .kernarg_segment_align: 8
    .kernarg_segment_size: 88
    .language:       OpenCL C
    .language_version:
      - 2
      - 0
    .max_flat_workgroup_size: 128
    .name:           _ZN7rocprim17ROCPRIM_400000_NS6detail17trampoline_kernelINS0_14default_configENS1_38merge_sort_block_merge_config_selectorIlNS0_10empty_typeEEEZZNS1_27merge_sort_block_merge_implIS3_PlPS5_mZN2at6native12_GLOBAL__N_124unique_dim_cuda_templateIfEESt5tupleIJNSA_6TensorESF_SF_EERKSF_lbbbEUlllE_EE10hipError_tT0_T1_T2_jT3_P12ihipStream_tbPNSt15iterator_traitsISL_E10value_typeEPNSR_ISM_E10value_typeEPSN_NS1_7vsmem_tEENKUlT_SL_SM_SN_E_clIS8_S8_S9_S9_EESK_S10_SL_SM_SN_EUlS10_E0_NS1_11comp_targetILNS1_3genE3ELNS1_11target_archE908ELNS1_3gpuE7ELNS1_3repE0EEENS1_38merge_mergepath_config_static_selectorELNS0_4arch9wavefront6targetE1EEEvSM_
    .private_segment_fixed_size: 0
    .sgpr_count:     4
    .sgpr_spill_count: 0
    .symbol:         _ZN7rocprim17ROCPRIM_400000_NS6detail17trampoline_kernelINS0_14default_configENS1_38merge_sort_block_merge_config_selectorIlNS0_10empty_typeEEEZZNS1_27merge_sort_block_merge_implIS3_PlPS5_mZN2at6native12_GLOBAL__N_124unique_dim_cuda_templateIfEESt5tupleIJNSA_6TensorESF_SF_EERKSF_lbbbEUlllE_EE10hipError_tT0_T1_T2_jT3_P12ihipStream_tbPNSt15iterator_traitsISL_E10value_typeEPNSR_ISM_E10value_typeEPSN_NS1_7vsmem_tEENKUlT_SL_SM_SN_E_clIS8_S8_S9_S9_EESK_S10_SL_SM_SN_EUlS10_E0_NS1_11comp_targetILNS1_3genE3ELNS1_11target_archE908ELNS1_3gpuE7ELNS1_3repE0EEENS1_38merge_mergepath_config_static_selectorELNS0_4arch9wavefront6targetE1EEEvSM_.kd
    .uniform_work_group_size: 1
    .uses_dynamic_stack: false
    .vgpr_count:     0
    .vgpr_spill_count: 0
    .wavefront_size: 64
  - .agpr_count:     0
    .args:
      - .offset:         0
        .size:           88
        .value_kind:     by_value
    .group_segment_fixed_size: 0
    .kernarg_segment_align: 8
    .kernarg_segment_size: 88
    .language:       OpenCL C
    .language_version:
      - 2
      - 0
    .max_flat_workgroup_size: 256
    .name:           _ZN7rocprim17ROCPRIM_400000_NS6detail17trampoline_kernelINS0_14default_configENS1_38merge_sort_block_merge_config_selectorIlNS0_10empty_typeEEEZZNS1_27merge_sort_block_merge_implIS3_PlPS5_mZN2at6native12_GLOBAL__N_124unique_dim_cuda_templateIfEESt5tupleIJNSA_6TensorESF_SF_EERKSF_lbbbEUlllE_EE10hipError_tT0_T1_T2_jT3_P12ihipStream_tbPNSt15iterator_traitsISL_E10value_typeEPNSR_ISM_E10value_typeEPSN_NS1_7vsmem_tEENKUlT_SL_SM_SN_E_clIS8_S8_S9_S9_EESK_S10_SL_SM_SN_EUlS10_E0_NS1_11comp_targetILNS1_3genE2ELNS1_11target_archE906ELNS1_3gpuE6ELNS1_3repE0EEENS1_38merge_mergepath_config_static_selectorELNS0_4arch9wavefront6targetE1EEEvSM_
    .private_segment_fixed_size: 0
    .sgpr_count:     4
    .sgpr_spill_count: 0
    .symbol:         _ZN7rocprim17ROCPRIM_400000_NS6detail17trampoline_kernelINS0_14default_configENS1_38merge_sort_block_merge_config_selectorIlNS0_10empty_typeEEEZZNS1_27merge_sort_block_merge_implIS3_PlPS5_mZN2at6native12_GLOBAL__N_124unique_dim_cuda_templateIfEESt5tupleIJNSA_6TensorESF_SF_EERKSF_lbbbEUlllE_EE10hipError_tT0_T1_T2_jT3_P12ihipStream_tbPNSt15iterator_traitsISL_E10value_typeEPNSR_ISM_E10value_typeEPSN_NS1_7vsmem_tEENKUlT_SL_SM_SN_E_clIS8_S8_S9_S9_EESK_S10_SL_SM_SN_EUlS10_E0_NS1_11comp_targetILNS1_3genE2ELNS1_11target_archE906ELNS1_3gpuE6ELNS1_3repE0EEENS1_38merge_mergepath_config_static_selectorELNS0_4arch9wavefront6targetE1EEEvSM_.kd
    .uniform_work_group_size: 1
    .uses_dynamic_stack: false
    .vgpr_count:     0
    .vgpr_spill_count: 0
    .wavefront_size: 64
  - .agpr_count:     0
    .args:
      - .offset:         0
        .size:           88
        .value_kind:     by_value
    .group_segment_fixed_size: 0
    .kernarg_segment_align: 8
    .kernarg_segment_size: 88
    .language:       OpenCL C
    .language_version:
      - 2
      - 0
    .max_flat_workgroup_size: 512
    .name:           _ZN7rocprim17ROCPRIM_400000_NS6detail17trampoline_kernelINS0_14default_configENS1_38merge_sort_block_merge_config_selectorIlNS0_10empty_typeEEEZZNS1_27merge_sort_block_merge_implIS3_PlPS5_mZN2at6native12_GLOBAL__N_124unique_dim_cuda_templateIfEESt5tupleIJNSA_6TensorESF_SF_EERKSF_lbbbEUlllE_EE10hipError_tT0_T1_T2_jT3_P12ihipStream_tbPNSt15iterator_traitsISL_E10value_typeEPNSR_ISM_E10value_typeEPSN_NS1_7vsmem_tEENKUlT_SL_SM_SN_E_clIS8_S8_S9_S9_EESK_S10_SL_SM_SN_EUlS10_E0_NS1_11comp_targetILNS1_3genE9ELNS1_11target_archE1100ELNS1_3gpuE3ELNS1_3repE0EEENS1_38merge_mergepath_config_static_selectorELNS0_4arch9wavefront6targetE1EEEvSM_
    .private_segment_fixed_size: 0
    .sgpr_count:     4
    .sgpr_spill_count: 0
    .symbol:         _ZN7rocprim17ROCPRIM_400000_NS6detail17trampoline_kernelINS0_14default_configENS1_38merge_sort_block_merge_config_selectorIlNS0_10empty_typeEEEZZNS1_27merge_sort_block_merge_implIS3_PlPS5_mZN2at6native12_GLOBAL__N_124unique_dim_cuda_templateIfEESt5tupleIJNSA_6TensorESF_SF_EERKSF_lbbbEUlllE_EE10hipError_tT0_T1_T2_jT3_P12ihipStream_tbPNSt15iterator_traitsISL_E10value_typeEPNSR_ISM_E10value_typeEPSN_NS1_7vsmem_tEENKUlT_SL_SM_SN_E_clIS8_S8_S9_S9_EESK_S10_SL_SM_SN_EUlS10_E0_NS1_11comp_targetILNS1_3genE9ELNS1_11target_archE1100ELNS1_3gpuE3ELNS1_3repE0EEENS1_38merge_mergepath_config_static_selectorELNS0_4arch9wavefront6targetE1EEEvSM_.kd
    .uniform_work_group_size: 1
    .uses_dynamic_stack: false
    .vgpr_count:     0
    .vgpr_spill_count: 0
    .wavefront_size: 64
  - .agpr_count:     0
    .args:
      - .offset:         0
        .size:           88
        .value_kind:     by_value
    .group_segment_fixed_size: 0
    .kernarg_segment_align: 8
    .kernarg_segment_size: 88
    .language:       OpenCL C
    .language_version:
      - 2
      - 0
    .max_flat_workgroup_size: 1024
    .name:           _ZN7rocprim17ROCPRIM_400000_NS6detail17trampoline_kernelINS0_14default_configENS1_38merge_sort_block_merge_config_selectorIlNS0_10empty_typeEEEZZNS1_27merge_sort_block_merge_implIS3_PlPS5_mZN2at6native12_GLOBAL__N_124unique_dim_cuda_templateIfEESt5tupleIJNSA_6TensorESF_SF_EERKSF_lbbbEUlllE_EE10hipError_tT0_T1_T2_jT3_P12ihipStream_tbPNSt15iterator_traitsISL_E10value_typeEPNSR_ISM_E10value_typeEPSN_NS1_7vsmem_tEENKUlT_SL_SM_SN_E_clIS8_S8_S9_S9_EESK_S10_SL_SM_SN_EUlS10_E0_NS1_11comp_targetILNS1_3genE8ELNS1_11target_archE1030ELNS1_3gpuE2ELNS1_3repE0EEENS1_38merge_mergepath_config_static_selectorELNS0_4arch9wavefront6targetE1EEEvSM_
    .private_segment_fixed_size: 0
    .sgpr_count:     4
    .sgpr_spill_count: 0
    .symbol:         _ZN7rocprim17ROCPRIM_400000_NS6detail17trampoline_kernelINS0_14default_configENS1_38merge_sort_block_merge_config_selectorIlNS0_10empty_typeEEEZZNS1_27merge_sort_block_merge_implIS3_PlPS5_mZN2at6native12_GLOBAL__N_124unique_dim_cuda_templateIfEESt5tupleIJNSA_6TensorESF_SF_EERKSF_lbbbEUlllE_EE10hipError_tT0_T1_T2_jT3_P12ihipStream_tbPNSt15iterator_traitsISL_E10value_typeEPNSR_ISM_E10value_typeEPSN_NS1_7vsmem_tEENKUlT_SL_SM_SN_E_clIS8_S8_S9_S9_EESK_S10_SL_SM_SN_EUlS10_E0_NS1_11comp_targetILNS1_3genE8ELNS1_11target_archE1030ELNS1_3gpuE2ELNS1_3repE0EEENS1_38merge_mergepath_config_static_selectorELNS0_4arch9wavefront6targetE1EEEvSM_.kd
    .uniform_work_group_size: 1
    .uses_dynamic_stack: false
    .vgpr_count:     0
    .vgpr_spill_count: 0
    .wavefront_size: 64
  - .agpr_count:     0
    .args:
      - .offset:         0
        .size:           64
        .value_kind:     by_value
    .group_segment_fixed_size: 0
    .kernarg_segment_align: 8
    .kernarg_segment_size: 64
    .language:       OpenCL C
    .language_version:
      - 2
      - 0
    .max_flat_workgroup_size: 256
    .name:           _ZN7rocprim17ROCPRIM_400000_NS6detail17trampoline_kernelINS0_14default_configENS1_38merge_sort_block_merge_config_selectorIlNS0_10empty_typeEEEZZNS1_27merge_sort_block_merge_implIS3_PlPS5_mZN2at6native12_GLOBAL__N_124unique_dim_cuda_templateIfEESt5tupleIJNSA_6TensorESF_SF_EERKSF_lbbbEUlllE_EE10hipError_tT0_T1_T2_jT3_P12ihipStream_tbPNSt15iterator_traitsISL_E10value_typeEPNSR_ISM_E10value_typeEPSN_NS1_7vsmem_tEENKUlT_SL_SM_SN_E_clIS8_S8_S9_S9_EESK_S10_SL_SM_SN_EUlS10_E1_NS1_11comp_targetILNS1_3genE0ELNS1_11target_archE4294967295ELNS1_3gpuE0ELNS1_3repE0EEENS1_36merge_oddeven_config_static_selectorELNS0_4arch9wavefront6targetE1EEEvSM_
    .private_segment_fixed_size: 0
    .sgpr_count:     4
    .sgpr_spill_count: 0
    .symbol:         _ZN7rocprim17ROCPRIM_400000_NS6detail17trampoline_kernelINS0_14default_configENS1_38merge_sort_block_merge_config_selectorIlNS0_10empty_typeEEEZZNS1_27merge_sort_block_merge_implIS3_PlPS5_mZN2at6native12_GLOBAL__N_124unique_dim_cuda_templateIfEESt5tupleIJNSA_6TensorESF_SF_EERKSF_lbbbEUlllE_EE10hipError_tT0_T1_T2_jT3_P12ihipStream_tbPNSt15iterator_traitsISL_E10value_typeEPNSR_ISM_E10value_typeEPSN_NS1_7vsmem_tEENKUlT_SL_SM_SN_E_clIS8_S8_S9_S9_EESK_S10_SL_SM_SN_EUlS10_E1_NS1_11comp_targetILNS1_3genE0ELNS1_11target_archE4294967295ELNS1_3gpuE0ELNS1_3repE0EEENS1_36merge_oddeven_config_static_selectorELNS0_4arch9wavefront6targetE1EEEvSM_.kd
    .uniform_work_group_size: 1
    .uses_dynamic_stack: false
    .vgpr_count:     0
    .vgpr_spill_count: 0
    .wavefront_size: 64
  - .agpr_count:     0
    .args:
      - .offset:         0
        .size:           64
        .value_kind:     by_value
    .group_segment_fixed_size: 0
    .kernarg_segment_align: 8
    .kernarg_segment_size: 64
    .language:       OpenCL C
    .language_version:
      - 2
      - 0
    .max_flat_workgroup_size: 256
    .name:           _ZN7rocprim17ROCPRIM_400000_NS6detail17trampoline_kernelINS0_14default_configENS1_38merge_sort_block_merge_config_selectorIlNS0_10empty_typeEEEZZNS1_27merge_sort_block_merge_implIS3_PlPS5_mZN2at6native12_GLOBAL__N_124unique_dim_cuda_templateIfEESt5tupleIJNSA_6TensorESF_SF_EERKSF_lbbbEUlllE_EE10hipError_tT0_T1_T2_jT3_P12ihipStream_tbPNSt15iterator_traitsISL_E10value_typeEPNSR_ISM_E10value_typeEPSN_NS1_7vsmem_tEENKUlT_SL_SM_SN_E_clIS8_S8_S9_S9_EESK_S10_SL_SM_SN_EUlS10_E1_NS1_11comp_targetILNS1_3genE10ELNS1_11target_archE1201ELNS1_3gpuE5ELNS1_3repE0EEENS1_36merge_oddeven_config_static_selectorELNS0_4arch9wavefront6targetE1EEEvSM_
    .private_segment_fixed_size: 0
    .sgpr_count:     4
    .sgpr_spill_count: 0
    .symbol:         _ZN7rocprim17ROCPRIM_400000_NS6detail17trampoline_kernelINS0_14default_configENS1_38merge_sort_block_merge_config_selectorIlNS0_10empty_typeEEEZZNS1_27merge_sort_block_merge_implIS3_PlPS5_mZN2at6native12_GLOBAL__N_124unique_dim_cuda_templateIfEESt5tupleIJNSA_6TensorESF_SF_EERKSF_lbbbEUlllE_EE10hipError_tT0_T1_T2_jT3_P12ihipStream_tbPNSt15iterator_traitsISL_E10value_typeEPNSR_ISM_E10value_typeEPSN_NS1_7vsmem_tEENKUlT_SL_SM_SN_E_clIS8_S8_S9_S9_EESK_S10_SL_SM_SN_EUlS10_E1_NS1_11comp_targetILNS1_3genE10ELNS1_11target_archE1201ELNS1_3gpuE5ELNS1_3repE0EEENS1_36merge_oddeven_config_static_selectorELNS0_4arch9wavefront6targetE1EEEvSM_.kd
    .uniform_work_group_size: 1
    .uses_dynamic_stack: false
    .vgpr_count:     0
    .vgpr_spill_count: 0
    .wavefront_size: 64
  - .agpr_count:     0
    .args:
      - .offset:         0
        .size:           64
        .value_kind:     by_value
    .group_segment_fixed_size: 0
    .kernarg_segment_align: 8
    .kernarg_segment_size: 64
    .language:       OpenCL C
    .language_version:
      - 2
      - 0
    .max_flat_workgroup_size: 256
    .name:           _ZN7rocprim17ROCPRIM_400000_NS6detail17trampoline_kernelINS0_14default_configENS1_38merge_sort_block_merge_config_selectorIlNS0_10empty_typeEEEZZNS1_27merge_sort_block_merge_implIS3_PlPS5_mZN2at6native12_GLOBAL__N_124unique_dim_cuda_templateIfEESt5tupleIJNSA_6TensorESF_SF_EERKSF_lbbbEUlllE_EE10hipError_tT0_T1_T2_jT3_P12ihipStream_tbPNSt15iterator_traitsISL_E10value_typeEPNSR_ISM_E10value_typeEPSN_NS1_7vsmem_tEENKUlT_SL_SM_SN_E_clIS8_S8_S9_S9_EESK_S10_SL_SM_SN_EUlS10_E1_NS1_11comp_targetILNS1_3genE5ELNS1_11target_archE942ELNS1_3gpuE9ELNS1_3repE0EEENS1_36merge_oddeven_config_static_selectorELNS0_4arch9wavefront6targetE1EEEvSM_
    .private_segment_fixed_size: 0
    .sgpr_count:     4
    .sgpr_spill_count: 0
    .symbol:         _ZN7rocprim17ROCPRIM_400000_NS6detail17trampoline_kernelINS0_14default_configENS1_38merge_sort_block_merge_config_selectorIlNS0_10empty_typeEEEZZNS1_27merge_sort_block_merge_implIS3_PlPS5_mZN2at6native12_GLOBAL__N_124unique_dim_cuda_templateIfEESt5tupleIJNSA_6TensorESF_SF_EERKSF_lbbbEUlllE_EE10hipError_tT0_T1_T2_jT3_P12ihipStream_tbPNSt15iterator_traitsISL_E10value_typeEPNSR_ISM_E10value_typeEPSN_NS1_7vsmem_tEENKUlT_SL_SM_SN_E_clIS8_S8_S9_S9_EESK_S10_SL_SM_SN_EUlS10_E1_NS1_11comp_targetILNS1_3genE5ELNS1_11target_archE942ELNS1_3gpuE9ELNS1_3repE0EEENS1_36merge_oddeven_config_static_selectorELNS0_4arch9wavefront6targetE1EEEvSM_.kd
    .uniform_work_group_size: 1
    .uses_dynamic_stack: false
    .vgpr_count:     0
    .vgpr_spill_count: 0
    .wavefront_size: 64
  - .agpr_count:     0
    .args:
      - .offset:         0
        .size:           64
        .value_kind:     by_value
    .group_segment_fixed_size: 0
    .kernarg_segment_align: 8
    .kernarg_segment_size: 64
    .language:       OpenCL C
    .language_version:
      - 2
      - 0
    .max_flat_workgroup_size: 256
    .name:           _ZN7rocprim17ROCPRIM_400000_NS6detail17trampoline_kernelINS0_14default_configENS1_38merge_sort_block_merge_config_selectorIlNS0_10empty_typeEEEZZNS1_27merge_sort_block_merge_implIS3_PlPS5_mZN2at6native12_GLOBAL__N_124unique_dim_cuda_templateIfEESt5tupleIJNSA_6TensorESF_SF_EERKSF_lbbbEUlllE_EE10hipError_tT0_T1_T2_jT3_P12ihipStream_tbPNSt15iterator_traitsISL_E10value_typeEPNSR_ISM_E10value_typeEPSN_NS1_7vsmem_tEENKUlT_SL_SM_SN_E_clIS8_S8_S9_S9_EESK_S10_SL_SM_SN_EUlS10_E1_NS1_11comp_targetILNS1_3genE4ELNS1_11target_archE910ELNS1_3gpuE8ELNS1_3repE0EEENS1_36merge_oddeven_config_static_selectorELNS0_4arch9wavefront6targetE1EEEvSM_
    .private_segment_fixed_size: 0
    .sgpr_count:     50
    .sgpr_spill_count: 0
    .symbol:         _ZN7rocprim17ROCPRIM_400000_NS6detail17trampoline_kernelINS0_14default_configENS1_38merge_sort_block_merge_config_selectorIlNS0_10empty_typeEEEZZNS1_27merge_sort_block_merge_implIS3_PlPS5_mZN2at6native12_GLOBAL__N_124unique_dim_cuda_templateIfEESt5tupleIJNSA_6TensorESF_SF_EERKSF_lbbbEUlllE_EE10hipError_tT0_T1_T2_jT3_P12ihipStream_tbPNSt15iterator_traitsISL_E10value_typeEPNSR_ISM_E10value_typeEPSN_NS1_7vsmem_tEENKUlT_SL_SM_SN_E_clIS8_S8_S9_S9_EESK_S10_SL_SM_SN_EUlS10_E1_NS1_11comp_targetILNS1_3genE4ELNS1_11target_archE910ELNS1_3gpuE8ELNS1_3repE0EEENS1_36merge_oddeven_config_static_selectorELNS0_4arch9wavefront6targetE1EEEvSM_.kd
    .uniform_work_group_size: 1
    .uses_dynamic_stack: false
    .vgpr_count:     18
    .vgpr_spill_count: 0
    .wavefront_size: 64
  - .agpr_count:     0
    .args:
      - .offset:         0
        .size:           64
        .value_kind:     by_value
    .group_segment_fixed_size: 0
    .kernarg_segment_align: 8
    .kernarg_segment_size: 64
    .language:       OpenCL C
    .language_version:
      - 2
      - 0
    .max_flat_workgroup_size: 256
    .name:           _ZN7rocprim17ROCPRIM_400000_NS6detail17trampoline_kernelINS0_14default_configENS1_38merge_sort_block_merge_config_selectorIlNS0_10empty_typeEEEZZNS1_27merge_sort_block_merge_implIS3_PlPS5_mZN2at6native12_GLOBAL__N_124unique_dim_cuda_templateIfEESt5tupleIJNSA_6TensorESF_SF_EERKSF_lbbbEUlllE_EE10hipError_tT0_T1_T2_jT3_P12ihipStream_tbPNSt15iterator_traitsISL_E10value_typeEPNSR_ISM_E10value_typeEPSN_NS1_7vsmem_tEENKUlT_SL_SM_SN_E_clIS8_S8_S9_S9_EESK_S10_SL_SM_SN_EUlS10_E1_NS1_11comp_targetILNS1_3genE3ELNS1_11target_archE908ELNS1_3gpuE7ELNS1_3repE0EEENS1_36merge_oddeven_config_static_selectorELNS0_4arch9wavefront6targetE1EEEvSM_
    .private_segment_fixed_size: 0
    .sgpr_count:     4
    .sgpr_spill_count: 0
    .symbol:         _ZN7rocprim17ROCPRIM_400000_NS6detail17trampoline_kernelINS0_14default_configENS1_38merge_sort_block_merge_config_selectorIlNS0_10empty_typeEEEZZNS1_27merge_sort_block_merge_implIS3_PlPS5_mZN2at6native12_GLOBAL__N_124unique_dim_cuda_templateIfEESt5tupleIJNSA_6TensorESF_SF_EERKSF_lbbbEUlllE_EE10hipError_tT0_T1_T2_jT3_P12ihipStream_tbPNSt15iterator_traitsISL_E10value_typeEPNSR_ISM_E10value_typeEPSN_NS1_7vsmem_tEENKUlT_SL_SM_SN_E_clIS8_S8_S9_S9_EESK_S10_SL_SM_SN_EUlS10_E1_NS1_11comp_targetILNS1_3genE3ELNS1_11target_archE908ELNS1_3gpuE7ELNS1_3repE0EEENS1_36merge_oddeven_config_static_selectorELNS0_4arch9wavefront6targetE1EEEvSM_.kd
    .uniform_work_group_size: 1
    .uses_dynamic_stack: false
    .vgpr_count:     0
    .vgpr_spill_count: 0
    .wavefront_size: 64
  - .agpr_count:     0
    .args:
      - .offset:         0
        .size:           64
        .value_kind:     by_value
    .group_segment_fixed_size: 0
    .kernarg_segment_align: 8
    .kernarg_segment_size: 64
    .language:       OpenCL C
    .language_version:
      - 2
      - 0
    .max_flat_workgroup_size: 256
    .name:           _ZN7rocprim17ROCPRIM_400000_NS6detail17trampoline_kernelINS0_14default_configENS1_38merge_sort_block_merge_config_selectorIlNS0_10empty_typeEEEZZNS1_27merge_sort_block_merge_implIS3_PlPS5_mZN2at6native12_GLOBAL__N_124unique_dim_cuda_templateIfEESt5tupleIJNSA_6TensorESF_SF_EERKSF_lbbbEUlllE_EE10hipError_tT0_T1_T2_jT3_P12ihipStream_tbPNSt15iterator_traitsISL_E10value_typeEPNSR_ISM_E10value_typeEPSN_NS1_7vsmem_tEENKUlT_SL_SM_SN_E_clIS8_S8_S9_S9_EESK_S10_SL_SM_SN_EUlS10_E1_NS1_11comp_targetILNS1_3genE2ELNS1_11target_archE906ELNS1_3gpuE6ELNS1_3repE0EEENS1_36merge_oddeven_config_static_selectorELNS0_4arch9wavefront6targetE1EEEvSM_
    .private_segment_fixed_size: 0
    .sgpr_count:     4
    .sgpr_spill_count: 0
    .symbol:         _ZN7rocprim17ROCPRIM_400000_NS6detail17trampoline_kernelINS0_14default_configENS1_38merge_sort_block_merge_config_selectorIlNS0_10empty_typeEEEZZNS1_27merge_sort_block_merge_implIS3_PlPS5_mZN2at6native12_GLOBAL__N_124unique_dim_cuda_templateIfEESt5tupleIJNSA_6TensorESF_SF_EERKSF_lbbbEUlllE_EE10hipError_tT0_T1_T2_jT3_P12ihipStream_tbPNSt15iterator_traitsISL_E10value_typeEPNSR_ISM_E10value_typeEPSN_NS1_7vsmem_tEENKUlT_SL_SM_SN_E_clIS8_S8_S9_S9_EESK_S10_SL_SM_SN_EUlS10_E1_NS1_11comp_targetILNS1_3genE2ELNS1_11target_archE906ELNS1_3gpuE6ELNS1_3repE0EEENS1_36merge_oddeven_config_static_selectorELNS0_4arch9wavefront6targetE1EEEvSM_.kd
    .uniform_work_group_size: 1
    .uses_dynamic_stack: false
    .vgpr_count:     0
    .vgpr_spill_count: 0
    .wavefront_size: 64
  - .agpr_count:     0
    .args:
      - .offset:         0
        .size:           64
        .value_kind:     by_value
    .group_segment_fixed_size: 0
    .kernarg_segment_align: 8
    .kernarg_segment_size: 64
    .language:       OpenCL C
    .language_version:
      - 2
      - 0
    .max_flat_workgroup_size: 256
    .name:           _ZN7rocprim17ROCPRIM_400000_NS6detail17trampoline_kernelINS0_14default_configENS1_38merge_sort_block_merge_config_selectorIlNS0_10empty_typeEEEZZNS1_27merge_sort_block_merge_implIS3_PlPS5_mZN2at6native12_GLOBAL__N_124unique_dim_cuda_templateIfEESt5tupleIJNSA_6TensorESF_SF_EERKSF_lbbbEUlllE_EE10hipError_tT0_T1_T2_jT3_P12ihipStream_tbPNSt15iterator_traitsISL_E10value_typeEPNSR_ISM_E10value_typeEPSN_NS1_7vsmem_tEENKUlT_SL_SM_SN_E_clIS8_S8_S9_S9_EESK_S10_SL_SM_SN_EUlS10_E1_NS1_11comp_targetILNS1_3genE9ELNS1_11target_archE1100ELNS1_3gpuE3ELNS1_3repE0EEENS1_36merge_oddeven_config_static_selectorELNS0_4arch9wavefront6targetE1EEEvSM_
    .private_segment_fixed_size: 0
    .sgpr_count:     4
    .sgpr_spill_count: 0
    .symbol:         _ZN7rocprim17ROCPRIM_400000_NS6detail17trampoline_kernelINS0_14default_configENS1_38merge_sort_block_merge_config_selectorIlNS0_10empty_typeEEEZZNS1_27merge_sort_block_merge_implIS3_PlPS5_mZN2at6native12_GLOBAL__N_124unique_dim_cuda_templateIfEESt5tupleIJNSA_6TensorESF_SF_EERKSF_lbbbEUlllE_EE10hipError_tT0_T1_T2_jT3_P12ihipStream_tbPNSt15iterator_traitsISL_E10value_typeEPNSR_ISM_E10value_typeEPSN_NS1_7vsmem_tEENKUlT_SL_SM_SN_E_clIS8_S8_S9_S9_EESK_S10_SL_SM_SN_EUlS10_E1_NS1_11comp_targetILNS1_3genE9ELNS1_11target_archE1100ELNS1_3gpuE3ELNS1_3repE0EEENS1_36merge_oddeven_config_static_selectorELNS0_4arch9wavefront6targetE1EEEvSM_.kd
    .uniform_work_group_size: 1
    .uses_dynamic_stack: false
    .vgpr_count:     0
    .vgpr_spill_count: 0
    .wavefront_size: 64
  - .agpr_count:     0
    .args:
      - .offset:         0
        .size:           64
        .value_kind:     by_value
    .group_segment_fixed_size: 0
    .kernarg_segment_align: 8
    .kernarg_segment_size: 64
    .language:       OpenCL C
    .language_version:
      - 2
      - 0
    .max_flat_workgroup_size: 256
    .name:           _ZN7rocprim17ROCPRIM_400000_NS6detail17trampoline_kernelINS0_14default_configENS1_38merge_sort_block_merge_config_selectorIlNS0_10empty_typeEEEZZNS1_27merge_sort_block_merge_implIS3_PlPS5_mZN2at6native12_GLOBAL__N_124unique_dim_cuda_templateIfEESt5tupleIJNSA_6TensorESF_SF_EERKSF_lbbbEUlllE_EE10hipError_tT0_T1_T2_jT3_P12ihipStream_tbPNSt15iterator_traitsISL_E10value_typeEPNSR_ISM_E10value_typeEPSN_NS1_7vsmem_tEENKUlT_SL_SM_SN_E_clIS8_S8_S9_S9_EESK_S10_SL_SM_SN_EUlS10_E1_NS1_11comp_targetILNS1_3genE8ELNS1_11target_archE1030ELNS1_3gpuE2ELNS1_3repE0EEENS1_36merge_oddeven_config_static_selectorELNS0_4arch9wavefront6targetE1EEEvSM_
    .private_segment_fixed_size: 0
    .sgpr_count:     4
    .sgpr_spill_count: 0
    .symbol:         _ZN7rocprim17ROCPRIM_400000_NS6detail17trampoline_kernelINS0_14default_configENS1_38merge_sort_block_merge_config_selectorIlNS0_10empty_typeEEEZZNS1_27merge_sort_block_merge_implIS3_PlPS5_mZN2at6native12_GLOBAL__N_124unique_dim_cuda_templateIfEESt5tupleIJNSA_6TensorESF_SF_EERKSF_lbbbEUlllE_EE10hipError_tT0_T1_T2_jT3_P12ihipStream_tbPNSt15iterator_traitsISL_E10value_typeEPNSR_ISM_E10value_typeEPSN_NS1_7vsmem_tEENKUlT_SL_SM_SN_E_clIS8_S8_S9_S9_EESK_S10_SL_SM_SN_EUlS10_E1_NS1_11comp_targetILNS1_3genE8ELNS1_11target_archE1030ELNS1_3gpuE2ELNS1_3repE0EEENS1_36merge_oddeven_config_static_selectorELNS0_4arch9wavefront6targetE1EEEvSM_.kd
    .uniform_work_group_size: 1
    .uses_dynamic_stack: false
    .vgpr_count:     0
    .vgpr_spill_count: 0
    .wavefront_size: 64
  - .agpr_count:     0
    .args:
      - .offset:         0
        .size:           64
        .value_kind:     by_value
    .group_segment_fixed_size: 0
    .kernarg_segment_align: 8
    .kernarg_segment_size: 64
    .language:       OpenCL C
    .language_version:
      - 2
      - 0
    .max_flat_workgroup_size: 128
    .name:           _ZN7rocprim17ROCPRIM_400000_NS6detail17trampoline_kernelINS0_14default_configENS1_35adjacent_difference_config_selectorILb0ElEEZNS1_24adjacent_difference_implIS3_Lb0ELb0EPlS7_ZN2at6native12_GLOBAL__N_124unique_dim_cuda_templateIfEESt5tupleIJNS8_6TensorESD_SD_EERKSD_lbbbEUlllE1_EE10hipError_tPvRmT2_T3_mT4_P12ihipStream_tbEUlT_E_NS1_11comp_targetILNS1_3genE0ELNS1_11target_archE4294967295ELNS1_3gpuE0ELNS1_3repE0EEENS1_30default_config_static_selectorELNS0_4arch9wavefront6targetE1EEEvT1_
    .private_segment_fixed_size: 0
    .sgpr_count:     4
    .sgpr_spill_count: 0
    .symbol:         _ZN7rocprim17ROCPRIM_400000_NS6detail17trampoline_kernelINS0_14default_configENS1_35adjacent_difference_config_selectorILb0ElEEZNS1_24adjacent_difference_implIS3_Lb0ELb0EPlS7_ZN2at6native12_GLOBAL__N_124unique_dim_cuda_templateIfEESt5tupleIJNS8_6TensorESD_SD_EERKSD_lbbbEUlllE1_EE10hipError_tPvRmT2_T3_mT4_P12ihipStream_tbEUlT_E_NS1_11comp_targetILNS1_3genE0ELNS1_11target_archE4294967295ELNS1_3gpuE0ELNS1_3repE0EEENS1_30default_config_static_selectorELNS0_4arch9wavefront6targetE1EEEvT1_.kd
    .uniform_work_group_size: 1
    .uses_dynamic_stack: false
    .vgpr_count:     0
    .vgpr_spill_count: 0
    .wavefront_size: 64
  - .agpr_count:     0
    .args:
      - .offset:         0
        .size:           64
        .value_kind:     by_value
    .group_segment_fixed_size: 0
    .kernarg_segment_align: 8
    .kernarg_segment_size: 64
    .language:       OpenCL C
    .language_version:
      - 2
      - 0
    .max_flat_workgroup_size: 128
    .name:           _ZN7rocprim17ROCPRIM_400000_NS6detail17trampoline_kernelINS0_14default_configENS1_35adjacent_difference_config_selectorILb0ElEEZNS1_24adjacent_difference_implIS3_Lb0ELb0EPlS7_ZN2at6native12_GLOBAL__N_124unique_dim_cuda_templateIfEESt5tupleIJNS8_6TensorESD_SD_EERKSD_lbbbEUlllE1_EE10hipError_tPvRmT2_T3_mT4_P12ihipStream_tbEUlT_E_NS1_11comp_targetILNS1_3genE10ELNS1_11target_archE1201ELNS1_3gpuE5ELNS1_3repE0EEENS1_30default_config_static_selectorELNS0_4arch9wavefront6targetE1EEEvT1_
    .private_segment_fixed_size: 0
    .sgpr_count:     4
    .sgpr_spill_count: 0
    .symbol:         _ZN7rocprim17ROCPRIM_400000_NS6detail17trampoline_kernelINS0_14default_configENS1_35adjacent_difference_config_selectorILb0ElEEZNS1_24adjacent_difference_implIS3_Lb0ELb0EPlS7_ZN2at6native12_GLOBAL__N_124unique_dim_cuda_templateIfEESt5tupleIJNS8_6TensorESD_SD_EERKSD_lbbbEUlllE1_EE10hipError_tPvRmT2_T3_mT4_P12ihipStream_tbEUlT_E_NS1_11comp_targetILNS1_3genE10ELNS1_11target_archE1201ELNS1_3gpuE5ELNS1_3repE0EEENS1_30default_config_static_selectorELNS0_4arch9wavefront6targetE1EEEvT1_.kd
    .uniform_work_group_size: 1
    .uses_dynamic_stack: false
    .vgpr_count:     0
    .vgpr_spill_count: 0
    .wavefront_size: 64
  - .agpr_count:     0
    .args:
      - .offset:         0
        .size:           64
        .value_kind:     by_value
    .group_segment_fixed_size: 0
    .kernarg_segment_align: 8
    .kernarg_segment_size: 64
    .language:       OpenCL C
    .language_version:
      - 2
      - 0
    .max_flat_workgroup_size: 64
    .name:           _ZN7rocprim17ROCPRIM_400000_NS6detail17trampoline_kernelINS0_14default_configENS1_35adjacent_difference_config_selectorILb0ElEEZNS1_24adjacent_difference_implIS3_Lb0ELb0EPlS7_ZN2at6native12_GLOBAL__N_124unique_dim_cuda_templateIfEESt5tupleIJNS8_6TensorESD_SD_EERKSD_lbbbEUlllE1_EE10hipError_tPvRmT2_T3_mT4_P12ihipStream_tbEUlT_E_NS1_11comp_targetILNS1_3genE5ELNS1_11target_archE942ELNS1_3gpuE9ELNS1_3repE0EEENS1_30default_config_static_selectorELNS0_4arch9wavefront6targetE1EEEvT1_
    .private_segment_fixed_size: 0
    .sgpr_count:     4
    .sgpr_spill_count: 0
    .symbol:         _ZN7rocprim17ROCPRIM_400000_NS6detail17trampoline_kernelINS0_14default_configENS1_35adjacent_difference_config_selectorILb0ElEEZNS1_24adjacent_difference_implIS3_Lb0ELb0EPlS7_ZN2at6native12_GLOBAL__N_124unique_dim_cuda_templateIfEESt5tupleIJNS8_6TensorESD_SD_EERKSD_lbbbEUlllE1_EE10hipError_tPvRmT2_T3_mT4_P12ihipStream_tbEUlT_E_NS1_11comp_targetILNS1_3genE5ELNS1_11target_archE942ELNS1_3gpuE9ELNS1_3repE0EEENS1_30default_config_static_selectorELNS0_4arch9wavefront6targetE1EEEvT1_.kd
    .uniform_work_group_size: 1
    .uses_dynamic_stack: false
    .vgpr_count:     0
    .vgpr_spill_count: 0
    .wavefront_size: 64
  - .agpr_count:     0
    .args:
      - .offset:         0
        .size:           64
        .value_kind:     by_value
    .group_segment_fixed_size: 4224
    .kernarg_segment_align: 8
    .kernarg_segment_size: 64
    .language:       OpenCL C
    .language_version:
      - 2
      - 0
    .max_flat_workgroup_size: 256
    .name:           _ZN7rocprim17ROCPRIM_400000_NS6detail17trampoline_kernelINS0_14default_configENS1_35adjacent_difference_config_selectorILb0ElEEZNS1_24adjacent_difference_implIS3_Lb0ELb0EPlS7_ZN2at6native12_GLOBAL__N_124unique_dim_cuda_templateIfEESt5tupleIJNS8_6TensorESD_SD_EERKSD_lbbbEUlllE1_EE10hipError_tPvRmT2_T3_mT4_P12ihipStream_tbEUlT_E_NS1_11comp_targetILNS1_3genE4ELNS1_11target_archE910ELNS1_3gpuE8ELNS1_3repE0EEENS1_30default_config_static_selectorELNS0_4arch9wavefront6targetE1EEEvT1_
    .private_segment_fixed_size: 0
    .sgpr_count:     42
    .sgpr_spill_count: 0
    .symbol:         _ZN7rocprim17ROCPRIM_400000_NS6detail17trampoline_kernelINS0_14default_configENS1_35adjacent_difference_config_selectorILb0ElEEZNS1_24adjacent_difference_implIS3_Lb0ELb0EPlS7_ZN2at6native12_GLOBAL__N_124unique_dim_cuda_templateIfEESt5tupleIJNS8_6TensorESD_SD_EERKSD_lbbbEUlllE1_EE10hipError_tPvRmT2_T3_mT4_P12ihipStream_tbEUlT_E_NS1_11comp_targetILNS1_3genE4ELNS1_11target_archE910ELNS1_3gpuE8ELNS1_3repE0EEENS1_30default_config_static_selectorELNS0_4arch9wavefront6targetE1EEEvT1_.kd
    .uniform_work_group_size: 1
    .uses_dynamic_stack: false
    .vgpr_count:     17
    .vgpr_spill_count: 0
    .wavefront_size: 64
  - .agpr_count:     0
    .args:
      - .offset:         0
        .size:           64
        .value_kind:     by_value
    .group_segment_fixed_size: 0
    .kernarg_segment_align: 8
    .kernarg_segment_size: 64
    .language:       OpenCL C
    .language_version:
      - 2
      - 0
    .max_flat_workgroup_size: 128
    .name:           _ZN7rocprim17ROCPRIM_400000_NS6detail17trampoline_kernelINS0_14default_configENS1_35adjacent_difference_config_selectorILb0ElEEZNS1_24adjacent_difference_implIS3_Lb0ELb0EPlS7_ZN2at6native12_GLOBAL__N_124unique_dim_cuda_templateIfEESt5tupleIJNS8_6TensorESD_SD_EERKSD_lbbbEUlllE1_EE10hipError_tPvRmT2_T3_mT4_P12ihipStream_tbEUlT_E_NS1_11comp_targetILNS1_3genE3ELNS1_11target_archE908ELNS1_3gpuE7ELNS1_3repE0EEENS1_30default_config_static_selectorELNS0_4arch9wavefront6targetE1EEEvT1_
    .private_segment_fixed_size: 0
    .sgpr_count:     4
    .sgpr_spill_count: 0
    .symbol:         _ZN7rocprim17ROCPRIM_400000_NS6detail17trampoline_kernelINS0_14default_configENS1_35adjacent_difference_config_selectorILb0ElEEZNS1_24adjacent_difference_implIS3_Lb0ELb0EPlS7_ZN2at6native12_GLOBAL__N_124unique_dim_cuda_templateIfEESt5tupleIJNS8_6TensorESD_SD_EERKSD_lbbbEUlllE1_EE10hipError_tPvRmT2_T3_mT4_P12ihipStream_tbEUlT_E_NS1_11comp_targetILNS1_3genE3ELNS1_11target_archE908ELNS1_3gpuE7ELNS1_3repE0EEENS1_30default_config_static_selectorELNS0_4arch9wavefront6targetE1EEEvT1_.kd
    .uniform_work_group_size: 1
    .uses_dynamic_stack: false
    .vgpr_count:     0
    .vgpr_spill_count: 0
    .wavefront_size: 64
  - .agpr_count:     0
    .args:
      - .offset:         0
        .size:           64
        .value_kind:     by_value
    .group_segment_fixed_size: 0
    .kernarg_segment_align: 8
    .kernarg_segment_size: 64
    .language:       OpenCL C
    .language_version:
      - 2
      - 0
    .max_flat_workgroup_size: 128
    .name:           _ZN7rocprim17ROCPRIM_400000_NS6detail17trampoline_kernelINS0_14default_configENS1_35adjacent_difference_config_selectorILb0ElEEZNS1_24adjacent_difference_implIS3_Lb0ELb0EPlS7_ZN2at6native12_GLOBAL__N_124unique_dim_cuda_templateIfEESt5tupleIJNS8_6TensorESD_SD_EERKSD_lbbbEUlllE1_EE10hipError_tPvRmT2_T3_mT4_P12ihipStream_tbEUlT_E_NS1_11comp_targetILNS1_3genE2ELNS1_11target_archE906ELNS1_3gpuE6ELNS1_3repE0EEENS1_30default_config_static_selectorELNS0_4arch9wavefront6targetE1EEEvT1_
    .private_segment_fixed_size: 0
    .sgpr_count:     4
    .sgpr_spill_count: 0
    .symbol:         _ZN7rocprim17ROCPRIM_400000_NS6detail17trampoline_kernelINS0_14default_configENS1_35adjacent_difference_config_selectorILb0ElEEZNS1_24adjacent_difference_implIS3_Lb0ELb0EPlS7_ZN2at6native12_GLOBAL__N_124unique_dim_cuda_templateIfEESt5tupleIJNS8_6TensorESD_SD_EERKSD_lbbbEUlllE1_EE10hipError_tPvRmT2_T3_mT4_P12ihipStream_tbEUlT_E_NS1_11comp_targetILNS1_3genE2ELNS1_11target_archE906ELNS1_3gpuE6ELNS1_3repE0EEENS1_30default_config_static_selectorELNS0_4arch9wavefront6targetE1EEEvT1_.kd
    .uniform_work_group_size: 1
    .uses_dynamic_stack: false
    .vgpr_count:     0
    .vgpr_spill_count: 0
    .wavefront_size: 64
  - .agpr_count:     0
    .args:
      - .offset:         0
        .size:           64
        .value_kind:     by_value
    .group_segment_fixed_size: 0
    .kernarg_segment_align: 8
    .kernarg_segment_size: 64
    .language:       OpenCL C
    .language_version:
      - 2
      - 0
    .max_flat_workgroup_size: 512
    .name:           _ZN7rocprim17ROCPRIM_400000_NS6detail17trampoline_kernelINS0_14default_configENS1_35adjacent_difference_config_selectorILb0ElEEZNS1_24adjacent_difference_implIS3_Lb0ELb0EPlS7_ZN2at6native12_GLOBAL__N_124unique_dim_cuda_templateIfEESt5tupleIJNS8_6TensorESD_SD_EERKSD_lbbbEUlllE1_EE10hipError_tPvRmT2_T3_mT4_P12ihipStream_tbEUlT_E_NS1_11comp_targetILNS1_3genE9ELNS1_11target_archE1100ELNS1_3gpuE3ELNS1_3repE0EEENS1_30default_config_static_selectorELNS0_4arch9wavefront6targetE1EEEvT1_
    .private_segment_fixed_size: 0
    .sgpr_count:     4
    .sgpr_spill_count: 0
    .symbol:         _ZN7rocprim17ROCPRIM_400000_NS6detail17trampoline_kernelINS0_14default_configENS1_35adjacent_difference_config_selectorILb0ElEEZNS1_24adjacent_difference_implIS3_Lb0ELb0EPlS7_ZN2at6native12_GLOBAL__N_124unique_dim_cuda_templateIfEESt5tupleIJNS8_6TensorESD_SD_EERKSD_lbbbEUlllE1_EE10hipError_tPvRmT2_T3_mT4_P12ihipStream_tbEUlT_E_NS1_11comp_targetILNS1_3genE9ELNS1_11target_archE1100ELNS1_3gpuE3ELNS1_3repE0EEENS1_30default_config_static_selectorELNS0_4arch9wavefront6targetE1EEEvT1_.kd
    .uniform_work_group_size: 1
    .uses_dynamic_stack: false
    .vgpr_count:     0
    .vgpr_spill_count: 0
    .wavefront_size: 64
  - .agpr_count:     0
    .args:
      - .offset:         0
        .size:           64
        .value_kind:     by_value
    .group_segment_fixed_size: 0
    .kernarg_segment_align: 8
    .kernarg_segment_size: 64
    .language:       OpenCL C
    .language_version:
      - 2
      - 0
    .max_flat_workgroup_size: 1024
    .name:           _ZN7rocprim17ROCPRIM_400000_NS6detail17trampoline_kernelINS0_14default_configENS1_35adjacent_difference_config_selectorILb0ElEEZNS1_24adjacent_difference_implIS3_Lb0ELb0EPlS7_ZN2at6native12_GLOBAL__N_124unique_dim_cuda_templateIfEESt5tupleIJNS8_6TensorESD_SD_EERKSD_lbbbEUlllE1_EE10hipError_tPvRmT2_T3_mT4_P12ihipStream_tbEUlT_E_NS1_11comp_targetILNS1_3genE8ELNS1_11target_archE1030ELNS1_3gpuE2ELNS1_3repE0EEENS1_30default_config_static_selectorELNS0_4arch9wavefront6targetE1EEEvT1_
    .private_segment_fixed_size: 0
    .sgpr_count:     4
    .sgpr_spill_count: 0
    .symbol:         _ZN7rocprim17ROCPRIM_400000_NS6detail17trampoline_kernelINS0_14default_configENS1_35adjacent_difference_config_selectorILb0ElEEZNS1_24adjacent_difference_implIS3_Lb0ELb0EPlS7_ZN2at6native12_GLOBAL__N_124unique_dim_cuda_templateIfEESt5tupleIJNS8_6TensorESD_SD_EERKSD_lbbbEUlllE1_EE10hipError_tPvRmT2_T3_mT4_P12ihipStream_tbEUlT_E_NS1_11comp_targetILNS1_3genE8ELNS1_11target_archE1030ELNS1_3gpuE2ELNS1_3repE0EEENS1_30default_config_static_selectorELNS0_4arch9wavefront6targetE1EEEvT1_.kd
    .uniform_work_group_size: 1
    .uses_dynamic_stack: false
    .vgpr_count:     0
    .vgpr_spill_count: 0
    .wavefront_size: 64
  - .agpr_count:     0
    .args:
      - .offset:         0
        .size:           56
        .value_kind:     by_value
    .group_segment_fixed_size: 0
    .kernarg_segment_align: 8
    .kernarg_segment_size: 56
    .language:       OpenCL C
    .language_version:
      - 2
      - 0
    .max_flat_workgroup_size: 128
    .name:           _ZN7rocprim17ROCPRIM_400000_NS6detail17trampoline_kernelINS0_14default_configENS1_25transform_config_selectorIlLb0EEEZNS1_14transform_implILb0ES3_S5_NS0_18transform_iteratorINS0_17counting_iteratorImlEEZNS1_24adjacent_difference_implIS3_Lb1ELb0EPlSB_ZN2at6native12_GLOBAL__N_124unique_dim_cuda_templateIfEESt5tupleIJNSC_6TensorESH_SH_EERKSH_lbbbEUlllE1_EE10hipError_tPvRmT2_T3_mT4_P12ihipStream_tbEUlmE_lEESB_NS0_8identityIvEEEESM_SP_SQ_mSR_ST_bEUlT_E_NS1_11comp_targetILNS1_3genE0ELNS1_11target_archE4294967295ELNS1_3gpuE0ELNS1_3repE0EEENS1_30default_config_static_selectorELNS0_4arch9wavefront6targetE1EEEvT1_
    .private_segment_fixed_size: 0
    .sgpr_count:     4
    .sgpr_spill_count: 0
    .symbol:         _ZN7rocprim17ROCPRIM_400000_NS6detail17trampoline_kernelINS0_14default_configENS1_25transform_config_selectorIlLb0EEEZNS1_14transform_implILb0ES3_S5_NS0_18transform_iteratorINS0_17counting_iteratorImlEEZNS1_24adjacent_difference_implIS3_Lb1ELb0EPlSB_ZN2at6native12_GLOBAL__N_124unique_dim_cuda_templateIfEESt5tupleIJNSC_6TensorESH_SH_EERKSH_lbbbEUlllE1_EE10hipError_tPvRmT2_T3_mT4_P12ihipStream_tbEUlmE_lEESB_NS0_8identityIvEEEESM_SP_SQ_mSR_ST_bEUlT_E_NS1_11comp_targetILNS1_3genE0ELNS1_11target_archE4294967295ELNS1_3gpuE0ELNS1_3repE0EEENS1_30default_config_static_selectorELNS0_4arch9wavefront6targetE1EEEvT1_.kd
    .uniform_work_group_size: 1
    .uses_dynamic_stack: false
    .vgpr_count:     0
    .vgpr_spill_count: 0
    .wavefront_size: 64
  - .agpr_count:     0
    .args:
      - .offset:         0
        .size:           56
        .value_kind:     by_value
    .group_segment_fixed_size: 0
    .kernarg_segment_align: 8
    .kernarg_segment_size: 56
    .language:       OpenCL C
    .language_version:
      - 2
      - 0
    .max_flat_workgroup_size: 512
    .name:           _ZN7rocprim17ROCPRIM_400000_NS6detail17trampoline_kernelINS0_14default_configENS1_25transform_config_selectorIlLb0EEEZNS1_14transform_implILb0ES3_S5_NS0_18transform_iteratorINS0_17counting_iteratorImlEEZNS1_24adjacent_difference_implIS3_Lb1ELb0EPlSB_ZN2at6native12_GLOBAL__N_124unique_dim_cuda_templateIfEESt5tupleIJNSC_6TensorESH_SH_EERKSH_lbbbEUlllE1_EE10hipError_tPvRmT2_T3_mT4_P12ihipStream_tbEUlmE_lEESB_NS0_8identityIvEEEESM_SP_SQ_mSR_ST_bEUlT_E_NS1_11comp_targetILNS1_3genE5ELNS1_11target_archE942ELNS1_3gpuE9ELNS1_3repE0EEENS1_30default_config_static_selectorELNS0_4arch9wavefront6targetE1EEEvT1_
    .private_segment_fixed_size: 0
    .sgpr_count:     4
    .sgpr_spill_count: 0
    .symbol:         _ZN7rocprim17ROCPRIM_400000_NS6detail17trampoline_kernelINS0_14default_configENS1_25transform_config_selectorIlLb0EEEZNS1_14transform_implILb0ES3_S5_NS0_18transform_iteratorINS0_17counting_iteratorImlEEZNS1_24adjacent_difference_implIS3_Lb1ELb0EPlSB_ZN2at6native12_GLOBAL__N_124unique_dim_cuda_templateIfEESt5tupleIJNSC_6TensorESH_SH_EERKSH_lbbbEUlllE1_EE10hipError_tPvRmT2_T3_mT4_P12ihipStream_tbEUlmE_lEESB_NS0_8identityIvEEEESM_SP_SQ_mSR_ST_bEUlT_E_NS1_11comp_targetILNS1_3genE5ELNS1_11target_archE942ELNS1_3gpuE9ELNS1_3repE0EEENS1_30default_config_static_selectorELNS0_4arch9wavefront6targetE1EEEvT1_.kd
    .uniform_work_group_size: 1
    .uses_dynamic_stack: false
    .vgpr_count:     0
    .vgpr_spill_count: 0
    .wavefront_size: 64
  - .agpr_count:     0
    .args:
      - .offset:         0
        .size:           56
        .value_kind:     by_value
      - .offset:         56
        .size:           4
        .value_kind:     hidden_block_count_x
      - .offset:         60
        .size:           4
        .value_kind:     hidden_block_count_y
      - .offset:         64
        .size:           4
        .value_kind:     hidden_block_count_z
      - .offset:         68
        .size:           2
        .value_kind:     hidden_group_size_x
      - .offset:         70
        .size:           2
        .value_kind:     hidden_group_size_y
      - .offset:         72
        .size:           2
        .value_kind:     hidden_group_size_z
      - .offset:         74
        .size:           2
        .value_kind:     hidden_remainder_x
      - .offset:         76
        .size:           2
        .value_kind:     hidden_remainder_y
      - .offset:         78
        .size:           2
        .value_kind:     hidden_remainder_z
      - .offset:         96
        .size:           8
        .value_kind:     hidden_global_offset_x
      - .offset:         104
        .size:           8
        .value_kind:     hidden_global_offset_y
      - .offset:         112
        .size:           8
        .value_kind:     hidden_global_offset_z
      - .offset:         120
        .size:           2
        .value_kind:     hidden_grid_dims
    .group_segment_fixed_size: 0
    .kernarg_segment_align: 8
    .kernarg_segment_size: 312
    .language:       OpenCL C
    .language_version:
      - 2
      - 0
    .max_flat_workgroup_size: 256
    .name:           _ZN7rocprim17ROCPRIM_400000_NS6detail17trampoline_kernelINS0_14default_configENS1_25transform_config_selectorIlLb0EEEZNS1_14transform_implILb0ES3_S5_NS0_18transform_iteratorINS0_17counting_iteratorImlEEZNS1_24adjacent_difference_implIS3_Lb1ELb0EPlSB_ZN2at6native12_GLOBAL__N_124unique_dim_cuda_templateIfEESt5tupleIJNSC_6TensorESH_SH_EERKSH_lbbbEUlllE1_EE10hipError_tPvRmT2_T3_mT4_P12ihipStream_tbEUlmE_lEESB_NS0_8identityIvEEEESM_SP_SQ_mSR_ST_bEUlT_E_NS1_11comp_targetILNS1_3genE4ELNS1_11target_archE910ELNS1_3gpuE8ELNS1_3repE0EEENS1_30default_config_static_selectorELNS0_4arch9wavefront6targetE1EEEvT1_
    .private_segment_fixed_size: 0
    .sgpr_count:     22
    .sgpr_spill_count: 0
    .symbol:         _ZN7rocprim17ROCPRIM_400000_NS6detail17trampoline_kernelINS0_14default_configENS1_25transform_config_selectorIlLb0EEEZNS1_14transform_implILb0ES3_S5_NS0_18transform_iteratorINS0_17counting_iteratorImlEEZNS1_24adjacent_difference_implIS3_Lb1ELb0EPlSB_ZN2at6native12_GLOBAL__N_124unique_dim_cuda_templateIfEESt5tupleIJNSC_6TensorESH_SH_EERKSH_lbbbEUlllE1_EE10hipError_tPvRmT2_T3_mT4_P12ihipStream_tbEUlmE_lEESB_NS0_8identityIvEEEESM_SP_SQ_mSR_ST_bEUlT_E_NS1_11comp_targetILNS1_3genE4ELNS1_11target_archE910ELNS1_3gpuE8ELNS1_3repE0EEENS1_30default_config_static_selectorELNS0_4arch9wavefront6targetE1EEEvT1_.kd
    .uniform_work_group_size: 1
    .uses_dynamic_stack: false
    .vgpr_count:     10
    .vgpr_spill_count: 0
    .wavefront_size: 64
  - .agpr_count:     0
    .args:
      - .offset:         0
        .size:           56
        .value_kind:     by_value
    .group_segment_fixed_size: 0
    .kernarg_segment_align: 8
    .kernarg_segment_size: 56
    .language:       OpenCL C
    .language_version:
      - 2
      - 0
    .max_flat_workgroup_size: 128
    .name:           _ZN7rocprim17ROCPRIM_400000_NS6detail17trampoline_kernelINS0_14default_configENS1_25transform_config_selectorIlLb0EEEZNS1_14transform_implILb0ES3_S5_NS0_18transform_iteratorINS0_17counting_iteratorImlEEZNS1_24adjacent_difference_implIS3_Lb1ELb0EPlSB_ZN2at6native12_GLOBAL__N_124unique_dim_cuda_templateIfEESt5tupleIJNSC_6TensorESH_SH_EERKSH_lbbbEUlllE1_EE10hipError_tPvRmT2_T3_mT4_P12ihipStream_tbEUlmE_lEESB_NS0_8identityIvEEEESM_SP_SQ_mSR_ST_bEUlT_E_NS1_11comp_targetILNS1_3genE3ELNS1_11target_archE908ELNS1_3gpuE7ELNS1_3repE0EEENS1_30default_config_static_selectorELNS0_4arch9wavefront6targetE1EEEvT1_
    .private_segment_fixed_size: 0
    .sgpr_count:     4
    .sgpr_spill_count: 0
    .symbol:         _ZN7rocprim17ROCPRIM_400000_NS6detail17trampoline_kernelINS0_14default_configENS1_25transform_config_selectorIlLb0EEEZNS1_14transform_implILb0ES3_S5_NS0_18transform_iteratorINS0_17counting_iteratorImlEEZNS1_24adjacent_difference_implIS3_Lb1ELb0EPlSB_ZN2at6native12_GLOBAL__N_124unique_dim_cuda_templateIfEESt5tupleIJNSC_6TensorESH_SH_EERKSH_lbbbEUlllE1_EE10hipError_tPvRmT2_T3_mT4_P12ihipStream_tbEUlmE_lEESB_NS0_8identityIvEEEESM_SP_SQ_mSR_ST_bEUlT_E_NS1_11comp_targetILNS1_3genE3ELNS1_11target_archE908ELNS1_3gpuE7ELNS1_3repE0EEENS1_30default_config_static_selectorELNS0_4arch9wavefront6targetE1EEEvT1_.kd
    .uniform_work_group_size: 1
    .uses_dynamic_stack: false
    .vgpr_count:     0
    .vgpr_spill_count: 0
    .wavefront_size: 64
  - .agpr_count:     0
    .args:
      - .offset:         0
        .size:           56
        .value_kind:     by_value
    .group_segment_fixed_size: 0
    .kernarg_segment_align: 8
    .kernarg_segment_size: 56
    .language:       OpenCL C
    .language_version:
      - 2
      - 0
    .max_flat_workgroup_size: 512
    .name:           _ZN7rocprim17ROCPRIM_400000_NS6detail17trampoline_kernelINS0_14default_configENS1_25transform_config_selectorIlLb0EEEZNS1_14transform_implILb0ES3_S5_NS0_18transform_iteratorINS0_17counting_iteratorImlEEZNS1_24adjacent_difference_implIS3_Lb1ELb0EPlSB_ZN2at6native12_GLOBAL__N_124unique_dim_cuda_templateIfEESt5tupleIJNSC_6TensorESH_SH_EERKSH_lbbbEUlllE1_EE10hipError_tPvRmT2_T3_mT4_P12ihipStream_tbEUlmE_lEESB_NS0_8identityIvEEEESM_SP_SQ_mSR_ST_bEUlT_E_NS1_11comp_targetILNS1_3genE2ELNS1_11target_archE906ELNS1_3gpuE6ELNS1_3repE0EEENS1_30default_config_static_selectorELNS0_4arch9wavefront6targetE1EEEvT1_
    .private_segment_fixed_size: 0
    .sgpr_count:     4
    .sgpr_spill_count: 0
    .symbol:         _ZN7rocprim17ROCPRIM_400000_NS6detail17trampoline_kernelINS0_14default_configENS1_25transform_config_selectorIlLb0EEEZNS1_14transform_implILb0ES3_S5_NS0_18transform_iteratorINS0_17counting_iteratorImlEEZNS1_24adjacent_difference_implIS3_Lb1ELb0EPlSB_ZN2at6native12_GLOBAL__N_124unique_dim_cuda_templateIfEESt5tupleIJNSC_6TensorESH_SH_EERKSH_lbbbEUlllE1_EE10hipError_tPvRmT2_T3_mT4_P12ihipStream_tbEUlmE_lEESB_NS0_8identityIvEEEESM_SP_SQ_mSR_ST_bEUlT_E_NS1_11comp_targetILNS1_3genE2ELNS1_11target_archE906ELNS1_3gpuE6ELNS1_3repE0EEENS1_30default_config_static_selectorELNS0_4arch9wavefront6targetE1EEEvT1_.kd
    .uniform_work_group_size: 1
    .uses_dynamic_stack: false
    .vgpr_count:     0
    .vgpr_spill_count: 0
    .wavefront_size: 64
  - .agpr_count:     0
    .args:
      - .offset:         0
        .size:           56
        .value_kind:     by_value
    .group_segment_fixed_size: 0
    .kernarg_segment_align: 8
    .kernarg_segment_size: 56
    .language:       OpenCL C
    .language_version:
      - 2
      - 0
    .max_flat_workgroup_size: 1024
    .name:           _ZN7rocprim17ROCPRIM_400000_NS6detail17trampoline_kernelINS0_14default_configENS1_25transform_config_selectorIlLb0EEEZNS1_14transform_implILb0ES3_S5_NS0_18transform_iteratorINS0_17counting_iteratorImlEEZNS1_24adjacent_difference_implIS3_Lb1ELb0EPlSB_ZN2at6native12_GLOBAL__N_124unique_dim_cuda_templateIfEESt5tupleIJNSC_6TensorESH_SH_EERKSH_lbbbEUlllE1_EE10hipError_tPvRmT2_T3_mT4_P12ihipStream_tbEUlmE_lEESB_NS0_8identityIvEEEESM_SP_SQ_mSR_ST_bEUlT_E_NS1_11comp_targetILNS1_3genE10ELNS1_11target_archE1201ELNS1_3gpuE5ELNS1_3repE0EEENS1_30default_config_static_selectorELNS0_4arch9wavefront6targetE1EEEvT1_
    .private_segment_fixed_size: 0
    .sgpr_count:     4
    .sgpr_spill_count: 0
    .symbol:         _ZN7rocprim17ROCPRIM_400000_NS6detail17trampoline_kernelINS0_14default_configENS1_25transform_config_selectorIlLb0EEEZNS1_14transform_implILb0ES3_S5_NS0_18transform_iteratorINS0_17counting_iteratorImlEEZNS1_24adjacent_difference_implIS3_Lb1ELb0EPlSB_ZN2at6native12_GLOBAL__N_124unique_dim_cuda_templateIfEESt5tupleIJNSC_6TensorESH_SH_EERKSH_lbbbEUlllE1_EE10hipError_tPvRmT2_T3_mT4_P12ihipStream_tbEUlmE_lEESB_NS0_8identityIvEEEESM_SP_SQ_mSR_ST_bEUlT_E_NS1_11comp_targetILNS1_3genE10ELNS1_11target_archE1201ELNS1_3gpuE5ELNS1_3repE0EEENS1_30default_config_static_selectorELNS0_4arch9wavefront6targetE1EEEvT1_.kd
    .uniform_work_group_size: 1
    .uses_dynamic_stack: false
    .vgpr_count:     0
    .vgpr_spill_count: 0
    .wavefront_size: 64
  - .agpr_count:     0
    .args:
      - .offset:         0
        .size:           56
        .value_kind:     by_value
    .group_segment_fixed_size: 0
    .kernarg_segment_align: 8
    .kernarg_segment_size: 56
    .language:       OpenCL C
    .language_version:
      - 2
      - 0
    .max_flat_workgroup_size: 512
    .name:           _ZN7rocprim17ROCPRIM_400000_NS6detail17trampoline_kernelINS0_14default_configENS1_25transform_config_selectorIlLb0EEEZNS1_14transform_implILb0ES3_S5_NS0_18transform_iteratorINS0_17counting_iteratorImlEEZNS1_24adjacent_difference_implIS3_Lb1ELb0EPlSB_ZN2at6native12_GLOBAL__N_124unique_dim_cuda_templateIfEESt5tupleIJNSC_6TensorESH_SH_EERKSH_lbbbEUlllE1_EE10hipError_tPvRmT2_T3_mT4_P12ihipStream_tbEUlmE_lEESB_NS0_8identityIvEEEESM_SP_SQ_mSR_ST_bEUlT_E_NS1_11comp_targetILNS1_3genE10ELNS1_11target_archE1200ELNS1_3gpuE4ELNS1_3repE0EEENS1_30default_config_static_selectorELNS0_4arch9wavefront6targetE1EEEvT1_
    .private_segment_fixed_size: 0
    .sgpr_count:     4
    .sgpr_spill_count: 0
    .symbol:         _ZN7rocprim17ROCPRIM_400000_NS6detail17trampoline_kernelINS0_14default_configENS1_25transform_config_selectorIlLb0EEEZNS1_14transform_implILb0ES3_S5_NS0_18transform_iteratorINS0_17counting_iteratorImlEEZNS1_24adjacent_difference_implIS3_Lb1ELb0EPlSB_ZN2at6native12_GLOBAL__N_124unique_dim_cuda_templateIfEESt5tupleIJNSC_6TensorESH_SH_EERKSH_lbbbEUlllE1_EE10hipError_tPvRmT2_T3_mT4_P12ihipStream_tbEUlmE_lEESB_NS0_8identityIvEEEESM_SP_SQ_mSR_ST_bEUlT_E_NS1_11comp_targetILNS1_3genE10ELNS1_11target_archE1200ELNS1_3gpuE4ELNS1_3repE0EEENS1_30default_config_static_selectorELNS0_4arch9wavefront6targetE1EEEvT1_.kd
    .uniform_work_group_size: 1
    .uses_dynamic_stack: false
    .vgpr_count:     0
    .vgpr_spill_count: 0
    .wavefront_size: 64
  - .agpr_count:     0
    .args:
      - .offset:         0
        .size:           56
        .value_kind:     by_value
    .group_segment_fixed_size: 0
    .kernarg_segment_align: 8
    .kernarg_segment_size: 56
    .language:       OpenCL C
    .language_version:
      - 2
      - 0
    .max_flat_workgroup_size: 512
    .name:           _ZN7rocprim17ROCPRIM_400000_NS6detail17trampoline_kernelINS0_14default_configENS1_25transform_config_selectorIlLb0EEEZNS1_14transform_implILb0ES3_S5_NS0_18transform_iteratorINS0_17counting_iteratorImlEEZNS1_24adjacent_difference_implIS3_Lb1ELb0EPlSB_ZN2at6native12_GLOBAL__N_124unique_dim_cuda_templateIfEESt5tupleIJNSC_6TensorESH_SH_EERKSH_lbbbEUlllE1_EE10hipError_tPvRmT2_T3_mT4_P12ihipStream_tbEUlmE_lEESB_NS0_8identityIvEEEESM_SP_SQ_mSR_ST_bEUlT_E_NS1_11comp_targetILNS1_3genE9ELNS1_11target_archE1100ELNS1_3gpuE3ELNS1_3repE0EEENS1_30default_config_static_selectorELNS0_4arch9wavefront6targetE1EEEvT1_
    .private_segment_fixed_size: 0
    .sgpr_count:     4
    .sgpr_spill_count: 0
    .symbol:         _ZN7rocprim17ROCPRIM_400000_NS6detail17trampoline_kernelINS0_14default_configENS1_25transform_config_selectorIlLb0EEEZNS1_14transform_implILb0ES3_S5_NS0_18transform_iteratorINS0_17counting_iteratorImlEEZNS1_24adjacent_difference_implIS3_Lb1ELb0EPlSB_ZN2at6native12_GLOBAL__N_124unique_dim_cuda_templateIfEESt5tupleIJNSC_6TensorESH_SH_EERKSH_lbbbEUlllE1_EE10hipError_tPvRmT2_T3_mT4_P12ihipStream_tbEUlmE_lEESB_NS0_8identityIvEEEESM_SP_SQ_mSR_ST_bEUlT_E_NS1_11comp_targetILNS1_3genE9ELNS1_11target_archE1100ELNS1_3gpuE3ELNS1_3repE0EEENS1_30default_config_static_selectorELNS0_4arch9wavefront6targetE1EEEvT1_.kd
    .uniform_work_group_size: 1
    .uses_dynamic_stack: false
    .vgpr_count:     0
    .vgpr_spill_count: 0
    .wavefront_size: 64
  - .agpr_count:     0
    .args:
      - .offset:         0
        .size:           56
        .value_kind:     by_value
    .group_segment_fixed_size: 0
    .kernarg_segment_align: 8
    .kernarg_segment_size: 56
    .language:       OpenCL C
    .language_version:
      - 2
      - 0
    .max_flat_workgroup_size: 512
    .name:           _ZN7rocprim17ROCPRIM_400000_NS6detail17trampoline_kernelINS0_14default_configENS1_25transform_config_selectorIlLb0EEEZNS1_14transform_implILb0ES3_S5_NS0_18transform_iteratorINS0_17counting_iteratorImlEEZNS1_24adjacent_difference_implIS3_Lb1ELb0EPlSB_ZN2at6native12_GLOBAL__N_124unique_dim_cuda_templateIfEESt5tupleIJNSC_6TensorESH_SH_EERKSH_lbbbEUlllE1_EE10hipError_tPvRmT2_T3_mT4_P12ihipStream_tbEUlmE_lEESB_NS0_8identityIvEEEESM_SP_SQ_mSR_ST_bEUlT_E_NS1_11comp_targetILNS1_3genE8ELNS1_11target_archE1030ELNS1_3gpuE2ELNS1_3repE0EEENS1_30default_config_static_selectorELNS0_4arch9wavefront6targetE1EEEvT1_
    .private_segment_fixed_size: 0
    .sgpr_count:     4
    .sgpr_spill_count: 0
    .symbol:         _ZN7rocprim17ROCPRIM_400000_NS6detail17trampoline_kernelINS0_14default_configENS1_25transform_config_selectorIlLb0EEEZNS1_14transform_implILb0ES3_S5_NS0_18transform_iteratorINS0_17counting_iteratorImlEEZNS1_24adjacent_difference_implIS3_Lb1ELb0EPlSB_ZN2at6native12_GLOBAL__N_124unique_dim_cuda_templateIfEESt5tupleIJNSC_6TensorESH_SH_EERKSH_lbbbEUlllE1_EE10hipError_tPvRmT2_T3_mT4_P12ihipStream_tbEUlmE_lEESB_NS0_8identityIvEEEESM_SP_SQ_mSR_ST_bEUlT_E_NS1_11comp_targetILNS1_3genE8ELNS1_11target_archE1030ELNS1_3gpuE2ELNS1_3repE0EEENS1_30default_config_static_selectorELNS0_4arch9wavefront6targetE1EEEvT1_.kd
    .uniform_work_group_size: 1
    .uses_dynamic_stack: false
    .vgpr_count:     0
    .vgpr_spill_count: 0
    .wavefront_size: 64
  - .agpr_count:     0
    .args:
      - .offset:         0
        .size:           64
        .value_kind:     by_value
    .group_segment_fixed_size: 0
    .kernarg_segment_align: 8
    .kernarg_segment_size: 64
    .language:       OpenCL C
    .language_version:
      - 2
      - 0
    .max_flat_workgroup_size: 512
    .name:           _ZN7rocprim17ROCPRIM_400000_NS6detail17trampoline_kernelINS0_14default_configENS1_35adjacent_difference_config_selectorILb1ElEEZNS1_24adjacent_difference_implIS3_Lb1ELb0EPlS7_ZN2at6native12_GLOBAL__N_124unique_dim_cuda_templateIfEESt5tupleIJNS8_6TensorESD_SD_EERKSD_lbbbEUlllE1_EE10hipError_tPvRmT2_T3_mT4_P12ihipStream_tbEUlT_E_NS1_11comp_targetILNS1_3genE0ELNS1_11target_archE4294967295ELNS1_3gpuE0ELNS1_3repE0EEENS1_30default_config_static_selectorELNS0_4arch9wavefront6targetE1EEEvT1_
    .private_segment_fixed_size: 0
    .sgpr_count:     4
    .sgpr_spill_count: 0
    .symbol:         _ZN7rocprim17ROCPRIM_400000_NS6detail17trampoline_kernelINS0_14default_configENS1_35adjacent_difference_config_selectorILb1ElEEZNS1_24adjacent_difference_implIS3_Lb1ELb0EPlS7_ZN2at6native12_GLOBAL__N_124unique_dim_cuda_templateIfEESt5tupleIJNS8_6TensorESD_SD_EERKSD_lbbbEUlllE1_EE10hipError_tPvRmT2_T3_mT4_P12ihipStream_tbEUlT_E_NS1_11comp_targetILNS1_3genE0ELNS1_11target_archE4294967295ELNS1_3gpuE0ELNS1_3repE0EEENS1_30default_config_static_selectorELNS0_4arch9wavefront6targetE1EEEvT1_.kd
    .uniform_work_group_size: 1
    .uses_dynamic_stack: false
    .vgpr_count:     0
    .vgpr_spill_count: 0
    .wavefront_size: 64
  - .agpr_count:     0
    .args:
      - .offset:         0
        .size:           64
        .value_kind:     by_value
    .group_segment_fixed_size: 0
    .kernarg_segment_align: 8
    .kernarg_segment_size: 64
    .language:       OpenCL C
    .language_version:
      - 2
      - 0
    .max_flat_workgroup_size: 32
    .name:           _ZN7rocprim17ROCPRIM_400000_NS6detail17trampoline_kernelINS0_14default_configENS1_35adjacent_difference_config_selectorILb1ElEEZNS1_24adjacent_difference_implIS3_Lb1ELb0EPlS7_ZN2at6native12_GLOBAL__N_124unique_dim_cuda_templateIfEESt5tupleIJNS8_6TensorESD_SD_EERKSD_lbbbEUlllE1_EE10hipError_tPvRmT2_T3_mT4_P12ihipStream_tbEUlT_E_NS1_11comp_targetILNS1_3genE10ELNS1_11target_archE1201ELNS1_3gpuE5ELNS1_3repE0EEENS1_30default_config_static_selectorELNS0_4arch9wavefront6targetE1EEEvT1_
    .private_segment_fixed_size: 0
    .sgpr_count:     4
    .sgpr_spill_count: 0
    .symbol:         _ZN7rocprim17ROCPRIM_400000_NS6detail17trampoline_kernelINS0_14default_configENS1_35adjacent_difference_config_selectorILb1ElEEZNS1_24adjacent_difference_implIS3_Lb1ELb0EPlS7_ZN2at6native12_GLOBAL__N_124unique_dim_cuda_templateIfEESt5tupleIJNS8_6TensorESD_SD_EERKSD_lbbbEUlllE1_EE10hipError_tPvRmT2_T3_mT4_P12ihipStream_tbEUlT_E_NS1_11comp_targetILNS1_3genE10ELNS1_11target_archE1201ELNS1_3gpuE5ELNS1_3repE0EEENS1_30default_config_static_selectorELNS0_4arch9wavefront6targetE1EEEvT1_.kd
    .uniform_work_group_size: 1
    .uses_dynamic_stack: false
    .vgpr_count:     0
    .vgpr_spill_count: 0
    .wavefront_size: 64
  - .agpr_count:     0
    .args:
      - .offset:         0
        .size:           64
        .value_kind:     by_value
    .group_segment_fixed_size: 0
    .kernarg_segment_align: 8
    .kernarg_segment_size: 64
    .language:       OpenCL C
    .language_version:
      - 2
      - 0
    .max_flat_workgroup_size: 256
    .name:           _ZN7rocprim17ROCPRIM_400000_NS6detail17trampoline_kernelINS0_14default_configENS1_35adjacent_difference_config_selectorILb1ElEEZNS1_24adjacent_difference_implIS3_Lb1ELb0EPlS7_ZN2at6native12_GLOBAL__N_124unique_dim_cuda_templateIfEESt5tupleIJNS8_6TensorESD_SD_EERKSD_lbbbEUlllE1_EE10hipError_tPvRmT2_T3_mT4_P12ihipStream_tbEUlT_E_NS1_11comp_targetILNS1_3genE5ELNS1_11target_archE942ELNS1_3gpuE9ELNS1_3repE0EEENS1_30default_config_static_selectorELNS0_4arch9wavefront6targetE1EEEvT1_
    .private_segment_fixed_size: 0
    .sgpr_count:     4
    .sgpr_spill_count: 0
    .symbol:         _ZN7rocprim17ROCPRIM_400000_NS6detail17trampoline_kernelINS0_14default_configENS1_35adjacent_difference_config_selectorILb1ElEEZNS1_24adjacent_difference_implIS3_Lb1ELb0EPlS7_ZN2at6native12_GLOBAL__N_124unique_dim_cuda_templateIfEESt5tupleIJNS8_6TensorESD_SD_EERKSD_lbbbEUlllE1_EE10hipError_tPvRmT2_T3_mT4_P12ihipStream_tbEUlT_E_NS1_11comp_targetILNS1_3genE5ELNS1_11target_archE942ELNS1_3gpuE9ELNS1_3repE0EEENS1_30default_config_static_selectorELNS0_4arch9wavefront6targetE1EEEvT1_.kd
    .uniform_work_group_size: 1
    .uses_dynamic_stack: false
    .vgpr_count:     0
    .vgpr_spill_count: 0
    .wavefront_size: 64
  - .agpr_count:     0
    .args:
      - .offset:         0
        .size:           64
        .value_kind:     by_value
    .group_segment_fixed_size: 8448
    .kernarg_segment_align: 8
    .kernarg_segment_size: 64
    .language:       OpenCL C
    .language_version:
      - 2
      - 0
    .max_flat_workgroup_size: 512
    .name:           _ZN7rocprim17ROCPRIM_400000_NS6detail17trampoline_kernelINS0_14default_configENS1_35adjacent_difference_config_selectorILb1ElEEZNS1_24adjacent_difference_implIS3_Lb1ELb0EPlS7_ZN2at6native12_GLOBAL__N_124unique_dim_cuda_templateIfEESt5tupleIJNS8_6TensorESD_SD_EERKSD_lbbbEUlllE1_EE10hipError_tPvRmT2_T3_mT4_P12ihipStream_tbEUlT_E_NS1_11comp_targetILNS1_3genE4ELNS1_11target_archE910ELNS1_3gpuE8ELNS1_3repE0EEENS1_30default_config_static_selectorELNS0_4arch9wavefront6targetE1EEEvT1_
    .private_segment_fixed_size: 0
    .sgpr_count:     42
    .sgpr_spill_count: 0
    .symbol:         _ZN7rocprim17ROCPRIM_400000_NS6detail17trampoline_kernelINS0_14default_configENS1_35adjacent_difference_config_selectorILb1ElEEZNS1_24adjacent_difference_implIS3_Lb1ELb0EPlS7_ZN2at6native12_GLOBAL__N_124unique_dim_cuda_templateIfEESt5tupleIJNS8_6TensorESD_SD_EERKSD_lbbbEUlllE1_EE10hipError_tPvRmT2_T3_mT4_P12ihipStream_tbEUlT_E_NS1_11comp_targetILNS1_3genE4ELNS1_11target_archE910ELNS1_3gpuE8ELNS1_3repE0EEENS1_30default_config_static_selectorELNS0_4arch9wavefront6targetE1EEEvT1_.kd
    .uniform_work_group_size: 1
    .uses_dynamic_stack: false
    .vgpr_count:     17
    .vgpr_spill_count: 0
    .wavefront_size: 64
  - .agpr_count:     0
    .args:
      - .offset:         0
        .size:           64
        .value_kind:     by_value
    .group_segment_fixed_size: 0
    .kernarg_segment_align: 8
    .kernarg_segment_size: 64
    .language:       OpenCL C
    .language_version:
      - 2
      - 0
    .max_flat_workgroup_size: 512
    .name:           _ZN7rocprim17ROCPRIM_400000_NS6detail17trampoline_kernelINS0_14default_configENS1_35adjacent_difference_config_selectorILb1ElEEZNS1_24adjacent_difference_implIS3_Lb1ELb0EPlS7_ZN2at6native12_GLOBAL__N_124unique_dim_cuda_templateIfEESt5tupleIJNS8_6TensorESD_SD_EERKSD_lbbbEUlllE1_EE10hipError_tPvRmT2_T3_mT4_P12ihipStream_tbEUlT_E_NS1_11comp_targetILNS1_3genE3ELNS1_11target_archE908ELNS1_3gpuE7ELNS1_3repE0EEENS1_30default_config_static_selectorELNS0_4arch9wavefront6targetE1EEEvT1_
    .private_segment_fixed_size: 0
    .sgpr_count:     4
    .sgpr_spill_count: 0
    .symbol:         _ZN7rocprim17ROCPRIM_400000_NS6detail17trampoline_kernelINS0_14default_configENS1_35adjacent_difference_config_selectorILb1ElEEZNS1_24adjacent_difference_implIS3_Lb1ELb0EPlS7_ZN2at6native12_GLOBAL__N_124unique_dim_cuda_templateIfEESt5tupleIJNS8_6TensorESD_SD_EERKSD_lbbbEUlllE1_EE10hipError_tPvRmT2_T3_mT4_P12ihipStream_tbEUlT_E_NS1_11comp_targetILNS1_3genE3ELNS1_11target_archE908ELNS1_3gpuE7ELNS1_3repE0EEENS1_30default_config_static_selectorELNS0_4arch9wavefront6targetE1EEEvT1_.kd
    .uniform_work_group_size: 1
    .uses_dynamic_stack: false
    .vgpr_count:     0
    .vgpr_spill_count: 0
    .wavefront_size: 64
  - .agpr_count:     0
    .args:
      - .offset:         0
        .size:           64
        .value_kind:     by_value
    .group_segment_fixed_size: 0
    .kernarg_segment_align: 8
    .kernarg_segment_size: 64
    .language:       OpenCL C
    .language_version:
      - 2
      - 0
    .max_flat_workgroup_size: 128
    .name:           _ZN7rocprim17ROCPRIM_400000_NS6detail17trampoline_kernelINS0_14default_configENS1_35adjacent_difference_config_selectorILb1ElEEZNS1_24adjacent_difference_implIS3_Lb1ELb0EPlS7_ZN2at6native12_GLOBAL__N_124unique_dim_cuda_templateIfEESt5tupleIJNS8_6TensorESD_SD_EERKSD_lbbbEUlllE1_EE10hipError_tPvRmT2_T3_mT4_P12ihipStream_tbEUlT_E_NS1_11comp_targetILNS1_3genE2ELNS1_11target_archE906ELNS1_3gpuE6ELNS1_3repE0EEENS1_30default_config_static_selectorELNS0_4arch9wavefront6targetE1EEEvT1_
    .private_segment_fixed_size: 0
    .sgpr_count:     4
    .sgpr_spill_count: 0
    .symbol:         _ZN7rocprim17ROCPRIM_400000_NS6detail17trampoline_kernelINS0_14default_configENS1_35adjacent_difference_config_selectorILb1ElEEZNS1_24adjacent_difference_implIS3_Lb1ELb0EPlS7_ZN2at6native12_GLOBAL__N_124unique_dim_cuda_templateIfEESt5tupleIJNS8_6TensorESD_SD_EERKSD_lbbbEUlllE1_EE10hipError_tPvRmT2_T3_mT4_P12ihipStream_tbEUlT_E_NS1_11comp_targetILNS1_3genE2ELNS1_11target_archE906ELNS1_3gpuE6ELNS1_3repE0EEENS1_30default_config_static_selectorELNS0_4arch9wavefront6targetE1EEEvT1_.kd
    .uniform_work_group_size: 1
    .uses_dynamic_stack: false
    .vgpr_count:     0
    .vgpr_spill_count: 0
    .wavefront_size: 64
  - .agpr_count:     0
    .args:
      - .offset:         0
        .size:           64
        .value_kind:     by_value
    .group_segment_fixed_size: 0
    .kernarg_segment_align: 8
    .kernarg_segment_size: 64
    .language:       OpenCL C
    .language_version:
      - 2
      - 0
    .max_flat_workgroup_size: 128
    .name:           _ZN7rocprim17ROCPRIM_400000_NS6detail17trampoline_kernelINS0_14default_configENS1_35adjacent_difference_config_selectorILb1ElEEZNS1_24adjacent_difference_implIS3_Lb1ELb0EPlS7_ZN2at6native12_GLOBAL__N_124unique_dim_cuda_templateIfEESt5tupleIJNS8_6TensorESD_SD_EERKSD_lbbbEUlllE1_EE10hipError_tPvRmT2_T3_mT4_P12ihipStream_tbEUlT_E_NS1_11comp_targetILNS1_3genE9ELNS1_11target_archE1100ELNS1_3gpuE3ELNS1_3repE0EEENS1_30default_config_static_selectorELNS0_4arch9wavefront6targetE1EEEvT1_
    .private_segment_fixed_size: 0
    .sgpr_count:     4
    .sgpr_spill_count: 0
    .symbol:         _ZN7rocprim17ROCPRIM_400000_NS6detail17trampoline_kernelINS0_14default_configENS1_35adjacent_difference_config_selectorILb1ElEEZNS1_24adjacent_difference_implIS3_Lb1ELb0EPlS7_ZN2at6native12_GLOBAL__N_124unique_dim_cuda_templateIfEESt5tupleIJNS8_6TensorESD_SD_EERKSD_lbbbEUlllE1_EE10hipError_tPvRmT2_T3_mT4_P12ihipStream_tbEUlT_E_NS1_11comp_targetILNS1_3genE9ELNS1_11target_archE1100ELNS1_3gpuE3ELNS1_3repE0EEENS1_30default_config_static_selectorELNS0_4arch9wavefront6targetE1EEEvT1_.kd
    .uniform_work_group_size: 1
    .uses_dynamic_stack: false
    .vgpr_count:     0
    .vgpr_spill_count: 0
    .wavefront_size: 64
  - .agpr_count:     0
    .args:
      - .offset:         0
        .size:           64
        .value_kind:     by_value
    .group_segment_fixed_size: 0
    .kernarg_segment_align: 8
    .kernarg_segment_size: 64
    .language:       OpenCL C
    .language_version:
      - 2
      - 0
    .max_flat_workgroup_size: 32
    .name:           _ZN7rocprim17ROCPRIM_400000_NS6detail17trampoline_kernelINS0_14default_configENS1_35adjacent_difference_config_selectorILb1ElEEZNS1_24adjacent_difference_implIS3_Lb1ELb0EPlS7_ZN2at6native12_GLOBAL__N_124unique_dim_cuda_templateIfEESt5tupleIJNS8_6TensorESD_SD_EERKSD_lbbbEUlllE1_EE10hipError_tPvRmT2_T3_mT4_P12ihipStream_tbEUlT_E_NS1_11comp_targetILNS1_3genE8ELNS1_11target_archE1030ELNS1_3gpuE2ELNS1_3repE0EEENS1_30default_config_static_selectorELNS0_4arch9wavefront6targetE1EEEvT1_
    .private_segment_fixed_size: 0
    .sgpr_count:     4
    .sgpr_spill_count: 0
    .symbol:         _ZN7rocprim17ROCPRIM_400000_NS6detail17trampoline_kernelINS0_14default_configENS1_35adjacent_difference_config_selectorILb1ElEEZNS1_24adjacent_difference_implIS3_Lb1ELb0EPlS7_ZN2at6native12_GLOBAL__N_124unique_dim_cuda_templateIfEESt5tupleIJNS8_6TensorESD_SD_EERKSD_lbbbEUlllE1_EE10hipError_tPvRmT2_T3_mT4_P12ihipStream_tbEUlT_E_NS1_11comp_targetILNS1_3genE8ELNS1_11target_archE1030ELNS1_3gpuE2ELNS1_3repE0EEENS1_30default_config_static_selectorELNS0_4arch9wavefront6targetE1EEEvT1_.kd
    .uniform_work_group_size: 1
    .uses_dynamic_stack: false
    .vgpr_count:     0
    .vgpr_spill_count: 0
    .wavefront_size: 64
  - .agpr_count:     0
    .args:
      - .offset:         0
        .size:           120
        .value_kind:     by_value
    .group_segment_fixed_size: 0
    .kernarg_segment_align: 8
    .kernarg_segment_size: 120
    .language:       OpenCL C
    .language_version:
      - 2
      - 0
    .max_flat_workgroup_size: 512
    .name:           _ZN7rocprim17ROCPRIM_400000_NS6detail17trampoline_kernelINS0_14default_configENS1_25partition_config_selectorILNS1_17partition_subalgoE8ElNS0_10empty_typeEbEEZZNS1_14partition_implILS5_8ELb0ES3_jPlPS6_PKS6_NS0_5tupleIJS9_S6_EEENSD_IJSA_SA_EEENS0_18inequality_wrapperIZN2at6native12_GLOBAL__N_124unique_dim_cuda_templateIfEESt5tupleIJNSH_6TensorESM_SM_EERKSM_lbbbEUlllE0_EEPmJS6_EEE10hipError_tPvRmT3_T4_T5_T6_T7_T9_mT8_P12ihipStream_tbDpT10_ENKUlT_T0_E_clISt17integral_constantIbLb0EES1C_EEDaS17_S18_EUlS17_E_NS1_11comp_targetILNS1_3genE0ELNS1_11target_archE4294967295ELNS1_3gpuE0ELNS1_3repE0EEENS1_30default_config_static_selectorELNS0_4arch9wavefront6targetE1EEEvT1_
    .private_segment_fixed_size: 0
    .sgpr_count:     4
    .sgpr_spill_count: 0
    .symbol:         _ZN7rocprim17ROCPRIM_400000_NS6detail17trampoline_kernelINS0_14default_configENS1_25partition_config_selectorILNS1_17partition_subalgoE8ElNS0_10empty_typeEbEEZZNS1_14partition_implILS5_8ELb0ES3_jPlPS6_PKS6_NS0_5tupleIJS9_S6_EEENSD_IJSA_SA_EEENS0_18inequality_wrapperIZN2at6native12_GLOBAL__N_124unique_dim_cuda_templateIfEESt5tupleIJNSH_6TensorESM_SM_EERKSM_lbbbEUlllE0_EEPmJS6_EEE10hipError_tPvRmT3_T4_T5_T6_T7_T9_mT8_P12ihipStream_tbDpT10_ENKUlT_T0_E_clISt17integral_constantIbLb0EES1C_EEDaS17_S18_EUlS17_E_NS1_11comp_targetILNS1_3genE0ELNS1_11target_archE4294967295ELNS1_3gpuE0ELNS1_3repE0EEENS1_30default_config_static_selectorELNS0_4arch9wavefront6targetE1EEEvT1_.kd
    .uniform_work_group_size: 1
    .uses_dynamic_stack: false
    .vgpr_count:     0
    .vgpr_spill_count: 0
    .wavefront_size: 64
  - .agpr_count:     0
    .args:
      - .offset:         0
        .size:           120
        .value_kind:     by_value
    .group_segment_fixed_size: 0
    .kernarg_segment_align: 8
    .kernarg_segment_size: 120
    .language:       OpenCL C
    .language_version:
      - 2
      - 0
    .max_flat_workgroup_size: 512
    .name:           _ZN7rocprim17ROCPRIM_400000_NS6detail17trampoline_kernelINS0_14default_configENS1_25partition_config_selectorILNS1_17partition_subalgoE8ElNS0_10empty_typeEbEEZZNS1_14partition_implILS5_8ELb0ES3_jPlPS6_PKS6_NS0_5tupleIJS9_S6_EEENSD_IJSA_SA_EEENS0_18inequality_wrapperIZN2at6native12_GLOBAL__N_124unique_dim_cuda_templateIfEESt5tupleIJNSH_6TensorESM_SM_EERKSM_lbbbEUlllE0_EEPmJS6_EEE10hipError_tPvRmT3_T4_T5_T6_T7_T9_mT8_P12ihipStream_tbDpT10_ENKUlT_T0_E_clISt17integral_constantIbLb0EES1C_EEDaS17_S18_EUlS17_E_NS1_11comp_targetILNS1_3genE5ELNS1_11target_archE942ELNS1_3gpuE9ELNS1_3repE0EEENS1_30default_config_static_selectorELNS0_4arch9wavefront6targetE1EEEvT1_
    .private_segment_fixed_size: 0
    .sgpr_count:     4
    .sgpr_spill_count: 0
    .symbol:         _ZN7rocprim17ROCPRIM_400000_NS6detail17trampoline_kernelINS0_14default_configENS1_25partition_config_selectorILNS1_17partition_subalgoE8ElNS0_10empty_typeEbEEZZNS1_14partition_implILS5_8ELb0ES3_jPlPS6_PKS6_NS0_5tupleIJS9_S6_EEENSD_IJSA_SA_EEENS0_18inequality_wrapperIZN2at6native12_GLOBAL__N_124unique_dim_cuda_templateIfEESt5tupleIJNSH_6TensorESM_SM_EERKSM_lbbbEUlllE0_EEPmJS6_EEE10hipError_tPvRmT3_T4_T5_T6_T7_T9_mT8_P12ihipStream_tbDpT10_ENKUlT_T0_E_clISt17integral_constantIbLb0EES1C_EEDaS17_S18_EUlS17_E_NS1_11comp_targetILNS1_3genE5ELNS1_11target_archE942ELNS1_3gpuE9ELNS1_3repE0EEENS1_30default_config_static_selectorELNS0_4arch9wavefront6targetE1EEEvT1_.kd
    .uniform_work_group_size: 1
    .uses_dynamic_stack: false
    .vgpr_count:     0
    .vgpr_spill_count: 0
    .wavefront_size: 64
  - .agpr_count:     0
    .args:
      - .offset:         0
        .size:           120
        .value_kind:     by_value
    .group_segment_fixed_size: 10252
    .kernarg_segment_align: 8
    .kernarg_segment_size: 120
    .language:       OpenCL C
    .language_version:
      - 2
      - 0
    .max_flat_workgroup_size: 256
    .name:           _ZN7rocprim17ROCPRIM_400000_NS6detail17trampoline_kernelINS0_14default_configENS1_25partition_config_selectorILNS1_17partition_subalgoE8ElNS0_10empty_typeEbEEZZNS1_14partition_implILS5_8ELb0ES3_jPlPS6_PKS6_NS0_5tupleIJS9_S6_EEENSD_IJSA_SA_EEENS0_18inequality_wrapperIZN2at6native12_GLOBAL__N_124unique_dim_cuda_templateIfEESt5tupleIJNSH_6TensorESM_SM_EERKSM_lbbbEUlllE0_EEPmJS6_EEE10hipError_tPvRmT3_T4_T5_T6_T7_T9_mT8_P12ihipStream_tbDpT10_ENKUlT_T0_E_clISt17integral_constantIbLb0EES1C_EEDaS17_S18_EUlS17_E_NS1_11comp_targetILNS1_3genE4ELNS1_11target_archE910ELNS1_3gpuE8ELNS1_3repE0EEENS1_30default_config_static_selectorELNS0_4arch9wavefront6targetE1EEEvT1_
    .private_segment_fixed_size: 0
    .sgpr_count:     52
    .sgpr_spill_count: 0
    .symbol:         _ZN7rocprim17ROCPRIM_400000_NS6detail17trampoline_kernelINS0_14default_configENS1_25partition_config_selectorILNS1_17partition_subalgoE8ElNS0_10empty_typeEbEEZZNS1_14partition_implILS5_8ELb0ES3_jPlPS6_PKS6_NS0_5tupleIJS9_S6_EEENSD_IJSA_SA_EEENS0_18inequality_wrapperIZN2at6native12_GLOBAL__N_124unique_dim_cuda_templateIfEESt5tupleIJNSH_6TensorESM_SM_EERKSM_lbbbEUlllE0_EEPmJS6_EEE10hipError_tPvRmT3_T4_T5_T6_T7_T9_mT8_P12ihipStream_tbDpT10_ENKUlT_T0_E_clISt17integral_constantIbLb0EES1C_EEDaS17_S18_EUlS17_E_NS1_11comp_targetILNS1_3genE4ELNS1_11target_archE910ELNS1_3gpuE8ELNS1_3repE0EEENS1_30default_config_static_selectorELNS0_4arch9wavefront6targetE1EEEvT1_.kd
    .uniform_work_group_size: 1
    .uses_dynamic_stack: false
    .vgpr_count:     46
    .vgpr_spill_count: 0
    .wavefront_size: 64
  - .agpr_count:     0
    .args:
      - .offset:         0
        .size:           120
        .value_kind:     by_value
    .group_segment_fixed_size: 0
    .kernarg_segment_align: 8
    .kernarg_segment_size: 120
    .language:       OpenCL C
    .language_version:
      - 2
      - 0
    .max_flat_workgroup_size: 512
    .name:           _ZN7rocprim17ROCPRIM_400000_NS6detail17trampoline_kernelINS0_14default_configENS1_25partition_config_selectorILNS1_17partition_subalgoE8ElNS0_10empty_typeEbEEZZNS1_14partition_implILS5_8ELb0ES3_jPlPS6_PKS6_NS0_5tupleIJS9_S6_EEENSD_IJSA_SA_EEENS0_18inequality_wrapperIZN2at6native12_GLOBAL__N_124unique_dim_cuda_templateIfEESt5tupleIJNSH_6TensorESM_SM_EERKSM_lbbbEUlllE0_EEPmJS6_EEE10hipError_tPvRmT3_T4_T5_T6_T7_T9_mT8_P12ihipStream_tbDpT10_ENKUlT_T0_E_clISt17integral_constantIbLb0EES1C_EEDaS17_S18_EUlS17_E_NS1_11comp_targetILNS1_3genE3ELNS1_11target_archE908ELNS1_3gpuE7ELNS1_3repE0EEENS1_30default_config_static_selectorELNS0_4arch9wavefront6targetE1EEEvT1_
    .private_segment_fixed_size: 0
    .sgpr_count:     4
    .sgpr_spill_count: 0
    .symbol:         _ZN7rocprim17ROCPRIM_400000_NS6detail17trampoline_kernelINS0_14default_configENS1_25partition_config_selectorILNS1_17partition_subalgoE8ElNS0_10empty_typeEbEEZZNS1_14partition_implILS5_8ELb0ES3_jPlPS6_PKS6_NS0_5tupleIJS9_S6_EEENSD_IJSA_SA_EEENS0_18inequality_wrapperIZN2at6native12_GLOBAL__N_124unique_dim_cuda_templateIfEESt5tupleIJNSH_6TensorESM_SM_EERKSM_lbbbEUlllE0_EEPmJS6_EEE10hipError_tPvRmT3_T4_T5_T6_T7_T9_mT8_P12ihipStream_tbDpT10_ENKUlT_T0_E_clISt17integral_constantIbLb0EES1C_EEDaS17_S18_EUlS17_E_NS1_11comp_targetILNS1_3genE3ELNS1_11target_archE908ELNS1_3gpuE7ELNS1_3repE0EEENS1_30default_config_static_selectorELNS0_4arch9wavefront6targetE1EEEvT1_.kd
    .uniform_work_group_size: 1
    .uses_dynamic_stack: false
    .vgpr_count:     0
    .vgpr_spill_count: 0
    .wavefront_size: 64
  - .agpr_count:     0
    .args:
      - .offset:         0
        .size:           120
        .value_kind:     by_value
    .group_segment_fixed_size: 0
    .kernarg_segment_align: 8
    .kernarg_segment_size: 120
    .language:       OpenCL C
    .language_version:
      - 2
      - 0
    .max_flat_workgroup_size: 256
    .name:           _ZN7rocprim17ROCPRIM_400000_NS6detail17trampoline_kernelINS0_14default_configENS1_25partition_config_selectorILNS1_17partition_subalgoE8ElNS0_10empty_typeEbEEZZNS1_14partition_implILS5_8ELb0ES3_jPlPS6_PKS6_NS0_5tupleIJS9_S6_EEENSD_IJSA_SA_EEENS0_18inequality_wrapperIZN2at6native12_GLOBAL__N_124unique_dim_cuda_templateIfEESt5tupleIJNSH_6TensorESM_SM_EERKSM_lbbbEUlllE0_EEPmJS6_EEE10hipError_tPvRmT3_T4_T5_T6_T7_T9_mT8_P12ihipStream_tbDpT10_ENKUlT_T0_E_clISt17integral_constantIbLb0EES1C_EEDaS17_S18_EUlS17_E_NS1_11comp_targetILNS1_3genE2ELNS1_11target_archE906ELNS1_3gpuE6ELNS1_3repE0EEENS1_30default_config_static_selectorELNS0_4arch9wavefront6targetE1EEEvT1_
    .private_segment_fixed_size: 0
    .sgpr_count:     4
    .sgpr_spill_count: 0
    .symbol:         _ZN7rocprim17ROCPRIM_400000_NS6detail17trampoline_kernelINS0_14default_configENS1_25partition_config_selectorILNS1_17partition_subalgoE8ElNS0_10empty_typeEbEEZZNS1_14partition_implILS5_8ELb0ES3_jPlPS6_PKS6_NS0_5tupleIJS9_S6_EEENSD_IJSA_SA_EEENS0_18inequality_wrapperIZN2at6native12_GLOBAL__N_124unique_dim_cuda_templateIfEESt5tupleIJNSH_6TensorESM_SM_EERKSM_lbbbEUlllE0_EEPmJS6_EEE10hipError_tPvRmT3_T4_T5_T6_T7_T9_mT8_P12ihipStream_tbDpT10_ENKUlT_T0_E_clISt17integral_constantIbLb0EES1C_EEDaS17_S18_EUlS17_E_NS1_11comp_targetILNS1_3genE2ELNS1_11target_archE906ELNS1_3gpuE6ELNS1_3repE0EEENS1_30default_config_static_selectorELNS0_4arch9wavefront6targetE1EEEvT1_.kd
    .uniform_work_group_size: 1
    .uses_dynamic_stack: false
    .vgpr_count:     0
    .vgpr_spill_count: 0
    .wavefront_size: 64
  - .agpr_count:     0
    .args:
      - .offset:         0
        .size:           120
        .value_kind:     by_value
    .group_segment_fixed_size: 0
    .kernarg_segment_align: 8
    .kernarg_segment_size: 120
    .language:       OpenCL C
    .language_version:
      - 2
      - 0
    .max_flat_workgroup_size: 384
    .name:           _ZN7rocprim17ROCPRIM_400000_NS6detail17trampoline_kernelINS0_14default_configENS1_25partition_config_selectorILNS1_17partition_subalgoE8ElNS0_10empty_typeEbEEZZNS1_14partition_implILS5_8ELb0ES3_jPlPS6_PKS6_NS0_5tupleIJS9_S6_EEENSD_IJSA_SA_EEENS0_18inequality_wrapperIZN2at6native12_GLOBAL__N_124unique_dim_cuda_templateIfEESt5tupleIJNSH_6TensorESM_SM_EERKSM_lbbbEUlllE0_EEPmJS6_EEE10hipError_tPvRmT3_T4_T5_T6_T7_T9_mT8_P12ihipStream_tbDpT10_ENKUlT_T0_E_clISt17integral_constantIbLb0EES1C_EEDaS17_S18_EUlS17_E_NS1_11comp_targetILNS1_3genE10ELNS1_11target_archE1200ELNS1_3gpuE4ELNS1_3repE0EEENS1_30default_config_static_selectorELNS0_4arch9wavefront6targetE1EEEvT1_
    .private_segment_fixed_size: 0
    .sgpr_count:     4
    .sgpr_spill_count: 0
    .symbol:         _ZN7rocprim17ROCPRIM_400000_NS6detail17trampoline_kernelINS0_14default_configENS1_25partition_config_selectorILNS1_17partition_subalgoE8ElNS0_10empty_typeEbEEZZNS1_14partition_implILS5_8ELb0ES3_jPlPS6_PKS6_NS0_5tupleIJS9_S6_EEENSD_IJSA_SA_EEENS0_18inequality_wrapperIZN2at6native12_GLOBAL__N_124unique_dim_cuda_templateIfEESt5tupleIJNSH_6TensorESM_SM_EERKSM_lbbbEUlllE0_EEPmJS6_EEE10hipError_tPvRmT3_T4_T5_T6_T7_T9_mT8_P12ihipStream_tbDpT10_ENKUlT_T0_E_clISt17integral_constantIbLb0EES1C_EEDaS17_S18_EUlS17_E_NS1_11comp_targetILNS1_3genE10ELNS1_11target_archE1200ELNS1_3gpuE4ELNS1_3repE0EEENS1_30default_config_static_selectorELNS0_4arch9wavefront6targetE1EEEvT1_.kd
    .uniform_work_group_size: 1
    .uses_dynamic_stack: false
    .vgpr_count:     0
    .vgpr_spill_count: 0
    .wavefront_size: 64
  - .agpr_count:     0
    .args:
      - .offset:         0
        .size:           120
        .value_kind:     by_value
    .group_segment_fixed_size: 0
    .kernarg_segment_align: 8
    .kernarg_segment_size: 120
    .language:       OpenCL C
    .language_version:
      - 2
      - 0
    .max_flat_workgroup_size: 512
    .name:           _ZN7rocprim17ROCPRIM_400000_NS6detail17trampoline_kernelINS0_14default_configENS1_25partition_config_selectorILNS1_17partition_subalgoE8ElNS0_10empty_typeEbEEZZNS1_14partition_implILS5_8ELb0ES3_jPlPS6_PKS6_NS0_5tupleIJS9_S6_EEENSD_IJSA_SA_EEENS0_18inequality_wrapperIZN2at6native12_GLOBAL__N_124unique_dim_cuda_templateIfEESt5tupleIJNSH_6TensorESM_SM_EERKSM_lbbbEUlllE0_EEPmJS6_EEE10hipError_tPvRmT3_T4_T5_T6_T7_T9_mT8_P12ihipStream_tbDpT10_ENKUlT_T0_E_clISt17integral_constantIbLb0EES1C_EEDaS17_S18_EUlS17_E_NS1_11comp_targetILNS1_3genE9ELNS1_11target_archE1100ELNS1_3gpuE3ELNS1_3repE0EEENS1_30default_config_static_selectorELNS0_4arch9wavefront6targetE1EEEvT1_
    .private_segment_fixed_size: 0
    .sgpr_count:     4
    .sgpr_spill_count: 0
    .symbol:         _ZN7rocprim17ROCPRIM_400000_NS6detail17trampoline_kernelINS0_14default_configENS1_25partition_config_selectorILNS1_17partition_subalgoE8ElNS0_10empty_typeEbEEZZNS1_14partition_implILS5_8ELb0ES3_jPlPS6_PKS6_NS0_5tupleIJS9_S6_EEENSD_IJSA_SA_EEENS0_18inequality_wrapperIZN2at6native12_GLOBAL__N_124unique_dim_cuda_templateIfEESt5tupleIJNSH_6TensorESM_SM_EERKSM_lbbbEUlllE0_EEPmJS6_EEE10hipError_tPvRmT3_T4_T5_T6_T7_T9_mT8_P12ihipStream_tbDpT10_ENKUlT_T0_E_clISt17integral_constantIbLb0EES1C_EEDaS17_S18_EUlS17_E_NS1_11comp_targetILNS1_3genE9ELNS1_11target_archE1100ELNS1_3gpuE3ELNS1_3repE0EEENS1_30default_config_static_selectorELNS0_4arch9wavefront6targetE1EEEvT1_.kd
    .uniform_work_group_size: 1
    .uses_dynamic_stack: false
    .vgpr_count:     0
    .vgpr_spill_count: 0
    .wavefront_size: 64
  - .agpr_count:     0
    .args:
      - .offset:         0
        .size:           120
        .value_kind:     by_value
    .group_segment_fixed_size: 0
    .kernarg_segment_align: 8
    .kernarg_segment_size: 120
    .language:       OpenCL C
    .language_version:
      - 2
      - 0
    .max_flat_workgroup_size: 512
    .name:           _ZN7rocprim17ROCPRIM_400000_NS6detail17trampoline_kernelINS0_14default_configENS1_25partition_config_selectorILNS1_17partition_subalgoE8ElNS0_10empty_typeEbEEZZNS1_14partition_implILS5_8ELb0ES3_jPlPS6_PKS6_NS0_5tupleIJS9_S6_EEENSD_IJSA_SA_EEENS0_18inequality_wrapperIZN2at6native12_GLOBAL__N_124unique_dim_cuda_templateIfEESt5tupleIJNSH_6TensorESM_SM_EERKSM_lbbbEUlllE0_EEPmJS6_EEE10hipError_tPvRmT3_T4_T5_T6_T7_T9_mT8_P12ihipStream_tbDpT10_ENKUlT_T0_E_clISt17integral_constantIbLb0EES1C_EEDaS17_S18_EUlS17_E_NS1_11comp_targetILNS1_3genE8ELNS1_11target_archE1030ELNS1_3gpuE2ELNS1_3repE0EEENS1_30default_config_static_selectorELNS0_4arch9wavefront6targetE1EEEvT1_
    .private_segment_fixed_size: 0
    .sgpr_count:     4
    .sgpr_spill_count: 0
    .symbol:         _ZN7rocprim17ROCPRIM_400000_NS6detail17trampoline_kernelINS0_14default_configENS1_25partition_config_selectorILNS1_17partition_subalgoE8ElNS0_10empty_typeEbEEZZNS1_14partition_implILS5_8ELb0ES3_jPlPS6_PKS6_NS0_5tupleIJS9_S6_EEENSD_IJSA_SA_EEENS0_18inequality_wrapperIZN2at6native12_GLOBAL__N_124unique_dim_cuda_templateIfEESt5tupleIJNSH_6TensorESM_SM_EERKSM_lbbbEUlllE0_EEPmJS6_EEE10hipError_tPvRmT3_T4_T5_T6_T7_T9_mT8_P12ihipStream_tbDpT10_ENKUlT_T0_E_clISt17integral_constantIbLb0EES1C_EEDaS17_S18_EUlS17_E_NS1_11comp_targetILNS1_3genE8ELNS1_11target_archE1030ELNS1_3gpuE2ELNS1_3repE0EEENS1_30default_config_static_selectorELNS0_4arch9wavefront6targetE1EEEvT1_.kd
    .uniform_work_group_size: 1
    .uses_dynamic_stack: false
    .vgpr_count:     0
    .vgpr_spill_count: 0
    .wavefront_size: 64
  - .agpr_count:     0
    .args:
      - .offset:         0
        .size:           136
        .value_kind:     by_value
    .group_segment_fixed_size: 0
    .kernarg_segment_align: 8
    .kernarg_segment_size: 136
    .language:       OpenCL C
    .language_version:
      - 2
      - 0
    .max_flat_workgroup_size: 512
    .name:           _ZN7rocprim17ROCPRIM_400000_NS6detail17trampoline_kernelINS0_14default_configENS1_25partition_config_selectorILNS1_17partition_subalgoE8ElNS0_10empty_typeEbEEZZNS1_14partition_implILS5_8ELb0ES3_jPlPS6_PKS6_NS0_5tupleIJS9_S6_EEENSD_IJSA_SA_EEENS0_18inequality_wrapperIZN2at6native12_GLOBAL__N_124unique_dim_cuda_templateIfEESt5tupleIJNSH_6TensorESM_SM_EERKSM_lbbbEUlllE0_EEPmJS6_EEE10hipError_tPvRmT3_T4_T5_T6_T7_T9_mT8_P12ihipStream_tbDpT10_ENKUlT_T0_E_clISt17integral_constantIbLb1EES1C_EEDaS17_S18_EUlS17_E_NS1_11comp_targetILNS1_3genE0ELNS1_11target_archE4294967295ELNS1_3gpuE0ELNS1_3repE0EEENS1_30default_config_static_selectorELNS0_4arch9wavefront6targetE1EEEvT1_
    .private_segment_fixed_size: 0
    .sgpr_count:     4
    .sgpr_spill_count: 0
    .symbol:         _ZN7rocprim17ROCPRIM_400000_NS6detail17trampoline_kernelINS0_14default_configENS1_25partition_config_selectorILNS1_17partition_subalgoE8ElNS0_10empty_typeEbEEZZNS1_14partition_implILS5_8ELb0ES3_jPlPS6_PKS6_NS0_5tupleIJS9_S6_EEENSD_IJSA_SA_EEENS0_18inequality_wrapperIZN2at6native12_GLOBAL__N_124unique_dim_cuda_templateIfEESt5tupleIJNSH_6TensorESM_SM_EERKSM_lbbbEUlllE0_EEPmJS6_EEE10hipError_tPvRmT3_T4_T5_T6_T7_T9_mT8_P12ihipStream_tbDpT10_ENKUlT_T0_E_clISt17integral_constantIbLb1EES1C_EEDaS17_S18_EUlS17_E_NS1_11comp_targetILNS1_3genE0ELNS1_11target_archE4294967295ELNS1_3gpuE0ELNS1_3repE0EEENS1_30default_config_static_selectorELNS0_4arch9wavefront6targetE1EEEvT1_.kd
    .uniform_work_group_size: 1
    .uses_dynamic_stack: false
    .vgpr_count:     0
    .vgpr_spill_count: 0
    .wavefront_size: 64
  - .agpr_count:     0
    .args:
      - .offset:         0
        .size:           136
        .value_kind:     by_value
    .group_segment_fixed_size: 0
    .kernarg_segment_align: 8
    .kernarg_segment_size: 136
    .language:       OpenCL C
    .language_version:
      - 2
      - 0
    .max_flat_workgroup_size: 512
    .name:           _ZN7rocprim17ROCPRIM_400000_NS6detail17trampoline_kernelINS0_14default_configENS1_25partition_config_selectorILNS1_17partition_subalgoE8ElNS0_10empty_typeEbEEZZNS1_14partition_implILS5_8ELb0ES3_jPlPS6_PKS6_NS0_5tupleIJS9_S6_EEENSD_IJSA_SA_EEENS0_18inequality_wrapperIZN2at6native12_GLOBAL__N_124unique_dim_cuda_templateIfEESt5tupleIJNSH_6TensorESM_SM_EERKSM_lbbbEUlllE0_EEPmJS6_EEE10hipError_tPvRmT3_T4_T5_T6_T7_T9_mT8_P12ihipStream_tbDpT10_ENKUlT_T0_E_clISt17integral_constantIbLb1EES1C_EEDaS17_S18_EUlS17_E_NS1_11comp_targetILNS1_3genE5ELNS1_11target_archE942ELNS1_3gpuE9ELNS1_3repE0EEENS1_30default_config_static_selectorELNS0_4arch9wavefront6targetE1EEEvT1_
    .private_segment_fixed_size: 0
    .sgpr_count:     4
    .sgpr_spill_count: 0
    .symbol:         _ZN7rocprim17ROCPRIM_400000_NS6detail17trampoline_kernelINS0_14default_configENS1_25partition_config_selectorILNS1_17partition_subalgoE8ElNS0_10empty_typeEbEEZZNS1_14partition_implILS5_8ELb0ES3_jPlPS6_PKS6_NS0_5tupleIJS9_S6_EEENSD_IJSA_SA_EEENS0_18inequality_wrapperIZN2at6native12_GLOBAL__N_124unique_dim_cuda_templateIfEESt5tupleIJNSH_6TensorESM_SM_EERKSM_lbbbEUlllE0_EEPmJS6_EEE10hipError_tPvRmT3_T4_T5_T6_T7_T9_mT8_P12ihipStream_tbDpT10_ENKUlT_T0_E_clISt17integral_constantIbLb1EES1C_EEDaS17_S18_EUlS17_E_NS1_11comp_targetILNS1_3genE5ELNS1_11target_archE942ELNS1_3gpuE9ELNS1_3repE0EEENS1_30default_config_static_selectorELNS0_4arch9wavefront6targetE1EEEvT1_.kd
    .uniform_work_group_size: 1
    .uses_dynamic_stack: false
    .vgpr_count:     0
    .vgpr_spill_count: 0
    .wavefront_size: 64
  - .agpr_count:     0
    .args:
      - .offset:         0
        .size:           136
        .value_kind:     by_value
    .group_segment_fixed_size: 10252
    .kernarg_segment_align: 8
    .kernarg_segment_size: 136
    .language:       OpenCL C
    .language_version:
      - 2
      - 0
    .max_flat_workgroup_size: 256
    .name:           _ZN7rocprim17ROCPRIM_400000_NS6detail17trampoline_kernelINS0_14default_configENS1_25partition_config_selectorILNS1_17partition_subalgoE8ElNS0_10empty_typeEbEEZZNS1_14partition_implILS5_8ELb0ES3_jPlPS6_PKS6_NS0_5tupleIJS9_S6_EEENSD_IJSA_SA_EEENS0_18inequality_wrapperIZN2at6native12_GLOBAL__N_124unique_dim_cuda_templateIfEESt5tupleIJNSH_6TensorESM_SM_EERKSM_lbbbEUlllE0_EEPmJS6_EEE10hipError_tPvRmT3_T4_T5_T6_T7_T9_mT8_P12ihipStream_tbDpT10_ENKUlT_T0_E_clISt17integral_constantIbLb1EES1C_EEDaS17_S18_EUlS17_E_NS1_11comp_targetILNS1_3genE4ELNS1_11target_archE910ELNS1_3gpuE8ELNS1_3repE0EEENS1_30default_config_static_selectorELNS0_4arch9wavefront6targetE1EEEvT1_
    .private_segment_fixed_size: 0
    .sgpr_count:     56
    .sgpr_spill_count: 0
    .symbol:         _ZN7rocprim17ROCPRIM_400000_NS6detail17trampoline_kernelINS0_14default_configENS1_25partition_config_selectorILNS1_17partition_subalgoE8ElNS0_10empty_typeEbEEZZNS1_14partition_implILS5_8ELb0ES3_jPlPS6_PKS6_NS0_5tupleIJS9_S6_EEENSD_IJSA_SA_EEENS0_18inequality_wrapperIZN2at6native12_GLOBAL__N_124unique_dim_cuda_templateIfEESt5tupleIJNSH_6TensorESM_SM_EERKSM_lbbbEUlllE0_EEPmJS6_EEE10hipError_tPvRmT3_T4_T5_T6_T7_T9_mT8_P12ihipStream_tbDpT10_ENKUlT_T0_E_clISt17integral_constantIbLb1EES1C_EEDaS17_S18_EUlS17_E_NS1_11comp_targetILNS1_3genE4ELNS1_11target_archE910ELNS1_3gpuE8ELNS1_3repE0EEENS1_30default_config_static_selectorELNS0_4arch9wavefront6targetE1EEEvT1_.kd
    .uniform_work_group_size: 1
    .uses_dynamic_stack: false
    .vgpr_count:     46
    .vgpr_spill_count: 0
    .wavefront_size: 64
  - .agpr_count:     0
    .args:
      - .offset:         0
        .size:           136
        .value_kind:     by_value
    .group_segment_fixed_size: 0
    .kernarg_segment_align: 8
    .kernarg_segment_size: 136
    .language:       OpenCL C
    .language_version:
      - 2
      - 0
    .max_flat_workgroup_size: 512
    .name:           _ZN7rocprim17ROCPRIM_400000_NS6detail17trampoline_kernelINS0_14default_configENS1_25partition_config_selectorILNS1_17partition_subalgoE8ElNS0_10empty_typeEbEEZZNS1_14partition_implILS5_8ELb0ES3_jPlPS6_PKS6_NS0_5tupleIJS9_S6_EEENSD_IJSA_SA_EEENS0_18inequality_wrapperIZN2at6native12_GLOBAL__N_124unique_dim_cuda_templateIfEESt5tupleIJNSH_6TensorESM_SM_EERKSM_lbbbEUlllE0_EEPmJS6_EEE10hipError_tPvRmT3_T4_T5_T6_T7_T9_mT8_P12ihipStream_tbDpT10_ENKUlT_T0_E_clISt17integral_constantIbLb1EES1C_EEDaS17_S18_EUlS17_E_NS1_11comp_targetILNS1_3genE3ELNS1_11target_archE908ELNS1_3gpuE7ELNS1_3repE0EEENS1_30default_config_static_selectorELNS0_4arch9wavefront6targetE1EEEvT1_
    .private_segment_fixed_size: 0
    .sgpr_count:     4
    .sgpr_spill_count: 0
    .symbol:         _ZN7rocprim17ROCPRIM_400000_NS6detail17trampoline_kernelINS0_14default_configENS1_25partition_config_selectorILNS1_17partition_subalgoE8ElNS0_10empty_typeEbEEZZNS1_14partition_implILS5_8ELb0ES3_jPlPS6_PKS6_NS0_5tupleIJS9_S6_EEENSD_IJSA_SA_EEENS0_18inequality_wrapperIZN2at6native12_GLOBAL__N_124unique_dim_cuda_templateIfEESt5tupleIJNSH_6TensorESM_SM_EERKSM_lbbbEUlllE0_EEPmJS6_EEE10hipError_tPvRmT3_T4_T5_T6_T7_T9_mT8_P12ihipStream_tbDpT10_ENKUlT_T0_E_clISt17integral_constantIbLb1EES1C_EEDaS17_S18_EUlS17_E_NS1_11comp_targetILNS1_3genE3ELNS1_11target_archE908ELNS1_3gpuE7ELNS1_3repE0EEENS1_30default_config_static_selectorELNS0_4arch9wavefront6targetE1EEEvT1_.kd
    .uniform_work_group_size: 1
    .uses_dynamic_stack: false
    .vgpr_count:     0
    .vgpr_spill_count: 0
    .wavefront_size: 64
  - .agpr_count:     0
    .args:
      - .offset:         0
        .size:           136
        .value_kind:     by_value
    .group_segment_fixed_size: 0
    .kernarg_segment_align: 8
    .kernarg_segment_size: 136
    .language:       OpenCL C
    .language_version:
      - 2
      - 0
    .max_flat_workgroup_size: 256
    .name:           _ZN7rocprim17ROCPRIM_400000_NS6detail17trampoline_kernelINS0_14default_configENS1_25partition_config_selectorILNS1_17partition_subalgoE8ElNS0_10empty_typeEbEEZZNS1_14partition_implILS5_8ELb0ES3_jPlPS6_PKS6_NS0_5tupleIJS9_S6_EEENSD_IJSA_SA_EEENS0_18inequality_wrapperIZN2at6native12_GLOBAL__N_124unique_dim_cuda_templateIfEESt5tupleIJNSH_6TensorESM_SM_EERKSM_lbbbEUlllE0_EEPmJS6_EEE10hipError_tPvRmT3_T4_T5_T6_T7_T9_mT8_P12ihipStream_tbDpT10_ENKUlT_T0_E_clISt17integral_constantIbLb1EES1C_EEDaS17_S18_EUlS17_E_NS1_11comp_targetILNS1_3genE2ELNS1_11target_archE906ELNS1_3gpuE6ELNS1_3repE0EEENS1_30default_config_static_selectorELNS0_4arch9wavefront6targetE1EEEvT1_
    .private_segment_fixed_size: 0
    .sgpr_count:     4
    .sgpr_spill_count: 0
    .symbol:         _ZN7rocprim17ROCPRIM_400000_NS6detail17trampoline_kernelINS0_14default_configENS1_25partition_config_selectorILNS1_17partition_subalgoE8ElNS0_10empty_typeEbEEZZNS1_14partition_implILS5_8ELb0ES3_jPlPS6_PKS6_NS0_5tupleIJS9_S6_EEENSD_IJSA_SA_EEENS0_18inequality_wrapperIZN2at6native12_GLOBAL__N_124unique_dim_cuda_templateIfEESt5tupleIJNSH_6TensorESM_SM_EERKSM_lbbbEUlllE0_EEPmJS6_EEE10hipError_tPvRmT3_T4_T5_T6_T7_T9_mT8_P12ihipStream_tbDpT10_ENKUlT_T0_E_clISt17integral_constantIbLb1EES1C_EEDaS17_S18_EUlS17_E_NS1_11comp_targetILNS1_3genE2ELNS1_11target_archE906ELNS1_3gpuE6ELNS1_3repE0EEENS1_30default_config_static_selectorELNS0_4arch9wavefront6targetE1EEEvT1_.kd
    .uniform_work_group_size: 1
    .uses_dynamic_stack: false
    .vgpr_count:     0
    .vgpr_spill_count: 0
    .wavefront_size: 64
  - .agpr_count:     0
    .args:
      - .offset:         0
        .size:           136
        .value_kind:     by_value
    .group_segment_fixed_size: 0
    .kernarg_segment_align: 8
    .kernarg_segment_size: 136
    .language:       OpenCL C
    .language_version:
      - 2
      - 0
    .max_flat_workgroup_size: 384
    .name:           _ZN7rocprim17ROCPRIM_400000_NS6detail17trampoline_kernelINS0_14default_configENS1_25partition_config_selectorILNS1_17partition_subalgoE8ElNS0_10empty_typeEbEEZZNS1_14partition_implILS5_8ELb0ES3_jPlPS6_PKS6_NS0_5tupleIJS9_S6_EEENSD_IJSA_SA_EEENS0_18inequality_wrapperIZN2at6native12_GLOBAL__N_124unique_dim_cuda_templateIfEESt5tupleIJNSH_6TensorESM_SM_EERKSM_lbbbEUlllE0_EEPmJS6_EEE10hipError_tPvRmT3_T4_T5_T6_T7_T9_mT8_P12ihipStream_tbDpT10_ENKUlT_T0_E_clISt17integral_constantIbLb1EES1C_EEDaS17_S18_EUlS17_E_NS1_11comp_targetILNS1_3genE10ELNS1_11target_archE1200ELNS1_3gpuE4ELNS1_3repE0EEENS1_30default_config_static_selectorELNS0_4arch9wavefront6targetE1EEEvT1_
    .private_segment_fixed_size: 0
    .sgpr_count:     4
    .sgpr_spill_count: 0
    .symbol:         _ZN7rocprim17ROCPRIM_400000_NS6detail17trampoline_kernelINS0_14default_configENS1_25partition_config_selectorILNS1_17partition_subalgoE8ElNS0_10empty_typeEbEEZZNS1_14partition_implILS5_8ELb0ES3_jPlPS6_PKS6_NS0_5tupleIJS9_S6_EEENSD_IJSA_SA_EEENS0_18inequality_wrapperIZN2at6native12_GLOBAL__N_124unique_dim_cuda_templateIfEESt5tupleIJNSH_6TensorESM_SM_EERKSM_lbbbEUlllE0_EEPmJS6_EEE10hipError_tPvRmT3_T4_T5_T6_T7_T9_mT8_P12ihipStream_tbDpT10_ENKUlT_T0_E_clISt17integral_constantIbLb1EES1C_EEDaS17_S18_EUlS17_E_NS1_11comp_targetILNS1_3genE10ELNS1_11target_archE1200ELNS1_3gpuE4ELNS1_3repE0EEENS1_30default_config_static_selectorELNS0_4arch9wavefront6targetE1EEEvT1_.kd
    .uniform_work_group_size: 1
    .uses_dynamic_stack: false
    .vgpr_count:     0
    .vgpr_spill_count: 0
    .wavefront_size: 64
  - .agpr_count:     0
    .args:
      - .offset:         0
        .size:           136
        .value_kind:     by_value
    .group_segment_fixed_size: 0
    .kernarg_segment_align: 8
    .kernarg_segment_size: 136
    .language:       OpenCL C
    .language_version:
      - 2
      - 0
    .max_flat_workgroup_size: 512
    .name:           _ZN7rocprim17ROCPRIM_400000_NS6detail17trampoline_kernelINS0_14default_configENS1_25partition_config_selectorILNS1_17partition_subalgoE8ElNS0_10empty_typeEbEEZZNS1_14partition_implILS5_8ELb0ES3_jPlPS6_PKS6_NS0_5tupleIJS9_S6_EEENSD_IJSA_SA_EEENS0_18inequality_wrapperIZN2at6native12_GLOBAL__N_124unique_dim_cuda_templateIfEESt5tupleIJNSH_6TensorESM_SM_EERKSM_lbbbEUlllE0_EEPmJS6_EEE10hipError_tPvRmT3_T4_T5_T6_T7_T9_mT8_P12ihipStream_tbDpT10_ENKUlT_T0_E_clISt17integral_constantIbLb1EES1C_EEDaS17_S18_EUlS17_E_NS1_11comp_targetILNS1_3genE9ELNS1_11target_archE1100ELNS1_3gpuE3ELNS1_3repE0EEENS1_30default_config_static_selectorELNS0_4arch9wavefront6targetE1EEEvT1_
    .private_segment_fixed_size: 0
    .sgpr_count:     4
    .sgpr_spill_count: 0
    .symbol:         _ZN7rocprim17ROCPRIM_400000_NS6detail17trampoline_kernelINS0_14default_configENS1_25partition_config_selectorILNS1_17partition_subalgoE8ElNS0_10empty_typeEbEEZZNS1_14partition_implILS5_8ELb0ES3_jPlPS6_PKS6_NS0_5tupleIJS9_S6_EEENSD_IJSA_SA_EEENS0_18inequality_wrapperIZN2at6native12_GLOBAL__N_124unique_dim_cuda_templateIfEESt5tupleIJNSH_6TensorESM_SM_EERKSM_lbbbEUlllE0_EEPmJS6_EEE10hipError_tPvRmT3_T4_T5_T6_T7_T9_mT8_P12ihipStream_tbDpT10_ENKUlT_T0_E_clISt17integral_constantIbLb1EES1C_EEDaS17_S18_EUlS17_E_NS1_11comp_targetILNS1_3genE9ELNS1_11target_archE1100ELNS1_3gpuE3ELNS1_3repE0EEENS1_30default_config_static_selectorELNS0_4arch9wavefront6targetE1EEEvT1_.kd
    .uniform_work_group_size: 1
    .uses_dynamic_stack: false
    .vgpr_count:     0
    .vgpr_spill_count: 0
    .wavefront_size: 64
  - .agpr_count:     0
    .args:
      - .offset:         0
        .size:           136
        .value_kind:     by_value
    .group_segment_fixed_size: 0
    .kernarg_segment_align: 8
    .kernarg_segment_size: 136
    .language:       OpenCL C
    .language_version:
      - 2
      - 0
    .max_flat_workgroup_size: 512
    .name:           _ZN7rocprim17ROCPRIM_400000_NS6detail17trampoline_kernelINS0_14default_configENS1_25partition_config_selectorILNS1_17partition_subalgoE8ElNS0_10empty_typeEbEEZZNS1_14partition_implILS5_8ELb0ES3_jPlPS6_PKS6_NS0_5tupleIJS9_S6_EEENSD_IJSA_SA_EEENS0_18inequality_wrapperIZN2at6native12_GLOBAL__N_124unique_dim_cuda_templateIfEESt5tupleIJNSH_6TensorESM_SM_EERKSM_lbbbEUlllE0_EEPmJS6_EEE10hipError_tPvRmT3_T4_T5_T6_T7_T9_mT8_P12ihipStream_tbDpT10_ENKUlT_T0_E_clISt17integral_constantIbLb1EES1C_EEDaS17_S18_EUlS17_E_NS1_11comp_targetILNS1_3genE8ELNS1_11target_archE1030ELNS1_3gpuE2ELNS1_3repE0EEENS1_30default_config_static_selectorELNS0_4arch9wavefront6targetE1EEEvT1_
    .private_segment_fixed_size: 0
    .sgpr_count:     4
    .sgpr_spill_count: 0
    .symbol:         _ZN7rocprim17ROCPRIM_400000_NS6detail17trampoline_kernelINS0_14default_configENS1_25partition_config_selectorILNS1_17partition_subalgoE8ElNS0_10empty_typeEbEEZZNS1_14partition_implILS5_8ELb0ES3_jPlPS6_PKS6_NS0_5tupleIJS9_S6_EEENSD_IJSA_SA_EEENS0_18inequality_wrapperIZN2at6native12_GLOBAL__N_124unique_dim_cuda_templateIfEESt5tupleIJNSH_6TensorESM_SM_EERKSM_lbbbEUlllE0_EEPmJS6_EEE10hipError_tPvRmT3_T4_T5_T6_T7_T9_mT8_P12ihipStream_tbDpT10_ENKUlT_T0_E_clISt17integral_constantIbLb1EES1C_EEDaS17_S18_EUlS17_E_NS1_11comp_targetILNS1_3genE8ELNS1_11target_archE1030ELNS1_3gpuE2ELNS1_3repE0EEENS1_30default_config_static_selectorELNS0_4arch9wavefront6targetE1EEEvT1_.kd
    .uniform_work_group_size: 1
    .uses_dynamic_stack: false
    .vgpr_count:     0
    .vgpr_spill_count: 0
    .wavefront_size: 64
  - .agpr_count:     0
    .args:
      - .offset:         0
        .size:           120
        .value_kind:     by_value
    .group_segment_fixed_size: 0
    .kernarg_segment_align: 8
    .kernarg_segment_size: 120
    .language:       OpenCL C
    .language_version:
      - 2
      - 0
    .max_flat_workgroup_size: 512
    .name:           _ZN7rocprim17ROCPRIM_400000_NS6detail17trampoline_kernelINS0_14default_configENS1_25partition_config_selectorILNS1_17partition_subalgoE8ElNS0_10empty_typeEbEEZZNS1_14partition_implILS5_8ELb0ES3_jPlPS6_PKS6_NS0_5tupleIJS9_S6_EEENSD_IJSA_SA_EEENS0_18inequality_wrapperIZN2at6native12_GLOBAL__N_124unique_dim_cuda_templateIfEESt5tupleIJNSH_6TensorESM_SM_EERKSM_lbbbEUlllE0_EEPmJS6_EEE10hipError_tPvRmT3_T4_T5_T6_T7_T9_mT8_P12ihipStream_tbDpT10_ENKUlT_T0_E_clISt17integral_constantIbLb1EES1B_IbLb0EEEEDaS17_S18_EUlS17_E_NS1_11comp_targetILNS1_3genE0ELNS1_11target_archE4294967295ELNS1_3gpuE0ELNS1_3repE0EEENS1_30default_config_static_selectorELNS0_4arch9wavefront6targetE1EEEvT1_
    .private_segment_fixed_size: 0
    .sgpr_count:     4
    .sgpr_spill_count: 0
    .symbol:         _ZN7rocprim17ROCPRIM_400000_NS6detail17trampoline_kernelINS0_14default_configENS1_25partition_config_selectorILNS1_17partition_subalgoE8ElNS0_10empty_typeEbEEZZNS1_14partition_implILS5_8ELb0ES3_jPlPS6_PKS6_NS0_5tupleIJS9_S6_EEENSD_IJSA_SA_EEENS0_18inequality_wrapperIZN2at6native12_GLOBAL__N_124unique_dim_cuda_templateIfEESt5tupleIJNSH_6TensorESM_SM_EERKSM_lbbbEUlllE0_EEPmJS6_EEE10hipError_tPvRmT3_T4_T5_T6_T7_T9_mT8_P12ihipStream_tbDpT10_ENKUlT_T0_E_clISt17integral_constantIbLb1EES1B_IbLb0EEEEDaS17_S18_EUlS17_E_NS1_11comp_targetILNS1_3genE0ELNS1_11target_archE4294967295ELNS1_3gpuE0ELNS1_3repE0EEENS1_30default_config_static_selectorELNS0_4arch9wavefront6targetE1EEEvT1_.kd
    .uniform_work_group_size: 1
    .uses_dynamic_stack: false
    .vgpr_count:     0
    .vgpr_spill_count: 0
    .wavefront_size: 64
  - .agpr_count:     0
    .args:
      - .offset:         0
        .size:           120
        .value_kind:     by_value
    .group_segment_fixed_size: 0
    .kernarg_segment_align: 8
    .kernarg_segment_size: 120
    .language:       OpenCL C
    .language_version:
      - 2
      - 0
    .max_flat_workgroup_size: 512
    .name:           _ZN7rocprim17ROCPRIM_400000_NS6detail17trampoline_kernelINS0_14default_configENS1_25partition_config_selectorILNS1_17partition_subalgoE8ElNS0_10empty_typeEbEEZZNS1_14partition_implILS5_8ELb0ES3_jPlPS6_PKS6_NS0_5tupleIJS9_S6_EEENSD_IJSA_SA_EEENS0_18inequality_wrapperIZN2at6native12_GLOBAL__N_124unique_dim_cuda_templateIfEESt5tupleIJNSH_6TensorESM_SM_EERKSM_lbbbEUlllE0_EEPmJS6_EEE10hipError_tPvRmT3_T4_T5_T6_T7_T9_mT8_P12ihipStream_tbDpT10_ENKUlT_T0_E_clISt17integral_constantIbLb1EES1B_IbLb0EEEEDaS17_S18_EUlS17_E_NS1_11comp_targetILNS1_3genE5ELNS1_11target_archE942ELNS1_3gpuE9ELNS1_3repE0EEENS1_30default_config_static_selectorELNS0_4arch9wavefront6targetE1EEEvT1_
    .private_segment_fixed_size: 0
    .sgpr_count:     4
    .sgpr_spill_count: 0
    .symbol:         _ZN7rocprim17ROCPRIM_400000_NS6detail17trampoline_kernelINS0_14default_configENS1_25partition_config_selectorILNS1_17partition_subalgoE8ElNS0_10empty_typeEbEEZZNS1_14partition_implILS5_8ELb0ES3_jPlPS6_PKS6_NS0_5tupleIJS9_S6_EEENSD_IJSA_SA_EEENS0_18inequality_wrapperIZN2at6native12_GLOBAL__N_124unique_dim_cuda_templateIfEESt5tupleIJNSH_6TensorESM_SM_EERKSM_lbbbEUlllE0_EEPmJS6_EEE10hipError_tPvRmT3_T4_T5_T6_T7_T9_mT8_P12ihipStream_tbDpT10_ENKUlT_T0_E_clISt17integral_constantIbLb1EES1B_IbLb0EEEEDaS17_S18_EUlS17_E_NS1_11comp_targetILNS1_3genE5ELNS1_11target_archE942ELNS1_3gpuE9ELNS1_3repE0EEENS1_30default_config_static_selectorELNS0_4arch9wavefront6targetE1EEEvT1_.kd
    .uniform_work_group_size: 1
    .uses_dynamic_stack: false
    .vgpr_count:     0
    .vgpr_spill_count: 0
    .wavefront_size: 64
  - .agpr_count:     0
    .args:
      - .offset:         0
        .size:           120
        .value_kind:     by_value
    .group_segment_fixed_size: 10252
    .kernarg_segment_align: 8
    .kernarg_segment_size: 120
    .language:       OpenCL C
    .language_version:
      - 2
      - 0
    .max_flat_workgroup_size: 256
    .name:           _ZN7rocprim17ROCPRIM_400000_NS6detail17trampoline_kernelINS0_14default_configENS1_25partition_config_selectorILNS1_17partition_subalgoE8ElNS0_10empty_typeEbEEZZNS1_14partition_implILS5_8ELb0ES3_jPlPS6_PKS6_NS0_5tupleIJS9_S6_EEENSD_IJSA_SA_EEENS0_18inequality_wrapperIZN2at6native12_GLOBAL__N_124unique_dim_cuda_templateIfEESt5tupleIJNSH_6TensorESM_SM_EERKSM_lbbbEUlllE0_EEPmJS6_EEE10hipError_tPvRmT3_T4_T5_T6_T7_T9_mT8_P12ihipStream_tbDpT10_ENKUlT_T0_E_clISt17integral_constantIbLb1EES1B_IbLb0EEEEDaS17_S18_EUlS17_E_NS1_11comp_targetILNS1_3genE4ELNS1_11target_archE910ELNS1_3gpuE8ELNS1_3repE0EEENS1_30default_config_static_selectorELNS0_4arch9wavefront6targetE1EEEvT1_
    .private_segment_fixed_size: 0
    .sgpr_count:     52
    .sgpr_spill_count: 0
    .symbol:         _ZN7rocprim17ROCPRIM_400000_NS6detail17trampoline_kernelINS0_14default_configENS1_25partition_config_selectorILNS1_17partition_subalgoE8ElNS0_10empty_typeEbEEZZNS1_14partition_implILS5_8ELb0ES3_jPlPS6_PKS6_NS0_5tupleIJS9_S6_EEENSD_IJSA_SA_EEENS0_18inequality_wrapperIZN2at6native12_GLOBAL__N_124unique_dim_cuda_templateIfEESt5tupleIJNSH_6TensorESM_SM_EERKSM_lbbbEUlllE0_EEPmJS6_EEE10hipError_tPvRmT3_T4_T5_T6_T7_T9_mT8_P12ihipStream_tbDpT10_ENKUlT_T0_E_clISt17integral_constantIbLb1EES1B_IbLb0EEEEDaS17_S18_EUlS17_E_NS1_11comp_targetILNS1_3genE4ELNS1_11target_archE910ELNS1_3gpuE8ELNS1_3repE0EEENS1_30default_config_static_selectorELNS0_4arch9wavefront6targetE1EEEvT1_.kd
    .uniform_work_group_size: 1
    .uses_dynamic_stack: false
    .vgpr_count:     46
    .vgpr_spill_count: 0
    .wavefront_size: 64
  - .agpr_count:     0
    .args:
      - .offset:         0
        .size:           120
        .value_kind:     by_value
    .group_segment_fixed_size: 0
    .kernarg_segment_align: 8
    .kernarg_segment_size: 120
    .language:       OpenCL C
    .language_version:
      - 2
      - 0
    .max_flat_workgroup_size: 512
    .name:           _ZN7rocprim17ROCPRIM_400000_NS6detail17trampoline_kernelINS0_14default_configENS1_25partition_config_selectorILNS1_17partition_subalgoE8ElNS0_10empty_typeEbEEZZNS1_14partition_implILS5_8ELb0ES3_jPlPS6_PKS6_NS0_5tupleIJS9_S6_EEENSD_IJSA_SA_EEENS0_18inequality_wrapperIZN2at6native12_GLOBAL__N_124unique_dim_cuda_templateIfEESt5tupleIJNSH_6TensorESM_SM_EERKSM_lbbbEUlllE0_EEPmJS6_EEE10hipError_tPvRmT3_T4_T5_T6_T7_T9_mT8_P12ihipStream_tbDpT10_ENKUlT_T0_E_clISt17integral_constantIbLb1EES1B_IbLb0EEEEDaS17_S18_EUlS17_E_NS1_11comp_targetILNS1_3genE3ELNS1_11target_archE908ELNS1_3gpuE7ELNS1_3repE0EEENS1_30default_config_static_selectorELNS0_4arch9wavefront6targetE1EEEvT1_
    .private_segment_fixed_size: 0
    .sgpr_count:     4
    .sgpr_spill_count: 0
    .symbol:         _ZN7rocprim17ROCPRIM_400000_NS6detail17trampoline_kernelINS0_14default_configENS1_25partition_config_selectorILNS1_17partition_subalgoE8ElNS0_10empty_typeEbEEZZNS1_14partition_implILS5_8ELb0ES3_jPlPS6_PKS6_NS0_5tupleIJS9_S6_EEENSD_IJSA_SA_EEENS0_18inequality_wrapperIZN2at6native12_GLOBAL__N_124unique_dim_cuda_templateIfEESt5tupleIJNSH_6TensorESM_SM_EERKSM_lbbbEUlllE0_EEPmJS6_EEE10hipError_tPvRmT3_T4_T5_T6_T7_T9_mT8_P12ihipStream_tbDpT10_ENKUlT_T0_E_clISt17integral_constantIbLb1EES1B_IbLb0EEEEDaS17_S18_EUlS17_E_NS1_11comp_targetILNS1_3genE3ELNS1_11target_archE908ELNS1_3gpuE7ELNS1_3repE0EEENS1_30default_config_static_selectorELNS0_4arch9wavefront6targetE1EEEvT1_.kd
    .uniform_work_group_size: 1
    .uses_dynamic_stack: false
    .vgpr_count:     0
    .vgpr_spill_count: 0
    .wavefront_size: 64
  - .agpr_count:     0
    .args:
      - .offset:         0
        .size:           120
        .value_kind:     by_value
    .group_segment_fixed_size: 0
    .kernarg_segment_align: 8
    .kernarg_segment_size: 120
    .language:       OpenCL C
    .language_version:
      - 2
      - 0
    .max_flat_workgroup_size: 256
    .name:           _ZN7rocprim17ROCPRIM_400000_NS6detail17trampoline_kernelINS0_14default_configENS1_25partition_config_selectorILNS1_17partition_subalgoE8ElNS0_10empty_typeEbEEZZNS1_14partition_implILS5_8ELb0ES3_jPlPS6_PKS6_NS0_5tupleIJS9_S6_EEENSD_IJSA_SA_EEENS0_18inequality_wrapperIZN2at6native12_GLOBAL__N_124unique_dim_cuda_templateIfEESt5tupleIJNSH_6TensorESM_SM_EERKSM_lbbbEUlllE0_EEPmJS6_EEE10hipError_tPvRmT3_T4_T5_T6_T7_T9_mT8_P12ihipStream_tbDpT10_ENKUlT_T0_E_clISt17integral_constantIbLb1EES1B_IbLb0EEEEDaS17_S18_EUlS17_E_NS1_11comp_targetILNS1_3genE2ELNS1_11target_archE906ELNS1_3gpuE6ELNS1_3repE0EEENS1_30default_config_static_selectorELNS0_4arch9wavefront6targetE1EEEvT1_
    .private_segment_fixed_size: 0
    .sgpr_count:     4
    .sgpr_spill_count: 0
    .symbol:         _ZN7rocprim17ROCPRIM_400000_NS6detail17trampoline_kernelINS0_14default_configENS1_25partition_config_selectorILNS1_17partition_subalgoE8ElNS0_10empty_typeEbEEZZNS1_14partition_implILS5_8ELb0ES3_jPlPS6_PKS6_NS0_5tupleIJS9_S6_EEENSD_IJSA_SA_EEENS0_18inequality_wrapperIZN2at6native12_GLOBAL__N_124unique_dim_cuda_templateIfEESt5tupleIJNSH_6TensorESM_SM_EERKSM_lbbbEUlllE0_EEPmJS6_EEE10hipError_tPvRmT3_T4_T5_T6_T7_T9_mT8_P12ihipStream_tbDpT10_ENKUlT_T0_E_clISt17integral_constantIbLb1EES1B_IbLb0EEEEDaS17_S18_EUlS17_E_NS1_11comp_targetILNS1_3genE2ELNS1_11target_archE906ELNS1_3gpuE6ELNS1_3repE0EEENS1_30default_config_static_selectorELNS0_4arch9wavefront6targetE1EEEvT1_.kd
    .uniform_work_group_size: 1
    .uses_dynamic_stack: false
    .vgpr_count:     0
    .vgpr_spill_count: 0
    .wavefront_size: 64
  - .agpr_count:     0
    .args:
      - .offset:         0
        .size:           120
        .value_kind:     by_value
    .group_segment_fixed_size: 0
    .kernarg_segment_align: 8
    .kernarg_segment_size: 120
    .language:       OpenCL C
    .language_version:
      - 2
      - 0
    .max_flat_workgroup_size: 384
    .name:           _ZN7rocprim17ROCPRIM_400000_NS6detail17trampoline_kernelINS0_14default_configENS1_25partition_config_selectorILNS1_17partition_subalgoE8ElNS0_10empty_typeEbEEZZNS1_14partition_implILS5_8ELb0ES3_jPlPS6_PKS6_NS0_5tupleIJS9_S6_EEENSD_IJSA_SA_EEENS0_18inequality_wrapperIZN2at6native12_GLOBAL__N_124unique_dim_cuda_templateIfEESt5tupleIJNSH_6TensorESM_SM_EERKSM_lbbbEUlllE0_EEPmJS6_EEE10hipError_tPvRmT3_T4_T5_T6_T7_T9_mT8_P12ihipStream_tbDpT10_ENKUlT_T0_E_clISt17integral_constantIbLb1EES1B_IbLb0EEEEDaS17_S18_EUlS17_E_NS1_11comp_targetILNS1_3genE10ELNS1_11target_archE1200ELNS1_3gpuE4ELNS1_3repE0EEENS1_30default_config_static_selectorELNS0_4arch9wavefront6targetE1EEEvT1_
    .private_segment_fixed_size: 0
    .sgpr_count:     4
    .sgpr_spill_count: 0
    .symbol:         _ZN7rocprim17ROCPRIM_400000_NS6detail17trampoline_kernelINS0_14default_configENS1_25partition_config_selectorILNS1_17partition_subalgoE8ElNS0_10empty_typeEbEEZZNS1_14partition_implILS5_8ELb0ES3_jPlPS6_PKS6_NS0_5tupleIJS9_S6_EEENSD_IJSA_SA_EEENS0_18inequality_wrapperIZN2at6native12_GLOBAL__N_124unique_dim_cuda_templateIfEESt5tupleIJNSH_6TensorESM_SM_EERKSM_lbbbEUlllE0_EEPmJS6_EEE10hipError_tPvRmT3_T4_T5_T6_T7_T9_mT8_P12ihipStream_tbDpT10_ENKUlT_T0_E_clISt17integral_constantIbLb1EES1B_IbLb0EEEEDaS17_S18_EUlS17_E_NS1_11comp_targetILNS1_3genE10ELNS1_11target_archE1200ELNS1_3gpuE4ELNS1_3repE0EEENS1_30default_config_static_selectorELNS0_4arch9wavefront6targetE1EEEvT1_.kd
    .uniform_work_group_size: 1
    .uses_dynamic_stack: false
    .vgpr_count:     0
    .vgpr_spill_count: 0
    .wavefront_size: 64
  - .agpr_count:     0
    .args:
      - .offset:         0
        .size:           120
        .value_kind:     by_value
    .group_segment_fixed_size: 0
    .kernarg_segment_align: 8
    .kernarg_segment_size: 120
    .language:       OpenCL C
    .language_version:
      - 2
      - 0
    .max_flat_workgroup_size: 512
    .name:           _ZN7rocprim17ROCPRIM_400000_NS6detail17trampoline_kernelINS0_14default_configENS1_25partition_config_selectorILNS1_17partition_subalgoE8ElNS0_10empty_typeEbEEZZNS1_14partition_implILS5_8ELb0ES3_jPlPS6_PKS6_NS0_5tupleIJS9_S6_EEENSD_IJSA_SA_EEENS0_18inequality_wrapperIZN2at6native12_GLOBAL__N_124unique_dim_cuda_templateIfEESt5tupleIJNSH_6TensorESM_SM_EERKSM_lbbbEUlllE0_EEPmJS6_EEE10hipError_tPvRmT3_T4_T5_T6_T7_T9_mT8_P12ihipStream_tbDpT10_ENKUlT_T0_E_clISt17integral_constantIbLb1EES1B_IbLb0EEEEDaS17_S18_EUlS17_E_NS1_11comp_targetILNS1_3genE9ELNS1_11target_archE1100ELNS1_3gpuE3ELNS1_3repE0EEENS1_30default_config_static_selectorELNS0_4arch9wavefront6targetE1EEEvT1_
    .private_segment_fixed_size: 0
    .sgpr_count:     4
    .sgpr_spill_count: 0
    .symbol:         _ZN7rocprim17ROCPRIM_400000_NS6detail17trampoline_kernelINS0_14default_configENS1_25partition_config_selectorILNS1_17partition_subalgoE8ElNS0_10empty_typeEbEEZZNS1_14partition_implILS5_8ELb0ES3_jPlPS6_PKS6_NS0_5tupleIJS9_S6_EEENSD_IJSA_SA_EEENS0_18inequality_wrapperIZN2at6native12_GLOBAL__N_124unique_dim_cuda_templateIfEESt5tupleIJNSH_6TensorESM_SM_EERKSM_lbbbEUlllE0_EEPmJS6_EEE10hipError_tPvRmT3_T4_T5_T6_T7_T9_mT8_P12ihipStream_tbDpT10_ENKUlT_T0_E_clISt17integral_constantIbLb1EES1B_IbLb0EEEEDaS17_S18_EUlS17_E_NS1_11comp_targetILNS1_3genE9ELNS1_11target_archE1100ELNS1_3gpuE3ELNS1_3repE0EEENS1_30default_config_static_selectorELNS0_4arch9wavefront6targetE1EEEvT1_.kd
    .uniform_work_group_size: 1
    .uses_dynamic_stack: false
    .vgpr_count:     0
    .vgpr_spill_count: 0
    .wavefront_size: 64
  - .agpr_count:     0
    .args:
      - .offset:         0
        .size:           120
        .value_kind:     by_value
    .group_segment_fixed_size: 0
    .kernarg_segment_align: 8
    .kernarg_segment_size: 120
    .language:       OpenCL C
    .language_version:
      - 2
      - 0
    .max_flat_workgroup_size: 512
    .name:           _ZN7rocprim17ROCPRIM_400000_NS6detail17trampoline_kernelINS0_14default_configENS1_25partition_config_selectorILNS1_17partition_subalgoE8ElNS0_10empty_typeEbEEZZNS1_14partition_implILS5_8ELb0ES3_jPlPS6_PKS6_NS0_5tupleIJS9_S6_EEENSD_IJSA_SA_EEENS0_18inequality_wrapperIZN2at6native12_GLOBAL__N_124unique_dim_cuda_templateIfEESt5tupleIJNSH_6TensorESM_SM_EERKSM_lbbbEUlllE0_EEPmJS6_EEE10hipError_tPvRmT3_T4_T5_T6_T7_T9_mT8_P12ihipStream_tbDpT10_ENKUlT_T0_E_clISt17integral_constantIbLb1EES1B_IbLb0EEEEDaS17_S18_EUlS17_E_NS1_11comp_targetILNS1_3genE8ELNS1_11target_archE1030ELNS1_3gpuE2ELNS1_3repE0EEENS1_30default_config_static_selectorELNS0_4arch9wavefront6targetE1EEEvT1_
    .private_segment_fixed_size: 0
    .sgpr_count:     4
    .sgpr_spill_count: 0
    .symbol:         _ZN7rocprim17ROCPRIM_400000_NS6detail17trampoline_kernelINS0_14default_configENS1_25partition_config_selectorILNS1_17partition_subalgoE8ElNS0_10empty_typeEbEEZZNS1_14partition_implILS5_8ELb0ES3_jPlPS6_PKS6_NS0_5tupleIJS9_S6_EEENSD_IJSA_SA_EEENS0_18inequality_wrapperIZN2at6native12_GLOBAL__N_124unique_dim_cuda_templateIfEESt5tupleIJNSH_6TensorESM_SM_EERKSM_lbbbEUlllE0_EEPmJS6_EEE10hipError_tPvRmT3_T4_T5_T6_T7_T9_mT8_P12ihipStream_tbDpT10_ENKUlT_T0_E_clISt17integral_constantIbLb1EES1B_IbLb0EEEEDaS17_S18_EUlS17_E_NS1_11comp_targetILNS1_3genE8ELNS1_11target_archE1030ELNS1_3gpuE2ELNS1_3repE0EEENS1_30default_config_static_selectorELNS0_4arch9wavefront6targetE1EEEvT1_.kd
    .uniform_work_group_size: 1
    .uses_dynamic_stack: false
    .vgpr_count:     0
    .vgpr_spill_count: 0
    .wavefront_size: 64
  - .agpr_count:     0
    .args:
      - .offset:         0
        .size:           136
        .value_kind:     by_value
    .group_segment_fixed_size: 0
    .kernarg_segment_align: 8
    .kernarg_segment_size: 136
    .language:       OpenCL C
    .language_version:
      - 2
      - 0
    .max_flat_workgroup_size: 512
    .name:           _ZN7rocprim17ROCPRIM_400000_NS6detail17trampoline_kernelINS0_14default_configENS1_25partition_config_selectorILNS1_17partition_subalgoE8ElNS0_10empty_typeEbEEZZNS1_14partition_implILS5_8ELb0ES3_jPlPS6_PKS6_NS0_5tupleIJS9_S6_EEENSD_IJSA_SA_EEENS0_18inequality_wrapperIZN2at6native12_GLOBAL__N_124unique_dim_cuda_templateIfEESt5tupleIJNSH_6TensorESM_SM_EERKSM_lbbbEUlllE0_EEPmJS6_EEE10hipError_tPvRmT3_T4_T5_T6_T7_T9_mT8_P12ihipStream_tbDpT10_ENKUlT_T0_E_clISt17integral_constantIbLb0EES1B_IbLb1EEEEDaS17_S18_EUlS17_E_NS1_11comp_targetILNS1_3genE0ELNS1_11target_archE4294967295ELNS1_3gpuE0ELNS1_3repE0EEENS1_30default_config_static_selectorELNS0_4arch9wavefront6targetE1EEEvT1_
    .private_segment_fixed_size: 0
    .sgpr_count:     4
    .sgpr_spill_count: 0
    .symbol:         _ZN7rocprim17ROCPRIM_400000_NS6detail17trampoline_kernelINS0_14default_configENS1_25partition_config_selectorILNS1_17partition_subalgoE8ElNS0_10empty_typeEbEEZZNS1_14partition_implILS5_8ELb0ES3_jPlPS6_PKS6_NS0_5tupleIJS9_S6_EEENSD_IJSA_SA_EEENS0_18inequality_wrapperIZN2at6native12_GLOBAL__N_124unique_dim_cuda_templateIfEESt5tupleIJNSH_6TensorESM_SM_EERKSM_lbbbEUlllE0_EEPmJS6_EEE10hipError_tPvRmT3_T4_T5_T6_T7_T9_mT8_P12ihipStream_tbDpT10_ENKUlT_T0_E_clISt17integral_constantIbLb0EES1B_IbLb1EEEEDaS17_S18_EUlS17_E_NS1_11comp_targetILNS1_3genE0ELNS1_11target_archE4294967295ELNS1_3gpuE0ELNS1_3repE0EEENS1_30default_config_static_selectorELNS0_4arch9wavefront6targetE1EEEvT1_.kd
    .uniform_work_group_size: 1
    .uses_dynamic_stack: false
    .vgpr_count:     0
    .vgpr_spill_count: 0
    .wavefront_size: 64
  - .agpr_count:     0
    .args:
      - .offset:         0
        .size:           136
        .value_kind:     by_value
    .group_segment_fixed_size: 0
    .kernarg_segment_align: 8
    .kernarg_segment_size: 136
    .language:       OpenCL C
    .language_version:
      - 2
      - 0
    .max_flat_workgroup_size: 512
    .name:           _ZN7rocprim17ROCPRIM_400000_NS6detail17trampoline_kernelINS0_14default_configENS1_25partition_config_selectorILNS1_17partition_subalgoE8ElNS0_10empty_typeEbEEZZNS1_14partition_implILS5_8ELb0ES3_jPlPS6_PKS6_NS0_5tupleIJS9_S6_EEENSD_IJSA_SA_EEENS0_18inequality_wrapperIZN2at6native12_GLOBAL__N_124unique_dim_cuda_templateIfEESt5tupleIJNSH_6TensorESM_SM_EERKSM_lbbbEUlllE0_EEPmJS6_EEE10hipError_tPvRmT3_T4_T5_T6_T7_T9_mT8_P12ihipStream_tbDpT10_ENKUlT_T0_E_clISt17integral_constantIbLb0EES1B_IbLb1EEEEDaS17_S18_EUlS17_E_NS1_11comp_targetILNS1_3genE5ELNS1_11target_archE942ELNS1_3gpuE9ELNS1_3repE0EEENS1_30default_config_static_selectorELNS0_4arch9wavefront6targetE1EEEvT1_
    .private_segment_fixed_size: 0
    .sgpr_count:     4
    .sgpr_spill_count: 0
    .symbol:         _ZN7rocprim17ROCPRIM_400000_NS6detail17trampoline_kernelINS0_14default_configENS1_25partition_config_selectorILNS1_17partition_subalgoE8ElNS0_10empty_typeEbEEZZNS1_14partition_implILS5_8ELb0ES3_jPlPS6_PKS6_NS0_5tupleIJS9_S6_EEENSD_IJSA_SA_EEENS0_18inequality_wrapperIZN2at6native12_GLOBAL__N_124unique_dim_cuda_templateIfEESt5tupleIJNSH_6TensorESM_SM_EERKSM_lbbbEUlllE0_EEPmJS6_EEE10hipError_tPvRmT3_T4_T5_T6_T7_T9_mT8_P12ihipStream_tbDpT10_ENKUlT_T0_E_clISt17integral_constantIbLb0EES1B_IbLb1EEEEDaS17_S18_EUlS17_E_NS1_11comp_targetILNS1_3genE5ELNS1_11target_archE942ELNS1_3gpuE9ELNS1_3repE0EEENS1_30default_config_static_selectorELNS0_4arch9wavefront6targetE1EEEvT1_.kd
    .uniform_work_group_size: 1
    .uses_dynamic_stack: false
    .vgpr_count:     0
    .vgpr_spill_count: 0
    .wavefront_size: 64
  - .agpr_count:     0
    .args:
      - .offset:         0
        .size:           136
        .value_kind:     by_value
    .group_segment_fixed_size: 10252
    .kernarg_segment_align: 8
    .kernarg_segment_size: 136
    .language:       OpenCL C
    .language_version:
      - 2
      - 0
    .max_flat_workgroup_size: 256
    .name:           _ZN7rocprim17ROCPRIM_400000_NS6detail17trampoline_kernelINS0_14default_configENS1_25partition_config_selectorILNS1_17partition_subalgoE8ElNS0_10empty_typeEbEEZZNS1_14partition_implILS5_8ELb0ES3_jPlPS6_PKS6_NS0_5tupleIJS9_S6_EEENSD_IJSA_SA_EEENS0_18inequality_wrapperIZN2at6native12_GLOBAL__N_124unique_dim_cuda_templateIfEESt5tupleIJNSH_6TensorESM_SM_EERKSM_lbbbEUlllE0_EEPmJS6_EEE10hipError_tPvRmT3_T4_T5_T6_T7_T9_mT8_P12ihipStream_tbDpT10_ENKUlT_T0_E_clISt17integral_constantIbLb0EES1B_IbLb1EEEEDaS17_S18_EUlS17_E_NS1_11comp_targetILNS1_3genE4ELNS1_11target_archE910ELNS1_3gpuE8ELNS1_3repE0EEENS1_30default_config_static_selectorELNS0_4arch9wavefront6targetE1EEEvT1_
    .private_segment_fixed_size: 0
    .sgpr_count:     56
    .sgpr_spill_count: 0
    .symbol:         _ZN7rocprim17ROCPRIM_400000_NS6detail17trampoline_kernelINS0_14default_configENS1_25partition_config_selectorILNS1_17partition_subalgoE8ElNS0_10empty_typeEbEEZZNS1_14partition_implILS5_8ELb0ES3_jPlPS6_PKS6_NS0_5tupleIJS9_S6_EEENSD_IJSA_SA_EEENS0_18inequality_wrapperIZN2at6native12_GLOBAL__N_124unique_dim_cuda_templateIfEESt5tupleIJNSH_6TensorESM_SM_EERKSM_lbbbEUlllE0_EEPmJS6_EEE10hipError_tPvRmT3_T4_T5_T6_T7_T9_mT8_P12ihipStream_tbDpT10_ENKUlT_T0_E_clISt17integral_constantIbLb0EES1B_IbLb1EEEEDaS17_S18_EUlS17_E_NS1_11comp_targetILNS1_3genE4ELNS1_11target_archE910ELNS1_3gpuE8ELNS1_3repE0EEENS1_30default_config_static_selectorELNS0_4arch9wavefront6targetE1EEEvT1_.kd
    .uniform_work_group_size: 1
    .uses_dynamic_stack: false
    .vgpr_count:     46
    .vgpr_spill_count: 0
    .wavefront_size: 64
  - .agpr_count:     0
    .args:
      - .offset:         0
        .size:           136
        .value_kind:     by_value
    .group_segment_fixed_size: 0
    .kernarg_segment_align: 8
    .kernarg_segment_size: 136
    .language:       OpenCL C
    .language_version:
      - 2
      - 0
    .max_flat_workgroup_size: 512
    .name:           _ZN7rocprim17ROCPRIM_400000_NS6detail17trampoline_kernelINS0_14default_configENS1_25partition_config_selectorILNS1_17partition_subalgoE8ElNS0_10empty_typeEbEEZZNS1_14partition_implILS5_8ELb0ES3_jPlPS6_PKS6_NS0_5tupleIJS9_S6_EEENSD_IJSA_SA_EEENS0_18inequality_wrapperIZN2at6native12_GLOBAL__N_124unique_dim_cuda_templateIfEESt5tupleIJNSH_6TensorESM_SM_EERKSM_lbbbEUlllE0_EEPmJS6_EEE10hipError_tPvRmT3_T4_T5_T6_T7_T9_mT8_P12ihipStream_tbDpT10_ENKUlT_T0_E_clISt17integral_constantIbLb0EES1B_IbLb1EEEEDaS17_S18_EUlS17_E_NS1_11comp_targetILNS1_3genE3ELNS1_11target_archE908ELNS1_3gpuE7ELNS1_3repE0EEENS1_30default_config_static_selectorELNS0_4arch9wavefront6targetE1EEEvT1_
    .private_segment_fixed_size: 0
    .sgpr_count:     4
    .sgpr_spill_count: 0
    .symbol:         _ZN7rocprim17ROCPRIM_400000_NS6detail17trampoline_kernelINS0_14default_configENS1_25partition_config_selectorILNS1_17partition_subalgoE8ElNS0_10empty_typeEbEEZZNS1_14partition_implILS5_8ELb0ES3_jPlPS6_PKS6_NS0_5tupleIJS9_S6_EEENSD_IJSA_SA_EEENS0_18inequality_wrapperIZN2at6native12_GLOBAL__N_124unique_dim_cuda_templateIfEESt5tupleIJNSH_6TensorESM_SM_EERKSM_lbbbEUlllE0_EEPmJS6_EEE10hipError_tPvRmT3_T4_T5_T6_T7_T9_mT8_P12ihipStream_tbDpT10_ENKUlT_T0_E_clISt17integral_constantIbLb0EES1B_IbLb1EEEEDaS17_S18_EUlS17_E_NS1_11comp_targetILNS1_3genE3ELNS1_11target_archE908ELNS1_3gpuE7ELNS1_3repE0EEENS1_30default_config_static_selectorELNS0_4arch9wavefront6targetE1EEEvT1_.kd
    .uniform_work_group_size: 1
    .uses_dynamic_stack: false
    .vgpr_count:     0
    .vgpr_spill_count: 0
    .wavefront_size: 64
  - .agpr_count:     0
    .args:
      - .offset:         0
        .size:           136
        .value_kind:     by_value
    .group_segment_fixed_size: 0
    .kernarg_segment_align: 8
    .kernarg_segment_size: 136
    .language:       OpenCL C
    .language_version:
      - 2
      - 0
    .max_flat_workgroup_size: 256
    .name:           _ZN7rocprim17ROCPRIM_400000_NS6detail17trampoline_kernelINS0_14default_configENS1_25partition_config_selectorILNS1_17partition_subalgoE8ElNS0_10empty_typeEbEEZZNS1_14partition_implILS5_8ELb0ES3_jPlPS6_PKS6_NS0_5tupleIJS9_S6_EEENSD_IJSA_SA_EEENS0_18inequality_wrapperIZN2at6native12_GLOBAL__N_124unique_dim_cuda_templateIfEESt5tupleIJNSH_6TensorESM_SM_EERKSM_lbbbEUlllE0_EEPmJS6_EEE10hipError_tPvRmT3_T4_T5_T6_T7_T9_mT8_P12ihipStream_tbDpT10_ENKUlT_T0_E_clISt17integral_constantIbLb0EES1B_IbLb1EEEEDaS17_S18_EUlS17_E_NS1_11comp_targetILNS1_3genE2ELNS1_11target_archE906ELNS1_3gpuE6ELNS1_3repE0EEENS1_30default_config_static_selectorELNS0_4arch9wavefront6targetE1EEEvT1_
    .private_segment_fixed_size: 0
    .sgpr_count:     4
    .sgpr_spill_count: 0
    .symbol:         _ZN7rocprim17ROCPRIM_400000_NS6detail17trampoline_kernelINS0_14default_configENS1_25partition_config_selectorILNS1_17partition_subalgoE8ElNS0_10empty_typeEbEEZZNS1_14partition_implILS5_8ELb0ES3_jPlPS6_PKS6_NS0_5tupleIJS9_S6_EEENSD_IJSA_SA_EEENS0_18inequality_wrapperIZN2at6native12_GLOBAL__N_124unique_dim_cuda_templateIfEESt5tupleIJNSH_6TensorESM_SM_EERKSM_lbbbEUlllE0_EEPmJS6_EEE10hipError_tPvRmT3_T4_T5_T6_T7_T9_mT8_P12ihipStream_tbDpT10_ENKUlT_T0_E_clISt17integral_constantIbLb0EES1B_IbLb1EEEEDaS17_S18_EUlS17_E_NS1_11comp_targetILNS1_3genE2ELNS1_11target_archE906ELNS1_3gpuE6ELNS1_3repE0EEENS1_30default_config_static_selectorELNS0_4arch9wavefront6targetE1EEEvT1_.kd
    .uniform_work_group_size: 1
    .uses_dynamic_stack: false
    .vgpr_count:     0
    .vgpr_spill_count: 0
    .wavefront_size: 64
  - .agpr_count:     0
    .args:
      - .offset:         0
        .size:           136
        .value_kind:     by_value
    .group_segment_fixed_size: 0
    .kernarg_segment_align: 8
    .kernarg_segment_size: 136
    .language:       OpenCL C
    .language_version:
      - 2
      - 0
    .max_flat_workgroup_size: 384
    .name:           _ZN7rocprim17ROCPRIM_400000_NS6detail17trampoline_kernelINS0_14default_configENS1_25partition_config_selectorILNS1_17partition_subalgoE8ElNS0_10empty_typeEbEEZZNS1_14partition_implILS5_8ELb0ES3_jPlPS6_PKS6_NS0_5tupleIJS9_S6_EEENSD_IJSA_SA_EEENS0_18inequality_wrapperIZN2at6native12_GLOBAL__N_124unique_dim_cuda_templateIfEESt5tupleIJNSH_6TensorESM_SM_EERKSM_lbbbEUlllE0_EEPmJS6_EEE10hipError_tPvRmT3_T4_T5_T6_T7_T9_mT8_P12ihipStream_tbDpT10_ENKUlT_T0_E_clISt17integral_constantIbLb0EES1B_IbLb1EEEEDaS17_S18_EUlS17_E_NS1_11comp_targetILNS1_3genE10ELNS1_11target_archE1200ELNS1_3gpuE4ELNS1_3repE0EEENS1_30default_config_static_selectorELNS0_4arch9wavefront6targetE1EEEvT1_
    .private_segment_fixed_size: 0
    .sgpr_count:     4
    .sgpr_spill_count: 0
    .symbol:         _ZN7rocprim17ROCPRIM_400000_NS6detail17trampoline_kernelINS0_14default_configENS1_25partition_config_selectorILNS1_17partition_subalgoE8ElNS0_10empty_typeEbEEZZNS1_14partition_implILS5_8ELb0ES3_jPlPS6_PKS6_NS0_5tupleIJS9_S6_EEENSD_IJSA_SA_EEENS0_18inequality_wrapperIZN2at6native12_GLOBAL__N_124unique_dim_cuda_templateIfEESt5tupleIJNSH_6TensorESM_SM_EERKSM_lbbbEUlllE0_EEPmJS6_EEE10hipError_tPvRmT3_T4_T5_T6_T7_T9_mT8_P12ihipStream_tbDpT10_ENKUlT_T0_E_clISt17integral_constantIbLb0EES1B_IbLb1EEEEDaS17_S18_EUlS17_E_NS1_11comp_targetILNS1_3genE10ELNS1_11target_archE1200ELNS1_3gpuE4ELNS1_3repE0EEENS1_30default_config_static_selectorELNS0_4arch9wavefront6targetE1EEEvT1_.kd
    .uniform_work_group_size: 1
    .uses_dynamic_stack: false
    .vgpr_count:     0
    .vgpr_spill_count: 0
    .wavefront_size: 64
  - .agpr_count:     0
    .args:
      - .offset:         0
        .size:           136
        .value_kind:     by_value
    .group_segment_fixed_size: 0
    .kernarg_segment_align: 8
    .kernarg_segment_size: 136
    .language:       OpenCL C
    .language_version:
      - 2
      - 0
    .max_flat_workgroup_size: 512
    .name:           _ZN7rocprim17ROCPRIM_400000_NS6detail17trampoline_kernelINS0_14default_configENS1_25partition_config_selectorILNS1_17partition_subalgoE8ElNS0_10empty_typeEbEEZZNS1_14partition_implILS5_8ELb0ES3_jPlPS6_PKS6_NS0_5tupleIJS9_S6_EEENSD_IJSA_SA_EEENS0_18inequality_wrapperIZN2at6native12_GLOBAL__N_124unique_dim_cuda_templateIfEESt5tupleIJNSH_6TensorESM_SM_EERKSM_lbbbEUlllE0_EEPmJS6_EEE10hipError_tPvRmT3_T4_T5_T6_T7_T9_mT8_P12ihipStream_tbDpT10_ENKUlT_T0_E_clISt17integral_constantIbLb0EES1B_IbLb1EEEEDaS17_S18_EUlS17_E_NS1_11comp_targetILNS1_3genE9ELNS1_11target_archE1100ELNS1_3gpuE3ELNS1_3repE0EEENS1_30default_config_static_selectorELNS0_4arch9wavefront6targetE1EEEvT1_
    .private_segment_fixed_size: 0
    .sgpr_count:     4
    .sgpr_spill_count: 0
    .symbol:         _ZN7rocprim17ROCPRIM_400000_NS6detail17trampoline_kernelINS0_14default_configENS1_25partition_config_selectorILNS1_17partition_subalgoE8ElNS0_10empty_typeEbEEZZNS1_14partition_implILS5_8ELb0ES3_jPlPS6_PKS6_NS0_5tupleIJS9_S6_EEENSD_IJSA_SA_EEENS0_18inequality_wrapperIZN2at6native12_GLOBAL__N_124unique_dim_cuda_templateIfEESt5tupleIJNSH_6TensorESM_SM_EERKSM_lbbbEUlllE0_EEPmJS6_EEE10hipError_tPvRmT3_T4_T5_T6_T7_T9_mT8_P12ihipStream_tbDpT10_ENKUlT_T0_E_clISt17integral_constantIbLb0EES1B_IbLb1EEEEDaS17_S18_EUlS17_E_NS1_11comp_targetILNS1_3genE9ELNS1_11target_archE1100ELNS1_3gpuE3ELNS1_3repE0EEENS1_30default_config_static_selectorELNS0_4arch9wavefront6targetE1EEEvT1_.kd
    .uniform_work_group_size: 1
    .uses_dynamic_stack: false
    .vgpr_count:     0
    .vgpr_spill_count: 0
    .wavefront_size: 64
  - .agpr_count:     0
    .args:
      - .offset:         0
        .size:           136
        .value_kind:     by_value
    .group_segment_fixed_size: 0
    .kernarg_segment_align: 8
    .kernarg_segment_size: 136
    .language:       OpenCL C
    .language_version:
      - 2
      - 0
    .max_flat_workgroup_size: 512
    .name:           _ZN7rocprim17ROCPRIM_400000_NS6detail17trampoline_kernelINS0_14default_configENS1_25partition_config_selectorILNS1_17partition_subalgoE8ElNS0_10empty_typeEbEEZZNS1_14partition_implILS5_8ELb0ES3_jPlPS6_PKS6_NS0_5tupleIJS9_S6_EEENSD_IJSA_SA_EEENS0_18inequality_wrapperIZN2at6native12_GLOBAL__N_124unique_dim_cuda_templateIfEESt5tupleIJNSH_6TensorESM_SM_EERKSM_lbbbEUlllE0_EEPmJS6_EEE10hipError_tPvRmT3_T4_T5_T6_T7_T9_mT8_P12ihipStream_tbDpT10_ENKUlT_T0_E_clISt17integral_constantIbLb0EES1B_IbLb1EEEEDaS17_S18_EUlS17_E_NS1_11comp_targetILNS1_3genE8ELNS1_11target_archE1030ELNS1_3gpuE2ELNS1_3repE0EEENS1_30default_config_static_selectorELNS0_4arch9wavefront6targetE1EEEvT1_
    .private_segment_fixed_size: 0
    .sgpr_count:     4
    .sgpr_spill_count: 0
    .symbol:         _ZN7rocprim17ROCPRIM_400000_NS6detail17trampoline_kernelINS0_14default_configENS1_25partition_config_selectorILNS1_17partition_subalgoE8ElNS0_10empty_typeEbEEZZNS1_14partition_implILS5_8ELb0ES3_jPlPS6_PKS6_NS0_5tupleIJS9_S6_EEENSD_IJSA_SA_EEENS0_18inequality_wrapperIZN2at6native12_GLOBAL__N_124unique_dim_cuda_templateIfEESt5tupleIJNSH_6TensorESM_SM_EERKSM_lbbbEUlllE0_EEPmJS6_EEE10hipError_tPvRmT3_T4_T5_T6_T7_T9_mT8_P12ihipStream_tbDpT10_ENKUlT_T0_E_clISt17integral_constantIbLb0EES1B_IbLb1EEEEDaS17_S18_EUlS17_E_NS1_11comp_targetILNS1_3genE8ELNS1_11target_archE1030ELNS1_3gpuE2ELNS1_3repE0EEENS1_30default_config_static_selectorELNS0_4arch9wavefront6targetE1EEEvT1_.kd
    .uniform_work_group_size: 1
    .uses_dynamic_stack: false
    .vgpr_count:     0
    .vgpr_spill_count: 0
    .wavefront_size: 64
  - .agpr_count:     0
    .args:
      - .offset:         0
        .size:           120
        .value_kind:     by_value
    .group_segment_fixed_size: 0
    .kernarg_segment_align: 8
    .kernarg_segment_size: 120
    .language:       OpenCL C
    .language_version:
      - 2
      - 0
    .max_flat_workgroup_size: 128
    .name:           _ZN7rocprim17ROCPRIM_400000_NS6detail17trampoline_kernelINS0_14default_configENS1_25partition_config_selectorILNS1_17partition_subalgoE9EllbEEZZNS1_14partition_implILS5_9ELb0ES3_jPlS8_PNS0_10empty_typeENS0_5tupleIJS8_S9_EEENSB_IJS8_SA_EEENS0_18inequality_wrapperIZN2at6native12_GLOBAL__N_124unique_dim_cuda_templateIfEESt5tupleIJNSF_6TensorESK_SK_EERKSK_lbbbEUlllE0_EEPmJS9_EEE10hipError_tPvRmT3_T4_T5_T6_T7_T9_mT8_P12ihipStream_tbDpT10_ENKUlT_T0_E_clISt17integral_constantIbLb0EES1A_EEDaS15_S16_EUlS15_E_NS1_11comp_targetILNS1_3genE0ELNS1_11target_archE4294967295ELNS1_3gpuE0ELNS1_3repE0EEENS1_30default_config_static_selectorELNS0_4arch9wavefront6targetE1EEEvT1_
    .private_segment_fixed_size: 0
    .sgpr_count:     4
    .sgpr_spill_count: 0
    .symbol:         _ZN7rocprim17ROCPRIM_400000_NS6detail17trampoline_kernelINS0_14default_configENS1_25partition_config_selectorILNS1_17partition_subalgoE9EllbEEZZNS1_14partition_implILS5_9ELb0ES3_jPlS8_PNS0_10empty_typeENS0_5tupleIJS8_S9_EEENSB_IJS8_SA_EEENS0_18inequality_wrapperIZN2at6native12_GLOBAL__N_124unique_dim_cuda_templateIfEESt5tupleIJNSF_6TensorESK_SK_EERKSK_lbbbEUlllE0_EEPmJS9_EEE10hipError_tPvRmT3_T4_T5_T6_T7_T9_mT8_P12ihipStream_tbDpT10_ENKUlT_T0_E_clISt17integral_constantIbLb0EES1A_EEDaS15_S16_EUlS15_E_NS1_11comp_targetILNS1_3genE0ELNS1_11target_archE4294967295ELNS1_3gpuE0ELNS1_3repE0EEENS1_30default_config_static_selectorELNS0_4arch9wavefront6targetE1EEEvT1_.kd
    .uniform_work_group_size: 1
    .uses_dynamic_stack: false
    .vgpr_count:     0
    .vgpr_spill_count: 0
    .wavefront_size: 64
  - .agpr_count:     0
    .args:
      - .offset:         0
        .size:           120
        .value_kind:     by_value
    .group_segment_fixed_size: 0
    .kernarg_segment_align: 8
    .kernarg_segment_size: 120
    .language:       OpenCL C
    .language_version:
      - 2
      - 0
    .max_flat_workgroup_size: 512
    .name:           _ZN7rocprim17ROCPRIM_400000_NS6detail17trampoline_kernelINS0_14default_configENS1_25partition_config_selectorILNS1_17partition_subalgoE9EllbEEZZNS1_14partition_implILS5_9ELb0ES3_jPlS8_PNS0_10empty_typeENS0_5tupleIJS8_S9_EEENSB_IJS8_SA_EEENS0_18inequality_wrapperIZN2at6native12_GLOBAL__N_124unique_dim_cuda_templateIfEESt5tupleIJNSF_6TensorESK_SK_EERKSK_lbbbEUlllE0_EEPmJS9_EEE10hipError_tPvRmT3_T4_T5_T6_T7_T9_mT8_P12ihipStream_tbDpT10_ENKUlT_T0_E_clISt17integral_constantIbLb0EES1A_EEDaS15_S16_EUlS15_E_NS1_11comp_targetILNS1_3genE5ELNS1_11target_archE942ELNS1_3gpuE9ELNS1_3repE0EEENS1_30default_config_static_selectorELNS0_4arch9wavefront6targetE1EEEvT1_
    .private_segment_fixed_size: 0
    .sgpr_count:     4
    .sgpr_spill_count: 0
    .symbol:         _ZN7rocprim17ROCPRIM_400000_NS6detail17trampoline_kernelINS0_14default_configENS1_25partition_config_selectorILNS1_17partition_subalgoE9EllbEEZZNS1_14partition_implILS5_9ELb0ES3_jPlS8_PNS0_10empty_typeENS0_5tupleIJS8_S9_EEENSB_IJS8_SA_EEENS0_18inequality_wrapperIZN2at6native12_GLOBAL__N_124unique_dim_cuda_templateIfEESt5tupleIJNSF_6TensorESK_SK_EERKSK_lbbbEUlllE0_EEPmJS9_EEE10hipError_tPvRmT3_T4_T5_T6_T7_T9_mT8_P12ihipStream_tbDpT10_ENKUlT_T0_E_clISt17integral_constantIbLb0EES1A_EEDaS15_S16_EUlS15_E_NS1_11comp_targetILNS1_3genE5ELNS1_11target_archE942ELNS1_3gpuE9ELNS1_3repE0EEENS1_30default_config_static_selectorELNS0_4arch9wavefront6targetE1EEEvT1_.kd
    .uniform_work_group_size: 1
    .uses_dynamic_stack: false
    .vgpr_count:     0
    .vgpr_spill_count: 0
    .wavefront_size: 64
  - .agpr_count:     0
    .args:
      - .offset:         0
        .size:           120
        .value_kind:     by_value
    .group_segment_fixed_size: 4236
    .kernarg_segment_align: 8
    .kernarg_segment_size: 120
    .language:       OpenCL C
    .language_version:
      - 2
      - 0
    .max_flat_workgroup_size: 128
    .name:           _ZN7rocprim17ROCPRIM_400000_NS6detail17trampoline_kernelINS0_14default_configENS1_25partition_config_selectorILNS1_17partition_subalgoE9EllbEEZZNS1_14partition_implILS5_9ELb0ES3_jPlS8_PNS0_10empty_typeENS0_5tupleIJS8_S9_EEENSB_IJS8_SA_EEENS0_18inequality_wrapperIZN2at6native12_GLOBAL__N_124unique_dim_cuda_templateIfEESt5tupleIJNSF_6TensorESK_SK_EERKSK_lbbbEUlllE0_EEPmJS9_EEE10hipError_tPvRmT3_T4_T5_T6_T7_T9_mT8_P12ihipStream_tbDpT10_ENKUlT_T0_E_clISt17integral_constantIbLb0EES1A_EEDaS15_S16_EUlS15_E_NS1_11comp_targetILNS1_3genE4ELNS1_11target_archE910ELNS1_3gpuE8ELNS1_3repE0EEENS1_30default_config_static_selectorELNS0_4arch9wavefront6targetE1EEEvT1_
    .private_segment_fixed_size: 0
    .sgpr_count:     50
    .sgpr_spill_count: 0
    .symbol:         _ZN7rocprim17ROCPRIM_400000_NS6detail17trampoline_kernelINS0_14default_configENS1_25partition_config_selectorILNS1_17partition_subalgoE9EllbEEZZNS1_14partition_implILS5_9ELb0ES3_jPlS8_PNS0_10empty_typeENS0_5tupleIJS8_S9_EEENSB_IJS8_SA_EEENS0_18inequality_wrapperIZN2at6native12_GLOBAL__N_124unique_dim_cuda_templateIfEESt5tupleIJNSF_6TensorESK_SK_EERKSK_lbbbEUlllE0_EEPmJS9_EEE10hipError_tPvRmT3_T4_T5_T6_T7_T9_mT8_P12ihipStream_tbDpT10_ENKUlT_T0_E_clISt17integral_constantIbLb0EES1A_EEDaS15_S16_EUlS15_E_NS1_11comp_targetILNS1_3genE4ELNS1_11target_archE910ELNS1_3gpuE8ELNS1_3repE0EEENS1_30default_config_static_selectorELNS0_4arch9wavefront6targetE1EEEvT1_.kd
    .uniform_work_group_size: 1
    .uses_dynamic_stack: false
    .vgpr_count:     50
    .vgpr_spill_count: 0
    .wavefront_size: 64
  - .agpr_count:     0
    .args:
      - .offset:         0
        .size:           120
        .value_kind:     by_value
    .group_segment_fixed_size: 0
    .kernarg_segment_align: 8
    .kernarg_segment_size: 120
    .language:       OpenCL C
    .language_version:
      - 2
      - 0
    .max_flat_workgroup_size: 128
    .name:           _ZN7rocprim17ROCPRIM_400000_NS6detail17trampoline_kernelINS0_14default_configENS1_25partition_config_selectorILNS1_17partition_subalgoE9EllbEEZZNS1_14partition_implILS5_9ELb0ES3_jPlS8_PNS0_10empty_typeENS0_5tupleIJS8_S9_EEENSB_IJS8_SA_EEENS0_18inequality_wrapperIZN2at6native12_GLOBAL__N_124unique_dim_cuda_templateIfEESt5tupleIJNSF_6TensorESK_SK_EERKSK_lbbbEUlllE0_EEPmJS9_EEE10hipError_tPvRmT3_T4_T5_T6_T7_T9_mT8_P12ihipStream_tbDpT10_ENKUlT_T0_E_clISt17integral_constantIbLb0EES1A_EEDaS15_S16_EUlS15_E_NS1_11comp_targetILNS1_3genE3ELNS1_11target_archE908ELNS1_3gpuE7ELNS1_3repE0EEENS1_30default_config_static_selectorELNS0_4arch9wavefront6targetE1EEEvT1_
    .private_segment_fixed_size: 0
    .sgpr_count:     4
    .sgpr_spill_count: 0
    .symbol:         _ZN7rocprim17ROCPRIM_400000_NS6detail17trampoline_kernelINS0_14default_configENS1_25partition_config_selectorILNS1_17partition_subalgoE9EllbEEZZNS1_14partition_implILS5_9ELb0ES3_jPlS8_PNS0_10empty_typeENS0_5tupleIJS8_S9_EEENSB_IJS8_SA_EEENS0_18inequality_wrapperIZN2at6native12_GLOBAL__N_124unique_dim_cuda_templateIfEESt5tupleIJNSF_6TensorESK_SK_EERKSK_lbbbEUlllE0_EEPmJS9_EEE10hipError_tPvRmT3_T4_T5_T6_T7_T9_mT8_P12ihipStream_tbDpT10_ENKUlT_T0_E_clISt17integral_constantIbLb0EES1A_EEDaS15_S16_EUlS15_E_NS1_11comp_targetILNS1_3genE3ELNS1_11target_archE908ELNS1_3gpuE7ELNS1_3repE0EEENS1_30default_config_static_selectorELNS0_4arch9wavefront6targetE1EEEvT1_.kd
    .uniform_work_group_size: 1
    .uses_dynamic_stack: false
    .vgpr_count:     0
    .vgpr_spill_count: 0
    .wavefront_size: 64
  - .agpr_count:     0
    .args:
      - .offset:         0
        .size:           120
        .value_kind:     by_value
    .group_segment_fixed_size: 0
    .kernarg_segment_align: 8
    .kernarg_segment_size: 120
    .language:       OpenCL C
    .language_version:
      - 2
      - 0
    .max_flat_workgroup_size: 192
    .name:           _ZN7rocprim17ROCPRIM_400000_NS6detail17trampoline_kernelINS0_14default_configENS1_25partition_config_selectorILNS1_17partition_subalgoE9EllbEEZZNS1_14partition_implILS5_9ELb0ES3_jPlS8_PNS0_10empty_typeENS0_5tupleIJS8_S9_EEENSB_IJS8_SA_EEENS0_18inequality_wrapperIZN2at6native12_GLOBAL__N_124unique_dim_cuda_templateIfEESt5tupleIJNSF_6TensorESK_SK_EERKSK_lbbbEUlllE0_EEPmJS9_EEE10hipError_tPvRmT3_T4_T5_T6_T7_T9_mT8_P12ihipStream_tbDpT10_ENKUlT_T0_E_clISt17integral_constantIbLb0EES1A_EEDaS15_S16_EUlS15_E_NS1_11comp_targetILNS1_3genE2ELNS1_11target_archE906ELNS1_3gpuE6ELNS1_3repE0EEENS1_30default_config_static_selectorELNS0_4arch9wavefront6targetE1EEEvT1_
    .private_segment_fixed_size: 0
    .sgpr_count:     4
    .sgpr_spill_count: 0
    .symbol:         _ZN7rocprim17ROCPRIM_400000_NS6detail17trampoline_kernelINS0_14default_configENS1_25partition_config_selectorILNS1_17partition_subalgoE9EllbEEZZNS1_14partition_implILS5_9ELb0ES3_jPlS8_PNS0_10empty_typeENS0_5tupleIJS8_S9_EEENSB_IJS8_SA_EEENS0_18inequality_wrapperIZN2at6native12_GLOBAL__N_124unique_dim_cuda_templateIfEESt5tupleIJNSF_6TensorESK_SK_EERKSK_lbbbEUlllE0_EEPmJS9_EEE10hipError_tPvRmT3_T4_T5_T6_T7_T9_mT8_P12ihipStream_tbDpT10_ENKUlT_T0_E_clISt17integral_constantIbLb0EES1A_EEDaS15_S16_EUlS15_E_NS1_11comp_targetILNS1_3genE2ELNS1_11target_archE906ELNS1_3gpuE6ELNS1_3repE0EEENS1_30default_config_static_selectorELNS0_4arch9wavefront6targetE1EEEvT1_.kd
    .uniform_work_group_size: 1
    .uses_dynamic_stack: false
    .vgpr_count:     0
    .vgpr_spill_count: 0
    .wavefront_size: 64
  - .agpr_count:     0
    .args:
      - .offset:         0
        .size:           120
        .value_kind:     by_value
    .group_segment_fixed_size: 0
    .kernarg_segment_align: 8
    .kernarg_segment_size: 120
    .language:       OpenCL C
    .language_version:
      - 2
      - 0
    .max_flat_workgroup_size: 384
    .name:           _ZN7rocprim17ROCPRIM_400000_NS6detail17trampoline_kernelINS0_14default_configENS1_25partition_config_selectorILNS1_17partition_subalgoE9EllbEEZZNS1_14partition_implILS5_9ELb0ES3_jPlS8_PNS0_10empty_typeENS0_5tupleIJS8_S9_EEENSB_IJS8_SA_EEENS0_18inequality_wrapperIZN2at6native12_GLOBAL__N_124unique_dim_cuda_templateIfEESt5tupleIJNSF_6TensorESK_SK_EERKSK_lbbbEUlllE0_EEPmJS9_EEE10hipError_tPvRmT3_T4_T5_T6_T7_T9_mT8_P12ihipStream_tbDpT10_ENKUlT_T0_E_clISt17integral_constantIbLb0EES1A_EEDaS15_S16_EUlS15_E_NS1_11comp_targetILNS1_3genE10ELNS1_11target_archE1200ELNS1_3gpuE4ELNS1_3repE0EEENS1_30default_config_static_selectorELNS0_4arch9wavefront6targetE1EEEvT1_
    .private_segment_fixed_size: 0
    .sgpr_count:     4
    .sgpr_spill_count: 0
    .symbol:         _ZN7rocprim17ROCPRIM_400000_NS6detail17trampoline_kernelINS0_14default_configENS1_25partition_config_selectorILNS1_17partition_subalgoE9EllbEEZZNS1_14partition_implILS5_9ELb0ES3_jPlS8_PNS0_10empty_typeENS0_5tupleIJS8_S9_EEENSB_IJS8_SA_EEENS0_18inequality_wrapperIZN2at6native12_GLOBAL__N_124unique_dim_cuda_templateIfEESt5tupleIJNSF_6TensorESK_SK_EERKSK_lbbbEUlllE0_EEPmJS9_EEE10hipError_tPvRmT3_T4_T5_T6_T7_T9_mT8_P12ihipStream_tbDpT10_ENKUlT_T0_E_clISt17integral_constantIbLb0EES1A_EEDaS15_S16_EUlS15_E_NS1_11comp_targetILNS1_3genE10ELNS1_11target_archE1200ELNS1_3gpuE4ELNS1_3repE0EEENS1_30default_config_static_selectorELNS0_4arch9wavefront6targetE1EEEvT1_.kd
    .uniform_work_group_size: 1
    .uses_dynamic_stack: false
    .vgpr_count:     0
    .vgpr_spill_count: 0
    .wavefront_size: 64
  - .agpr_count:     0
    .args:
      - .offset:         0
        .size:           120
        .value_kind:     by_value
    .group_segment_fixed_size: 0
    .kernarg_segment_align: 8
    .kernarg_segment_size: 120
    .language:       OpenCL C
    .language_version:
      - 2
      - 0
    .max_flat_workgroup_size: 512
    .name:           _ZN7rocprim17ROCPRIM_400000_NS6detail17trampoline_kernelINS0_14default_configENS1_25partition_config_selectorILNS1_17partition_subalgoE9EllbEEZZNS1_14partition_implILS5_9ELb0ES3_jPlS8_PNS0_10empty_typeENS0_5tupleIJS8_S9_EEENSB_IJS8_SA_EEENS0_18inequality_wrapperIZN2at6native12_GLOBAL__N_124unique_dim_cuda_templateIfEESt5tupleIJNSF_6TensorESK_SK_EERKSK_lbbbEUlllE0_EEPmJS9_EEE10hipError_tPvRmT3_T4_T5_T6_T7_T9_mT8_P12ihipStream_tbDpT10_ENKUlT_T0_E_clISt17integral_constantIbLb0EES1A_EEDaS15_S16_EUlS15_E_NS1_11comp_targetILNS1_3genE9ELNS1_11target_archE1100ELNS1_3gpuE3ELNS1_3repE0EEENS1_30default_config_static_selectorELNS0_4arch9wavefront6targetE1EEEvT1_
    .private_segment_fixed_size: 0
    .sgpr_count:     4
    .sgpr_spill_count: 0
    .symbol:         _ZN7rocprim17ROCPRIM_400000_NS6detail17trampoline_kernelINS0_14default_configENS1_25partition_config_selectorILNS1_17partition_subalgoE9EllbEEZZNS1_14partition_implILS5_9ELb0ES3_jPlS8_PNS0_10empty_typeENS0_5tupleIJS8_S9_EEENSB_IJS8_SA_EEENS0_18inequality_wrapperIZN2at6native12_GLOBAL__N_124unique_dim_cuda_templateIfEESt5tupleIJNSF_6TensorESK_SK_EERKSK_lbbbEUlllE0_EEPmJS9_EEE10hipError_tPvRmT3_T4_T5_T6_T7_T9_mT8_P12ihipStream_tbDpT10_ENKUlT_T0_E_clISt17integral_constantIbLb0EES1A_EEDaS15_S16_EUlS15_E_NS1_11comp_targetILNS1_3genE9ELNS1_11target_archE1100ELNS1_3gpuE3ELNS1_3repE0EEENS1_30default_config_static_selectorELNS0_4arch9wavefront6targetE1EEEvT1_.kd
    .uniform_work_group_size: 1
    .uses_dynamic_stack: false
    .vgpr_count:     0
    .vgpr_spill_count: 0
    .wavefront_size: 64
  - .agpr_count:     0
    .args:
      - .offset:         0
        .size:           120
        .value_kind:     by_value
    .group_segment_fixed_size: 0
    .kernarg_segment_align: 8
    .kernarg_segment_size: 120
    .language:       OpenCL C
    .language_version:
      - 2
      - 0
    .max_flat_workgroup_size: 512
    .name:           _ZN7rocprim17ROCPRIM_400000_NS6detail17trampoline_kernelINS0_14default_configENS1_25partition_config_selectorILNS1_17partition_subalgoE9EllbEEZZNS1_14partition_implILS5_9ELb0ES3_jPlS8_PNS0_10empty_typeENS0_5tupleIJS8_S9_EEENSB_IJS8_SA_EEENS0_18inequality_wrapperIZN2at6native12_GLOBAL__N_124unique_dim_cuda_templateIfEESt5tupleIJNSF_6TensorESK_SK_EERKSK_lbbbEUlllE0_EEPmJS9_EEE10hipError_tPvRmT3_T4_T5_T6_T7_T9_mT8_P12ihipStream_tbDpT10_ENKUlT_T0_E_clISt17integral_constantIbLb0EES1A_EEDaS15_S16_EUlS15_E_NS1_11comp_targetILNS1_3genE8ELNS1_11target_archE1030ELNS1_3gpuE2ELNS1_3repE0EEENS1_30default_config_static_selectorELNS0_4arch9wavefront6targetE1EEEvT1_
    .private_segment_fixed_size: 0
    .sgpr_count:     4
    .sgpr_spill_count: 0
    .symbol:         _ZN7rocprim17ROCPRIM_400000_NS6detail17trampoline_kernelINS0_14default_configENS1_25partition_config_selectorILNS1_17partition_subalgoE9EllbEEZZNS1_14partition_implILS5_9ELb0ES3_jPlS8_PNS0_10empty_typeENS0_5tupleIJS8_S9_EEENSB_IJS8_SA_EEENS0_18inequality_wrapperIZN2at6native12_GLOBAL__N_124unique_dim_cuda_templateIfEESt5tupleIJNSF_6TensorESK_SK_EERKSK_lbbbEUlllE0_EEPmJS9_EEE10hipError_tPvRmT3_T4_T5_T6_T7_T9_mT8_P12ihipStream_tbDpT10_ENKUlT_T0_E_clISt17integral_constantIbLb0EES1A_EEDaS15_S16_EUlS15_E_NS1_11comp_targetILNS1_3genE8ELNS1_11target_archE1030ELNS1_3gpuE2ELNS1_3repE0EEENS1_30default_config_static_selectorELNS0_4arch9wavefront6targetE1EEEvT1_.kd
    .uniform_work_group_size: 1
    .uses_dynamic_stack: false
    .vgpr_count:     0
    .vgpr_spill_count: 0
    .wavefront_size: 64
  - .agpr_count:     0
    .args:
      - .offset:         0
        .size:           136
        .value_kind:     by_value
    .group_segment_fixed_size: 0
    .kernarg_segment_align: 8
    .kernarg_segment_size: 136
    .language:       OpenCL C
    .language_version:
      - 2
      - 0
    .max_flat_workgroup_size: 128
    .name:           _ZN7rocprim17ROCPRIM_400000_NS6detail17trampoline_kernelINS0_14default_configENS1_25partition_config_selectorILNS1_17partition_subalgoE9EllbEEZZNS1_14partition_implILS5_9ELb0ES3_jPlS8_PNS0_10empty_typeENS0_5tupleIJS8_S9_EEENSB_IJS8_SA_EEENS0_18inequality_wrapperIZN2at6native12_GLOBAL__N_124unique_dim_cuda_templateIfEESt5tupleIJNSF_6TensorESK_SK_EERKSK_lbbbEUlllE0_EEPmJS9_EEE10hipError_tPvRmT3_T4_T5_T6_T7_T9_mT8_P12ihipStream_tbDpT10_ENKUlT_T0_E_clISt17integral_constantIbLb1EES1A_EEDaS15_S16_EUlS15_E_NS1_11comp_targetILNS1_3genE0ELNS1_11target_archE4294967295ELNS1_3gpuE0ELNS1_3repE0EEENS1_30default_config_static_selectorELNS0_4arch9wavefront6targetE1EEEvT1_
    .private_segment_fixed_size: 0
    .sgpr_count:     4
    .sgpr_spill_count: 0
    .symbol:         _ZN7rocprim17ROCPRIM_400000_NS6detail17trampoline_kernelINS0_14default_configENS1_25partition_config_selectorILNS1_17partition_subalgoE9EllbEEZZNS1_14partition_implILS5_9ELb0ES3_jPlS8_PNS0_10empty_typeENS0_5tupleIJS8_S9_EEENSB_IJS8_SA_EEENS0_18inequality_wrapperIZN2at6native12_GLOBAL__N_124unique_dim_cuda_templateIfEESt5tupleIJNSF_6TensorESK_SK_EERKSK_lbbbEUlllE0_EEPmJS9_EEE10hipError_tPvRmT3_T4_T5_T6_T7_T9_mT8_P12ihipStream_tbDpT10_ENKUlT_T0_E_clISt17integral_constantIbLb1EES1A_EEDaS15_S16_EUlS15_E_NS1_11comp_targetILNS1_3genE0ELNS1_11target_archE4294967295ELNS1_3gpuE0ELNS1_3repE0EEENS1_30default_config_static_selectorELNS0_4arch9wavefront6targetE1EEEvT1_.kd
    .uniform_work_group_size: 1
    .uses_dynamic_stack: false
    .vgpr_count:     0
    .vgpr_spill_count: 0
    .wavefront_size: 64
  - .agpr_count:     0
    .args:
      - .offset:         0
        .size:           136
        .value_kind:     by_value
    .group_segment_fixed_size: 0
    .kernarg_segment_align: 8
    .kernarg_segment_size: 136
    .language:       OpenCL C
    .language_version:
      - 2
      - 0
    .max_flat_workgroup_size: 512
    .name:           _ZN7rocprim17ROCPRIM_400000_NS6detail17trampoline_kernelINS0_14default_configENS1_25partition_config_selectorILNS1_17partition_subalgoE9EllbEEZZNS1_14partition_implILS5_9ELb0ES3_jPlS8_PNS0_10empty_typeENS0_5tupleIJS8_S9_EEENSB_IJS8_SA_EEENS0_18inequality_wrapperIZN2at6native12_GLOBAL__N_124unique_dim_cuda_templateIfEESt5tupleIJNSF_6TensorESK_SK_EERKSK_lbbbEUlllE0_EEPmJS9_EEE10hipError_tPvRmT3_T4_T5_T6_T7_T9_mT8_P12ihipStream_tbDpT10_ENKUlT_T0_E_clISt17integral_constantIbLb1EES1A_EEDaS15_S16_EUlS15_E_NS1_11comp_targetILNS1_3genE5ELNS1_11target_archE942ELNS1_3gpuE9ELNS1_3repE0EEENS1_30default_config_static_selectorELNS0_4arch9wavefront6targetE1EEEvT1_
    .private_segment_fixed_size: 0
    .sgpr_count:     4
    .sgpr_spill_count: 0
    .symbol:         _ZN7rocprim17ROCPRIM_400000_NS6detail17trampoline_kernelINS0_14default_configENS1_25partition_config_selectorILNS1_17partition_subalgoE9EllbEEZZNS1_14partition_implILS5_9ELb0ES3_jPlS8_PNS0_10empty_typeENS0_5tupleIJS8_S9_EEENSB_IJS8_SA_EEENS0_18inequality_wrapperIZN2at6native12_GLOBAL__N_124unique_dim_cuda_templateIfEESt5tupleIJNSF_6TensorESK_SK_EERKSK_lbbbEUlllE0_EEPmJS9_EEE10hipError_tPvRmT3_T4_T5_T6_T7_T9_mT8_P12ihipStream_tbDpT10_ENKUlT_T0_E_clISt17integral_constantIbLb1EES1A_EEDaS15_S16_EUlS15_E_NS1_11comp_targetILNS1_3genE5ELNS1_11target_archE942ELNS1_3gpuE9ELNS1_3repE0EEENS1_30default_config_static_selectorELNS0_4arch9wavefront6targetE1EEEvT1_.kd
    .uniform_work_group_size: 1
    .uses_dynamic_stack: false
    .vgpr_count:     0
    .vgpr_spill_count: 0
    .wavefront_size: 64
  - .agpr_count:     0
    .args:
      - .offset:         0
        .size:           136
        .value_kind:     by_value
    .group_segment_fixed_size: 4236
    .kernarg_segment_align: 8
    .kernarg_segment_size: 136
    .language:       OpenCL C
    .language_version:
      - 2
      - 0
    .max_flat_workgroup_size: 128
    .name:           _ZN7rocprim17ROCPRIM_400000_NS6detail17trampoline_kernelINS0_14default_configENS1_25partition_config_selectorILNS1_17partition_subalgoE9EllbEEZZNS1_14partition_implILS5_9ELb0ES3_jPlS8_PNS0_10empty_typeENS0_5tupleIJS8_S9_EEENSB_IJS8_SA_EEENS0_18inequality_wrapperIZN2at6native12_GLOBAL__N_124unique_dim_cuda_templateIfEESt5tupleIJNSF_6TensorESK_SK_EERKSK_lbbbEUlllE0_EEPmJS9_EEE10hipError_tPvRmT3_T4_T5_T6_T7_T9_mT8_P12ihipStream_tbDpT10_ENKUlT_T0_E_clISt17integral_constantIbLb1EES1A_EEDaS15_S16_EUlS15_E_NS1_11comp_targetILNS1_3genE4ELNS1_11target_archE910ELNS1_3gpuE8ELNS1_3repE0EEENS1_30default_config_static_selectorELNS0_4arch9wavefront6targetE1EEEvT1_
    .private_segment_fixed_size: 0
    .sgpr_count:     56
    .sgpr_spill_count: 0
    .symbol:         _ZN7rocprim17ROCPRIM_400000_NS6detail17trampoline_kernelINS0_14default_configENS1_25partition_config_selectorILNS1_17partition_subalgoE9EllbEEZZNS1_14partition_implILS5_9ELb0ES3_jPlS8_PNS0_10empty_typeENS0_5tupleIJS8_S9_EEENSB_IJS8_SA_EEENS0_18inequality_wrapperIZN2at6native12_GLOBAL__N_124unique_dim_cuda_templateIfEESt5tupleIJNSF_6TensorESK_SK_EERKSK_lbbbEUlllE0_EEPmJS9_EEE10hipError_tPvRmT3_T4_T5_T6_T7_T9_mT8_P12ihipStream_tbDpT10_ENKUlT_T0_E_clISt17integral_constantIbLb1EES1A_EEDaS15_S16_EUlS15_E_NS1_11comp_targetILNS1_3genE4ELNS1_11target_archE910ELNS1_3gpuE8ELNS1_3repE0EEENS1_30default_config_static_selectorELNS0_4arch9wavefront6targetE1EEEvT1_.kd
    .uniform_work_group_size: 1
    .uses_dynamic_stack: false
    .vgpr_count:     50
    .vgpr_spill_count: 0
    .wavefront_size: 64
  - .agpr_count:     0
    .args:
      - .offset:         0
        .size:           136
        .value_kind:     by_value
    .group_segment_fixed_size: 0
    .kernarg_segment_align: 8
    .kernarg_segment_size: 136
    .language:       OpenCL C
    .language_version:
      - 2
      - 0
    .max_flat_workgroup_size: 128
    .name:           _ZN7rocprim17ROCPRIM_400000_NS6detail17trampoline_kernelINS0_14default_configENS1_25partition_config_selectorILNS1_17partition_subalgoE9EllbEEZZNS1_14partition_implILS5_9ELb0ES3_jPlS8_PNS0_10empty_typeENS0_5tupleIJS8_S9_EEENSB_IJS8_SA_EEENS0_18inequality_wrapperIZN2at6native12_GLOBAL__N_124unique_dim_cuda_templateIfEESt5tupleIJNSF_6TensorESK_SK_EERKSK_lbbbEUlllE0_EEPmJS9_EEE10hipError_tPvRmT3_T4_T5_T6_T7_T9_mT8_P12ihipStream_tbDpT10_ENKUlT_T0_E_clISt17integral_constantIbLb1EES1A_EEDaS15_S16_EUlS15_E_NS1_11comp_targetILNS1_3genE3ELNS1_11target_archE908ELNS1_3gpuE7ELNS1_3repE0EEENS1_30default_config_static_selectorELNS0_4arch9wavefront6targetE1EEEvT1_
    .private_segment_fixed_size: 0
    .sgpr_count:     4
    .sgpr_spill_count: 0
    .symbol:         _ZN7rocprim17ROCPRIM_400000_NS6detail17trampoline_kernelINS0_14default_configENS1_25partition_config_selectorILNS1_17partition_subalgoE9EllbEEZZNS1_14partition_implILS5_9ELb0ES3_jPlS8_PNS0_10empty_typeENS0_5tupleIJS8_S9_EEENSB_IJS8_SA_EEENS0_18inequality_wrapperIZN2at6native12_GLOBAL__N_124unique_dim_cuda_templateIfEESt5tupleIJNSF_6TensorESK_SK_EERKSK_lbbbEUlllE0_EEPmJS9_EEE10hipError_tPvRmT3_T4_T5_T6_T7_T9_mT8_P12ihipStream_tbDpT10_ENKUlT_T0_E_clISt17integral_constantIbLb1EES1A_EEDaS15_S16_EUlS15_E_NS1_11comp_targetILNS1_3genE3ELNS1_11target_archE908ELNS1_3gpuE7ELNS1_3repE0EEENS1_30default_config_static_selectorELNS0_4arch9wavefront6targetE1EEEvT1_.kd
    .uniform_work_group_size: 1
    .uses_dynamic_stack: false
    .vgpr_count:     0
    .vgpr_spill_count: 0
    .wavefront_size: 64
  - .agpr_count:     0
    .args:
      - .offset:         0
        .size:           136
        .value_kind:     by_value
    .group_segment_fixed_size: 0
    .kernarg_segment_align: 8
    .kernarg_segment_size: 136
    .language:       OpenCL C
    .language_version:
      - 2
      - 0
    .max_flat_workgroup_size: 192
    .name:           _ZN7rocprim17ROCPRIM_400000_NS6detail17trampoline_kernelINS0_14default_configENS1_25partition_config_selectorILNS1_17partition_subalgoE9EllbEEZZNS1_14partition_implILS5_9ELb0ES3_jPlS8_PNS0_10empty_typeENS0_5tupleIJS8_S9_EEENSB_IJS8_SA_EEENS0_18inequality_wrapperIZN2at6native12_GLOBAL__N_124unique_dim_cuda_templateIfEESt5tupleIJNSF_6TensorESK_SK_EERKSK_lbbbEUlllE0_EEPmJS9_EEE10hipError_tPvRmT3_T4_T5_T6_T7_T9_mT8_P12ihipStream_tbDpT10_ENKUlT_T0_E_clISt17integral_constantIbLb1EES1A_EEDaS15_S16_EUlS15_E_NS1_11comp_targetILNS1_3genE2ELNS1_11target_archE906ELNS1_3gpuE6ELNS1_3repE0EEENS1_30default_config_static_selectorELNS0_4arch9wavefront6targetE1EEEvT1_
    .private_segment_fixed_size: 0
    .sgpr_count:     4
    .sgpr_spill_count: 0
    .symbol:         _ZN7rocprim17ROCPRIM_400000_NS6detail17trampoline_kernelINS0_14default_configENS1_25partition_config_selectorILNS1_17partition_subalgoE9EllbEEZZNS1_14partition_implILS5_9ELb0ES3_jPlS8_PNS0_10empty_typeENS0_5tupleIJS8_S9_EEENSB_IJS8_SA_EEENS0_18inequality_wrapperIZN2at6native12_GLOBAL__N_124unique_dim_cuda_templateIfEESt5tupleIJNSF_6TensorESK_SK_EERKSK_lbbbEUlllE0_EEPmJS9_EEE10hipError_tPvRmT3_T4_T5_T6_T7_T9_mT8_P12ihipStream_tbDpT10_ENKUlT_T0_E_clISt17integral_constantIbLb1EES1A_EEDaS15_S16_EUlS15_E_NS1_11comp_targetILNS1_3genE2ELNS1_11target_archE906ELNS1_3gpuE6ELNS1_3repE0EEENS1_30default_config_static_selectorELNS0_4arch9wavefront6targetE1EEEvT1_.kd
    .uniform_work_group_size: 1
    .uses_dynamic_stack: false
    .vgpr_count:     0
    .vgpr_spill_count: 0
    .wavefront_size: 64
  - .agpr_count:     0
    .args:
      - .offset:         0
        .size:           136
        .value_kind:     by_value
    .group_segment_fixed_size: 0
    .kernarg_segment_align: 8
    .kernarg_segment_size: 136
    .language:       OpenCL C
    .language_version:
      - 2
      - 0
    .max_flat_workgroup_size: 384
    .name:           _ZN7rocprim17ROCPRIM_400000_NS6detail17trampoline_kernelINS0_14default_configENS1_25partition_config_selectorILNS1_17partition_subalgoE9EllbEEZZNS1_14partition_implILS5_9ELb0ES3_jPlS8_PNS0_10empty_typeENS0_5tupleIJS8_S9_EEENSB_IJS8_SA_EEENS0_18inequality_wrapperIZN2at6native12_GLOBAL__N_124unique_dim_cuda_templateIfEESt5tupleIJNSF_6TensorESK_SK_EERKSK_lbbbEUlllE0_EEPmJS9_EEE10hipError_tPvRmT3_T4_T5_T6_T7_T9_mT8_P12ihipStream_tbDpT10_ENKUlT_T0_E_clISt17integral_constantIbLb1EES1A_EEDaS15_S16_EUlS15_E_NS1_11comp_targetILNS1_3genE10ELNS1_11target_archE1200ELNS1_3gpuE4ELNS1_3repE0EEENS1_30default_config_static_selectorELNS0_4arch9wavefront6targetE1EEEvT1_
    .private_segment_fixed_size: 0
    .sgpr_count:     4
    .sgpr_spill_count: 0
    .symbol:         _ZN7rocprim17ROCPRIM_400000_NS6detail17trampoline_kernelINS0_14default_configENS1_25partition_config_selectorILNS1_17partition_subalgoE9EllbEEZZNS1_14partition_implILS5_9ELb0ES3_jPlS8_PNS0_10empty_typeENS0_5tupleIJS8_S9_EEENSB_IJS8_SA_EEENS0_18inequality_wrapperIZN2at6native12_GLOBAL__N_124unique_dim_cuda_templateIfEESt5tupleIJNSF_6TensorESK_SK_EERKSK_lbbbEUlllE0_EEPmJS9_EEE10hipError_tPvRmT3_T4_T5_T6_T7_T9_mT8_P12ihipStream_tbDpT10_ENKUlT_T0_E_clISt17integral_constantIbLb1EES1A_EEDaS15_S16_EUlS15_E_NS1_11comp_targetILNS1_3genE10ELNS1_11target_archE1200ELNS1_3gpuE4ELNS1_3repE0EEENS1_30default_config_static_selectorELNS0_4arch9wavefront6targetE1EEEvT1_.kd
    .uniform_work_group_size: 1
    .uses_dynamic_stack: false
    .vgpr_count:     0
    .vgpr_spill_count: 0
    .wavefront_size: 64
  - .agpr_count:     0
    .args:
      - .offset:         0
        .size:           136
        .value_kind:     by_value
    .group_segment_fixed_size: 0
    .kernarg_segment_align: 8
    .kernarg_segment_size: 136
    .language:       OpenCL C
    .language_version:
      - 2
      - 0
    .max_flat_workgroup_size: 512
    .name:           _ZN7rocprim17ROCPRIM_400000_NS6detail17trampoline_kernelINS0_14default_configENS1_25partition_config_selectorILNS1_17partition_subalgoE9EllbEEZZNS1_14partition_implILS5_9ELb0ES3_jPlS8_PNS0_10empty_typeENS0_5tupleIJS8_S9_EEENSB_IJS8_SA_EEENS0_18inequality_wrapperIZN2at6native12_GLOBAL__N_124unique_dim_cuda_templateIfEESt5tupleIJNSF_6TensorESK_SK_EERKSK_lbbbEUlllE0_EEPmJS9_EEE10hipError_tPvRmT3_T4_T5_T6_T7_T9_mT8_P12ihipStream_tbDpT10_ENKUlT_T0_E_clISt17integral_constantIbLb1EES1A_EEDaS15_S16_EUlS15_E_NS1_11comp_targetILNS1_3genE9ELNS1_11target_archE1100ELNS1_3gpuE3ELNS1_3repE0EEENS1_30default_config_static_selectorELNS0_4arch9wavefront6targetE1EEEvT1_
    .private_segment_fixed_size: 0
    .sgpr_count:     4
    .sgpr_spill_count: 0
    .symbol:         _ZN7rocprim17ROCPRIM_400000_NS6detail17trampoline_kernelINS0_14default_configENS1_25partition_config_selectorILNS1_17partition_subalgoE9EllbEEZZNS1_14partition_implILS5_9ELb0ES3_jPlS8_PNS0_10empty_typeENS0_5tupleIJS8_S9_EEENSB_IJS8_SA_EEENS0_18inequality_wrapperIZN2at6native12_GLOBAL__N_124unique_dim_cuda_templateIfEESt5tupleIJNSF_6TensorESK_SK_EERKSK_lbbbEUlllE0_EEPmJS9_EEE10hipError_tPvRmT3_T4_T5_T6_T7_T9_mT8_P12ihipStream_tbDpT10_ENKUlT_T0_E_clISt17integral_constantIbLb1EES1A_EEDaS15_S16_EUlS15_E_NS1_11comp_targetILNS1_3genE9ELNS1_11target_archE1100ELNS1_3gpuE3ELNS1_3repE0EEENS1_30default_config_static_selectorELNS0_4arch9wavefront6targetE1EEEvT1_.kd
    .uniform_work_group_size: 1
    .uses_dynamic_stack: false
    .vgpr_count:     0
    .vgpr_spill_count: 0
    .wavefront_size: 64
  - .agpr_count:     0
    .args:
      - .offset:         0
        .size:           136
        .value_kind:     by_value
    .group_segment_fixed_size: 0
    .kernarg_segment_align: 8
    .kernarg_segment_size: 136
    .language:       OpenCL C
    .language_version:
      - 2
      - 0
    .max_flat_workgroup_size: 512
    .name:           _ZN7rocprim17ROCPRIM_400000_NS6detail17trampoline_kernelINS0_14default_configENS1_25partition_config_selectorILNS1_17partition_subalgoE9EllbEEZZNS1_14partition_implILS5_9ELb0ES3_jPlS8_PNS0_10empty_typeENS0_5tupleIJS8_S9_EEENSB_IJS8_SA_EEENS0_18inequality_wrapperIZN2at6native12_GLOBAL__N_124unique_dim_cuda_templateIfEESt5tupleIJNSF_6TensorESK_SK_EERKSK_lbbbEUlllE0_EEPmJS9_EEE10hipError_tPvRmT3_T4_T5_T6_T7_T9_mT8_P12ihipStream_tbDpT10_ENKUlT_T0_E_clISt17integral_constantIbLb1EES1A_EEDaS15_S16_EUlS15_E_NS1_11comp_targetILNS1_3genE8ELNS1_11target_archE1030ELNS1_3gpuE2ELNS1_3repE0EEENS1_30default_config_static_selectorELNS0_4arch9wavefront6targetE1EEEvT1_
    .private_segment_fixed_size: 0
    .sgpr_count:     4
    .sgpr_spill_count: 0
    .symbol:         _ZN7rocprim17ROCPRIM_400000_NS6detail17trampoline_kernelINS0_14default_configENS1_25partition_config_selectorILNS1_17partition_subalgoE9EllbEEZZNS1_14partition_implILS5_9ELb0ES3_jPlS8_PNS0_10empty_typeENS0_5tupleIJS8_S9_EEENSB_IJS8_SA_EEENS0_18inequality_wrapperIZN2at6native12_GLOBAL__N_124unique_dim_cuda_templateIfEESt5tupleIJNSF_6TensorESK_SK_EERKSK_lbbbEUlllE0_EEPmJS9_EEE10hipError_tPvRmT3_T4_T5_T6_T7_T9_mT8_P12ihipStream_tbDpT10_ENKUlT_T0_E_clISt17integral_constantIbLb1EES1A_EEDaS15_S16_EUlS15_E_NS1_11comp_targetILNS1_3genE8ELNS1_11target_archE1030ELNS1_3gpuE2ELNS1_3repE0EEENS1_30default_config_static_selectorELNS0_4arch9wavefront6targetE1EEEvT1_.kd
    .uniform_work_group_size: 1
    .uses_dynamic_stack: false
    .vgpr_count:     0
    .vgpr_spill_count: 0
    .wavefront_size: 64
  - .agpr_count:     0
    .args:
      - .offset:         0
        .size:           120
        .value_kind:     by_value
    .group_segment_fixed_size: 0
    .kernarg_segment_align: 8
    .kernarg_segment_size: 120
    .language:       OpenCL C
    .language_version:
      - 2
      - 0
    .max_flat_workgroup_size: 128
    .name:           _ZN7rocprim17ROCPRIM_400000_NS6detail17trampoline_kernelINS0_14default_configENS1_25partition_config_selectorILNS1_17partition_subalgoE9EllbEEZZNS1_14partition_implILS5_9ELb0ES3_jPlS8_PNS0_10empty_typeENS0_5tupleIJS8_S9_EEENSB_IJS8_SA_EEENS0_18inequality_wrapperIZN2at6native12_GLOBAL__N_124unique_dim_cuda_templateIfEESt5tupleIJNSF_6TensorESK_SK_EERKSK_lbbbEUlllE0_EEPmJS9_EEE10hipError_tPvRmT3_T4_T5_T6_T7_T9_mT8_P12ihipStream_tbDpT10_ENKUlT_T0_E_clISt17integral_constantIbLb1EES19_IbLb0EEEEDaS15_S16_EUlS15_E_NS1_11comp_targetILNS1_3genE0ELNS1_11target_archE4294967295ELNS1_3gpuE0ELNS1_3repE0EEENS1_30default_config_static_selectorELNS0_4arch9wavefront6targetE1EEEvT1_
    .private_segment_fixed_size: 0
    .sgpr_count:     4
    .sgpr_spill_count: 0
    .symbol:         _ZN7rocprim17ROCPRIM_400000_NS6detail17trampoline_kernelINS0_14default_configENS1_25partition_config_selectorILNS1_17partition_subalgoE9EllbEEZZNS1_14partition_implILS5_9ELb0ES3_jPlS8_PNS0_10empty_typeENS0_5tupleIJS8_S9_EEENSB_IJS8_SA_EEENS0_18inequality_wrapperIZN2at6native12_GLOBAL__N_124unique_dim_cuda_templateIfEESt5tupleIJNSF_6TensorESK_SK_EERKSK_lbbbEUlllE0_EEPmJS9_EEE10hipError_tPvRmT3_T4_T5_T6_T7_T9_mT8_P12ihipStream_tbDpT10_ENKUlT_T0_E_clISt17integral_constantIbLb1EES19_IbLb0EEEEDaS15_S16_EUlS15_E_NS1_11comp_targetILNS1_3genE0ELNS1_11target_archE4294967295ELNS1_3gpuE0ELNS1_3repE0EEENS1_30default_config_static_selectorELNS0_4arch9wavefront6targetE1EEEvT1_.kd
    .uniform_work_group_size: 1
    .uses_dynamic_stack: false
    .vgpr_count:     0
    .vgpr_spill_count: 0
    .wavefront_size: 64
  - .agpr_count:     0
    .args:
      - .offset:         0
        .size:           120
        .value_kind:     by_value
    .group_segment_fixed_size: 0
    .kernarg_segment_align: 8
    .kernarg_segment_size: 120
    .language:       OpenCL C
    .language_version:
      - 2
      - 0
    .max_flat_workgroup_size: 512
    .name:           _ZN7rocprim17ROCPRIM_400000_NS6detail17trampoline_kernelINS0_14default_configENS1_25partition_config_selectorILNS1_17partition_subalgoE9EllbEEZZNS1_14partition_implILS5_9ELb0ES3_jPlS8_PNS0_10empty_typeENS0_5tupleIJS8_S9_EEENSB_IJS8_SA_EEENS0_18inequality_wrapperIZN2at6native12_GLOBAL__N_124unique_dim_cuda_templateIfEESt5tupleIJNSF_6TensorESK_SK_EERKSK_lbbbEUlllE0_EEPmJS9_EEE10hipError_tPvRmT3_T4_T5_T6_T7_T9_mT8_P12ihipStream_tbDpT10_ENKUlT_T0_E_clISt17integral_constantIbLb1EES19_IbLb0EEEEDaS15_S16_EUlS15_E_NS1_11comp_targetILNS1_3genE5ELNS1_11target_archE942ELNS1_3gpuE9ELNS1_3repE0EEENS1_30default_config_static_selectorELNS0_4arch9wavefront6targetE1EEEvT1_
    .private_segment_fixed_size: 0
    .sgpr_count:     4
    .sgpr_spill_count: 0
    .symbol:         _ZN7rocprim17ROCPRIM_400000_NS6detail17trampoline_kernelINS0_14default_configENS1_25partition_config_selectorILNS1_17partition_subalgoE9EllbEEZZNS1_14partition_implILS5_9ELb0ES3_jPlS8_PNS0_10empty_typeENS0_5tupleIJS8_S9_EEENSB_IJS8_SA_EEENS0_18inequality_wrapperIZN2at6native12_GLOBAL__N_124unique_dim_cuda_templateIfEESt5tupleIJNSF_6TensorESK_SK_EERKSK_lbbbEUlllE0_EEPmJS9_EEE10hipError_tPvRmT3_T4_T5_T6_T7_T9_mT8_P12ihipStream_tbDpT10_ENKUlT_T0_E_clISt17integral_constantIbLb1EES19_IbLb0EEEEDaS15_S16_EUlS15_E_NS1_11comp_targetILNS1_3genE5ELNS1_11target_archE942ELNS1_3gpuE9ELNS1_3repE0EEENS1_30default_config_static_selectorELNS0_4arch9wavefront6targetE1EEEvT1_.kd
    .uniform_work_group_size: 1
    .uses_dynamic_stack: false
    .vgpr_count:     0
    .vgpr_spill_count: 0
    .wavefront_size: 64
  - .agpr_count:     0
    .args:
      - .offset:         0
        .size:           120
        .value_kind:     by_value
    .group_segment_fixed_size: 4236
    .kernarg_segment_align: 8
    .kernarg_segment_size: 120
    .language:       OpenCL C
    .language_version:
      - 2
      - 0
    .max_flat_workgroup_size: 128
    .name:           _ZN7rocprim17ROCPRIM_400000_NS6detail17trampoline_kernelINS0_14default_configENS1_25partition_config_selectorILNS1_17partition_subalgoE9EllbEEZZNS1_14partition_implILS5_9ELb0ES3_jPlS8_PNS0_10empty_typeENS0_5tupleIJS8_S9_EEENSB_IJS8_SA_EEENS0_18inequality_wrapperIZN2at6native12_GLOBAL__N_124unique_dim_cuda_templateIfEESt5tupleIJNSF_6TensorESK_SK_EERKSK_lbbbEUlllE0_EEPmJS9_EEE10hipError_tPvRmT3_T4_T5_T6_T7_T9_mT8_P12ihipStream_tbDpT10_ENKUlT_T0_E_clISt17integral_constantIbLb1EES19_IbLb0EEEEDaS15_S16_EUlS15_E_NS1_11comp_targetILNS1_3genE4ELNS1_11target_archE910ELNS1_3gpuE8ELNS1_3repE0EEENS1_30default_config_static_selectorELNS0_4arch9wavefront6targetE1EEEvT1_
    .private_segment_fixed_size: 0
    .sgpr_count:     50
    .sgpr_spill_count: 0
    .symbol:         _ZN7rocprim17ROCPRIM_400000_NS6detail17trampoline_kernelINS0_14default_configENS1_25partition_config_selectorILNS1_17partition_subalgoE9EllbEEZZNS1_14partition_implILS5_9ELb0ES3_jPlS8_PNS0_10empty_typeENS0_5tupleIJS8_S9_EEENSB_IJS8_SA_EEENS0_18inequality_wrapperIZN2at6native12_GLOBAL__N_124unique_dim_cuda_templateIfEESt5tupleIJNSF_6TensorESK_SK_EERKSK_lbbbEUlllE0_EEPmJS9_EEE10hipError_tPvRmT3_T4_T5_T6_T7_T9_mT8_P12ihipStream_tbDpT10_ENKUlT_T0_E_clISt17integral_constantIbLb1EES19_IbLb0EEEEDaS15_S16_EUlS15_E_NS1_11comp_targetILNS1_3genE4ELNS1_11target_archE910ELNS1_3gpuE8ELNS1_3repE0EEENS1_30default_config_static_selectorELNS0_4arch9wavefront6targetE1EEEvT1_.kd
    .uniform_work_group_size: 1
    .uses_dynamic_stack: false
    .vgpr_count:     50
    .vgpr_spill_count: 0
    .wavefront_size: 64
  - .agpr_count:     0
    .args:
      - .offset:         0
        .size:           120
        .value_kind:     by_value
    .group_segment_fixed_size: 0
    .kernarg_segment_align: 8
    .kernarg_segment_size: 120
    .language:       OpenCL C
    .language_version:
      - 2
      - 0
    .max_flat_workgroup_size: 128
    .name:           _ZN7rocprim17ROCPRIM_400000_NS6detail17trampoline_kernelINS0_14default_configENS1_25partition_config_selectorILNS1_17partition_subalgoE9EllbEEZZNS1_14partition_implILS5_9ELb0ES3_jPlS8_PNS0_10empty_typeENS0_5tupleIJS8_S9_EEENSB_IJS8_SA_EEENS0_18inequality_wrapperIZN2at6native12_GLOBAL__N_124unique_dim_cuda_templateIfEESt5tupleIJNSF_6TensorESK_SK_EERKSK_lbbbEUlllE0_EEPmJS9_EEE10hipError_tPvRmT3_T4_T5_T6_T7_T9_mT8_P12ihipStream_tbDpT10_ENKUlT_T0_E_clISt17integral_constantIbLb1EES19_IbLb0EEEEDaS15_S16_EUlS15_E_NS1_11comp_targetILNS1_3genE3ELNS1_11target_archE908ELNS1_3gpuE7ELNS1_3repE0EEENS1_30default_config_static_selectorELNS0_4arch9wavefront6targetE1EEEvT1_
    .private_segment_fixed_size: 0
    .sgpr_count:     4
    .sgpr_spill_count: 0
    .symbol:         _ZN7rocprim17ROCPRIM_400000_NS6detail17trampoline_kernelINS0_14default_configENS1_25partition_config_selectorILNS1_17partition_subalgoE9EllbEEZZNS1_14partition_implILS5_9ELb0ES3_jPlS8_PNS0_10empty_typeENS0_5tupleIJS8_S9_EEENSB_IJS8_SA_EEENS0_18inequality_wrapperIZN2at6native12_GLOBAL__N_124unique_dim_cuda_templateIfEESt5tupleIJNSF_6TensorESK_SK_EERKSK_lbbbEUlllE0_EEPmJS9_EEE10hipError_tPvRmT3_T4_T5_T6_T7_T9_mT8_P12ihipStream_tbDpT10_ENKUlT_T0_E_clISt17integral_constantIbLb1EES19_IbLb0EEEEDaS15_S16_EUlS15_E_NS1_11comp_targetILNS1_3genE3ELNS1_11target_archE908ELNS1_3gpuE7ELNS1_3repE0EEENS1_30default_config_static_selectorELNS0_4arch9wavefront6targetE1EEEvT1_.kd
    .uniform_work_group_size: 1
    .uses_dynamic_stack: false
    .vgpr_count:     0
    .vgpr_spill_count: 0
    .wavefront_size: 64
  - .agpr_count:     0
    .args:
      - .offset:         0
        .size:           120
        .value_kind:     by_value
    .group_segment_fixed_size: 0
    .kernarg_segment_align: 8
    .kernarg_segment_size: 120
    .language:       OpenCL C
    .language_version:
      - 2
      - 0
    .max_flat_workgroup_size: 192
    .name:           _ZN7rocprim17ROCPRIM_400000_NS6detail17trampoline_kernelINS0_14default_configENS1_25partition_config_selectorILNS1_17partition_subalgoE9EllbEEZZNS1_14partition_implILS5_9ELb0ES3_jPlS8_PNS0_10empty_typeENS0_5tupleIJS8_S9_EEENSB_IJS8_SA_EEENS0_18inequality_wrapperIZN2at6native12_GLOBAL__N_124unique_dim_cuda_templateIfEESt5tupleIJNSF_6TensorESK_SK_EERKSK_lbbbEUlllE0_EEPmJS9_EEE10hipError_tPvRmT3_T4_T5_T6_T7_T9_mT8_P12ihipStream_tbDpT10_ENKUlT_T0_E_clISt17integral_constantIbLb1EES19_IbLb0EEEEDaS15_S16_EUlS15_E_NS1_11comp_targetILNS1_3genE2ELNS1_11target_archE906ELNS1_3gpuE6ELNS1_3repE0EEENS1_30default_config_static_selectorELNS0_4arch9wavefront6targetE1EEEvT1_
    .private_segment_fixed_size: 0
    .sgpr_count:     4
    .sgpr_spill_count: 0
    .symbol:         _ZN7rocprim17ROCPRIM_400000_NS6detail17trampoline_kernelINS0_14default_configENS1_25partition_config_selectorILNS1_17partition_subalgoE9EllbEEZZNS1_14partition_implILS5_9ELb0ES3_jPlS8_PNS0_10empty_typeENS0_5tupleIJS8_S9_EEENSB_IJS8_SA_EEENS0_18inequality_wrapperIZN2at6native12_GLOBAL__N_124unique_dim_cuda_templateIfEESt5tupleIJNSF_6TensorESK_SK_EERKSK_lbbbEUlllE0_EEPmJS9_EEE10hipError_tPvRmT3_T4_T5_T6_T7_T9_mT8_P12ihipStream_tbDpT10_ENKUlT_T0_E_clISt17integral_constantIbLb1EES19_IbLb0EEEEDaS15_S16_EUlS15_E_NS1_11comp_targetILNS1_3genE2ELNS1_11target_archE906ELNS1_3gpuE6ELNS1_3repE0EEENS1_30default_config_static_selectorELNS0_4arch9wavefront6targetE1EEEvT1_.kd
    .uniform_work_group_size: 1
    .uses_dynamic_stack: false
    .vgpr_count:     0
    .vgpr_spill_count: 0
    .wavefront_size: 64
  - .agpr_count:     0
    .args:
      - .offset:         0
        .size:           120
        .value_kind:     by_value
    .group_segment_fixed_size: 0
    .kernarg_segment_align: 8
    .kernarg_segment_size: 120
    .language:       OpenCL C
    .language_version:
      - 2
      - 0
    .max_flat_workgroup_size: 384
    .name:           _ZN7rocprim17ROCPRIM_400000_NS6detail17trampoline_kernelINS0_14default_configENS1_25partition_config_selectorILNS1_17partition_subalgoE9EllbEEZZNS1_14partition_implILS5_9ELb0ES3_jPlS8_PNS0_10empty_typeENS0_5tupleIJS8_S9_EEENSB_IJS8_SA_EEENS0_18inequality_wrapperIZN2at6native12_GLOBAL__N_124unique_dim_cuda_templateIfEESt5tupleIJNSF_6TensorESK_SK_EERKSK_lbbbEUlllE0_EEPmJS9_EEE10hipError_tPvRmT3_T4_T5_T6_T7_T9_mT8_P12ihipStream_tbDpT10_ENKUlT_T0_E_clISt17integral_constantIbLb1EES19_IbLb0EEEEDaS15_S16_EUlS15_E_NS1_11comp_targetILNS1_3genE10ELNS1_11target_archE1200ELNS1_3gpuE4ELNS1_3repE0EEENS1_30default_config_static_selectorELNS0_4arch9wavefront6targetE1EEEvT1_
    .private_segment_fixed_size: 0
    .sgpr_count:     4
    .sgpr_spill_count: 0
    .symbol:         _ZN7rocprim17ROCPRIM_400000_NS6detail17trampoline_kernelINS0_14default_configENS1_25partition_config_selectorILNS1_17partition_subalgoE9EllbEEZZNS1_14partition_implILS5_9ELb0ES3_jPlS8_PNS0_10empty_typeENS0_5tupleIJS8_S9_EEENSB_IJS8_SA_EEENS0_18inequality_wrapperIZN2at6native12_GLOBAL__N_124unique_dim_cuda_templateIfEESt5tupleIJNSF_6TensorESK_SK_EERKSK_lbbbEUlllE0_EEPmJS9_EEE10hipError_tPvRmT3_T4_T5_T6_T7_T9_mT8_P12ihipStream_tbDpT10_ENKUlT_T0_E_clISt17integral_constantIbLb1EES19_IbLb0EEEEDaS15_S16_EUlS15_E_NS1_11comp_targetILNS1_3genE10ELNS1_11target_archE1200ELNS1_3gpuE4ELNS1_3repE0EEENS1_30default_config_static_selectorELNS0_4arch9wavefront6targetE1EEEvT1_.kd
    .uniform_work_group_size: 1
    .uses_dynamic_stack: false
    .vgpr_count:     0
    .vgpr_spill_count: 0
    .wavefront_size: 64
  - .agpr_count:     0
    .args:
      - .offset:         0
        .size:           120
        .value_kind:     by_value
    .group_segment_fixed_size: 0
    .kernarg_segment_align: 8
    .kernarg_segment_size: 120
    .language:       OpenCL C
    .language_version:
      - 2
      - 0
    .max_flat_workgroup_size: 512
    .name:           _ZN7rocprim17ROCPRIM_400000_NS6detail17trampoline_kernelINS0_14default_configENS1_25partition_config_selectorILNS1_17partition_subalgoE9EllbEEZZNS1_14partition_implILS5_9ELb0ES3_jPlS8_PNS0_10empty_typeENS0_5tupleIJS8_S9_EEENSB_IJS8_SA_EEENS0_18inequality_wrapperIZN2at6native12_GLOBAL__N_124unique_dim_cuda_templateIfEESt5tupleIJNSF_6TensorESK_SK_EERKSK_lbbbEUlllE0_EEPmJS9_EEE10hipError_tPvRmT3_T4_T5_T6_T7_T9_mT8_P12ihipStream_tbDpT10_ENKUlT_T0_E_clISt17integral_constantIbLb1EES19_IbLb0EEEEDaS15_S16_EUlS15_E_NS1_11comp_targetILNS1_3genE9ELNS1_11target_archE1100ELNS1_3gpuE3ELNS1_3repE0EEENS1_30default_config_static_selectorELNS0_4arch9wavefront6targetE1EEEvT1_
    .private_segment_fixed_size: 0
    .sgpr_count:     4
    .sgpr_spill_count: 0
    .symbol:         _ZN7rocprim17ROCPRIM_400000_NS6detail17trampoline_kernelINS0_14default_configENS1_25partition_config_selectorILNS1_17partition_subalgoE9EllbEEZZNS1_14partition_implILS5_9ELb0ES3_jPlS8_PNS0_10empty_typeENS0_5tupleIJS8_S9_EEENSB_IJS8_SA_EEENS0_18inequality_wrapperIZN2at6native12_GLOBAL__N_124unique_dim_cuda_templateIfEESt5tupleIJNSF_6TensorESK_SK_EERKSK_lbbbEUlllE0_EEPmJS9_EEE10hipError_tPvRmT3_T4_T5_T6_T7_T9_mT8_P12ihipStream_tbDpT10_ENKUlT_T0_E_clISt17integral_constantIbLb1EES19_IbLb0EEEEDaS15_S16_EUlS15_E_NS1_11comp_targetILNS1_3genE9ELNS1_11target_archE1100ELNS1_3gpuE3ELNS1_3repE0EEENS1_30default_config_static_selectorELNS0_4arch9wavefront6targetE1EEEvT1_.kd
    .uniform_work_group_size: 1
    .uses_dynamic_stack: false
    .vgpr_count:     0
    .vgpr_spill_count: 0
    .wavefront_size: 64
  - .agpr_count:     0
    .args:
      - .offset:         0
        .size:           120
        .value_kind:     by_value
    .group_segment_fixed_size: 0
    .kernarg_segment_align: 8
    .kernarg_segment_size: 120
    .language:       OpenCL C
    .language_version:
      - 2
      - 0
    .max_flat_workgroup_size: 512
    .name:           _ZN7rocprim17ROCPRIM_400000_NS6detail17trampoline_kernelINS0_14default_configENS1_25partition_config_selectorILNS1_17partition_subalgoE9EllbEEZZNS1_14partition_implILS5_9ELb0ES3_jPlS8_PNS0_10empty_typeENS0_5tupleIJS8_S9_EEENSB_IJS8_SA_EEENS0_18inequality_wrapperIZN2at6native12_GLOBAL__N_124unique_dim_cuda_templateIfEESt5tupleIJNSF_6TensorESK_SK_EERKSK_lbbbEUlllE0_EEPmJS9_EEE10hipError_tPvRmT3_T4_T5_T6_T7_T9_mT8_P12ihipStream_tbDpT10_ENKUlT_T0_E_clISt17integral_constantIbLb1EES19_IbLb0EEEEDaS15_S16_EUlS15_E_NS1_11comp_targetILNS1_3genE8ELNS1_11target_archE1030ELNS1_3gpuE2ELNS1_3repE0EEENS1_30default_config_static_selectorELNS0_4arch9wavefront6targetE1EEEvT1_
    .private_segment_fixed_size: 0
    .sgpr_count:     4
    .sgpr_spill_count: 0
    .symbol:         _ZN7rocprim17ROCPRIM_400000_NS6detail17trampoline_kernelINS0_14default_configENS1_25partition_config_selectorILNS1_17partition_subalgoE9EllbEEZZNS1_14partition_implILS5_9ELb0ES3_jPlS8_PNS0_10empty_typeENS0_5tupleIJS8_S9_EEENSB_IJS8_SA_EEENS0_18inequality_wrapperIZN2at6native12_GLOBAL__N_124unique_dim_cuda_templateIfEESt5tupleIJNSF_6TensorESK_SK_EERKSK_lbbbEUlllE0_EEPmJS9_EEE10hipError_tPvRmT3_T4_T5_T6_T7_T9_mT8_P12ihipStream_tbDpT10_ENKUlT_T0_E_clISt17integral_constantIbLb1EES19_IbLb0EEEEDaS15_S16_EUlS15_E_NS1_11comp_targetILNS1_3genE8ELNS1_11target_archE1030ELNS1_3gpuE2ELNS1_3repE0EEENS1_30default_config_static_selectorELNS0_4arch9wavefront6targetE1EEEvT1_.kd
    .uniform_work_group_size: 1
    .uses_dynamic_stack: false
    .vgpr_count:     0
    .vgpr_spill_count: 0
    .wavefront_size: 64
  - .agpr_count:     0
    .args:
      - .offset:         0
        .size:           136
        .value_kind:     by_value
    .group_segment_fixed_size: 0
    .kernarg_segment_align: 8
    .kernarg_segment_size: 136
    .language:       OpenCL C
    .language_version:
      - 2
      - 0
    .max_flat_workgroup_size: 128
    .name:           _ZN7rocprim17ROCPRIM_400000_NS6detail17trampoline_kernelINS0_14default_configENS1_25partition_config_selectorILNS1_17partition_subalgoE9EllbEEZZNS1_14partition_implILS5_9ELb0ES3_jPlS8_PNS0_10empty_typeENS0_5tupleIJS8_S9_EEENSB_IJS8_SA_EEENS0_18inequality_wrapperIZN2at6native12_GLOBAL__N_124unique_dim_cuda_templateIfEESt5tupleIJNSF_6TensorESK_SK_EERKSK_lbbbEUlllE0_EEPmJS9_EEE10hipError_tPvRmT3_T4_T5_T6_T7_T9_mT8_P12ihipStream_tbDpT10_ENKUlT_T0_E_clISt17integral_constantIbLb0EES19_IbLb1EEEEDaS15_S16_EUlS15_E_NS1_11comp_targetILNS1_3genE0ELNS1_11target_archE4294967295ELNS1_3gpuE0ELNS1_3repE0EEENS1_30default_config_static_selectorELNS0_4arch9wavefront6targetE1EEEvT1_
    .private_segment_fixed_size: 0
    .sgpr_count:     4
    .sgpr_spill_count: 0
    .symbol:         _ZN7rocprim17ROCPRIM_400000_NS6detail17trampoline_kernelINS0_14default_configENS1_25partition_config_selectorILNS1_17partition_subalgoE9EllbEEZZNS1_14partition_implILS5_9ELb0ES3_jPlS8_PNS0_10empty_typeENS0_5tupleIJS8_S9_EEENSB_IJS8_SA_EEENS0_18inequality_wrapperIZN2at6native12_GLOBAL__N_124unique_dim_cuda_templateIfEESt5tupleIJNSF_6TensorESK_SK_EERKSK_lbbbEUlllE0_EEPmJS9_EEE10hipError_tPvRmT3_T4_T5_T6_T7_T9_mT8_P12ihipStream_tbDpT10_ENKUlT_T0_E_clISt17integral_constantIbLb0EES19_IbLb1EEEEDaS15_S16_EUlS15_E_NS1_11comp_targetILNS1_3genE0ELNS1_11target_archE4294967295ELNS1_3gpuE0ELNS1_3repE0EEENS1_30default_config_static_selectorELNS0_4arch9wavefront6targetE1EEEvT1_.kd
    .uniform_work_group_size: 1
    .uses_dynamic_stack: false
    .vgpr_count:     0
    .vgpr_spill_count: 0
    .wavefront_size: 64
  - .agpr_count:     0
    .args:
      - .offset:         0
        .size:           136
        .value_kind:     by_value
    .group_segment_fixed_size: 0
    .kernarg_segment_align: 8
    .kernarg_segment_size: 136
    .language:       OpenCL C
    .language_version:
      - 2
      - 0
    .max_flat_workgroup_size: 512
    .name:           _ZN7rocprim17ROCPRIM_400000_NS6detail17trampoline_kernelINS0_14default_configENS1_25partition_config_selectorILNS1_17partition_subalgoE9EllbEEZZNS1_14partition_implILS5_9ELb0ES3_jPlS8_PNS0_10empty_typeENS0_5tupleIJS8_S9_EEENSB_IJS8_SA_EEENS0_18inequality_wrapperIZN2at6native12_GLOBAL__N_124unique_dim_cuda_templateIfEESt5tupleIJNSF_6TensorESK_SK_EERKSK_lbbbEUlllE0_EEPmJS9_EEE10hipError_tPvRmT3_T4_T5_T6_T7_T9_mT8_P12ihipStream_tbDpT10_ENKUlT_T0_E_clISt17integral_constantIbLb0EES19_IbLb1EEEEDaS15_S16_EUlS15_E_NS1_11comp_targetILNS1_3genE5ELNS1_11target_archE942ELNS1_3gpuE9ELNS1_3repE0EEENS1_30default_config_static_selectorELNS0_4arch9wavefront6targetE1EEEvT1_
    .private_segment_fixed_size: 0
    .sgpr_count:     4
    .sgpr_spill_count: 0
    .symbol:         _ZN7rocprim17ROCPRIM_400000_NS6detail17trampoline_kernelINS0_14default_configENS1_25partition_config_selectorILNS1_17partition_subalgoE9EllbEEZZNS1_14partition_implILS5_9ELb0ES3_jPlS8_PNS0_10empty_typeENS0_5tupleIJS8_S9_EEENSB_IJS8_SA_EEENS0_18inequality_wrapperIZN2at6native12_GLOBAL__N_124unique_dim_cuda_templateIfEESt5tupleIJNSF_6TensorESK_SK_EERKSK_lbbbEUlllE0_EEPmJS9_EEE10hipError_tPvRmT3_T4_T5_T6_T7_T9_mT8_P12ihipStream_tbDpT10_ENKUlT_T0_E_clISt17integral_constantIbLb0EES19_IbLb1EEEEDaS15_S16_EUlS15_E_NS1_11comp_targetILNS1_3genE5ELNS1_11target_archE942ELNS1_3gpuE9ELNS1_3repE0EEENS1_30default_config_static_selectorELNS0_4arch9wavefront6targetE1EEEvT1_.kd
    .uniform_work_group_size: 1
    .uses_dynamic_stack: false
    .vgpr_count:     0
    .vgpr_spill_count: 0
    .wavefront_size: 64
  - .agpr_count:     0
    .args:
      - .offset:         0
        .size:           136
        .value_kind:     by_value
    .group_segment_fixed_size: 4236
    .kernarg_segment_align: 8
    .kernarg_segment_size: 136
    .language:       OpenCL C
    .language_version:
      - 2
      - 0
    .max_flat_workgroup_size: 128
    .name:           _ZN7rocprim17ROCPRIM_400000_NS6detail17trampoline_kernelINS0_14default_configENS1_25partition_config_selectorILNS1_17partition_subalgoE9EllbEEZZNS1_14partition_implILS5_9ELb0ES3_jPlS8_PNS0_10empty_typeENS0_5tupleIJS8_S9_EEENSB_IJS8_SA_EEENS0_18inequality_wrapperIZN2at6native12_GLOBAL__N_124unique_dim_cuda_templateIfEESt5tupleIJNSF_6TensorESK_SK_EERKSK_lbbbEUlllE0_EEPmJS9_EEE10hipError_tPvRmT3_T4_T5_T6_T7_T9_mT8_P12ihipStream_tbDpT10_ENKUlT_T0_E_clISt17integral_constantIbLb0EES19_IbLb1EEEEDaS15_S16_EUlS15_E_NS1_11comp_targetILNS1_3genE4ELNS1_11target_archE910ELNS1_3gpuE8ELNS1_3repE0EEENS1_30default_config_static_selectorELNS0_4arch9wavefront6targetE1EEEvT1_
    .private_segment_fixed_size: 0
    .sgpr_count:     56
    .sgpr_spill_count: 0
    .symbol:         _ZN7rocprim17ROCPRIM_400000_NS6detail17trampoline_kernelINS0_14default_configENS1_25partition_config_selectorILNS1_17partition_subalgoE9EllbEEZZNS1_14partition_implILS5_9ELb0ES3_jPlS8_PNS0_10empty_typeENS0_5tupleIJS8_S9_EEENSB_IJS8_SA_EEENS0_18inequality_wrapperIZN2at6native12_GLOBAL__N_124unique_dim_cuda_templateIfEESt5tupleIJNSF_6TensorESK_SK_EERKSK_lbbbEUlllE0_EEPmJS9_EEE10hipError_tPvRmT3_T4_T5_T6_T7_T9_mT8_P12ihipStream_tbDpT10_ENKUlT_T0_E_clISt17integral_constantIbLb0EES19_IbLb1EEEEDaS15_S16_EUlS15_E_NS1_11comp_targetILNS1_3genE4ELNS1_11target_archE910ELNS1_3gpuE8ELNS1_3repE0EEENS1_30default_config_static_selectorELNS0_4arch9wavefront6targetE1EEEvT1_.kd
    .uniform_work_group_size: 1
    .uses_dynamic_stack: false
    .vgpr_count:     50
    .vgpr_spill_count: 0
    .wavefront_size: 64
  - .agpr_count:     0
    .args:
      - .offset:         0
        .size:           136
        .value_kind:     by_value
    .group_segment_fixed_size: 0
    .kernarg_segment_align: 8
    .kernarg_segment_size: 136
    .language:       OpenCL C
    .language_version:
      - 2
      - 0
    .max_flat_workgroup_size: 128
    .name:           _ZN7rocprim17ROCPRIM_400000_NS6detail17trampoline_kernelINS0_14default_configENS1_25partition_config_selectorILNS1_17partition_subalgoE9EllbEEZZNS1_14partition_implILS5_9ELb0ES3_jPlS8_PNS0_10empty_typeENS0_5tupleIJS8_S9_EEENSB_IJS8_SA_EEENS0_18inequality_wrapperIZN2at6native12_GLOBAL__N_124unique_dim_cuda_templateIfEESt5tupleIJNSF_6TensorESK_SK_EERKSK_lbbbEUlllE0_EEPmJS9_EEE10hipError_tPvRmT3_T4_T5_T6_T7_T9_mT8_P12ihipStream_tbDpT10_ENKUlT_T0_E_clISt17integral_constantIbLb0EES19_IbLb1EEEEDaS15_S16_EUlS15_E_NS1_11comp_targetILNS1_3genE3ELNS1_11target_archE908ELNS1_3gpuE7ELNS1_3repE0EEENS1_30default_config_static_selectorELNS0_4arch9wavefront6targetE1EEEvT1_
    .private_segment_fixed_size: 0
    .sgpr_count:     4
    .sgpr_spill_count: 0
    .symbol:         _ZN7rocprim17ROCPRIM_400000_NS6detail17trampoline_kernelINS0_14default_configENS1_25partition_config_selectorILNS1_17partition_subalgoE9EllbEEZZNS1_14partition_implILS5_9ELb0ES3_jPlS8_PNS0_10empty_typeENS0_5tupleIJS8_S9_EEENSB_IJS8_SA_EEENS0_18inequality_wrapperIZN2at6native12_GLOBAL__N_124unique_dim_cuda_templateIfEESt5tupleIJNSF_6TensorESK_SK_EERKSK_lbbbEUlllE0_EEPmJS9_EEE10hipError_tPvRmT3_T4_T5_T6_T7_T9_mT8_P12ihipStream_tbDpT10_ENKUlT_T0_E_clISt17integral_constantIbLb0EES19_IbLb1EEEEDaS15_S16_EUlS15_E_NS1_11comp_targetILNS1_3genE3ELNS1_11target_archE908ELNS1_3gpuE7ELNS1_3repE0EEENS1_30default_config_static_selectorELNS0_4arch9wavefront6targetE1EEEvT1_.kd
    .uniform_work_group_size: 1
    .uses_dynamic_stack: false
    .vgpr_count:     0
    .vgpr_spill_count: 0
    .wavefront_size: 64
  - .agpr_count:     0
    .args:
      - .offset:         0
        .size:           136
        .value_kind:     by_value
    .group_segment_fixed_size: 0
    .kernarg_segment_align: 8
    .kernarg_segment_size: 136
    .language:       OpenCL C
    .language_version:
      - 2
      - 0
    .max_flat_workgroup_size: 192
    .name:           _ZN7rocprim17ROCPRIM_400000_NS6detail17trampoline_kernelINS0_14default_configENS1_25partition_config_selectorILNS1_17partition_subalgoE9EllbEEZZNS1_14partition_implILS5_9ELb0ES3_jPlS8_PNS0_10empty_typeENS0_5tupleIJS8_S9_EEENSB_IJS8_SA_EEENS0_18inequality_wrapperIZN2at6native12_GLOBAL__N_124unique_dim_cuda_templateIfEESt5tupleIJNSF_6TensorESK_SK_EERKSK_lbbbEUlllE0_EEPmJS9_EEE10hipError_tPvRmT3_T4_T5_T6_T7_T9_mT8_P12ihipStream_tbDpT10_ENKUlT_T0_E_clISt17integral_constantIbLb0EES19_IbLb1EEEEDaS15_S16_EUlS15_E_NS1_11comp_targetILNS1_3genE2ELNS1_11target_archE906ELNS1_3gpuE6ELNS1_3repE0EEENS1_30default_config_static_selectorELNS0_4arch9wavefront6targetE1EEEvT1_
    .private_segment_fixed_size: 0
    .sgpr_count:     4
    .sgpr_spill_count: 0
    .symbol:         _ZN7rocprim17ROCPRIM_400000_NS6detail17trampoline_kernelINS0_14default_configENS1_25partition_config_selectorILNS1_17partition_subalgoE9EllbEEZZNS1_14partition_implILS5_9ELb0ES3_jPlS8_PNS0_10empty_typeENS0_5tupleIJS8_S9_EEENSB_IJS8_SA_EEENS0_18inequality_wrapperIZN2at6native12_GLOBAL__N_124unique_dim_cuda_templateIfEESt5tupleIJNSF_6TensorESK_SK_EERKSK_lbbbEUlllE0_EEPmJS9_EEE10hipError_tPvRmT3_T4_T5_T6_T7_T9_mT8_P12ihipStream_tbDpT10_ENKUlT_T0_E_clISt17integral_constantIbLb0EES19_IbLb1EEEEDaS15_S16_EUlS15_E_NS1_11comp_targetILNS1_3genE2ELNS1_11target_archE906ELNS1_3gpuE6ELNS1_3repE0EEENS1_30default_config_static_selectorELNS0_4arch9wavefront6targetE1EEEvT1_.kd
    .uniform_work_group_size: 1
    .uses_dynamic_stack: false
    .vgpr_count:     0
    .vgpr_spill_count: 0
    .wavefront_size: 64
  - .agpr_count:     0
    .args:
      - .offset:         0
        .size:           136
        .value_kind:     by_value
    .group_segment_fixed_size: 0
    .kernarg_segment_align: 8
    .kernarg_segment_size: 136
    .language:       OpenCL C
    .language_version:
      - 2
      - 0
    .max_flat_workgroup_size: 384
    .name:           _ZN7rocprim17ROCPRIM_400000_NS6detail17trampoline_kernelINS0_14default_configENS1_25partition_config_selectorILNS1_17partition_subalgoE9EllbEEZZNS1_14partition_implILS5_9ELb0ES3_jPlS8_PNS0_10empty_typeENS0_5tupleIJS8_S9_EEENSB_IJS8_SA_EEENS0_18inequality_wrapperIZN2at6native12_GLOBAL__N_124unique_dim_cuda_templateIfEESt5tupleIJNSF_6TensorESK_SK_EERKSK_lbbbEUlllE0_EEPmJS9_EEE10hipError_tPvRmT3_T4_T5_T6_T7_T9_mT8_P12ihipStream_tbDpT10_ENKUlT_T0_E_clISt17integral_constantIbLb0EES19_IbLb1EEEEDaS15_S16_EUlS15_E_NS1_11comp_targetILNS1_3genE10ELNS1_11target_archE1200ELNS1_3gpuE4ELNS1_3repE0EEENS1_30default_config_static_selectorELNS0_4arch9wavefront6targetE1EEEvT1_
    .private_segment_fixed_size: 0
    .sgpr_count:     4
    .sgpr_spill_count: 0
    .symbol:         _ZN7rocprim17ROCPRIM_400000_NS6detail17trampoline_kernelINS0_14default_configENS1_25partition_config_selectorILNS1_17partition_subalgoE9EllbEEZZNS1_14partition_implILS5_9ELb0ES3_jPlS8_PNS0_10empty_typeENS0_5tupleIJS8_S9_EEENSB_IJS8_SA_EEENS0_18inequality_wrapperIZN2at6native12_GLOBAL__N_124unique_dim_cuda_templateIfEESt5tupleIJNSF_6TensorESK_SK_EERKSK_lbbbEUlllE0_EEPmJS9_EEE10hipError_tPvRmT3_T4_T5_T6_T7_T9_mT8_P12ihipStream_tbDpT10_ENKUlT_T0_E_clISt17integral_constantIbLb0EES19_IbLb1EEEEDaS15_S16_EUlS15_E_NS1_11comp_targetILNS1_3genE10ELNS1_11target_archE1200ELNS1_3gpuE4ELNS1_3repE0EEENS1_30default_config_static_selectorELNS0_4arch9wavefront6targetE1EEEvT1_.kd
    .uniform_work_group_size: 1
    .uses_dynamic_stack: false
    .vgpr_count:     0
    .vgpr_spill_count: 0
    .wavefront_size: 64
  - .agpr_count:     0
    .args:
      - .offset:         0
        .size:           136
        .value_kind:     by_value
    .group_segment_fixed_size: 0
    .kernarg_segment_align: 8
    .kernarg_segment_size: 136
    .language:       OpenCL C
    .language_version:
      - 2
      - 0
    .max_flat_workgroup_size: 512
    .name:           _ZN7rocprim17ROCPRIM_400000_NS6detail17trampoline_kernelINS0_14default_configENS1_25partition_config_selectorILNS1_17partition_subalgoE9EllbEEZZNS1_14partition_implILS5_9ELb0ES3_jPlS8_PNS0_10empty_typeENS0_5tupleIJS8_S9_EEENSB_IJS8_SA_EEENS0_18inequality_wrapperIZN2at6native12_GLOBAL__N_124unique_dim_cuda_templateIfEESt5tupleIJNSF_6TensorESK_SK_EERKSK_lbbbEUlllE0_EEPmJS9_EEE10hipError_tPvRmT3_T4_T5_T6_T7_T9_mT8_P12ihipStream_tbDpT10_ENKUlT_T0_E_clISt17integral_constantIbLb0EES19_IbLb1EEEEDaS15_S16_EUlS15_E_NS1_11comp_targetILNS1_3genE9ELNS1_11target_archE1100ELNS1_3gpuE3ELNS1_3repE0EEENS1_30default_config_static_selectorELNS0_4arch9wavefront6targetE1EEEvT1_
    .private_segment_fixed_size: 0
    .sgpr_count:     4
    .sgpr_spill_count: 0
    .symbol:         _ZN7rocprim17ROCPRIM_400000_NS6detail17trampoline_kernelINS0_14default_configENS1_25partition_config_selectorILNS1_17partition_subalgoE9EllbEEZZNS1_14partition_implILS5_9ELb0ES3_jPlS8_PNS0_10empty_typeENS0_5tupleIJS8_S9_EEENSB_IJS8_SA_EEENS0_18inequality_wrapperIZN2at6native12_GLOBAL__N_124unique_dim_cuda_templateIfEESt5tupleIJNSF_6TensorESK_SK_EERKSK_lbbbEUlllE0_EEPmJS9_EEE10hipError_tPvRmT3_T4_T5_T6_T7_T9_mT8_P12ihipStream_tbDpT10_ENKUlT_T0_E_clISt17integral_constantIbLb0EES19_IbLb1EEEEDaS15_S16_EUlS15_E_NS1_11comp_targetILNS1_3genE9ELNS1_11target_archE1100ELNS1_3gpuE3ELNS1_3repE0EEENS1_30default_config_static_selectorELNS0_4arch9wavefront6targetE1EEEvT1_.kd
    .uniform_work_group_size: 1
    .uses_dynamic_stack: false
    .vgpr_count:     0
    .vgpr_spill_count: 0
    .wavefront_size: 64
  - .agpr_count:     0
    .args:
      - .offset:         0
        .size:           136
        .value_kind:     by_value
    .group_segment_fixed_size: 0
    .kernarg_segment_align: 8
    .kernarg_segment_size: 136
    .language:       OpenCL C
    .language_version:
      - 2
      - 0
    .max_flat_workgroup_size: 512
    .name:           _ZN7rocprim17ROCPRIM_400000_NS6detail17trampoline_kernelINS0_14default_configENS1_25partition_config_selectorILNS1_17partition_subalgoE9EllbEEZZNS1_14partition_implILS5_9ELb0ES3_jPlS8_PNS0_10empty_typeENS0_5tupleIJS8_S9_EEENSB_IJS8_SA_EEENS0_18inequality_wrapperIZN2at6native12_GLOBAL__N_124unique_dim_cuda_templateIfEESt5tupleIJNSF_6TensorESK_SK_EERKSK_lbbbEUlllE0_EEPmJS9_EEE10hipError_tPvRmT3_T4_T5_T6_T7_T9_mT8_P12ihipStream_tbDpT10_ENKUlT_T0_E_clISt17integral_constantIbLb0EES19_IbLb1EEEEDaS15_S16_EUlS15_E_NS1_11comp_targetILNS1_3genE8ELNS1_11target_archE1030ELNS1_3gpuE2ELNS1_3repE0EEENS1_30default_config_static_selectorELNS0_4arch9wavefront6targetE1EEEvT1_
    .private_segment_fixed_size: 0
    .sgpr_count:     4
    .sgpr_spill_count: 0
    .symbol:         _ZN7rocprim17ROCPRIM_400000_NS6detail17trampoline_kernelINS0_14default_configENS1_25partition_config_selectorILNS1_17partition_subalgoE9EllbEEZZNS1_14partition_implILS5_9ELb0ES3_jPlS8_PNS0_10empty_typeENS0_5tupleIJS8_S9_EEENSB_IJS8_SA_EEENS0_18inequality_wrapperIZN2at6native12_GLOBAL__N_124unique_dim_cuda_templateIfEESt5tupleIJNSF_6TensorESK_SK_EERKSK_lbbbEUlllE0_EEPmJS9_EEE10hipError_tPvRmT3_T4_T5_T6_T7_T9_mT8_P12ihipStream_tbDpT10_ENKUlT_T0_E_clISt17integral_constantIbLb0EES19_IbLb1EEEEDaS15_S16_EUlS15_E_NS1_11comp_targetILNS1_3genE8ELNS1_11target_archE1030ELNS1_3gpuE2ELNS1_3repE0EEENS1_30default_config_static_selectorELNS0_4arch9wavefront6targetE1EEEvT1_.kd
    .uniform_work_group_size: 1
    .uses_dynamic_stack: false
    .vgpr_count:     0
    .vgpr_spill_count: 0
    .wavefront_size: 64
  - .agpr_count:     0
    .args:
      - .offset:         0
        .size:           72
        .value_kind:     by_value
    .group_segment_fixed_size: 0
    .kernarg_segment_align: 8
    .kernarg_segment_size: 72
    .language:       OpenCL C
    .language_version:
      - 2
      - 0
    .max_flat_workgroup_size: 256
    .name:           _ZN7rocprim17ROCPRIM_400000_NS6detail17trampoline_kernelINS0_14default_configENS1_37merge_sort_block_sort_config_selectorIlNS0_10empty_typeEEEZNS1_21merge_sort_block_sortIS3_PlS8_PS5_S9_ZN2at6native12_GLOBAL__N_124unique_dim_cuda_templateIbEESt5tupleIJNSA_6TensorESF_SF_EERKSF_lbbbEUlllE_EE10hipError_tT0_T1_T2_T3_mRjT4_P12ihipStream_tbNS1_7vsmem_tEEUlT_E_NS1_11comp_targetILNS1_3genE0ELNS1_11target_archE4294967295ELNS1_3gpuE0ELNS1_3repE0EEENS1_30default_config_static_selectorELNS0_4arch9wavefront6targetE1EEEvSM_
    .private_segment_fixed_size: 0
    .sgpr_count:     4
    .sgpr_spill_count: 0
    .symbol:         _ZN7rocprim17ROCPRIM_400000_NS6detail17trampoline_kernelINS0_14default_configENS1_37merge_sort_block_sort_config_selectorIlNS0_10empty_typeEEEZNS1_21merge_sort_block_sortIS3_PlS8_PS5_S9_ZN2at6native12_GLOBAL__N_124unique_dim_cuda_templateIbEESt5tupleIJNSA_6TensorESF_SF_EERKSF_lbbbEUlllE_EE10hipError_tT0_T1_T2_T3_mRjT4_P12ihipStream_tbNS1_7vsmem_tEEUlT_E_NS1_11comp_targetILNS1_3genE0ELNS1_11target_archE4294967295ELNS1_3gpuE0ELNS1_3repE0EEENS1_30default_config_static_selectorELNS0_4arch9wavefront6targetE1EEEvSM_.kd
    .uniform_work_group_size: 1
    .uses_dynamic_stack: false
    .vgpr_count:     0
    .vgpr_spill_count: 0
    .wavefront_size: 64
  - .agpr_count:     0
    .args:
      - .offset:         0
        .size:           72
        .value_kind:     by_value
    .group_segment_fixed_size: 0
    .kernarg_segment_align: 8
    .kernarg_segment_size: 72
    .language:       OpenCL C
    .language_version:
      - 2
      - 0
    .max_flat_workgroup_size: 256
    .name:           _ZN7rocprim17ROCPRIM_400000_NS6detail17trampoline_kernelINS0_14default_configENS1_37merge_sort_block_sort_config_selectorIlNS0_10empty_typeEEEZNS1_21merge_sort_block_sortIS3_PlS8_PS5_S9_ZN2at6native12_GLOBAL__N_124unique_dim_cuda_templateIbEESt5tupleIJNSA_6TensorESF_SF_EERKSF_lbbbEUlllE_EE10hipError_tT0_T1_T2_T3_mRjT4_P12ihipStream_tbNS1_7vsmem_tEEUlT_E_NS1_11comp_targetILNS1_3genE5ELNS1_11target_archE942ELNS1_3gpuE9ELNS1_3repE0EEENS1_30default_config_static_selectorELNS0_4arch9wavefront6targetE1EEEvSM_
    .private_segment_fixed_size: 0
    .sgpr_count:     4
    .sgpr_spill_count: 0
    .symbol:         _ZN7rocprim17ROCPRIM_400000_NS6detail17trampoline_kernelINS0_14default_configENS1_37merge_sort_block_sort_config_selectorIlNS0_10empty_typeEEEZNS1_21merge_sort_block_sortIS3_PlS8_PS5_S9_ZN2at6native12_GLOBAL__N_124unique_dim_cuda_templateIbEESt5tupleIJNSA_6TensorESF_SF_EERKSF_lbbbEUlllE_EE10hipError_tT0_T1_T2_T3_mRjT4_P12ihipStream_tbNS1_7vsmem_tEEUlT_E_NS1_11comp_targetILNS1_3genE5ELNS1_11target_archE942ELNS1_3gpuE9ELNS1_3repE0EEENS1_30default_config_static_selectorELNS0_4arch9wavefront6targetE1EEEvSM_.kd
    .uniform_work_group_size: 1
    .uses_dynamic_stack: false
    .vgpr_count:     0
    .vgpr_spill_count: 0
    .wavefront_size: 64
  - .agpr_count:     0
    .args:
      - .offset:         0
        .size:           72
        .value_kind:     by_value
      - .offset:         72
        .size:           4
        .value_kind:     hidden_block_count_x
      - .offset:         76
        .size:           4
        .value_kind:     hidden_block_count_y
      - .offset:         80
        .size:           4
        .value_kind:     hidden_block_count_z
      - .offset:         84
        .size:           2
        .value_kind:     hidden_group_size_x
      - .offset:         86
        .size:           2
        .value_kind:     hidden_group_size_y
      - .offset:         88
        .size:           2
        .value_kind:     hidden_group_size_z
      - .offset:         90
        .size:           2
        .value_kind:     hidden_remainder_x
      - .offset:         92
        .size:           2
        .value_kind:     hidden_remainder_y
      - .offset:         94
        .size:           2
        .value_kind:     hidden_remainder_z
      - .offset:         112
        .size:           8
        .value_kind:     hidden_global_offset_x
      - .offset:         120
        .size:           8
        .value_kind:     hidden_global_offset_y
      - .offset:         128
        .size:           8
        .value_kind:     hidden_global_offset_z
      - .offset:         136
        .size:           2
        .value_kind:     hidden_grid_dims
    .group_segment_fixed_size: 8448
    .kernarg_segment_align: 8
    .kernarg_segment_size: 328
    .language:       OpenCL C
    .language_version:
      - 2
      - 0
    .max_flat_workgroup_size: 256
    .name:           _ZN7rocprim17ROCPRIM_400000_NS6detail17trampoline_kernelINS0_14default_configENS1_37merge_sort_block_sort_config_selectorIlNS0_10empty_typeEEEZNS1_21merge_sort_block_sortIS3_PlS8_PS5_S9_ZN2at6native12_GLOBAL__N_124unique_dim_cuda_templateIbEESt5tupleIJNSA_6TensorESF_SF_EERKSF_lbbbEUlllE_EE10hipError_tT0_T1_T2_T3_mRjT4_P12ihipStream_tbNS1_7vsmem_tEEUlT_E_NS1_11comp_targetILNS1_3genE4ELNS1_11target_archE910ELNS1_3gpuE8ELNS1_3repE0EEENS1_30default_config_static_selectorELNS0_4arch9wavefront6targetE1EEEvSM_
    .private_segment_fixed_size: 0
    .sgpr_count:     62
    .sgpr_spill_count: 0
    .symbol:         _ZN7rocprim17ROCPRIM_400000_NS6detail17trampoline_kernelINS0_14default_configENS1_37merge_sort_block_sort_config_selectorIlNS0_10empty_typeEEEZNS1_21merge_sort_block_sortIS3_PlS8_PS5_S9_ZN2at6native12_GLOBAL__N_124unique_dim_cuda_templateIbEESt5tupleIJNSA_6TensorESF_SF_EERKSF_lbbbEUlllE_EE10hipError_tT0_T1_T2_T3_mRjT4_P12ihipStream_tbNS1_7vsmem_tEEUlT_E_NS1_11comp_targetILNS1_3genE4ELNS1_11target_archE910ELNS1_3gpuE8ELNS1_3repE0EEENS1_30default_config_static_selectorELNS0_4arch9wavefront6targetE1EEEvSM_.kd
    .uniform_work_group_size: 1
    .uses_dynamic_stack: false
    .vgpr_count:     42
    .vgpr_spill_count: 0
    .wavefront_size: 64
  - .agpr_count:     0
    .args:
      - .offset:         0
        .size:           72
        .value_kind:     by_value
    .group_segment_fixed_size: 0
    .kernarg_segment_align: 8
    .kernarg_segment_size: 72
    .language:       OpenCL C
    .language_version:
      - 2
      - 0
    .max_flat_workgroup_size: 256
    .name:           _ZN7rocprim17ROCPRIM_400000_NS6detail17trampoline_kernelINS0_14default_configENS1_37merge_sort_block_sort_config_selectorIlNS0_10empty_typeEEEZNS1_21merge_sort_block_sortIS3_PlS8_PS5_S9_ZN2at6native12_GLOBAL__N_124unique_dim_cuda_templateIbEESt5tupleIJNSA_6TensorESF_SF_EERKSF_lbbbEUlllE_EE10hipError_tT0_T1_T2_T3_mRjT4_P12ihipStream_tbNS1_7vsmem_tEEUlT_E_NS1_11comp_targetILNS1_3genE3ELNS1_11target_archE908ELNS1_3gpuE7ELNS1_3repE0EEENS1_30default_config_static_selectorELNS0_4arch9wavefront6targetE1EEEvSM_
    .private_segment_fixed_size: 0
    .sgpr_count:     4
    .sgpr_spill_count: 0
    .symbol:         _ZN7rocprim17ROCPRIM_400000_NS6detail17trampoline_kernelINS0_14default_configENS1_37merge_sort_block_sort_config_selectorIlNS0_10empty_typeEEEZNS1_21merge_sort_block_sortIS3_PlS8_PS5_S9_ZN2at6native12_GLOBAL__N_124unique_dim_cuda_templateIbEESt5tupleIJNSA_6TensorESF_SF_EERKSF_lbbbEUlllE_EE10hipError_tT0_T1_T2_T3_mRjT4_P12ihipStream_tbNS1_7vsmem_tEEUlT_E_NS1_11comp_targetILNS1_3genE3ELNS1_11target_archE908ELNS1_3gpuE7ELNS1_3repE0EEENS1_30default_config_static_selectorELNS0_4arch9wavefront6targetE1EEEvSM_.kd
    .uniform_work_group_size: 1
    .uses_dynamic_stack: false
    .vgpr_count:     0
    .vgpr_spill_count: 0
    .wavefront_size: 64
  - .agpr_count:     0
    .args:
      - .offset:         0
        .size:           72
        .value_kind:     by_value
    .group_segment_fixed_size: 0
    .kernarg_segment_align: 8
    .kernarg_segment_size: 72
    .language:       OpenCL C
    .language_version:
      - 2
      - 0
    .max_flat_workgroup_size: 256
    .name:           _ZN7rocprim17ROCPRIM_400000_NS6detail17trampoline_kernelINS0_14default_configENS1_37merge_sort_block_sort_config_selectorIlNS0_10empty_typeEEEZNS1_21merge_sort_block_sortIS3_PlS8_PS5_S9_ZN2at6native12_GLOBAL__N_124unique_dim_cuda_templateIbEESt5tupleIJNSA_6TensorESF_SF_EERKSF_lbbbEUlllE_EE10hipError_tT0_T1_T2_T3_mRjT4_P12ihipStream_tbNS1_7vsmem_tEEUlT_E_NS1_11comp_targetILNS1_3genE2ELNS1_11target_archE906ELNS1_3gpuE6ELNS1_3repE0EEENS1_30default_config_static_selectorELNS0_4arch9wavefront6targetE1EEEvSM_
    .private_segment_fixed_size: 0
    .sgpr_count:     4
    .sgpr_spill_count: 0
    .symbol:         _ZN7rocprim17ROCPRIM_400000_NS6detail17trampoline_kernelINS0_14default_configENS1_37merge_sort_block_sort_config_selectorIlNS0_10empty_typeEEEZNS1_21merge_sort_block_sortIS3_PlS8_PS5_S9_ZN2at6native12_GLOBAL__N_124unique_dim_cuda_templateIbEESt5tupleIJNSA_6TensorESF_SF_EERKSF_lbbbEUlllE_EE10hipError_tT0_T1_T2_T3_mRjT4_P12ihipStream_tbNS1_7vsmem_tEEUlT_E_NS1_11comp_targetILNS1_3genE2ELNS1_11target_archE906ELNS1_3gpuE6ELNS1_3repE0EEENS1_30default_config_static_selectorELNS0_4arch9wavefront6targetE1EEEvSM_.kd
    .uniform_work_group_size: 1
    .uses_dynamic_stack: false
    .vgpr_count:     0
    .vgpr_spill_count: 0
    .wavefront_size: 64
  - .agpr_count:     0
    .args:
      - .offset:         0
        .size:           72
        .value_kind:     by_value
    .group_segment_fixed_size: 0
    .kernarg_segment_align: 8
    .kernarg_segment_size: 72
    .language:       OpenCL C
    .language_version:
      - 2
      - 0
    .max_flat_workgroup_size: 256
    .name:           _ZN7rocprim17ROCPRIM_400000_NS6detail17trampoline_kernelINS0_14default_configENS1_37merge_sort_block_sort_config_selectorIlNS0_10empty_typeEEEZNS1_21merge_sort_block_sortIS3_PlS8_PS5_S9_ZN2at6native12_GLOBAL__N_124unique_dim_cuda_templateIbEESt5tupleIJNSA_6TensorESF_SF_EERKSF_lbbbEUlllE_EE10hipError_tT0_T1_T2_T3_mRjT4_P12ihipStream_tbNS1_7vsmem_tEEUlT_E_NS1_11comp_targetILNS1_3genE10ELNS1_11target_archE1201ELNS1_3gpuE5ELNS1_3repE0EEENS1_30default_config_static_selectorELNS0_4arch9wavefront6targetE1EEEvSM_
    .private_segment_fixed_size: 0
    .sgpr_count:     4
    .sgpr_spill_count: 0
    .symbol:         _ZN7rocprim17ROCPRIM_400000_NS6detail17trampoline_kernelINS0_14default_configENS1_37merge_sort_block_sort_config_selectorIlNS0_10empty_typeEEEZNS1_21merge_sort_block_sortIS3_PlS8_PS5_S9_ZN2at6native12_GLOBAL__N_124unique_dim_cuda_templateIbEESt5tupleIJNSA_6TensorESF_SF_EERKSF_lbbbEUlllE_EE10hipError_tT0_T1_T2_T3_mRjT4_P12ihipStream_tbNS1_7vsmem_tEEUlT_E_NS1_11comp_targetILNS1_3genE10ELNS1_11target_archE1201ELNS1_3gpuE5ELNS1_3repE0EEENS1_30default_config_static_selectorELNS0_4arch9wavefront6targetE1EEEvSM_.kd
    .uniform_work_group_size: 1
    .uses_dynamic_stack: false
    .vgpr_count:     0
    .vgpr_spill_count: 0
    .wavefront_size: 64
  - .agpr_count:     0
    .args:
      - .offset:         0
        .size:           72
        .value_kind:     by_value
    .group_segment_fixed_size: 0
    .kernarg_segment_align: 8
    .kernarg_segment_size: 72
    .language:       OpenCL C
    .language_version:
      - 2
      - 0
    .max_flat_workgroup_size: 512
    .name:           _ZN7rocprim17ROCPRIM_400000_NS6detail17trampoline_kernelINS0_14default_configENS1_37merge_sort_block_sort_config_selectorIlNS0_10empty_typeEEEZNS1_21merge_sort_block_sortIS3_PlS8_PS5_S9_ZN2at6native12_GLOBAL__N_124unique_dim_cuda_templateIbEESt5tupleIJNSA_6TensorESF_SF_EERKSF_lbbbEUlllE_EE10hipError_tT0_T1_T2_T3_mRjT4_P12ihipStream_tbNS1_7vsmem_tEEUlT_E_NS1_11comp_targetILNS1_3genE10ELNS1_11target_archE1200ELNS1_3gpuE4ELNS1_3repE0EEENS1_30default_config_static_selectorELNS0_4arch9wavefront6targetE1EEEvSM_
    .private_segment_fixed_size: 0
    .sgpr_count:     4
    .sgpr_spill_count: 0
    .symbol:         _ZN7rocprim17ROCPRIM_400000_NS6detail17trampoline_kernelINS0_14default_configENS1_37merge_sort_block_sort_config_selectorIlNS0_10empty_typeEEEZNS1_21merge_sort_block_sortIS3_PlS8_PS5_S9_ZN2at6native12_GLOBAL__N_124unique_dim_cuda_templateIbEESt5tupleIJNSA_6TensorESF_SF_EERKSF_lbbbEUlllE_EE10hipError_tT0_T1_T2_T3_mRjT4_P12ihipStream_tbNS1_7vsmem_tEEUlT_E_NS1_11comp_targetILNS1_3genE10ELNS1_11target_archE1200ELNS1_3gpuE4ELNS1_3repE0EEENS1_30default_config_static_selectorELNS0_4arch9wavefront6targetE1EEEvSM_.kd
    .uniform_work_group_size: 1
    .uses_dynamic_stack: false
    .vgpr_count:     0
    .vgpr_spill_count: 0
    .wavefront_size: 64
  - .agpr_count:     0
    .args:
      - .offset:         0
        .size:           72
        .value_kind:     by_value
    .group_segment_fixed_size: 0
    .kernarg_segment_align: 8
    .kernarg_segment_size: 72
    .language:       OpenCL C
    .language_version:
      - 2
      - 0
    .max_flat_workgroup_size: 256
    .name:           _ZN7rocprim17ROCPRIM_400000_NS6detail17trampoline_kernelINS0_14default_configENS1_37merge_sort_block_sort_config_selectorIlNS0_10empty_typeEEEZNS1_21merge_sort_block_sortIS3_PlS8_PS5_S9_ZN2at6native12_GLOBAL__N_124unique_dim_cuda_templateIbEESt5tupleIJNSA_6TensorESF_SF_EERKSF_lbbbEUlllE_EE10hipError_tT0_T1_T2_T3_mRjT4_P12ihipStream_tbNS1_7vsmem_tEEUlT_E_NS1_11comp_targetILNS1_3genE9ELNS1_11target_archE1100ELNS1_3gpuE3ELNS1_3repE0EEENS1_30default_config_static_selectorELNS0_4arch9wavefront6targetE1EEEvSM_
    .private_segment_fixed_size: 0
    .sgpr_count:     4
    .sgpr_spill_count: 0
    .symbol:         _ZN7rocprim17ROCPRIM_400000_NS6detail17trampoline_kernelINS0_14default_configENS1_37merge_sort_block_sort_config_selectorIlNS0_10empty_typeEEEZNS1_21merge_sort_block_sortIS3_PlS8_PS5_S9_ZN2at6native12_GLOBAL__N_124unique_dim_cuda_templateIbEESt5tupleIJNSA_6TensorESF_SF_EERKSF_lbbbEUlllE_EE10hipError_tT0_T1_T2_T3_mRjT4_P12ihipStream_tbNS1_7vsmem_tEEUlT_E_NS1_11comp_targetILNS1_3genE9ELNS1_11target_archE1100ELNS1_3gpuE3ELNS1_3repE0EEENS1_30default_config_static_selectorELNS0_4arch9wavefront6targetE1EEEvSM_.kd
    .uniform_work_group_size: 1
    .uses_dynamic_stack: false
    .vgpr_count:     0
    .vgpr_spill_count: 0
    .wavefront_size: 64
  - .agpr_count:     0
    .args:
      - .offset:         0
        .size:           72
        .value_kind:     by_value
    .group_segment_fixed_size: 0
    .kernarg_segment_align: 8
    .kernarg_segment_size: 72
    .language:       OpenCL C
    .language_version:
      - 2
      - 0
    .max_flat_workgroup_size: 256
    .name:           _ZN7rocprim17ROCPRIM_400000_NS6detail17trampoline_kernelINS0_14default_configENS1_37merge_sort_block_sort_config_selectorIlNS0_10empty_typeEEEZNS1_21merge_sort_block_sortIS3_PlS8_PS5_S9_ZN2at6native12_GLOBAL__N_124unique_dim_cuda_templateIbEESt5tupleIJNSA_6TensorESF_SF_EERKSF_lbbbEUlllE_EE10hipError_tT0_T1_T2_T3_mRjT4_P12ihipStream_tbNS1_7vsmem_tEEUlT_E_NS1_11comp_targetILNS1_3genE8ELNS1_11target_archE1030ELNS1_3gpuE2ELNS1_3repE0EEENS1_30default_config_static_selectorELNS0_4arch9wavefront6targetE1EEEvSM_
    .private_segment_fixed_size: 0
    .sgpr_count:     4
    .sgpr_spill_count: 0
    .symbol:         _ZN7rocprim17ROCPRIM_400000_NS6detail17trampoline_kernelINS0_14default_configENS1_37merge_sort_block_sort_config_selectorIlNS0_10empty_typeEEEZNS1_21merge_sort_block_sortIS3_PlS8_PS5_S9_ZN2at6native12_GLOBAL__N_124unique_dim_cuda_templateIbEESt5tupleIJNSA_6TensorESF_SF_EERKSF_lbbbEUlllE_EE10hipError_tT0_T1_T2_T3_mRjT4_P12ihipStream_tbNS1_7vsmem_tEEUlT_E_NS1_11comp_targetILNS1_3genE8ELNS1_11target_archE1030ELNS1_3gpuE2ELNS1_3repE0EEENS1_30default_config_static_selectorELNS0_4arch9wavefront6targetE1EEEvSM_.kd
    .uniform_work_group_size: 1
    .uses_dynamic_stack: false
    .vgpr_count:     0
    .vgpr_spill_count: 0
    .wavefront_size: 64
  - .agpr_count:     0
    .args:
      - .offset:         0
        .size:           56
        .value_kind:     by_value
    .group_segment_fixed_size: 0
    .kernarg_segment_align: 8
    .kernarg_segment_size: 56
    .language:       OpenCL C
    .language_version:
      - 2
      - 0
    .max_flat_workgroup_size: 128
    .name:           _ZN7rocprim17ROCPRIM_400000_NS6detail17trampoline_kernelINS0_14default_configENS1_38merge_sort_block_merge_config_selectorIlNS0_10empty_typeEEEZZNS1_27merge_sort_block_merge_implIS3_PlPS5_mZN2at6native12_GLOBAL__N_124unique_dim_cuda_templateIbEESt5tupleIJNSA_6TensorESF_SF_EERKSF_lbbbEUlllE_EE10hipError_tT0_T1_T2_jT3_P12ihipStream_tbPNSt15iterator_traitsISL_E10value_typeEPNSR_ISM_E10value_typeEPSN_NS1_7vsmem_tEENKUlT_SL_SM_SN_E_clIS8_S8_S9_S9_EESK_S10_SL_SM_SN_EUlS10_E_NS1_11comp_targetILNS1_3genE0ELNS1_11target_archE4294967295ELNS1_3gpuE0ELNS1_3repE0EEENS1_48merge_mergepath_partition_config_static_selectorELNS0_4arch9wavefront6targetE1EEEvSM_
    .private_segment_fixed_size: 0
    .sgpr_count:     4
    .sgpr_spill_count: 0
    .symbol:         _ZN7rocprim17ROCPRIM_400000_NS6detail17trampoline_kernelINS0_14default_configENS1_38merge_sort_block_merge_config_selectorIlNS0_10empty_typeEEEZZNS1_27merge_sort_block_merge_implIS3_PlPS5_mZN2at6native12_GLOBAL__N_124unique_dim_cuda_templateIbEESt5tupleIJNSA_6TensorESF_SF_EERKSF_lbbbEUlllE_EE10hipError_tT0_T1_T2_jT3_P12ihipStream_tbPNSt15iterator_traitsISL_E10value_typeEPNSR_ISM_E10value_typeEPSN_NS1_7vsmem_tEENKUlT_SL_SM_SN_E_clIS8_S8_S9_S9_EESK_S10_SL_SM_SN_EUlS10_E_NS1_11comp_targetILNS1_3genE0ELNS1_11target_archE4294967295ELNS1_3gpuE0ELNS1_3repE0EEENS1_48merge_mergepath_partition_config_static_selectorELNS0_4arch9wavefront6targetE1EEEvSM_.kd
    .uniform_work_group_size: 1
    .uses_dynamic_stack: false
    .vgpr_count:     0
    .vgpr_spill_count: 0
    .wavefront_size: 64
  - .agpr_count:     0
    .args:
      - .offset:         0
        .size:           56
        .value_kind:     by_value
    .group_segment_fixed_size: 0
    .kernarg_segment_align: 8
    .kernarg_segment_size: 56
    .language:       OpenCL C
    .language_version:
      - 2
      - 0
    .max_flat_workgroup_size: 128
    .name:           _ZN7rocprim17ROCPRIM_400000_NS6detail17trampoline_kernelINS0_14default_configENS1_38merge_sort_block_merge_config_selectorIlNS0_10empty_typeEEEZZNS1_27merge_sort_block_merge_implIS3_PlPS5_mZN2at6native12_GLOBAL__N_124unique_dim_cuda_templateIbEESt5tupleIJNSA_6TensorESF_SF_EERKSF_lbbbEUlllE_EE10hipError_tT0_T1_T2_jT3_P12ihipStream_tbPNSt15iterator_traitsISL_E10value_typeEPNSR_ISM_E10value_typeEPSN_NS1_7vsmem_tEENKUlT_SL_SM_SN_E_clIS8_S8_S9_S9_EESK_S10_SL_SM_SN_EUlS10_E_NS1_11comp_targetILNS1_3genE10ELNS1_11target_archE1201ELNS1_3gpuE5ELNS1_3repE0EEENS1_48merge_mergepath_partition_config_static_selectorELNS0_4arch9wavefront6targetE1EEEvSM_
    .private_segment_fixed_size: 0
    .sgpr_count:     4
    .sgpr_spill_count: 0
    .symbol:         _ZN7rocprim17ROCPRIM_400000_NS6detail17trampoline_kernelINS0_14default_configENS1_38merge_sort_block_merge_config_selectorIlNS0_10empty_typeEEEZZNS1_27merge_sort_block_merge_implIS3_PlPS5_mZN2at6native12_GLOBAL__N_124unique_dim_cuda_templateIbEESt5tupleIJNSA_6TensorESF_SF_EERKSF_lbbbEUlllE_EE10hipError_tT0_T1_T2_jT3_P12ihipStream_tbPNSt15iterator_traitsISL_E10value_typeEPNSR_ISM_E10value_typeEPSN_NS1_7vsmem_tEENKUlT_SL_SM_SN_E_clIS8_S8_S9_S9_EESK_S10_SL_SM_SN_EUlS10_E_NS1_11comp_targetILNS1_3genE10ELNS1_11target_archE1201ELNS1_3gpuE5ELNS1_3repE0EEENS1_48merge_mergepath_partition_config_static_selectorELNS0_4arch9wavefront6targetE1EEEvSM_.kd
    .uniform_work_group_size: 1
    .uses_dynamic_stack: false
    .vgpr_count:     0
    .vgpr_spill_count: 0
    .wavefront_size: 64
  - .agpr_count:     0
    .args:
      - .offset:         0
        .size:           56
        .value_kind:     by_value
    .group_segment_fixed_size: 0
    .kernarg_segment_align: 8
    .kernarg_segment_size: 56
    .language:       OpenCL C
    .language_version:
      - 2
      - 0
    .max_flat_workgroup_size: 128
    .name:           _ZN7rocprim17ROCPRIM_400000_NS6detail17trampoline_kernelINS0_14default_configENS1_38merge_sort_block_merge_config_selectorIlNS0_10empty_typeEEEZZNS1_27merge_sort_block_merge_implIS3_PlPS5_mZN2at6native12_GLOBAL__N_124unique_dim_cuda_templateIbEESt5tupleIJNSA_6TensorESF_SF_EERKSF_lbbbEUlllE_EE10hipError_tT0_T1_T2_jT3_P12ihipStream_tbPNSt15iterator_traitsISL_E10value_typeEPNSR_ISM_E10value_typeEPSN_NS1_7vsmem_tEENKUlT_SL_SM_SN_E_clIS8_S8_S9_S9_EESK_S10_SL_SM_SN_EUlS10_E_NS1_11comp_targetILNS1_3genE5ELNS1_11target_archE942ELNS1_3gpuE9ELNS1_3repE0EEENS1_48merge_mergepath_partition_config_static_selectorELNS0_4arch9wavefront6targetE1EEEvSM_
    .private_segment_fixed_size: 0
    .sgpr_count:     4
    .sgpr_spill_count: 0
    .symbol:         _ZN7rocprim17ROCPRIM_400000_NS6detail17trampoline_kernelINS0_14default_configENS1_38merge_sort_block_merge_config_selectorIlNS0_10empty_typeEEEZZNS1_27merge_sort_block_merge_implIS3_PlPS5_mZN2at6native12_GLOBAL__N_124unique_dim_cuda_templateIbEESt5tupleIJNSA_6TensorESF_SF_EERKSF_lbbbEUlllE_EE10hipError_tT0_T1_T2_jT3_P12ihipStream_tbPNSt15iterator_traitsISL_E10value_typeEPNSR_ISM_E10value_typeEPSN_NS1_7vsmem_tEENKUlT_SL_SM_SN_E_clIS8_S8_S9_S9_EESK_S10_SL_SM_SN_EUlS10_E_NS1_11comp_targetILNS1_3genE5ELNS1_11target_archE942ELNS1_3gpuE9ELNS1_3repE0EEENS1_48merge_mergepath_partition_config_static_selectorELNS0_4arch9wavefront6targetE1EEEvSM_.kd
    .uniform_work_group_size: 1
    .uses_dynamic_stack: false
    .vgpr_count:     0
    .vgpr_spill_count: 0
    .wavefront_size: 64
  - .agpr_count:     0
    .args:
      - .offset:         0
        .size:           56
        .value_kind:     by_value
    .group_segment_fixed_size: 0
    .kernarg_segment_align: 8
    .kernarg_segment_size: 56
    .language:       OpenCL C
    .language_version:
      - 2
      - 0
    .max_flat_workgroup_size: 128
    .name:           _ZN7rocprim17ROCPRIM_400000_NS6detail17trampoline_kernelINS0_14default_configENS1_38merge_sort_block_merge_config_selectorIlNS0_10empty_typeEEEZZNS1_27merge_sort_block_merge_implIS3_PlPS5_mZN2at6native12_GLOBAL__N_124unique_dim_cuda_templateIbEESt5tupleIJNSA_6TensorESF_SF_EERKSF_lbbbEUlllE_EE10hipError_tT0_T1_T2_jT3_P12ihipStream_tbPNSt15iterator_traitsISL_E10value_typeEPNSR_ISM_E10value_typeEPSN_NS1_7vsmem_tEENKUlT_SL_SM_SN_E_clIS8_S8_S9_S9_EESK_S10_SL_SM_SN_EUlS10_E_NS1_11comp_targetILNS1_3genE4ELNS1_11target_archE910ELNS1_3gpuE8ELNS1_3repE0EEENS1_48merge_mergepath_partition_config_static_selectorELNS0_4arch9wavefront6targetE1EEEvSM_
    .private_segment_fixed_size: 0
    .sgpr_count:     40
    .sgpr_spill_count: 0
    .symbol:         _ZN7rocprim17ROCPRIM_400000_NS6detail17trampoline_kernelINS0_14default_configENS1_38merge_sort_block_merge_config_selectorIlNS0_10empty_typeEEEZZNS1_27merge_sort_block_merge_implIS3_PlPS5_mZN2at6native12_GLOBAL__N_124unique_dim_cuda_templateIbEESt5tupleIJNSA_6TensorESF_SF_EERKSF_lbbbEUlllE_EE10hipError_tT0_T1_T2_jT3_P12ihipStream_tbPNSt15iterator_traitsISL_E10value_typeEPNSR_ISM_E10value_typeEPSN_NS1_7vsmem_tEENKUlT_SL_SM_SN_E_clIS8_S8_S9_S9_EESK_S10_SL_SM_SN_EUlS10_E_NS1_11comp_targetILNS1_3genE4ELNS1_11target_archE910ELNS1_3gpuE8ELNS1_3repE0EEENS1_48merge_mergepath_partition_config_static_selectorELNS0_4arch9wavefront6targetE1EEEvSM_.kd
    .uniform_work_group_size: 1
    .uses_dynamic_stack: false
    .vgpr_count:     23
    .vgpr_spill_count: 0
    .wavefront_size: 64
  - .agpr_count:     0
    .args:
      - .offset:         0
        .size:           56
        .value_kind:     by_value
    .group_segment_fixed_size: 0
    .kernarg_segment_align: 8
    .kernarg_segment_size: 56
    .language:       OpenCL C
    .language_version:
      - 2
      - 0
    .max_flat_workgroup_size: 128
    .name:           _ZN7rocprim17ROCPRIM_400000_NS6detail17trampoline_kernelINS0_14default_configENS1_38merge_sort_block_merge_config_selectorIlNS0_10empty_typeEEEZZNS1_27merge_sort_block_merge_implIS3_PlPS5_mZN2at6native12_GLOBAL__N_124unique_dim_cuda_templateIbEESt5tupleIJNSA_6TensorESF_SF_EERKSF_lbbbEUlllE_EE10hipError_tT0_T1_T2_jT3_P12ihipStream_tbPNSt15iterator_traitsISL_E10value_typeEPNSR_ISM_E10value_typeEPSN_NS1_7vsmem_tEENKUlT_SL_SM_SN_E_clIS8_S8_S9_S9_EESK_S10_SL_SM_SN_EUlS10_E_NS1_11comp_targetILNS1_3genE3ELNS1_11target_archE908ELNS1_3gpuE7ELNS1_3repE0EEENS1_48merge_mergepath_partition_config_static_selectorELNS0_4arch9wavefront6targetE1EEEvSM_
    .private_segment_fixed_size: 0
    .sgpr_count:     4
    .sgpr_spill_count: 0
    .symbol:         _ZN7rocprim17ROCPRIM_400000_NS6detail17trampoline_kernelINS0_14default_configENS1_38merge_sort_block_merge_config_selectorIlNS0_10empty_typeEEEZZNS1_27merge_sort_block_merge_implIS3_PlPS5_mZN2at6native12_GLOBAL__N_124unique_dim_cuda_templateIbEESt5tupleIJNSA_6TensorESF_SF_EERKSF_lbbbEUlllE_EE10hipError_tT0_T1_T2_jT3_P12ihipStream_tbPNSt15iterator_traitsISL_E10value_typeEPNSR_ISM_E10value_typeEPSN_NS1_7vsmem_tEENKUlT_SL_SM_SN_E_clIS8_S8_S9_S9_EESK_S10_SL_SM_SN_EUlS10_E_NS1_11comp_targetILNS1_3genE3ELNS1_11target_archE908ELNS1_3gpuE7ELNS1_3repE0EEENS1_48merge_mergepath_partition_config_static_selectorELNS0_4arch9wavefront6targetE1EEEvSM_.kd
    .uniform_work_group_size: 1
    .uses_dynamic_stack: false
    .vgpr_count:     0
    .vgpr_spill_count: 0
    .wavefront_size: 64
  - .agpr_count:     0
    .args:
      - .offset:         0
        .size:           56
        .value_kind:     by_value
    .group_segment_fixed_size: 0
    .kernarg_segment_align: 8
    .kernarg_segment_size: 56
    .language:       OpenCL C
    .language_version:
      - 2
      - 0
    .max_flat_workgroup_size: 128
    .name:           _ZN7rocprim17ROCPRIM_400000_NS6detail17trampoline_kernelINS0_14default_configENS1_38merge_sort_block_merge_config_selectorIlNS0_10empty_typeEEEZZNS1_27merge_sort_block_merge_implIS3_PlPS5_mZN2at6native12_GLOBAL__N_124unique_dim_cuda_templateIbEESt5tupleIJNSA_6TensorESF_SF_EERKSF_lbbbEUlllE_EE10hipError_tT0_T1_T2_jT3_P12ihipStream_tbPNSt15iterator_traitsISL_E10value_typeEPNSR_ISM_E10value_typeEPSN_NS1_7vsmem_tEENKUlT_SL_SM_SN_E_clIS8_S8_S9_S9_EESK_S10_SL_SM_SN_EUlS10_E_NS1_11comp_targetILNS1_3genE2ELNS1_11target_archE906ELNS1_3gpuE6ELNS1_3repE0EEENS1_48merge_mergepath_partition_config_static_selectorELNS0_4arch9wavefront6targetE1EEEvSM_
    .private_segment_fixed_size: 0
    .sgpr_count:     4
    .sgpr_spill_count: 0
    .symbol:         _ZN7rocprim17ROCPRIM_400000_NS6detail17trampoline_kernelINS0_14default_configENS1_38merge_sort_block_merge_config_selectorIlNS0_10empty_typeEEEZZNS1_27merge_sort_block_merge_implIS3_PlPS5_mZN2at6native12_GLOBAL__N_124unique_dim_cuda_templateIbEESt5tupleIJNSA_6TensorESF_SF_EERKSF_lbbbEUlllE_EE10hipError_tT0_T1_T2_jT3_P12ihipStream_tbPNSt15iterator_traitsISL_E10value_typeEPNSR_ISM_E10value_typeEPSN_NS1_7vsmem_tEENKUlT_SL_SM_SN_E_clIS8_S8_S9_S9_EESK_S10_SL_SM_SN_EUlS10_E_NS1_11comp_targetILNS1_3genE2ELNS1_11target_archE906ELNS1_3gpuE6ELNS1_3repE0EEENS1_48merge_mergepath_partition_config_static_selectorELNS0_4arch9wavefront6targetE1EEEvSM_.kd
    .uniform_work_group_size: 1
    .uses_dynamic_stack: false
    .vgpr_count:     0
    .vgpr_spill_count: 0
    .wavefront_size: 64
  - .agpr_count:     0
    .args:
      - .offset:         0
        .size:           56
        .value_kind:     by_value
    .group_segment_fixed_size: 0
    .kernarg_segment_align: 8
    .kernarg_segment_size: 56
    .language:       OpenCL C
    .language_version:
      - 2
      - 0
    .max_flat_workgroup_size: 128
    .name:           _ZN7rocprim17ROCPRIM_400000_NS6detail17trampoline_kernelINS0_14default_configENS1_38merge_sort_block_merge_config_selectorIlNS0_10empty_typeEEEZZNS1_27merge_sort_block_merge_implIS3_PlPS5_mZN2at6native12_GLOBAL__N_124unique_dim_cuda_templateIbEESt5tupleIJNSA_6TensorESF_SF_EERKSF_lbbbEUlllE_EE10hipError_tT0_T1_T2_jT3_P12ihipStream_tbPNSt15iterator_traitsISL_E10value_typeEPNSR_ISM_E10value_typeEPSN_NS1_7vsmem_tEENKUlT_SL_SM_SN_E_clIS8_S8_S9_S9_EESK_S10_SL_SM_SN_EUlS10_E_NS1_11comp_targetILNS1_3genE9ELNS1_11target_archE1100ELNS1_3gpuE3ELNS1_3repE0EEENS1_48merge_mergepath_partition_config_static_selectorELNS0_4arch9wavefront6targetE1EEEvSM_
    .private_segment_fixed_size: 0
    .sgpr_count:     4
    .sgpr_spill_count: 0
    .symbol:         _ZN7rocprim17ROCPRIM_400000_NS6detail17trampoline_kernelINS0_14default_configENS1_38merge_sort_block_merge_config_selectorIlNS0_10empty_typeEEEZZNS1_27merge_sort_block_merge_implIS3_PlPS5_mZN2at6native12_GLOBAL__N_124unique_dim_cuda_templateIbEESt5tupleIJNSA_6TensorESF_SF_EERKSF_lbbbEUlllE_EE10hipError_tT0_T1_T2_jT3_P12ihipStream_tbPNSt15iterator_traitsISL_E10value_typeEPNSR_ISM_E10value_typeEPSN_NS1_7vsmem_tEENKUlT_SL_SM_SN_E_clIS8_S8_S9_S9_EESK_S10_SL_SM_SN_EUlS10_E_NS1_11comp_targetILNS1_3genE9ELNS1_11target_archE1100ELNS1_3gpuE3ELNS1_3repE0EEENS1_48merge_mergepath_partition_config_static_selectorELNS0_4arch9wavefront6targetE1EEEvSM_.kd
    .uniform_work_group_size: 1
    .uses_dynamic_stack: false
    .vgpr_count:     0
    .vgpr_spill_count: 0
    .wavefront_size: 64
  - .agpr_count:     0
    .args:
      - .offset:         0
        .size:           56
        .value_kind:     by_value
    .group_segment_fixed_size: 0
    .kernarg_segment_align: 8
    .kernarg_segment_size: 56
    .language:       OpenCL C
    .language_version:
      - 2
      - 0
    .max_flat_workgroup_size: 128
    .name:           _ZN7rocprim17ROCPRIM_400000_NS6detail17trampoline_kernelINS0_14default_configENS1_38merge_sort_block_merge_config_selectorIlNS0_10empty_typeEEEZZNS1_27merge_sort_block_merge_implIS3_PlPS5_mZN2at6native12_GLOBAL__N_124unique_dim_cuda_templateIbEESt5tupleIJNSA_6TensorESF_SF_EERKSF_lbbbEUlllE_EE10hipError_tT0_T1_T2_jT3_P12ihipStream_tbPNSt15iterator_traitsISL_E10value_typeEPNSR_ISM_E10value_typeEPSN_NS1_7vsmem_tEENKUlT_SL_SM_SN_E_clIS8_S8_S9_S9_EESK_S10_SL_SM_SN_EUlS10_E_NS1_11comp_targetILNS1_3genE8ELNS1_11target_archE1030ELNS1_3gpuE2ELNS1_3repE0EEENS1_48merge_mergepath_partition_config_static_selectorELNS0_4arch9wavefront6targetE1EEEvSM_
    .private_segment_fixed_size: 0
    .sgpr_count:     4
    .sgpr_spill_count: 0
    .symbol:         _ZN7rocprim17ROCPRIM_400000_NS6detail17trampoline_kernelINS0_14default_configENS1_38merge_sort_block_merge_config_selectorIlNS0_10empty_typeEEEZZNS1_27merge_sort_block_merge_implIS3_PlPS5_mZN2at6native12_GLOBAL__N_124unique_dim_cuda_templateIbEESt5tupleIJNSA_6TensorESF_SF_EERKSF_lbbbEUlllE_EE10hipError_tT0_T1_T2_jT3_P12ihipStream_tbPNSt15iterator_traitsISL_E10value_typeEPNSR_ISM_E10value_typeEPSN_NS1_7vsmem_tEENKUlT_SL_SM_SN_E_clIS8_S8_S9_S9_EESK_S10_SL_SM_SN_EUlS10_E_NS1_11comp_targetILNS1_3genE8ELNS1_11target_archE1030ELNS1_3gpuE2ELNS1_3repE0EEENS1_48merge_mergepath_partition_config_static_selectorELNS0_4arch9wavefront6targetE1EEEvSM_.kd
    .uniform_work_group_size: 1
    .uses_dynamic_stack: false
    .vgpr_count:     0
    .vgpr_spill_count: 0
    .wavefront_size: 64
  - .agpr_count:     0
    .args:
      - .offset:         0
        .size:           88
        .value_kind:     by_value
    .group_segment_fixed_size: 0
    .kernarg_segment_align: 8
    .kernarg_segment_size: 88
    .language:       OpenCL C
    .language_version:
      - 2
      - 0
    .max_flat_workgroup_size: 128
    .name:           _ZN7rocprim17ROCPRIM_400000_NS6detail17trampoline_kernelINS0_14default_configENS1_38merge_sort_block_merge_config_selectorIlNS0_10empty_typeEEEZZNS1_27merge_sort_block_merge_implIS3_PlPS5_mZN2at6native12_GLOBAL__N_124unique_dim_cuda_templateIbEESt5tupleIJNSA_6TensorESF_SF_EERKSF_lbbbEUlllE_EE10hipError_tT0_T1_T2_jT3_P12ihipStream_tbPNSt15iterator_traitsISL_E10value_typeEPNSR_ISM_E10value_typeEPSN_NS1_7vsmem_tEENKUlT_SL_SM_SN_E_clIS8_S8_S9_S9_EESK_S10_SL_SM_SN_EUlS10_E0_NS1_11comp_targetILNS1_3genE0ELNS1_11target_archE4294967295ELNS1_3gpuE0ELNS1_3repE0EEENS1_38merge_mergepath_config_static_selectorELNS0_4arch9wavefront6targetE1EEEvSM_
    .private_segment_fixed_size: 0
    .sgpr_count:     4
    .sgpr_spill_count: 0
    .symbol:         _ZN7rocprim17ROCPRIM_400000_NS6detail17trampoline_kernelINS0_14default_configENS1_38merge_sort_block_merge_config_selectorIlNS0_10empty_typeEEEZZNS1_27merge_sort_block_merge_implIS3_PlPS5_mZN2at6native12_GLOBAL__N_124unique_dim_cuda_templateIbEESt5tupleIJNSA_6TensorESF_SF_EERKSF_lbbbEUlllE_EE10hipError_tT0_T1_T2_jT3_P12ihipStream_tbPNSt15iterator_traitsISL_E10value_typeEPNSR_ISM_E10value_typeEPSN_NS1_7vsmem_tEENKUlT_SL_SM_SN_E_clIS8_S8_S9_S9_EESK_S10_SL_SM_SN_EUlS10_E0_NS1_11comp_targetILNS1_3genE0ELNS1_11target_archE4294967295ELNS1_3gpuE0ELNS1_3repE0EEENS1_38merge_mergepath_config_static_selectorELNS0_4arch9wavefront6targetE1EEEvSM_.kd
    .uniform_work_group_size: 1
    .uses_dynamic_stack: false
    .vgpr_count:     0
    .vgpr_spill_count: 0
    .wavefront_size: 64
  - .agpr_count:     0
    .args:
      - .offset:         0
        .size:           88
        .value_kind:     by_value
    .group_segment_fixed_size: 0
    .kernarg_segment_align: 8
    .kernarg_segment_size: 88
    .language:       OpenCL C
    .language_version:
      - 2
      - 0
    .max_flat_workgroup_size: 512
    .name:           _ZN7rocprim17ROCPRIM_400000_NS6detail17trampoline_kernelINS0_14default_configENS1_38merge_sort_block_merge_config_selectorIlNS0_10empty_typeEEEZZNS1_27merge_sort_block_merge_implIS3_PlPS5_mZN2at6native12_GLOBAL__N_124unique_dim_cuda_templateIbEESt5tupleIJNSA_6TensorESF_SF_EERKSF_lbbbEUlllE_EE10hipError_tT0_T1_T2_jT3_P12ihipStream_tbPNSt15iterator_traitsISL_E10value_typeEPNSR_ISM_E10value_typeEPSN_NS1_7vsmem_tEENKUlT_SL_SM_SN_E_clIS8_S8_S9_S9_EESK_S10_SL_SM_SN_EUlS10_E0_NS1_11comp_targetILNS1_3genE10ELNS1_11target_archE1201ELNS1_3gpuE5ELNS1_3repE0EEENS1_38merge_mergepath_config_static_selectorELNS0_4arch9wavefront6targetE1EEEvSM_
    .private_segment_fixed_size: 0
    .sgpr_count:     4
    .sgpr_spill_count: 0
    .symbol:         _ZN7rocprim17ROCPRIM_400000_NS6detail17trampoline_kernelINS0_14default_configENS1_38merge_sort_block_merge_config_selectorIlNS0_10empty_typeEEEZZNS1_27merge_sort_block_merge_implIS3_PlPS5_mZN2at6native12_GLOBAL__N_124unique_dim_cuda_templateIbEESt5tupleIJNSA_6TensorESF_SF_EERKSF_lbbbEUlllE_EE10hipError_tT0_T1_T2_jT3_P12ihipStream_tbPNSt15iterator_traitsISL_E10value_typeEPNSR_ISM_E10value_typeEPSN_NS1_7vsmem_tEENKUlT_SL_SM_SN_E_clIS8_S8_S9_S9_EESK_S10_SL_SM_SN_EUlS10_E0_NS1_11comp_targetILNS1_3genE10ELNS1_11target_archE1201ELNS1_3gpuE5ELNS1_3repE0EEENS1_38merge_mergepath_config_static_selectorELNS0_4arch9wavefront6targetE1EEEvSM_.kd
    .uniform_work_group_size: 1
    .uses_dynamic_stack: false
    .vgpr_count:     0
    .vgpr_spill_count: 0
    .wavefront_size: 64
  - .agpr_count:     0
    .args:
      - .offset:         0
        .size:           88
        .value_kind:     by_value
    .group_segment_fixed_size: 0
    .kernarg_segment_align: 8
    .kernarg_segment_size: 88
    .language:       OpenCL C
    .language_version:
      - 2
      - 0
    .max_flat_workgroup_size: 128
    .name:           _ZN7rocprim17ROCPRIM_400000_NS6detail17trampoline_kernelINS0_14default_configENS1_38merge_sort_block_merge_config_selectorIlNS0_10empty_typeEEEZZNS1_27merge_sort_block_merge_implIS3_PlPS5_mZN2at6native12_GLOBAL__N_124unique_dim_cuda_templateIbEESt5tupleIJNSA_6TensorESF_SF_EERKSF_lbbbEUlllE_EE10hipError_tT0_T1_T2_jT3_P12ihipStream_tbPNSt15iterator_traitsISL_E10value_typeEPNSR_ISM_E10value_typeEPSN_NS1_7vsmem_tEENKUlT_SL_SM_SN_E_clIS8_S8_S9_S9_EESK_S10_SL_SM_SN_EUlS10_E0_NS1_11comp_targetILNS1_3genE5ELNS1_11target_archE942ELNS1_3gpuE9ELNS1_3repE0EEENS1_38merge_mergepath_config_static_selectorELNS0_4arch9wavefront6targetE1EEEvSM_
    .private_segment_fixed_size: 0
    .sgpr_count:     4
    .sgpr_spill_count: 0
    .symbol:         _ZN7rocprim17ROCPRIM_400000_NS6detail17trampoline_kernelINS0_14default_configENS1_38merge_sort_block_merge_config_selectorIlNS0_10empty_typeEEEZZNS1_27merge_sort_block_merge_implIS3_PlPS5_mZN2at6native12_GLOBAL__N_124unique_dim_cuda_templateIbEESt5tupleIJNSA_6TensorESF_SF_EERKSF_lbbbEUlllE_EE10hipError_tT0_T1_T2_jT3_P12ihipStream_tbPNSt15iterator_traitsISL_E10value_typeEPNSR_ISM_E10value_typeEPSN_NS1_7vsmem_tEENKUlT_SL_SM_SN_E_clIS8_S8_S9_S9_EESK_S10_SL_SM_SN_EUlS10_E0_NS1_11comp_targetILNS1_3genE5ELNS1_11target_archE942ELNS1_3gpuE9ELNS1_3repE0EEENS1_38merge_mergepath_config_static_selectorELNS0_4arch9wavefront6targetE1EEEvSM_.kd
    .uniform_work_group_size: 1
    .uses_dynamic_stack: false
    .vgpr_count:     0
    .vgpr_spill_count: 0
    .wavefront_size: 64
  - .agpr_count:     0
    .args:
      - .offset:         0
        .size:           88
        .value_kind:     by_value
      - .offset:         88
        .size:           4
        .value_kind:     hidden_block_count_x
      - .offset:         92
        .size:           4
        .value_kind:     hidden_block_count_y
      - .offset:         96
        .size:           4
        .value_kind:     hidden_block_count_z
      - .offset:         100
        .size:           2
        .value_kind:     hidden_group_size_x
      - .offset:         102
        .size:           2
        .value_kind:     hidden_group_size_y
      - .offset:         104
        .size:           2
        .value_kind:     hidden_group_size_z
      - .offset:         106
        .size:           2
        .value_kind:     hidden_remainder_x
      - .offset:         108
        .size:           2
        .value_kind:     hidden_remainder_y
      - .offset:         110
        .size:           2
        .value_kind:     hidden_remainder_z
      - .offset:         128
        .size:           8
        .value_kind:     hidden_global_offset_x
      - .offset:         136
        .size:           8
        .value_kind:     hidden_global_offset_y
      - .offset:         144
        .size:           8
        .value_kind:     hidden_global_offset_z
      - .offset:         152
        .size:           2
        .value_kind:     hidden_grid_dims
    .group_segment_fixed_size: 8448
    .kernarg_segment_align: 8
    .kernarg_segment_size: 344
    .language:       OpenCL C
    .language_version:
      - 2
      - 0
    .max_flat_workgroup_size: 256
    .name:           _ZN7rocprim17ROCPRIM_400000_NS6detail17trampoline_kernelINS0_14default_configENS1_38merge_sort_block_merge_config_selectorIlNS0_10empty_typeEEEZZNS1_27merge_sort_block_merge_implIS3_PlPS5_mZN2at6native12_GLOBAL__N_124unique_dim_cuda_templateIbEESt5tupleIJNSA_6TensorESF_SF_EERKSF_lbbbEUlllE_EE10hipError_tT0_T1_T2_jT3_P12ihipStream_tbPNSt15iterator_traitsISL_E10value_typeEPNSR_ISM_E10value_typeEPSN_NS1_7vsmem_tEENKUlT_SL_SM_SN_E_clIS8_S8_S9_S9_EESK_S10_SL_SM_SN_EUlS10_E0_NS1_11comp_targetILNS1_3genE4ELNS1_11target_archE910ELNS1_3gpuE8ELNS1_3repE0EEENS1_38merge_mergepath_config_static_selectorELNS0_4arch9wavefront6targetE1EEEvSM_
    .private_segment_fixed_size: 0
    .sgpr_count:     54
    .sgpr_spill_count: 0
    .symbol:         _ZN7rocprim17ROCPRIM_400000_NS6detail17trampoline_kernelINS0_14default_configENS1_38merge_sort_block_merge_config_selectorIlNS0_10empty_typeEEEZZNS1_27merge_sort_block_merge_implIS3_PlPS5_mZN2at6native12_GLOBAL__N_124unique_dim_cuda_templateIbEESt5tupleIJNSA_6TensorESF_SF_EERKSF_lbbbEUlllE_EE10hipError_tT0_T1_T2_jT3_P12ihipStream_tbPNSt15iterator_traitsISL_E10value_typeEPNSR_ISM_E10value_typeEPSN_NS1_7vsmem_tEENKUlT_SL_SM_SN_E_clIS8_S8_S9_S9_EESK_S10_SL_SM_SN_EUlS10_E0_NS1_11comp_targetILNS1_3genE4ELNS1_11target_archE910ELNS1_3gpuE8ELNS1_3repE0EEENS1_38merge_mergepath_config_static_selectorELNS0_4arch9wavefront6targetE1EEEvSM_.kd
    .uniform_work_group_size: 1
    .uses_dynamic_stack: false
    .vgpr_count:     25
    .vgpr_spill_count: 0
    .wavefront_size: 64
  - .agpr_count:     0
    .args:
      - .offset:         0
        .size:           88
        .value_kind:     by_value
    .group_segment_fixed_size: 0
    .kernarg_segment_align: 8
    .kernarg_segment_size: 88
    .language:       OpenCL C
    .language_version:
      - 2
      - 0
    .max_flat_workgroup_size: 128
    .name:           _ZN7rocprim17ROCPRIM_400000_NS6detail17trampoline_kernelINS0_14default_configENS1_38merge_sort_block_merge_config_selectorIlNS0_10empty_typeEEEZZNS1_27merge_sort_block_merge_implIS3_PlPS5_mZN2at6native12_GLOBAL__N_124unique_dim_cuda_templateIbEESt5tupleIJNSA_6TensorESF_SF_EERKSF_lbbbEUlllE_EE10hipError_tT0_T1_T2_jT3_P12ihipStream_tbPNSt15iterator_traitsISL_E10value_typeEPNSR_ISM_E10value_typeEPSN_NS1_7vsmem_tEENKUlT_SL_SM_SN_E_clIS8_S8_S9_S9_EESK_S10_SL_SM_SN_EUlS10_E0_NS1_11comp_targetILNS1_3genE3ELNS1_11target_archE908ELNS1_3gpuE7ELNS1_3repE0EEENS1_38merge_mergepath_config_static_selectorELNS0_4arch9wavefront6targetE1EEEvSM_
    .private_segment_fixed_size: 0
    .sgpr_count:     4
    .sgpr_spill_count: 0
    .symbol:         _ZN7rocprim17ROCPRIM_400000_NS6detail17trampoline_kernelINS0_14default_configENS1_38merge_sort_block_merge_config_selectorIlNS0_10empty_typeEEEZZNS1_27merge_sort_block_merge_implIS3_PlPS5_mZN2at6native12_GLOBAL__N_124unique_dim_cuda_templateIbEESt5tupleIJNSA_6TensorESF_SF_EERKSF_lbbbEUlllE_EE10hipError_tT0_T1_T2_jT3_P12ihipStream_tbPNSt15iterator_traitsISL_E10value_typeEPNSR_ISM_E10value_typeEPSN_NS1_7vsmem_tEENKUlT_SL_SM_SN_E_clIS8_S8_S9_S9_EESK_S10_SL_SM_SN_EUlS10_E0_NS1_11comp_targetILNS1_3genE3ELNS1_11target_archE908ELNS1_3gpuE7ELNS1_3repE0EEENS1_38merge_mergepath_config_static_selectorELNS0_4arch9wavefront6targetE1EEEvSM_.kd
    .uniform_work_group_size: 1
    .uses_dynamic_stack: false
    .vgpr_count:     0
    .vgpr_spill_count: 0
    .wavefront_size: 64
  - .agpr_count:     0
    .args:
      - .offset:         0
        .size:           88
        .value_kind:     by_value
    .group_segment_fixed_size: 0
    .kernarg_segment_align: 8
    .kernarg_segment_size: 88
    .language:       OpenCL C
    .language_version:
      - 2
      - 0
    .max_flat_workgroup_size: 256
    .name:           _ZN7rocprim17ROCPRIM_400000_NS6detail17trampoline_kernelINS0_14default_configENS1_38merge_sort_block_merge_config_selectorIlNS0_10empty_typeEEEZZNS1_27merge_sort_block_merge_implIS3_PlPS5_mZN2at6native12_GLOBAL__N_124unique_dim_cuda_templateIbEESt5tupleIJNSA_6TensorESF_SF_EERKSF_lbbbEUlllE_EE10hipError_tT0_T1_T2_jT3_P12ihipStream_tbPNSt15iterator_traitsISL_E10value_typeEPNSR_ISM_E10value_typeEPSN_NS1_7vsmem_tEENKUlT_SL_SM_SN_E_clIS8_S8_S9_S9_EESK_S10_SL_SM_SN_EUlS10_E0_NS1_11comp_targetILNS1_3genE2ELNS1_11target_archE906ELNS1_3gpuE6ELNS1_3repE0EEENS1_38merge_mergepath_config_static_selectorELNS0_4arch9wavefront6targetE1EEEvSM_
    .private_segment_fixed_size: 0
    .sgpr_count:     4
    .sgpr_spill_count: 0
    .symbol:         _ZN7rocprim17ROCPRIM_400000_NS6detail17trampoline_kernelINS0_14default_configENS1_38merge_sort_block_merge_config_selectorIlNS0_10empty_typeEEEZZNS1_27merge_sort_block_merge_implIS3_PlPS5_mZN2at6native12_GLOBAL__N_124unique_dim_cuda_templateIbEESt5tupleIJNSA_6TensorESF_SF_EERKSF_lbbbEUlllE_EE10hipError_tT0_T1_T2_jT3_P12ihipStream_tbPNSt15iterator_traitsISL_E10value_typeEPNSR_ISM_E10value_typeEPSN_NS1_7vsmem_tEENKUlT_SL_SM_SN_E_clIS8_S8_S9_S9_EESK_S10_SL_SM_SN_EUlS10_E0_NS1_11comp_targetILNS1_3genE2ELNS1_11target_archE906ELNS1_3gpuE6ELNS1_3repE0EEENS1_38merge_mergepath_config_static_selectorELNS0_4arch9wavefront6targetE1EEEvSM_.kd
    .uniform_work_group_size: 1
    .uses_dynamic_stack: false
    .vgpr_count:     0
    .vgpr_spill_count: 0
    .wavefront_size: 64
  - .agpr_count:     0
    .args:
      - .offset:         0
        .size:           88
        .value_kind:     by_value
    .group_segment_fixed_size: 0
    .kernarg_segment_align: 8
    .kernarg_segment_size: 88
    .language:       OpenCL C
    .language_version:
      - 2
      - 0
    .max_flat_workgroup_size: 512
    .name:           _ZN7rocprim17ROCPRIM_400000_NS6detail17trampoline_kernelINS0_14default_configENS1_38merge_sort_block_merge_config_selectorIlNS0_10empty_typeEEEZZNS1_27merge_sort_block_merge_implIS3_PlPS5_mZN2at6native12_GLOBAL__N_124unique_dim_cuda_templateIbEESt5tupleIJNSA_6TensorESF_SF_EERKSF_lbbbEUlllE_EE10hipError_tT0_T1_T2_jT3_P12ihipStream_tbPNSt15iterator_traitsISL_E10value_typeEPNSR_ISM_E10value_typeEPSN_NS1_7vsmem_tEENKUlT_SL_SM_SN_E_clIS8_S8_S9_S9_EESK_S10_SL_SM_SN_EUlS10_E0_NS1_11comp_targetILNS1_3genE9ELNS1_11target_archE1100ELNS1_3gpuE3ELNS1_3repE0EEENS1_38merge_mergepath_config_static_selectorELNS0_4arch9wavefront6targetE1EEEvSM_
    .private_segment_fixed_size: 0
    .sgpr_count:     4
    .sgpr_spill_count: 0
    .symbol:         _ZN7rocprim17ROCPRIM_400000_NS6detail17trampoline_kernelINS0_14default_configENS1_38merge_sort_block_merge_config_selectorIlNS0_10empty_typeEEEZZNS1_27merge_sort_block_merge_implIS3_PlPS5_mZN2at6native12_GLOBAL__N_124unique_dim_cuda_templateIbEESt5tupleIJNSA_6TensorESF_SF_EERKSF_lbbbEUlllE_EE10hipError_tT0_T1_T2_jT3_P12ihipStream_tbPNSt15iterator_traitsISL_E10value_typeEPNSR_ISM_E10value_typeEPSN_NS1_7vsmem_tEENKUlT_SL_SM_SN_E_clIS8_S8_S9_S9_EESK_S10_SL_SM_SN_EUlS10_E0_NS1_11comp_targetILNS1_3genE9ELNS1_11target_archE1100ELNS1_3gpuE3ELNS1_3repE0EEENS1_38merge_mergepath_config_static_selectorELNS0_4arch9wavefront6targetE1EEEvSM_.kd
    .uniform_work_group_size: 1
    .uses_dynamic_stack: false
    .vgpr_count:     0
    .vgpr_spill_count: 0
    .wavefront_size: 64
  - .agpr_count:     0
    .args:
      - .offset:         0
        .size:           88
        .value_kind:     by_value
    .group_segment_fixed_size: 0
    .kernarg_segment_align: 8
    .kernarg_segment_size: 88
    .language:       OpenCL C
    .language_version:
      - 2
      - 0
    .max_flat_workgroup_size: 1024
    .name:           _ZN7rocprim17ROCPRIM_400000_NS6detail17trampoline_kernelINS0_14default_configENS1_38merge_sort_block_merge_config_selectorIlNS0_10empty_typeEEEZZNS1_27merge_sort_block_merge_implIS3_PlPS5_mZN2at6native12_GLOBAL__N_124unique_dim_cuda_templateIbEESt5tupleIJNSA_6TensorESF_SF_EERKSF_lbbbEUlllE_EE10hipError_tT0_T1_T2_jT3_P12ihipStream_tbPNSt15iterator_traitsISL_E10value_typeEPNSR_ISM_E10value_typeEPSN_NS1_7vsmem_tEENKUlT_SL_SM_SN_E_clIS8_S8_S9_S9_EESK_S10_SL_SM_SN_EUlS10_E0_NS1_11comp_targetILNS1_3genE8ELNS1_11target_archE1030ELNS1_3gpuE2ELNS1_3repE0EEENS1_38merge_mergepath_config_static_selectorELNS0_4arch9wavefront6targetE1EEEvSM_
    .private_segment_fixed_size: 0
    .sgpr_count:     4
    .sgpr_spill_count: 0
    .symbol:         _ZN7rocprim17ROCPRIM_400000_NS6detail17trampoline_kernelINS0_14default_configENS1_38merge_sort_block_merge_config_selectorIlNS0_10empty_typeEEEZZNS1_27merge_sort_block_merge_implIS3_PlPS5_mZN2at6native12_GLOBAL__N_124unique_dim_cuda_templateIbEESt5tupleIJNSA_6TensorESF_SF_EERKSF_lbbbEUlllE_EE10hipError_tT0_T1_T2_jT3_P12ihipStream_tbPNSt15iterator_traitsISL_E10value_typeEPNSR_ISM_E10value_typeEPSN_NS1_7vsmem_tEENKUlT_SL_SM_SN_E_clIS8_S8_S9_S9_EESK_S10_SL_SM_SN_EUlS10_E0_NS1_11comp_targetILNS1_3genE8ELNS1_11target_archE1030ELNS1_3gpuE2ELNS1_3repE0EEENS1_38merge_mergepath_config_static_selectorELNS0_4arch9wavefront6targetE1EEEvSM_.kd
    .uniform_work_group_size: 1
    .uses_dynamic_stack: false
    .vgpr_count:     0
    .vgpr_spill_count: 0
    .wavefront_size: 64
  - .agpr_count:     0
    .args:
      - .offset:         0
        .size:           64
        .value_kind:     by_value
    .group_segment_fixed_size: 0
    .kernarg_segment_align: 8
    .kernarg_segment_size: 64
    .language:       OpenCL C
    .language_version:
      - 2
      - 0
    .max_flat_workgroup_size: 256
    .name:           _ZN7rocprim17ROCPRIM_400000_NS6detail17trampoline_kernelINS0_14default_configENS1_38merge_sort_block_merge_config_selectorIlNS0_10empty_typeEEEZZNS1_27merge_sort_block_merge_implIS3_PlPS5_mZN2at6native12_GLOBAL__N_124unique_dim_cuda_templateIbEESt5tupleIJNSA_6TensorESF_SF_EERKSF_lbbbEUlllE_EE10hipError_tT0_T1_T2_jT3_P12ihipStream_tbPNSt15iterator_traitsISL_E10value_typeEPNSR_ISM_E10value_typeEPSN_NS1_7vsmem_tEENKUlT_SL_SM_SN_E_clIS8_S8_S9_S9_EESK_S10_SL_SM_SN_EUlS10_E1_NS1_11comp_targetILNS1_3genE0ELNS1_11target_archE4294967295ELNS1_3gpuE0ELNS1_3repE0EEENS1_36merge_oddeven_config_static_selectorELNS0_4arch9wavefront6targetE1EEEvSM_
    .private_segment_fixed_size: 0
    .sgpr_count:     4
    .sgpr_spill_count: 0
    .symbol:         _ZN7rocprim17ROCPRIM_400000_NS6detail17trampoline_kernelINS0_14default_configENS1_38merge_sort_block_merge_config_selectorIlNS0_10empty_typeEEEZZNS1_27merge_sort_block_merge_implIS3_PlPS5_mZN2at6native12_GLOBAL__N_124unique_dim_cuda_templateIbEESt5tupleIJNSA_6TensorESF_SF_EERKSF_lbbbEUlllE_EE10hipError_tT0_T1_T2_jT3_P12ihipStream_tbPNSt15iterator_traitsISL_E10value_typeEPNSR_ISM_E10value_typeEPSN_NS1_7vsmem_tEENKUlT_SL_SM_SN_E_clIS8_S8_S9_S9_EESK_S10_SL_SM_SN_EUlS10_E1_NS1_11comp_targetILNS1_3genE0ELNS1_11target_archE4294967295ELNS1_3gpuE0ELNS1_3repE0EEENS1_36merge_oddeven_config_static_selectorELNS0_4arch9wavefront6targetE1EEEvSM_.kd
    .uniform_work_group_size: 1
    .uses_dynamic_stack: false
    .vgpr_count:     0
    .vgpr_spill_count: 0
    .wavefront_size: 64
  - .agpr_count:     0
    .args:
      - .offset:         0
        .size:           64
        .value_kind:     by_value
    .group_segment_fixed_size: 0
    .kernarg_segment_align: 8
    .kernarg_segment_size: 64
    .language:       OpenCL C
    .language_version:
      - 2
      - 0
    .max_flat_workgroup_size: 256
    .name:           _ZN7rocprim17ROCPRIM_400000_NS6detail17trampoline_kernelINS0_14default_configENS1_38merge_sort_block_merge_config_selectorIlNS0_10empty_typeEEEZZNS1_27merge_sort_block_merge_implIS3_PlPS5_mZN2at6native12_GLOBAL__N_124unique_dim_cuda_templateIbEESt5tupleIJNSA_6TensorESF_SF_EERKSF_lbbbEUlllE_EE10hipError_tT0_T1_T2_jT3_P12ihipStream_tbPNSt15iterator_traitsISL_E10value_typeEPNSR_ISM_E10value_typeEPSN_NS1_7vsmem_tEENKUlT_SL_SM_SN_E_clIS8_S8_S9_S9_EESK_S10_SL_SM_SN_EUlS10_E1_NS1_11comp_targetILNS1_3genE10ELNS1_11target_archE1201ELNS1_3gpuE5ELNS1_3repE0EEENS1_36merge_oddeven_config_static_selectorELNS0_4arch9wavefront6targetE1EEEvSM_
    .private_segment_fixed_size: 0
    .sgpr_count:     4
    .sgpr_spill_count: 0
    .symbol:         _ZN7rocprim17ROCPRIM_400000_NS6detail17trampoline_kernelINS0_14default_configENS1_38merge_sort_block_merge_config_selectorIlNS0_10empty_typeEEEZZNS1_27merge_sort_block_merge_implIS3_PlPS5_mZN2at6native12_GLOBAL__N_124unique_dim_cuda_templateIbEESt5tupleIJNSA_6TensorESF_SF_EERKSF_lbbbEUlllE_EE10hipError_tT0_T1_T2_jT3_P12ihipStream_tbPNSt15iterator_traitsISL_E10value_typeEPNSR_ISM_E10value_typeEPSN_NS1_7vsmem_tEENKUlT_SL_SM_SN_E_clIS8_S8_S9_S9_EESK_S10_SL_SM_SN_EUlS10_E1_NS1_11comp_targetILNS1_3genE10ELNS1_11target_archE1201ELNS1_3gpuE5ELNS1_3repE0EEENS1_36merge_oddeven_config_static_selectorELNS0_4arch9wavefront6targetE1EEEvSM_.kd
    .uniform_work_group_size: 1
    .uses_dynamic_stack: false
    .vgpr_count:     0
    .vgpr_spill_count: 0
    .wavefront_size: 64
  - .agpr_count:     0
    .args:
      - .offset:         0
        .size:           64
        .value_kind:     by_value
    .group_segment_fixed_size: 0
    .kernarg_segment_align: 8
    .kernarg_segment_size: 64
    .language:       OpenCL C
    .language_version:
      - 2
      - 0
    .max_flat_workgroup_size: 256
    .name:           _ZN7rocprim17ROCPRIM_400000_NS6detail17trampoline_kernelINS0_14default_configENS1_38merge_sort_block_merge_config_selectorIlNS0_10empty_typeEEEZZNS1_27merge_sort_block_merge_implIS3_PlPS5_mZN2at6native12_GLOBAL__N_124unique_dim_cuda_templateIbEESt5tupleIJNSA_6TensorESF_SF_EERKSF_lbbbEUlllE_EE10hipError_tT0_T1_T2_jT3_P12ihipStream_tbPNSt15iterator_traitsISL_E10value_typeEPNSR_ISM_E10value_typeEPSN_NS1_7vsmem_tEENKUlT_SL_SM_SN_E_clIS8_S8_S9_S9_EESK_S10_SL_SM_SN_EUlS10_E1_NS1_11comp_targetILNS1_3genE5ELNS1_11target_archE942ELNS1_3gpuE9ELNS1_3repE0EEENS1_36merge_oddeven_config_static_selectorELNS0_4arch9wavefront6targetE1EEEvSM_
    .private_segment_fixed_size: 0
    .sgpr_count:     4
    .sgpr_spill_count: 0
    .symbol:         _ZN7rocprim17ROCPRIM_400000_NS6detail17trampoline_kernelINS0_14default_configENS1_38merge_sort_block_merge_config_selectorIlNS0_10empty_typeEEEZZNS1_27merge_sort_block_merge_implIS3_PlPS5_mZN2at6native12_GLOBAL__N_124unique_dim_cuda_templateIbEESt5tupleIJNSA_6TensorESF_SF_EERKSF_lbbbEUlllE_EE10hipError_tT0_T1_T2_jT3_P12ihipStream_tbPNSt15iterator_traitsISL_E10value_typeEPNSR_ISM_E10value_typeEPSN_NS1_7vsmem_tEENKUlT_SL_SM_SN_E_clIS8_S8_S9_S9_EESK_S10_SL_SM_SN_EUlS10_E1_NS1_11comp_targetILNS1_3genE5ELNS1_11target_archE942ELNS1_3gpuE9ELNS1_3repE0EEENS1_36merge_oddeven_config_static_selectorELNS0_4arch9wavefront6targetE1EEEvSM_.kd
    .uniform_work_group_size: 1
    .uses_dynamic_stack: false
    .vgpr_count:     0
    .vgpr_spill_count: 0
    .wavefront_size: 64
  - .agpr_count:     0
    .args:
      - .offset:         0
        .size:           64
        .value_kind:     by_value
    .group_segment_fixed_size: 0
    .kernarg_segment_align: 8
    .kernarg_segment_size: 64
    .language:       OpenCL C
    .language_version:
      - 2
      - 0
    .max_flat_workgroup_size: 256
    .name:           _ZN7rocprim17ROCPRIM_400000_NS6detail17trampoline_kernelINS0_14default_configENS1_38merge_sort_block_merge_config_selectorIlNS0_10empty_typeEEEZZNS1_27merge_sort_block_merge_implIS3_PlPS5_mZN2at6native12_GLOBAL__N_124unique_dim_cuda_templateIbEESt5tupleIJNSA_6TensorESF_SF_EERKSF_lbbbEUlllE_EE10hipError_tT0_T1_T2_jT3_P12ihipStream_tbPNSt15iterator_traitsISL_E10value_typeEPNSR_ISM_E10value_typeEPSN_NS1_7vsmem_tEENKUlT_SL_SM_SN_E_clIS8_S8_S9_S9_EESK_S10_SL_SM_SN_EUlS10_E1_NS1_11comp_targetILNS1_3genE4ELNS1_11target_archE910ELNS1_3gpuE8ELNS1_3repE0EEENS1_36merge_oddeven_config_static_selectorELNS0_4arch9wavefront6targetE1EEEvSM_
    .private_segment_fixed_size: 0
    .sgpr_count:     50
    .sgpr_spill_count: 0
    .symbol:         _ZN7rocprim17ROCPRIM_400000_NS6detail17trampoline_kernelINS0_14default_configENS1_38merge_sort_block_merge_config_selectorIlNS0_10empty_typeEEEZZNS1_27merge_sort_block_merge_implIS3_PlPS5_mZN2at6native12_GLOBAL__N_124unique_dim_cuda_templateIbEESt5tupleIJNSA_6TensorESF_SF_EERKSF_lbbbEUlllE_EE10hipError_tT0_T1_T2_jT3_P12ihipStream_tbPNSt15iterator_traitsISL_E10value_typeEPNSR_ISM_E10value_typeEPSN_NS1_7vsmem_tEENKUlT_SL_SM_SN_E_clIS8_S8_S9_S9_EESK_S10_SL_SM_SN_EUlS10_E1_NS1_11comp_targetILNS1_3genE4ELNS1_11target_archE910ELNS1_3gpuE8ELNS1_3repE0EEENS1_36merge_oddeven_config_static_selectorELNS0_4arch9wavefront6targetE1EEEvSM_.kd
    .uniform_work_group_size: 1
    .uses_dynamic_stack: false
    .vgpr_count:     20
    .vgpr_spill_count: 0
    .wavefront_size: 64
  - .agpr_count:     0
    .args:
      - .offset:         0
        .size:           64
        .value_kind:     by_value
    .group_segment_fixed_size: 0
    .kernarg_segment_align: 8
    .kernarg_segment_size: 64
    .language:       OpenCL C
    .language_version:
      - 2
      - 0
    .max_flat_workgroup_size: 256
    .name:           _ZN7rocprim17ROCPRIM_400000_NS6detail17trampoline_kernelINS0_14default_configENS1_38merge_sort_block_merge_config_selectorIlNS0_10empty_typeEEEZZNS1_27merge_sort_block_merge_implIS3_PlPS5_mZN2at6native12_GLOBAL__N_124unique_dim_cuda_templateIbEESt5tupleIJNSA_6TensorESF_SF_EERKSF_lbbbEUlllE_EE10hipError_tT0_T1_T2_jT3_P12ihipStream_tbPNSt15iterator_traitsISL_E10value_typeEPNSR_ISM_E10value_typeEPSN_NS1_7vsmem_tEENKUlT_SL_SM_SN_E_clIS8_S8_S9_S9_EESK_S10_SL_SM_SN_EUlS10_E1_NS1_11comp_targetILNS1_3genE3ELNS1_11target_archE908ELNS1_3gpuE7ELNS1_3repE0EEENS1_36merge_oddeven_config_static_selectorELNS0_4arch9wavefront6targetE1EEEvSM_
    .private_segment_fixed_size: 0
    .sgpr_count:     4
    .sgpr_spill_count: 0
    .symbol:         _ZN7rocprim17ROCPRIM_400000_NS6detail17trampoline_kernelINS0_14default_configENS1_38merge_sort_block_merge_config_selectorIlNS0_10empty_typeEEEZZNS1_27merge_sort_block_merge_implIS3_PlPS5_mZN2at6native12_GLOBAL__N_124unique_dim_cuda_templateIbEESt5tupleIJNSA_6TensorESF_SF_EERKSF_lbbbEUlllE_EE10hipError_tT0_T1_T2_jT3_P12ihipStream_tbPNSt15iterator_traitsISL_E10value_typeEPNSR_ISM_E10value_typeEPSN_NS1_7vsmem_tEENKUlT_SL_SM_SN_E_clIS8_S8_S9_S9_EESK_S10_SL_SM_SN_EUlS10_E1_NS1_11comp_targetILNS1_3genE3ELNS1_11target_archE908ELNS1_3gpuE7ELNS1_3repE0EEENS1_36merge_oddeven_config_static_selectorELNS0_4arch9wavefront6targetE1EEEvSM_.kd
    .uniform_work_group_size: 1
    .uses_dynamic_stack: false
    .vgpr_count:     0
    .vgpr_spill_count: 0
    .wavefront_size: 64
  - .agpr_count:     0
    .args:
      - .offset:         0
        .size:           64
        .value_kind:     by_value
    .group_segment_fixed_size: 0
    .kernarg_segment_align: 8
    .kernarg_segment_size: 64
    .language:       OpenCL C
    .language_version:
      - 2
      - 0
    .max_flat_workgroup_size: 256
    .name:           _ZN7rocprim17ROCPRIM_400000_NS6detail17trampoline_kernelINS0_14default_configENS1_38merge_sort_block_merge_config_selectorIlNS0_10empty_typeEEEZZNS1_27merge_sort_block_merge_implIS3_PlPS5_mZN2at6native12_GLOBAL__N_124unique_dim_cuda_templateIbEESt5tupleIJNSA_6TensorESF_SF_EERKSF_lbbbEUlllE_EE10hipError_tT0_T1_T2_jT3_P12ihipStream_tbPNSt15iterator_traitsISL_E10value_typeEPNSR_ISM_E10value_typeEPSN_NS1_7vsmem_tEENKUlT_SL_SM_SN_E_clIS8_S8_S9_S9_EESK_S10_SL_SM_SN_EUlS10_E1_NS1_11comp_targetILNS1_3genE2ELNS1_11target_archE906ELNS1_3gpuE6ELNS1_3repE0EEENS1_36merge_oddeven_config_static_selectorELNS0_4arch9wavefront6targetE1EEEvSM_
    .private_segment_fixed_size: 0
    .sgpr_count:     4
    .sgpr_spill_count: 0
    .symbol:         _ZN7rocprim17ROCPRIM_400000_NS6detail17trampoline_kernelINS0_14default_configENS1_38merge_sort_block_merge_config_selectorIlNS0_10empty_typeEEEZZNS1_27merge_sort_block_merge_implIS3_PlPS5_mZN2at6native12_GLOBAL__N_124unique_dim_cuda_templateIbEESt5tupleIJNSA_6TensorESF_SF_EERKSF_lbbbEUlllE_EE10hipError_tT0_T1_T2_jT3_P12ihipStream_tbPNSt15iterator_traitsISL_E10value_typeEPNSR_ISM_E10value_typeEPSN_NS1_7vsmem_tEENKUlT_SL_SM_SN_E_clIS8_S8_S9_S9_EESK_S10_SL_SM_SN_EUlS10_E1_NS1_11comp_targetILNS1_3genE2ELNS1_11target_archE906ELNS1_3gpuE6ELNS1_3repE0EEENS1_36merge_oddeven_config_static_selectorELNS0_4arch9wavefront6targetE1EEEvSM_.kd
    .uniform_work_group_size: 1
    .uses_dynamic_stack: false
    .vgpr_count:     0
    .vgpr_spill_count: 0
    .wavefront_size: 64
  - .agpr_count:     0
    .args:
      - .offset:         0
        .size:           64
        .value_kind:     by_value
    .group_segment_fixed_size: 0
    .kernarg_segment_align: 8
    .kernarg_segment_size: 64
    .language:       OpenCL C
    .language_version:
      - 2
      - 0
    .max_flat_workgroup_size: 256
    .name:           _ZN7rocprim17ROCPRIM_400000_NS6detail17trampoline_kernelINS0_14default_configENS1_38merge_sort_block_merge_config_selectorIlNS0_10empty_typeEEEZZNS1_27merge_sort_block_merge_implIS3_PlPS5_mZN2at6native12_GLOBAL__N_124unique_dim_cuda_templateIbEESt5tupleIJNSA_6TensorESF_SF_EERKSF_lbbbEUlllE_EE10hipError_tT0_T1_T2_jT3_P12ihipStream_tbPNSt15iterator_traitsISL_E10value_typeEPNSR_ISM_E10value_typeEPSN_NS1_7vsmem_tEENKUlT_SL_SM_SN_E_clIS8_S8_S9_S9_EESK_S10_SL_SM_SN_EUlS10_E1_NS1_11comp_targetILNS1_3genE9ELNS1_11target_archE1100ELNS1_3gpuE3ELNS1_3repE0EEENS1_36merge_oddeven_config_static_selectorELNS0_4arch9wavefront6targetE1EEEvSM_
    .private_segment_fixed_size: 0
    .sgpr_count:     4
    .sgpr_spill_count: 0
    .symbol:         _ZN7rocprim17ROCPRIM_400000_NS6detail17trampoline_kernelINS0_14default_configENS1_38merge_sort_block_merge_config_selectorIlNS0_10empty_typeEEEZZNS1_27merge_sort_block_merge_implIS3_PlPS5_mZN2at6native12_GLOBAL__N_124unique_dim_cuda_templateIbEESt5tupleIJNSA_6TensorESF_SF_EERKSF_lbbbEUlllE_EE10hipError_tT0_T1_T2_jT3_P12ihipStream_tbPNSt15iterator_traitsISL_E10value_typeEPNSR_ISM_E10value_typeEPSN_NS1_7vsmem_tEENKUlT_SL_SM_SN_E_clIS8_S8_S9_S9_EESK_S10_SL_SM_SN_EUlS10_E1_NS1_11comp_targetILNS1_3genE9ELNS1_11target_archE1100ELNS1_3gpuE3ELNS1_3repE0EEENS1_36merge_oddeven_config_static_selectorELNS0_4arch9wavefront6targetE1EEEvSM_.kd
    .uniform_work_group_size: 1
    .uses_dynamic_stack: false
    .vgpr_count:     0
    .vgpr_spill_count: 0
    .wavefront_size: 64
  - .agpr_count:     0
    .args:
      - .offset:         0
        .size:           64
        .value_kind:     by_value
    .group_segment_fixed_size: 0
    .kernarg_segment_align: 8
    .kernarg_segment_size: 64
    .language:       OpenCL C
    .language_version:
      - 2
      - 0
    .max_flat_workgroup_size: 256
    .name:           _ZN7rocprim17ROCPRIM_400000_NS6detail17trampoline_kernelINS0_14default_configENS1_38merge_sort_block_merge_config_selectorIlNS0_10empty_typeEEEZZNS1_27merge_sort_block_merge_implIS3_PlPS5_mZN2at6native12_GLOBAL__N_124unique_dim_cuda_templateIbEESt5tupleIJNSA_6TensorESF_SF_EERKSF_lbbbEUlllE_EE10hipError_tT0_T1_T2_jT3_P12ihipStream_tbPNSt15iterator_traitsISL_E10value_typeEPNSR_ISM_E10value_typeEPSN_NS1_7vsmem_tEENKUlT_SL_SM_SN_E_clIS8_S8_S9_S9_EESK_S10_SL_SM_SN_EUlS10_E1_NS1_11comp_targetILNS1_3genE8ELNS1_11target_archE1030ELNS1_3gpuE2ELNS1_3repE0EEENS1_36merge_oddeven_config_static_selectorELNS0_4arch9wavefront6targetE1EEEvSM_
    .private_segment_fixed_size: 0
    .sgpr_count:     4
    .sgpr_spill_count: 0
    .symbol:         _ZN7rocprim17ROCPRIM_400000_NS6detail17trampoline_kernelINS0_14default_configENS1_38merge_sort_block_merge_config_selectorIlNS0_10empty_typeEEEZZNS1_27merge_sort_block_merge_implIS3_PlPS5_mZN2at6native12_GLOBAL__N_124unique_dim_cuda_templateIbEESt5tupleIJNSA_6TensorESF_SF_EERKSF_lbbbEUlllE_EE10hipError_tT0_T1_T2_jT3_P12ihipStream_tbPNSt15iterator_traitsISL_E10value_typeEPNSR_ISM_E10value_typeEPSN_NS1_7vsmem_tEENKUlT_SL_SM_SN_E_clIS8_S8_S9_S9_EESK_S10_SL_SM_SN_EUlS10_E1_NS1_11comp_targetILNS1_3genE8ELNS1_11target_archE1030ELNS1_3gpuE2ELNS1_3repE0EEENS1_36merge_oddeven_config_static_selectorELNS0_4arch9wavefront6targetE1EEEvSM_.kd
    .uniform_work_group_size: 1
    .uses_dynamic_stack: false
    .vgpr_count:     0
    .vgpr_spill_count: 0
    .wavefront_size: 64
  - .agpr_count:     0
    .args:
      - .offset:         0
        .size:           64
        .value_kind:     by_value
    .group_segment_fixed_size: 0
    .kernarg_segment_align: 8
    .kernarg_segment_size: 64
    .language:       OpenCL C
    .language_version:
      - 2
      - 0
    .max_flat_workgroup_size: 128
    .name:           _ZN7rocprim17ROCPRIM_400000_NS6detail17trampoline_kernelINS0_14default_configENS1_35adjacent_difference_config_selectorILb0ElEEZNS1_24adjacent_difference_implIS3_Lb0ELb0EPlS7_ZN2at6native12_GLOBAL__N_124unique_dim_cuda_templateIbEESt5tupleIJNS8_6TensorESD_SD_EERKSD_lbbbEUlllE1_EE10hipError_tPvRmT2_T3_mT4_P12ihipStream_tbEUlT_E_NS1_11comp_targetILNS1_3genE0ELNS1_11target_archE4294967295ELNS1_3gpuE0ELNS1_3repE0EEENS1_30default_config_static_selectorELNS0_4arch9wavefront6targetE1EEEvT1_
    .private_segment_fixed_size: 0
    .sgpr_count:     4
    .sgpr_spill_count: 0
    .symbol:         _ZN7rocprim17ROCPRIM_400000_NS6detail17trampoline_kernelINS0_14default_configENS1_35adjacent_difference_config_selectorILb0ElEEZNS1_24adjacent_difference_implIS3_Lb0ELb0EPlS7_ZN2at6native12_GLOBAL__N_124unique_dim_cuda_templateIbEESt5tupleIJNS8_6TensorESD_SD_EERKSD_lbbbEUlllE1_EE10hipError_tPvRmT2_T3_mT4_P12ihipStream_tbEUlT_E_NS1_11comp_targetILNS1_3genE0ELNS1_11target_archE4294967295ELNS1_3gpuE0ELNS1_3repE0EEENS1_30default_config_static_selectorELNS0_4arch9wavefront6targetE1EEEvT1_.kd
    .uniform_work_group_size: 1
    .uses_dynamic_stack: false
    .vgpr_count:     0
    .vgpr_spill_count: 0
    .wavefront_size: 64
  - .agpr_count:     0
    .args:
      - .offset:         0
        .size:           64
        .value_kind:     by_value
    .group_segment_fixed_size: 0
    .kernarg_segment_align: 8
    .kernarg_segment_size: 64
    .language:       OpenCL C
    .language_version:
      - 2
      - 0
    .max_flat_workgroup_size: 128
    .name:           _ZN7rocprim17ROCPRIM_400000_NS6detail17trampoline_kernelINS0_14default_configENS1_35adjacent_difference_config_selectorILb0ElEEZNS1_24adjacent_difference_implIS3_Lb0ELb0EPlS7_ZN2at6native12_GLOBAL__N_124unique_dim_cuda_templateIbEESt5tupleIJNS8_6TensorESD_SD_EERKSD_lbbbEUlllE1_EE10hipError_tPvRmT2_T3_mT4_P12ihipStream_tbEUlT_E_NS1_11comp_targetILNS1_3genE10ELNS1_11target_archE1201ELNS1_3gpuE5ELNS1_3repE0EEENS1_30default_config_static_selectorELNS0_4arch9wavefront6targetE1EEEvT1_
    .private_segment_fixed_size: 0
    .sgpr_count:     4
    .sgpr_spill_count: 0
    .symbol:         _ZN7rocprim17ROCPRIM_400000_NS6detail17trampoline_kernelINS0_14default_configENS1_35adjacent_difference_config_selectorILb0ElEEZNS1_24adjacent_difference_implIS3_Lb0ELb0EPlS7_ZN2at6native12_GLOBAL__N_124unique_dim_cuda_templateIbEESt5tupleIJNS8_6TensorESD_SD_EERKSD_lbbbEUlllE1_EE10hipError_tPvRmT2_T3_mT4_P12ihipStream_tbEUlT_E_NS1_11comp_targetILNS1_3genE10ELNS1_11target_archE1201ELNS1_3gpuE5ELNS1_3repE0EEENS1_30default_config_static_selectorELNS0_4arch9wavefront6targetE1EEEvT1_.kd
    .uniform_work_group_size: 1
    .uses_dynamic_stack: false
    .vgpr_count:     0
    .vgpr_spill_count: 0
    .wavefront_size: 64
  - .agpr_count:     0
    .args:
      - .offset:         0
        .size:           64
        .value_kind:     by_value
    .group_segment_fixed_size: 0
    .kernarg_segment_align: 8
    .kernarg_segment_size: 64
    .language:       OpenCL C
    .language_version:
      - 2
      - 0
    .max_flat_workgroup_size: 64
    .name:           _ZN7rocprim17ROCPRIM_400000_NS6detail17trampoline_kernelINS0_14default_configENS1_35adjacent_difference_config_selectorILb0ElEEZNS1_24adjacent_difference_implIS3_Lb0ELb0EPlS7_ZN2at6native12_GLOBAL__N_124unique_dim_cuda_templateIbEESt5tupleIJNS8_6TensorESD_SD_EERKSD_lbbbEUlllE1_EE10hipError_tPvRmT2_T3_mT4_P12ihipStream_tbEUlT_E_NS1_11comp_targetILNS1_3genE5ELNS1_11target_archE942ELNS1_3gpuE9ELNS1_3repE0EEENS1_30default_config_static_selectorELNS0_4arch9wavefront6targetE1EEEvT1_
    .private_segment_fixed_size: 0
    .sgpr_count:     4
    .sgpr_spill_count: 0
    .symbol:         _ZN7rocprim17ROCPRIM_400000_NS6detail17trampoline_kernelINS0_14default_configENS1_35adjacent_difference_config_selectorILb0ElEEZNS1_24adjacent_difference_implIS3_Lb0ELb0EPlS7_ZN2at6native12_GLOBAL__N_124unique_dim_cuda_templateIbEESt5tupleIJNS8_6TensorESD_SD_EERKSD_lbbbEUlllE1_EE10hipError_tPvRmT2_T3_mT4_P12ihipStream_tbEUlT_E_NS1_11comp_targetILNS1_3genE5ELNS1_11target_archE942ELNS1_3gpuE9ELNS1_3repE0EEENS1_30default_config_static_selectorELNS0_4arch9wavefront6targetE1EEEvT1_.kd
    .uniform_work_group_size: 1
    .uses_dynamic_stack: false
    .vgpr_count:     0
    .vgpr_spill_count: 0
    .wavefront_size: 64
  - .agpr_count:     0
    .args:
      - .offset:         0
        .size:           64
        .value_kind:     by_value
    .group_segment_fixed_size: 4224
    .kernarg_segment_align: 8
    .kernarg_segment_size: 64
    .language:       OpenCL C
    .language_version:
      - 2
      - 0
    .max_flat_workgroup_size: 256
    .name:           _ZN7rocprim17ROCPRIM_400000_NS6detail17trampoline_kernelINS0_14default_configENS1_35adjacent_difference_config_selectorILb0ElEEZNS1_24adjacent_difference_implIS3_Lb0ELb0EPlS7_ZN2at6native12_GLOBAL__N_124unique_dim_cuda_templateIbEESt5tupleIJNS8_6TensorESD_SD_EERKSD_lbbbEUlllE1_EE10hipError_tPvRmT2_T3_mT4_P12ihipStream_tbEUlT_E_NS1_11comp_targetILNS1_3genE4ELNS1_11target_archE910ELNS1_3gpuE8ELNS1_3repE0EEENS1_30default_config_static_selectorELNS0_4arch9wavefront6targetE1EEEvT1_
    .private_segment_fixed_size: 0
    .sgpr_count:     42
    .sgpr_spill_count: 0
    .symbol:         _ZN7rocprim17ROCPRIM_400000_NS6detail17trampoline_kernelINS0_14default_configENS1_35adjacent_difference_config_selectorILb0ElEEZNS1_24adjacent_difference_implIS3_Lb0ELb0EPlS7_ZN2at6native12_GLOBAL__N_124unique_dim_cuda_templateIbEESt5tupleIJNS8_6TensorESD_SD_EERKSD_lbbbEUlllE1_EE10hipError_tPvRmT2_T3_mT4_P12ihipStream_tbEUlT_E_NS1_11comp_targetILNS1_3genE4ELNS1_11target_archE910ELNS1_3gpuE8ELNS1_3repE0EEENS1_30default_config_static_selectorELNS0_4arch9wavefront6targetE1EEEvT1_.kd
    .uniform_work_group_size: 1
    .uses_dynamic_stack: false
    .vgpr_count:     18
    .vgpr_spill_count: 0
    .wavefront_size: 64
  - .agpr_count:     0
    .args:
      - .offset:         0
        .size:           64
        .value_kind:     by_value
    .group_segment_fixed_size: 0
    .kernarg_segment_align: 8
    .kernarg_segment_size: 64
    .language:       OpenCL C
    .language_version:
      - 2
      - 0
    .max_flat_workgroup_size: 128
    .name:           _ZN7rocprim17ROCPRIM_400000_NS6detail17trampoline_kernelINS0_14default_configENS1_35adjacent_difference_config_selectorILb0ElEEZNS1_24adjacent_difference_implIS3_Lb0ELb0EPlS7_ZN2at6native12_GLOBAL__N_124unique_dim_cuda_templateIbEESt5tupleIJNS8_6TensorESD_SD_EERKSD_lbbbEUlllE1_EE10hipError_tPvRmT2_T3_mT4_P12ihipStream_tbEUlT_E_NS1_11comp_targetILNS1_3genE3ELNS1_11target_archE908ELNS1_3gpuE7ELNS1_3repE0EEENS1_30default_config_static_selectorELNS0_4arch9wavefront6targetE1EEEvT1_
    .private_segment_fixed_size: 0
    .sgpr_count:     4
    .sgpr_spill_count: 0
    .symbol:         _ZN7rocprim17ROCPRIM_400000_NS6detail17trampoline_kernelINS0_14default_configENS1_35adjacent_difference_config_selectorILb0ElEEZNS1_24adjacent_difference_implIS3_Lb0ELb0EPlS7_ZN2at6native12_GLOBAL__N_124unique_dim_cuda_templateIbEESt5tupleIJNS8_6TensorESD_SD_EERKSD_lbbbEUlllE1_EE10hipError_tPvRmT2_T3_mT4_P12ihipStream_tbEUlT_E_NS1_11comp_targetILNS1_3genE3ELNS1_11target_archE908ELNS1_3gpuE7ELNS1_3repE0EEENS1_30default_config_static_selectorELNS0_4arch9wavefront6targetE1EEEvT1_.kd
    .uniform_work_group_size: 1
    .uses_dynamic_stack: false
    .vgpr_count:     0
    .vgpr_spill_count: 0
    .wavefront_size: 64
  - .agpr_count:     0
    .args:
      - .offset:         0
        .size:           64
        .value_kind:     by_value
    .group_segment_fixed_size: 0
    .kernarg_segment_align: 8
    .kernarg_segment_size: 64
    .language:       OpenCL C
    .language_version:
      - 2
      - 0
    .max_flat_workgroup_size: 128
    .name:           _ZN7rocprim17ROCPRIM_400000_NS6detail17trampoline_kernelINS0_14default_configENS1_35adjacent_difference_config_selectorILb0ElEEZNS1_24adjacent_difference_implIS3_Lb0ELb0EPlS7_ZN2at6native12_GLOBAL__N_124unique_dim_cuda_templateIbEESt5tupleIJNS8_6TensorESD_SD_EERKSD_lbbbEUlllE1_EE10hipError_tPvRmT2_T3_mT4_P12ihipStream_tbEUlT_E_NS1_11comp_targetILNS1_3genE2ELNS1_11target_archE906ELNS1_3gpuE6ELNS1_3repE0EEENS1_30default_config_static_selectorELNS0_4arch9wavefront6targetE1EEEvT1_
    .private_segment_fixed_size: 0
    .sgpr_count:     4
    .sgpr_spill_count: 0
    .symbol:         _ZN7rocprim17ROCPRIM_400000_NS6detail17trampoline_kernelINS0_14default_configENS1_35adjacent_difference_config_selectorILb0ElEEZNS1_24adjacent_difference_implIS3_Lb0ELb0EPlS7_ZN2at6native12_GLOBAL__N_124unique_dim_cuda_templateIbEESt5tupleIJNS8_6TensorESD_SD_EERKSD_lbbbEUlllE1_EE10hipError_tPvRmT2_T3_mT4_P12ihipStream_tbEUlT_E_NS1_11comp_targetILNS1_3genE2ELNS1_11target_archE906ELNS1_3gpuE6ELNS1_3repE0EEENS1_30default_config_static_selectorELNS0_4arch9wavefront6targetE1EEEvT1_.kd
    .uniform_work_group_size: 1
    .uses_dynamic_stack: false
    .vgpr_count:     0
    .vgpr_spill_count: 0
    .wavefront_size: 64
  - .agpr_count:     0
    .args:
      - .offset:         0
        .size:           64
        .value_kind:     by_value
    .group_segment_fixed_size: 0
    .kernarg_segment_align: 8
    .kernarg_segment_size: 64
    .language:       OpenCL C
    .language_version:
      - 2
      - 0
    .max_flat_workgroup_size: 512
    .name:           _ZN7rocprim17ROCPRIM_400000_NS6detail17trampoline_kernelINS0_14default_configENS1_35adjacent_difference_config_selectorILb0ElEEZNS1_24adjacent_difference_implIS3_Lb0ELb0EPlS7_ZN2at6native12_GLOBAL__N_124unique_dim_cuda_templateIbEESt5tupleIJNS8_6TensorESD_SD_EERKSD_lbbbEUlllE1_EE10hipError_tPvRmT2_T3_mT4_P12ihipStream_tbEUlT_E_NS1_11comp_targetILNS1_3genE9ELNS1_11target_archE1100ELNS1_3gpuE3ELNS1_3repE0EEENS1_30default_config_static_selectorELNS0_4arch9wavefront6targetE1EEEvT1_
    .private_segment_fixed_size: 0
    .sgpr_count:     4
    .sgpr_spill_count: 0
    .symbol:         _ZN7rocprim17ROCPRIM_400000_NS6detail17trampoline_kernelINS0_14default_configENS1_35adjacent_difference_config_selectorILb0ElEEZNS1_24adjacent_difference_implIS3_Lb0ELb0EPlS7_ZN2at6native12_GLOBAL__N_124unique_dim_cuda_templateIbEESt5tupleIJNS8_6TensorESD_SD_EERKSD_lbbbEUlllE1_EE10hipError_tPvRmT2_T3_mT4_P12ihipStream_tbEUlT_E_NS1_11comp_targetILNS1_3genE9ELNS1_11target_archE1100ELNS1_3gpuE3ELNS1_3repE0EEENS1_30default_config_static_selectorELNS0_4arch9wavefront6targetE1EEEvT1_.kd
    .uniform_work_group_size: 1
    .uses_dynamic_stack: false
    .vgpr_count:     0
    .vgpr_spill_count: 0
    .wavefront_size: 64
  - .agpr_count:     0
    .args:
      - .offset:         0
        .size:           64
        .value_kind:     by_value
    .group_segment_fixed_size: 0
    .kernarg_segment_align: 8
    .kernarg_segment_size: 64
    .language:       OpenCL C
    .language_version:
      - 2
      - 0
    .max_flat_workgroup_size: 1024
    .name:           _ZN7rocprim17ROCPRIM_400000_NS6detail17trampoline_kernelINS0_14default_configENS1_35adjacent_difference_config_selectorILb0ElEEZNS1_24adjacent_difference_implIS3_Lb0ELb0EPlS7_ZN2at6native12_GLOBAL__N_124unique_dim_cuda_templateIbEESt5tupleIJNS8_6TensorESD_SD_EERKSD_lbbbEUlllE1_EE10hipError_tPvRmT2_T3_mT4_P12ihipStream_tbEUlT_E_NS1_11comp_targetILNS1_3genE8ELNS1_11target_archE1030ELNS1_3gpuE2ELNS1_3repE0EEENS1_30default_config_static_selectorELNS0_4arch9wavefront6targetE1EEEvT1_
    .private_segment_fixed_size: 0
    .sgpr_count:     4
    .sgpr_spill_count: 0
    .symbol:         _ZN7rocprim17ROCPRIM_400000_NS6detail17trampoline_kernelINS0_14default_configENS1_35adjacent_difference_config_selectorILb0ElEEZNS1_24adjacent_difference_implIS3_Lb0ELb0EPlS7_ZN2at6native12_GLOBAL__N_124unique_dim_cuda_templateIbEESt5tupleIJNS8_6TensorESD_SD_EERKSD_lbbbEUlllE1_EE10hipError_tPvRmT2_T3_mT4_P12ihipStream_tbEUlT_E_NS1_11comp_targetILNS1_3genE8ELNS1_11target_archE1030ELNS1_3gpuE2ELNS1_3repE0EEENS1_30default_config_static_selectorELNS0_4arch9wavefront6targetE1EEEvT1_.kd
    .uniform_work_group_size: 1
    .uses_dynamic_stack: false
    .vgpr_count:     0
    .vgpr_spill_count: 0
    .wavefront_size: 64
  - .agpr_count:     0
    .args:
      - .offset:         0
        .size:           56
        .value_kind:     by_value
    .group_segment_fixed_size: 0
    .kernarg_segment_align: 8
    .kernarg_segment_size: 56
    .language:       OpenCL C
    .language_version:
      - 2
      - 0
    .max_flat_workgroup_size: 128
    .name:           _ZN7rocprim17ROCPRIM_400000_NS6detail17trampoline_kernelINS0_14default_configENS1_25transform_config_selectorIlLb0EEEZNS1_14transform_implILb0ES3_S5_NS0_18transform_iteratorINS0_17counting_iteratorImlEEZNS1_24adjacent_difference_implIS3_Lb1ELb0EPlSB_ZN2at6native12_GLOBAL__N_124unique_dim_cuda_templateIbEESt5tupleIJNSC_6TensorESH_SH_EERKSH_lbbbEUlllE1_EE10hipError_tPvRmT2_T3_mT4_P12ihipStream_tbEUlmE_lEESB_NS0_8identityIvEEEESM_SP_SQ_mSR_ST_bEUlT_E_NS1_11comp_targetILNS1_3genE0ELNS1_11target_archE4294967295ELNS1_3gpuE0ELNS1_3repE0EEENS1_30default_config_static_selectorELNS0_4arch9wavefront6targetE1EEEvT1_
    .private_segment_fixed_size: 0
    .sgpr_count:     4
    .sgpr_spill_count: 0
    .symbol:         _ZN7rocprim17ROCPRIM_400000_NS6detail17trampoline_kernelINS0_14default_configENS1_25transform_config_selectorIlLb0EEEZNS1_14transform_implILb0ES3_S5_NS0_18transform_iteratorINS0_17counting_iteratorImlEEZNS1_24adjacent_difference_implIS3_Lb1ELb0EPlSB_ZN2at6native12_GLOBAL__N_124unique_dim_cuda_templateIbEESt5tupleIJNSC_6TensorESH_SH_EERKSH_lbbbEUlllE1_EE10hipError_tPvRmT2_T3_mT4_P12ihipStream_tbEUlmE_lEESB_NS0_8identityIvEEEESM_SP_SQ_mSR_ST_bEUlT_E_NS1_11comp_targetILNS1_3genE0ELNS1_11target_archE4294967295ELNS1_3gpuE0ELNS1_3repE0EEENS1_30default_config_static_selectorELNS0_4arch9wavefront6targetE1EEEvT1_.kd
    .uniform_work_group_size: 1
    .uses_dynamic_stack: false
    .vgpr_count:     0
    .vgpr_spill_count: 0
    .wavefront_size: 64
  - .agpr_count:     0
    .args:
      - .offset:         0
        .size:           56
        .value_kind:     by_value
    .group_segment_fixed_size: 0
    .kernarg_segment_align: 8
    .kernarg_segment_size: 56
    .language:       OpenCL C
    .language_version:
      - 2
      - 0
    .max_flat_workgroup_size: 512
    .name:           _ZN7rocprim17ROCPRIM_400000_NS6detail17trampoline_kernelINS0_14default_configENS1_25transform_config_selectorIlLb0EEEZNS1_14transform_implILb0ES3_S5_NS0_18transform_iteratorINS0_17counting_iteratorImlEEZNS1_24adjacent_difference_implIS3_Lb1ELb0EPlSB_ZN2at6native12_GLOBAL__N_124unique_dim_cuda_templateIbEESt5tupleIJNSC_6TensorESH_SH_EERKSH_lbbbEUlllE1_EE10hipError_tPvRmT2_T3_mT4_P12ihipStream_tbEUlmE_lEESB_NS0_8identityIvEEEESM_SP_SQ_mSR_ST_bEUlT_E_NS1_11comp_targetILNS1_3genE5ELNS1_11target_archE942ELNS1_3gpuE9ELNS1_3repE0EEENS1_30default_config_static_selectorELNS0_4arch9wavefront6targetE1EEEvT1_
    .private_segment_fixed_size: 0
    .sgpr_count:     4
    .sgpr_spill_count: 0
    .symbol:         _ZN7rocprim17ROCPRIM_400000_NS6detail17trampoline_kernelINS0_14default_configENS1_25transform_config_selectorIlLb0EEEZNS1_14transform_implILb0ES3_S5_NS0_18transform_iteratorINS0_17counting_iteratorImlEEZNS1_24adjacent_difference_implIS3_Lb1ELb0EPlSB_ZN2at6native12_GLOBAL__N_124unique_dim_cuda_templateIbEESt5tupleIJNSC_6TensorESH_SH_EERKSH_lbbbEUlllE1_EE10hipError_tPvRmT2_T3_mT4_P12ihipStream_tbEUlmE_lEESB_NS0_8identityIvEEEESM_SP_SQ_mSR_ST_bEUlT_E_NS1_11comp_targetILNS1_3genE5ELNS1_11target_archE942ELNS1_3gpuE9ELNS1_3repE0EEENS1_30default_config_static_selectorELNS0_4arch9wavefront6targetE1EEEvT1_.kd
    .uniform_work_group_size: 1
    .uses_dynamic_stack: false
    .vgpr_count:     0
    .vgpr_spill_count: 0
    .wavefront_size: 64
  - .agpr_count:     0
    .args:
      - .offset:         0
        .size:           56
        .value_kind:     by_value
      - .offset:         56
        .size:           4
        .value_kind:     hidden_block_count_x
      - .offset:         60
        .size:           4
        .value_kind:     hidden_block_count_y
      - .offset:         64
        .size:           4
        .value_kind:     hidden_block_count_z
      - .offset:         68
        .size:           2
        .value_kind:     hidden_group_size_x
      - .offset:         70
        .size:           2
        .value_kind:     hidden_group_size_y
      - .offset:         72
        .size:           2
        .value_kind:     hidden_group_size_z
      - .offset:         74
        .size:           2
        .value_kind:     hidden_remainder_x
      - .offset:         76
        .size:           2
        .value_kind:     hidden_remainder_y
      - .offset:         78
        .size:           2
        .value_kind:     hidden_remainder_z
      - .offset:         96
        .size:           8
        .value_kind:     hidden_global_offset_x
      - .offset:         104
        .size:           8
        .value_kind:     hidden_global_offset_y
      - .offset:         112
        .size:           8
        .value_kind:     hidden_global_offset_z
      - .offset:         120
        .size:           2
        .value_kind:     hidden_grid_dims
    .group_segment_fixed_size: 0
    .kernarg_segment_align: 8
    .kernarg_segment_size: 312
    .language:       OpenCL C
    .language_version:
      - 2
      - 0
    .max_flat_workgroup_size: 256
    .name:           _ZN7rocprim17ROCPRIM_400000_NS6detail17trampoline_kernelINS0_14default_configENS1_25transform_config_selectorIlLb0EEEZNS1_14transform_implILb0ES3_S5_NS0_18transform_iteratorINS0_17counting_iteratorImlEEZNS1_24adjacent_difference_implIS3_Lb1ELb0EPlSB_ZN2at6native12_GLOBAL__N_124unique_dim_cuda_templateIbEESt5tupleIJNSC_6TensorESH_SH_EERKSH_lbbbEUlllE1_EE10hipError_tPvRmT2_T3_mT4_P12ihipStream_tbEUlmE_lEESB_NS0_8identityIvEEEESM_SP_SQ_mSR_ST_bEUlT_E_NS1_11comp_targetILNS1_3genE4ELNS1_11target_archE910ELNS1_3gpuE8ELNS1_3repE0EEENS1_30default_config_static_selectorELNS0_4arch9wavefront6targetE1EEEvT1_
    .private_segment_fixed_size: 0
    .sgpr_count:     22
    .sgpr_spill_count: 0
    .symbol:         _ZN7rocprim17ROCPRIM_400000_NS6detail17trampoline_kernelINS0_14default_configENS1_25transform_config_selectorIlLb0EEEZNS1_14transform_implILb0ES3_S5_NS0_18transform_iteratorINS0_17counting_iteratorImlEEZNS1_24adjacent_difference_implIS3_Lb1ELb0EPlSB_ZN2at6native12_GLOBAL__N_124unique_dim_cuda_templateIbEESt5tupleIJNSC_6TensorESH_SH_EERKSH_lbbbEUlllE1_EE10hipError_tPvRmT2_T3_mT4_P12ihipStream_tbEUlmE_lEESB_NS0_8identityIvEEEESM_SP_SQ_mSR_ST_bEUlT_E_NS1_11comp_targetILNS1_3genE4ELNS1_11target_archE910ELNS1_3gpuE8ELNS1_3repE0EEENS1_30default_config_static_selectorELNS0_4arch9wavefront6targetE1EEEvT1_.kd
    .uniform_work_group_size: 1
    .uses_dynamic_stack: false
    .vgpr_count:     10
    .vgpr_spill_count: 0
    .wavefront_size: 64
  - .agpr_count:     0
    .args:
      - .offset:         0
        .size:           56
        .value_kind:     by_value
    .group_segment_fixed_size: 0
    .kernarg_segment_align: 8
    .kernarg_segment_size: 56
    .language:       OpenCL C
    .language_version:
      - 2
      - 0
    .max_flat_workgroup_size: 128
    .name:           _ZN7rocprim17ROCPRIM_400000_NS6detail17trampoline_kernelINS0_14default_configENS1_25transform_config_selectorIlLb0EEEZNS1_14transform_implILb0ES3_S5_NS0_18transform_iteratorINS0_17counting_iteratorImlEEZNS1_24adjacent_difference_implIS3_Lb1ELb0EPlSB_ZN2at6native12_GLOBAL__N_124unique_dim_cuda_templateIbEESt5tupleIJNSC_6TensorESH_SH_EERKSH_lbbbEUlllE1_EE10hipError_tPvRmT2_T3_mT4_P12ihipStream_tbEUlmE_lEESB_NS0_8identityIvEEEESM_SP_SQ_mSR_ST_bEUlT_E_NS1_11comp_targetILNS1_3genE3ELNS1_11target_archE908ELNS1_3gpuE7ELNS1_3repE0EEENS1_30default_config_static_selectorELNS0_4arch9wavefront6targetE1EEEvT1_
    .private_segment_fixed_size: 0
    .sgpr_count:     4
    .sgpr_spill_count: 0
    .symbol:         _ZN7rocprim17ROCPRIM_400000_NS6detail17trampoline_kernelINS0_14default_configENS1_25transform_config_selectorIlLb0EEEZNS1_14transform_implILb0ES3_S5_NS0_18transform_iteratorINS0_17counting_iteratorImlEEZNS1_24adjacent_difference_implIS3_Lb1ELb0EPlSB_ZN2at6native12_GLOBAL__N_124unique_dim_cuda_templateIbEESt5tupleIJNSC_6TensorESH_SH_EERKSH_lbbbEUlllE1_EE10hipError_tPvRmT2_T3_mT4_P12ihipStream_tbEUlmE_lEESB_NS0_8identityIvEEEESM_SP_SQ_mSR_ST_bEUlT_E_NS1_11comp_targetILNS1_3genE3ELNS1_11target_archE908ELNS1_3gpuE7ELNS1_3repE0EEENS1_30default_config_static_selectorELNS0_4arch9wavefront6targetE1EEEvT1_.kd
    .uniform_work_group_size: 1
    .uses_dynamic_stack: false
    .vgpr_count:     0
    .vgpr_spill_count: 0
    .wavefront_size: 64
  - .agpr_count:     0
    .args:
      - .offset:         0
        .size:           56
        .value_kind:     by_value
    .group_segment_fixed_size: 0
    .kernarg_segment_align: 8
    .kernarg_segment_size: 56
    .language:       OpenCL C
    .language_version:
      - 2
      - 0
    .max_flat_workgroup_size: 512
    .name:           _ZN7rocprim17ROCPRIM_400000_NS6detail17trampoline_kernelINS0_14default_configENS1_25transform_config_selectorIlLb0EEEZNS1_14transform_implILb0ES3_S5_NS0_18transform_iteratorINS0_17counting_iteratorImlEEZNS1_24adjacent_difference_implIS3_Lb1ELb0EPlSB_ZN2at6native12_GLOBAL__N_124unique_dim_cuda_templateIbEESt5tupleIJNSC_6TensorESH_SH_EERKSH_lbbbEUlllE1_EE10hipError_tPvRmT2_T3_mT4_P12ihipStream_tbEUlmE_lEESB_NS0_8identityIvEEEESM_SP_SQ_mSR_ST_bEUlT_E_NS1_11comp_targetILNS1_3genE2ELNS1_11target_archE906ELNS1_3gpuE6ELNS1_3repE0EEENS1_30default_config_static_selectorELNS0_4arch9wavefront6targetE1EEEvT1_
    .private_segment_fixed_size: 0
    .sgpr_count:     4
    .sgpr_spill_count: 0
    .symbol:         _ZN7rocprim17ROCPRIM_400000_NS6detail17trampoline_kernelINS0_14default_configENS1_25transform_config_selectorIlLb0EEEZNS1_14transform_implILb0ES3_S5_NS0_18transform_iteratorINS0_17counting_iteratorImlEEZNS1_24adjacent_difference_implIS3_Lb1ELb0EPlSB_ZN2at6native12_GLOBAL__N_124unique_dim_cuda_templateIbEESt5tupleIJNSC_6TensorESH_SH_EERKSH_lbbbEUlllE1_EE10hipError_tPvRmT2_T3_mT4_P12ihipStream_tbEUlmE_lEESB_NS0_8identityIvEEEESM_SP_SQ_mSR_ST_bEUlT_E_NS1_11comp_targetILNS1_3genE2ELNS1_11target_archE906ELNS1_3gpuE6ELNS1_3repE0EEENS1_30default_config_static_selectorELNS0_4arch9wavefront6targetE1EEEvT1_.kd
    .uniform_work_group_size: 1
    .uses_dynamic_stack: false
    .vgpr_count:     0
    .vgpr_spill_count: 0
    .wavefront_size: 64
  - .agpr_count:     0
    .args:
      - .offset:         0
        .size:           56
        .value_kind:     by_value
    .group_segment_fixed_size: 0
    .kernarg_segment_align: 8
    .kernarg_segment_size: 56
    .language:       OpenCL C
    .language_version:
      - 2
      - 0
    .max_flat_workgroup_size: 1024
    .name:           _ZN7rocprim17ROCPRIM_400000_NS6detail17trampoline_kernelINS0_14default_configENS1_25transform_config_selectorIlLb0EEEZNS1_14transform_implILb0ES3_S5_NS0_18transform_iteratorINS0_17counting_iteratorImlEEZNS1_24adjacent_difference_implIS3_Lb1ELb0EPlSB_ZN2at6native12_GLOBAL__N_124unique_dim_cuda_templateIbEESt5tupleIJNSC_6TensorESH_SH_EERKSH_lbbbEUlllE1_EE10hipError_tPvRmT2_T3_mT4_P12ihipStream_tbEUlmE_lEESB_NS0_8identityIvEEEESM_SP_SQ_mSR_ST_bEUlT_E_NS1_11comp_targetILNS1_3genE10ELNS1_11target_archE1201ELNS1_3gpuE5ELNS1_3repE0EEENS1_30default_config_static_selectorELNS0_4arch9wavefront6targetE1EEEvT1_
    .private_segment_fixed_size: 0
    .sgpr_count:     4
    .sgpr_spill_count: 0
    .symbol:         _ZN7rocprim17ROCPRIM_400000_NS6detail17trampoline_kernelINS0_14default_configENS1_25transform_config_selectorIlLb0EEEZNS1_14transform_implILb0ES3_S5_NS0_18transform_iteratorINS0_17counting_iteratorImlEEZNS1_24adjacent_difference_implIS3_Lb1ELb0EPlSB_ZN2at6native12_GLOBAL__N_124unique_dim_cuda_templateIbEESt5tupleIJNSC_6TensorESH_SH_EERKSH_lbbbEUlllE1_EE10hipError_tPvRmT2_T3_mT4_P12ihipStream_tbEUlmE_lEESB_NS0_8identityIvEEEESM_SP_SQ_mSR_ST_bEUlT_E_NS1_11comp_targetILNS1_3genE10ELNS1_11target_archE1201ELNS1_3gpuE5ELNS1_3repE0EEENS1_30default_config_static_selectorELNS0_4arch9wavefront6targetE1EEEvT1_.kd
    .uniform_work_group_size: 1
    .uses_dynamic_stack: false
    .vgpr_count:     0
    .vgpr_spill_count: 0
    .wavefront_size: 64
  - .agpr_count:     0
    .args:
      - .offset:         0
        .size:           56
        .value_kind:     by_value
    .group_segment_fixed_size: 0
    .kernarg_segment_align: 8
    .kernarg_segment_size: 56
    .language:       OpenCL C
    .language_version:
      - 2
      - 0
    .max_flat_workgroup_size: 512
    .name:           _ZN7rocprim17ROCPRIM_400000_NS6detail17trampoline_kernelINS0_14default_configENS1_25transform_config_selectorIlLb0EEEZNS1_14transform_implILb0ES3_S5_NS0_18transform_iteratorINS0_17counting_iteratorImlEEZNS1_24adjacent_difference_implIS3_Lb1ELb0EPlSB_ZN2at6native12_GLOBAL__N_124unique_dim_cuda_templateIbEESt5tupleIJNSC_6TensorESH_SH_EERKSH_lbbbEUlllE1_EE10hipError_tPvRmT2_T3_mT4_P12ihipStream_tbEUlmE_lEESB_NS0_8identityIvEEEESM_SP_SQ_mSR_ST_bEUlT_E_NS1_11comp_targetILNS1_3genE10ELNS1_11target_archE1200ELNS1_3gpuE4ELNS1_3repE0EEENS1_30default_config_static_selectorELNS0_4arch9wavefront6targetE1EEEvT1_
    .private_segment_fixed_size: 0
    .sgpr_count:     4
    .sgpr_spill_count: 0
    .symbol:         _ZN7rocprim17ROCPRIM_400000_NS6detail17trampoline_kernelINS0_14default_configENS1_25transform_config_selectorIlLb0EEEZNS1_14transform_implILb0ES3_S5_NS0_18transform_iteratorINS0_17counting_iteratorImlEEZNS1_24adjacent_difference_implIS3_Lb1ELb0EPlSB_ZN2at6native12_GLOBAL__N_124unique_dim_cuda_templateIbEESt5tupleIJNSC_6TensorESH_SH_EERKSH_lbbbEUlllE1_EE10hipError_tPvRmT2_T3_mT4_P12ihipStream_tbEUlmE_lEESB_NS0_8identityIvEEEESM_SP_SQ_mSR_ST_bEUlT_E_NS1_11comp_targetILNS1_3genE10ELNS1_11target_archE1200ELNS1_3gpuE4ELNS1_3repE0EEENS1_30default_config_static_selectorELNS0_4arch9wavefront6targetE1EEEvT1_.kd
    .uniform_work_group_size: 1
    .uses_dynamic_stack: false
    .vgpr_count:     0
    .vgpr_spill_count: 0
    .wavefront_size: 64
  - .agpr_count:     0
    .args:
      - .offset:         0
        .size:           56
        .value_kind:     by_value
    .group_segment_fixed_size: 0
    .kernarg_segment_align: 8
    .kernarg_segment_size: 56
    .language:       OpenCL C
    .language_version:
      - 2
      - 0
    .max_flat_workgroup_size: 512
    .name:           _ZN7rocprim17ROCPRIM_400000_NS6detail17trampoline_kernelINS0_14default_configENS1_25transform_config_selectorIlLb0EEEZNS1_14transform_implILb0ES3_S5_NS0_18transform_iteratorINS0_17counting_iteratorImlEEZNS1_24adjacent_difference_implIS3_Lb1ELb0EPlSB_ZN2at6native12_GLOBAL__N_124unique_dim_cuda_templateIbEESt5tupleIJNSC_6TensorESH_SH_EERKSH_lbbbEUlllE1_EE10hipError_tPvRmT2_T3_mT4_P12ihipStream_tbEUlmE_lEESB_NS0_8identityIvEEEESM_SP_SQ_mSR_ST_bEUlT_E_NS1_11comp_targetILNS1_3genE9ELNS1_11target_archE1100ELNS1_3gpuE3ELNS1_3repE0EEENS1_30default_config_static_selectorELNS0_4arch9wavefront6targetE1EEEvT1_
    .private_segment_fixed_size: 0
    .sgpr_count:     4
    .sgpr_spill_count: 0
    .symbol:         _ZN7rocprim17ROCPRIM_400000_NS6detail17trampoline_kernelINS0_14default_configENS1_25transform_config_selectorIlLb0EEEZNS1_14transform_implILb0ES3_S5_NS0_18transform_iteratorINS0_17counting_iteratorImlEEZNS1_24adjacent_difference_implIS3_Lb1ELb0EPlSB_ZN2at6native12_GLOBAL__N_124unique_dim_cuda_templateIbEESt5tupleIJNSC_6TensorESH_SH_EERKSH_lbbbEUlllE1_EE10hipError_tPvRmT2_T3_mT4_P12ihipStream_tbEUlmE_lEESB_NS0_8identityIvEEEESM_SP_SQ_mSR_ST_bEUlT_E_NS1_11comp_targetILNS1_3genE9ELNS1_11target_archE1100ELNS1_3gpuE3ELNS1_3repE0EEENS1_30default_config_static_selectorELNS0_4arch9wavefront6targetE1EEEvT1_.kd
    .uniform_work_group_size: 1
    .uses_dynamic_stack: false
    .vgpr_count:     0
    .vgpr_spill_count: 0
    .wavefront_size: 64
  - .agpr_count:     0
    .args:
      - .offset:         0
        .size:           56
        .value_kind:     by_value
    .group_segment_fixed_size: 0
    .kernarg_segment_align: 8
    .kernarg_segment_size: 56
    .language:       OpenCL C
    .language_version:
      - 2
      - 0
    .max_flat_workgroup_size: 512
    .name:           _ZN7rocprim17ROCPRIM_400000_NS6detail17trampoline_kernelINS0_14default_configENS1_25transform_config_selectorIlLb0EEEZNS1_14transform_implILb0ES3_S5_NS0_18transform_iteratorINS0_17counting_iteratorImlEEZNS1_24adjacent_difference_implIS3_Lb1ELb0EPlSB_ZN2at6native12_GLOBAL__N_124unique_dim_cuda_templateIbEESt5tupleIJNSC_6TensorESH_SH_EERKSH_lbbbEUlllE1_EE10hipError_tPvRmT2_T3_mT4_P12ihipStream_tbEUlmE_lEESB_NS0_8identityIvEEEESM_SP_SQ_mSR_ST_bEUlT_E_NS1_11comp_targetILNS1_3genE8ELNS1_11target_archE1030ELNS1_3gpuE2ELNS1_3repE0EEENS1_30default_config_static_selectorELNS0_4arch9wavefront6targetE1EEEvT1_
    .private_segment_fixed_size: 0
    .sgpr_count:     4
    .sgpr_spill_count: 0
    .symbol:         _ZN7rocprim17ROCPRIM_400000_NS6detail17trampoline_kernelINS0_14default_configENS1_25transform_config_selectorIlLb0EEEZNS1_14transform_implILb0ES3_S5_NS0_18transform_iteratorINS0_17counting_iteratorImlEEZNS1_24adjacent_difference_implIS3_Lb1ELb0EPlSB_ZN2at6native12_GLOBAL__N_124unique_dim_cuda_templateIbEESt5tupleIJNSC_6TensorESH_SH_EERKSH_lbbbEUlllE1_EE10hipError_tPvRmT2_T3_mT4_P12ihipStream_tbEUlmE_lEESB_NS0_8identityIvEEEESM_SP_SQ_mSR_ST_bEUlT_E_NS1_11comp_targetILNS1_3genE8ELNS1_11target_archE1030ELNS1_3gpuE2ELNS1_3repE0EEENS1_30default_config_static_selectorELNS0_4arch9wavefront6targetE1EEEvT1_.kd
    .uniform_work_group_size: 1
    .uses_dynamic_stack: false
    .vgpr_count:     0
    .vgpr_spill_count: 0
    .wavefront_size: 64
  - .agpr_count:     0
    .args:
      - .offset:         0
        .size:           64
        .value_kind:     by_value
    .group_segment_fixed_size: 0
    .kernarg_segment_align: 8
    .kernarg_segment_size: 64
    .language:       OpenCL C
    .language_version:
      - 2
      - 0
    .max_flat_workgroup_size: 512
    .name:           _ZN7rocprim17ROCPRIM_400000_NS6detail17trampoline_kernelINS0_14default_configENS1_35adjacent_difference_config_selectorILb1ElEEZNS1_24adjacent_difference_implIS3_Lb1ELb0EPlS7_ZN2at6native12_GLOBAL__N_124unique_dim_cuda_templateIbEESt5tupleIJNS8_6TensorESD_SD_EERKSD_lbbbEUlllE1_EE10hipError_tPvRmT2_T3_mT4_P12ihipStream_tbEUlT_E_NS1_11comp_targetILNS1_3genE0ELNS1_11target_archE4294967295ELNS1_3gpuE0ELNS1_3repE0EEENS1_30default_config_static_selectorELNS0_4arch9wavefront6targetE1EEEvT1_
    .private_segment_fixed_size: 0
    .sgpr_count:     4
    .sgpr_spill_count: 0
    .symbol:         _ZN7rocprim17ROCPRIM_400000_NS6detail17trampoline_kernelINS0_14default_configENS1_35adjacent_difference_config_selectorILb1ElEEZNS1_24adjacent_difference_implIS3_Lb1ELb0EPlS7_ZN2at6native12_GLOBAL__N_124unique_dim_cuda_templateIbEESt5tupleIJNS8_6TensorESD_SD_EERKSD_lbbbEUlllE1_EE10hipError_tPvRmT2_T3_mT4_P12ihipStream_tbEUlT_E_NS1_11comp_targetILNS1_3genE0ELNS1_11target_archE4294967295ELNS1_3gpuE0ELNS1_3repE0EEENS1_30default_config_static_selectorELNS0_4arch9wavefront6targetE1EEEvT1_.kd
    .uniform_work_group_size: 1
    .uses_dynamic_stack: false
    .vgpr_count:     0
    .vgpr_spill_count: 0
    .wavefront_size: 64
  - .agpr_count:     0
    .args:
      - .offset:         0
        .size:           64
        .value_kind:     by_value
    .group_segment_fixed_size: 0
    .kernarg_segment_align: 8
    .kernarg_segment_size: 64
    .language:       OpenCL C
    .language_version:
      - 2
      - 0
    .max_flat_workgroup_size: 32
    .name:           _ZN7rocprim17ROCPRIM_400000_NS6detail17trampoline_kernelINS0_14default_configENS1_35adjacent_difference_config_selectorILb1ElEEZNS1_24adjacent_difference_implIS3_Lb1ELb0EPlS7_ZN2at6native12_GLOBAL__N_124unique_dim_cuda_templateIbEESt5tupleIJNS8_6TensorESD_SD_EERKSD_lbbbEUlllE1_EE10hipError_tPvRmT2_T3_mT4_P12ihipStream_tbEUlT_E_NS1_11comp_targetILNS1_3genE10ELNS1_11target_archE1201ELNS1_3gpuE5ELNS1_3repE0EEENS1_30default_config_static_selectorELNS0_4arch9wavefront6targetE1EEEvT1_
    .private_segment_fixed_size: 0
    .sgpr_count:     4
    .sgpr_spill_count: 0
    .symbol:         _ZN7rocprim17ROCPRIM_400000_NS6detail17trampoline_kernelINS0_14default_configENS1_35adjacent_difference_config_selectorILb1ElEEZNS1_24adjacent_difference_implIS3_Lb1ELb0EPlS7_ZN2at6native12_GLOBAL__N_124unique_dim_cuda_templateIbEESt5tupleIJNS8_6TensorESD_SD_EERKSD_lbbbEUlllE1_EE10hipError_tPvRmT2_T3_mT4_P12ihipStream_tbEUlT_E_NS1_11comp_targetILNS1_3genE10ELNS1_11target_archE1201ELNS1_3gpuE5ELNS1_3repE0EEENS1_30default_config_static_selectorELNS0_4arch9wavefront6targetE1EEEvT1_.kd
    .uniform_work_group_size: 1
    .uses_dynamic_stack: false
    .vgpr_count:     0
    .vgpr_spill_count: 0
    .wavefront_size: 64
  - .agpr_count:     0
    .args:
      - .offset:         0
        .size:           64
        .value_kind:     by_value
    .group_segment_fixed_size: 0
    .kernarg_segment_align: 8
    .kernarg_segment_size: 64
    .language:       OpenCL C
    .language_version:
      - 2
      - 0
    .max_flat_workgroup_size: 256
    .name:           _ZN7rocprim17ROCPRIM_400000_NS6detail17trampoline_kernelINS0_14default_configENS1_35adjacent_difference_config_selectorILb1ElEEZNS1_24adjacent_difference_implIS3_Lb1ELb0EPlS7_ZN2at6native12_GLOBAL__N_124unique_dim_cuda_templateIbEESt5tupleIJNS8_6TensorESD_SD_EERKSD_lbbbEUlllE1_EE10hipError_tPvRmT2_T3_mT4_P12ihipStream_tbEUlT_E_NS1_11comp_targetILNS1_3genE5ELNS1_11target_archE942ELNS1_3gpuE9ELNS1_3repE0EEENS1_30default_config_static_selectorELNS0_4arch9wavefront6targetE1EEEvT1_
    .private_segment_fixed_size: 0
    .sgpr_count:     4
    .sgpr_spill_count: 0
    .symbol:         _ZN7rocprim17ROCPRIM_400000_NS6detail17trampoline_kernelINS0_14default_configENS1_35adjacent_difference_config_selectorILb1ElEEZNS1_24adjacent_difference_implIS3_Lb1ELb0EPlS7_ZN2at6native12_GLOBAL__N_124unique_dim_cuda_templateIbEESt5tupleIJNS8_6TensorESD_SD_EERKSD_lbbbEUlllE1_EE10hipError_tPvRmT2_T3_mT4_P12ihipStream_tbEUlT_E_NS1_11comp_targetILNS1_3genE5ELNS1_11target_archE942ELNS1_3gpuE9ELNS1_3repE0EEENS1_30default_config_static_selectorELNS0_4arch9wavefront6targetE1EEEvT1_.kd
    .uniform_work_group_size: 1
    .uses_dynamic_stack: false
    .vgpr_count:     0
    .vgpr_spill_count: 0
    .wavefront_size: 64
  - .agpr_count:     0
    .args:
      - .offset:         0
        .size:           64
        .value_kind:     by_value
    .group_segment_fixed_size: 8448
    .kernarg_segment_align: 8
    .kernarg_segment_size: 64
    .language:       OpenCL C
    .language_version:
      - 2
      - 0
    .max_flat_workgroup_size: 512
    .name:           _ZN7rocprim17ROCPRIM_400000_NS6detail17trampoline_kernelINS0_14default_configENS1_35adjacent_difference_config_selectorILb1ElEEZNS1_24adjacent_difference_implIS3_Lb1ELb0EPlS7_ZN2at6native12_GLOBAL__N_124unique_dim_cuda_templateIbEESt5tupleIJNS8_6TensorESD_SD_EERKSD_lbbbEUlllE1_EE10hipError_tPvRmT2_T3_mT4_P12ihipStream_tbEUlT_E_NS1_11comp_targetILNS1_3genE4ELNS1_11target_archE910ELNS1_3gpuE8ELNS1_3repE0EEENS1_30default_config_static_selectorELNS0_4arch9wavefront6targetE1EEEvT1_
    .private_segment_fixed_size: 0
    .sgpr_count:     42
    .sgpr_spill_count: 0
    .symbol:         _ZN7rocprim17ROCPRIM_400000_NS6detail17trampoline_kernelINS0_14default_configENS1_35adjacent_difference_config_selectorILb1ElEEZNS1_24adjacent_difference_implIS3_Lb1ELb0EPlS7_ZN2at6native12_GLOBAL__N_124unique_dim_cuda_templateIbEESt5tupleIJNS8_6TensorESD_SD_EERKSD_lbbbEUlllE1_EE10hipError_tPvRmT2_T3_mT4_P12ihipStream_tbEUlT_E_NS1_11comp_targetILNS1_3genE4ELNS1_11target_archE910ELNS1_3gpuE8ELNS1_3repE0EEENS1_30default_config_static_selectorELNS0_4arch9wavefront6targetE1EEEvT1_.kd
    .uniform_work_group_size: 1
    .uses_dynamic_stack: false
    .vgpr_count:     18
    .vgpr_spill_count: 0
    .wavefront_size: 64
  - .agpr_count:     0
    .args:
      - .offset:         0
        .size:           64
        .value_kind:     by_value
    .group_segment_fixed_size: 0
    .kernarg_segment_align: 8
    .kernarg_segment_size: 64
    .language:       OpenCL C
    .language_version:
      - 2
      - 0
    .max_flat_workgroup_size: 512
    .name:           _ZN7rocprim17ROCPRIM_400000_NS6detail17trampoline_kernelINS0_14default_configENS1_35adjacent_difference_config_selectorILb1ElEEZNS1_24adjacent_difference_implIS3_Lb1ELb0EPlS7_ZN2at6native12_GLOBAL__N_124unique_dim_cuda_templateIbEESt5tupleIJNS8_6TensorESD_SD_EERKSD_lbbbEUlllE1_EE10hipError_tPvRmT2_T3_mT4_P12ihipStream_tbEUlT_E_NS1_11comp_targetILNS1_3genE3ELNS1_11target_archE908ELNS1_3gpuE7ELNS1_3repE0EEENS1_30default_config_static_selectorELNS0_4arch9wavefront6targetE1EEEvT1_
    .private_segment_fixed_size: 0
    .sgpr_count:     4
    .sgpr_spill_count: 0
    .symbol:         _ZN7rocprim17ROCPRIM_400000_NS6detail17trampoline_kernelINS0_14default_configENS1_35adjacent_difference_config_selectorILb1ElEEZNS1_24adjacent_difference_implIS3_Lb1ELb0EPlS7_ZN2at6native12_GLOBAL__N_124unique_dim_cuda_templateIbEESt5tupleIJNS8_6TensorESD_SD_EERKSD_lbbbEUlllE1_EE10hipError_tPvRmT2_T3_mT4_P12ihipStream_tbEUlT_E_NS1_11comp_targetILNS1_3genE3ELNS1_11target_archE908ELNS1_3gpuE7ELNS1_3repE0EEENS1_30default_config_static_selectorELNS0_4arch9wavefront6targetE1EEEvT1_.kd
    .uniform_work_group_size: 1
    .uses_dynamic_stack: false
    .vgpr_count:     0
    .vgpr_spill_count: 0
    .wavefront_size: 64
  - .agpr_count:     0
    .args:
      - .offset:         0
        .size:           64
        .value_kind:     by_value
    .group_segment_fixed_size: 0
    .kernarg_segment_align: 8
    .kernarg_segment_size: 64
    .language:       OpenCL C
    .language_version:
      - 2
      - 0
    .max_flat_workgroup_size: 128
    .name:           _ZN7rocprim17ROCPRIM_400000_NS6detail17trampoline_kernelINS0_14default_configENS1_35adjacent_difference_config_selectorILb1ElEEZNS1_24adjacent_difference_implIS3_Lb1ELb0EPlS7_ZN2at6native12_GLOBAL__N_124unique_dim_cuda_templateIbEESt5tupleIJNS8_6TensorESD_SD_EERKSD_lbbbEUlllE1_EE10hipError_tPvRmT2_T3_mT4_P12ihipStream_tbEUlT_E_NS1_11comp_targetILNS1_3genE2ELNS1_11target_archE906ELNS1_3gpuE6ELNS1_3repE0EEENS1_30default_config_static_selectorELNS0_4arch9wavefront6targetE1EEEvT1_
    .private_segment_fixed_size: 0
    .sgpr_count:     4
    .sgpr_spill_count: 0
    .symbol:         _ZN7rocprim17ROCPRIM_400000_NS6detail17trampoline_kernelINS0_14default_configENS1_35adjacent_difference_config_selectorILb1ElEEZNS1_24adjacent_difference_implIS3_Lb1ELb0EPlS7_ZN2at6native12_GLOBAL__N_124unique_dim_cuda_templateIbEESt5tupleIJNS8_6TensorESD_SD_EERKSD_lbbbEUlllE1_EE10hipError_tPvRmT2_T3_mT4_P12ihipStream_tbEUlT_E_NS1_11comp_targetILNS1_3genE2ELNS1_11target_archE906ELNS1_3gpuE6ELNS1_3repE0EEENS1_30default_config_static_selectorELNS0_4arch9wavefront6targetE1EEEvT1_.kd
    .uniform_work_group_size: 1
    .uses_dynamic_stack: false
    .vgpr_count:     0
    .vgpr_spill_count: 0
    .wavefront_size: 64
  - .agpr_count:     0
    .args:
      - .offset:         0
        .size:           64
        .value_kind:     by_value
    .group_segment_fixed_size: 0
    .kernarg_segment_align: 8
    .kernarg_segment_size: 64
    .language:       OpenCL C
    .language_version:
      - 2
      - 0
    .max_flat_workgroup_size: 128
    .name:           _ZN7rocprim17ROCPRIM_400000_NS6detail17trampoline_kernelINS0_14default_configENS1_35adjacent_difference_config_selectorILb1ElEEZNS1_24adjacent_difference_implIS3_Lb1ELb0EPlS7_ZN2at6native12_GLOBAL__N_124unique_dim_cuda_templateIbEESt5tupleIJNS8_6TensorESD_SD_EERKSD_lbbbEUlllE1_EE10hipError_tPvRmT2_T3_mT4_P12ihipStream_tbEUlT_E_NS1_11comp_targetILNS1_3genE9ELNS1_11target_archE1100ELNS1_3gpuE3ELNS1_3repE0EEENS1_30default_config_static_selectorELNS0_4arch9wavefront6targetE1EEEvT1_
    .private_segment_fixed_size: 0
    .sgpr_count:     4
    .sgpr_spill_count: 0
    .symbol:         _ZN7rocprim17ROCPRIM_400000_NS6detail17trampoline_kernelINS0_14default_configENS1_35adjacent_difference_config_selectorILb1ElEEZNS1_24adjacent_difference_implIS3_Lb1ELb0EPlS7_ZN2at6native12_GLOBAL__N_124unique_dim_cuda_templateIbEESt5tupleIJNS8_6TensorESD_SD_EERKSD_lbbbEUlllE1_EE10hipError_tPvRmT2_T3_mT4_P12ihipStream_tbEUlT_E_NS1_11comp_targetILNS1_3genE9ELNS1_11target_archE1100ELNS1_3gpuE3ELNS1_3repE0EEENS1_30default_config_static_selectorELNS0_4arch9wavefront6targetE1EEEvT1_.kd
    .uniform_work_group_size: 1
    .uses_dynamic_stack: false
    .vgpr_count:     0
    .vgpr_spill_count: 0
    .wavefront_size: 64
  - .agpr_count:     0
    .args:
      - .offset:         0
        .size:           64
        .value_kind:     by_value
    .group_segment_fixed_size: 0
    .kernarg_segment_align: 8
    .kernarg_segment_size: 64
    .language:       OpenCL C
    .language_version:
      - 2
      - 0
    .max_flat_workgroup_size: 32
    .name:           _ZN7rocprim17ROCPRIM_400000_NS6detail17trampoline_kernelINS0_14default_configENS1_35adjacent_difference_config_selectorILb1ElEEZNS1_24adjacent_difference_implIS3_Lb1ELb0EPlS7_ZN2at6native12_GLOBAL__N_124unique_dim_cuda_templateIbEESt5tupleIJNS8_6TensorESD_SD_EERKSD_lbbbEUlllE1_EE10hipError_tPvRmT2_T3_mT4_P12ihipStream_tbEUlT_E_NS1_11comp_targetILNS1_3genE8ELNS1_11target_archE1030ELNS1_3gpuE2ELNS1_3repE0EEENS1_30default_config_static_selectorELNS0_4arch9wavefront6targetE1EEEvT1_
    .private_segment_fixed_size: 0
    .sgpr_count:     4
    .sgpr_spill_count: 0
    .symbol:         _ZN7rocprim17ROCPRIM_400000_NS6detail17trampoline_kernelINS0_14default_configENS1_35adjacent_difference_config_selectorILb1ElEEZNS1_24adjacent_difference_implIS3_Lb1ELb0EPlS7_ZN2at6native12_GLOBAL__N_124unique_dim_cuda_templateIbEESt5tupleIJNS8_6TensorESD_SD_EERKSD_lbbbEUlllE1_EE10hipError_tPvRmT2_T3_mT4_P12ihipStream_tbEUlT_E_NS1_11comp_targetILNS1_3genE8ELNS1_11target_archE1030ELNS1_3gpuE2ELNS1_3repE0EEENS1_30default_config_static_selectorELNS0_4arch9wavefront6targetE1EEEvT1_.kd
    .uniform_work_group_size: 1
    .uses_dynamic_stack: false
    .vgpr_count:     0
    .vgpr_spill_count: 0
    .wavefront_size: 64
  - .agpr_count:     0
    .args:
      - .offset:         0
        .size:           120
        .value_kind:     by_value
    .group_segment_fixed_size: 0
    .kernarg_segment_align: 8
    .kernarg_segment_size: 120
    .language:       OpenCL C
    .language_version:
      - 2
      - 0
    .max_flat_workgroup_size: 512
    .name:           _ZN7rocprim17ROCPRIM_400000_NS6detail17trampoline_kernelINS0_14default_configENS1_25partition_config_selectorILNS1_17partition_subalgoE8ElNS0_10empty_typeEbEEZZNS1_14partition_implILS5_8ELb0ES3_jPlPS6_PKS6_NS0_5tupleIJS9_S6_EEENSD_IJSA_SA_EEENS0_18inequality_wrapperIZN2at6native12_GLOBAL__N_124unique_dim_cuda_templateIbEESt5tupleIJNSH_6TensorESM_SM_EERKSM_lbbbEUlllE0_EEPmJS6_EEE10hipError_tPvRmT3_T4_T5_T6_T7_T9_mT8_P12ihipStream_tbDpT10_ENKUlT_T0_E_clISt17integral_constantIbLb0EES1C_EEDaS17_S18_EUlS17_E_NS1_11comp_targetILNS1_3genE0ELNS1_11target_archE4294967295ELNS1_3gpuE0ELNS1_3repE0EEENS1_30default_config_static_selectorELNS0_4arch9wavefront6targetE1EEEvT1_
    .private_segment_fixed_size: 0
    .sgpr_count:     4
    .sgpr_spill_count: 0
    .symbol:         _ZN7rocprim17ROCPRIM_400000_NS6detail17trampoline_kernelINS0_14default_configENS1_25partition_config_selectorILNS1_17partition_subalgoE8ElNS0_10empty_typeEbEEZZNS1_14partition_implILS5_8ELb0ES3_jPlPS6_PKS6_NS0_5tupleIJS9_S6_EEENSD_IJSA_SA_EEENS0_18inequality_wrapperIZN2at6native12_GLOBAL__N_124unique_dim_cuda_templateIbEESt5tupleIJNSH_6TensorESM_SM_EERKSM_lbbbEUlllE0_EEPmJS6_EEE10hipError_tPvRmT3_T4_T5_T6_T7_T9_mT8_P12ihipStream_tbDpT10_ENKUlT_T0_E_clISt17integral_constantIbLb0EES1C_EEDaS17_S18_EUlS17_E_NS1_11comp_targetILNS1_3genE0ELNS1_11target_archE4294967295ELNS1_3gpuE0ELNS1_3repE0EEENS1_30default_config_static_selectorELNS0_4arch9wavefront6targetE1EEEvT1_.kd
    .uniform_work_group_size: 1
    .uses_dynamic_stack: false
    .vgpr_count:     0
    .vgpr_spill_count: 0
    .wavefront_size: 64
  - .agpr_count:     0
    .args:
      - .offset:         0
        .size:           120
        .value_kind:     by_value
    .group_segment_fixed_size: 0
    .kernarg_segment_align: 8
    .kernarg_segment_size: 120
    .language:       OpenCL C
    .language_version:
      - 2
      - 0
    .max_flat_workgroup_size: 512
    .name:           _ZN7rocprim17ROCPRIM_400000_NS6detail17trampoline_kernelINS0_14default_configENS1_25partition_config_selectorILNS1_17partition_subalgoE8ElNS0_10empty_typeEbEEZZNS1_14partition_implILS5_8ELb0ES3_jPlPS6_PKS6_NS0_5tupleIJS9_S6_EEENSD_IJSA_SA_EEENS0_18inequality_wrapperIZN2at6native12_GLOBAL__N_124unique_dim_cuda_templateIbEESt5tupleIJNSH_6TensorESM_SM_EERKSM_lbbbEUlllE0_EEPmJS6_EEE10hipError_tPvRmT3_T4_T5_T6_T7_T9_mT8_P12ihipStream_tbDpT10_ENKUlT_T0_E_clISt17integral_constantIbLb0EES1C_EEDaS17_S18_EUlS17_E_NS1_11comp_targetILNS1_3genE5ELNS1_11target_archE942ELNS1_3gpuE9ELNS1_3repE0EEENS1_30default_config_static_selectorELNS0_4arch9wavefront6targetE1EEEvT1_
    .private_segment_fixed_size: 0
    .sgpr_count:     4
    .sgpr_spill_count: 0
    .symbol:         _ZN7rocprim17ROCPRIM_400000_NS6detail17trampoline_kernelINS0_14default_configENS1_25partition_config_selectorILNS1_17partition_subalgoE8ElNS0_10empty_typeEbEEZZNS1_14partition_implILS5_8ELb0ES3_jPlPS6_PKS6_NS0_5tupleIJS9_S6_EEENSD_IJSA_SA_EEENS0_18inequality_wrapperIZN2at6native12_GLOBAL__N_124unique_dim_cuda_templateIbEESt5tupleIJNSH_6TensorESM_SM_EERKSM_lbbbEUlllE0_EEPmJS6_EEE10hipError_tPvRmT3_T4_T5_T6_T7_T9_mT8_P12ihipStream_tbDpT10_ENKUlT_T0_E_clISt17integral_constantIbLb0EES1C_EEDaS17_S18_EUlS17_E_NS1_11comp_targetILNS1_3genE5ELNS1_11target_archE942ELNS1_3gpuE9ELNS1_3repE0EEENS1_30default_config_static_selectorELNS0_4arch9wavefront6targetE1EEEvT1_.kd
    .uniform_work_group_size: 1
    .uses_dynamic_stack: false
    .vgpr_count:     0
    .vgpr_spill_count: 0
    .wavefront_size: 64
  - .agpr_count:     0
    .args:
      - .offset:         0
        .size:           120
        .value_kind:     by_value
    .group_segment_fixed_size: 10252
    .kernarg_segment_align: 8
    .kernarg_segment_size: 120
    .language:       OpenCL C
    .language_version:
      - 2
      - 0
    .max_flat_workgroup_size: 256
    .name:           _ZN7rocprim17ROCPRIM_400000_NS6detail17trampoline_kernelINS0_14default_configENS1_25partition_config_selectorILNS1_17partition_subalgoE8ElNS0_10empty_typeEbEEZZNS1_14partition_implILS5_8ELb0ES3_jPlPS6_PKS6_NS0_5tupleIJS9_S6_EEENSD_IJSA_SA_EEENS0_18inequality_wrapperIZN2at6native12_GLOBAL__N_124unique_dim_cuda_templateIbEESt5tupleIJNSH_6TensorESM_SM_EERKSM_lbbbEUlllE0_EEPmJS6_EEE10hipError_tPvRmT3_T4_T5_T6_T7_T9_mT8_P12ihipStream_tbDpT10_ENKUlT_T0_E_clISt17integral_constantIbLb0EES1C_EEDaS17_S18_EUlS17_E_NS1_11comp_targetILNS1_3genE4ELNS1_11target_archE910ELNS1_3gpuE8ELNS1_3repE0EEENS1_30default_config_static_selectorELNS0_4arch9wavefront6targetE1EEEvT1_
    .private_segment_fixed_size: 0
    .sgpr_count:     52
    .sgpr_spill_count: 0
    .symbol:         _ZN7rocprim17ROCPRIM_400000_NS6detail17trampoline_kernelINS0_14default_configENS1_25partition_config_selectorILNS1_17partition_subalgoE8ElNS0_10empty_typeEbEEZZNS1_14partition_implILS5_8ELb0ES3_jPlPS6_PKS6_NS0_5tupleIJS9_S6_EEENSD_IJSA_SA_EEENS0_18inequality_wrapperIZN2at6native12_GLOBAL__N_124unique_dim_cuda_templateIbEESt5tupleIJNSH_6TensorESM_SM_EERKSM_lbbbEUlllE0_EEPmJS6_EEE10hipError_tPvRmT3_T4_T5_T6_T7_T9_mT8_P12ihipStream_tbDpT10_ENKUlT_T0_E_clISt17integral_constantIbLb0EES1C_EEDaS17_S18_EUlS17_E_NS1_11comp_targetILNS1_3genE4ELNS1_11target_archE910ELNS1_3gpuE8ELNS1_3repE0EEENS1_30default_config_static_selectorELNS0_4arch9wavefront6targetE1EEEvT1_.kd
    .uniform_work_group_size: 1
    .uses_dynamic_stack: false
    .vgpr_count:     46
    .vgpr_spill_count: 0
    .wavefront_size: 64
  - .agpr_count:     0
    .args:
      - .offset:         0
        .size:           120
        .value_kind:     by_value
    .group_segment_fixed_size: 0
    .kernarg_segment_align: 8
    .kernarg_segment_size: 120
    .language:       OpenCL C
    .language_version:
      - 2
      - 0
    .max_flat_workgroup_size: 512
    .name:           _ZN7rocprim17ROCPRIM_400000_NS6detail17trampoline_kernelINS0_14default_configENS1_25partition_config_selectorILNS1_17partition_subalgoE8ElNS0_10empty_typeEbEEZZNS1_14partition_implILS5_8ELb0ES3_jPlPS6_PKS6_NS0_5tupleIJS9_S6_EEENSD_IJSA_SA_EEENS0_18inequality_wrapperIZN2at6native12_GLOBAL__N_124unique_dim_cuda_templateIbEESt5tupleIJNSH_6TensorESM_SM_EERKSM_lbbbEUlllE0_EEPmJS6_EEE10hipError_tPvRmT3_T4_T5_T6_T7_T9_mT8_P12ihipStream_tbDpT10_ENKUlT_T0_E_clISt17integral_constantIbLb0EES1C_EEDaS17_S18_EUlS17_E_NS1_11comp_targetILNS1_3genE3ELNS1_11target_archE908ELNS1_3gpuE7ELNS1_3repE0EEENS1_30default_config_static_selectorELNS0_4arch9wavefront6targetE1EEEvT1_
    .private_segment_fixed_size: 0
    .sgpr_count:     4
    .sgpr_spill_count: 0
    .symbol:         _ZN7rocprim17ROCPRIM_400000_NS6detail17trampoline_kernelINS0_14default_configENS1_25partition_config_selectorILNS1_17partition_subalgoE8ElNS0_10empty_typeEbEEZZNS1_14partition_implILS5_8ELb0ES3_jPlPS6_PKS6_NS0_5tupleIJS9_S6_EEENSD_IJSA_SA_EEENS0_18inequality_wrapperIZN2at6native12_GLOBAL__N_124unique_dim_cuda_templateIbEESt5tupleIJNSH_6TensorESM_SM_EERKSM_lbbbEUlllE0_EEPmJS6_EEE10hipError_tPvRmT3_T4_T5_T6_T7_T9_mT8_P12ihipStream_tbDpT10_ENKUlT_T0_E_clISt17integral_constantIbLb0EES1C_EEDaS17_S18_EUlS17_E_NS1_11comp_targetILNS1_3genE3ELNS1_11target_archE908ELNS1_3gpuE7ELNS1_3repE0EEENS1_30default_config_static_selectorELNS0_4arch9wavefront6targetE1EEEvT1_.kd
    .uniform_work_group_size: 1
    .uses_dynamic_stack: false
    .vgpr_count:     0
    .vgpr_spill_count: 0
    .wavefront_size: 64
  - .agpr_count:     0
    .args:
      - .offset:         0
        .size:           120
        .value_kind:     by_value
    .group_segment_fixed_size: 0
    .kernarg_segment_align: 8
    .kernarg_segment_size: 120
    .language:       OpenCL C
    .language_version:
      - 2
      - 0
    .max_flat_workgroup_size: 256
    .name:           _ZN7rocprim17ROCPRIM_400000_NS6detail17trampoline_kernelINS0_14default_configENS1_25partition_config_selectorILNS1_17partition_subalgoE8ElNS0_10empty_typeEbEEZZNS1_14partition_implILS5_8ELb0ES3_jPlPS6_PKS6_NS0_5tupleIJS9_S6_EEENSD_IJSA_SA_EEENS0_18inequality_wrapperIZN2at6native12_GLOBAL__N_124unique_dim_cuda_templateIbEESt5tupleIJNSH_6TensorESM_SM_EERKSM_lbbbEUlllE0_EEPmJS6_EEE10hipError_tPvRmT3_T4_T5_T6_T7_T9_mT8_P12ihipStream_tbDpT10_ENKUlT_T0_E_clISt17integral_constantIbLb0EES1C_EEDaS17_S18_EUlS17_E_NS1_11comp_targetILNS1_3genE2ELNS1_11target_archE906ELNS1_3gpuE6ELNS1_3repE0EEENS1_30default_config_static_selectorELNS0_4arch9wavefront6targetE1EEEvT1_
    .private_segment_fixed_size: 0
    .sgpr_count:     4
    .sgpr_spill_count: 0
    .symbol:         _ZN7rocprim17ROCPRIM_400000_NS6detail17trampoline_kernelINS0_14default_configENS1_25partition_config_selectorILNS1_17partition_subalgoE8ElNS0_10empty_typeEbEEZZNS1_14partition_implILS5_8ELb0ES3_jPlPS6_PKS6_NS0_5tupleIJS9_S6_EEENSD_IJSA_SA_EEENS0_18inequality_wrapperIZN2at6native12_GLOBAL__N_124unique_dim_cuda_templateIbEESt5tupleIJNSH_6TensorESM_SM_EERKSM_lbbbEUlllE0_EEPmJS6_EEE10hipError_tPvRmT3_T4_T5_T6_T7_T9_mT8_P12ihipStream_tbDpT10_ENKUlT_T0_E_clISt17integral_constantIbLb0EES1C_EEDaS17_S18_EUlS17_E_NS1_11comp_targetILNS1_3genE2ELNS1_11target_archE906ELNS1_3gpuE6ELNS1_3repE0EEENS1_30default_config_static_selectorELNS0_4arch9wavefront6targetE1EEEvT1_.kd
    .uniform_work_group_size: 1
    .uses_dynamic_stack: false
    .vgpr_count:     0
    .vgpr_spill_count: 0
    .wavefront_size: 64
  - .agpr_count:     0
    .args:
      - .offset:         0
        .size:           120
        .value_kind:     by_value
    .group_segment_fixed_size: 0
    .kernarg_segment_align: 8
    .kernarg_segment_size: 120
    .language:       OpenCL C
    .language_version:
      - 2
      - 0
    .max_flat_workgroup_size: 384
    .name:           _ZN7rocprim17ROCPRIM_400000_NS6detail17trampoline_kernelINS0_14default_configENS1_25partition_config_selectorILNS1_17partition_subalgoE8ElNS0_10empty_typeEbEEZZNS1_14partition_implILS5_8ELb0ES3_jPlPS6_PKS6_NS0_5tupleIJS9_S6_EEENSD_IJSA_SA_EEENS0_18inequality_wrapperIZN2at6native12_GLOBAL__N_124unique_dim_cuda_templateIbEESt5tupleIJNSH_6TensorESM_SM_EERKSM_lbbbEUlllE0_EEPmJS6_EEE10hipError_tPvRmT3_T4_T5_T6_T7_T9_mT8_P12ihipStream_tbDpT10_ENKUlT_T0_E_clISt17integral_constantIbLb0EES1C_EEDaS17_S18_EUlS17_E_NS1_11comp_targetILNS1_3genE10ELNS1_11target_archE1200ELNS1_3gpuE4ELNS1_3repE0EEENS1_30default_config_static_selectorELNS0_4arch9wavefront6targetE1EEEvT1_
    .private_segment_fixed_size: 0
    .sgpr_count:     4
    .sgpr_spill_count: 0
    .symbol:         _ZN7rocprim17ROCPRIM_400000_NS6detail17trampoline_kernelINS0_14default_configENS1_25partition_config_selectorILNS1_17partition_subalgoE8ElNS0_10empty_typeEbEEZZNS1_14partition_implILS5_8ELb0ES3_jPlPS6_PKS6_NS0_5tupleIJS9_S6_EEENSD_IJSA_SA_EEENS0_18inequality_wrapperIZN2at6native12_GLOBAL__N_124unique_dim_cuda_templateIbEESt5tupleIJNSH_6TensorESM_SM_EERKSM_lbbbEUlllE0_EEPmJS6_EEE10hipError_tPvRmT3_T4_T5_T6_T7_T9_mT8_P12ihipStream_tbDpT10_ENKUlT_T0_E_clISt17integral_constantIbLb0EES1C_EEDaS17_S18_EUlS17_E_NS1_11comp_targetILNS1_3genE10ELNS1_11target_archE1200ELNS1_3gpuE4ELNS1_3repE0EEENS1_30default_config_static_selectorELNS0_4arch9wavefront6targetE1EEEvT1_.kd
    .uniform_work_group_size: 1
    .uses_dynamic_stack: false
    .vgpr_count:     0
    .vgpr_spill_count: 0
    .wavefront_size: 64
  - .agpr_count:     0
    .args:
      - .offset:         0
        .size:           120
        .value_kind:     by_value
    .group_segment_fixed_size: 0
    .kernarg_segment_align: 8
    .kernarg_segment_size: 120
    .language:       OpenCL C
    .language_version:
      - 2
      - 0
    .max_flat_workgroup_size: 512
    .name:           _ZN7rocprim17ROCPRIM_400000_NS6detail17trampoline_kernelINS0_14default_configENS1_25partition_config_selectorILNS1_17partition_subalgoE8ElNS0_10empty_typeEbEEZZNS1_14partition_implILS5_8ELb0ES3_jPlPS6_PKS6_NS0_5tupleIJS9_S6_EEENSD_IJSA_SA_EEENS0_18inequality_wrapperIZN2at6native12_GLOBAL__N_124unique_dim_cuda_templateIbEESt5tupleIJNSH_6TensorESM_SM_EERKSM_lbbbEUlllE0_EEPmJS6_EEE10hipError_tPvRmT3_T4_T5_T6_T7_T9_mT8_P12ihipStream_tbDpT10_ENKUlT_T0_E_clISt17integral_constantIbLb0EES1C_EEDaS17_S18_EUlS17_E_NS1_11comp_targetILNS1_3genE9ELNS1_11target_archE1100ELNS1_3gpuE3ELNS1_3repE0EEENS1_30default_config_static_selectorELNS0_4arch9wavefront6targetE1EEEvT1_
    .private_segment_fixed_size: 0
    .sgpr_count:     4
    .sgpr_spill_count: 0
    .symbol:         _ZN7rocprim17ROCPRIM_400000_NS6detail17trampoline_kernelINS0_14default_configENS1_25partition_config_selectorILNS1_17partition_subalgoE8ElNS0_10empty_typeEbEEZZNS1_14partition_implILS5_8ELb0ES3_jPlPS6_PKS6_NS0_5tupleIJS9_S6_EEENSD_IJSA_SA_EEENS0_18inequality_wrapperIZN2at6native12_GLOBAL__N_124unique_dim_cuda_templateIbEESt5tupleIJNSH_6TensorESM_SM_EERKSM_lbbbEUlllE0_EEPmJS6_EEE10hipError_tPvRmT3_T4_T5_T6_T7_T9_mT8_P12ihipStream_tbDpT10_ENKUlT_T0_E_clISt17integral_constantIbLb0EES1C_EEDaS17_S18_EUlS17_E_NS1_11comp_targetILNS1_3genE9ELNS1_11target_archE1100ELNS1_3gpuE3ELNS1_3repE0EEENS1_30default_config_static_selectorELNS0_4arch9wavefront6targetE1EEEvT1_.kd
    .uniform_work_group_size: 1
    .uses_dynamic_stack: false
    .vgpr_count:     0
    .vgpr_spill_count: 0
    .wavefront_size: 64
  - .agpr_count:     0
    .args:
      - .offset:         0
        .size:           120
        .value_kind:     by_value
    .group_segment_fixed_size: 0
    .kernarg_segment_align: 8
    .kernarg_segment_size: 120
    .language:       OpenCL C
    .language_version:
      - 2
      - 0
    .max_flat_workgroup_size: 512
    .name:           _ZN7rocprim17ROCPRIM_400000_NS6detail17trampoline_kernelINS0_14default_configENS1_25partition_config_selectorILNS1_17partition_subalgoE8ElNS0_10empty_typeEbEEZZNS1_14partition_implILS5_8ELb0ES3_jPlPS6_PKS6_NS0_5tupleIJS9_S6_EEENSD_IJSA_SA_EEENS0_18inequality_wrapperIZN2at6native12_GLOBAL__N_124unique_dim_cuda_templateIbEESt5tupleIJNSH_6TensorESM_SM_EERKSM_lbbbEUlllE0_EEPmJS6_EEE10hipError_tPvRmT3_T4_T5_T6_T7_T9_mT8_P12ihipStream_tbDpT10_ENKUlT_T0_E_clISt17integral_constantIbLb0EES1C_EEDaS17_S18_EUlS17_E_NS1_11comp_targetILNS1_3genE8ELNS1_11target_archE1030ELNS1_3gpuE2ELNS1_3repE0EEENS1_30default_config_static_selectorELNS0_4arch9wavefront6targetE1EEEvT1_
    .private_segment_fixed_size: 0
    .sgpr_count:     4
    .sgpr_spill_count: 0
    .symbol:         _ZN7rocprim17ROCPRIM_400000_NS6detail17trampoline_kernelINS0_14default_configENS1_25partition_config_selectorILNS1_17partition_subalgoE8ElNS0_10empty_typeEbEEZZNS1_14partition_implILS5_8ELb0ES3_jPlPS6_PKS6_NS0_5tupleIJS9_S6_EEENSD_IJSA_SA_EEENS0_18inequality_wrapperIZN2at6native12_GLOBAL__N_124unique_dim_cuda_templateIbEESt5tupleIJNSH_6TensorESM_SM_EERKSM_lbbbEUlllE0_EEPmJS6_EEE10hipError_tPvRmT3_T4_T5_T6_T7_T9_mT8_P12ihipStream_tbDpT10_ENKUlT_T0_E_clISt17integral_constantIbLb0EES1C_EEDaS17_S18_EUlS17_E_NS1_11comp_targetILNS1_3genE8ELNS1_11target_archE1030ELNS1_3gpuE2ELNS1_3repE0EEENS1_30default_config_static_selectorELNS0_4arch9wavefront6targetE1EEEvT1_.kd
    .uniform_work_group_size: 1
    .uses_dynamic_stack: false
    .vgpr_count:     0
    .vgpr_spill_count: 0
    .wavefront_size: 64
  - .agpr_count:     0
    .args:
      - .offset:         0
        .size:           136
        .value_kind:     by_value
    .group_segment_fixed_size: 0
    .kernarg_segment_align: 8
    .kernarg_segment_size: 136
    .language:       OpenCL C
    .language_version:
      - 2
      - 0
    .max_flat_workgroup_size: 512
    .name:           _ZN7rocprim17ROCPRIM_400000_NS6detail17trampoline_kernelINS0_14default_configENS1_25partition_config_selectorILNS1_17partition_subalgoE8ElNS0_10empty_typeEbEEZZNS1_14partition_implILS5_8ELb0ES3_jPlPS6_PKS6_NS0_5tupleIJS9_S6_EEENSD_IJSA_SA_EEENS0_18inequality_wrapperIZN2at6native12_GLOBAL__N_124unique_dim_cuda_templateIbEESt5tupleIJNSH_6TensorESM_SM_EERKSM_lbbbEUlllE0_EEPmJS6_EEE10hipError_tPvRmT3_T4_T5_T6_T7_T9_mT8_P12ihipStream_tbDpT10_ENKUlT_T0_E_clISt17integral_constantIbLb1EES1C_EEDaS17_S18_EUlS17_E_NS1_11comp_targetILNS1_3genE0ELNS1_11target_archE4294967295ELNS1_3gpuE0ELNS1_3repE0EEENS1_30default_config_static_selectorELNS0_4arch9wavefront6targetE1EEEvT1_
    .private_segment_fixed_size: 0
    .sgpr_count:     4
    .sgpr_spill_count: 0
    .symbol:         _ZN7rocprim17ROCPRIM_400000_NS6detail17trampoline_kernelINS0_14default_configENS1_25partition_config_selectorILNS1_17partition_subalgoE8ElNS0_10empty_typeEbEEZZNS1_14partition_implILS5_8ELb0ES3_jPlPS6_PKS6_NS0_5tupleIJS9_S6_EEENSD_IJSA_SA_EEENS0_18inequality_wrapperIZN2at6native12_GLOBAL__N_124unique_dim_cuda_templateIbEESt5tupleIJNSH_6TensorESM_SM_EERKSM_lbbbEUlllE0_EEPmJS6_EEE10hipError_tPvRmT3_T4_T5_T6_T7_T9_mT8_P12ihipStream_tbDpT10_ENKUlT_T0_E_clISt17integral_constantIbLb1EES1C_EEDaS17_S18_EUlS17_E_NS1_11comp_targetILNS1_3genE0ELNS1_11target_archE4294967295ELNS1_3gpuE0ELNS1_3repE0EEENS1_30default_config_static_selectorELNS0_4arch9wavefront6targetE1EEEvT1_.kd
    .uniform_work_group_size: 1
    .uses_dynamic_stack: false
    .vgpr_count:     0
    .vgpr_spill_count: 0
    .wavefront_size: 64
  - .agpr_count:     0
    .args:
      - .offset:         0
        .size:           136
        .value_kind:     by_value
    .group_segment_fixed_size: 0
    .kernarg_segment_align: 8
    .kernarg_segment_size: 136
    .language:       OpenCL C
    .language_version:
      - 2
      - 0
    .max_flat_workgroup_size: 512
    .name:           _ZN7rocprim17ROCPRIM_400000_NS6detail17trampoline_kernelINS0_14default_configENS1_25partition_config_selectorILNS1_17partition_subalgoE8ElNS0_10empty_typeEbEEZZNS1_14partition_implILS5_8ELb0ES3_jPlPS6_PKS6_NS0_5tupleIJS9_S6_EEENSD_IJSA_SA_EEENS0_18inequality_wrapperIZN2at6native12_GLOBAL__N_124unique_dim_cuda_templateIbEESt5tupleIJNSH_6TensorESM_SM_EERKSM_lbbbEUlllE0_EEPmJS6_EEE10hipError_tPvRmT3_T4_T5_T6_T7_T9_mT8_P12ihipStream_tbDpT10_ENKUlT_T0_E_clISt17integral_constantIbLb1EES1C_EEDaS17_S18_EUlS17_E_NS1_11comp_targetILNS1_3genE5ELNS1_11target_archE942ELNS1_3gpuE9ELNS1_3repE0EEENS1_30default_config_static_selectorELNS0_4arch9wavefront6targetE1EEEvT1_
    .private_segment_fixed_size: 0
    .sgpr_count:     4
    .sgpr_spill_count: 0
    .symbol:         _ZN7rocprim17ROCPRIM_400000_NS6detail17trampoline_kernelINS0_14default_configENS1_25partition_config_selectorILNS1_17partition_subalgoE8ElNS0_10empty_typeEbEEZZNS1_14partition_implILS5_8ELb0ES3_jPlPS6_PKS6_NS0_5tupleIJS9_S6_EEENSD_IJSA_SA_EEENS0_18inequality_wrapperIZN2at6native12_GLOBAL__N_124unique_dim_cuda_templateIbEESt5tupleIJNSH_6TensorESM_SM_EERKSM_lbbbEUlllE0_EEPmJS6_EEE10hipError_tPvRmT3_T4_T5_T6_T7_T9_mT8_P12ihipStream_tbDpT10_ENKUlT_T0_E_clISt17integral_constantIbLb1EES1C_EEDaS17_S18_EUlS17_E_NS1_11comp_targetILNS1_3genE5ELNS1_11target_archE942ELNS1_3gpuE9ELNS1_3repE0EEENS1_30default_config_static_selectorELNS0_4arch9wavefront6targetE1EEEvT1_.kd
    .uniform_work_group_size: 1
    .uses_dynamic_stack: false
    .vgpr_count:     0
    .vgpr_spill_count: 0
    .wavefront_size: 64
  - .agpr_count:     0
    .args:
      - .offset:         0
        .size:           136
        .value_kind:     by_value
    .group_segment_fixed_size: 10252
    .kernarg_segment_align: 8
    .kernarg_segment_size: 136
    .language:       OpenCL C
    .language_version:
      - 2
      - 0
    .max_flat_workgroup_size: 256
    .name:           _ZN7rocprim17ROCPRIM_400000_NS6detail17trampoline_kernelINS0_14default_configENS1_25partition_config_selectorILNS1_17partition_subalgoE8ElNS0_10empty_typeEbEEZZNS1_14partition_implILS5_8ELb0ES3_jPlPS6_PKS6_NS0_5tupleIJS9_S6_EEENSD_IJSA_SA_EEENS0_18inequality_wrapperIZN2at6native12_GLOBAL__N_124unique_dim_cuda_templateIbEESt5tupleIJNSH_6TensorESM_SM_EERKSM_lbbbEUlllE0_EEPmJS6_EEE10hipError_tPvRmT3_T4_T5_T6_T7_T9_mT8_P12ihipStream_tbDpT10_ENKUlT_T0_E_clISt17integral_constantIbLb1EES1C_EEDaS17_S18_EUlS17_E_NS1_11comp_targetILNS1_3genE4ELNS1_11target_archE910ELNS1_3gpuE8ELNS1_3repE0EEENS1_30default_config_static_selectorELNS0_4arch9wavefront6targetE1EEEvT1_
    .private_segment_fixed_size: 0
    .sgpr_count:     56
    .sgpr_spill_count: 0
    .symbol:         _ZN7rocprim17ROCPRIM_400000_NS6detail17trampoline_kernelINS0_14default_configENS1_25partition_config_selectorILNS1_17partition_subalgoE8ElNS0_10empty_typeEbEEZZNS1_14partition_implILS5_8ELb0ES3_jPlPS6_PKS6_NS0_5tupleIJS9_S6_EEENSD_IJSA_SA_EEENS0_18inequality_wrapperIZN2at6native12_GLOBAL__N_124unique_dim_cuda_templateIbEESt5tupleIJNSH_6TensorESM_SM_EERKSM_lbbbEUlllE0_EEPmJS6_EEE10hipError_tPvRmT3_T4_T5_T6_T7_T9_mT8_P12ihipStream_tbDpT10_ENKUlT_T0_E_clISt17integral_constantIbLb1EES1C_EEDaS17_S18_EUlS17_E_NS1_11comp_targetILNS1_3genE4ELNS1_11target_archE910ELNS1_3gpuE8ELNS1_3repE0EEENS1_30default_config_static_selectorELNS0_4arch9wavefront6targetE1EEEvT1_.kd
    .uniform_work_group_size: 1
    .uses_dynamic_stack: false
    .vgpr_count:     46
    .vgpr_spill_count: 0
    .wavefront_size: 64
  - .agpr_count:     0
    .args:
      - .offset:         0
        .size:           136
        .value_kind:     by_value
    .group_segment_fixed_size: 0
    .kernarg_segment_align: 8
    .kernarg_segment_size: 136
    .language:       OpenCL C
    .language_version:
      - 2
      - 0
    .max_flat_workgroup_size: 512
    .name:           _ZN7rocprim17ROCPRIM_400000_NS6detail17trampoline_kernelINS0_14default_configENS1_25partition_config_selectorILNS1_17partition_subalgoE8ElNS0_10empty_typeEbEEZZNS1_14partition_implILS5_8ELb0ES3_jPlPS6_PKS6_NS0_5tupleIJS9_S6_EEENSD_IJSA_SA_EEENS0_18inequality_wrapperIZN2at6native12_GLOBAL__N_124unique_dim_cuda_templateIbEESt5tupleIJNSH_6TensorESM_SM_EERKSM_lbbbEUlllE0_EEPmJS6_EEE10hipError_tPvRmT3_T4_T5_T6_T7_T9_mT8_P12ihipStream_tbDpT10_ENKUlT_T0_E_clISt17integral_constantIbLb1EES1C_EEDaS17_S18_EUlS17_E_NS1_11comp_targetILNS1_3genE3ELNS1_11target_archE908ELNS1_3gpuE7ELNS1_3repE0EEENS1_30default_config_static_selectorELNS0_4arch9wavefront6targetE1EEEvT1_
    .private_segment_fixed_size: 0
    .sgpr_count:     4
    .sgpr_spill_count: 0
    .symbol:         _ZN7rocprim17ROCPRIM_400000_NS6detail17trampoline_kernelINS0_14default_configENS1_25partition_config_selectorILNS1_17partition_subalgoE8ElNS0_10empty_typeEbEEZZNS1_14partition_implILS5_8ELb0ES3_jPlPS6_PKS6_NS0_5tupleIJS9_S6_EEENSD_IJSA_SA_EEENS0_18inequality_wrapperIZN2at6native12_GLOBAL__N_124unique_dim_cuda_templateIbEESt5tupleIJNSH_6TensorESM_SM_EERKSM_lbbbEUlllE0_EEPmJS6_EEE10hipError_tPvRmT3_T4_T5_T6_T7_T9_mT8_P12ihipStream_tbDpT10_ENKUlT_T0_E_clISt17integral_constantIbLb1EES1C_EEDaS17_S18_EUlS17_E_NS1_11comp_targetILNS1_3genE3ELNS1_11target_archE908ELNS1_3gpuE7ELNS1_3repE0EEENS1_30default_config_static_selectorELNS0_4arch9wavefront6targetE1EEEvT1_.kd
    .uniform_work_group_size: 1
    .uses_dynamic_stack: false
    .vgpr_count:     0
    .vgpr_spill_count: 0
    .wavefront_size: 64
  - .agpr_count:     0
    .args:
      - .offset:         0
        .size:           136
        .value_kind:     by_value
    .group_segment_fixed_size: 0
    .kernarg_segment_align: 8
    .kernarg_segment_size: 136
    .language:       OpenCL C
    .language_version:
      - 2
      - 0
    .max_flat_workgroup_size: 256
    .name:           _ZN7rocprim17ROCPRIM_400000_NS6detail17trampoline_kernelINS0_14default_configENS1_25partition_config_selectorILNS1_17partition_subalgoE8ElNS0_10empty_typeEbEEZZNS1_14partition_implILS5_8ELb0ES3_jPlPS6_PKS6_NS0_5tupleIJS9_S6_EEENSD_IJSA_SA_EEENS0_18inequality_wrapperIZN2at6native12_GLOBAL__N_124unique_dim_cuda_templateIbEESt5tupleIJNSH_6TensorESM_SM_EERKSM_lbbbEUlllE0_EEPmJS6_EEE10hipError_tPvRmT3_T4_T5_T6_T7_T9_mT8_P12ihipStream_tbDpT10_ENKUlT_T0_E_clISt17integral_constantIbLb1EES1C_EEDaS17_S18_EUlS17_E_NS1_11comp_targetILNS1_3genE2ELNS1_11target_archE906ELNS1_3gpuE6ELNS1_3repE0EEENS1_30default_config_static_selectorELNS0_4arch9wavefront6targetE1EEEvT1_
    .private_segment_fixed_size: 0
    .sgpr_count:     4
    .sgpr_spill_count: 0
    .symbol:         _ZN7rocprim17ROCPRIM_400000_NS6detail17trampoline_kernelINS0_14default_configENS1_25partition_config_selectorILNS1_17partition_subalgoE8ElNS0_10empty_typeEbEEZZNS1_14partition_implILS5_8ELb0ES3_jPlPS6_PKS6_NS0_5tupleIJS9_S6_EEENSD_IJSA_SA_EEENS0_18inequality_wrapperIZN2at6native12_GLOBAL__N_124unique_dim_cuda_templateIbEESt5tupleIJNSH_6TensorESM_SM_EERKSM_lbbbEUlllE0_EEPmJS6_EEE10hipError_tPvRmT3_T4_T5_T6_T7_T9_mT8_P12ihipStream_tbDpT10_ENKUlT_T0_E_clISt17integral_constantIbLb1EES1C_EEDaS17_S18_EUlS17_E_NS1_11comp_targetILNS1_3genE2ELNS1_11target_archE906ELNS1_3gpuE6ELNS1_3repE0EEENS1_30default_config_static_selectorELNS0_4arch9wavefront6targetE1EEEvT1_.kd
    .uniform_work_group_size: 1
    .uses_dynamic_stack: false
    .vgpr_count:     0
    .vgpr_spill_count: 0
    .wavefront_size: 64
  - .agpr_count:     0
    .args:
      - .offset:         0
        .size:           136
        .value_kind:     by_value
    .group_segment_fixed_size: 0
    .kernarg_segment_align: 8
    .kernarg_segment_size: 136
    .language:       OpenCL C
    .language_version:
      - 2
      - 0
    .max_flat_workgroup_size: 384
    .name:           _ZN7rocprim17ROCPRIM_400000_NS6detail17trampoline_kernelINS0_14default_configENS1_25partition_config_selectorILNS1_17partition_subalgoE8ElNS0_10empty_typeEbEEZZNS1_14partition_implILS5_8ELb0ES3_jPlPS6_PKS6_NS0_5tupleIJS9_S6_EEENSD_IJSA_SA_EEENS0_18inequality_wrapperIZN2at6native12_GLOBAL__N_124unique_dim_cuda_templateIbEESt5tupleIJNSH_6TensorESM_SM_EERKSM_lbbbEUlllE0_EEPmJS6_EEE10hipError_tPvRmT3_T4_T5_T6_T7_T9_mT8_P12ihipStream_tbDpT10_ENKUlT_T0_E_clISt17integral_constantIbLb1EES1C_EEDaS17_S18_EUlS17_E_NS1_11comp_targetILNS1_3genE10ELNS1_11target_archE1200ELNS1_3gpuE4ELNS1_3repE0EEENS1_30default_config_static_selectorELNS0_4arch9wavefront6targetE1EEEvT1_
    .private_segment_fixed_size: 0
    .sgpr_count:     4
    .sgpr_spill_count: 0
    .symbol:         _ZN7rocprim17ROCPRIM_400000_NS6detail17trampoline_kernelINS0_14default_configENS1_25partition_config_selectorILNS1_17partition_subalgoE8ElNS0_10empty_typeEbEEZZNS1_14partition_implILS5_8ELb0ES3_jPlPS6_PKS6_NS0_5tupleIJS9_S6_EEENSD_IJSA_SA_EEENS0_18inequality_wrapperIZN2at6native12_GLOBAL__N_124unique_dim_cuda_templateIbEESt5tupleIJNSH_6TensorESM_SM_EERKSM_lbbbEUlllE0_EEPmJS6_EEE10hipError_tPvRmT3_T4_T5_T6_T7_T9_mT8_P12ihipStream_tbDpT10_ENKUlT_T0_E_clISt17integral_constantIbLb1EES1C_EEDaS17_S18_EUlS17_E_NS1_11comp_targetILNS1_3genE10ELNS1_11target_archE1200ELNS1_3gpuE4ELNS1_3repE0EEENS1_30default_config_static_selectorELNS0_4arch9wavefront6targetE1EEEvT1_.kd
    .uniform_work_group_size: 1
    .uses_dynamic_stack: false
    .vgpr_count:     0
    .vgpr_spill_count: 0
    .wavefront_size: 64
  - .agpr_count:     0
    .args:
      - .offset:         0
        .size:           136
        .value_kind:     by_value
    .group_segment_fixed_size: 0
    .kernarg_segment_align: 8
    .kernarg_segment_size: 136
    .language:       OpenCL C
    .language_version:
      - 2
      - 0
    .max_flat_workgroup_size: 512
    .name:           _ZN7rocprim17ROCPRIM_400000_NS6detail17trampoline_kernelINS0_14default_configENS1_25partition_config_selectorILNS1_17partition_subalgoE8ElNS0_10empty_typeEbEEZZNS1_14partition_implILS5_8ELb0ES3_jPlPS6_PKS6_NS0_5tupleIJS9_S6_EEENSD_IJSA_SA_EEENS0_18inequality_wrapperIZN2at6native12_GLOBAL__N_124unique_dim_cuda_templateIbEESt5tupleIJNSH_6TensorESM_SM_EERKSM_lbbbEUlllE0_EEPmJS6_EEE10hipError_tPvRmT3_T4_T5_T6_T7_T9_mT8_P12ihipStream_tbDpT10_ENKUlT_T0_E_clISt17integral_constantIbLb1EES1C_EEDaS17_S18_EUlS17_E_NS1_11comp_targetILNS1_3genE9ELNS1_11target_archE1100ELNS1_3gpuE3ELNS1_3repE0EEENS1_30default_config_static_selectorELNS0_4arch9wavefront6targetE1EEEvT1_
    .private_segment_fixed_size: 0
    .sgpr_count:     4
    .sgpr_spill_count: 0
    .symbol:         _ZN7rocprim17ROCPRIM_400000_NS6detail17trampoline_kernelINS0_14default_configENS1_25partition_config_selectorILNS1_17partition_subalgoE8ElNS0_10empty_typeEbEEZZNS1_14partition_implILS5_8ELb0ES3_jPlPS6_PKS6_NS0_5tupleIJS9_S6_EEENSD_IJSA_SA_EEENS0_18inequality_wrapperIZN2at6native12_GLOBAL__N_124unique_dim_cuda_templateIbEESt5tupleIJNSH_6TensorESM_SM_EERKSM_lbbbEUlllE0_EEPmJS6_EEE10hipError_tPvRmT3_T4_T5_T6_T7_T9_mT8_P12ihipStream_tbDpT10_ENKUlT_T0_E_clISt17integral_constantIbLb1EES1C_EEDaS17_S18_EUlS17_E_NS1_11comp_targetILNS1_3genE9ELNS1_11target_archE1100ELNS1_3gpuE3ELNS1_3repE0EEENS1_30default_config_static_selectorELNS0_4arch9wavefront6targetE1EEEvT1_.kd
    .uniform_work_group_size: 1
    .uses_dynamic_stack: false
    .vgpr_count:     0
    .vgpr_spill_count: 0
    .wavefront_size: 64
  - .agpr_count:     0
    .args:
      - .offset:         0
        .size:           136
        .value_kind:     by_value
    .group_segment_fixed_size: 0
    .kernarg_segment_align: 8
    .kernarg_segment_size: 136
    .language:       OpenCL C
    .language_version:
      - 2
      - 0
    .max_flat_workgroup_size: 512
    .name:           _ZN7rocprim17ROCPRIM_400000_NS6detail17trampoline_kernelINS0_14default_configENS1_25partition_config_selectorILNS1_17partition_subalgoE8ElNS0_10empty_typeEbEEZZNS1_14partition_implILS5_8ELb0ES3_jPlPS6_PKS6_NS0_5tupleIJS9_S6_EEENSD_IJSA_SA_EEENS0_18inequality_wrapperIZN2at6native12_GLOBAL__N_124unique_dim_cuda_templateIbEESt5tupleIJNSH_6TensorESM_SM_EERKSM_lbbbEUlllE0_EEPmJS6_EEE10hipError_tPvRmT3_T4_T5_T6_T7_T9_mT8_P12ihipStream_tbDpT10_ENKUlT_T0_E_clISt17integral_constantIbLb1EES1C_EEDaS17_S18_EUlS17_E_NS1_11comp_targetILNS1_3genE8ELNS1_11target_archE1030ELNS1_3gpuE2ELNS1_3repE0EEENS1_30default_config_static_selectorELNS0_4arch9wavefront6targetE1EEEvT1_
    .private_segment_fixed_size: 0
    .sgpr_count:     4
    .sgpr_spill_count: 0
    .symbol:         _ZN7rocprim17ROCPRIM_400000_NS6detail17trampoline_kernelINS0_14default_configENS1_25partition_config_selectorILNS1_17partition_subalgoE8ElNS0_10empty_typeEbEEZZNS1_14partition_implILS5_8ELb0ES3_jPlPS6_PKS6_NS0_5tupleIJS9_S6_EEENSD_IJSA_SA_EEENS0_18inequality_wrapperIZN2at6native12_GLOBAL__N_124unique_dim_cuda_templateIbEESt5tupleIJNSH_6TensorESM_SM_EERKSM_lbbbEUlllE0_EEPmJS6_EEE10hipError_tPvRmT3_T4_T5_T6_T7_T9_mT8_P12ihipStream_tbDpT10_ENKUlT_T0_E_clISt17integral_constantIbLb1EES1C_EEDaS17_S18_EUlS17_E_NS1_11comp_targetILNS1_3genE8ELNS1_11target_archE1030ELNS1_3gpuE2ELNS1_3repE0EEENS1_30default_config_static_selectorELNS0_4arch9wavefront6targetE1EEEvT1_.kd
    .uniform_work_group_size: 1
    .uses_dynamic_stack: false
    .vgpr_count:     0
    .vgpr_spill_count: 0
    .wavefront_size: 64
  - .agpr_count:     0
    .args:
      - .offset:         0
        .size:           120
        .value_kind:     by_value
    .group_segment_fixed_size: 0
    .kernarg_segment_align: 8
    .kernarg_segment_size: 120
    .language:       OpenCL C
    .language_version:
      - 2
      - 0
    .max_flat_workgroup_size: 512
    .name:           _ZN7rocprim17ROCPRIM_400000_NS6detail17trampoline_kernelINS0_14default_configENS1_25partition_config_selectorILNS1_17partition_subalgoE8ElNS0_10empty_typeEbEEZZNS1_14partition_implILS5_8ELb0ES3_jPlPS6_PKS6_NS0_5tupleIJS9_S6_EEENSD_IJSA_SA_EEENS0_18inequality_wrapperIZN2at6native12_GLOBAL__N_124unique_dim_cuda_templateIbEESt5tupleIJNSH_6TensorESM_SM_EERKSM_lbbbEUlllE0_EEPmJS6_EEE10hipError_tPvRmT3_T4_T5_T6_T7_T9_mT8_P12ihipStream_tbDpT10_ENKUlT_T0_E_clISt17integral_constantIbLb1EES1B_IbLb0EEEEDaS17_S18_EUlS17_E_NS1_11comp_targetILNS1_3genE0ELNS1_11target_archE4294967295ELNS1_3gpuE0ELNS1_3repE0EEENS1_30default_config_static_selectorELNS0_4arch9wavefront6targetE1EEEvT1_
    .private_segment_fixed_size: 0
    .sgpr_count:     4
    .sgpr_spill_count: 0
    .symbol:         _ZN7rocprim17ROCPRIM_400000_NS6detail17trampoline_kernelINS0_14default_configENS1_25partition_config_selectorILNS1_17partition_subalgoE8ElNS0_10empty_typeEbEEZZNS1_14partition_implILS5_8ELb0ES3_jPlPS6_PKS6_NS0_5tupleIJS9_S6_EEENSD_IJSA_SA_EEENS0_18inequality_wrapperIZN2at6native12_GLOBAL__N_124unique_dim_cuda_templateIbEESt5tupleIJNSH_6TensorESM_SM_EERKSM_lbbbEUlllE0_EEPmJS6_EEE10hipError_tPvRmT3_T4_T5_T6_T7_T9_mT8_P12ihipStream_tbDpT10_ENKUlT_T0_E_clISt17integral_constantIbLb1EES1B_IbLb0EEEEDaS17_S18_EUlS17_E_NS1_11comp_targetILNS1_3genE0ELNS1_11target_archE4294967295ELNS1_3gpuE0ELNS1_3repE0EEENS1_30default_config_static_selectorELNS0_4arch9wavefront6targetE1EEEvT1_.kd
    .uniform_work_group_size: 1
    .uses_dynamic_stack: false
    .vgpr_count:     0
    .vgpr_spill_count: 0
    .wavefront_size: 64
  - .agpr_count:     0
    .args:
      - .offset:         0
        .size:           120
        .value_kind:     by_value
    .group_segment_fixed_size: 0
    .kernarg_segment_align: 8
    .kernarg_segment_size: 120
    .language:       OpenCL C
    .language_version:
      - 2
      - 0
    .max_flat_workgroup_size: 512
    .name:           _ZN7rocprim17ROCPRIM_400000_NS6detail17trampoline_kernelINS0_14default_configENS1_25partition_config_selectorILNS1_17partition_subalgoE8ElNS0_10empty_typeEbEEZZNS1_14partition_implILS5_8ELb0ES3_jPlPS6_PKS6_NS0_5tupleIJS9_S6_EEENSD_IJSA_SA_EEENS0_18inequality_wrapperIZN2at6native12_GLOBAL__N_124unique_dim_cuda_templateIbEESt5tupleIJNSH_6TensorESM_SM_EERKSM_lbbbEUlllE0_EEPmJS6_EEE10hipError_tPvRmT3_T4_T5_T6_T7_T9_mT8_P12ihipStream_tbDpT10_ENKUlT_T0_E_clISt17integral_constantIbLb1EES1B_IbLb0EEEEDaS17_S18_EUlS17_E_NS1_11comp_targetILNS1_3genE5ELNS1_11target_archE942ELNS1_3gpuE9ELNS1_3repE0EEENS1_30default_config_static_selectorELNS0_4arch9wavefront6targetE1EEEvT1_
    .private_segment_fixed_size: 0
    .sgpr_count:     4
    .sgpr_spill_count: 0
    .symbol:         _ZN7rocprim17ROCPRIM_400000_NS6detail17trampoline_kernelINS0_14default_configENS1_25partition_config_selectorILNS1_17partition_subalgoE8ElNS0_10empty_typeEbEEZZNS1_14partition_implILS5_8ELb0ES3_jPlPS6_PKS6_NS0_5tupleIJS9_S6_EEENSD_IJSA_SA_EEENS0_18inequality_wrapperIZN2at6native12_GLOBAL__N_124unique_dim_cuda_templateIbEESt5tupleIJNSH_6TensorESM_SM_EERKSM_lbbbEUlllE0_EEPmJS6_EEE10hipError_tPvRmT3_T4_T5_T6_T7_T9_mT8_P12ihipStream_tbDpT10_ENKUlT_T0_E_clISt17integral_constantIbLb1EES1B_IbLb0EEEEDaS17_S18_EUlS17_E_NS1_11comp_targetILNS1_3genE5ELNS1_11target_archE942ELNS1_3gpuE9ELNS1_3repE0EEENS1_30default_config_static_selectorELNS0_4arch9wavefront6targetE1EEEvT1_.kd
    .uniform_work_group_size: 1
    .uses_dynamic_stack: false
    .vgpr_count:     0
    .vgpr_spill_count: 0
    .wavefront_size: 64
  - .agpr_count:     0
    .args:
      - .offset:         0
        .size:           120
        .value_kind:     by_value
    .group_segment_fixed_size: 10252
    .kernarg_segment_align: 8
    .kernarg_segment_size: 120
    .language:       OpenCL C
    .language_version:
      - 2
      - 0
    .max_flat_workgroup_size: 256
    .name:           _ZN7rocprim17ROCPRIM_400000_NS6detail17trampoline_kernelINS0_14default_configENS1_25partition_config_selectorILNS1_17partition_subalgoE8ElNS0_10empty_typeEbEEZZNS1_14partition_implILS5_8ELb0ES3_jPlPS6_PKS6_NS0_5tupleIJS9_S6_EEENSD_IJSA_SA_EEENS0_18inequality_wrapperIZN2at6native12_GLOBAL__N_124unique_dim_cuda_templateIbEESt5tupleIJNSH_6TensorESM_SM_EERKSM_lbbbEUlllE0_EEPmJS6_EEE10hipError_tPvRmT3_T4_T5_T6_T7_T9_mT8_P12ihipStream_tbDpT10_ENKUlT_T0_E_clISt17integral_constantIbLb1EES1B_IbLb0EEEEDaS17_S18_EUlS17_E_NS1_11comp_targetILNS1_3genE4ELNS1_11target_archE910ELNS1_3gpuE8ELNS1_3repE0EEENS1_30default_config_static_selectorELNS0_4arch9wavefront6targetE1EEEvT1_
    .private_segment_fixed_size: 0
    .sgpr_count:     52
    .sgpr_spill_count: 0
    .symbol:         _ZN7rocprim17ROCPRIM_400000_NS6detail17trampoline_kernelINS0_14default_configENS1_25partition_config_selectorILNS1_17partition_subalgoE8ElNS0_10empty_typeEbEEZZNS1_14partition_implILS5_8ELb0ES3_jPlPS6_PKS6_NS0_5tupleIJS9_S6_EEENSD_IJSA_SA_EEENS0_18inequality_wrapperIZN2at6native12_GLOBAL__N_124unique_dim_cuda_templateIbEESt5tupleIJNSH_6TensorESM_SM_EERKSM_lbbbEUlllE0_EEPmJS6_EEE10hipError_tPvRmT3_T4_T5_T6_T7_T9_mT8_P12ihipStream_tbDpT10_ENKUlT_T0_E_clISt17integral_constantIbLb1EES1B_IbLb0EEEEDaS17_S18_EUlS17_E_NS1_11comp_targetILNS1_3genE4ELNS1_11target_archE910ELNS1_3gpuE8ELNS1_3repE0EEENS1_30default_config_static_selectorELNS0_4arch9wavefront6targetE1EEEvT1_.kd
    .uniform_work_group_size: 1
    .uses_dynamic_stack: false
    .vgpr_count:     46
    .vgpr_spill_count: 0
    .wavefront_size: 64
  - .agpr_count:     0
    .args:
      - .offset:         0
        .size:           120
        .value_kind:     by_value
    .group_segment_fixed_size: 0
    .kernarg_segment_align: 8
    .kernarg_segment_size: 120
    .language:       OpenCL C
    .language_version:
      - 2
      - 0
    .max_flat_workgroup_size: 512
    .name:           _ZN7rocprim17ROCPRIM_400000_NS6detail17trampoline_kernelINS0_14default_configENS1_25partition_config_selectorILNS1_17partition_subalgoE8ElNS0_10empty_typeEbEEZZNS1_14partition_implILS5_8ELb0ES3_jPlPS6_PKS6_NS0_5tupleIJS9_S6_EEENSD_IJSA_SA_EEENS0_18inequality_wrapperIZN2at6native12_GLOBAL__N_124unique_dim_cuda_templateIbEESt5tupleIJNSH_6TensorESM_SM_EERKSM_lbbbEUlllE0_EEPmJS6_EEE10hipError_tPvRmT3_T4_T5_T6_T7_T9_mT8_P12ihipStream_tbDpT10_ENKUlT_T0_E_clISt17integral_constantIbLb1EES1B_IbLb0EEEEDaS17_S18_EUlS17_E_NS1_11comp_targetILNS1_3genE3ELNS1_11target_archE908ELNS1_3gpuE7ELNS1_3repE0EEENS1_30default_config_static_selectorELNS0_4arch9wavefront6targetE1EEEvT1_
    .private_segment_fixed_size: 0
    .sgpr_count:     4
    .sgpr_spill_count: 0
    .symbol:         _ZN7rocprim17ROCPRIM_400000_NS6detail17trampoline_kernelINS0_14default_configENS1_25partition_config_selectorILNS1_17partition_subalgoE8ElNS0_10empty_typeEbEEZZNS1_14partition_implILS5_8ELb0ES3_jPlPS6_PKS6_NS0_5tupleIJS9_S6_EEENSD_IJSA_SA_EEENS0_18inequality_wrapperIZN2at6native12_GLOBAL__N_124unique_dim_cuda_templateIbEESt5tupleIJNSH_6TensorESM_SM_EERKSM_lbbbEUlllE0_EEPmJS6_EEE10hipError_tPvRmT3_T4_T5_T6_T7_T9_mT8_P12ihipStream_tbDpT10_ENKUlT_T0_E_clISt17integral_constantIbLb1EES1B_IbLb0EEEEDaS17_S18_EUlS17_E_NS1_11comp_targetILNS1_3genE3ELNS1_11target_archE908ELNS1_3gpuE7ELNS1_3repE0EEENS1_30default_config_static_selectorELNS0_4arch9wavefront6targetE1EEEvT1_.kd
    .uniform_work_group_size: 1
    .uses_dynamic_stack: false
    .vgpr_count:     0
    .vgpr_spill_count: 0
    .wavefront_size: 64
  - .agpr_count:     0
    .args:
      - .offset:         0
        .size:           120
        .value_kind:     by_value
    .group_segment_fixed_size: 0
    .kernarg_segment_align: 8
    .kernarg_segment_size: 120
    .language:       OpenCL C
    .language_version:
      - 2
      - 0
    .max_flat_workgroup_size: 256
    .name:           _ZN7rocprim17ROCPRIM_400000_NS6detail17trampoline_kernelINS0_14default_configENS1_25partition_config_selectorILNS1_17partition_subalgoE8ElNS0_10empty_typeEbEEZZNS1_14partition_implILS5_8ELb0ES3_jPlPS6_PKS6_NS0_5tupleIJS9_S6_EEENSD_IJSA_SA_EEENS0_18inequality_wrapperIZN2at6native12_GLOBAL__N_124unique_dim_cuda_templateIbEESt5tupleIJNSH_6TensorESM_SM_EERKSM_lbbbEUlllE0_EEPmJS6_EEE10hipError_tPvRmT3_T4_T5_T6_T7_T9_mT8_P12ihipStream_tbDpT10_ENKUlT_T0_E_clISt17integral_constantIbLb1EES1B_IbLb0EEEEDaS17_S18_EUlS17_E_NS1_11comp_targetILNS1_3genE2ELNS1_11target_archE906ELNS1_3gpuE6ELNS1_3repE0EEENS1_30default_config_static_selectorELNS0_4arch9wavefront6targetE1EEEvT1_
    .private_segment_fixed_size: 0
    .sgpr_count:     4
    .sgpr_spill_count: 0
    .symbol:         _ZN7rocprim17ROCPRIM_400000_NS6detail17trampoline_kernelINS0_14default_configENS1_25partition_config_selectorILNS1_17partition_subalgoE8ElNS0_10empty_typeEbEEZZNS1_14partition_implILS5_8ELb0ES3_jPlPS6_PKS6_NS0_5tupleIJS9_S6_EEENSD_IJSA_SA_EEENS0_18inequality_wrapperIZN2at6native12_GLOBAL__N_124unique_dim_cuda_templateIbEESt5tupleIJNSH_6TensorESM_SM_EERKSM_lbbbEUlllE0_EEPmJS6_EEE10hipError_tPvRmT3_T4_T5_T6_T7_T9_mT8_P12ihipStream_tbDpT10_ENKUlT_T0_E_clISt17integral_constantIbLb1EES1B_IbLb0EEEEDaS17_S18_EUlS17_E_NS1_11comp_targetILNS1_3genE2ELNS1_11target_archE906ELNS1_3gpuE6ELNS1_3repE0EEENS1_30default_config_static_selectorELNS0_4arch9wavefront6targetE1EEEvT1_.kd
    .uniform_work_group_size: 1
    .uses_dynamic_stack: false
    .vgpr_count:     0
    .vgpr_spill_count: 0
    .wavefront_size: 64
  - .agpr_count:     0
    .args:
      - .offset:         0
        .size:           120
        .value_kind:     by_value
    .group_segment_fixed_size: 0
    .kernarg_segment_align: 8
    .kernarg_segment_size: 120
    .language:       OpenCL C
    .language_version:
      - 2
      - 0
    .max_flat_workgroup_size: 384
    .name:           _ZN7rocprim17ROCPRIM_400000_NS6detail17trampoline_kernelINS0_14default_configENS1_25partition_config_selectorILNS1_17partition_subalgoE8ElNS0_10empty_typeEbEEZZNS1_14partition_implILS5_8ELb0ES3_jPlPS6_PKS6_NS0_5tupleIJS9_S6_EEENSD_IJSA_SA_EEENS0_18inequality_wrapperIZN2at6native12_GLOBAL__N_124unique_dim_cuda_templateIbEESt5tupleIJNSH_6TensorESM_SM_EERKSM_lbbbEUlllE0_EEPmJS6_EEE10hipError_tPvRmT3_T4_T5_T6_T7_T9_mT8_P12ihipStream_tbDpT10_ENKUlT_T0_E_clISt17integral_constantIbLb1EES1B_IbLb0EEEEDaS17_S18_EUlS17_E_NS1_11comp_targetILNS1_3genE10ELNS1_11target_archE1200ELNS1_3gpuE4ELNS1_3repE0EEENS1_30default_config_static_selectorELNS0_4arch9wavefront6targetE1EEEvT1_
    .private_segment_fixed_size: 0
    .sgpr_count:     4
    .sgpr_spill_count: 0
    .symbol:         _ZN7rocprim17ROCPRIM_400000_NS6detail17trampoline_kernelINS0_14default_configENS1_25partition_config_selectorILNS1_17partition_subalgoE8ElNS0_10empty_typeEbEEZZNS1_14partition_implILS5_8ELb0ES3_jPlPS6_PKS6_NS0_5tupleIJS9_S6_EEENSD_IJSA_SA_EEENS0_18inequality_wrapperIZN2at6native12_GLOBAL__N_124unique_dim_cuda_templateIbEESt5tupleIJNSH_6TensorESM_SM_EERKSM_lbbbEUlllE0_EEPmJS6_EEE10hipError_tPvRmT3_T4_T5_T6_T7_T9_mT8_P12ihipStream_tbDpT10_ENKUlT_T0_E_clISt17integral_constantIbLb1EES1B_IbLb0EEEEDaS17_S18_EUlS17_E_NS1_11comp_targetILNS1_3genE10ELNS1_11target_archE1200ELNS1_3gpuE4ELNS1_3repE0EEENS1_30default_config_static_selectorELNS0_4arch9wavefront6targetE1EEEvT1_.kd
    .uniform_work_group_size: 1
    .uses_dynamic_stack: false
    .vgpr_count:     0
    .vgpr_spill_count: 0
    .wavefront_size: 64
  - .agpr_count:     0
    .args:
      - .offset:         0
        .size:           120
        .value_kind:     by_value
    .group_segment_fixed_size: 0
    .kernarg_segment_align: 8
    .kernarg_segment_size: 120
    .language:       OpenCL C
    .language_version:
      - 2
      - 0
    .max_flat_workgroup_size: 512
    .name:           _ZN7rocprim17ROCPRIM_400000_NS6detail17trampoline_kernelINS0_14default_configENS1_25partition_config_selectorILNS1_17partition_subalgoE8ElNS0_10empty_typeEbEEZZNS1_14partition_implILS5_8ELb0ES3_jPlPS6_PKS6_NS0_5tupleIJS9_S6_EEENSD_IJSA_SA_EEENS0_18inequality_wrapperIZN2at6native12_GLOBAL__N_124unique_dim_cuda_templateIbEESt5tupleIJNSH_6TensorESM_SM_EERKSM_lbbbEUlllE0_EEPmJS6_EEE10hipError_tPvRmT3_T4_T5_T6_T7_T9_mT8_P12ihipStream_tbDpT10_ENKUlT_T0_E_clISt17integral_constantIbLb1EES1B_IbLb0EEEEDaS17_S18_EUlS17_E_NS1_11comp_targetILNS1_3genE9ELNS1_11target_archE1100ELNS1_3gpuE3ELNS1_3repE0EEENS1_30default_config_static_selectorELNS0_4arch9wavefront6targetE1EEEvT1_
    .private_segment_fixed_size: 0
    .sgpr_count:     4
    .sgpr_spill_count: 0
    .symbol:         _ZN7rocprim17ROCPRIM_400000_NS6detail17trampoline_kernelINS0_14default_configENS1_25partition_config_selectorILNS1_17partition_subalgoE8ElNS0_10empty_typeEbEEZZNS1_14partition_implILS5_8ELb0ES3_jPlPS6_PKS6_NS0_5tupleIJS9_S6_EEENSD_IJSA_SA_EEENS0_18inequality_wrapperIZN2at6native12_GLOBAL__N_124unique_dim_cuda_templateIbEESt5tupleIJNSH_6TensorESM_SM_EERKSM_lbbbEUlllE0_EEPmJS6_EEE10hipError_tPvRmT3_T4_T5_T6_T7_T9_mT8_P12ihipStream_tbDpT10_ENKUlT_T0_E_clISt17integral_constantIbLb1EES1B_IbLb0EEEEDaS17_S18_EUlS17_E_NS1_11comp_targetILNS1_3genE9ELNS1_11target_archE1100ELNS1_3gpuE3ELNS1_3repE0EEENS1_30default_config_static_selectorELNS0_4arch9wavefront6targetE1EEEvT1_.kd
    .uniform_work_group_size: 1
    .uses_dynamic_stack: false
    .vgpr_count:     0
    .vgpr_spill_count: 0
    .wavefront_size: 64
  - .agpr_count:     0
    .args:
      - .offset:         0
        .size:           120
        .value_kind:     by_value
    .group_segment_fixed_size: 0
    .kernarg_segment_align: 8
    .kernarg_segment_size: 120
    .language:       OpenCL C
    .language_version:
      - 2
      - 0
    .max_flat_workgroup_size: 512
    .name:           _ZN7rocprim17ROCPRIM_400000_NS6detail17trampoline_kernelINS0_14default_configENS1_25partition_config_selectorILNS1_17partition_subalgoE8ElNS0_10empty_typeEbEEZZNS1_14partition_implILS5_8ELb0ES3_jPlPS6_PKS6_NS0_5tupleIJS9_S6_EEENSD_IJSA_SA_EEENS0_18inequality_wrapperIZN2at6native12_GLOBAL__N_124unique_dim_cuda_templateIbEESt5tupleIJNSH_6TensorESM_SM_EERKSM_lbbbEUlllE0_EEPmJS6_EEE10hipError_tPvRmT3_T4_T5_T6_T7_T9_mT8_P12ihipStream_tbDpT10_ENKUlT_T0_E_clISt17integral_constantIbLb1EES1B_IbLb0EEEEDaS17_S18_EUlS17_E_NS1_11comp_targetILNS1_3genE8ELNS1_11target_archE1030ELNS1_3gpuE2ELNS1_3repE0EEENS1_30default_config_static_selectorELNS0_4arch9wavefront6targetE1EEEvT1_
    .private_segment_fixed_size: 0
    .sgpr_count:     4
    .sgpr_spill_count: 0
    .symbol:         _ZN7rocprim17ROCPRIM_400000_NS6detail17trampoline_kernelINS0_14default_configENS1_25partition_config_selectorILNS1_17partition_subalgoE8ElNS0_10empty_typeEbEEZZNS1_14partition_implILS5_8ELb0ES3_jPlPS6_PKS6_NS0_5tupleIJS9_S6_EEENSD_IJSA_SA_EEENS0_18inequality_wrapperIZN2at6native12_GLOBAL__N_124unique_dim_cuda_templateIbEESt5tupleIJNSH_6TensorESM_SM_EERKSM_lbbbEUlllE0_EEPmJS6_EEE10hipError_tPvRmT3_T4_T5_T6_T7_T9_mT8_P12ihipStream_tbDpT10_ENKUlT_T0_E_clISt17integral_constantIbLb1EES1B_IbLb0EEEEDaS17_S18_EUlS17_E_NS1_11comp_targetILNS1_3genE8ELNS1_11target_archE1030ELNS1_3gpuE2ELNS1_3repE0EEENS1_30default_config_static_selectorELNS0_4arch9wavefront6targetE1EEEvT1_.kd
    .uniform_work_group_size: 1
    .uses_dynamic_stack: false
    .vgpr_count:     0
    .vgpr_spill_count: 0
    .wavefront_size: 64
  - .agpr_count:     0
    .args:
      - .offset:         0
        .size:           136
        .value_kind:     by_value
    .group_segment_fixed_size: 0
    .kernarg_segment_align: 8
    .kernarg_segment_size: 136
    .language:       OpenCL C
    .language_version:
      - 2
      - 0
    .max_flat_workgroup_size: 512
    .name:           _ZN7rocprim17ROCPRIM_400000_NS6detail17trampoline_kernelINS0_14default_configENS1_25partition_config_selectorILNS1_17partition_subalgoE8ElNS0_10empty_typeEbEEZZNS1_14partition_implILS5_8ELb0ES3_jPlPS6_PKS6_NS0_5tupleIJS9_S6_EEENSD_IJSA_SA_EEENS0_18inequality_wrapperIZN2at6native12_GLOBAL__N_124unique_dim_cuda_templateIbEESt5tupleIJNSH_6TensorESM_SM_EERKSM_lbbbEUlllE0_EEPmJS6_EEE10hipError_tPvRmT3_T4_T5_T6_T7_T9_mT8_P12ihipStream_tbDpT10_ENKUlT_T0_E_clISt17integral_constantIbLb0EES1B_IbLb1EEEEDaS17_S18_EUlS17_E_NS1_11comp_targetILNS1_3genE0ELNS1_11target_archE4294967295ELNS1_3gpuE0ELNS1_3repE0EEENS1_30default_config_static_selectorELNS0_4arch9wavefront6targetE1EEEvT1_
    .private_segment_fixed_size: 0
    .sgpr_count:     4
    .sgpr_spill_count: 0
    .symbol:         _ZN7rocprim17ROCPRIM_400000_NS6detail17trampoline_kernelINS0_14default_configENS1_25partition_config_selectorILNS1_17partition_subalgoE8ElNS0_10empty_typeEbEEZZNS1_14partition_implILS5_8ELb0ES3_jPlPS6_PKS6_NS0_5tupleIJS9_S6_EEENSD_IJSA_SA_EEENS0_18inequality_wrapperIZN2at6native12_GLOBAL__N_124unique_dim_cuda_templateIbEESt5tupleIJNSH_6TensorESM_SM_EERKSM_lbbbEUlllE0_EEPmJS6_EEE10hipError_tPvRmT3_T4_T5_T6_T7_T9_mT8_P12ihipStream_tbDpT10_ENKUlT_T0_E_clISt17integral_constantIbLb0EES1B_IbLb1EEEEDaS17_S18_EUlS17_E_NS1_11comp_targetILNS1_3genE0ELNS1_11target_archE4294967295ELNS1_3gpuE0ELNS1_3repE0EEENS1_30default_config_static_selectorELNS0_4arch9wavefront6targetE1EEEvT1_.kd
    .uniform_work_group_size: 1
    .uses_dynamic_stack: false
    .vgpr_count:     0
    .vgpr_spill_count: 0
    .wavefront_size: 64
  - .agpr_count:     0
    .args:
      - .offset:         0
        .size:           136
        .value_kind:     by_value
    .group_segment_fixed_size: 0
    .kernarg_segment_align: 8
    .kernarg_segment_size: 136
    .language:       OpenCL C
    .language_version:
      - 2
      - 0
    .max_flat_workgroup_size: 512
    .name:           _ZN7rocprim17ROCPRIM_400000_NS6detail17trampoline_kernelINS0_14default_configENS1_25partition_config_selectorILNS1_17partition_subalgoE8ElNS0_10empty_typeEbEEZZNS1_14partition_implILS5_8ELb0ES3_jPlPS6_PKS6_NS0_5tupleIJS9_S6_EEENSD_IJSA_SA_EEENS0_18inequality_wrapperIZN2at6native12_GLOBAL__N_124unique_dim_cuda_templateIbEESt5tupleIJNSH_6TensorESM_SM_EERKSM_lbbbEUlllE0_EEPmJS6_EEE10hipError_tPvRmT3_T4_T5_T6_T7_T9_mT8_P12ihipStream_tbDpT10_ENKUlT_T0_E_clISt17integral_constantIbLb0EES1B_IbLb1EEEEDaS17_S18_EUlS17_E_NS1_11comp_targetILNS1_3genE5ELNS1_11target_archE942ELNS1_3gpuE9ELNS1_3repE0EEENS1_30default_config_static_selectorELNS0_4arch9wavefront6targetE1EEEvT1_
    .private_segment_fixed_size: 0
    .sgpr_count:     4
    .sgpr_spill_count: 0
    .symbol:         _ZN7rocprim17ROCPRIM_400000_NS6detail17trampoline_kernelINS0_14default_configENS1_25partition_config_selectorILNS1_17partition_subalgoE8ElNS0_10empty_typeEbEEZZNS1_14partition_implILS5_8ELb0ES3_jPlPS6_PKS6_NS0_5tupleIJS9_S6_EEENSD_IJSA_SA_EEENS0_18inequality_wrapperIZN2at6native12_GLOBAL__N_124unique_dim_cuda_templateIbEESt5tupleIJNSH_6TensorESM_SM_EERKSM_lbbbEUlllE0_EEPmJS6_EEE10hipError_tPvRmT3_T4_T5_T6_T7_T9_mT8_P12ihipStream_tbDpT10_ENKUlT_T0_E_clISt17integral_constantIbLb0EES1B_IbLb1EEEEDaS17_S18_EUlS17_E_NS1_11comp_targetILNS1_3genE5ELNS1_11target_archE942ELNS1_3gpuE9ELNS1_3repE0EEENS1_30default_config_static_selectorELNS0_4arch9wavefront6targetE1EEEvT1_.kd
    .uniform_work_group_size: 1
    .uses_dynamic_stack: false
    .vgpr_count:     0
    .vgpr_spill_count: 0
    .wavefront_size: 64
  - .agpr_count:     0
    .args:
      - .offset:         0
        .size:           136
        .value_kind:     by_value
    .group_segment_fixed_size: 10252
    .kernarg_segment_align: 8
    .kernarg_segment_size: 136
    .language:       OpenCL C
    .language_version:
      - 2
      - 0
    .max_flat_workgroup_size: 256
    .name:           _ZN7rocprim17ROCPRIM_400000_NS6detail17trampoline_kernelINS0_14default_configENS1_25partition_config_selectorILNS1_17partition_subalgoE8ElNS0_10empty_typeEbEEZZNS1_14partition_implILS5_8ELb0ES3_jPlPS6_PKS6_NS0_5tupleIJS9_S6_EEENSD_IJSA_SA_EEENS0_18inequality_wrapperIZN2at6native12_GLOBAL__N_124unique_dim_cuda_templateIbEESt5tupleIJNSH_6TensorESM_SM_EERKSM_lbbbEUlllE0_EEPmJS6_EEE10hipError_tPvRmT3_T4_T5_T6_T7_T9_mT8_P12ihipStream_tbDpT10_ENKUlT_T0_E_clISt17integral_constantIbLb0EES1B_IbLb1EEEEDaS17_S18_EUlS17_E_NS1_11comp_targetILNS1_3genE4ELNS1_11target_archE910ELNS1_3gpuE8ELNS1_3repE0EEENS1_30default_config_static_selectorELNS0_4arch9wavefront6targetE1EEEvT1_
    .private_segment_fixed_size: 0
    .sgpr_count:     56
    .sgpr_spill_count: 0
    .symbol:         _ZN7rocprim17ROCPRIM_400000_NS6detail17trampoline_kernelINS0_14default_configENS1_25partition_config_selectorILNS1_17partition_subalgoE8ElNS0_10empty_typeEbEEZZNS1_14partition_implILS5_8ELb0ES3_jPlPS6_PKS6_NS0_5tupleIJS9_S6_EEENSD_IJSA_SA_EEENS0_18inequality_wrapperIZN2at6native12_GLOBAL__N_124unique_dim_cuda_templateIbEESt5tupleIJNSH_6TensorESM_SM_EERKSM_lbbbEUlllE0_EEPmJS6_EEE10hipError_tPvRmT3_T4_T5_T6_T7_T9_mT8_P12ihipStream_tbDpT10_ENKUlT_T0_E_clISt17integral_constantIbLb0EES1B_IbLb1EEEEDaS17_S18_EUlS17_E_NS1_11comp_targetILNS1_3genE4ELNS1_11target_archE910ELNS1_3gpuE8ELNS1_3repE0EEENS1_30default_config_static_selectorELNS0_4arch9wavefront6targetE1EEEvT1_.kd
    .uniform_work_group_size: 1
    .uses_dynamic_stack: false
    .vgpr_count:     46
    .vgpr_spill_count: 0
    .wavefront_size: 64
  - .agpr_count:     0
    .args:
      - .offset:         0
        .size:           136
        .value_kind:     by_value
    .group_segment_fixed_size: 0
    .kernarg_segment_align: 8
    .kernarg_segment_size: 136
    .language:       OpenCL C
    .language_version:
      - 2
      - 0
    .max_flat_workgroup_size: 512
    .name:           _ZN7rocprim17ROCPRIM_400000_NS6detail17trampoline_kernelINS0_14default_configENS1_25partition_config_selectorILNS1_17partition_subalgoE8ElNS0_10empty_typeEbEEZZNS1_14partition_implILS5_8ELb0ES3_jPlPS6_PKS6_NS0_5tupleIJS9_S6_EEENSD_IJSA_SA_EEENS0_18inequality_wrapperIZN2at6native12_GLOBAL__N_124unique_dim_cuda_templateIbEESt5tupleIJNSH_6TensorESM_SM_EERKSM_lbbbEUlllE0_EEPmJS6_EEE10hipError_tPvRmT3_T4_T5_T6_T7_T9_mT8_P12ihipStream_tbDpT10_ENKUlT_T0_E_clISt17integral_constantIbLb0EES1B_IbLb1EEEEDaS17_S18_EUlS17_E_NS1_11comp_targetILNS1_3genE3ELNS1_11target_archE908ELNS1_3gpuE7ELNS1_3repE0EEENS1_30default_config_static_selectorELNS0_4arch9wavefront6targetE1EEEvT1_
    .private_segment_fixed_size: 0
    .sgpr_count:     4
    .sgpr_spill_count: 0
    .symbol:         _ZN7rocprim17ROCPRIM_400000_NS6detail17trampoline_kernelINS0_14default_configENS1_25partition_config_selectorILNS1_17partition_subalgoE8ElNS0_10empty_typeEbEEZZNS1_14partition_implILS5_8ELb0ES3_jPlPS6_PKS6_NS0_5tupleIJS9_S6_EEENSD_IJSA_SA_EEENS0_18inequality_wrapperIZN2at6native12_GLOBAL__N_124unique_dim_cuda_templateIbEESt5tupleIJNSH_6TensorESM_SM_EERKSM_lbbbEUlllE0_EEPmJS6_EEE10hipError_tPvRmT3_T4_T5_T6_T7_T9_mT8_P12ihipStream_tbDpT10_ENKUlT_T0_E_clISt17integral_constantIbLb0EES1B_IbLb1EEEEDaS17_S18_EUlS17_E_NS1_11comp_targetILNS1_3genE3ELNS1_11target_archE908ELNS1_3gpuE7ELNS1_3repE0EEENS1_30default_config_static_selectorELNS0_4arch9wavefront6targetE1EEEvT1_.kd
    .uniform_work_group_size: 1
    .uses_dynamic_stack: false
    .vgpr_count:     0
    .vgpr_spill_count: 0
    .wavefront_size: 64
  - .agpr_count:     0
    .args:
      - .offset:         0
        .size:           136
        .value_kind:     by_value
    .group_segment_fixed_size: 0
    .kernarg_segment_align: 8
    .kernarg_segment_size: 136
    .language:       OpenCL C
    .language_version:
      - 2
      - 0
    .max_flat_workgroup_size: 256
    .name:           _ZN7rocprim17ROCPRIM_400000_NS6detail17trampoline_kernelINS0_14default_configENS1_25partition_config_selectorILNS1_17partition_subalgoE8ElNS0_10empty_typeEbEEZZNS1_14partition_implILS5_8ELb0ES3_jPlPS6_PKS6_NS0_5tupleIJS9_S6_EEENSD_IJSA_SA_EEENS0_18inequality_wrapperIZN2at6native12_GLOBAL__N_124unique_dim_cuda_templateIbEESt5tupleIJNSH_6TensorESM_SM_EERKSM_lbbbEUlllE0_EEPmJS6_EEE10hipError_tPvRmT3_T4_T5_T6_T7_T9_mT8_P12ihipStream_tbDpT10_ENKUlT_T0_E_clISt17integral_constantIbLb0EES1B_IbLb1EEEEDaS17_S18_EUlS17_E_NS1_11comp_targetILNS1_3genE2ELNS1_11target_archE906ELNS1_3gpuE6ELNS1_3repE0EEENS1_30default_config_static_selectorELNS0_4arch9wavefront6targetE1EEEvT1_
    .private_segment_fixed_size: 0
    .sgpr_count:     4
    .sgpr_spill_count: 0
    .symbol:         _ZN7rocprim17ROCPRIM_400000_NS6detail17trampoline_kernelINS0_14default_configENS1_25partition_config_selectorILNS1_17partition_subalgoE8ElNS0_10empty_typeEbEEZZNS1_14partition_implILS5_8ELb0ES3_jPlPS6_PKS6_NS0_5tupleIJS9_S6_EEENSD_IJSA_SA_EEENS0_18inequality_wrapperIZN2at6native12_GLOBAL__N_124unique_dim_cuda_templateIbEESt5tupleIJNSH_6TensorESM_SM_EERKSM_lbbbEUlllE0_EEPmJS6_EEE10hipError_tPvRmT3_T4_T5_T6_T7_T9_mT8_P12ihipStream_tbDpT10_ENKUlT_T0_E_clISt17integral_constantIbLb0EES1B_IbLb1EEEEDaS17_S18_EUlS17_E_NS1_11comp_targetILNS1_3genE2ELNS1_11target_archE906ELNS1_3gpuE6ELNS1_3repE0EEENS1_30default_config_static_selectorELNS0_4arch9wavefront6targetE1EEEvT1_.kd
    .uniform_work_group_size: 1
    .uses_dynamic_stack: false
    .vgpr_count:     0
    .vgpr_spill_count: 0
    .wavefront_size: 64
  - .agpr_count:     0
    .args:
      - .offset:         0
        .size:           136
        .value_kind:     by_value
    .group_segment_fixed_size: 0
    .kernarg_segment_align: 8
    .kernarg_segment_size: 136
    .language:       OpenCL C
    .language_version:
      - 2
      - 0
    .max_flat_workgroup_size: 384
    .name:           _ZN7rocprim17ROCPRIM_400000_NS6detail17trampoline_kernelINS0_14default_configENS1_25partition_config_selectorILNS1_17partition_subalgoE8ElNS0_10empty_typeEbEEZZNS1_14partition_implILS5_8ELb0ES3_jPlPS6_PKS6_NS0_5tupleIJS9_S6_EEENSD_IJSA_SA_EEENS0_18inequality_wrapperIZN2at6native12_GLOBAL__N_124unique_dim_cuda_templateIbEESt5tupleIJNSH_6TensorESM_SM_EERKSM_lbbbEUlllE0_EEPmJS6_EEE10hipError_tPvRmT3_T4_T5_T6_T7_T9_mT8_P12ihipStream_tbDpT10_ENKUlT_T0_E_clISt17integral_constantIbLb0EES1B_IbLb1EEEEDaS17_S18_EUlS17_E_NS1_11comp_targetILNS1_3genE10ELNS1_11target_archE1200ELNS1_3gpuE4ELNS1_3repE0EEENS1_30default_config_static_selectorELNS0_4arch9wavefront6targetE1EEEvT1_
    .private_segment_fixed_size: 0
    .sgpr_count:     4
    .sgpr_spill_count: 0
    .symbol:         _ZN7rocprim17ROCPRIM_400000_NS6detail17trampoline_kernelINS0_14default_configENS1_25partition_config_selectorILNS1_17partition_subalgoE8ElNS0_10empty_typeEbEEZZNS1_14partition_implILS5_8ELb0ES3_jPlPS6_PKS6_NS0_5tupleIJS9_S6_EEENSD_IJSA_SA_EEENS0_18inequality_wrapperIZN2at6native12_GLOBAL__N_124unique_dim_cuda_templateIbEESt5tupleIJNSH_6TensorESM_SM_EERKSM_lbbbEUlllE0_EEPmJS6_EEE10hipError_tPvRmT3_T4_T5_T6_T7_T9_mT8_P12ihipStream_tbDpT10_ENKUlT_T0_E_clISt17integral_constantIbLb0EES1B_IbLb1EEEEDaS17_S18_EUlS17_E_NS1_11comp_targetILNS1_3genE10ELNS1_11target_archE1200ELNS1_3gpuE4ELNS1_3repE0EEENS1_30default_config_static_selectorELNS0_4arch9wavefront6targetE1EEEvT1_.kd
    .uniform_work_group_size: 1
    .uses_dynamic_stack: false
    .vgpr_count:     0
    .vgpr_spill_count: 0
    .wavefront_size: 64
  - .agpr_count:     0
    .args:
      - .offset:         0
        .size:           136
        .value_kind:     by_value
    .group_segment_fixed_size: 0
    .kernarg_segment_align: 8
    .kernarg_segment_size: 136
    .language:       OpenCL C
    .language_version:
      - 2
      - 0
    .max_flat_workgroup_size: 512
    .name:           _ZN7rocprim17ROCPRIM_400000_NS6detail17trampoline_kernelINS0_14default_configENS1_25partition_config_selectorILNS1_17partition_subalgoE8ElNS0_10empty_typeEbEEZZNS1_14partition_implILS5_8ELb0ES3_jPlPS6_PKS6_NS0_5tupleIJS9_S6_EEENSD_IJSA_SA_EEENS0_18inequality_wrapperIZN2at6native12_GLOBAL__N_124unique_dim_cuda_templateIbEESt5tupleIJNSH_6TensorESM_SM_EERKSM_lbbbEUlllE0_EEPmJS6_EEE10hipError_tPvRmT3_T4_T5_T6_T7_T9_mT8_P12ihipStream_tbDpT10_ENKUlT_T0_E_clISt17integral_constantIbLb0EES1B_IbLb1EEEEDaS17_S18_EUlS17_E_NS1_11comp_targetILNS1_3genE9ELNS1_11target_archE1100ELNS1_3gpuE3ELNS1_3repE0EEENS1_30default_config_static_selectorELNS0_4arch9wavefront6targetE1EEEvT1_
    .private_segment_fixed_size: 0
    .sgpr_count:     4
    .sgpr_spill_count: 0
    .symbol:         _ZN7rocprim17ROCPRIM_400000_NS6detail17trampoline_kernelINS0_14default_configENS1_25partition_config_selectorILNS1_17partition_subalgoE8ElNS0_10empty_typeEbEEZZNS1_14partition_implILS5_8ELb0ES3_jPlPS6_PKS6_NS0_5tupleIJS9_S6_EEENSD_IJSA_SA_EEENS0_18inequality_wrapperIZN2at6native12_GLOBAL__N_124unique_dim_cuda_templateIbEESt5tupleIJNSH_6TensorESM_SM_EERKSM_lbbbEUlllE0_EEPmJS6_EEE10hipError_tPvRmT3_T4_T5_T6_T7_T9_mT8_P12ihipStream_tbDpT10_ENKUlT_T0_E_clISt17integral_constantIbLb0EES1B_IbLb1EEEEDaS17_S18_EUlS17_E_NS1_11comp_targetILNS1_3genE9ELNS1_11target_archE1100ELNS1_3gpuE3ELNS1_3repE0EEENS1_30default_config_static_selectorELNS0_4arch9wavefront6targetE1EEEvT1_.kd
    .uniform_work_group_size: 1
    .uses_dynamic_stack: false
    .vgpr_count:     0
    .vgpr_spill_count: 0
    .wavefront_size: 64
  - .agpr_count:     0
    .args:
      - .offset:         0
        .size:           136
        .value_kind:     by_value
    .group_segment_fixed_size: 0
    .kernarg_segment_align: 8
    .kernarg_segment_size: 136
    .language:       OpenCL C
    .language_version:
      - 2
      - 0
    .max_flat_workgroup_size: 512
    .name:           _ZN7rocprim17ROCPRIM_400000_NS6detail17trampoline_kernelINS0_14default_configENS1_25partition_config_selectorILNS1_17partition_subalgoE8ElNS0_10empty_typeEbEEZZNS1_14partition_implILS5_8ELb0ES3_jPlPS6_PKS6_NS0_5tupleIJS9_S6_EEENSD_IJSA_SA_EEENS0_18inequality_wrapperIZN2at6native12_GLOBAL__N_124unique_dim_cuda_templateIbEESt5tupleIJNSH_6TensorESM_SM_EERKSM_lbbbEUlllE0_EEPmJS6_EEE10hipError_tPvRmT3_T4_T5_T6_T7_T9_mT8_P12ihipStream_tbDpT10_ENKUlT_T0_E_clISt17integral_constantIbLb0EES1B_IbLb1EEEEDaS17_S18_EUlS17_E_NS1_11comp_targetILNS1_3genE8ELNS1_11target_archE1030ELNS1_3gpuE2ELNS1_3repE0EEENS1_30default_config_static_selectorELNS0_4arch9wavefront6targetE1EEEvT1_
    .private_segment_fixed_size: 0
    .sgpr_count:     4
    .sgpr_spill_count: 0
    .symbol:         _ZN7rocprim17ROCPRIM_400000_NS6detail17trampoline_kernelINS0_14default_configENS1_25partition_config_selectorILNS1_17partition_subalgoE8ElNS0_10empty_typeEbEEZZNS1_14partition_implILS5_8ELb0ES3_jPlPS6_PKS6_NS0_5tupleIJS9_S6_EEENSD_IJSA_SA_EEENS0_18inequality_wrapperIZN2at6native12_GLOBAL__N_124unique_dim_cuda_templateIbEESt5tupleIJNSH_6TensorESM_SM_EERKSM_lbbbEUlllE0_EEPmJS6_EEE10hipError_tPvRmT3_T4_T5_T6_T7_T9_mT8_P12ihipStream_tbDpT10_ENKUlT_T0_E_clISt17integral_constantIbLb0EES1B_IbLb1EEEEDaS17_S18_EUlS17_E_NS1_11comp_targetILNS1_3genE8ELNS1_11target_archE1030ELNS1_3gpuE2ELNS1_3repE0EEENS1_30default_config_static_selectorELNS0_4arch9wavefront6targetE1EEEvT1_.kd
    .uniform_work_group_size: 1
    .uses_dynamic_stack: false
    .vgpr_count:     0
    .vgpr_spill_count: 0
    .wavefront_size: 64
  - .agpr_count:     0
    .args:
      - .offset:         0
        .size:           120
        .value_kind:     by_value
    .group_segment_fixed_size: 0
    .kernarg_segment_align: 8
    .kernarg_segment_size: 120
    .language:       OpenCL C
    .language_version:
      - 2
      - 0
    .max_flat_workgroup_size: 128
    .name:           _ZN7rocprim17ROCPRIM_400000_NS6detail17trampoline_kernelINS0_14default_configENS1_25partition_config_selectorILNS1_17partition_subalgoE9EllbEEZZNS1_14partition_implILS5_9ELb0ES3_jPlS8_PNS0_10empty_typeENS0_5tupleIJS8_S9_EEENSB_IJS8_SA_EEENS0_18inequality_wrapperIZN2at6native12_GLOBAL__N_124unique_dim_cuda_templateIbEESt5tupleIJNSF_6TensorESK_SK_EERKSK_lbbbEUlllE0_EEPmJS9_EEE10hipError_tPvRmT3_T4_T5_T6_T7_T9_mT8_P12ihipStream_tbDpT10_ENKUlT_T0_E_clISt17integral_constantIbLb0EES1A_EEDaS15_S16_EUlS15_E_NS1_11comp_targetILNS1_3genE0ELNS1_11target_archE4294967295ELNS1_3gpuE0ELNS1_3repE0EEENS1_30default_config_static_selectorELNS0_4arch9wavefront6targetE1EEEvT1_
    .private_segment_fixed_size: 0
    .sgpr_count:     4
    .sgpr_spill_count: 0
    .symbol:         _ZN7rocprim17ROCPRIM_400000_NS6detail17trampoline_kernelINS0_14default_configENS1_25partition_config_selectorILNS1_17partition_subalgoE9EllbEEZZNS1_14partition_implILS5_9ELb0ES3_jPlS8_PNS0_10empty_typeENS0_5tupleIJS8_S9_EEENSB_IJS8_SA_EEENS0_18inequality_wrapperIZN2at6native12_GLOBAL__N_124unique_dim_cuda_templateIbEESt5tupleIJNSF_6TensorESK_SK_EERKSK_lbbbEUlllE0_EEPmJS9_EEE10hipError_tPvRmT3_T4_T5_T6_T7_T9_mT8_P12ihipStream_tbDpT10_ENKUlT_T0_E_clISt17integral_constantIbLb0EES1A_EEDaS15_S16_EUlS15_E_NS1_11comp_targetILNS1_3genE0ELNS1_11target_archE4294967295ELNS1_3gpuE0ELNS1_3repE0EEENS1_30default_config_static_selectorELNS0_4arch9wavefront6targetE1EEEvT1_.kd
    .uniform_work_group_size: 1
    .uses_dynamic_stack: false
    .vgpr_count:     0
    .vgpr_spill_count: 0
    .wavefront_size: 64
  - .agpr_count:     0
    .args:
      - .offset:         0
        .size:           120
        .value_kind:     by_value
    .group_segment_fixed_size: 0
    .kernarg_segment_align: 8
    .kernarg_segment_size: 120
    .language:       OpenCL C
    .language_version:
      - 2
      - 0
    .max_flat_workgroup_size: 512
    .name:           _ZN7rocprim17ROCPRIM_400000_NS6detail17trampoline_kernelINS0_14default_configENS1_25partition_config_selectorILNS1_17partition_subalgoE9EllbEEZZNS1_14partition_implILS5_9ELb0ES3_jPlS8_PNS0_10empty_typeENS0_5tupleIJS8_S9_EEENSB_IJS8_SA_EEENS0_18inequality_wrapperIZN2at6native12_GLOBAL__N_124unique_dim_cuda_templateIbEESt5tupleIJNSF_6TensorESK_SK_EERKSK_lbbbEUlllE0_EEPmJS9_EEE10hipError_tPvRmT3_T4_T5_T6_T7_T9_mT8_P12ihipStream_tbDpT10_ENKUlT_T0_E_clISt17integral_constantIbLb0EES1A_EEDaS15_S16_EUlS15_E_NS1_11comp_targetILNS1_3genE5ELNS1_11target_archE942ELNS1_3gpuE9ELNS1_3repE0EEENS1_30default_config_static_selectorELNS0_4arch9wavefront6targetE1EEEvT1_
    .private_segment_fixed_size: 0
    .sgpr_count:     4
    .sgpr_spill_count: 0
    .symbol:         _ZN7rocprim17ROCPRIM_400000_NS6detail17trampoline_kernelINS0_14default_configENS1_25partition_config_selectorILNS1_17partition_subalgoE9EllbEEZZNS1_14partition_implILS5_9ELb0ES3_jPlS8_PNS0_10empty_typeENS0_5tupleIJS8_S9_EEENSB_IJS8_SA_EEENS0_18inequality_wrapperIZN2at6native12_GLOBAL__N_124unique_dim_cuda_templateIbEESt5tupleIJNSF_6TensorESK_SK_EERKSK_lbbbEUlllE0_EEPmJS9_EEE10hipError_tPvRmT3_T4_T5_T6_T7_T9_mT8_P12ihipStream_tbDpT10_ENKUlT_T0_E_clISt17integral_constantIbLb0EES1A_EEDaS15_S16_EUlS15_E_NS1_11comp_targetILNS1_3genE5ELNS1_11target_archE942ELNS1_3gpuE9ELNS1_3repE0EEENS1_30default_config_static_selectorELNS0_4arch9wavefront6targetE1EEEvT1_.kd
    .uniform_work_group_size: 1
    .uses_dynamic_stack: false
    .vgpr_count:     0
    .vgpr_spill_count: 0
    .wavefront_size: 64
  - .agpr_count:     0
    .args:
      - .offset:         0
        .size:           120
        .value_kind:     by_value
    .group_segment_fixed_size: 4236
    .kernarg_segment_align: 8
    .kernarg_segment_size: 120
    .language:       OpenCL C
    .language_version:
      - 2
      - 0
    .max_flat_workgroup_size: 128
    .name:           _ZN7rocprim17ROCPRIM_400000_NS6detail17trampoline_kernelINS0_14default_configENS1_25partition_config_selectorILNS1_17partition_subalgoE9EllbEEZZNS1_14partition_implILS5_9ELb0ES3_jPlS8_PNS0_10empty_typeENS0_5tupleIJS8_S9_EEENSB_IJS8_SA_EEENS0_18inequality_wrapperIZN2at6native12_GLOBAL__N_124unique_dim_cuda_templateIbEESt5tupleIJNSF_6TensorESK_SK_EERKSK_lbbbEUlllE0_EEPmJS9_EEE10hipError_tPvRmT3_T4_T5_T6_T7_T9_mT8_P12ihipStream_tbDpT10_ENKUlT_T0_E_clISt17integral_constantIbLb0EES1A_EEDaS15_S16_EUlS15_E_NS1_11comp_targetILNS1_3genE4ELNS1_11target_archE910ELNS1_3gpuE8ELNS1_3repE0EEENS1_30default_config_static_selectorELNS0_4arch9wavefront6targetE1EEEvT1_
    .private_segment_fixed_size: 0
    .sgpr_count:     50
    .sgpr_spill_count: 0
    .symbol:         _ZN7rocprim17ROCPRIM_400000_NS6detail17trampoline_kernelINS0_14default_configENS1_25partition_config_selectorILNS1_17partition_subalgoE9EllbEEZZNS1_14partition_implILS5_9ELb0ES3_jPlS8_PNS0_10empty_typeENS0_5tupleIJS8_S9_EEENSB_IJS8_SA_EEENS0_18inequality_wrapperIZN2at6native12_GLOBAL__N_124unique_dim_cuda_templateIbEESt5tupleIJNSF_6TensorESK_SK_EERKSK_lbbbEUlllE0_EEPmJS9_EEE10hipError_tPvRmT3_T4_T5_T6_T7_T9_mT8_P12ihipStream_tbDpT10_ENKUlT_T0_E_clISt17integral_constantIbLb0EES1A_EEDaS15_S16_EUlS15_E_NS1_11comp_targetILNS1_3genE4ELNS1_11target_archE910ELNS1_3gpuE8ELNS1_3repE0EEENS1_30default_config_static_selectorELNS0_4arch9wavefront6targetE1EEEvT1_.kd
    .uniform_work_group_size: 1
    .uses_dynamic_stack: false
    .vgpr_count:     50
    .vgpr_spill_count: 0
    .wavefront_size: 64
  - .agpr_count:     0
    .args:
      - .offset:         0
        .size:           120
        .value_kind:     by_value
    .group_segment_fixed_size: 0
    .kernarg_segment_align: 8
    .kernarg_segment_size: 120
    .language:       OpenCL C
    .language_version:
      - 2
      - 0
    .max_flat_workgroup_size: 128
    .name:           _ZN7rocprim17ROCPRIM_400000_NS6detail17trampoline_kernelINS0_14default_configENS1_25partition_config_selectorILNS1_17partition_subalgoE9EllbEEZZNS1_14partition_implILS5_9ELb0ES3_jPlS8_PNS0_10empty_typeENS0_5tupleIJS8_S9_EEENSB_IJS8_SA_EEENS0_18inequality_wrapperIZN2at6native12_GLOBAL__N_124unique_dim_cuda_templateIbEESt5tupleIJNSF_6TensorESK_SK_EERKSK_lbbbEUlllE0_EEPmJS9_EEE10hipError_tPvRmT3_T4_T5_T6_T7_T9_mT8_P12ihipStream_tbDpT10_ENKUlT_T0_E_clISt17integral_constantIbLb0EES1A_EEDaS15_S16_EUlS15_E_NS1_11comp_targetILNS1_3genE3ELNS1_11target_archE908ELNS1_3gpuE7ELNS1_3repE0EEENS1_30default_config_static_selectorELNS0_4arch9wavefront6targetE1EEEvT1_
    .private_segment_fixed_size: 0
    .sgpr_count:     4
    .sgpr_spill_count: 0
    .symbol:         _ZN7rocprim17ROCPRIM_400000_NS6detail17trampoline_kernelINS0_14default_configENS1_25partition_config_selectorILNS1_17partition_subalgoE9EllbEEZZNS1_14partition_implILS5_9ELb0ES3_jPlS8_PNS0_10empty_typeENS0_5tupleIJS8_S9_EEENSB_IJS8_SA_EEENS0_18inequality_wrapperIZN2at6native12_GLOBAL__N_124unique_dim_cuda_templateIbEESt5tupleIJNSF_6TensorESK_SK_EERKSK_lbbbEUlllE0_EEPmJS9_EEE10hipError_tPvRmT3_T4_T5_T6_T7_T9_mT8_P12ihipStream_tbDpT10_ENKUlT_T0_E_clISt17integral_constantIbLb0EES1A_EEDaS15_S16_EUlS15_E_NS1_11comp_targetILNS1_3genE3ELNS1_11target_archE908ELNS1_3gpuE7ELNS1_3repE0EEENS1_30default_config_static_selectorELNS0_4arch9wavefront6targetE1EEEvT1_.kd
    .uniform_work_group_size: 1
    .uses_dynamic_stack: false
    .vgpr_count:     0
    .vgpr_spill_count: 0
    .wavefront_size: 64
  - .agpr_count:     0
    .args:
      - .offset:         0
        .size:           120
        .value_kind:     by_value
    .group_segment_fixed_size: 0
    .kernarg_segment_align: 8
    .kernarg_segment_size: 120
    .language:       OpenCL C
    .language_version:
      - 2
      - 0
    .max_flat_workgroup_size: 192
    .name:           _ZN7rocprim17ROCPRIM_400000_NS6detail17trampoline_kernelINS0_14default_configENS1_25partition_config_selectorILNS1_17partition_subalgoE9EllbEEZZNS1_14partition_implILS5_9ELb0ES3_jPlS8_PNS0_10empty_typeENS0_5tupleIJS8_S9_EEENSB_IJS8_SA_EEENS0_18inequality_wrapperIZN2at6native12_GLOBAL__N_124unique_dim_cuda_templateIbEESt5tupleIJNSF_6TensorESK_SK_EERKSK_lbbbEUlllE0_EEPmJS9_EEE10hipError_tPvRmT3_T4_T5_T6_T7_T9_mT8_P12ihipStream_tbDpT10_ENKUlT_T0_E_clISt17integral_constantIbLb0EES1A_EEDaS15_S16_EUlS15_E_NS1_11comp_targetILNS1_3genE2ELNS1_11target_archE906ELNS1_3gpuE6ELNS1_3repE0EEENS1_30default_config_static_selectorELNS0_4arch9wavefront6targetE1EEEvT1_
    .private_segment_fixed_size: 0
    .sgpr_count:     4
    .sgpr_spill_count: 0
    .symbol:         _ZN7rocprim17ROCPRIM_400000_NS6detail17trampoline_kernelINS0_14default_configENS1_25partition_config_selectorILNS1_17partition_subalgoE9EllbEEZZNS1_14partition_implILS5_9ELb0ES3_jPlS8_PNS0_10empty_typeENS0_5tupleIJS8_S9_EEENSB_IJS8_SA_EEENS0_18inequality_wrapperIZN2at6native12_GLOBAL__N_124unique_dim_cuda_templateIbEESt5tupleIJNSF_6TensorESK_SK_EERKSK_lbbbEUlllE0_EEPmJS9_EEE10hipError_tPvRmT3_T4_T5_T6_T7_T9_mT8_P12ihipStream_tbDpT10_ENKUlT_T0_E_clISt17integral_constantIbLb0EES1A_EEDaS15_S16_EUlS15_E_NS1_11comp_targetILNS1_3genE2ELNS1_11target_archE906ELNS1_3gpuE6ELNS1_3repE0EEENS1_30default_config_static_selectorELNS0_4arch9wavefront6targetE1EEEvT1_.kd
    .uniform_work_group_size: 1
    .uses_dynamic_stack: false
    .vgpr_count:     0
    .vgpr_spill_count: 0
    .wavefront_size: 64
  - .agpr_count:     0
    .args:
      - .offset:         0
        .size:           120
        .value_kind:     by_value
    .group_segment_fixed_size: 0
    .kernarg_segment_align: 8
    .kernarg_segment_size: 120
    .language:       OpenCL C
    .language_version:
      - 2
      - 0
    .max_flat_workgroup_size: 384
    .name:           _ZN7rocprim17ROCPRIM_400000_NS6detail17trampoline_kernelINS0_14default_configENS1_25partition_config_selectorILNS1_17partition_subalgoE9EllbEEZZNS1_14partition_implILS5_9ELb0ES3_jPlS8_PNS0_10empty_typeENS0_5tupleIJS8_S9_EEENSB_IJS8_SA_EEENS0_18inequality_wrapperIZN2at6native12_GLOBAL__N_124unique_dim_cuda_templateIbEESt5tupleIJNSF_6TensorESK_SK_EERKSK_lbbbEUlllE0_EEPmJS9_EEE10hipError_tPvRmT3_T4_T5_T6_T7_T9_mT8_P12ihipStream_tbDpT10_ENKUlT_T0_E_clISt17integral_constantIbLb0EES1A_EEDaS15_S16_EUlS15_E_NS1_11comp_targetILNS1_3genE10ELNS1_11target_archE1200ELNS1_3gpuE4ELNS1_3repE0EEENS1_30default_config_static_selectorELNS0_4arch9wavefront6targetE1EEEvT1_
    .private_segment_fixed_size: 0
    .sgpr_count:     4
    .sgpr_spill_count: 0
    .symbol:         _ZN7rocprim17ROCPRIM_400000_NS6detail17trampoline_kernelINS0_14default_configENS1_25partition_config_selectorILNS1_17partition_subalgoE9EllbEEZZNS1_14partition_implILS5_9ELb0ES3_jPlS8_PNS0_10empty_typeENS0_5tupleIJS8_S9_EEENSB_IJS8_SA_EEENS0_18inequality_wrapperIZN2at6native12_GLOBAL__N_124unique_dim_cuda_templateIbEESt5tupleIJNSF_6TensorESK_SK_EERKSK_lbbbEUlllE0_EEPmJS9_EEE10hipError_tPvRmT3_T4_T5_T6_T7_T9_mT8_P12ihipStream_tbDpT10_ENKUlT_T0_E_clISt17integral_constantIbLb0EES1A_EEDaS15_S16_EUlS15_E_NS1_11comp_targetILNS1_3genE10ELNS1_11target_archE1200ELNS1_3gpuE4ELNS1_3repE0EEENS1_30default_config_static_selectorELNS0_4arch9wavefront6targetE1EEEvT1_.kd
    .uniform_work_group_size: 1
    .uses_dynamic_stack: false
    .vgpr_count:     0
    .vgpr_spill_count: 0
    .wavefront_size: 64
  - .agpr_count:     0
    .args:
      - .offset:         0
        .size:           120
        .value_kind:     by_value
    .group_segment_fixed_size: 0
    .kernarg_segment_align: 8
    .kernarg_segment_size: 120
    .language:       OpenCL C
    .language_version:
      - 2
      - 0
    .max_flat_workgroup_size: 512
    .name:           _ZN7rocprim17ROCPRIM_400000_NS6detail17trampoline_kernelINS0_14default_configENS1_25partition_config_selectorILNS1_17partition_subalgoE9EllbEEZZNS1_14partition_implILS5_9ELb0ES3_jPlS8_PNS0_10empty_typeENS0_5tupleIJS8_S9_EEENSB_IJS8_SA_EEENS0_18inequality_wrapperIZN2at6native12_GLOBAL__N_124unique_dim_cuda_templateIbEESt5tupleIJNSF_6TensorESK_SK_EERKSK_lbbbEUlllE0_EEPmJS9_EEE10hipError_tPvRmT3_T4_T5_T6_T7_T9_mT8_P12ihipStream_tbDpT10_ENKUlT_T0_E_clISt17integral_constantIbLb0EES1A_EEDaS15_S16_EUlS15_E_NS1_11comp_targetILNS1_3genE9ELNS1_11target_archE1100ELNS1_3gpuE3ELNS1_3repE0EEENS1_30default_config_static_selectorELNS0_4arch9wavefront6targetE1EEEvT1_
    .private_segment_fixed_size: 0
    .sgpr_count:     4
    .sgpr_spill_count: 0
    .symbol:         _ZN7rocprim17ROCPRIM_400000_NS6detail17trampoline_kernelINS0_14default_configENS1_25partition_config_selectorILNS1_17partition_subalgoE9EllbEEZZNS1_14partition_implILS5_9ELb0ES3_jPlS8_PNS0_10empty_typeENS0_5tupleIJS8_S9_EEENSB_IJS8_SA_EEENS0_18inequality_wrapperIZN2at6native12_GLOBAL__N_124unique_dim_cuda_templateIbEESt5tupleIJNSF_6TensorESK_SK_EERKSK_lbbbEUlllE0_EEPmJS9_EEE10hipError_tPvRmT3_T4_T5_T6_T7_T9_mT8_P12ihipStream_tbDpT10_ENKUlT_T0_E_clISt17integral_constantIbLb0EES1A_EEDaS15_S16_EUlS15_E_NS1_11comp_targetILNS1_3genE9ELNS1_11target_archE1100ELNS1_3gpuE3ELNS1_3repE0EEENS1_30default_config_static_selectorELNS0_4arch9wavefront6targetE1EEEvT1_.kd
    .uniform_work_group_size: 1
    .uses_dynamic_stack: false
    .vgpr_count:     0
    .vgpr_spill_count: 0
    .wavefront_size: 64
  - .agpr_count:     0
    .args:
      - .offset:         0
        .size:           120
        .value_kind:     by_value
    .group_segment_fixed_size: 0
    .kernarg_segment_align: 8
    .kernarg_segment_size: 120
    .language:       OpenCL C
    .language_version:
      - 2
      - 0
    .max_flat_workgroup_size: 512
    .name:           _ZN7rocprim17ROCPRIM_400000_NS6detail17trampoline_kernelINS0_14default_configENS1_25partition_config_selectorILNS1_17partition_subalgoE9EllbEEZZNS1_14partition_implILS5_9ELb0ES3_jPlS8_PNS0_10empty_typeENS0_5tupleIJS8_S9_EEENSB_IJS8_SA_EEENS0_18inequality_wrapperIZN2at6native12_GLOBAL__N_124unique_dim_cuda_templateIbEESt5tupleIJNSF_6TensorESK_SK_EERKSK_lbbbEUlllE0_EEPmJS9_EEE10hipError_tPvRmT3_T4_T5_T6_T7_T9_mT8_P12ihipStream_tbDpT10_ENKUlT_T0_E_clISt17integral_constantIbLb0EES1A_EEDaS15_S16_EUlS15_E_NS1_11comp_targetILNS1_3genE8ELNS1_11target_archE1030ELNS1_3gpuE2ELNS1_3repE0EEENS1_30default_config_static_selectorELNS0_4arch9wavefront6targetE1EEEvT1_
    .private_segment_fixed_size: 0
    .sgpr_count:     4
    .sgpr_spill_count: 0
    .symbol:         _ZN7rocprim17ROCPRIM_400000_NS6detail17trampoline_kernelINS0_14default_configENS1_25partition_config_selectorILNS1_17partition_subalgoE9EllbEEZZNS1_14partition_implILS5_9ELb0ES3_jPlS8_PNS0_10empty_typeENS0_5tupleIJS8_S9_EEENSB_IJS8_SA_EEENS0_18inequality_wrapperIZN2at6native12_GLOBAL__N_124unique_dim_cuda_templateIbEESt5tupleIJNSF_6TensorESK_SK_EERKSK_lbbbEUlllE0_EEPmJS9_EEE10hipError_tPvRmT3_T4_T5_T6_T7_T9_mT8_P12ihipStream_tbDpT10_ENKUlT_T0_E_clISt17integral_constantIbLb0EES1A_EEDaS15_S16_EUlS15_E_NS1_11comp_targetILNS1_3genE8ELNS1_11target_archE1030ELNS1_3gpuE2ELNS1_3repE0EEENS1_30default_config_static_selectorELNS0_4arch9wavefront6targetE1EEEvT1_.kd
    .uniform_work_group_size: 1
    .uses_dynamic_stack: false
    .vgpr_count:     0
    .vgpr_spill_count: 0
    .wavefront_size: 64
  - .agpr_count:     0
    .args:
      - .offset:         0
        .size:           136
        .value_kind:     by_value
    .group_segment_fixed_size: 0
    .kernarg_segment_align: 8
    .kernarg_segment_size: 136
    .language:       OpenCL C
    .language_version:
      - 2
      - 0
    .max_flat_workgroup_size: 128
    .name:           _ZN7rocprim17ROCPRIM_400000_NS6detail17trampoline_kernelINS0_14default_configENS1_25partition_config_selectorILNS1_17partition_subalgoE9EllbEEZZNS1_14partition_implILS5_9ELb0ES3_jPlS8_PNS0_10empty_typeENS0_5tupleIJS8_S9_EEENSB_IJS8_SA_EEENS0_18inequality_wrapperIZN2at6native12_GLOBAL__N_124unique_dim_cuda_templateIbEESt5tupleIJNSF_6TensorESK_SK_EERKSK_lbbbEUlllE0_EEPmJS9_EEE10hipError_tPvRmT3_T4_T5_T6_T7_T9_mT8_P12ihipStream_tbDpT10_ENKUlT_T0_E_clISt17integral_constantIbLb1EES1A_EEDaS15_S16_EUlS15_E_NS1_11comp_targetILNS1_3genE0ELNS1_11target_archE4294967295ELNS1_3gpuE0ELNS1_3repE0EEENS1_30default_config_static_selectorELNS0_4arch9wavefront6targetE1EEEvT1_
    .private_segment_fixed_size: 0
    .sgpr_count:     4
    .sgpr_spill_count: 0
    .symbol:         _ZN7rocprim17ROCPRIM_400000_NS6detail17trampoline_kernelINS0_14default_configENS1_25partition_config_selectorILNS1_17partition_subalgoE9EllbEEZZNS1_14partition_implILS5_9ELb0ES3_jPlS8_PNS0_10empty_typeENS0_5tupleIJS8_S9_EEENSB_IJS8_SA_EEENS0_18inequality_wrapperIZN2at6native12_GLOBAL__N_124unique_dim_cuda_templateIbEESt5tupleIJNSF_6TensorESK_SK_EERKSK_lbbbEUlllE0_EEPmJS9_EEE10hipError_tPvRmT3_T4_T5_T6_T7_T9_mT8_P12ihipStream_tbDpT10_ENKUlT_T0_E_clISt17integral_constantIbLb1EES1A_EEDaS15_S16_EUlS15_E_NS1_11comp_targetILNS1_3genE0ELNS1_11target_archE4294967295ELNS1_3gpuE0ELNS1_3repE0EEENS1_30default_config_static_selectorELNS0_4arch9wavefront6targetE1EEEvT1_.kd
    .uniform_work_group_size: 1
    .uses_dynamic_stack: false
    .vgpr_count:     0
    .vgpr_spill_count: 0
    .wavefront_size: 64
  - .agpr_count:     0
    .args:
      - .offset:         0
        .size:           136
        .value_kind:     by_value
    .group_segment_fixed_size: 0
    .kernarg_segment_align: 8
    .kernarg_segment_size: 136
    .language:       OpenCL C
    .language_version:
      - 2
      - 0
    .max_flat_workgroup_size: 512
    .name:           _ZN7rocprim17ROCPRIM_400000_NS6detail17trampoline_kernelINS0_14default_configENS1_25partition_config_selectorILNS1_17partition_subalgoE9EllbEEZZNS1_14partition_implILS5_9ELb0ES3_jPlS8_PNS0_10empty_typeENS0_5tupleIJS8_S9_EEENSB_IJS8_SA_EEENS0_18inequality_wrapperIZN2at6native12_GLOBAL__N_124unique_dim_cuda_templateIbEESt5tupleIJNSF_6TensorESK_SK_EERKSK_lbbbEUlllE0_EEPmJS9_EEE10hipError_tPvRmT3_T4_T5_T6_T7_T9_mT8_P12ihipStream_tbDpT10_ENKUlT_T0_E_clISt17integral_constantIbLb1EES1A_EEDaS15_S16_EUlS15_E_NS1_11comp_targetILNS1_3genE5ELNS1_11target_archE942ELNS1_3gpuE9ELNS1_3repE0EEENS1_30default_config_static_selectorELNS0_4arch9wavefront6targetE1EEEvT1_
    .private_segment_fixed_size: 0
    .sgpr_count:     4
    .sgpr_spill_count: 0
    .symbol:         _ZN7rocprim17ROCPRIM_400000_NS6detail17trampoline_kernelINS0_14default_configENS1_25partition_config_selectorILNS1_17partition_subalgoE9EllbEEZZNS1_14partition_implILS5_9ELb0ES3_jPlS8_PNS0_10empty_typeENS0_5tupleIJS8_S9_EEENSB_IJS8_SA_EEENS0_18inequality_wrapperIZN2at6native12_GLOBAL__N_124unique_dim_cuda_templateIbEESt5tupleIJNSF_6TensorESK_SK_EERKSK_lbbbEUlllE0_EEPmJS9_EEE10hipError_tPvRmT3_T4_T5_T6_T7_T9_mT8_P12ihipStream_tbDpT10_ENKUlT_T0_E_clISt17integral_constantIbLb1EES1A_EEDaS15_S16_EUlS15_E_NS1_11comp_targetILNS1_3genE5ELNS1_11target_archE942ELNS1_3gpuE9ELNS1_3repE0EEENS1_30default_config_static_selectorELNS0_4arch9wavefront6targetE1EEEvT1_.kd
    .uniform_work_group_size: 1
    .uses_dynamic_stack: false
    .vgpr_count:     0
    .vgpr_spill_count: 0
    .wavefront_size: 64
  - .agpr_count:     0
    .args:
      - .offset:         0
        .size:           136
        .value_kind:     by_value
    .group_segment_fixed_size: 4236
    .kernarg_segment_align: 8
    .kernarg_segment_size: 136
    .language:       OpenCL C
    .language_version:
      - 2
      - 0
    .max_flat_workgroup_size: 128
    .name:           _ZN7rocprim17ROCPRIM_400000_NS6detail17trampoline_kernelINS0_14default_configENS1_25partition_config_selectorILNS1_17partition_subalgoE9EllbEEZZNS1_14partition_implILS5_9ELb0ES3_jPlS8_PNS0_10empty_typeENS0_5tupleIJS8_S9_EEENSB_IJS8_SA_EEENS0_18inequality_wrapperIZN2at6native12_GLOBAL__N_124unique_dim_cuda_templateIbEESt5tupleIJNSF_6TensorESK_SK_EERKSK_lbbbEUlllE0_EEPmJS9_EEE10hipError_tPvRmT3_T4_T5_T6_T7_T9_mT8_P12ihipStream_tbDpT10_ENKUlT_T0_E_clISt17integral_constantIbLb1EES1A_EEDaS15_S16_EUlS15_E_NS1_11comp_targetILNS1_3genE4ELNS1_11target_archE910ELNS1_3gpuE8ELNS1_3repE0EEENS1_30default_config_static_selectorELNS0_4arch9wavefront6targetE1EEEvT1_
    .private_segment_fixed_size: 0
    .sgpr_count:     56
    .sgpr_spill_count: 0
    .symbol:         _ZN7rocprim17ROCPRIM_400000_NS6detail17trampoline_kernelINS0_14default_configENS1_25partition_config_selectorILNS1_17partition_subalgoE9EllbEEZZNS1_14partition_implILS5_9ELb0ES3_jPlS8_PNS0_10empty_typeENS0_5tupleIJS8_S9_EEENSB_IJS8_SA_EEENS0_18inequality_wrapperIZN2at6native12_GLOBAL__N_124unique_dim_cuda_templateIbEESt5tupleIJNSF_6TensorESK_SK_EERKSK_lbbbEUlllE0_EEPmJS9_EEE10hipError_tPvRmT3_T4_T5_T6_T7_T9_mT8_P12ihipStream_tbDpT10_ENKUlT_T0_E_clISt17integral_constantIbLb1EES1A_EEDaS15_S16_EUlS15_E_NS1_11comp_targetILNS1_3genE4ELNS1_11target_archE910ELNS1_3gpuE8ELNS1_3repE0EEENS1_30default_config_static_selectorELNS0_4arch9wavefront6targetE1EEEvT1_.kd
    .uniform_work_group_size: 1
    .uses_dynamic_stack: false
    .vgpr_count:     50
    .vgpr_spill_count: 0
    .wavefront_size: 64
  - .agpr_count:     0
    .args:
      - .offset:         0
        .size:           136
        .value_kind:     by_value
    .group_segment_fixed_size: 0
    .kernarg_segment_align: 8
    .kernarg_segment_size: 136
    .language:       OpenCL C
    .language_version:
      - 2
      - 0
    .max_flat_workgroup_size: 128
    .name:           _ZN7rocprim17ROCPRIM_400000_NS6detail17trampoline_kernelINS0_14default_configENS1_25partition_config_selectorILNS1_17partition_subalgoE9EllbEEZZNS1_14partition_implILS5_9ELb0ES3_jPlS8_PNS0_10empty_typeENS0_5tupleIJS8_S9_EEENSB_IJS8_SA_EEENS0_18inequality_wrapperIZN2at6native12_GLOBAL__N_124unique_dim_cuda_templateIbEESt5tupleIJNSF_6TensorESK_SK_EERKSK_lbbbEUlllE0_EEPmJS9_EEE10hipError_tPvRmT3_T4_T5_T6_T7_T9_mT8_P12ihipStream_tbDpT10_ENKUlT_T0_E_clISt17integral_constantIbLb1EES1A_EEDaS15_S16_EUlS15_E_NS1_11comp_targetILNS1_3genE3ELNS1_11target_archE908ELNS1_3gpuE7ELNS1_3repE0EEENS1_30default_config_static_selectorELNS0_4arch9wavefront6targetE1EEEvT1_
    .private_segment_fixed_size: 0
    .sgpr_count:     4
    .sgpr_spill_count: 0
    .symbol:         _ZN7rocprim17ROCPRIM_400000_NS6detail17trampoline_kernelINS0_14default_configENS1_25partition_config_selectorILNS1_17partition_subalgoE9EllbEEZZNS1_14partition_implILS5_9ELb0ES3_jPlS8_PNS0_10empty_typeENS0_5tupleIJS8_S9_EEENSB_IJS8_SA_EEENS0_18inequality_wrapperIZN2at6native12_GLOBAL__N_124unique_dim_cuda_templateIbEESt5tupleIJNSF_6TensorESK_SK_EERKSK_lbbbEUlllE0_EEPmJS9_EEE10hipError_tPvRmT3_T4_T5_T6_T7_T9_mT8_P12ihipStream_tbDpT10_ENKUlT_T0_E_clISt17integral_constantIbLb1EES1A_EEDaS15_S16_EUlS15_E_NS1_11comp_targetILNS1_3genE3ELNS1_11target_archE908ELNS1_3gpuE7ELNS1_3repE0EEENS1_30default_config_static_selectorELNS0_4arch9wavefront6targetE1EEEvT1_.kd
    .uniform_work_group_size: 1
    .uses_dynamic_stack: false
    .vgpr_count:     0
    .vgpr_spill_count: 0
    .wavefront_size: 64
  - .agpr_count:     0
    .args:
      - .offset:         0
        .size:           136
        .value_kind:     by_value
    .group_segment_fixed_size: 0
    .kernarg_segment_align: 8
    .kernarg_segment_size: 136
    .language:       OpenCL C
    .language_version:
      - 2
      - 0
    .max_flat_workgroup_size: 192
    .name:           _ZN7rocprim17ROCPRIM_400000_NS6detail17trampoline_kernelINS0_14default_configENS1_25partition_config_selectorILNS1_17partition_subalgoE9EllbEEZZNS1_14partition_implILS5_9ELb0ES3_jPlS8_PNS0_10empty_typeENS0_5tupleIJS8_S9_EEENSB_IJS8_SA_EEENS0_18inequality_wrapperIZN2at6native12_GLOBAL__N_124unique_dim_cuda_templateIbEESt5tupleIJNSF_6TensorESK_SK_EERKSK_lbbbEUlllE0_EEPmJS9_EEE10hipError_tPvRmT3_T4_T5_T6_T7_T9_mT8_P12ihipStream_tbDpT10_ENKUlT_T0_E_clISt17integral_constantIbLb1EES1A_EEDaS15_S16_EUlS15_E_NS1_11comp_targetILNS1_3genE2ELNS1_11target_archE906ELNS1_3gpuE6ELNS1_3repE0EEENS1_30default_config_static_selectorELNS0_4arch9wavefront6targetE1EEEvT1_
    .private_segment_fixed_size: 0
    .sgpr_count:     4
    .sgpr_spill_count: 0
    .symbol:         _ZN7rocprim17ROCPRIM_400000_NS6detail17trampoline_kernelINS0_14default_configENS1_25partition_config_selectorILNS1_17partition_subalgoE9EllbEEZZNS1_14partition_implILS5_9ELb0ES3_jPlS8_PNS0_10empty_typeENS0_5tupleIJS8_S9_EEENSB_IJS8_SA_EEENS0_18inequality_wrapperIZN2at6native12_GLOBAL__N_124unique_dim_cuda_templateIbEESt5tupleIJNSF_6TensorESK_SK_EERKSK_lbbbEUlllE0_EEPmJS9_EEE10hipError_tPvRmT3_T4_T5_T6_T7_T9_mT8_P12ihipStream_tbDpT10_ENKUlT_T0_E_clISt17integral_constantIbLb1EES1A_EEDaS15_S16_EUlS15_E_NS1_11comp_targetILNS1_3genE2ELNS1_11target_archE906ELNS1_3gpuE6ELNS1_3repE0EEENS1_30default_config_static_selectorELNS0_4arch9wavefront6targetE1EEEvT1_.kd
    .uniform_work_group_size: 1
    .uses_dynamic_stack: false
    .vgpr_count:     0
    .vgpr_spill_count: 0
    .wavefront_size: 64
  - .agpr_count:     0
    .args:
      - .offset:         0
        .size:           136
        .value_kind:     by_value
    .group_segment_fixed_size: 0
    .kernarg_segment_align: 8
    .kernarg_segment_size: 136
    .language:       OpenCL C
    .language_version:
      - 2
      - 0
    .max_flat_workgroup_size: 384
    .name:           _ZN7rocprim17ROCPRIM_400000_NS6detail17trampoline_kernelINS0_14default_configENS1_25partition_config_selectorILNS1_17partition_subalgoE9EllbEEZZNS1_14partition_implILS5_9ELb0ES3_jPlS8_PNS0_10empty_typeENS0_5tupleIJS8_S9_EEENSB_IJS8_SA_EEENS0_18inequality_wrapperIZN2at6native12_GLOBAL__N_124unique_dim_cuda_templateIbEESt5tupleIJNSF_6TensorESK_SK_EERKSK_lbbbEUlllE0_EEPmJS9_EEE10hipError_tPvRmT3_T4_T5_T6_T7_T9_mT8_P12ihipStream_tbDpT10_ENKUlT_T0_E_clISt17integral_constantIbLb1EES1A_EEDaS15_S16_EUlS15_E_NS1_11comp_targetILNS1_3genE10ELNS1_11target_archE1200ELNS1_3gpuE4ELNS1_3repE0EEENS1_30default_config_static_selectorELNS0_4arch9wavefront6targetE1EEEvT1_
    .private_segment_fixed_size: 0
    .sgpr_count:     4
    .sgpr_spill_count: 0
    .symbol:         _ZN7rocprim17ROCPRIM_400000_NS6detail17trampoline_kernelINS0_14default_configENS1_25partition_config_selectorILNS1_17partition_subalgoE9EllbEEZZNS1_14partition_implILS5_9ELb0ES3_jPlS8_PNS0_10empty_typeENS0_5tupleIJS8_S9_EEENSB_IJS8_SA_EEENS0_18inequality_wrapperIZN2at6native12_GLOBAL__N_124unique_dim_cuda_templateIbEESt5tupleIJNSF_6TensorESK_SK_EERKSK_lbbbEUlllE0_EEPmJS9_EEE10hipError_tPvRmT3_T4_T5_T6_T7_T9_mT8_P12ihipStream_tbDpT10_ENKUlT_T0_E_clISt17integral_constantIbLb1EES1A_EEDaS15_S16_EUlS15_E_NS1_11comp_targetILNS1_3genE10ELNS1_11target_archE1200ELNS1_3gpuE4ELNS1_3repE0EEENS1_30default_config_static_selectorELNS0_4arch9wavefront6targetE1EEEvT1_.kd
    .uniform_work_group_size: 1
    .uses_dynamic_stack: false
    .vgpr_count:     0
    .vgpr_spill_count: 0
    .wavefront_size: 64
  - .agpr_count:     0
    .args:
      - .offset:         0
        .size:           136
        .value_kind:     by_value
    .group_segment_fixed_size: 0
    .kernarg_segment_align: 8
    .kernarg_segment_size: 136
    .language:       OpenCL C
    .language_version:
      - 2
      - 0
    .max_flat_workgroup_size: 512
    .name:           _ZN7rocprim17ROCPRIM_400000_NS6detail17trampoline_kernelINS0_14default_configENS1_25partition_config_selectorILNS1_17partition_subalgoE9EllbEEZZNS1_14partition_implILS5_9ELb0ES3_jPlS8_PNS0_10empty_typeENS0_5tupleIJS8_S9_EEENSB_IJS8_SA_EEENS0_18inequality_wrapperIZN2at6native12_GLOBAL__N_124unique_dim_cuda_templateIbEESt5tupleIJNSF_6TensorESK_SK_EERKSK_lbbbEUlllE0_EEPmJS9_EEE10hipError_tPvRmT3_T4_T5_T6_T7_T9_mT8_P12ihipStream_tbDpT10_ENKUlT_T0_E_clISt17integral_constantIbLb1EES1A_EEDaS15_S16_EUlS15_E_NS1_11comp_targetILNS1_3genE9ELNS1_11target_archE1100ELNS1_3gpuE3ELNS1_3repE0EEENS1_30default_config_static_selectorELNS0_4arch9wavefront6targetE1EEEvT1_
    .private_segment_fixed_size: 0
    .sgpr_count:     4
    .sgpr_spill_count: 0
    .symbol:         _ZN7rocprim17ROCPRIM_400000_NS6detail17trampoline_kernelINS0_14default_configENS1_25partition_config_selectorILNS1_17partition_subalgoE9EllbEEZZNS1_14partition_implILS5_9ELb0ES3_jPlS8_PNS0_10empty_typeENS0_5tupleIJS8_S9_EEENSB_IJS8_SA_EEENS0_18inequality_wrapperIZN2at6native12_GLOBAL__N_124unique_dim_cuda_templateIbEESt5tupleIJNSF_6TensorESK_SK_EERKSK_lbbbEUlllE0_EEPmJS9_EEE10hipError_tPvRmT3_T4_T5_T6_T7_T9_mT8_P12ihipStream_tbDpT10_ENKUlT_T0_E_clISt17integral_constantIbLb1EES1A_EEDaS15_S16_EUlS15_E_NS1_11comp_targetILNS1_3genE9ELNS1_11target_archE1100ELNS1_3gpuE3ELNS1_3repE0EEENS1_30default_config_static_selectorELNS0_4arch9wavefront6targetE1EEEvT1_.kd
    .uniform_work_group_size: 1
    .uses_dynamic_stack: false
    .vgpr_count:     0
    .vgpr_spill_count: 0
    .wavefront_size: 64
  - .agpr_count:     0
    .args:
      - .offset:         0
        .size:           136
        .value_kind:     by_value
    .group_segment_fixed_size: 0
    .kernarg_segment_align: 8
    .kernarg_segment_size: 136
    .language:       OpenCL C
    .language_version:
      - 2
      - 0
    .max_flat_workgroup_size: 512
    .name:           _ZN7rocprim17ROCPRIM_400000_NS6detail17trampoline_kernelINS0_14default_configENS1_25partition_config_selectorILNS1_17partition_subalgoE9EllbEEZZNS1_14partition_implILS5_9ELb0ES3_jPlS8_PNS0_10empty_typeENS0_5tupleIJS8_S9_EEENSB_IJS8_SA_EEENS0_18inequality_wrapperIZN2at6native12_GLOBAL__N_124unique_dim_cuda_templateIbEESt5tupleIJNSF_6TensorESK_SK_EERKSK_lbbbEUlllE0_EEPmJS9_EEE10hipError_tPvRmT3_T4_T5_T6_T7_T9_mT8_P12ihipStream_tbDpT10_ENKUlT_T0_E_clISt17integral_constantIbLb1EES1A_EEDaS15_S16_EUlS15_E_NS1_11comp_targetILNS1_3genE8ELNS1_11target_archE1030ELNS1_3gpuE2ELNS1_3repE0EEENS1_30default_config_static_selectorELNS0_4arch9wavefront6targetE1EEEvT1_
    .private_segment_fixed_size: 0
    .sgpr_count:     4
    .sgpr_spill_count: 0
    .symbol:         _ZN7rocprim17ROCPRIM_400000_NS6detail17trampoline_kernelINS0_14default_configENS1_25partition_config_selectorILNS1_17partition_subalgoE9EllbEEZZNS1_14partition_implILS5_9ELb0ES3_jPlS8_PNS0_10empty_typeENS0_5tupleIJS8_S9_EEENSB_IJS8_SA_EEENS0_18inequality_wrapperIZN2at6native12_GLOBAL__N_124unique_dim_cuda_templateIbEESt5tupleIJNSF_6TensorESK_SK_EERKSK_lbbbEUlllE0_EEPmJS9_EEE10hipError_tPvRmT3_T4_T5_T6_T7_T9_mT8_P12ihipStream_tbDpT10_ENKUlT_T0_E_clISt17integral_constantIbLb1EES1A_EEDaS15_S16_EUlS15_E_NS1_11comp_targetILNS1_3genE8ELNS1_11target_archE1030ELNS1_3gpuE2ELNS1_3repE0EEENS1_30default_config_static_selectorELNS0_4arch9wavefront6targetE1EEEvT1_.kd
    .uniform_work_group_size: 1
    .uses_dynamic_stack: false
    .vgpr_count:     0
    .vgpr_spill_count: 0
    .wavefront_size: 64
  - .agpr_count:     0
    .args:
      - .offset:         0
        .size:           120
        .value_kind:     by_value
    .group_segment_fixed_size: 0
    .kernarg_segment_align: 8
    .kernarg_segment_size: 120
    .language:       OpenCL C
    .language_version:
      - 2
      - 0
    .max_flat_workgroup_size: 128
    .name:           _ZN7rocprim17ROCPRIM_400000_NS6detail17trampoline_kernelINS0_14default_configENS1_25partition_config_selectorILNS1_17partition_subalgoE9EllbEEZZNS1_14partition_implILS5_9ELb0ES3_jPlS8_PNS0_10empty_typeENS0_5tupleIJS8_S9_EEENSB_IJS8_SA_EEENS0_18inequality_wrapperIZN2at6native12_GLOBAL__N_124unique_dim_cuda_templateIbEESt5tupleIJNSF_6TensorESK_SK_EERKSK_lbbbEUlllE0_EEPmJS9_EEE10hipError_tPvRmT3_T4_T5_T6_T7_T9_mT8_P12ihipStream_tbDpT10_ENKUlT_T0_E_clISt17integral_constantIbLb1EES19_IbLb0EEEEDaS15_S16_EUlS15_E_NS1_11comp_targetILNS1_3genE0ELNS1_11target_archE4294967295ELNS1_3gpuE0ELNS1_3repE0EEENS1_30default_config_static_selectorELNS0_4arch9wavefront6targetE1EEEvT1_
    .private_segment_fixed_size: 0
    .sgpr_count:     4
    .sgpr_spill_count: 0
    .symbol:         _ZN7rocprim17ROCPRIM_400000_NS6detail17trampoline_kernelINS0_14default_configENS1_25partition_config_selectorILNS1_17partition_subalgoE9EllbEEZZNS1_14partition_implILS5_9ELb0ES3_jPlS8_PNS0_10empty_typeENS0_5tupleIJS8_S9_EEENSB_IJS8_SA_EEENS0_18inequality_wrapperIZN2at6native12_GLOBAL__N_124unique_dim_cuda_templateIbEESt5tupleIJNSF_6TensorESK_SK_EERKSK_lbbbEUlllE0_EEPmJS9_EEE10hipError_tPvRmT3_T4_T5_T6_T7_T9_mT8_P12ihipStream_tbDpT10_ENKUlT_T0_E_clISt17integral_constantIbLb1EES19_IbLb0EEEEDaS15_S16_EUlS15_E_NS1_11comp_targetILNS1_3genE0ELNS1_11target_archE4294967295ELNS1_3gpuE0ELNS1_3repE0EEENS1_30default_config_static_selectorELNS0_4arch9wavefront6targetE1EEEvT1_.kd
    .uniform_work_group_size: 1
    .uses_dynamic_stack: false
    .vgpr_count:     0
    .vgpr_spill_count: 0
    .wavefront_size: 64
  - .agpr_count:     0
    .args:
      - .offset:         0
        .size:           120
        .value_kind:     by_value
    .group_segment_fixed_size: 0
    .kernarg_segment_align: 8
    .kernarg_segment_size: 120
    .language:       OpenCL C
    .language_version:
      - 2
      - 0
    .max_flat_workgroup_size: 512
    .name:           _ZN7rocprim17ROCPRIM_400000_NS6detail17trampoline_kernelINS0_14default_configENS1_25partition_config_selectorILNS1_17partition_subalgoE9EllbEEZZNS1_14partition_implILS5_9ELb0ES3_jPlS8_PNS0_10empty_typeENS0_5tupleIJS8_S9_EEENSB_IJS8_SA_EEENS0_18inequality_wrapperIZN2at6native12_GLOBAL__N_124unique_dim_cuda_templateIbEESt5tupleIJNSF_6TensorESK_SK_EERKSK_lbbbEUlllE0_EEPmJS9_EEE10hipError_tPvRmT3_T4_T5_T6_T7_T9_mT8_P12ihipStream_tbDpT10_ENKUlT_T0_E_clISt17integral_constantIbLb1EES19_IbLb0EEEEDaS15_S16_EUlS15_E_NS1_11comp_targetILNS1_3genE5ELNS1_11target_archE942ELNS1_3gpuE9ELNS1_3repE0EEENS1_30default_config_static_selectorELNS0_4arch9wavefront6targetE1EEEvT1_
    .private_segment_fixed_size: 0
    .sgpr_count:     4
    .sgpr_spill_count: 0
    .symbol:         _ZN7rocprim17ROCPRIM_400000_NS6detail17trampoline_kernelINS0_14default_configENS1_25partition_config_selectorILNS1_17partition_subalgoE9EllbEEZZNS1_14partition_implILS5_9ELb0ES3_jPlS8_PNS0_10empty_typeENS0_5tupleIJS8_S9_EEENSB_IJS8_SA_EEENS0_18inequality_wrapperIZN2at6native12_GLOBAL__N_124unique_dim_cuda_templateIbEESt5tupleIJNSF_6TensorESK_SK_EERKSK_lbbbEUlllE0_EEPmJS9_EEE10hipError_tPvRmT3_T4_T5_T6_T7_T9_mT8_P12ihipStream_tbDpT10_ENKUlT_T0_E_clISt17integral_constantIbLb1EES19_IbLb0EEEEDaS15_S16_EUlS15_E_NS1_11comp_targetILNS1_3genE5ELNS1_11target_archE942ELNS1_3gpuE9ELNS1_3repE0EEENS1_30default_config_static_selectorELNS0_4arch9wavefront6targetE1EEEvT1_.kd
    .uniform_work_group_size: 1
    .uses_dynamic_stack: false
    .vgpr_count:     0
    .vgpr_spill_count: 0
    .wavefront_size: 64
  - .agpr_count:     0
    .args:
      - .offset:         0
        .size:           120
        .value_kind:     by_value
    .group_segment_fixed_size: 4236
    .kernarg_segment_align: 8
    .kernarg_segment_size: 120
    .language:       OpenCL C
    .language_version:
      - 2
      - 0
    .max_flat_workgroup_size: 128
    .name:           _ZN7rocprim17ROCPRIM_400000_NS6detail17trampoline_kernelINS0_14default_configENS1_25partition_config_selectorILNS1_17partition_subalgoE9EllbEEZZNS1_14partition_implILS5_9ELb0ES3_jPlS8_PNS0_10empty_typeENS0_5tupleIJS8_S9_EEENSB_IJS8_SA_EEENS0_18inequality_wrapperIZN2at6native12_GLOBAL__N_124unique_dim_cuda_templateIbEESt5tupleIJNSF_6TensorESK_SK_EERKSK_lbbbEUlllE0_EEPmJS9_EEE10hipError_tPvRmT3_T4_T5_T6_T7_T9_mT8_P12ihipStream_tbDpT10_ENKUlT_T0_E_clISt17integral_constantIbLb1EES19_IbLb0EEEEDaS15_S16_EUlS15_E_NS1_11comp_targetILNS1_3genE4ELNS1_11target_archE910ELNS1_3gpuE8ELNS1_3repE0EEENS1_30default_config_static_selectorELNS0_4arch9wavefront6targetE1EEEvT1_
    .private_segment_fixed_size: 0
    .sgpr_count:     50
    .sgpr_spill_count: 0
    .symbol:         _ZN7rocprim17ROCPRIM_400000_NS6detail17trampoline_kernelINS0_14default_configENS1_25partition_config_selectorILNS1_17partition_subalgoE9EllbEEZZNS1_14partition_implILS5_9ELb0ES3_jPlS8_PNS0_10empty_typeENS0_5tupleIJS8_S9_EEENSB_IJS8_SA_EEENS0_18inequality_wrapperIZN2at6native12_GLOBAL__N_124unique_dim_cuda_templateIbEESt5tupleIJNSF_6TensorESK_SK_EERKSK_lbbbEUlllE0_EEPmJS9_EEE10hipError_tPvRmT3_T4_T5_T6_T7_T9_mT8_P12ihipStream_tbDpT10_ENKUlT_T0_E_clISt17integral_constantIbLb1EES19_IbLb0EEEEDaS15_S16_EUlS15_E_NS1_11comp_targetILNS1_3genE4ELNS1_11target_archE910ELNS1_3gpuE8ELNS1_3repE0EEENS1_30default_config_static_selectorELNS0_4arch9wavefront6targetE1EEEvT1_.kd
    .uniform_work_group_size: 1
    .uses_dynamic_stack: false
    .vgpr_count:     50
    .vgpr_spill_count: 0
    .wavefront_size: 64
  - .agpr_count:     0
    .args:
      - .offset:         0
        .size:           120
        .value_kind:     by_value
    .group_segment_fixed_size: 0
    .kernarg_segment_align: 8
    .kernarg_segment_size: 120
    .language:       OpenCL C
    .language_version:
      - 2
      - 0
    .max_flat_workgroup_size: 128
    .name:           _ZN7rocprim17ROCPRIM_400000_NS6detail17trampoline_kernelINS0_14default_configENS1_25partition_config_selectorILNS1_17partition_subalgoE9EllbEEZZNS1_14partition_implILS5_9ELb0ES3_jPlS8_PNS0_10empty_typeENS0_5tupleIJS8_S9_EEENSB_IJS8_SA_EEENS0_18inequality_wrapperIZN2at6native12_GLOBAL__N_124unique_dim_cuda_templateIbEESt5tupleIJNSF_6TensorESK_SK_EERKSK_lbbbEUlllE0_EEPmJS9_EEE10hipError_tPvRmT3_T4_T5_T6_T7_T9_mT8_P12ihipStream_tbDpT10_ENKUlT_T0_E_clISt17integral_constantIbLb1EES19_IbLb0EEEEDaS15_S16_EUlS15_E_NS1_11comp_targetILNS1_3genE3ELNS1_11target_archE908ELNS1_3gpuE7ELNS1_3repE0EEENS1_30default_config_static_selectorELNS0_4arch9wavefront6targetE1EEEvT1_
    .private_segment_fixed_size: 0
    .sgpr_count:     4
    .sgpr_spill_count: 0
    .symbol:         _ZN7rocprim17ROCPRIM_400000_NS6detail17trampoline_kernelINS0_14default_configENS1_25partition_config_selectorILNS1_17partition_subalgoE9EllbEEZZNS1_14partition_implILS5_9ELb0ES3_jPlS8_PNS0_10empty_typeENS0_5tupleIJS8_S9_EEENSB_IJS8_SA_EEENS0_18inequality_wrapperIZN2at6native12_GLOBAL__N_124unique_dim_cuda_templateIbEESt5tupleIJNSF_6TensorESK_SK_EERKSK_lbbbEUlllE0_EEPmJS9_EEE10hipError_tPvRmT3_T4_T5_T6_T7_T9_mT8_P12ihipStream_tbDpT10_ENKUlT_T0_E_clISt17integral_constantIbLb1EES19_IbLb0EEEEDaS15_S16_EUlS15_E_NS1_11comp_targetILNS1_3genE3ELNS1_11target_archE908ELNS1_3gpuE7ELNS1_3repE0EEENS1_30default_config_static_selectorELNS0_4arch9wavefront6targetE1EEEvT1_.kd
    .uniform_work_group_size: 1
    .uses_dynamic_stack: false
    .vgpr_count:     0
    .vgpr_spill_count: 0
    .wavefront_size: 64
  - .agpr_count:     0
    .args:
      - .offset:         0
        .size:           120
        .value_kind:     by_value
    .group_segment_fixed_size: 0
    .kernarg_segment_align: 8
    .kernarg_segment_size: 120
    .language:       OpenCL C
    .language_version:
      - 2
      - 0
    .max_flat_workgroup_size: 192
    .name:           _ZN7rocprim17ROCPRIM_400000_NS6detail17trampoline_kernelINS0_14default_configENS1_25partition_config_selectorILNS1_17partition_subalgoE9EllbEEZZNS1_14partition_implILS5_9ELb0ES3_jPlS8_PNS0_10empty_typeENS0_5tupleIJS8_S9_EEENSB_IJS8_SA_EEENS0_18inequality_wrapperIZN2at6native12_GLOBAL__N_124unique_dim_cuda_templateIbEESt5tupleIJNSF_6TensorESK_SK_EERKSK_lbbbEUlllE0_EEPmJS9_EEE10hipError_tPvRmT3_T4_T5_T6_T7_T9_mT8_P12ihipStream_tbDpT10_ENKUlT_T0_E_clISt17integral_constantIbLb1EES19_IbLb0EEEEDaS15_S16_EUlS15_E_NS1_11comp_targetILNS1_3genE2ELNS1_11target_archE906ELNS1_3gpuE6ELNS1_3repE0EEENS1_30default_config_static_selectorELNS0_4arch9wavefront6targetE1EEEvT1_
    .private_segment_fixed_size: 0
    .sgpr_count:     4
    .sgpr_spill_count: 0
    .symbol:         _ZN7rocprim17ROCPRIM_400000_NS6detail17trampoline_kernelINS0_14default_configENS1_25partition_config_selectorILNS1_17partition_subalgoE9EllbEEZZNS1_14partition_implILS5_9ELb0ES3_jPlS8_PNS0_10empty_typeENS0_5tupleIJS8_S9_EEENSB_IJS8_SA_EEENS0_18inequality_wrapperIZN2at6native12_GLOBAL__N_124unique_dim_cuda_templateIbEESt5tupleIJNSF_6TensorESK_SK_EERKSK_lbbbEUlllE0_EEPmJS9_EEE10hipError_tPvRmT3_T4_T5_T6_T7_T9_mT8_P12ihipStream_tbDpT10_ENKUlT_T0_E_clISt17integral_constantIbLb1EES19_IbLb0EEEEDaS15_S16_EUlS15_E_NS1_11comp_targetILNS1_3genE2ELNS1_11target_archE906ELNS1_3gpuE6ELNS1_3repE0EEENS1_30default_config_static_selectorELNS0_4arch9wavefront6targetE1EEEvT1_.kd
    .uniform_work_group_size: 1
    .uses_dynamic_stack: false
    .vgpr_count:     0
    .vgpr_spill_count: 0
    .wavefront_size: 64
  - .agpr_count:     0
    .args:
      - .offset:         0
        .size:           120
        .value_kind:     by_value
    .group_segment_fixed_size: 0
    .kernarg_segment_align: 8
    .kernarg_segment_size: 120
    .language:       OpenCL C
    .language_version:
      - 2
      - 0
    .max_flat_workgroup_size: 384
    .name:           _ZN7rocprim17ROCPRIM_400000_NS6detail17trampoline_kernelINS0_14default_configENS1_25partition_config_selectorILNS1_17partition_subalgoE9EllbEEZZNS1_14partition_implILS5_9ELb0ES3_jPlS8_PNS0_10empty_typeENS0_5tupleIJS8_S9_EEENSB_IJS8_SA_EEENS0_18inequality_wrapperIZN2at6native12_GLOBAL__N_124unique_dim_cuda_templateIbEESt5tupleIJNSF_6TensorESK_SK_EERKSK_lbbbEUlllE0_EEPmJS9_EEE10hipError_tPvRmT3_T4_T5_T6_T7_T9_mT8_P12ihipStream_tbDpT10_ENKUlT_T0_E_clISt17integral_constantIbLb1EES19_IbLb0EEEEDaS15_S16_EUlS15_E_NS1_11comp_targetILNS1_3genE10ELNS1_11target_archE1200ELNS1_3gpuE4ELNS1_3repE0EEENS1_30default_config_static_selectorELNS0_4arch9wavefront6targetE1EEEvT1_
    .private_segment_fixed_size: 0
    .sgpr_count:     4
    .sgpr_spill_count: 0
    .symbol:         _ZN7rocprim17ROCPRIM_400000_NS6detail17trampoline_kernelINS0_14default_configENS1_25partition_config_selectorILNS1_17partition_subalgoE9EllbEEZZNS1_14partition_implILS5_9ELb0ES3_jPlS8_PNS0_10empty_typeENS0_5tupleIJS8_S9_EEENSB_IJS8_SA_EEENS0_18inequality_wrapperIZN2at6native12_GLOBAL__N_124unique_dim_cuda_templateIbEESt5tupleIJNSF_6TensorESK_SK_EERKSK_lbbbEUlllE0_EEPmJS9_EEE10hipError_tPvRmT3_T4_T5_T6_T7_T9_mT8_P12ihipStream_tbDpT10_ENKUlT_T0_E_clISt17integral_constantIbLb1EES19_IbLb0EEEEDaS15_S16_EUlS15_E_NS1_11comp_targetILNS1_3genE10ELNS1_11target_archE1200ELNS1_3gpuE4ELNS1_3repE0EEENS1_30default_config_static_selectorELNS0_4arch9wavefront6targetE1EEEvT1_.kd
    .uniform_work_group_size: 1
    .uses_dynamic_stack: false
    .vgpr_count:     0
    .vgpr_spill_count: 0
    .wavefront_size: 64
  - .agpr_count:     0
    .args:
      - .offset:         0
        .size:           120
        .value_kind:     by_value
    .group_segment_fixed_size: 0
    .kernarg_segment_align: 8
    .kernarg_segment_size: 120
    .language:       OpenCL C
    .language_version:
      - 2
      - 0
    .max_flat_workgroup_size: 512
    .name:           _ZN7rocprim17ROCPRIM_400000_NS6detail17trampoline_kernelINS0_14default_configENS1_25partition_config_selectorILNS1_17partition_subalgoE9EllbEEZZNS1_14partition_implILS5_9ELb0ES3_jPlS8_PNS0_10empty_typeENS0_5tupleIJS8_S9_EEENSB_IJS8_SA_EEENS0_18inequality_wrapperIZN2at6native12_GLOBAL__N_124unique_dim_cuda_templateIbEESt5tupleIJNSF_6TensorESK_SK_EERKSK_lbbbEUlllE0_EEPmJS9_EEE10hipError_tPvRmT3_T4_T5_T6_T7_T9_mT8_P12ihipStream_tbDpT10_ENKUlT_T0_E_clISt17integral_constantIbLb1EES19_IbLb0EEEEDaS15_S16_EUlS15_E_NS1_11comp_targetILNS1_3genE9ELNS1_11target_archE1100ELNS1_3gpuE3ELNS1_3repE0EEENS1_30default_config_static_selectorELNS0_4arch9wavefront6targetE1EEEvT1_
    .private_segment_fixed_size: 0
    .sgpr_count:     4
    .sgpr_spill_count: 0
    .symbol:         _ZN7rocprim17ROCPRIM_400000_NS6detail17trampoline_kernelINS0_14default_configENS1_25partition_config_selectorILNS1_17partition_subalgoE9EllbEEZZNS1_14partition_implILS5_9ELb0ES3_jPlS8_PNS0_10empty_typeENS0_5tupleIJS8_S9_EEENSB_IJS8_SA_EEENS0_18inequality_wrapperIZN2at6native12_GLOBAL__N_124unique_dim_cuda_templateIbEESt5tupleIJNSF_6TensorESK_SK_EERKSK_lbbbEUlllE0_EEPmJS9_EEE10hipError_tPvRmT3_T4_T5_T6_T7_T9_mT8_P12ihipStream_tbDpT10_ENKUlT_T0_E_clISt17integral_constantIbLb1EES19_IbLb0EEEEDaS15_S16_EUlS15_E_NS1_11comp_targetILNS1_3genE9ELNS1_11target_archE1100ELNS1_3gpuE3ELNS1_3repE0EEENS1_30default_config_static_selectorELNS0_4arch9wavefront6targetE1EEEvT1_.kd
    .uniform_work_group_size: 1
    .uses_dynamic_stack: false
    .vgpr_count:     0
    .vgpr_spill_count: 0
    .wavefront_size: 64
  - .agpr_count:     0
    .args:
      - .offset:         0
        .size:           120
        .value_kind:     by_value
    .group_segment_fixed_size: 0
    .kernarg_segment_align: 8
    .kernarg_segment_size: 120
    .language:       OpenCL C
    .language_version:
      - 2
      - 0
    .max_flat_workgroup_size: 512
    .name:           _ZN7rocprim17ROCPRIM_400000_NS6detail17trampoline_kernelINS0_14default_configENS1_25partition_config_selectorILNS1_17partition_subalgoE9EllbEEZZNS1_14partition_implILS5_9ELb0ES3_jPlS8_PNS0_10empty_typeENS0_5tupleIJS8_S9_EEENSB_IJS8_SA_EEENS0_18inequality_wrapperIZN2at6native12_GLOBAL__N_124unique_dim_cuda_templateIbEESt5tupleIJNSF_6TensorESK_SK_EERKSK_lbbbEUlllE0_EEPmJS9_EEE10hipError_tPvRmT3_T4_T5_T6_T7_T9_mT8_P12ihipStream_tbDpT10_ENKUlT_T0_E_clISt17integral_constantIbLb1EES19_IbLb0EEEEDaS15_S16_EUlS15_E_NS1_11comp_targetILNS1_3genE8ELNS1_11target_archE1030ELNS1_3gpuE2ELNS1_3repE0EEENS1_30default_config_static_selectorELNS0_4arch9wavefront6targetE1EEEvT1_
    .private_segment_fixed_size: 0
    .sgpr_count:     4
    .sgpr_spill_count: 0
    .symbol:         _ZN7rocprim17ROCPRIM_400000_NS6detail17trampoline_kernelINS0_14default_configENS1_25partition_config_selectorILNS1_17partition_subalgoE9EllbEEZZNS1_14partition_implILS5_9ELb0ES3_jPlS8_PNS0_10empty_typeENS0_5tupleIJS8_S9_EEENSB_IJS8_SA_EEENS0_18inequality_wrapperIZN2at6native12_GLOBAL__N_124unique_dim_cuda_templateIbEESt5tupleIJNSF_6TensorESK_SK_EERKSK_lbbbEUlllE0_EEPmJS9_EEE10hipError_tPvRmT3_T4_T5_T6_T7_T9_mT8_P12ihipStream_tbDpT10_ENKUlT_T0_E_clISt17integral_constantIbLb1EES19_IbLb0EEEEDaS15_S16_EUlS15_E_NS1_11comp_targetILNS1_3genE8ELNS1_11target_archE1030ELNS1_3gpuE2ELNS1_3repE0EEENS1_30default_config_static_selectorELNS0_4arch9wavefront6targetE1EEEvT1_.kd
    .uniform_work_group_size: 1
    .uses_dynamic_stack: false
    .vgpr_count:     0
    .vgpr_spill_count: 0
    .wavefront_size: 64
  - .agpr_count:     0
    .args:
      - .offset:         0
        .size:           136
        .value_kind:     by_value
    .group_segment_fixed_size: 0
    .kernarg_segment_align: 8
    .kernarg_segment_size: 136
    .language:       OpenCL C
    .language_version:
      - 2
      - 0
    .max_flat_workgroup_size: 128
    .name:           _ZN7rocprim17ROCPRIM_400000_NS6detail17trampoline_kernelINS0_14default_configENS1_25partition_config_selectorILNS1_17partition_subalgoE9EllbEEZZNS1_14partition_implILS5_9ELb0ES3_jPlS8_PNS0_10empty_typeENS0_5tupleIJS8_S9_EEENSB_IJS8_SA_EEENS0_18inequality_wrapperIZN2at6native12_GLOBAL__N_124unique_dim_cuda_templateIbEESt5tupleIJNSF_6TensorESK_SK_EERKSK_lbbbEUlllE0_EEPmJS9_EEE10hipError_tPvRmT3_T4_T5_T6_T7_T9_mT8_P12ihipStream_tbDpT10_ENKUlT_T0_E_clISt17integral_constantIbLb0EES19_IbLb1EEEEDaS15_S16_EUlS15_E_NS1_11comp_targetILNS1_3genE0ELNS1_11target_archE4294967295ELNS1_3gpuE0ELNS1_3repE0EEENS1_30default_config_static_selectorELNS0_4arch9wavefront6targetE1EEEvT1_
    .private_segment_fixed_size: 0
    .sgpr_count:     4
    .sgpr_spill_count: 0
    .symbol:         _ZN7rocprim17ROCPRIM_400000_NS6detail17trampoline_kernelINS0_14default_configENS1_25partition_config_selectorILNS1_17partition_subalgoE9EllbEEZZNS1_14partition_implILS5_9ELb0ES3_jPlS8_PNS0_10empty_typeENS0_5tupleIJS8_S9_EEENSB_IJS8_SA_EEENS0_18inequality_wrapperIZN2at6native12_GLOBAL__N_124unique_dim_cuda_templateIbEESt5tupleIJNSF_6TensorESK_SK_EERKSK_lbbbEUlllE0_EEPmJS9_EEE10hipError_tPvRmT3_T4_T5_T6_T7_T9_mT8_P12ihipStream_tbDpT10_ENKUlT_T0_E_clISt17integral_constantIbLb0EES19_IbLb1EEEEDaS15_S16_EUlS15_E_NS1_11comp_targetILNS1_3genE0ELNS1_11target_archE4294967295ELNS1_3gpuE0ELNS1_3repE0EEENS1_30default_config_static_selectorELNS0_4arch9wavefront6targetE1EEEvT1_.kd
    .uniform_work_group_size: 1
    .uses_dynamic_stack: false
    .vgpr_count:     0
    .vgpr_spill_count: 0
    .wavefront_size: 64
  - .agpr_count:     0
    .args:
      - .offset:         0
        .size:           136
        .value_kind:     by_value
    .group_segment_fixed_size: 0
    .kernarg_segment_align: 8
    .kernarg_segment_size: 136
    .language:       OpenCL C
    .language_version:
      - 2
      - 0
    .max_flat_workgroup_size: 512
    .name:           _ZN7rocprim17ROCPRIM_400000_NS6detail17trampoline_kernelINS0_14default_configENS1_25partition_config_selectorILNS1_17partition_subalgoE9EllbEEZZNS1_14partition_implILS5_9ELb0ES3_jPlS8_PNS0_10empty_typeENS0_5tupleIJS8_S9_EEENSB_IJS8_SA_EEENS0_18inequality_wrapperIZN2at6native12_GLOBAL__N_124unique_dim_cuda_templateIbEESt5tupleIJNSF_6TensorESK_SK_EERKSK_lbbbEUlllE0_EEPmJS9_EEE10hipError_tPvRmT3_T4_T5_T6_T7_T9_mT8_P12ihipStream_tbDpT10_ENKUlT_T0_E_clISt17integral_constantIbLb0EES19_IbLb1EEEEDaS15_S16_EUlS15_E_NS1_11comp_targetILNS1_3genE5ELNS1_11target_archE942ELNS1_3gpuE9ELNS1_3repE0EEENS1_30default_config_static_selectorELNS0_4arch9wavefront6targetE1EEEvT1_
    .private_segment_fixed_size: 0
    .sgpr_count:     4
    .sgpr_spill_count: 0
    .symbol:         _ZN7rocprim17ROCPRIM_400000_NS6detail17trampoline_kernelINS0_14default_configENS1_25partition_config_selectorILNS1_17partition_subalgoE9EllbEEZZNS1_14partition_implILS5_9ELb0ES3_jPlS8_PNS0_10empty_typeENS0_5tupleIJS8_S9_EEENSB_IJS8_SA_EEENS0_18inequality_wrapperIZN2at6native12_GLOBAL__N_124unique_dim_cuda_templateIbEESt5tupleIJNSF_6TensorESK_SK_EERKSK_lbbbEUlllE0_EEPmJS9_EEE10hipError_tPvRmT3_T4_T5_T6_T7_T9_mT8_P12ihipStream_tbDpT10_ENKUlT_T0_E_clISt17integral_constantIbLb0EES19_IbLb1EEEEDaS15_S16_EUlS15_E_NS1_11comp_targetILNS1_3genE5ELNS1_11target_archE942ELNS1_3gpuE9ELNS1_3repE0EEENS1_30default_config_static_selectorELNS0_4arch9wavefront6targetE1EEEvT1_.kd
    .uniform_work_group_size: 1
    .uses_dynamic_stack: false
    .vgpr_count:     0
    .vgpr_spill_count: 0
    .wavefront_size: 64
  - .agpr_count:     0
    .args:
      - .offset:         0
        .size:           136
        .value_kind:     by_value
    .group_segment_fixed_size: 4236
    .kernarg_segment_align: 8
    .kernarg_segment_size: 136
    .language:       OpenCL C
    .language_version:
      - 2
      - 0
    .max_flat_workgroup_size: 128
    .name:           _ZN7rocprim17ROCPRIM_400000_NS6detail17trampoline_kernelINS0_14default_configENS1_25partition_config_selectorILNS1_17partition_subalgoE9EllbEEZZNS1_14partition_implILS5_9ELb0ES3_jPlS8_PNS0_10empty_typeENS0_5tupleIJS8_S9_EEENSB_IJS8_SA_EEENS0_18inequality_wrapperIZN2at6native12_GLOBAL__N_124unique_dim_cuda_templateIbEESt5tupleIJNSF_6TensorESK_SK_EERKSK_lbbbEUlllE0_EEPmJS9_EEE10hipError_tPvRmT3_T4_T5_T6_T7_T9_mT8_P12ihipStream_tbDpT10_ENKUlT_T0_E_clISt17integral_constantIbLb0EES19_IbLb1EEEEDaS15_S16_EUlS15_E_NS1_11comp_targetILNS1_3genE4ELNS1_11target_archE910ELNS1_3gpuE8ELNS1_3repE0EEENS1_30default_config_static_selectorELNS0_4arch9wavefront6targetE1EEEvT1_
    .private_segment_fixed_size: 0
    .sgpr_count:     56
    .sgpr_spill_count: 0
    .symbol:         _ZN7rocprim17ROCPRIM_400000_NS6detail17trampoline_kernelINS0_14default_configENS1_25partition_config_selectorILNS1_17partition_subalgoE9EllbEEZZNS1_14partition_implILS5_9ELb0ES3_jPlS8_PNS0_10empty_typeENS0_5tupleIJS8_S9_EEENSB_IJS8_SA_EEENS0_18inequality_wrapperIZN2at6native12_GLOBAL__N_124unique_dim_cuda_templateIbEESt5tupleIJNSF_6TensorESK_SK_EERKSK_lbbbEUlllE0_EEPmJS9_EEE10hipError_tPvRmT3_T4_T5_T6_T7_T9_mT8_P12ihipStream_tbDpT10_ENKUlT_T0_E_clISt17integral_constantIbLb0EES19_IbLb1EEEEDaS15_S16_EUlS15_E_NS1_11comp_targetILNS1_3genE4ELNS1_11target_archE910ELNS1_3gpuE8ELNS1_3repE0EEENS1_30default_config_static_selectorELNS0_4arch9wavefront6targetE1EEEvT1_.kd
    .uniform_work_group_size: 1
    .uses_dynamic_stack: false
    .vgpr_count:     50
    .vgpr_spill_count: 0
    .wavefront_size: 64
  - .agpr_count:     0
    .args:
      - .offset:         0
        .size:           136
        .value_kind:     by_value
    .group_segment_fixed_size: 0
    .kernarg_segment_align: 8
    .kernarg_segment_size: 136
    .language:       OpenCL C
    .language_version:
      - 2
      - 0
    .max_flat_workgroup_size: 128
    .name:           _ZN7rocprim17ROCPRIM_400000_NS6detail17trampoline_kernelINS0_14default_configENS1_25partition_config_selectorILNS1_17partition_subalgoE9EllbEEZZNS1_14partition_implILS5_9ELb0ES3_jPlS8_PNS0_10empty_typeENS0_5tupleIJS8_S9_EEENSB_IJS8_SA_EEENS0_18inequality_wrapperIZN2at6native12_GLOBAL__N_124unique_dim_cuda_templateIbEESt5tupleIJNSF_6TensorESK_SK_EERKSK_lbbbEUlllE0_EEPmJS9_EEE10hipError_tPvRmT3_T4_T5_T6_T7_T9_mT8_P12ihipStream_tbDpT10_ENKUlT_T0_E_clISt17integral_constantIbLb0EES19_IbLb1EEEEDaS15_S16_EUlS15_E_NS1_11comp_targetILNS1_3genE3ELNS1_11target_archE908ELNS1_3gpuE7ELNS1_3repE0EEENS1_30default_config_static_selectorELNS0_4arch9wavefront6targetE1EEEvT1_
    .private_segment_fixed_size: 0
    .sgpr_count:     4
    .sgpr_spill_count: 0
    .symbol:         _ZN7rocprim17ROCPRIM_400000_NS6detail17trampoline_kernelINS0_14default_configENS1_25partition_config_selectorILNS1_17partition_subalgoE9EllbEEZZNS1_14partition_implILS5_9ELb0ES3_jPlS8_PNS0_10empty_typeENS0_5tupleIJS8_S9_EEENSB_IJS8_SA_EEENS0_18inequality_wrapperIZN2at6native12_GLOBAL__N_124unique_dim_cuda_templateIbEESt5tupleIJNSF_6TensorESK_SK_EERKSK_lbbbEUlllE0_EEPmJS9_EEE10hipError_tPvRmT3_T4_T5_T6_T7_T9_mT8_P12ihipStream_tbDpT10_ENKUlT_T0_E_clISt17integral_constantIbLb0EES19_IbLb1EEEEDaS15_S16_EUlS15_E_NS1_11comp_targetILNS1_3genE3ELNS1_11target_archE908ELNS1_3gpuE7ELNS1_3repE0EEENS1_30default_config_static_selectorELNS0_4arch9wavefront6targetE1EEEvT1_.kd
    .uniform_work_group_size: 1
    .uses_dynamic_stack: false
    .vgpr_count:     0
    .vgpr_spill_count: 0
    .wavefront_size: 64
  - .agpr_count:     0
    .args:
      - .offset:         0
        .size:           136
        .value_kind:     by_value
    .group_segment_fixed_size: 0
    .kernarg_segment_align: 8
    .kernarg_segment_size: 136
    .language:       OpenCL C
    .language_version:
      - 2
      - 0
    .max_flat_workgroup_size: 192
    .name:           _ZN7rocprim17ROCPRIM_400000_NS6detail17trampoline_kernelINS0_14default_configENS1_25partition_config_selectorILNS1_17partition_subalgoE9EllbEEZZNS1_14partition_implILS5_9ELb0ES3_jPlS8_PNS0_10empty_typeENS0_5tupleIJS8_S9_EEENSB_IJS8_SA_EEENS0_18inequality_wrapperIZN2at6native12_GLOBAL__N_124unique_dim_cuda_templateIbEESt5tupleIJNSF_6TensorESK_SK_EERKSK_lbbbEUlllE0_EEPmJS9_EEE10hipError_tPvRmT3_T4_T5_T6_T7_T9_mT8_P12ihipStream_tbDpT10_ENKUlT_T0_E_clISt17integral_constantIbLb0EES19_IbLb1EEEEDaS15_S16_EUlS15_E_NS1_11comp_targetILNS1_3genE2ELNS1_11target_archE906ELNS1_3gpuE6ELNS1_3repE0EEENS1_30default_config_static_selectorELNS0_4arch9wavefront6targetE1EEEvT1_
    .private_segment_fixed_size: 0
    .sgpr_count:     4
    .sgpr_spill_count: 0
    .symbol:         _ZN7rocprim17ROCPRIM_400000_NS6detail17trampoline_kernelINS0_14default_configENS1_25partition_config_selectorILNS1_17partition_subalgoE9EllbEEZZNS1_14partition_implILS5_9ELb0ES3_jPlS8_PNS0_10empty_typeENS0_5tupleIJS8_S9_EEENSB_IJS8_SA_EEENS0_18inequality_wrapperIZN2at6native12_GLOBAL__N_124unique_dim_cuda_templateIbEESt5tupleIJNSF_6TensorESK_SK_EERKSK_lbbbEUlllE0_EEPmJS9_EEE10hipError_tPvRmT3_T4_T5_T6_T7_T9_mT8_P12ihipStream_tbDpT10_ENKUlT_T0_E_clISt17integral_constantIbLb0EES19_IbLb1EEEEDaS15_S16_EUlS15_E_NS1_11comp_targetILNS1_3genE2ELNS1_11target_archE906ELNS1_3gpuE6ELNS1_3repE0EEENS1_30default_config_static_selectorELNS0_4arch9wavefront6targetE1EEEvT1_.kd
    .uniform_work_group_size: 1
    .uses_dynamic_stack: false
    .vgpr_count:     0
    .vgpr_spill_count: 0
    .wavefront_size: 64
  - .agpr_count:     0
    .args:
      - .offset:         0
        .size:           136
        .value_kind:     by_value
    .group_segment_fixed_size: 0
    .kernarg_segment_align: 8
    .kernarg_segment_size: 136
    .language:       OpenCL C
    .language_version:
      - 2
      - 0
    .max_flat_workgroup_size: 384
    .name:           _ZN7rocprim17ROCPRIM_400000_NS6detail17trampoline_kernelINS0_14default_configENS1_25partition_config_selectorILNS1_17partition_subalgoE9EllbEEZZNS1_14partition_implILS5_9ELb0ES3_jPlS8_PNS0_10empty_typeENS0_5tupleIJS8_S9_EEENSB_IJS8_SA_EEENS0_18inequality_wrapperIZN2at6native12_GLOBAL__N_124unique_dim_cuda_templateIbEESt5tupleIJNSF_6TensorESK_SK_EERKSK_lbbbEUlllE0_EEPmJS9_EEE10hipError_tPvRmT3_T4_T5_T6_T7_T9_mT8_P12ihipStream_tbDpT10_ENKUlT_T0_E_clISt17integral_constantIbLb0EES19_IbLb1EEEEDaS15_S16_EUlS15_E_NS1_11comp_targetILNS1_3genE10ELNS1_11target_archE1200ELNS1_3gpuE4ELNS1_3repE0EEENS1_30default_config_static_selectorELNS0_4arch9wavefront6targetE1EEEvT1_
    .private_segment_fixed_size: 0
    .sgpr_count:     4
    .sgpr_spill_count: 0
    .symbol:         _ZN7rocprim17ROCPRIM_400000_NS6detail17trampoline_kernelINS0_14default_configENS1_25partition_config_selectorILNS1_17partition_subalgoE9EllbEEZZNS1_14partition_implILS5_9ELb0ES3_jPlS8_PNS0_10empty_typeENS0_5tupleIJS8_S9_EEENSB_IJS8_SA_EEENS0_18inequality_wrapperIZN2at6native12_GLOBAL__N_124unique_dim_cuda_templateIbEESt5tupleIJNSF_6TensorESK_SK_EERKSK_lbbbEUlllE0_EEPmJS9_EEE10hipError_tPvRmT3_T4_T5_T6_T7_T9_mT8_P12ihipStream_tbDpT10_ENKUlT_T0_E_clISt17integral_constantIbLb0EES19_IbLb1EEEEDaS15_S16_EUlS15_E_NS1_11comp_targetILNS1_3genE10ELNS1_11target_archE1200ELNS1_3gpuE4ELNS1_3repE0EEENS1_30default_config_static_selectorELNS0_4arch9wavefront6targetE1EEEvT1_.kd
    .uniform_work_group_size: 1
    .uses_dynamic_stack: false
    .vgpr_count:     0
    .vgpr_spill_count: 0
    .wavefront_size: 64
  - .agpr_count:     0
    .args:
      - .offset:         0
        .size:           136
        .value_kind:     by_value
    .group_segment_fixed_size: 0
    .kernarg_segment_align: 8
    .kernarg_segment_size: 136
    .language:       OpenCL C
    .language_version:
      - 2
      - 0
    .max_flat_workgroup_size: 512
    .name:           _ZN7rocprim17ROCPRIM_400000_NS6detail17trampoline_kernelINS0_14default_configENS1_25partition_config_selectorILNS1_17partition_subalgoE9EllbEEZZNS1_14partition_implILS5_9ELb0ES3_jPlS8_PNS0_10empty_typeENS0_5tupleIJS8_S9_EEENSB_IJS8_SA_EEENS0_18inequality_wrapperIZN2at6native12_GLOBAL__N_124unique_dim_cuda_templateIbEESt5tupleIJNSF_6TensorESK_SK_EERKSK_lbbbEUlllE0_EEPmJS9_EEE10hipError_tPvRmT3_T4_T5_T6_T7_T9_mT8_P12ihipStream_tbDpT10_ENKUlT_T0_E_clISt17integral_constantIbLb0EES19_IbLb1EEEEDaS15_S16_EUlS15_E_NS1_11comp_targetILNS1_3genE9ELNS1_11target_archE1100ELNS1_3gpuE3ELNS1_3repE0EEENS1_30default_config_static_selectorELNS0_4arch9wavefront6targetE1EEEvT1_
    .private_segment_fixed_size: 0
    .sgpr_count:     4
    .sgpr_spill_count: 0
    .symbol:         _ZN7rocprim17ROCPRIM_400000_NS6detail17trampoline_kernelINS0_14default_configENS1_25partition_config_selectorILNS1_17partition_subalgoE9EllbEEZZNS1_14partition_implILS5_9ELb0ES3_jPlS8_PNS0_10empty_typeENS0_5tupleIJS8_S9_EEENSB_IJS8_SA_EEENS0_18inequality_wrapperIZN2at6native12_GLOBAL__N_124unique_dim_cuda_templateIbEESt5tupleIJNSF_6TensorESK_SK_EERKSK_lbbbEUlllE0_EEPmJS9_EEE10hipError_tPvRmT3_T4_T5_T6_T7_T9_mT8_P12ihipStream_tbDpT10_ENKUlT_T0_E_clISt17integral_constantIbLb0EES19_IbLb1EEEEDaS15_S16_EUlS15_E_NS1_11comp_targetILNS1_3genE9ELNS1_11target_archE1100ELNS1_3gpuE3ELNS1_3repE0EEENS1_30default_config_static_selectorELNS0_4arch9wavefront6targetE1EEEvT1_.kd
    .uniform_work_group_size: 1
    .uses_dynamic_stack: false
    .vgpr_count:     0
    .vgpr_spill_count: 0
    .wavefront_size: 64
  - .agpr_count:     0
    .args:
      - .offset:         0
        .size:           136
        .value_kind:     by_value
    .group_segment_fixed_size: 0
    .kernarg_segment_align: 8
    .kernarg_segment_size: 136
    .language:       OpenCL C
    .language_version:
      - 2
      - 0
    .max_flat_workgroup_size: 512
    .name:           _ZN7rocprim17ROCPRIM_400000_NS6detail17trampoline_kernelINS0_14default_configENS1_25partition_config_selectorILNS1_17partition_subalgoE9EllbEEZZNS1_14partition_implILS5_9ELb0ES3_jPlS8_PNS0_10empty_typeENS0_5tupleIJS8_S9_EEENSB_IJS8_SA_EEENS0_18inequality_wrapperIZN2at6native12_GLOBAL__N_124unique_dim_cuda_templateIbEESt5tupleIJNSF_6TensorESK_SK_EERKSK_lbbbEUlllE0_EEPmJS9_EEE10hipError_tPvRmT3_T4_T5_T6_T7_T9_mT8_P12ihipStream_tbDpT10_ENKUlT_T0_E_clISt17integral_constantIbLb0EES19_IbLb1EEEEDaS15_S16_EUlS15_E_NS1_11comp_targetILNS1_3genE8ELNS1_11target_archE1030ELNS1_3gpuE2ELNS1_3repE0EEENS1_30default_config_static_selectorELNS0_4arch9wavefront6targetE1EEEvT1_
    .private_segment_fixed_size: 0
    .sgpr_count:     4
    .sgpr_spill_count: 0
    .symbol:         _ZN7rocprim17ROCPRIM_400000_NS6detail17trampoline_kernelINS0_14default_configENS1_25partition_config_selectorILNS1_17partition_subalgoE9EllbEEZZNS1_14partition_implILS5_9ELb0ES3_jPlS8_PNS0_10empty_typeENS0_5tupleIJS8_S9_EEENSB_IJS8_SA_EEENS0_18inequality_wrapperIZN2at6native12_GLOBAL__N_124unique_dim_cuda_templateIbEESt5tupleIJNSF_6TensorESK_SK_EERKSK_lbbbEUlllE0_EEPmJS9_EEE10hipError_tPvRmT3_T4_T5_T6_T7_T9_mT8_P12ihipStream_tbDpT10_ENKUlT_T0_E_clISt17integral_constantIbLb0EES19_IbLb1EEEEDaS15_S16_EUlS15_E_NS1_11comp_targetILNS1_3genE8ELNS1_11target_archE1030ELNS1_3gpuE2ELNS1_3repE0EEENS1_30default_config_static_selectorELNS0_4arch9wavefront6targetE1EEEvT1_.kd
    .uniform_work_group_size: 1
    .uses_dynamic_stack: false
    .vgpr_count:     0
    .vgpr_spill_count: 0
    .wavefront_size: 64
  - .agpr_count:     0
    .args:
      - .offset:         0
        .size:           72
        .value_kind:     by_value
    .group_segment_fixed_size: 0
    .kernarg_segment_align: 8
    .kernarg_segment_size: 72
    .language:       OpenCL C
    .language_version:
      - 2
      - 0
    .max_flat_workgroup_size: 256
    .name:           _ZN7rocprim17ROCPRIM_400000_NS6detail17trampoline_kernelINS0_14default_configENS1_37merge_sort_block_sort_config_selectorIlNS0_10empty_typeEEEZNS1_21merge_sort_block_sortIS3_PlS8_PS5_S9_ZN2at6native12_GLOBAL__N_124unique_dim_cuda_templateIN3c108BFloat16EEESt5tupleIJNSA_6TensorESH_SH_EERKSH_lbbbEUlllE_EE10hipError_tT0_T1_T2_T3_mRjT4_P12ihipStream_tbNS1_7vsmem_tEEUlT_E_NS1_11comp_targetILNS1_3genE0ELNS1_11target_archE4294967295ELNS1_3gpuE0ELNS1_3repE0EEENS1_30default_config_static_selectorELNS0_4arch9wavefront6targetE1EEEvSO_
    .private_segment_fixed_size: 0
    .sgpr_count:     4
    .sgpr_spill_count: 0
    .symbol:         _ZN7rocprim17ROCPRIM_400000_NS6detail17trampoline_kernelINS0_14default_configENS1_37merge_sort_block_sort_config_selectorIlNS0_10empty_typeEEEZNS1_21merge_sort_block_sortIS3_PlS8_PS5_S9_ZN2at6native12_GLOBAL__N_124unique_dim_cuda_templateIN3c108BFloat16EEESt5tupleIJNSA_6TensorESH_SH_EERKSH_lbbbEUlllE_EE10hipError_tT0_T1_T2_T3_mRjT4_P12ihipStream_tbNS1_7vsmem_tEEUlT_E_NS1_11comp_targetILNS1_3genE0ELNS1_11target_archE4294967295ELNS1_3gpuE0ELNS1_3repE0EEENS1_30default_config_static_selectorELNS0_4arch9wavefront6targetE1EEEvSO_.kd
    .uniform_work_group_size: 1
    .uses_dynamic_stack: false
    .vgpr_count:     0
    .vgpr_spill_count: 0
    .wavefront_size: 64
  - .agpr_count:     0
    .args:
      - .offset:         0
        .size:           72
        .value_kind:     by_value
    .group_segment_fixed_size: 0
    .kernarg_segment_align: 8
    .kernarg_segment_size: 72
    .language:       OpenCL C
    .language_version:
      - 2
      - 0
    .max_flat_workgroup_size: 256
    .name:           _ZN7rocprim17ROCPRIM_400000_NS6detail17trampoline_kernelINS0_14default_configENS1_37merge_sort_block_sort_config_selectorIlNS0_10empty_typeEEEZNS1_21merge_sort_block_sortIS3_PlS8_PS5_S9_ZN2at6native12_GLOBAL__N_124unique_dim_cuda_templateIN3c108BFloat16EEESt5tupleIJNSA_6TensorESH_SH_EERKSH_lbbbEUlllE_EE10hipError_tT0_T1_T2_T3_mRjT4_P12ihipStream_tbNS1_7vsmem_tEEUlT_E_NS1_11comp_targetILNS1_3genE5ELNS1_11target_archE942ELNS1_3gpuE9ELNS1_3repE0EEENS1_30default_config_static_selectorELNS0_4arch9wavefront6targetE1EEEvSO_
    .private_segment_fixed_size: 0
    .sgpr_count:     4
    .sgpr_spill_count: 0
    .symbol:         _ZN7rocprim17ROCPRIM_400000_NS6detail17trampoline_kernelINS0_14default_configENS1_37merge_sort_block_sort_config_selectorIlNS0_10empty_typeEEEZNS1_21merge_sort_block_sortIS3_PlS8_PS5_S9_ZN2at6native12_GLOBAL__N_124unique_dim_cuda_templateIN3c108BFloat16EEESt5tupleIJNSA_6TensorESH_SH_EERKSH_lbbbEUlllE_EE10hipError_tT0_T1_T2_T3_mRjT4_P12ihipStream_tbNS1_7vsmem_tEEUlT_E_NS1_11comp_targetILNS1_3genE5ELNS1_11target_archE942ELNS1_3gpuE9ELNS1_3repE0EEENS1_30default_config_static_selectorELNS0_4arch9wavefront6targetE1EEEvSO_.kd
    .uniform_work_group_size: 1
    .uses_dynamic_stack: false
    .vgpr_count:     0
    .vgpr_spill_count: 0
    .wavefront_size: 64
  - .agpr_count:     0
    .args:
      - .offset:         0
        .size:           72
        .value_kind:     by_value
      - .offset:         72
        .size:           4
        .value_kind:     hidden_block_count_x
      - .offset:         76
        .size:           4
        .value_kind:     hidden_block_count_y
      - .offset:         80
        .size:           4
        .value_kind:     hidden_block_count_z
      - .offset:         84
        .size:           2
        .value_kind:     hidden_group_size_x
      - .offset:         86
        .size:           2
        .value_kind:     hidden_group_size_y
      - .offset:         88
        .size:           2
        .value_kind:     hidden_group_size_z
      - .offset:         90
        .size:           2
        .value_kind:     hidden_remainder_x
      - .offset:         92
        .size:           2
        .value_kind:     hidden_remainder_y
      - .offset:         94
        .size:           2
        .value_kind:     hidden_remainder_z
      - .offset:         112
        .size:           8
        .value_kind:     hidden_global_offset_x
      - .offset:         120
        .size:           8
        .value_kind:     hidden_global_offset_y
      - .offset:         128
        .size:           8
        .value_kind:     hidden_global_offset_z
      - .offset:         136
        .size:           2
        .value_kind:     hidden_grid_dims
    .group_segment_fixed_size: 8448
    .kernarg_segment_align: 8
    .kernarg_segment_size: 328
    .language:       OpenCL C
    .language_version:
      - 2
      - 0
    .max_flat_workgroup_size: 256
    .name:           _ZN7rocprim17ROCPRIM_400000_NS6detail17trampoline_kernelINS0_14default_configENS1_37merge_sort_block_sort_config_selectorIlNS0_10empty_typeEEEZNS1_21merge_sort_block_sortIS3_PlS8_PS5_S9_ZN2at6native12_GLOBAL__N_124unique_dim_cuda_templateIN3c108BFloat16EEESt5tupleIJNSA_6TensorESH_SH_EERKSH_lbbbEUlllE_EE10hipError_tT0_T1_T2_T3_mRjT4_P12ihipStream_tbNS1_7vsmem_tEEUlT_E_NS1_11comp_targetILNS1_3genE4ELNS1_11target_archE910ELNS1_3gpuE8ELNS1_3repE0EEENS1_30default_config_static_selectorELNS0_4arch9wavefront6targetE1EEEvSO_
    .private_segment_fixed_size: 0
    .sgpr_count:     59
    .sgpr_spill_count: 0
    .symbol:         _ZN7rocprim17ROCPRIM_400000_NS6detail17trampoline_kernelINS0_14default_configENS1_37merge_sort_block_sort_config_selectorIlNS0_10empty_typeEEEZNS1_21merge_sort_block_sortIS3_PlS8_PS5_S9_ZN2at6native12_GLOBAL__N_124unique_dim_cuda_templateIN3c108BFloat16EEESt5tupleIJNSA_6TensorESH_SH_EERKSH_lbbbEUlllE_EE10hipError_tT0_T1_T2_T3_mRjT4_P12ihipStream_tbNS1_7vsmem_tEEUlT_E_NS1_11comp_targetILNS1_3genE4ELNS1_11target_archE910ELNS1_3gpuE8ELNS1_3repE0EEENS1_30default_config_static_selectorELNS0_4arch9wavefront6targetE1EEEvSO_.kd
    .uniform_work_group_size: 1
    .uses_dynamic_stack: false
    .vgpr_count:     42
    .vgpr_spill_count: 0
    .wavefront_size: 64
  - .agpr_count:     0
    .args:
      - .offset:         0
        .size:           72
        .value_kind:     by_value
    .group_segment_fixed_size: 0
    .kernarg_segment_align: 8
    .kernarg_segment_size: 72
    .language:       OpenCL C
    .language_version:
      - 2
      - 0
    .max_flat_workgroup_size: 256
    .name:           _ZN7rocprim17ROCPRIM_400000_NS6detail17trampoline_kernelINS0_14default_configENS1_37merge_sort_block_sort_config_selectorIlNS0_10empty_typeEEEZNS1_21merge_sort_block_sortIS3_PlS8_PS5_S9_ZN2at6native12_GLOBAL__N_124unique_dim_cuda_templateIN3c108BFloat16EEESt5tupleIJNSA_6TensorESH_SH_EERKSH_lbbbEUlllE_EE10hipError_tT0_T1_T2_T3_mRjT4_P12ihipStream_tbNS1_7vsmem_tEEUlT_E_NS1_11comp_targetILNS1_3genE3ELNS1_11target_archE908ELNS1_3gpuE7ELNS1_3repE0EEENS1_30default_config_static_selectorELNS0_4arch9wavefront6targetE1EEEvSO_
    .private_segment_fixed_size: 0
    .sgpr_count:     4
    .sgpr_spill_count: 0
    .symbol:         _ZN7rocprim17ROCPRIM_400000_NS6detail17trampoline_kernelINS0_14default_configENS1_37merge_sort_block_sort_config_selectorIlNS0_10empty_typeEEEZNS1_21merge_sort_block_sortIS3_PlS8_PS5_S9_ZN2at6native12_GLOBAL__N_124unique_dim_cuda_templateIN3c108BFloat16EEESt5tupleIJNSA_6TensorESH_SH_EERKSH_lbbbEUlllE_EE10hipError_tT0_T1_T2_T3_mRjT4_P12ihipStream_tbNS1_7vsmem_tEEUlT_E_NS1_11comp_targetILNS1_3genE3ELNS1_11target_archE908ELNS1_3gpuE7ELNS1_3repE0EEENS1_30default_config_static_selectorELNS0_4arch9wavefront6targetE1EEEvSO_.kd
    .uniform_work_group_size: 1
    .uses_dynamic_stack: false
    .vgpr_count:     0
    .vgpr_spill_count: 0
    .wavefront_size: 64
  - .agpr_count:     0
    .args:
      - .offset:         0
        .size:           72
        .value_kind:     by_value
    .group_segment_fixed_size: 0
    .kernarg_segment_align: 8
    .kernarg_segment_size: 72
    .language:       OpenCL C
    .language_version:
      - 2
      - 0
    .max_flat_workgroup_size: 256
    .name:           _ZN7rocprim17ROCPRIM_400000_NS6detail17trampoline_kernelINS0_14default_configENS1_37merge_sort_block_sort_config_selectorIlNS0_10empty_typeEEEZNS1_21merge_sort_block_sortIS3_PlS8_PS5_S9_ZN2at6native12_GLOBAL__N_124unique_dim_cuda_templateIN3c108BFloat16EEESt5tupleIJNSA_6TensorESH_SH_EERKSH_lbbbEUlllE_EE10hipError_tT0_T1_T2_T3_mRjT4_P12ihipStream_tbNS1_7vsmem_tEEUlT_E_NS1_11comp_targetILNS1_3genE2ELNS1_11target_archE906ELNS1_3gpuE6ELNS1_3repE0EEENS1_30default_config_static_selectorELNS0_4arch9wavefront6targetE1EEEvSO_
    .private_segment_fixed_size: 0
    .sgpr_count:     4
    .sgpr_spill_count: 0
    .symbol:         _ZN7rocprim17ROCPRIM_400000_NS6detail17trampoline_kernelINS0_14default_configENS1_37merge_sort_block_sort_config_selectorIlNS0_10empty_typeEEEZNS1_21merge_sort_block_sortIS3_PlS8_PS5_S9_ZN2at6native12_GLOBAL__N_124unique_dim_cuda_templateIN3c108BFloat16EEESt5tupleIJNSA_6TensorESH_SH_EERKSH_lbbbEUlllE_EE10hipError_tT0_T1_T2_T3_mRjT4_P12ihipStream_tbNS1_7vsmem_tEEUlT_E_NS1_11comp_targetILNS1_3genE2ELNS1_11target_archE906ELNS1_3gpuE6ELNS1_3repE0EEENS1_30default_config_static_selectorELNS0_4arch9wavefront6targetE1EEEvSO_.kd
    .uniform_work_group_size: 1
    .uses_dynamic_stack: false
    .vgpr_count:     0
    .vgpr_spill_count: 0
    .wavefront_size: 64
  - .agpr_count:     0
    .args:
      - .offset:         0
        .size:           72
        .value_kind:     by_value
    .group_segment_fixed_size: 0
    .kernarg_segment_align: 8
    .kernarg_segment_size: 72
    .language:       OpenCL C
    .language_version:
      - 2
      - 0
    .max_flat_workgroup_size: 256
    .name:           _ZN7rocprim17ROCPRIM_400000_NS6detail17trampoline_kernelINS0_14default_configENS1_37merge_sort_block_sort_config_selectorIlNS0_10empty_typeEEEZNS1_21merge_sort_block_sortIS3_PlS8_PS5_S9_ZN2at6native12_GLOBAL__N_124unique_dim_cuda_templateIN3c108BFloat16EEESt5tupleIJNSA_6TensorESH_SH_EERKSH_lbbbEUlllE_EE10hipError_tT0_T1_T2_T3_mRjT4_P12ihipStream_tbNS1_7vsmem_tEEUlT_E_NS1_11comp_targetILNS1_3genE10ELNS1_11target_archE1201ELNS1_3gpuE5ELNS1_3repE0EEENS1_30default_config_static_selectorELNS0_4arch9wavefront6targetE1EEEvSO_
    .private_segment_fixed_size: 0
    .sgpr_count:     4
    .sgpr_spill_count: 0
    .symbol:         _ZN7rocprim17ROCPRIM_400000_NS6detail17trampoline_kernelINS0_14default_configENS1_37merge_sort_block_sort_config_selectorIlNS0_10empty_typeEEEZNS1_21merge_sort_block_sortIS3_PlS8_PS5_S9_ZN2at6native12_GLOBAL__N_124unique_dim_cuda_templateIN3c108BFloat16EEESt5tupleIJNSA_6TensorESH_SH_EERKSH_lbbbEUlllE_EE10hipError_tT0_T1_T2_T3_mRjT4_P12ihipStream_tbNS1_7vsmem_tEEUlT_E_NS1_11comp_targetILNS1_3genE10ELNS1_11target_archE1201ELNS1_3gpuE5ELNS1_3repE0EEENS1_30default_config_static_selectorELNS0_4arch9wavefront6targetE1EEEvSO_.kd
    .uniform_work_group_size: 1
    .uses_dynamic_stack: false
    .vgpr_count:     0
    .vgpr_spill_count: 0
    .wavefront_size: 64
  - .agpr_count:     0
    .args:
      - .offset:         0
        .size:           72
        .value_kind:     by_value
    .group_segment_fixed_size: 0
    .kernarg_segment_align: 8
    .kernarg_segment_size: 72
    .language:       OpenCL C
    .language_version:
      - 2
      - 0
    .max_flat_workgroup_size: 512
    .name:           _ZN7rocprim17ROCPRIM_400000_NS6detail17trampoline_kernelINS0_14default_configENS1_37merge_sort_block_sort_config_selectorIlNS0_10empty_typeEEEZNS1_21merge_sort_block_sortIS3_PlS8_PS5_S9_ZN2at6native12_GLOBAL__N_124unique_dim_cuda_templateIN3c108BFloat16EEESt5tupleIJNSA_6TensorESH_SH_EERKSH_lbbbEUlllE_EE10hipError_tT0_T1_T2_T3_mRjT4_P12ihipStream_tbNS1_7vsmem_tEEUlT_E_NS1_11comp_targetILNS1_3genE10ELNS1_11target_archE1200ELNS1_3gpuE4ELNS1_3repE0EEENS1_30default_config_static_selectorELNS0_4arch9wavefront6targetE1EEEvSO_
    .private_segment_fixed_size: 0
    .sgpr_count:     4
    .sgpr_spill_count: 0
    .symbol:         _ZN7rocprim17ROCPRIM_400000_NS6detail17trampoline_kernelINS0_14default_configENS1_37merge_sort_block_sort_config_selectorIlNS0_10empty_typeEEEZNS1_21merge_sort_block_sortIS3_PlS8_PS5_S9_ZN2at6native12_GLOBAL__N_124unique_dim_cuda_templateIN3c108BFloat16EEESt5tupleIJNSA_6TensorESH_SH_EERKSH_lbbbEUlllE_EE10hipError_tT0_T1_T2_T3_mRjT4_P12ihipStream_tbNS1_7vsmem_tEEUlT_E_NS1_11comp_targetILNS1_3genE10ELNS1_11target_archE1200ELNS1_3gpuE4ELNS1_3repE0EEENS1_30default_config_static_selectorELNS0_4arch9wavefront6targetE1EEEvSO_.kd
    .uniform_work_group_size: 1
    .uses_dynamic_stack: false
    .vgpr_count:     0
    .vgpr_spill_count: 0
    .wavefront_size: 64
  - .agpr_count:     0
    .args:
      - .offset:         0
        .size:           72
        .value_kind:     by_value
    .group_segment_fixed_size: 0
    .kernarg_segment_align: 8
    .kernarg_segment_size: 72
    .language:       OpenCL C
    .language_version:
      - 2
      - 0
    .max_flat_workgroup_size: 256
    .name:           _ZN7rocprim17ROCPRIM_400000_NS6detail17trampoline_kernelINS0_14default_configENS1_37merge_sort_block_sort_config_selectorIlNS0_10empty_typeEEEZNS1_21merge_sort_block_sortIS3_PlS8_PS5_S9_ZN2at6native12_GLOBAL__N_124unique_dim_cuda_templateIN3c108BFloat16EEESt5tupleIJNSA_6TensorESH_SH_EERKSH_lbbbEUlllE_EE10hipError_tT0_T1_T2_T3_mRjT4_P12ihipStream_tbNS1_7vsmem_tEEUlT_E_NS1_11comp_targetILNS1_3genE9ELNS1_11target_archE1100ELNS1_3gpuE3ELNS1_3repE0EEENS1_30default_config_static_selectorELNS0_4arch9wavefront6targetE1EEEvSO_
    .private_segment_fixed_size: 0
    .sgpr_count:     4
    .sgpr_spill_count: 0
    .symbol:         _ZN7rocprim17ROCPRIM_400000_NS6detail17trampoline_kernelINS0_14default_configENS1_37merge_sort_block_sort_config_selectorIlNS0_10empty_typeEEEZNS1_21merge_sort_block_sortIS3_PlS8_PS5_S9_ZN2at6native12_GLOBAL__N_124unique_dim_cuda_templateIN3c108BFloat16EEESt5tupleIJNSA_6TensorESH_SH_EERKSH_lbbbEUlllE_EE10hipError_tT0_T1_T2_T3_mRjT4_P12ihipStream_tbNS1_7vsmem_tEEUlT_E_NS1_11comp_targetILNS1_3genE9ELNS1_11target_archE1100ELNS1_3gpuE3ELNS1_3repE0EEENS1_30default_config_static_selectorELNS0_4arch9wavefront6targetE1EEEvSO_.kd
    .uniform_work_group_size: 1
    .uses_dynamic_stack: false
    .vgpr_count:     0
    .vgpr_spill_count: 0
    .wavefront_size: 64
  - .agpr_count:     0
    .args:
      - .offset:         0
        .size:           72
        .value_kind:     by_value
    .group_segment_fixed_size: 0
    .kernarg_segment_align: 8
    .kernarg_segment_size: 72
    .language:       OpenCL C
    .language_version:
      - 2
      - 0
    .max_flat_workgroup_size: 256
    .name:           _ZN7rocprim17ROCPRIM_400000_NS6detail17trampoline_kernelINS0_14default_configENS1_37merge_sort_block_sort_config_selectorIlNS0_10empty_typeEEEZNS1_21merge_sort_block_sortIS3_PlS8_PS5_S9_ZN2at6native12_GLOBAL__N_124unique_dim_cuda_templateIN3c108BFloat16EEESt5tupleIJNSA_6TensorESH_SH_EERKSH_lbbbEUlllE_EE10hipError_tT0_T1_T2_T3_mRjT4_P12ihipStream_tbNS1_7vsmem_tEEUlT_E_NS1_11comp_targetILNS1_3genE8ELNS1_11target_archE1030ELNS1_3gpuE2ELNS1_3repE0EEENS1_30default_config_static_selectorELNS0_4arch9wavefront6targetE1EEEvSO_
    .private_segment_fixed_size: 0
    .sgpr_count:     4
    .sgpr_spill_count: 0
    .symbol:         _ZN7rocprim17ROCPRIM_400000_NS6detail17trampoline_kernelINS0_14default_configENS1_37merge_sort_block_sort_config_selectorIlNS0_10empty_typeEEEZNS1_21merge_sort_block_sortIS3_PlS8_PS5_S9_ZN2at6native12_GLOBAL__N_124unique_dim_cuda_templateIN3c108BFloat16EEESt5tupleIJNSA_6TensorESH_SH_EERKSH_lbbbEUlllE_EE10hipError_tT0_T1_T2_T3_mRjT4_P12ihipStream_tbNS1_7vsmem_tEEUlT_E_NS1_11comp_targetILNS1_3genE8ELNS1_11target_archE1030ELNS1_3gpuE2ELNS1_3repE0EEENS1_30default_config_static_selectorELNS0_4arch9wavefront6targetE1EEEvSO_.kd
    .uniform_work_group_size: 1
    .uses_dynamic_stack: false
    .vgpr_count:     0
    .vgpr_spill_count: 0
    .wavefront_size: 64
  - .agpr_count:     0
    .args:
      - .offset:         0
        .size:           56
        .value_kind:     by_value
    .group_segment_fixed_size: 0
    .kernarg_segment_align: 8
    .kernarg_segment_size: 56
    .language:       OpenCL C
    .language_version:
      - 2
      - 0
    .max_flat_workgroup_size: 128
    .name:           _ZN7rocprim17ROCPRIM_400000_NS6detail17trampoline_kernelINS0_14default_configENS1_38merge_sort_block_merge_config_selectorIlNS0_10empty_typeEEEZZNS1_27merge_sort_block_merge_implIS3_PlPS5_mZN2at6native12_GLOBAL__N_124unique_dim_cuda_templateIN3c108BFloat16EEESt5tupleIJNSA_6TensorESH_SH_EERKSH_lbbbEUlllE_EE10hipError_tT0_T1_T2_jT3_P12ihipStream_tbPNSt15iterator_traitsISN_E10value_typeEPNST_ISO_E10value_typeEPSP_NS1_7vsmem_tEENKUlT_SN_SO_SP_E_clIS8_S8_S9_S9_EESM_S12_SN_SO_SP_EUlS12_E_NS1_11comp_targetILNS1_3genE0ELNS1_11target_archE4294967295ELNS1_3gpuE0ELNS1_3repE0EEENS1_48merge_mergepath_partition_config_static_selectorELNS0_4arch9wavefront6targetE1EEEvSO_
    .private_segment_fixed_size: 0
    .sgpr_count:     4
    .sgpr_spill_count: 0
    .symbol:         _ZN7rocprim17ROCPRIM_400000_NS6detail17trampoline_kernelINS0_14default_configENS1_38merge_sort_block_merge_config_selectorIlNS0_10empty_typeEEEZZNS1_27merge_sort_block_merge_implIS3_PlPS5_mZN2at6native12_GLOBAL__N_124unique_dim_cuda_templateIN3c108BFloat16EEESt5tupleIJNSA_6TensorESH_SH_EERKSH_lbbbEUlllE_EE10hipError_tT0_T1_T2_jT3_P12ihipStream_tbPNSt15iterator_traitsISN_E10value_typeEPNST_ISO_E10value_typeEPSP_NS1_7vsmem_tEENKUlT_SN_SO_SP_E_clIS8_S8_S9_S9_EESM_S12_SN_SO_SP_EUlS12_E_NS1_11comp_targetILNS1_3genE0ELNS1_11target_archE4294967295ELNS1_3gpuE0ELNS1_3repE0EEENS1_48merge_mergepath_partition_config_static_selectorELNS0_4arch9wavefront6targetE1EEEvSO_.kd
    .uniform_work_group_size: 1
    .uses_dynamic_stack: false
    .vgpr_count:     0
    .vgpr_spill_count: 0
    .wavefront_size: 64
  - .agpr_count:     0
    .args:
      - .offset:         0
        .size:           56
        .value_kind:     by_value
    .group_segment_fixed_size: 0
    .kernarg_segment_align: 8
    .kernarg_segment_size: 56
    .language:       OpenCL C
    .language_version:
      - 2
      - 0
    .max_flat_workgroup_size: 128
    .name:           _ZN7rocprim17ROCPRIM_400000_NS6detail17trampoline_kernelINS0_14default_configENS1_38merge_sort_block_merge_config_selectorIlNS0_10empty_typeEEEZZNS1_27merge_sort_block_merge_implIS3_PlPS5_mZN2at6native12_GLOBAL__N_124unique_dim_cuda_templateIN3c108BFloat16EEESt5tupleIJNSA_6TensorESH_SH_EERKSH_lbbbEUlllE_EE10hipError_tT0_T1_T2_jT3_P12ihipStream_tbPNSt15iterator_traitsISN_E10value_typeEPNST_ISO_E10value_typeEPSP_NS1_7vsmem_tEENKUlT_SN_SO_SP_E_clIS8_S8_S9_S9_EESM_S12_SN_SO_SP_EUlS12_E_NS1_11comp_targetILNS1_3genE10ELNS1_11target_archE1201ELNS1_3gpuE5ELNS1_3repE0EEENS1_48merge_mergepath_partition_config_static_selectorELNS0_4arch9wavefront6targetE1EEEvSO_
    .private_segment_fixed_size: 0
    .sgpr_count:     4
    .sgpr_spill_count: 0
    .symbol:         _ZN7rocprim17ROCPRIM_400000_NS6detail17trampoline_kernelINS0_14default_configENS1_38merge_sort_block_merge_config_selectorIlNS0_10empty_typeEEEZZNS1_27merge_sort_block_merge_implIS3_PlPS5_mZN2at6native12_GLOBAL__N_124unique_dim_cuda_templateIN3c108BFloat16EEESt5tupleIJNSA_6TensorESH_SH_EERKSH_lbbbEUlllE_EE10hipError_tT0_T1_T2_jT3_P12ihipStream_tbPNSt15iterator_traitsISN_E10value_typeEPNST_ISO_E10value_typeEPSP_NS1_7vsmem_tEENKUlT_SN_SO_SP_E_clIS8_S8_S9_S9_EESM_S12_SN_SO_SP_EUlS12_E_NS1_11comp_targetILNS1_3genE10ELNS1_11target_archE1201ELNS1_3gpuE5ELNS1_3repE0EEENS1_48merge_mergepath_partition_config_static_selectorELNS0_4arch9wavefront6targetE1EEEvSO_.kd
    .uniform_work_group_size: 1
    .uses_dynamic_stack: false
    .vgpr_count:     0
    .vgpr_spill_count: 0
    .wavefront_size: 64
  - .agpr_count:     0
    .args:
      - .offset:         0
        .size:           56
        .value_kind:     by_value
    .group_segment_fixed_size: 0
    .kernarg_segment_align: 8
    .kernarg_segment_size: 56
    .language:       OpenCL C
    .language_version:
      - 2
      - 0
    .max_flat_workgroup_size: 128
    .name:           _ZN7rocprim17ROCPRIM_400000_NS6detail17trampoline_kernelINS0_14default_configENS1_38merge_sort_block_merge_config_selectorIlNS0_10empty_typeEEEZZNS1_27merge_sort_block_merge_implIS3_PlPS5_mZN2at6native12_GLOBAL__N_124unique_dim_cuda_templateIN3c108BFloat16EEESt5tupleIJNSA_6TensorESH_SH_EERKSH_lbbbEUlllE_EE10hipError_tT0_T1_T2_jT3_P12ihipStream_tbPNSt15iterator_traitsISN_E10value_typeEPNST_ISO_E10value_typeEPSP_NS1_7vsmem_tEENKUlT_SN_SO_SP_E_clIS8_S8_S9_S9_EESM_S12_SN_SO_SP_EUlS12_E_NS1_11comp_targetILNS1_3genE5ELNS1_11target_archE942ELNS1_3gpuE9ELNS1_3repE0EEENS1_48merge_mergepath_partition_config_static_selectorELNS0_4arch9wavefront6targetE1EEEvSO_
    .private_segment_fixed_size: 0
    .sgpr_count:     4
    .sgpr_spill_count: 0
    .symbol:         _ZN7rocprim17ROCPRIM_400000_NS6detail17trampoline_kernelINS0_14default_configENS1_38merge_sort_block_merge_config_selectorIlNS0_10empty_typeEEEZZNS1_27merge_sort_block_merge_implIS3_PlPS5_mZN2at6native12_GLOBAL__N_124unique_dim_cuda_templateIN3c108BFloat16EEESt5tupleIJNSA_6TensorESH_SH_EERKSH_lbbbEUlllE_EE10hipError_tT0_T1_T2_jT3_P12ihipStream_tbPNSt15iterator_traitsISN_E10value_typeEPNST_ISO_E10value_typeEPSP_NS1_7vsmem_tEENKUlT_SN_SO_SP_E_clIS8_S8_S9_S9_EESM_S12_SN_SO_SP_EUlS12_E_NS1_11comp_targetILNS1_3genE5ELNS1_11target_archE942ELNS1_3gpuE9ELNS1_3repE0EEENS1_48merge_mergepath_partition_config_static_selectorELNS0_4arch9wavefront6targetE1EEEvSO_.kd
    .uniform_work_group_size: 1
    .uses_dynamic_stack: false
    .vgpr_count:     0
    .vgpr_spill_count: 0
    .wavefront_size: 64
  - .agpr_count:     0
    .args:
      - .offset:         0
        .size:           56
        .value_kind:     by_value
    .group_segment_fixed_size: 0
    .kernarg_segment_align: 8
    .kernarg_segment_size: 56
    .language:       OpenCL C
    .language_version:
      - 2
      - 0
    .max_flat_workgroup_size: 128
    .name:           _ZN7rocprim17ROCPRIM_400000_NS6detail17trampoline_kernelINS0_14default_configENS1_38merge_sort_block_merge_config_selectorIlNS0_10empty_typeEEEZZNS1_27merge_sort_block_merge_implIS3_PlPS5_mZN2at6native12_GLOBAL__N_124unique_dim_cuda_templateIN3c108BFloat16EEESt5tupleIJNSA_6TensorESH_SH_EERKSH_lbbbEUlllE_EE10hipError_tT0_T1_T2_jT3_P12ihipStream_tbPNSt15iterator_traitsISN_E10value_typeEPNST_ISO_E10value_typeEPSP_NS1_7vsmem_tEENKUlT_SN_SO_SP_E_clIS8_S8_S9_S9_EESM_S12_SN_SO_SP_EUlS12_E_NS1_11comp_targetILNS1_3genE4ELNS1_11target_archE910ELNS1_3gpuE8ELNS1_3repE0EEENS1_48merge_mergepath_partition_config_static_selectorELNS0_4arch9wavefront6targetE1EEEvSO_
    .private_segment_fixed_size: 0
    .sgpr_count:     36
    .sgpr_spill_count: 0
    .symbol:         _ZN7rocprim17ROCPRIM_400000_NS6detail17trampoline_kernelINS0_14default_configENS1_38merge_sort_block_merge_config_selectorIlNS0_10empty_typeEEEZZNS1_27merge_sort_block_merge_implIS3_PlPS5_mZN2at6native12_GLOBAL__N_124unique_dim_cuda_templateIN3c108BFloat16EEESt5tupleIJNSA_6TensorESH_SH_EERKSH_lbbbEUlllE_EE10hipError_tT0_T1_T2_jT3_P12ihipStream_tbPNSt15iterator_traitsISN_E10value_typeEPNST_ISO_E10value_typeEPSP_NS1_7vsmem_tEENKUlT_SN_SO_SP_E_clIS8_S8_S9_S9_EESM_S12_SN_SO_SP_EUlS12_E_NS1_11comp_targetILNS1_3genE4ELNS1_11target_archE910ELNS1_3gpuE8ELNS1_3repE0EEENS1_48merge_mergepath_partition_config_static_selectorELNS0_4arch9wavefront6targetE1EEEvSO_.kd
    .uniform_work_group_size: 1
    .uses_dynamic_stack: false
    .vgpr_count:     23
    .vgpr_spill_count: 0
    .wavefront_size: 64
  - .agpr_count:     0
    .args:
      - .offset:         0
        .size:           56
        .value_kind:     by_value
    .group_segment_fixed_size: 0
    .kernarg_segment_align: 8
    .kernarg_segment_size: 56
    .language:       OpenCL C
    .language_version:
      - 2
      - 0
    .max_flat_workgroup_size: 128
    .name:           _ZN7rocprim17ROCPRIM_400000_NS6detail17trampoline_kernelINS0_14default_configENS1_38merge_sort_block_merge_config_selectorIlNS0_10empty_typeEEEZZNS1_27merge_sort_block_merge_implIS3_PlPS5_mZN2at6native12_GLOBAL__N_124unique_dim_cuda_templateIN3c108BFloat16EEESt5tupleIJNSA_6TensorESH_SH_EERKSH_lbbbEUlllE_EE10hipError_tT0_T1_T2_jT3_P12ihipStream_tbPNSt15iterator_traitsISN_E10value_typeEPNST_ISO_E10value_typeEPSP_NS1_7vsmem_tEENKUlT_SN_SO_SP_E_clIS8_S8_S9_S9_EESM_S12_SN_SO_SP_EUlS12_E_NS1_11comp_targetILNS1_3genE3ELNS1_11target_archE908ELNS1_3gpuE7ELNS1_3repE0EEENS1_48merge_mergepath_partition_config_static_selectorELNS0_4arch9wavefront6targetE1EEEvSO_
    .private_segment_fixed_size: 0
    .sgpr_count:     4
    .sgpr_spill_count: 0
    .symbol:         _ZN7rocprim17ROCPRIM_400000_NS6detail17trampoline_kernelINS0_14default_configENS1_38merge_sort_block_merge_config_selectorIlNS0_10empty_typeEEEZZNS1_27merge_sort_block_merge_implIS3_PlPS5_mZN2at6native12_GLOBAL__N_124unique_dim_cuda_templateIN3c108BFloat16EEESt5tupleIJNSA_6TensorESH_SH_EERKSH_lbbbEUlllE_EE10hipError_tT0_T1_T2_jT3_P12ihipStream_tbPNSt15iterator_traitsISN_E10value_typeEPNST_ISO_E10value_typeEPSP_NS1_7vsmem_tEENKUlT_SN_SO_SP_E_clIS8_S8_S9_S9_EESM_S12_SN_SO_SP_EUlS12_E_NS1_11comp_targetILNS1_3genE3ELNS1_11target_archE908ELNS1_3gpuE7ELNS1_3repE0EEENS1_48merge_mergepath_partition_config_static_selectorELNS0_4arch9wavefront6targetE1EEEvSO_.kd
    .uniform_work_group_size: 1
    .uses_dynamic_stack: false
    .vgpr_count:     0
    .vgpr_spill_count: 0
    .wavefront_size: 64
  - .agpr_count:     0
    .args:
      - .offset:         0
        .size:           56
        .value_kind:     by_value
    .group_segment_fixed_size: 0
    .kernarg_segment_align: 8
    .kernarg_segment_size: 56
    .language:       OpenCL C
    .language_version:
      - 2
      - 0
    .max_flat_workgroup_size: 128
    .name:           _ZN7rocprim17ROCPRIM_400000_NS6detail17trampoline_kernelINS0_14default_configENS1_38merge_sort_block_merge_config_selectorIlNS0_10empty_typeEEEZZNS1_27merge_sort_block_merge_implIS3_PlPS5_mZN2at6native12_GLOBAL__N_124unique_dim_cuda_templateIN3c108BFloat16EEESt5tupleIJNSA_6TensorESH_SH_EERKSH_lbbbEUlllE_EE10hipError_tT0_T1_T2_jT3_P12ihipStream_tbPNSt15iterator_traitsISN_E10value_typeEPNST_ISO_E10value_typeEPSP_NS1_7vsmem_tEENKUlT_SN_SO_SP_E_clIS8_S8_S9_S9_EESM_S12_SN_SO_SP_EUlS12_E_NS1_11comp_targetILNS1_3genE2ELNS1_11target_archE906ELNS1_3gpuE6ELNS1_3repE0EEENS1_48merge_mergepath_partition_config_static_selectorELNS0_4arch9wavefront6targetE1EEEvSO_
    .private_segment_fixed_size: 0
    .sgpr_count:     4
    .sgpr_spill_count: 0
    .symbol:         _ZN7rocprim17ROCPRIM_400000_NS6detail17trampoline_kernelINS0_14default_configENS1_38merge_sort_block_merge_config_selectorIlNS0_10empty_typeEEEZZNS1_27merge_sort_block_merge_implIS3_PlPS5_mZN2at6native12_GLOBAL__N_124unique_dim_cuda_templateIN3c108BFloat16EEESt5tupleIJNSA_6TensorESH_SH_EERKSH_lbbbEUlllE_EE10hipError_tT0_T1_T2_jT3_P12ihipStream_tbPNSt15iterator_traitsISN_E10value_typeEPNST_ISO_E10value_typeEPSP_NS1_7vsmem_tEENKUlT_SN_SO_SP_E_clIS8_S8_S9_S9_EESM_S12_SN_SO_SP_EUlS12_E_NS1_11comp_targetILNS1_3genE2ELNS1_11target_archE906ELNS1_3gpuE6ELNS1_3repE0EEENS1_48merge_mergepath_partition_config_static_selectorELNS0_4arch9wavefront6targetE1EEEvSO_.kd
    .uniform_work_group_size: 1
    .uses_dynamic_stack: false
    .vgpr_count:     0
    .vgpr_spill_count: 0
    .wavefront_size: 64
  - .agpr_count:     0
    .args:
      - .offset:         0
        .size:           56
        .value_kind:     by_value
    .group_segment_fixed_size: 0
    .kernarg_segment_align: 8
    .kernarg_segment_size: 56
    .language:       OpenCL C
    .language_version:
      - 2
      - 0
    .max_flat_workgroup_size: 128
    .name:           _ZN7rocprim17ROCPRIM_400000_NS6detail17trampoline_kernelINS0_14default_configENS1_38merge_sort_block_merge_config_selectorIlNS0_10empty_typeEEEZZNS1_27merge_sort_block_merge_implIS3_PlPS5_mZN2at6native12_GLOBAL__N_124unique_dim_cuda_templateIN3c108BFloat16EEESt5tupleIJNSA_6TensorESH_SH_EERKSH_lbbbEUlllE_EE10hipError_tT0_T1_T2_jT3_P12ihipStream_tbPNSt15iterator_traitsISN_E10value_typeEPNST_ISO_E10value_typeEPSP_NS1_7vsmem_tEENKUlT_SN_SO_SP_E_clIS8_S8_S9_S9_EESM_S12_SN_SO_SP_EUlS12_E_NS1_11comp_targetILNS1_3genE9ELNS1_11target_archE1100ELNS1_3gpuE3ELNS1_3repE0EEENS1_48merge_mergepath_partition_config_static_selectorELNS0_4arch9wavefront6targetE1EEEvSO_
    .private_segment_fixed_size: 0
    .sgpr_count:     4
    .sgpr_spill_count: 0
    .symbol:         _ZN7rocprim17ROCPRIM_400000_NS6detail17trampoline_kernelINS0_14default_configENS1_38merge_sort_block_merge_config_selectorIlNS0_10empty_typeEEEZZNS1_27merge_sort_block_merge_implIS3_PlPS5_mZN2at6native12_GLOBAL__N_124unique_dim_cuda_templateIN3c108BFloat16EEESt5tupleIJNSA_6TensorESH_SH_EERKSH_lbbbEUlllE_EE10hipError_tT0_T1_T2_jT3_P12ihipStream_tbPNSt15iterator_traitsISN_E10value_typeEPNST_ISO_E10value_typeEPSP_NS1_7vsmem_tEENKUlT_SN_SO_SP_E_clIS8_S8_S9_S9_EESM_S12_SN_SO_SP_EUlS12_E_NS1_11comp_targetILNS1_3genE9ELNS1_11target_archE1100ELNS1_3gpuE3ELNS1_3repE0EEENS1_48merge_mergepath_partition_config_static_selectorELNS0_4arch9wavefront6targetE1EEEvSO_.kd
    .uniform_work_group_size: 1
    .uses_dynamic_stack: false
    .vgpr_count:     0
    .vgpr_spill_count: 0
    .wavefront_size: 64
  - .agpr_count:     0
    .args:
      - .offset:         0
        .size:           56
        .value_kind:     by_value
    .group_segment_fixed_size: 0
    .kernarg_segment_align: 8
    .kernarg_segment_size: 56
    .language:       OpenCL C
    .language_version:
      - 2
      - 0
    .max_flat_workgroup_size: 128
    .name:           _ZN7rocprim17ROCPRIM_400000_NS6detail17trampoline_kernelINS0_14default_configENS1_38merge_sort_block_merge_config_selectorIlNS0_10empty_typeEEEZZNS1_27merge_sort_block_merge_implIS3_PlPS5_mZN2at6native12_GLOBAL__N_124unique_dim_cuda_templateIN3c108BFloat16EEESt5tupleIJNSA_6TensorESH_SH_EERKSH_lbbbEUlllE_EE10hipError_tT0_T1_T2_jT3_P12ihipStream_tbPNSt15iterator_traitsISN_E10value_typeEPNST_ISO_E10value_typeEPSP_NS1_7vsmem_tEENKUlT_SN_SO_SP_E_clIS8_S8_S9_S9_EESM_S12_SN_SO_SP_EUlS12_E_NS1_11comp_targetILNS1_3genE8ELNS1_11target_archE1030ELNS1_3gpuE2ELNS1_3repE0EEENS1_48merge_mergepath_partition_config_static_selectorELNS0_4arch9wavefront6targetE1EEEvSO_
    .private_segment_fixed_size: 0
    .sgpr_count:     4
    .sgpr_spill_count: 0
    .symbol:         _ZN7rocprim17ROCPRIM_400000_NS6detail17trampoline_kernelINS0_14default_configENS1_38merge_sort_block_merge_config_selectorIlNS0_10empty_typeEEEZZNS1_27merge_sort_block_merge_implIS3_PlPS5_mZN2at6native12_GLOBAL__N_124unique_dim_cuda_templateIN3c108BFloat16EEESt5tupleIJNSA_6TensorESH_SH_EERKSH_lbbbEUlllE_EE10hipError_tT0_T1_T2_jT3_P12ihipStream_tbPNSt15iterator_traitsISN_E10value_typeEPNST_ISO_E10value_typeEPSP_NS1_7vsmem_tEENKUlT_SN_SO_SP_E_clIS8_S8_S9_S9_EESM_S12_SN_SO_SP_EUlS12_E_NS1_11comp_targetILNS1_3genE8ELNS1_11target_archE1030ELNS1_3gpuE2ELNS1_3repE0EEENS1_48merge_mergepath_partition_config_static_selectorELNS0_4arch9wavefront6targetE1EEEvSO_.kd
    .uniform_work_group_size: 1
    .uses_dynamic_stack: false
    .vgpr_count:     0
    .vgpr_spill_count: 0
    .wavefront_size: 64
  - .agpr_count:     0
    .args:
      - .offset:         0
        .size:           88
        .value_kind:     by_value
    .group_segment_fixed_size: 0
    .kernarg_segment_align: 8
    .kernarg_segment_size: 88
    .language:       OpenCL C
    .language_version:
      - 2
      - 0
    .max_flat_workgroup_size: 128
    .name:           _ZN7rocprim17ROCPRIM_400000_NS6detail17trampoline_kernelINS0_14default_configENS1_38merge_sort_block_merge_config_selectorIlNS0_10empty_typeEEEZZNS1_27merge_sort_block_merge_implIS3_PlPS5_mZN2at6native12_GLOBAL__N_124unique_dim_cuda_templateIN3c108BFloat16EEESt5tupleIJNSA_6TensorESH_SH_EERKSH_lbbbEUlllE_EE10hipError_tT0_T1_T2_jT3_P12ihipStream_tbPNSt15iterator_traitsISN_E10value_typeEPNST_ISO_E10value_typeEPSP_NS1_7vsmem_tEENKUlT_SN_SO_SP_E_clIS8_S8_S9_S9_EESM_S12_SN_SO_SP_EUlS12_E0_NS1_11comp_targetILNS1_3genE0ELNS1_11target_archE4294967295ELNS1_3gpuE0ELNS1_3repE0EEENS1_38merge_mergepath_config_static_selectorELNS0_4arch9wavefront6targetE1EEEvSO_
    .private_segment_fixed_size: 0
    .sgpr_count:     4
    .sgpr_spill_count: 0
    .symbol:         _ZN7rocprim17ROCPRIM_400000_NS6detail17trampoline_kernelINS0_14default_configENS1_38merge_sort_block_merge_config_selectorIlNS0_10empty_typeEEEZZNS1_27merge_sort_block_merge_implIS3_PlPS5_mZN2at6native12_GLOBAL__N_124unique_dim_cuda_templateIN3c108BFloat16EEESt5tupleIJNSA_6TensorESH_SH_EERKSH_lbbbEUlllE_EE10hipError_tT0_T1_T2_jT3_P12ihipStream_tbPNSt15iterator_traitsISN_E10value_typeEPNST_ISO_E10value_typeEPSP_NS1_7vsmem_tEENKUlT_SN_SO_SP_E_clIS8_S8_S9_S9_EESM_S12_SN_SO_SP_EUlS12_E0_NS1_11comp_targetILNS1_3genE0ELNS1_11target_archE4294967295ELNS1_3gpuE0ELNS1_3repE0EEENS1_38merge_mergepath_config_static_selectorELNS0_4arch9wavefront6targetE1EEEvSO_.kd
    .uniform_work_group_size: 1
    .uses_dynamic_stack: false
    .vgpr_count:     0
    .vgpr_spill_count: 0
    .wavefront_size: 64
  - .agpr_count:     0
    .args:
      - .offset:         0
        .size:           88
        .value_kind:     by_value
    .group_segment_fixed_size: 0
    .kernarg_segment_align: 8
    .kernarg_segment_size: 88
    .language:       OpenCL C
    .language_version:
      - 2
      - 0
    .max_flat_workgroup_size: 512
    .name:           _ZN7rocprim17ROCPRIM_400000_NS6detail17trampoline_kernelINS0_14default_configENS1_38merge_sort_block_merge_config_selectorIlNS0_10empty_typeEEEZZNS1_27merge_sort_block_merge_implIS3_PlPS5_mZN2at6native12_GLOBAL__N_124unique_dim_cuda_templateIN3c108BFloat16EEESt5tupleIJNSA_6TensorESH_SH_EERKSH_lbbbEUlllE_EE10hipError_tT0_T1_T2_jT3_P12ihipStream_tbPNSt15iterator_traitsISN_E10value_typeEPNST_ISO_E10value_typeEPSP_NS1_7vsmem_tEENKUlT_SN_SO_SP_E_clIS8_S8_S9_S9_EESM_S12_SN_SO_SP_EUlS12_E0_NS1_11comp_targetILNS1_3genE10ELNS1_11target_archE1201ELNS1_3gpuE5ELNS1_3repE0EEENS1_38merge_mergepath_config_static_selectorELNS0_4arch9wavefront6targetE1EEEvSO_
    .private_segment_fixed_size: 0
    .sgpr_count:     4
    .sgpr_spill_count: 0
    .symbol:         _ZN7rocprim17ROCPRIM_400000_NS6detail17trampoline_kernelINS0_14default_configENS1_38merge_sort_block_merge_config_selectorIlNS0_10empty_typeEEEZZNS1_27merge_sort_block_merge_implIS3_PlPS5_mZN2at6native12_GLOBAL__N_124unique_dim_cuda_templateIN3c108BFloat16EEESt5tupleIJNSA_6TensorESH_SH_EERKSH_lbbbEUlllE_EE10hipError_tT0_T1_T2_jT3_P12ihipStream_tbPNSt15iterator_traitsISN_E10value_typeEPNST_ISO_E10value_typeEPSP_NS1_7vsmem_tEENKUlT_SN_SO_SP_E_clIS8_S8_S9_S9_EESM_S12_SN_SO_SP_EUlS12_E0_NS1_11comp_targetILNS1_3genE10ELNS1_11target_archE1201ELNS1_3gpuE5ELNS1_3repE0EEENS1_38merge_mergepath_config_static_selectorELNS0_4arch9wavefront6targetE1EEEvSO_.kd
    .uniform_work_group_size: 1
    .uses_dynamic_stack: false
    .vgpr_count:     0
    .vgpr_spill_count: 0
    .wavefront_size: 64
  - .agpr_count:     0
    .args:
      - .offset:         0
        .size:           88
        .value_kind:     by_value
    .group_segment_fixed_size: 0
    .kernarg_segment_align: 8
    .kernarg_segment_size: 88
    .language:       OpenCL C
    .language_version:
      - 2
      - 0
    .max_flat_workgroup_size: 128
    .name:           _ZN7rocprim17ROCPRIM_400000_NS6detail17trampoline_kernelINS0_14default_configENS1_38merge_sort_block_merge_config_selectorIlNS0_10empty_typeEEEZZNS1_27merge_sort_block_merge_implIS3_PlPS5_mZN2at6native12_GLOBAL__N_124unique_dim_cuda_templateIN3c108BFloat16EEESt5tupleIJNSA_6TensorESH_SH_EERKSH_lbbbEUlllE_EE10hipError_tT0_T1_T2_jT3_P12ihipStream_tbPNSt15iterator_traitsISN_E10value_typeEPNST_ISO_E10value_typeEPSP_NS1_7vsmem_tEENKUlT_SN_SO_SP_E_clIS8_S8_S9_S9_EESM_S12_SN_SO_SP_EUlS12_E0_NS1_11comp_targetILNS1_3genE5ELNS1_11target_archE942ELNS1_3gpuE9ELNS1_3repE0EEENS1_38merge_mergepath_config_static_selectorELNS0_4arch9wavefront6targetE1EEEvSO_
    .private_segment_fixed_size: 0
    .sgpr_count:     4
    .sgpr_spill_count: 0
    .symbol:         _ZN7rocprim17ROCPRIM_400000_NS6detail17trampoline_kernelINS0_14default_configENS1_38merge_sort_block_merge_config_selectorIlNS0_10empty_typeEEEZZNS1_27merge_sort_block_merge_implIS3_PlPS5_mZN2at6native12_GLOBAL__N_124unique_dim_cuda_templateIN3c108BFloat16EEESt5tupleIJNSA_6TensorESH_SH_EERKSH_lbbbEUlllE_EE10hipError_tT0_T1_T2_jT3_P12ihipStream_tbPNSt15iterator_traitsISN_E10value_typeEPNST_ISO_E10value_typeEPSP_NS1_7vsmem_tEENKUlT_SN_SO_SP_E_clIS8_S8_S9_S9_EESM_S12_SN_SO_SP_EUlS12_E0_NS1_11comp_targetILNS1_3genE5ELNS1_11target_archE942ELNS1_3gpuE9ELNS1_3repE0EEENS1_38merge_mergepath_config_static_selectorELNS0_4arch9wavefront6targetE1EEEvSO_.kd
    .uniform_work_group_size: 1
    .uses_dynamic_stack: false
    .vgpr_count:     0
    .vgpr_spill_count: 0
    .wavefront_size: 64
  - .agpr_count:     0
    .args:
      - .offset:         0
        .size:           88
        .value_kind:     by_value
      - .offset:         88
        .size:           4
        .value_kind:     hidden_block_count_x
      - .offset:         92
        .size:           4
        .value_kind:     hidden_block_count_y
      - .offset:         96
        .size:           4
        .value_kind:     hidden_block_count_z
      - .offset:         100
        .size:           2
        .value_kind:     hidden_group_size_x
      - .offset:         102
        .size:           2
        .value_kind:     hidden_group_size_y
      - .offset:         104
        .size:           2
        .value_kind:     hidden_group_size_z
      - .offset:         106
        .size:           2
        .value_kind:     hidden_remainder_x
      - .offset:         108
        .size:           2
        .value_kind:     hidden_remainder_y
      - .offset:         110
        .size:           2
        .value_kind:     hidden_remainder_z
      - .offset:         128
        .size:           8
        .value_kind:     hidden_global_offset_x
      - .offset:         136
        .size:           8
        .value_kind:     hidden_global_offset_y
      - .offset:         144
        .size:           8
        .value_kind:     hidden_global_offset_z
      - .offset:         152
        .size:           2
        .value_kind:     hidden_grid_dims
    .group_segment_fixed_size: 8448
    .kernarg_segment_align: 8
    .kernarg_segment_size: 344
    .language:       OpenCL C
    .language_version:
      - 2
      - 0
    .max_flat_workgroup_size: 256
    .name:           _ZN7rocprim17ROCPRIM_400000_NS6detail17trampoline_kernelINS0_14default_configENS1_38merge_sort_block_merge_config_selectorIlNS0_10empty_typeEEEZZNS1_27merge_sort_block_merge_implIS3_PlPS5_mZN2at6native12_GLOBAL__N_124unique_dim_cuda_templateIN3c108BFloat16EEESt5tupleIJNSA_6TensorESH_SH_EERKSH_lbbbEUlllE_EE10hipError_tT0_T1_T2_jT3_P12ihipStream_tbPNSt15iterator_traitsISN_E10value_typeEPNST_ISO_E10value_typeEPSP_NS1_7vsmem_tEENKUlT_SN_SO_SP_E_clIS8_S8_S9_S9_EESM_S12_SN_SO_SP_EUlS12_E0_NS1_11comp_targetILNS1_3genE4ELNS1_11target_archE910ELNS1_3gpuE8ELNS1_3repE0EEENS1_38merge_mergepath_config_static_selectorELNS0_4arch9wavefront6targetE1EEEvSO_
    .private_segment_fixed_size: 0
    .sgpr_count:     50
    .sgpr_spill_count: 0
    .symbol:         _ZN7rocprim17ROCPRIM_400000_NS6detail17trampoline_kernelINS0_14default_configENS1_38merge_sort_block_merge_config_selectorIlNS0_10empty_typeEEEZZNS1_27merge_sort_block_merge_implIS3_PlPS5_mZN2at6native12_GLOBAL__N_124unique_dim_cuda_templateIN3c108BFloat16EEESt5tupleIJNSA_6TensorESH_SH_EERKSH_lbbbEUlllE_EE10hipError_tT0_T1_T2_jT3_P12ihipStream_tbPNSt15iterator_traitsISN_E10value_typeEPNST_ISO_E10value_typeEPSP_NS1_7vsmem_tEENKUlT_SN_SO_SP_E_clIS8_S8_S9_S9_EESM_S12_SN_SO_SP_EUlS12_E0_NS1_11comp_targetILNS1_3genE4ELNS1_11target_archE910ELNS1_3gpuE8ELNS1_3repE0EEENS1_38merge_mergepath_config_static_selectorELNS0_4arch9wavefront6targetE1EEEvSO_.kd
    .uniform_work_group_size: 1
    .uses_dynamic_stack: false
    .vgpr_count:     25
    .vgpr_spill_count: 0
    .wavefront_size: 64
  - .agpr_count:     0
    .args:
      - .offset:         0
        .size:           88
        .value_kind:     by_value
    .group_segment_fixed_size: 0
    .kernarg_segment_align: 8
    .kernarg_segment_size: 88
    .language:       OpenCL C
    .language_version:
      - 2
      - 0
    .max_flat_workgroup_size: 128
    .name:           _ZN7rocprim17ROCPRIM_400000_NS6detail17trampoline_kernelINS0_14default_configENS1_38merge_sort_block_merge_config_selectorIlNS0_10empty_typeEEEZZNS1_27merge_sort_block_merge_implIS3_PlPS5_mZN2at6native12_GLOBAL__N_124unique_dim_cuda_templateIN3c108BFloat16EEESt5tupleIJNSA_6TensorESH_SH_EERKSH_lbbbEUlllE_EE10hipError_tT0_T1_T2_jT3_P12ihipStream_tbPNSt15iterator_traitsISN_E10value_typeEPNST_ISO_E10value_typeEPSP_NS1_7vsmem_tEENKUlT_SN_SO_SP_E_clIS8_S8_S9_S9_EESM_S12_SN_SO_SP_EUlS12_E0_NS1_11comp_targetILNS1_3genE3ELNS1_11target_archE908ELNS1_3gpuE7ELNS1_3repE0EEENS1_38merge_mergepath_config_static_selectorELNS0_4arch9wavefront6targetE1EEEvSO_
    .private_segment_fixed_size: 0
    .sgpr_count:     4
    .sgpr_spill_count: 0
    .symbol:         _ZN7rocprim17ROCPRIM_400000_NS6detail17trampoline_kernelINS0_14default_configENS1_38merge_sort_block_merge_config_selectorIlNS0_10empty_typeEEEZZNS1_27merge_sort_block_merge_implIS3_PlPS5_mZN2at6native12_GLOBAL__N_124unique_dim_cuda_templateIN3c108BFloat16EEESt5tupleIJNSA_6TensorESH_SH_EERKSH_lbbbEUlllE_EE10hipError_tT0_T1_T2_jT3_P12ihipStream_tbPNSt15iterator_traitsISN_E10value_typeEPNST_ISO_E10value_typeEPSP_NS1_7vsmem_tEENKUlT_SN_SO_SP_E_clIS8_S8_S9_S9_EESM_S12_SN_SO_SP_EUlS12_E0_NS1_11comp_targetILNS1_3genE3ELNS1_11target_archE908ELNS1_3gpuE7ELNS1_3repE0EEENS1_38merge_mergepath_config_static_selectorELNS0_4arch9wavefront6targetE1EEEvSO_.kd
    .uniform_work_group_size: 1
    .uses_dynamic_stack: false
    .vgpr_count:     0
    .vgpr_spill_count: 0
    .wavefront_size: 64
  - .agpr_count:     0
    .args:
      - .offset:         0
        .size:           88
        .value_kind:     by_value
    .group_segment_fixed_size: 0
    .kernarg_segment_align: 8
    .kernarg_segment_size: 88
    .language:       OpenCL C
    .language_version:
      - 2
      - 0
    .max_flat_workgroup_size: 256
    .name:           _ZN7rocprim17ROCPRIM_400000_NS6detail17trampoline_kernelINS0_14default_configENS1_38merge_sort_block_merge_config_selectorIlNS0_10empty_typeEEEZZNS1_27merge_sort_block_merge_implIS3_PlPS5_mZN2at6native12_GLOBAL__N_124unique_dim_cuda_templateIN3c108BFloat16EEESt5tupleIJNSA_6TensorESH_SH_EERKSH_lbbbEUlllE_EE10hipError_tT0_T1_T2_jT3_P12ihipStream_tbPNSt15iterator_traitsISN_E10value_typeEPNST_ISO_E10value_typeEPSP_NS1_7vsmem_tEENKUlT_SN_SO_SP_E_clIS8_S8_S9_S9_EESM_S12_SN_SO_SP_EUlS12_E0_NS1_11comp_targetILNS1_3genE2ELNS1_11target_archE906ELNS1_3gpuE6ELNS1_3repE0EEENS1_38merge_mergepath_config_static_selectorELNS0_4arch9wavefront6targetE1EEEvSO_
    .private_segment_fixed_size: 0
    .sgpr_count:     4
    .sgpr_spill_count: 0
    .symbol:         _ZN7rocprim17ROCPRIM_400000_NS6detail17trampoline_kernelINS0_14default_configENS1_38merge_sort_block_merge_config_selectorIlNS0_10empty_typeEEEZZNS1_27merge_sort_block_merge_implIS3_PlPS5_mZN2at6native12_GLOBAL__N_124unique_dim_cuda_templateIN3c108BFloat16EEESt5tupleIJNSA_6TensorESH_SH_EERKSH_lbbbEUlllE_EE10hipError_tT0_T1_T2_jT3_P12ihipStream_tbPNSt15iterator_traitsISN_E10value_typeEPNST_ISO_E10value_typeEPSP_NS1_7vsmem_tEENKUlT_SN_SO_SP_E_clIS8_S8_S9_S9_EESM_S12_SN_SO_SP_EUlS12_E0_NS1_11comp_targetILNS1_3genE2ELNS1_11target_archE906ELNS1_3gpuE6ELNS1_3repE0EEENS1_38merge_mergepath_config_static_selectorELNS0_4arch9wavefront6targetE1EEEvSO_.kd
    .uniform_work_group_size: 1
    .uses_dynamic_stack: false
    .vgpr_count:     0
    .vgpr_spill_count: 0
    .wavefront_size: 64
  - .agpr_count:     0
    .args:
      - .offset:         0
        .size:           88
        .value_kind:     by_value
    .group_segment_fixed_size: 0
    .kernarg_segment_align: 8
    .kernarg_segment_size: 88
    .language:       OpenCL C
    .language_version:
      - 2
      - 0
    .max_flat_workgroup_size: 512
    .name:           _ZN7rocprim17ROCPRIM_400000_NS6detail17trampoline_kernelINS0_14default_configENS1_38merge_sort_block_merge_config_selectorIlNS0_10empty_typeEEEZZNS1_27merge_sort_block_merge_implIS3_PlPS5_mZN2at6native12_GLOBAL__N_124unique_dim_cuda_templateIN3c108BFloat16EEESt5tupleIJNSA_6TensorESH_SH_EERKSH_lbbbEUlllE_EE10hipError_tT0_T1_T2_jT3_P12ihipStream_tbPNSt15iterator_traitsISN_E10value_typeEPNST_ISO_E10value_typeEPSP_NS1_7vsmem_tEENKUlT_SN_SO_SP_E_clIS8_S8_S9_S9_EESM_S12_SN_SO_SP_EUlS12_E0_NS1_11comp_targetILNS1_3genE9ELNS1_11target_archE1100ELNS1_3gpuE3ELNS1_3repE0EEENS1_38merge_mergepath_config_static_selectorELNS0_4arch9wavefront6targetE1EEEvSO_
    .private_segment_fixed_size: 0
    .sgpr_count:     4
    .sgpr_spill_count: 0
    .symbol:         _ZN7rocprim17ROCPRIM_400000_NS6detail17trampoline_kernelINS0_14default_configENS1_38merge_sort_block_merge_config_selectorIlNS0_10empty_typeEEEZZNS1_27merge_sort_block_merge_implIS3_PlPS5_mZN2at6native12_GLOBAL__N_124unique_dim_cuda_templateIN3c108BFloat16EEESt5tupleIJNSA_6TensorESH_SH_EERKSH_lbbbEUlllE_EE10hipError_tT0_T1_T2_jT3_P12ihipStream_tbPNSt15iterator_traitsISN_E10value_typeEPNST_ISO_E10value_typeEPSP_NS1_7vsmem_tEENKUlT_SN_SO_SP_E_clIS8_S8_S9_S9_EESM_S12_SN_SO_SP_EUlS12_E0_NS1_11comp_targetILNS1_3genE9ELNS1_11target_archE1100ELNS1_3gpuE3ELNS1_3repE0EEENS1_38merge_mergepath_config_static_selectorELNS0_4arch9wavefront6targetE1EEEvSO_.kd
    .uniform_work_group_size: 1
    .uses_dynamic_stack: false
    .vgpr_count:     0
    .vgpr_spill_count: 0
    .wavefront_size: 64
  - .agpr_count:     0
    .args:
      - .offset:         0
        .size:           88
        .value_kind:     by_value
    .group_segment_fixed_size: 0
    .kernarg_segment_align: 8
    .kernarg_segment_size: 88
    .language:       OpenCL C
    .language_version:
      - 2
      - 0
    .max_flat_workgroup_size: 1024
    .name:           _ZN7rocprim17ROCPRIM_400000_NS6detail17trampoline_kernelINS0_14default_configENS1_38merge_sort_block_merge_config_selectorIlNS0_10empty_typeEEEZZNS1_27merge_sort_block_merge_implIS3_PlPS5_mZN2at6native12_GLOBAL__N_124unique_dim_cuda_templateIN3c108BFloat16EEESt5tupleIJNSA_6TensorESH_SH_EERKSH_lbbbEUlllE_EE10hipError_tT0_T1_T2_jT3_P12ihipStream_tbPNSt15iterator_traitsISN_E10value_typeEPNST_ISO_E10value_typeEPSP_NS1_7vsmem_tEENKUlT_SN_SO_SP_E_clIS8_S8_S9_S9_EESM_S12_SN_SO_SP_EUlS12_E0_NS1_11comp_targetILNS1_3genE8ELNS1_11target_archE1030ELNS1_3gpuE2ELNS1_3repE0EEENS1_38merge_mergepath_config_static_selectorELNS0_4arch9wavefront6targetE1EEEvSO_
    .private_segment_fixed_size: 0
    .sgpr_count:     4
    .sgpr_spill_count: 0
    .symbol:         _ZN7rocprim17ROCPRIM_400000_NS6detail17trampoline_kernelINS0_14default_configENS1_38merge_sort_block_merge_config_selectorIlNS0_10empty_typeEEEZZNS1_27merge_sort_block_merge_implIS3_PlPS5_mZN2at6native12_GLOBAL__N_124unique_dim_cuda_templateIN3c108BFloat16EEESt5tupleIJNSA_6TensorESH_SH_EERKSH_lbbbEUlllE_EE10hipError_tT0_T1_T2_jT3_P12ihipStream_tbPNSt15iterator_traitsISN_E10value_typeEPNST_ISO_E10value_typeEPSP_NS1_7vsmem_tEENKUlT_SN_SO_SP_E_clIS8_S8_S9_S9_EESM_S12_SN_SO_SP_EUlS12_E0_NS1_11comp_targetILNS1_3genE8ELNS1_11target_archE1030ELNS1_3gpuE2ELNS1_3repE0EEENS1_38merge_mergepath_config_static_selectorELNS0_4arch9wavefront6targetE1EEEvSO_.kd
    .uniform_work_group_size: 1
    .uses_dynamic_stack: false
    .vgpr_count:     0
    .vgpr_spill_count: 0
    .wavefront_size: 64
  - .agpr_count:     0
    .args:
      - .offset:         0
        .size:           64
        .value_kind:     by_value
    .group_segment_fixed_size: 0
    .kernarg_segment_align: 8
    .kernarg_segment_size: 64
    .language:       OpenCL C
    .language_version:
      - 2
      - 0
    .max_flat_workgroup_size: 256
    .name:           _ZN7rocprim17ROCPRIM_400000_NS6detail17trampoline_kernelINS0_14default_configENS1_38merge_sort_block_merge_config_selectorIlNS0_10empty_typeEEEZZNS1_27merge_sort_block_merge_implIS3_PlPS5_mZN2at6native12_GLOBAL__N_124unique_dim_cuda_templateIN3c108BFloat16EEESt5tupleIJNSA_6TensorESH_SH_EERKSH_lbbbEUlllE_EE10hipError_tT0_T1_T2_jT3_P12ihipStream_tbPNSt15iterator_traitsISN_E10value_typeEPNST_ISO_E10value_typeEPSP_NS1_7vsmem_tEENKUlT_SN_SO_SP_E_clIS8_S8_S9_S9_EESM_S12_SN_SO_SP_EUlS12_E1_NS1_11comp_targetILNS1_3genE0ELNS1_11target_archE4294967295ELNS1_3gpuE0ELNS1_3repE0EEENS1_36merge_oddeven_config_static_selectorELNS0_4arch9wavefront6targetE1EEEvSO_
    .private_segment_fixed_size: 0
    .sgpr_count:     4
    .sgpr_spill_count: 0
    .symbol:         _ZN7rocprim17ROCPRIM_400000_NS6detail17trampoline_kernelINS0_14default_configENS1_38merge_sort_block_merge_config_selectorIlNS0_10empty_typeEEEZZNS1_27merge_sort_block_merge_implIS3_PlPS5_mZN2at6native12_GLOBAL__N_124unique_dim_cuda_templateIN3c108BFloat16EEESt5tupleIJNSA_6TensorESH_SH_EERKSH_lbbbEUlllE_EE10hipError_tT0_T1_T2_jT3_P12ihipStream_tbPNSt15iterator_traitsISN_E10value_typeEPNST_ISO_E10value_typeEPSP_NS1_7vsmem_tEENKUlT_SN_SO_SP_E_clIS8_S8_S9_S9_EESM_S12_SN_SO_SP_EUlS12_E1_NS1_11comp_targetILNS1_3genE0ELNS1_11target_archE4294967295ELNS1_3gpuE0ELNS1_3repE0EEENS1_36merge_oddeven_config_static_selectorELNS0_4arch9wavefront6targetE1EEEvSO_.kd
    .uniform_work_group_size: 1
    .uses_dynamic_stack: false
    .vgpr_count:     0
    .vgpr_spill_count: 0
    .wavefront_size: 64
  - .agpr_count:     0
    .args:
      - .offset:         0
        .size:           64
        .value_kind:     by_value
    .group_segment_fixed_size: 0
    .kernarg_segment_align: 8
    .kernarg_segment_size: 64
    .language:       OpenCL C
    .language_version:
      - 2
      - 0
    .max_flat_workgroup_size: 256
    .name:           _ZN7rocprim17ROCPRIM_400000_NS6detail17trampoline_kernelINS0_14default_configENS1_38merge_sort_block_merge_config_selectorIlNS0_10empty_typeEEEZZNS1_27merge_sort_block_merge_implIS3_PlPS5_mZN2at6native12_GLOBAL__N_124unique_dim_cuda_templateIN3c108BFloat16EEESt5tupleIJNSA_6TensorESH_SH_EERKSH_lbbbEUlllE_EE10hipError_tT0_T1_T2_jT3_P12ihipStream_tbPNSt15iterator_traitsISN_E10value_typeEPNST_ISO_E10value_typeEPSP_NS1_7vsmem_tEENKUlT_SN_SO_SP_E_clIS8_S8_S9_S9_EESM_S12_SN_SO_SP_EUlS12_E1_NS1_11comp_targetILNS1_3genE10ELNS1_11target_archE1201ELNS1_3gpuE5ELNS1_3repE0EEENS1_36merge_oddeven_config_static_selectorELNS0_4arch9wavefront6targetE1EEEvSO_
    .private_segment_fixed_size: 0
    .sgpr_count:     4
    .sgpr_spill_count: 0
    .symbol:         _ZN7rocprim17ROCPRIM_400000_NS6detail17trampoline_kernelINS0_14default_configENS1_38merge_sort_block_merge_config_selectorIlNS0_10empty_typeEEEZZNS1_27merge_sort_block_merge_implIS3_PlPS5_mZN2at6native12_GLOBAL__N_124unique_dim_cuda_templateIN3c108BFloat16EEESt5tupleIJNSA_6TensorESH_SH_EERKSH_lbbbEUlllE_EE10hipError_tT0_T1_T2_jT3_P12ihipStream_tbPNSt15iterator_traitsISN_E10value_typeEPNST_ISO_E10value_typeEPSP_NS1_7vsmem_tEENKUlT_SN_SO_SP_E_clIS8_S8_S9_S9_EESM_S12_SN_SO_SP_EUlS12_E1_NS1_11comp_targetILNS1_3genE10ELNS1_11target_archE1201ELNS1_3gpuE5ELNS1_3repE0EEENS1_36merge_oddeven_config_static_selectorELNS0_4arch9wavefront6targetE1EEEvSO_.kd
    .uniform_work_group_size: 1
    .uses_dynamic_stack: false
    .vgpr_count:     0
    .vgpr_spill_count: 0
    .wavefront_size: 64
  - .agpr_count:     0
    .args:
      - .offset:         0
        .size:           64
        .value_kind:     by_value
    .group_segment_fixed_size: 0
    .kernarg_segment_align: 8
    .kernarg_segment_size: 64
    .language:       OpenCL C
    .language_version:
      - 2
      - 0
    .max_flat_workgroup_size: 256
    .name:           _ZN7rocprim17ROCPRIM_400000_NS6detail17trampoline_kernelINS0_14default_configENS1_38merge_sort_block_merge_config_selectorIlNS0_10empty_typeEEEZZNS1_27merge_sort_block_merge_implIS3_PlPS5_mZN2at6native12_GLOBAL__N_124unique_dim_cuda_templateIN3c108BFloat16EEESt5tupleIJNSA_6TensorESH_SH_EERKSH_lbbbEUlllE_EE10hipError_tT0_T1_T2_jT3_P12ihipStream_tbPNSt15iterator_traitsISN_E10value_typeEPNST_ISO_E10value_typeEPSP_NS1_7vsmem_tEENKUlT_SN_SO_SP_E_clIS8_S8_S9_S9_EESM_S12_SN_SO_SP_EUlS12_E1_NS1_11comp_targetILNS1_3genE5ELNS1_11target_archE942ELNS1_3gpuE9ELNS1_3repE0EEENS1_36merge_oddeven_config_static_selectorELNS0_4arch9wavefront6targetE1EEEvSO_
    .private_segment_fixed_size: 0
    .sgpr_count:     4
    .sgpr_spill_count: 0
    .symbol:         _ZN7rocprim17ROCPRIM_400000_NS6detail17trampoline_kernelINS0_14default_configENS1_38merge_sort_block_merge_config_selectorIlNS0_10empty_typeEEEZZNS1_27merge_sort_block_merge_implIS3_PlPS5_mZN2at6native12_GLOBAL__N_124unique_dim_cuda_templateIN3c108BFloat16EEESt5tupleIJNSA_6TensorESH_SH_EERKSH_lbbbEUlllE_EE10hipError_tT0_T1_T2_jT3_P12ihipStream_tbPNSt15iterator_traitsISN_E10value_typeEPNST_ISO_E10value_typeEPSP_NS1_7vsmem_tEENKUlT_SN_SO_SP_E_clIS8_S8_S9_S9_EESM_S12_SN_SO_SP_EUlS12_E1_NS1_11comp_targetILNS1_3genE5ELNS1_11target_archE942ELNS1_3gpuE9ELNS1_3repE0EEENS1_36merge_oddeven_config_static_selectorELNS0_4arch9wavefront6targetE1EEEvSO_.kd
    .uniform_work_group_size: 1
    .uses_dynamic_stack: false
    .vgpr_count:     0
    .vgpr_spill_count: 0
    .wavefront_size: 64
  - .agpr_count:     0
    .args:
      - .offset:         0
        .size:           64
        .value_kind:     by_value
    .group_segment_fixed_size: 0
    .kernarg_segment_align: 8
    .kernarg_segment_size: 64
    .language:       OpenCL C
    .language_version:
      - 2
      - 0
    .max_flat_workgroup_size: 256
    .name:           _ZN7rocprim17ROCPRIM_400000_NS6detail17trampoline_kernelINS0_14default_configENS1_38merge_sort_block_merge_config_selectorIlNS0_10empty_typeEEEZZNS1_27merge_sort_block_merge_implIS3_PlPS5_mZN2at6native12_GLOBAL__N_124unique_dim_cuda_templateIN3c108BFloat16EEESt5tupleIJNSA_6TensorESH_SH_EERKSH_lbbbEUlllE_EE10hipError_tT0_T1_T2_jT3_P12ihipStream_tbPNSt15iterator_traitsISN_E10value_typeEPNST_ISO_E10value_typeEPSP_NS1_7vsmem_tEENKUlT_SN_SO_SP_E_clIS8_S8_S9_S9_EESM_S12_SN_SO_SP_EUlS12_E1_NS1_11comp_targetILNS1_3genE4ELNS1_11target_archE910ELNS1_3gpuE8ELNS1_3repE0EEENS1_36merge_oddeven_config_static_selectorELNS0_4arch9wavefront6targetE1EEEvSO_
    .private_segment_fixed_size: 0
    .sgpr_count:     48
    .sgpr_spill_count: 0
    .symbol:         _ZN7rocprim17ROCPRIM_400000_NS6detail17trampoline_kernelINS0_14default_configENS1_38merge_sort_block_merge_config_selectorIlNS0_10empty_typeEEEZZNS1_27merge_sort_block_merge_implIS3_PlPS5_mZN2at6native12_GLOBAL__N_124unique_dim_cuda_templateIN3c108BFloat16EEESt5tupleIJNSA_6TensorESH_SH_EERKSH_lbbbEUlllE_EE10hipError_tT0_T1_T2_jT3_P12ihipStream_tbPNSt15iterator_traitsISN_E10value_typeEPNST_ISO_E10value_typeEPSP_NS1_7vsmem_tEENKUlT_SN_SO_SP_E_clIS8_S8_S9_S9_EESM_S12_SN_SO_SP_EUlS12_E1_NS1_11comp_targetILNS1_3genE4ELNS1_11target_archE910ELNS1_3gpuE8ELNS1_3repE0EEENS1_36merge_oddeven_config_static_selectorELNS0_4arch9wavefront6targetE1EEEvSO_.kd
    .uniform_work_group_size: 1
    .uses_dynamic_stack: false
    .vgpr_count:     18
    .vgpr_spill_count: 0
    .wavefront_size: 64
  - .agpr_count:     0
    .args:
      - .offset:         0
        .size:           64
        .value_kind:     by_value
    .group_segment_fixed_size: 0
    .kernarg_segment_align: 8
    .kernarg_segment_size: 64
    .language:       OpenCL C
    .language_version:
      - 2
      - 0
    .max_flat_workgroup_size: 256
    .name:           _ZN7rocprim17ROCPRIM_400000_NS6detail17trampoline_kernelINS0_14default_configENS1_38merge_sort_block_merge_config_selectorIlNS0_10empty_typeEEEZZNS1_27merge_sort_block_merge_implIS3_PlPS5_mZN2at6native12_GLOBAL__N_124unique_dim_cuda_templateIN3c108BFloat16EEESt5tupleIJNSA_6TensorESH_SH_EERKSH_lbbbEUlllE_EE10hipError_tT0_T1_T2_jT3_P12ihipStream_tbPNSt15iterator_traitsISN_E10value_typeEPNST_ISO_E10value_typeEPSP_NS1_7vsmem_tEENKUlT_SN_SO_SP_E_clIS8_S8_S9_S9_EESM_S12_SN_SO_SP_EUlS12_E1_NS1_11comp_targetILNS1_3genE3ELNS1_11target_archE908ELNS1_3gpuE7ELNS1_3repE0EEENS1_36merge_oddeven_config_static_selectorELNS0_4arch9wavefront6targetE1EEEvSO_
    .private_segment_fixed_size: 0
    .sgpr_count:     4
    .sgpr_spill_count: 0
    .symbol:         _ZN7rocprim17ROCPRIM_400000_NS6detail17trampoline_kernelINS0_14default_configENS1_38merge_sort_block_merge_config_selectorIlNS0_10empty_typeEEEZZNS1_27merge_sort_block_merge_implIS3_PlPS5_mZN2at6native12_GLOBAL__N_124unique_dim_cuda_templateIN3c108BFloat16EEESt5tupleIJNSA_6TensorESH_SH_EERKSH_lbbbEUlllE_EE10hipError_tT0_T1_T2_jT3_P12ihipStream_tbPNSt15iterator_traitsISN_E10value_typeEPNST_ISO_E10value_typeEPSP_NS1_7vsmem_tEENKUlT_SN_SO_SP_E_clIS8_S8_S9_S9_EESM_S12_SN_SO_SP_EUlS12_E1_NS1_11comp_targetILNS1_3genE3ELNS1_11target_archE908ELNS1_3gpuE7ELNS1_3repE0EEENS1_36merge_oddeven_config_static_selectorELNS0_4arch9wavefront6targetE1EEEvSO_.kd
    .uniform_work_group_size: 1
    .uses_dynamic_stack: false
    .vgpr_count:     0
    .vgpr_spill_count: 0
    .wavefront_size: 64
  - .agpr_count:     0
    .args:
      - .offset:         0
        .size:           64
        .value_kind:     by_value
    .group_segment_fixed_size: 0
    .kernarg_segment_align: 8
    .kernarg_segment_size: 64
    .language:       OpenCL C
    .language_version:
      - 2
      - 0
    .max_flat_workgroup_size: 256
    .name:           _ZN7rocprim17ROCPRIM_400000_NS6detail17trampoline_kernelINS0_14default_configENS1_38merge_sort_block_merge_config_selectorIlNS0_10empty_typeEEEZZNS1_27merge_sort_block_merge_implIS3_PlPS5_mZN2at6native12_GLOBAL__N_124unique_dim_cuda_templateIN3c108BFloat16EEESt5tupleIJNSA_6TensorESH_SH_EERKSH_lbbbEUlllE_EE10hipError_tT0_T1_T2_jT3_P12ihipStream_tbPNSt15iterator_traitsISN_E10value_typeEPNST_ISO_E10value_typeEPSP_NS1_7vsmem_tEENKUlT_SN_SO_SP_E_clIS8_S8_S9_S9_EESM_S12_SN_SO_SP_EUlS12_E1_NS1_11comp_targetILNS1_3genE2ELNS1_11target_archE906ELNS1_3gpuE6ELNS1_3repE0EEENS1_36merge_oddeven_config_static_selectorELNS0_4arch9wavefront6targetE1EEEvSO_
    .private_segment_fixed_size: 0
    .sgpr_count:     4
    .sgpr_spill_count: 0
    .symbol:         _ZN7rocprim17ROCPRIM_400000_NS6detail17trampoline_kernelINS0_14default_configENS1_38merge_sort_block_merge_config_selectorIlNS0_10empty_typeEEEZZNS1_27merge_sort_block_merge_implIS3_PlPS5_mZN2at6native12_GLOBAL__N_124unique_dim_cuda_templateIN3c108BFloat16EEESt5tupleIJNSA_6TensorESH_SH_EERKSH_lbbbEUlllE_EE10hipError_tT0_T1_T2_jT3_P12ihipStream_tbPNSt15iterator_traitsISN_E10value_typeEPNST_ISO_E10value_typeEPSP_NS1_7vsmem_tEENKUlT_SN_SO_SP_E_clIS8_S8_S9_S9_EESM_S12_SN_SO_SP_EUlS12_E1_NS1_11comp_targetILNS1_3genE2ELNS1_11target_archE906ELNS1_3gpuE6ELNS1_3repE0EEENS1_36merge_oddeven_config_static_selectorELNS0_4arch9wavefront6targetE1EEEvSO_.kd
    .uniform_work_group_size: 1
    .uses_dynamic_stack: false
    .vgpr_count:     0
    .vgpr_spill_count: 0
    .wavefront_size: 64
  - .agpr_count:     0
    .args:
      - .offset:         0
        .size:           64
        .value_kind:     by_value
    .group_segment_fixed_size: 0
    .kernarg_segment_align: 8
    .kernarg_segment_size: 64
    .language:       OpenCL C
    .language_version:
      - 2
      - 0
    .max_flat_workgroup_size: 256
    .name:           _ZN7rocprim17ROCPRIM_400000_NS6detail17trampoline_kernelINS0_14default_configENS1_38merge_sort_block_merge_config_selectorIlNS0_10empty_typeEEEZZNS1_27merge_sort_block_merge_implIS3_PlPS5_mZN2at6native12_GLOBAL__N_124unique_dim_cuda_templateIN3c108BFloat16EEESt5tupleIJNSA_6TensorESH_SH_EERKSH_lbbbEUlllE_EE10hipError_tT0_T1_T2_jT3_P12ihipStream_tbPNSt15iterator_traitsISN_E10value_typeEPNST_ISO_E10value_typeEPSP_NS1_7vsmem_tEENKUlT_SN_SO_SP_E_clIS8_S8_S9_S9_EESM_S12_SN_SO_SP_EUlS12_E1_NS1_11comp_targetILNS1_3genE9ELNS1_11target_archE1100ELNS1_3gpuE3ELNS1_3repE0EEENS1_36merge_oddeven_config_static_selectorELNS0_4arch9wavefront6targetE1EEEvSO_
    .private_segment_fixed_size: 0
    .sgpr_count:     4
    .sgpr_spill_count: 0
    .symbol:         _ZN7rocprim17ROCPRIM_400000_NS6detail17trampoline_kernelINS0_14default_configENS1_38merge_sort_block_merge_config_selectorIlNS0_10empty_typeEEEZZNS1_27merge_sort_block_merge_implIS3_PlPS5_mZN2at6native12_GLOBAL__N_124unique_dim_cuda_templateIN3c108BFloat16EEESt5tupleIJNSA_6TensorESH_SH_EERKSH_lbbbEUlllE_EE10hipError_tT0_T1_T2_jT3_P12ihipStream_tbPNSt15iterator_traitsISN_E10value_typeEPNST_ISO_E10value_typeEPSP_NS1_7vsmem_tEENKUlT_SN_SO_SP_E_clIS8_S8_S9_S9_EESM_S12_SN_SO_SP_EUlS12_E1_NS1_11comp_targetILNS1_3genE9ELNS1_11target_archE1100ELNS1_3gpuE3ELNS1_3repE0EEENS1_36merge_oddeven_config_static_selectorELNS0_4arch9wavefront6targetE1EEEvSO_.kd
    .uniform_work_group_size: 1
    .uses_dynamic_stack: false
    .vgpr_count:     0
    .vgpr_spill_count: 0
    .wavefront_size: 64
  - .agpr_count:     0
    .args:
      - .offset:         0
        .size:           64
        .value_kind:     by_value
    .group_segment_fixed_size: 0
    .kernarg_segment_align: 8
    .kernarg_segment_size: 64
    .language:       OpenCL C
    .language_version:
      - 2
      - 0
    .max_flat_workgroup_size: 256
    .name:           _ZN7rocprim17ROCPRIM_400000_NS6detail17trampoline_kernelINS0_14default_configENS1_38merge_sort_block_merge_config_selectorIlNS0_10empty_typeEEEZZNS1_27merge_sort_block_merge_implIS3_PlPS5_mZN2at6native12_GLOBAL__N_124unique_dim_cuda_templateIN3c108BFloat16EEESt5tupleIJNSA_6TensorESH_SH_EERKSH_lbbbEUlllE_EE10hipError_tT0_T1_T2_jT3_P12ihipStream_tbPNSt15iterator_traitsISN_E10value_typeEPNST_ISO_E10value_typeEPSP_NS1_7vsmem_tEENKUlT_SN_SO_SP_E_clIS8_S8_S9_S9_EESM_S12_SN_SO_SP_EUlS12_E1_NS1_11comp_targetILNS1_3genE8ELNS1_11target_archE1030ELNS1_3gpuE2ELNS1_3repE0EEENS1_36merge_oddeven_config_static_selectorELNS0_4arch9wavefront6targetE1EEEvSO_
    .private_segment_fixed_size: 0
    .sgpr_count:     4
    .sgpr_spill_count: 0
    .symbol:         _ZN7rocprim17ROCPRIM_400000_NS6detail17trampoline_kernelINS0_14default_configENS1_38merge_sort_block_merge_config_selectorIlNS0_10empty_typeEEEZZNS1_27merge_sort_block_merge_implIS3_PlPS5_mZN2at6native12_GLOBAL__N_124unique_dim_cuda_templateIN3c108BFloat16EEESt5tupleIJNSA_6TensorESH_SH_EERKSH_lbbbEUlllE_EE10hipError_tT0_T1_T2_jT3_P12ihipStream_tbPNSt15iterator_traitsISN_E10value_typeEPNST_ISO_E10value_typeEPSP_NS1_7vsmem_tEENKUlT_SN_SO_SP_E_clIS8_S8_S9_S9_EESM_S12_SN_SO_SP_EUlS12_E1_NS1_11comp_targetILNS1_3genE8ELNS1_11target_archE1030ELNS1_3gpuE2ELNS1_3repE0EEENS1_36merge_oddeven_config_static_selectorELNS0_4arch9wavefront6targetE1EEEvSO_.kd
    .uniform_work_group_size: 1
    .uses_dynamic_stack: false
    .vgpr_count:     0
    .vgpr_spill_count: 0
    .wavefront_size: 64
  - .agpr_count:     0
    .args:
      - .offset:         0
        .size:           64
        .value_kind:     by_value
    .group_segment_fixed_size: 0
    .kernarg_segment_align: 8
    .kernarg_segment_size: 64
    .language:       OpenCL C
    .language_version:
      - 2
      - 0
    .max_flat_workgroup_size: 128
    .name:           _ZN7rocprim17ROCPRIM_400000_NS6detail17trampoline_kernelINS0_14default_configENS1_35adjacent_difference_config_selectorILb0ElEEZNS1_24adjacent_difference_implIS3_Lb0ELb0EPlS7_ZN2at6native12_GLOBAL__N_124unique_dim_cuda_templateIN3c108BFloat16EEESt5tupleIJNS8_6TensorESF_SF_EERKSF_lbbbEUlllE1_EE10hipError_tPvRmT2_T3_mT4_P12ihipStream_tbEUlT_E_NS1_11comp_targetILNS1_3genE0ELNS1_11target_archE4294967295ELNS1_3gpuE0ELNS1_3repE0EEENS1_30default_config_static_selectorELNS0_4arch9wavefront6targetE1EEEvT1_
    .private_segment_fixed_size: 0
    .sgpr_count:     4
    .sgpr_spill_count: 0
    .symbol:         _ZN7rocprim17ROCPRIM_400000_NS6detail17trampoline_kernelINS0_14default_configENS1_35adjacent_difference_config_selectorILb0ElEEZNS1_24adjacent_difference_implIS3_Lb0ELb0EPlS7_ZN2at6native12_GLOBAL__N_124unique_dim_cuda_templateIN3c108BFloat16EEESt5tupleIJNS8_6TensorESF_SF_EERKSF_lbbbEUlllE1_EE10hipError_tPvRmT2_T3_mT4_P12ihipStream_tbEUlT_E_NS1_11comp_targetILNS1_3genE0ELNS1_11target_archE4294967295ELNS1_3gpuE0ELNS1_3repE0EEENS1_30default_config_static_selectorELNS0_4arch9wavefront6targetE1EEEvT1_.kd
    .uniform_work_group_size: 1
    .uses_dynamic_stack: false
    .vgpr_count:     0
    .vgpr_spill_count: 0
    .wavefront_size: 64
  - .agpr_count:     0
    .args:
      - .offset:         0
        .size:           64
        .value_kind:     by_value
    .group_segment_fixed_size: 0
    .kernarg_segment_align: 8
    .kernarg_segment_size: 64
    .language:       OpenCL C
    .language_version:
      - 2
      - 0
    .max_flat_workgroup_size: 128
    .name:           _ZN7rocprim17ROCPRIM_400000_NS6detail17trampoline_kernelINS0_14default_configENS1_35adjacent_difference_config_selectorILb0ElEEZNS1_24adjacent_difference_implIS3_Lb0ELb0EPlS7_ZN2at6native12_GLOBAL__N_124unique_dim_cuda_templateIN3c108BFloat16EEESt5tupleIJNS8_6TensorESF_SF_EERKSF_lbbbEUlllE1_EE10hipError_tPvRmT2_T3_mT4_P12ihipStream_tbEUlT_E_NS1_11comp_targetILNS1_3genE10ELNS1_11target_archE1201ELNS1_3gpuE5ELNS1_3repE0EEENS1_30default_config_static_selectorELNS0_4arch9wavefront6targetE1EEEvT1_
    .private_segment_fixed_size: 0
    .sgpr_count:     4
    .sgpr_spill_count: 0
    .symbol:         _ZN7rocprim17ROCPRIM_400000_NS6detail17trampoline_kernelINS0_14default_configENS1_35adjacent_difference_config_selectorILb0ElEEZNS1_24adjacent_difference_implIS3_Lb0ELb0EPlS7_ZN2at6native12_GLOBAL__N_124unique_dim_cuda_templateIN3c108BFloat16EEESt5tupleIJNS8_6TensorESF_SF_EERKSF_lbbbEUlllE1_EE10hipError_tPvRmT2_T3_mT4_P12ihipStream_tbEUlT_E_NS1_11comp_targetILNS1_3genE10ELNS1_11target_archE1201ELNS1_3gpuE5ELNS1_3repE0EEENS1_30default_config_static_selectorELNS0_4arch9wavefront6targetE1EEEvT1_.kd
    .uniform_work_group_size: 1
    .uses_dynamic_stack: false
    .vgpr_count:     0
    .vgpr_spill_count: 0
    .wavefront_size: 64
  - .agpr_count:     0
    .args:
      - .offset:         0
        .size:           64
        .value_kind:     by_value
    .group_segment_fixed_size: 0
    .kernarg_segment_align: 8
    .kernarg_segment_size: 64
    .language:       OpenCL C
    .language_version:
      - 2
      - 0
    .max_flat_workgroup_size: 64
    .name:           _ZN7rocprim17ROCPRIM_400000_NS6detail17trampoline_kernelINS0_14default_configENS1_35adjacent_difference_config_selectorILb0ElEEZNS1_24adjacent_difference_implIS3_Lb0ELb0EPlS7_ZN2at6native12_GLOBAL__N_124unique_dim_cuda_templateIN3c108BFloat16EEESt5tupleIJNS8_6TensorESF_SF_EERKSF_lbbbEUlllE1_EE10hipError_tPvRmT2_T3_mT4_P12ihipStream_tbEUlT_E_NS1_11comp_targetILNS1_3genE5ELNS1_11target_archE942ELNS1_3gpuE9ELNS1_3repE0EEENS1_30default_config_static_selectorELNS0_4arch9wavefront6targetE1EEEvT1_
    .private_segment_fixed_size: 0
    .sgpr_count:     4
    .sgpr_spill_count: 0
    .symbol:         _ZN7rocprim17ROCPRIM_400000_NS6detail17trampoline_kernelINS0_14default_configENS1_35adjacent_difference_config_selectorILb0ElEEZNS1_24adjacent_difference_implIS3_Lb0ELb0EPlS7_ZN2at6native12_GLOBAL__N_124unique_dim_cuda_templateIN3c108BFloat16EEESt5tupleIJNS8_6TensorESF_SF_EERKSF_lbbbEUlllE1_EE10hipError_tPvRmT2_T3_mT4_P12ihipStream_tbEUlT_E_NS1_11comp_targetILNS1_3genE5ELNS1_11target_archE942ELNS1_3gpuE9ELNS1_3repE0EEENS1_30default_config_static_selectorELNS0_4arch9wavefront6targetE1EEEvT1_.kd
    .uniform_work_group_size: 1
    .uses_dynamic_stack: false
    .vgpr_count:     0
    .vgpr_spill_count: 0
    .wavefront_size: 64
  - .agpr_count:     0
    .args:
      - .offset:         0
        .size:           64
        .value_kind:     by_value
    .group_segment_fixed_size: 4224
    .kernarg_segment_align: 8
    .kernarg_segment_size: 64
    .language:       OpenCL C
    .language_version:
      - 2
      - 0
    .max_flat_workgroup_size: 256
    .name:           _ZN7rocprim17ROCPRIM_400000_NS6detail17trampoline_kernelINS0_14default_configENS1_35adjacent_difference_config_selectorILb0ElEEZNS1_24adjacent_difference_implIS3_Lb0ELb0EPlS7_ZN2at6native12_GLOBAL__N_124unique_dim_cuda_templateIN3c108BFloat16EEESt5tupleIJNS8_6TensorESF_SF_EERKSF_lbbbEUlllE1_EE10hipError_tPvRmT2_T3_mT4_P12ihipStream_tbEUlT_E_NS1_11comp_targetILNS1_3genE4ELNS1_11target_archE910ELNS1_3gpuE8ELNS1_3repE0EEENS1_30default_config_static_selectorELNS0_4arch9wavefront6targetE1EEEvT1_
    .private_segment_fixed_size: 0
    .sgpr_count:     42
    .sgpr_spill_count: 0
    .symbol:         _ZN7rocprim17ROCPRIM_400000_NS6detail17trampoline_kernelINS0_14default_configENS1_35adjacent_difference_config_selectorILb0ElEEZNS1_24adjacent_difference_implIS3_Lb0ELb0EPlS7_ZN2at6native12_GLOBAL__N_124unique_dim_cuda_templateIN3c108BFloat16EEESt5tupleIJNS8_6TensorESF_SF_EERKSF_lbbbEUlllE1_EE10hipError_tPvRmT2_T3_mT4_P12ihipStream_tbEUlT_E_NS1_11comp_targetILNS1_3genE4ELNS1_11target_archE910ELNS1_3gpuE8ELNS1_3repE0EEENS1_30default_config_static_selectorELNS0_4arch9wavefront6targetE1EEEvT1_.kd
    .uniform_work_group_size: 1
    .uses_dynamic_stack: false
    .vgpr_count:     17
    .vgpr_spill_count: 0
    .wavefront_size: 64
  - .agpr_count:     0
    .args:
      - .offset:         0
        .size:           64
        .value_kind:     by_value
    .group_segment_fixed_size: 0
    .kernarg_segment_align: 8
    .kernarg_segment_size: 64
    .language:       OpenCL C
    .language_version:
      - 2
      - 0
    .max_flat_workgroup_size: 128
    .name:           _ZN7rocprim17ROCPRIM_400000_NS6detail17trampoline_kernelINS0_14default_configENS1_35adjacent_difference_config_selectorILb0ElEEZNS1_24adjacent_difference_implIS3_Lb0ELb0EPlS7_ZN2at6native12_GLOBAL__N_124unique_dim_cuda_templateIN3c108BFloat16EEESt5tupleIJNS8_6TensorESF_SF_EERKSF_lbbbEUlllE1_EE10hipError_tPvRmT2_T3_mT4_P12ihipStream_tbEUlT_E_NS1_11comp_targetILNS1_3genE3ELNS1_11target_archE908ELNS1_3gpuE7ELNS1_3repE0EEENS1_30default_config_static_selectorELNS0_4arch9wavefront6targetE1EEEvT1_
    .private_segment_fixed_size: 0
    .sgpr_count:     4
    .sgpr_spill_count: 0
    .symbol:         _ZN7rocprim17ROCPRIM_400000_NS6detail17trampoline_kernelINS0_14default_configENS1_35adjacent_difference_config_selectorILb0ElEEZNS1_24adjacent_difference_implIS3_Lb0ELb0EPlS7_ZN2at6native12_GLOBAL__N_124unique_dim_cuda_templateIN3c108BFloat16EEESt5tupleIJNS8_6TensorESF_SF_EERKSF_lbbbEUlllE1_EE10hipError_tPvRmT2_T3_mT4_P12ihipStream_tbEUlT_E_NS1_11comp_targetILNS1_3genE3ELNS1_11target_archE908ELNS1_3gpuE7ELNS1_3repE0EEENS1_30default_config_static_selectorELNS0_4arch9wavefront6targetE1EEEvT1_.kd
    .uniform_work_group_size: 1
    .uses_dynamic_stack: false
    .vgpr_count:     0
    .vgpr_spill_count: 0
    .wavefront_size: 64
  - .agpr_count:     0
    .args:
      - .offset:         0
        .size:           64
        .value_kind:     by_value
    .group_segment_fixed_size: 0
    .kernarg_segment_align: 8
    .kernarg_segment_size: 64
    .language:       OpenCL C
    .language_version:
      - 2
      - 0
    .max_flat_workgroup_size: 128
    .name:           _ZN7rocprim17ROCPRIM_400000_NS6detail17trampoline_kernelINS0_14default_configENS1_35adjacent_difference_config_selectorILb0ElEEZNS1_24adjacent_difference_implIS3_Lb0ELb0EPlS7_ZN2at6native12_GLOBAL__N_124unique_dim_cuda_templateIN3c108BFloat16EEESt5tupleIJNS8_6TensorESF_SF_EERKSF_lbbbEUlllE1_EE10hipError_tPvRmT2_T3_mT4_P12ihipStream_tbEUlT_E_NS1_11comp_targetILNS1_3genE2ELNS1_11target_archE906ELNS1_3gpuE6ELNS1_3repE0EEENS1_30default_config_static_selectorELNS0_4arch9wavefront6targetE1EEEvT1_
    .private_segment_fixed_size: 0
    .sgpr_count:     4
    .sgpr_spill_count: 0
    .symbol:         _ZN7rocprim17ROCPRIM_400000_NS6detail17trampoline_kernelINS0_14default_configENS1_35adjacent_difference_config_selectorILb0ElEEZNS1_24adjacent_difference_implIS3_Lb0ELb0EPlS7_ZN2at6native12_GLOBAL__N_124unique_dim_cuda_templateIN3c108BFloat16EEESt5tupleIJNS8_6TensorESF_SF_EERKSF_lbbbEUlllE1_EE10hipError_tPvRmT2_T3_mT4_P12ihipStream_tbEUlT_E_NS1_11comp_targetILNS1_3genE2ELNS1_11target_archE906ELNS1_3gpuE6ELNS1_3repE0EEENS1_30default_config_static_selectorELNS0_4arch9wavefront6targetE1EEEvT1_.kd
    .uniform_work_group_size: 1
    .uses_dynamic_stack: false
    .vgpr_count:     0
    .vgpr_spill_count: 0
    .wavefront_size: 64
  - .agpr_count:     0
    .args:
      - .offset:         0
        .size:           64
        .value_kind:     by_value
    .group_segment_fixed_size: 0
    .kernarg_segment_align: 8
    .kernarg_segment_size: 64
    .language:       OpenCL C
    .language_version:
      - 2
      - 0
    .max_flat_workgroup_size: 512
    .name:           _ZN7rocprim17ROCPRIM_400000_NS6detail17trampoline_kernelINS0_14default_configENS1_35adjacent_difference_config_selectorILb0ElEEZNS1_24adjacent_difference_implIS3_Lb0ELb0EPlS7_ZN2at6native12_GLOBAL__N_124unique_dim_cuda_templateIN3c108BFloat16EEESt5tupleIJNS8_6TensorESF_SF_EERKSF_lbbbEUlllE1_EE10hipError_tPvRmT2_T3_mT4_P12ihipStream_tbEUlT_E_NS1_11comp_targetILNS1_3genE9ELNS1_11target_archE1100ELNS1_3gpuE3ELNS1_3repE0EEENS1_30default_config_static_selectorELNS0_4arch9wavefront6targetE1EEEvT1_
    .private_segment_fixed_size: 0
    .sgpr_count:     4
    .sgpr_spill_count: 0
    .symbol:         _ZN7rocprim17ROCPRIM_400000_NS6detail17trampoline_kernelINS0_14default_configENS1_35adjacent_difference_config_selectorILb0ElEEZNS1_24adjacent_difference_implIS3_Lb0ELb0EPlS7_ZN2at6native12_GLOBAL__N_124unique_dim_cuda_templateIN3c108BFloat16EEESt5tupleIJNS8_6TensorESF_SF_EERKSF_lbbbEUlllE1_EE10hipError_tPvRmT2_T3_mT4_P12ihipStream_tbEUlT_E_NS1_11comp_targetILNS1_3genE9ELNS1_11target_archE1100ELNS1_3gpuE3ELNS1_3repE0EEENS1_30default_config_static_selectorELNS0_4arch9wavefront6targetE1EEEvT1_.kd
    .uniform_work_group_size: 1
    .uses_dynamic_stack: false
    .vgpr_count:     0
    .vgpr_spill_count: 0
    .wavefront_size: 64
  - .agpr_count:     0
    .args:
      - .offset:         0
        .size:           64
        .value_kind:     by_value
    .group_segment_fixed_size: 0
    .kernarg_segment_align: 8
    .kernarg_segment_size: 64
    .language:       OpenCL C
    .language_version:
      - 2
      - 0
    .max_flat_workgroup_size: 1024
    .name:           _ZN7rocprim17ROCPRIM_400000_NS6detail17trampoline_kernelINS0_14default_configENS1_35adjacent_difference_config_selectorILb0ElEEZNS1_24adjacent_difference_implIS3_Lb0ELb0EPlS7_ZN2at6native12_GLOBAL__N_124unique_dim_cuda_templateIN3c108BFloat16EEESt5tupleIJNS8_6TensorESF_SF_EERKSF_lbbbEUlllE1_EE10hipError_tPvRmT2_T3_mT4_P12ihipStream_tbEUlT_E_NS1_11comp_targetILNS1_3genE8ELNS1_11target_archE1030ELNS1_3gpuE2ELNS1_3repE0EEENS1_30default_config_static_selectorELNS0_4arch9wavefront6targetE1EEEvT1_
    .private_segment_fixed_size: 0
    .sgpr_count:     4
    .sgpr_spill_count: 0
    .symbol:         _ZN7rocprim17ROCPRIM_400000_NS6detail17trampoline_kernelINS0_14default_configENS1_35adjacent_difference_config_selectorILb0ElEEZNS1_24adjacent_difference_implIS3_Lb0ELb0EPlS7_ZN2at6native12_GLOBAL__N_124unique_dim_cuda_templateIN3c108BFloat16EEESt5tupleIJNS8_6TensorESF_SF_EERKSF_lbbbEUlllE1_EE10hipError_tPvRmT2_T3_mT4_P12ihipStream_tbEUlT_E_NS1_11comp_targetILNS1_3genE8ELNS1_11target_archE1030ELNS1_3gpuE2ELNS1_3repE0EEENS1_30default_config_static_selectorELNS0_4arch9wavefront6targetE1EEEvT1_.kd
    .uniform_work_group_size: 1
    .uses_dynamic_stack: false
    .vgpr_count:     0
    .vgpr_spill_count: 0
    .wavefront_size: 64
  - .agpr_count:     0
    .args:
      - .offset:         0
        .size:           56
        .value_kind:     by_value
    .group_segment_fixed_size: 0
    .kernarg_segment_align: 8
    .kernarg_segment_size: 56
    .language:       OpenCL C
    .language_version:
      - 2
      - 0
    .max_flat_workgroup_size: 128
    .name:           _ZN7rocprim17ROCPRIM_400000_NS6detail17trampoline_kernelINS0_14default_configENS1_25transform_config_selectorIlLb0EEEZNS1_14transform_implILb0ES3_S5_NS0_18transform_iteratorINS0_17counting_iteratorImlEEZNS1_24adjacent_difference_implIS3_Lb1ELb0EPlSB_ZN2at6native12_GLOBAL__N_124unique_dim_cuda_templateIN3c108BFloat16EEESt5tupleIJNSC_6TensorESJ_SJ_EERKSJ_lbbbEUlllE1_EE10hipError_tPvRmT2_T3_mT4_P12ihipStream_tbEUlmE_lEESB_NS0_8identityIvEEEESO_SR_SS_mST_SV_bEUlT_E_NS1_11comp_targetILNS1_3genE0ELNS1_11target_archE4294967295ELNS1_3gpuE0ELNS1_3repE0EEENS1_30default_config_static_selectorELNS0_4arch9wavefront6targetE1EEEvT1_
    .private_segment_fixed_size: 0
    .sgpr_count:     4
    .sgpr_spill_count: 0
    .symbol:         _ZN7rocprim17ROCPRIM_400000_NS6detail17trampoline_kernelINS0_14default_configENS1_25transform_config_selectorIlLb0EEEZNS1_14transform_implILb0ES3_S5_NS0_18transform_iteratorINS0_17counting_iteratorImlEEZNS1_24adjacent_difference_implIS3_Lb1ELb0EPlSB_ZN2at6native12_GLOBAL__N_124unique_dim_cuda_templateIN3c108BFloat16EEESt5tupleIJNSC_6TensorESJ_SJ_EERKSJ_lbbbEUlllE1_EE10hipError_tPvRmT2_T3_mT4_P12ihipStream_tbEUlmE_lEESB_NS0_8identityIvEEEESO_SR_SS_mST_SV_bEUlT_E_NS1_11comp_targetILNS1_3genE0ELNS1_11target_archE4294967295ELNS1_3gpuE0ELNS1_3repE0EEENS1_30default_config_static_selectorELNS0_4arch9wavefront6targetE1EEEvT1_.kd
    .uniform_work_group_size: 1
    .uses_dynamic_stack: false
    .vgpr_count:     0
    .vgpr_spill_count: 0
    .wavefront_size: 64
  - .agpr_count:     0
    .args:
      - .offset:         0
        .size:           56
        .value_kind:     by_value
    .group_segment_fixed_size: 0
    .kernarg_segment_align: 8
    .kernarg_segment_size: 56
    .language:       OpenCL C
    .language_version:
      - 2
      - 0
    .max_flat_workgroup_size: 512
    .name:           _ZN7rocprim17ROCPRIM_400000_NS6detail17trampoline_kernelINS0_14default_configENS1_25transform_config_selectorIlLb0EEEZNS1_14transform_implILb0ES3_S5_NS0_18transform_iteratorINS0_17counting_iteratorImlEEZNS1_24adjacent_difference_implIS3_Lb1ELb0EPlSB_ZN2at6native12_GLOBAL__N_124unique_dim_cuda_templateIN3c108BFloat16EEESt5tupleIJNSC_6TensorESJ_SJ_EERKSJ_lbbbEUlllE1_EE10hipError_tPvRmT2_T3_mT4_P12ihipStream_tbEUlmE_lEESB_NS0_8identityIvEEEESO_SR_SS_mST_SV_bEUlT_E_NS1_11comp_targetILNS1_3genE5ELNS1_11target_archE942ELNS1_3gpuE9ELNS1_3repE0EEENS1_30default_config_static_selectorELNS0_4arch9wavefront6targetE1EEEvT1_
    .private_segment_fixed_size: 0
    .sgpr_count:     4
    .sgpr_spill_count: 0
    .symbol:         _ZN7rocprim17ROCPRIM_400000_NS6detail17trampoline_kernelINS0_14default_configENS1_25transform_config_selectorIlLb0EEEZNS1_14transform_implILb0ES3_S5_NS0_18transform_iteratorINS0_17counting_iteratorImlEEZNS1_24adjacent_difference_implIS3_Lb1ELb0EPlSB_ZN2at6native12_GLOBAL__N_124unique_dim_cuda_templateIN3c108BFloat16EEESt5tupleIJNSC_6TensorESJ_SJ_EERKSJ_lbbbEUlllE1_EE10hipError_tPvRmT2_T3_mT4_P12ihipStream_tbEUlmE_lEESB_NS0_8identityIvEEEESO_SR_SS_mST_SV_bEUlT_E_NS1_11comp_targetILNS1_3genE5ELNS1_11target_archE942ELNS1_3gpuE9ELNS1_3repE0EEENS1_30default_config_static_selectorELNS0_4arch9wavefront6targetE1EEEvT1_.kd
    .uniform_work_group_size: 1
    .uses_dynamic_stack: false
    .vgpr_count:     0
    .vgpr_spill_count: 0
    .wavefront_size: 64
  - .agpr_count:     0
    .args:
      - .offset:         0
        .size:           56
        .value_kind:     by_value
      - .offset:         56
        .size:           4
        .value_kind:     hidden_block_count_x
      - .offset:         60
        .size:           4
        .value_kind:     hidden_block_count_y
      - .offset:         64
        .size:           4
        .value_kind:     hidden_block_count_z
      - .offset:         68
        .size:           2
        .value_kind:     hidden_group_size_x
      - .offset:         70
        .size:           2
        .value_kind:     hidden_group_size_y
      - .offset:         72
        .size:           2
        .value_kind:     hidden_group_size_z
      - .offset:         74
        .size:           2
        .value_kind:     hidden_remainder_x
      - .offset:         76
        .size:           2
        .value_kind:     hidden_remainder_y
      - .offset:         78
        .size:           2
        .value_kind:     hidden_remainder_z
      - .offset:         96
        .size:           8
        .value_kind:     hidden_global_offset_x
      - .offset:         104
        .size:           8
        .value_kind:     hidden_global_offset_y
      - .offset:         112
        .size:           8
        .value_kind:     hidden_global_offset_z
      - .offset:         120
        .size:           2
        .value_kind:     hidden_grid_dims
    .group_segment_fixed_size: 0
    .kernarg_segment_align: 8
    .kernarg_segment_size: 312
    .language:       OpenCL C
    .language_version:
      - 2
      - 0
    .max_flat_workgroup_size: 256
    .name:           _ZN7rocprim17ROCPRIM_400000_NS6detail17trampoline_kernelINS0_14default_configENS1_25transform_config_selectorIlLb0EEEZNS1_14transform_implILb0ES3_S5_NS0_18transform_iteratorINS0_17counting_iteratorImlEEZNS1_24adjacent_difference_implIS3_Lb1ELb0EPlSB_ZN2at6native12_GLOBAL__N_124unique_dim_cuda_templateIN3c108BFloat16EEESt5tupleIJNSC_6TensorESJ_SJ_EERKSJ_lbbbEUlllE1_EE10hipError_tPvRmT2_T3_mT4_P12ihipStream_tbEUlmE_lEESB_NS0_8identityIvEEEESO_SR_SS_mST_SV_bEUlT_E_NS1_11comp_targetILNS1_3genE4ELNS1_11target_archE910ELNS1_3gpuE8ELNS1_3repE0EEENS1_30default_config_static_selectorELNS0_4arch9wavefront6targetE1EEEvT1_
    .private_segment_fixed_size: 0
    .sgpr_count:     22
    .sgpr_spill_count: 0
    .symbol:         _ZN7rocprim17ROCPRIM_400000_NS6detail17trampoline_kernelINS0_14default_configENS1_25transform_config_selectorIlLb0EEEZNS1_14transform_implILb0ES3_S5_NS0_18transform_iteratorINS0_17counting_iteratorImlEEZNS1_24adjacent_difference_implIS3_Lb1ELb0EPlSB_ZN2at6native12_GLOBAL__N_124unique_dim_cuda_templateIN3c108BFloat16EEESt5tupleIJNSC_6TensorESJ_SJ_EERKSJ_lbbbEUlllE1_EE10hipError_tPvRmT2_T3_mT4_P12ihipStream_tbEUlmE_lEESB_NS0_8identityIvEEEESO_SR_SS_mST_SV_bEUlT_E_NS1_11comp_targetILNS1_3genE4ELNS1_11target_archE910ELNS1_3gpuE8ELNS1_3repE0EEENS1_30default_config_static_selectorELNS0_4arch9wavefront6targetE1EEEvT1_.kd
    .uniform_work_group_size: 1
    .uses_dynamic_stack: false
    .vgpr_count:     10
    .vgpr_spill_count: 0
    .wavefront_size: 64
  - .agpr_count:     0
    .args:
      - .offset:         0
        .size:           56
        .value_kind:     by_value
    .group_segment_fixed_size: 0
    .kernarg_segment_align: 8
    .kernarg_segment_size: 56
    .language:       OpenCL C
    .language_version:
      - 2
      - 0
    .max_flat_workgroup_size: 128
    .name:           _ZN7rocprim17ROCPRIM_400000_NS6detail17trampoline_kernelINS0_14default_configENS1_25transform_config_selectorIlLb0EEEZNS1_14transform_implILb0ES3_S5_NS0_18transform_iteratorINS0_17counting_iteratorImlEEZNS1_24adjacent_difference_implIS3_Lb1ELb0EPlSB_ZN2at6native12_GLOBAL__N_124unique_dim_cuda_templateIN3c108BFloat16EEESt5tupleIJNSC_6TensorESJ_SJ_EERKSJ_lbbbEUlllE1_EE10hipError_tPvRmT2_T3_mT4_P12ihipStream_tbEUlmE_lEESB_NS0_8identityIvEEEESO_SR_SS_mST_SV_bEUlT_E_NS1_11comp_targetILNS1_3genE3ELNS1_11target_archE908ELNS1_3gpuE7ELNS1_3repE0EEENS1_30default_config_static_selectorELNS0_4arch9wavefront6targetE1EEEvT1_
    .private_segment_fixed_size: 0
    .sgpr_count:     4
    .sgpr_spill_count: 0
    .symbol:         _ZN7rocprim17ROCPRIM_400000_NS6detail17trampoline_kernelINS0_14default_configENS1_25transform_config_selectorIlLb0EEEZNS1_14transform_implILb0ES3_S5_NS0_18transform_iteratorINS0_17counting_iteratorImlEEZNS1_24adjacent_difference_implIS3_Lb1ELb0EPlSB_ZN2at6native12_GLOBAL__N_124unique_dim_cuda_templateIN3c108BFloat16EEESt5tupleIJNSC_6TensorESJ_SJ_EERKSJ_lbbbEUlllE1_EE10hipError_tPvRmT2_T3_mT4_P12ihipStream_tbEUlmE_lEESB_NS0_8identityIvEEEESO_SR_SS_mST_SV_bEUlT_E_NS1_11comp_targetILNS1_3genE3ELNS1_11target_archE908ELNS1_3gpuE7ELNS1_3repE0EEENS1_30default_config_static_selectorELNS0_4arch9wavefront6targetE1EEEvT1_.kd
    .uniform_work_group_size: 1
    .uses_dynamic_stack: false
    .vgpr_count:     0
    .vgpr_spill_count: 0
    .wavefront_size: 64
  - .agpr_count:     0
    .args:
      - .offset:         0
        .size:           56
        .value_kind:     by_value
    .group_segment_fixed_size: 0
    .kernarg_segment_align: 8
    .kernarg_segment_size: 56
    .language:       OpenCL C
    .language_version:
      - 2
      - 0
    .max_flat_workgroup_size: 512
    .name:           _ZN7rocprim17ROCPRIM_400000_NS6detail17trampoline_kernelINS0_14default_configENS1_25transform_config_selectorIlLb0EEEZNS1_14transform_implILb0ES3_S5_NS0_18transform_iteratorINS0_17counting_iteratorImlEEZNS1_24adjacent_difference_implIS3_Lb1ELb0EPlSB_ZN2at6native12_GLOBAL__N_124unique_dim_cuda_templateIN3c108BFloat16EEESt5tupleIJNSC_6TensorESJ_SJ_EERKSJ_lbbbEUlllE1_EE10hipError_tPvRmT2_T3_mT4_P12ihipStream_tbEUlmE_lEESB_NS0_8identityIvEEEESO_SR_SS_mST_SV_bEUlT_E_NS1_11comp_targetILNS1_3genE2ELNS1_11target_archE906ELNS1_3gpuE6ELNS1_3repE0EEENS1_30default_config_static_selectorELNS0_4arch9wavefront6targetE1EEEvT1_
    .private_segment_fixed_size: 0
    .sgpr_count:     4
    .sgpr_spill_count: 0
    .symbol:         _ZN7rocprim17ROCPRIM_400000_NS6detail17trampoline_kernelINS0_14default_configENS1_25transform_config_selectorIlLb0EEEZNS1_14transform_implILb0ES3_S5_NS0_18transform_iteratorINS0_17counting_iteratorImlEEZNS1_24adjacent_difference_implIS3_Lb1ELb0EPlSB_ZN2at6native12_GLOBAL__N_124unique_dim_cuda_templateIN3c108BFloat16EEESt5tupleIJNSC_6TensorESJ_SJ_EERKSJ_lbbbEUlllE1_EE10hipError_tPvRmT2_T3_mT4_P12ihipStream_tbEUlmE_lEESB_NS0_8identityIvEEEESO_SR_SS_mST_SV_bEUlT_E_NS1_11comp_targetILNS1_3genE2ELNS1_11target_archE906ELNS1_3gpuE6ELNS1_3repE0EEENS1_30default_config_static_selectorELNS0_4arch9wavefront6targetE1EEEvT1_.kd
    .uniform_work_group_size: 1
    .uses_dynamic_stack: false
    .vgpr_count:     0
    .vgpr_spill_count: 0
    .wavefront_size: 64
  - .agpr_count:     0
    .args:
      - .offset:         0
        .size:           56
        .value_kind:     by_value
    .group_segment_fixed_size: 0
    .kernarg_segment_align: 8
    .kernarg_segment_size: 56
    .language:       OpenCL C
    .language_version:
      - 2
      - 0
    .max_flat_workgroup_size: 1024
    .name:           _ZN7rocprim17ROCPRIM_400000_NS6detail17trampoline_kernelINS0_14default_configENS1_25transform_config_selectorIlLb0EEEZNS1_14transform_implILb0ES3_S5_NS0_18transform_iteratorINS0_17counting_iteratorImlEEZNS1_24adjacent_difference_implIS3_Lb1ELb0EPlSB_ZN2at6native12_GLOBAL__N_124unique_dim_cuda_templateIN3c108BFloat16EEESt5tupleIJNSC_6TensorESJ_SJ_EERKSJ_lbbbEUlllE1_EE10hipError_tPvRmT2_T3_mT4_P12ihipStream_tbEUlmE_lEESB_NS0_8identityIvEEEESO_SR_SS_mST_SV_bEUlT_E_NS1_11comp_targetILNS1_3genE10ELNS1_11target_archE1201ELNS1_3gpuE5ELNS1_3repE0EEENS1_30default_config_static_selectorELNS0_4arch9wavefront6targetE1EEEvT1_
    .private_segment_fixed_size: 0
    .sgpr_count:     4
    .sgpr_spill_count: 0
    .symbol:         _ZN7rocprim17ROCPRIM_400000_NS6detail17trampoline_kernelINS0_14default_configENS1_25transform_config_selectorIlLb0EEEZNS1_14transform_implILb0ES3_S5_NS0_18transform_iteratorINS0_17counting_iteratorImlEEZNS1_24adjacent_difference_implIS3_Lb1ELb0EPlSB_ZN2at6native12_GLOBAL__N_124unique_dim_cuda_templateIN3c108BFloat16EEESt5tupleIJNSC_6TensorESJ_SJ_EERKSJ_lbbbEUlllE1_EE10hipError_tPvRmT2_T3_mT4_P12ihipStream_tbEUlmE_lEESB_NS0_8identityIvEEEESO_SR_SS_mST_SV_bEUlT_E_NS1_11comp_targetILNS1_3genE10ELNS1_11target_archE1201ELNS1_3gpuE5ELNS1_3repE0EEENS1_30default_config_static_selectorELNS0_4arch9wavefront6targetE1EEEvT1_.kd
    .uniform_work_group_size: 1
    .uses_dynamic_stack: false
    .vgpr_count:     0
    .vgpr_spill_count: 0
    .wavefront_size: 64
  - .agpr_count:     0
    .args:
      - .offset:         0
        .size:           56
        .value_kind:     by_value
    .group_segment_fixed_size: 0
    .kernarg_segment_align: 8
    .kernarg_segment_size: 56
    .language:       OpenCL C
    .language_version:
      - 2
      - 0
    .max_flat_workgroup_size: 512
    .name:           _ZN7rocprim17ROCPRIM_400000_NS6detail17trampoline_kernelINS0_14default_configENS1_25transform_config_selectorIlLb0EEEZNS1_14transform_implILb0ES3_S5_NS0_18transform_iteratorINS0_17counting_iteratorImlEEZNS1_24adjacent_difference_implIS3_Lb1ELb0EPlSB_ZN2at6native12_GLOBAL__N_124unique_dim_cuda_templateIN3c108BFloat16EEESt5tupleIJNSC_6TensorESJ_SJ_EERKSJ_lbbbEUlllE1_EE10hipError_tPvRmT2_T3_mT4_P12ihipStream_tbEUlmE_lEESB_NS0_8identityIvEEEESO_SR_SS_mST_SV_bEUlT_E_NS1_11comp_targetILNS1_3genE10ELNS1_11target_archE1200ELNS1_3gpuE4ELNS1_3repE0EEENS1_30default_config_static_selectorELNS0_4arch9wavefront6targetE1EEEvT1_
    .private_segment_fixed_size: 0
    .sgpr_count:     4
    .sgpr_spill_count: 0
    .symbol:         _ZN7rocprim17ROCPRIM_400000_NS6detail17trampoline_kernelINS0_14default_configENS1_25transform_config_selectorIlLb0EEEZNS1_14transform_implILb0ES3_S5_NS0_18transform_iteratorINS0_17counting_iteratorImlEEZNS1_24adjacent_difference_implIS3_Lb1ELb0EPlSB_ZN2at6native12_GLOBAL__N_124unique_dim_cuda_templateIN3c108BFloat16EEESt5tupleIJNSC_6TensorESJ_SJ_EERKSJ_lbbbEUlllE1_EE10hipError_tPvRmT2_T3_mT4_P12ihipStream_tbEUlmE_lEESB_NS0_8identityIvEEEESO_SR_SS_mST_SV_bEUlT_E_NS1_11comp_targetILNS1_3genE10ELNS1_11target_archE1200ELNS1_3gpuE4ELNS1_3repE0EEENS1_30default_config_static_selectorELNS0_4arch9wavefront6targetE1EEEvT1_.kd
    .uniform_work_group_size: 1
    .uses_dynamic_stack: false
    .vgpr_count:     0
    .vgpr_spill_count: 0
    .wavefront_size: 64
  - .agpr_count:     0
    .args:
      - .offset:         0
        .size:           56
        .value_kind:     by_value
    .group_segment_fixed_size: 0
    .kernarg_segment_align: 8
    .kernarg_segment_size: 56
    .language:       OpenCL C
    .language_version:
      - 2
      - 0
    .max_flat_workgroup_size: 512
    .name:           _ZN7rocprim17ROCPRIM_400000_NS6detail17trampoline_kernelINS0_14default_configENS1_25transform_config_selectorIlLb0EEEZNS1_14transform_implILb0ES3_S5_NS0_18transform_iteratorINS0_17counting_iteratorImlEEZNS1_24adjacent_difference_implIS3_Lb1ELb0EPlSB_ZN2at6native12_GLOBAL__N_124unique_dim_cuda_templateIN3c108BFloat16EEESt5tupleIJNSC_6TensorESJ_SJ_EERKSJ_lbbbEUlllE1_EE10hipError_tPvRmT2_T3_mT4_P12ihipStream_tbEUlmE_lEESB_NS0_8identityIvEEEESO_SR_SS_mST_SV_bEUlT_E_NS1_11comp_targetILNS1_3genE9ELNS1_11target_archE1100ELNS1_3gpuE3ELNS1_3repE0EEENS1_30default_config_static_selectorELNS0_4arch9wavefront6targetE1EEEvT1_
    .private_segment_fixed_size: 0
    .sgpr_count:     4
    .sgpr_spill_count: 0
    .symbol:         _ZN7rocprim17ROCPRIM_400000_NS6detail17trampoline_kernelINS0_14default_configENS1_25transform_config_selectorIlLb0EEEZNS1_14transform_implILb0ES3_S5_NS0_18transform_iteratorINS0_17counting_iteratorImlEEZNS1_24adjacent_difference_implIS3_Lb1ELb0EPlSB_ZN2at6native12_GLOBAL__N_124unique_dim_cuda_templateIN3c108BFloat16EEESt5tupleIJNSC_6TensorESJ_SJ_EERKSJ_lbbbEUlllE1_EE10hipError_tPvRmT2_T3_mT4_P12ihipStream_tbEUlmE_lEESB_NS0_8identityIvEEEESO_SR_SS_mST_SV_bEUlT_E_NS1_11comp_targetILNS1_3genE9ELNS1_11target_archE1100ELNS1_3gpuE3ELNS1_3repE0EEENS1_30default_config_static_selectorELNS0_4arch9wavefront6targetE1EEEvT1_.kd
    .uniform_work_group_size: 1
    .uses_dynamic_stack: false
    .vgpr_count:     0
    .vgpr_spill_count: 0
    .wavefront_size: 64
  - .agpr_count:     0
    .args:
      - .offset:         0
        .size:           56
        .value_kind:     by_value
    .group_segment_fixed_size: 0
    .kernarg_segment_align: 8
    .kernarg_segment_size: 56
    .language:       OpenCL C
    .language_version:
      - 2
      - 0
    .max_flat_workgroup_size: 512
    .name:           _ZN7rocprim17ROCPRIM_400000_NS6detail17trampoline_kernelINS0_14default_configENS1_25transform_config_selectorIlLb0EEEZNS1_14transform_implILb0ES3_S5_NS0_18transform_iteratorINS0_17counting_iteratorImlEEZNS1_24adjacent_difference_implIS3_Lb1ELb0EPlSB_ZN2at6native12_GLOBAL__N_124unique_dim_cuda_templateIN3c108BFloat16EEESt5tupleIJNSC_6TensorESJ_SJ_EERKSJ_lbbbEUlllE1_EE10hipError_tPvRmT2_T3_mT4_P12ihipStream_tbEUlmE_lEESB_NS0_8identityIvEEEESO_SR_SS_mST_SV_bEUlT_E_NS1_11comp_targetILNS1_3genE8ELNS1_11target_archE1030ELNS1_3gpuE2ELNS1_3repE0EEENS1_30default_config_static_selectorELNS0_4arch9wavefront6targetE1EEEvT1_
    .private_segment_fixed_size: 0
    .sgpr_count:     4
    .sgpr_spill_count: 0
    .symbol:         _ZN7rocprim17ROCPRIM_400000_NS6detail17trampoline_kernelINS0_14default_configENS1_25transform_config_selectorIlLb0EEEZNS1_14transform_implILb0ES3_S5_NS0_18transform_iteratorINS0_17counting_iteratorImlEEZNS1_24adjacent_difference_implIS3_Lb1ELb0EPlSB_ZN2at6native12_GLOBAL__N_124unique_dim_cuda_templateIN3c108BFloat16EEESt5tupleIJNSC_6TensorESJ_SJ_EERKSJ_lbbbEUlllE1_EE10hipError_tPvRmT2_T3_mT4_P12ihipStream_tbEUlmE_lEESB_NS0_8identityIvEEEESO_SR_SS_mST_SV_bEUlT_E_NS1_11comp_targetILNS1_3genE8ELNS1_11target_archE1030ELNS1_3gpuE2ELNS1_3repE0EEENS1_30default_config_static_selectorELNS0_4arch9wavefront6targetE1EEEvT1_.kd
    .uniform_work_group_size: 1
    .uses_dynamic_stack: false
    .vgpr_count:     0
    .vgpr_spill_count: 0
    .wavefront_size: 64
  - .agpr_count:     0
    .args:
      - .offset:         0
        .size:           64
        .value_kind:     by_value
    .group_segment_fixed_size: 0
    .kernarg_segment_align: 8
    .kernarg_segment_size: 64
    .language:       OpenCL C
    .language_version:
      - 2
      - 0
    .max_flat_workgroup_size: 512
    .name:           _ZN7rocprim17ROCPRIM_400000_NS6detail17trampoline_kernelINS0_14default_configENS1_35adjacent_difference_config_selectorILb1ElEEZNS1_24adjacent_difference_implIS3_Lb1ELb0EPlS7_ZN2at6native12_GLOBAL__N_124unique_dim_cuda_templateIN3c108BFloat16EEESt5tupleIJNS8_6TensorESF_SF_EERKSF_lbbbEUlllE1_EE10hipError_tPvRmT2_T3_mT4_P12ihipStream_tbEUlT_E_NS1_11comp_targetILNS1_3genE0ELNS1_11target_archE4294967295ELNS1_3gpuE0ELNS1_3repE0EEENS1_30default_config_static_selectorELNS0_4arch9wavefront6targetE1EEEvT1_
    .private_segment_fixed_size: 0
    .sgpr_count:     4
    .sgpr_spill_count: 0
    .symbol:         _ZN7rocprim17ROCPRIM_400000_NS6detail17trampoline_kernelINS0_14default_configENS1_35adjacent_difference_config_selectorILb1ElEEZNS1_24adjacent_difference_implIS3_Lb1ELb0EPlS7_ZN2at6native12_GLOBAL__N_124unique_dim_cuda_templateIN3c108BFloat16EEESt5tupleIJNS8_6TensorESF_SF_EERKSF_lbbbEUlllE1_EE10hipError_tPvRmT2_T3_mT4_P12ihipStream_tbEUlT_E_NS1_11comp_targetILNS1_3genE0ELNS1_11target_archE4294967295ELNS1_3gpuE0ELNS1_3repE0EEENS1_30default_config_static_selectorELNS0_4arch9wavefront6targetE1EEEvT1_.kd
    .uniform_work_group_size: 1
    .uses_dynamic_stack: false
    .vgpr_count:     0
    .vgpr_spill_count: 0
    .wavefront_size: 64
  - .agpr_count:     0
    .args:
      - .offset:         0
        .size:           64
        .value_kind:     by_value
    .group_segment_fixed_size: 0
    .kernarg_segment_align: 8
    .kernarg_segment_size: 64
    .language:       OpenCL C
    .language_version:
      - 2
      - 0
    .max_flat_workgroup_size: 32
    .name:           _ZN7rocprim17ROCPRIM_400000_NS6detail17trampoline_kernelINS0_14default_configENS1_35adjacent_difference_config_selectorILb1ElEEZNS1_24adjacent_difference_implIS3_Lb1ELb0EPlS7_ZN2at6native12_GLOBAL__N_124unique_dim_cuda_templateIN3c108BFloat16EEESt5tupleIJNS8_6TensorESF_SF_EERKSF_lbbbEUlllE1_EE10hipError_tPvRmT2_T3_mT4_P12ihipStream_tbEUlT_E_NS1_11comp_targetILNS1_3genE10ELNS1_11target_archE1201ELNS1_3gpuE5ELNS1_3repE0EEENS1_30default_config_static_selectorELNS0_4arch9wavefront6targetE1EEEvT1_
    .private_segment_fixed_size: 0
    .sgpr_count:     4
    .sgpr_spill_count: 0
    .symbol:         _ZN7rocprim17ROCPRIM_400000_NS6detail17trampoline_kernelINS0_14default_configENS1_35adjacent_difference_config_selectorILb1ElEEZNS1_24adjacent_difference_implIS3_Lb1ELb0EPlS7_ZN2at6native12_GLOBAL__N_124unique_dim_cuda_templateIN3c108BFloat16EEESt5tupleIJNS8_6TensorESF_SF_EERKSF_lbbbEUlllE1_EE10hipError_tPvRmT2_T3_mT4_P12ihipStream_tbEUlT_E_NS1_11comp_targetILNS1_3genE10ELNS1_11target_archE1201ELNS1_3gpuE5ELNS1_3repE0EEENS1_30default_config_static_selectorELNS0_4arch9wavefront6targetE1EEEvT1_.kd
    .uniform_work_group_size: 1
    .uses_dynamic_stack: false
    .vgpr_count:     0
    .vgpr_spill_count: 0
    .wavefront_size: 64
  - .agpr_count:     0
    .args:
      - .offset:         0
        .size:           64
        .value_kind:     by_value
    .group_segment_fixed_size: 0
    .kernarg_segment_align: 8
    .kernarg_segment_size: 64
    .language:       OpenCL C
    .language_version:
      - 2
      - 0
    .max_flat_workgroup_size: 256
    .name:           _ZN7rocprim17ROCPRIM_400000_NS6detail17trampoline_kernelINS0_14default_configENS1_35adjacent_difference_config_selectorILb1ElEEZNS1_24adjacent_difference_implIS3_Lb1ELb0EPlS7_ZN2at6native12_GLOBAL__N_124unique_dim_cuda_templateIN3c108BFloat16EEESt5tupleIJNS8_6TensorESF_SF_EERKSF_lbbbEUlllE1_EE10hipError_tPvRmT2_T3_mT4_P12ihipStream_tbEUlT_E_NS1_11comp_targetILNS1_3genE5ELNS1_11target_archE942ELNS1_3gpuE9ELNS1_3repE0EEENS1_30default_config_static_selectorELNS0_4arch9wavefront6targetE1EEEvT1_
    .private_segment_fixed_size: 0
    .sgpr_count:     4
    .sgpr_spill_count: 0
    .symbol:         _ZN7rocprim17ROCPRIM_400000_NS6detail17trampoline_kernelINS0_14default_configENS1_35adjacent_difference_config_selectorILb1ElEEZNS1_24adjacent_difference_implIS3_Lb1ELb0EPlS7_ZN2at6native12_GLOBAL__N_124unique_dim_cuda_templateIN3c108BFloat16EEESt5tupleIJNS8_6TensorESF_SF_EERKSF_lbbbEUlllE1_EE10hipError_tPvRmT2_T3_mT4_P12ihipStream_tbEUlT_E_NS1_11comp_targetILNS1_3genE5ELNS1_11target_archE942ELNS1_3gpuE9ELNS1_3repE0EEENS1_30default_config_static_selectorELNS0_4arch9wavefront6targetE1EEEvT1_.kd
    .uniform_work_group_size: 1
    .uses_dynamic_stack: false
    .vgpr_count:     0
    .vgpr_spill_count: 0
    .wavefront_size: 64
  - .agpr_count:     0
    .args:
      - .offset:         0
        .size:           64
        .value_kind:     by_value
    .group_segment_fixed_size: 8448
    .kernarg_segment_align: 8
    .kernarg_segment_size: 64
    .language:       OpenCL C
    .language_version:
      - 2
      - 0
    .max_flat_workgroup_size: 512
    .name:           _ZN7rocprim17ROCPRIM_400000_NS6detail17trampoline_kernelINS0_14default_configENS1_35adjacent_difference_config_selectorILb1ElEEZNS1_24adjacent_difference_implIS3_Lb1ELb0EPlS7_ZN2at6native12_GLOBAL__N_124unique_dim_cuda_templateIN3c108BFloat16EEESt5tupleIJNS8_6TensorESF_SF_EERKSF_lbbbEUlllE1_EE10hipError_tPvRmT2_T3_mT4_P12ihipStream_tbEUlT_E_NS1_11comp_targetILNS1_3genE4ELNS1_11target_archE910ELNS1_3gpuE8ELNS1_3repE0EEENS1_30default_config_static_selectorELNS0_4arch9wavefront6targetE1EEEvT1_
    .private_segment_fixed_size: 0
    .sgpr_count:     42
    .sgpr_spill_count: 0
    .symbol:         _ZN7rocprim17ROCPRIM_400000_NS6detail17trampoline_kernelINS0_14default_configENS1_35adjacent_difference_config_selectorILb1ElEEZNS1_24adjacent_difference_implIS3_Lb1ELb0EPlS7_ZN2at6native12_GLOBAL__N_124unique_dim_cuda_templateIN3c108BFloat16EEESt5tupleIJNS8_6TensorESF_SF_EERKSF_lbbbEUlllE1_EE10hipError_tPvRmT2_T3_mT4_P12ihipStream_tbEUlT_E_NS1_11comp_targetILNS1_3genE4ELNS1_11target_archE910ELNS1_3gpuE8ELNS1_3repE0EEENS1_30default_config_static_selectorELNS0_4arch9wavefront6targetE1EEEvT1_.kd
    .uniform_work_group_size: 1
    .uses_dynamic_stack: false
    .vgpr_count:     17
    .vgpr_spill_count: 0
    .wavefront_size: 64
  - .agpr_count:     0
    .args:
      - .offset:         0
        .size:           64
        .value_kind:     by_value
    .group_segment_fixed_size: 0
    .kernarg_segment_align: 8
    .kernarg_segment_size: 64
    .language:       OpenCL C
    .language_version:
      - 2
      - 0
    .max_flat_workgroup_size: 512
    .name:           _ZN7rocprim17ROCPRIM_400000_NS6detail17trampoline_kernelINS0_14default_configENS1_35adjacent_difference_config_selectorILb1ElEEZNS1_24adjacent_difference_implIS3_Lb1ELb0EPlS7_ZN2at6native12_GLOBAL__N_124unique_dim_cuda_templateIN3c108BFloat16EEESt5tupleIJNS8_6TensorESF_SF_EERKSF_lbbbEUlllE1_EE10hipError_tPvRmT2_T3_mT4_P12ihipStream_tbEUlT_E_NS1_11comp_targetILNS1_3genE3ELNS1_11target_archE908ELNS1_3gpuE7ELNS1_3repE0EEENS1_30default_config_static_selectorELNS0_4arch9wavefront6targetE1EEEvT1_
    .private_segment_fixed_size: 0
    .sgpr_count:     4
    .sgpr_spill_count: 0
    .symbol:         _ZN7rocprim17ROCPRIM_400000_NS6detail17trampoline_kernelINS0_14default_configENS1_35adjacent_difference_config_selectorILb1ElEEZNS1_24adjacent_difference_implIS3_Lb1ELb0EPlS7_ZN2at6native12_GLOBAL__N_124unique_dim_cuda_templateIN3c108BFloat16EEESt5tupleIJNS8_6TensorESF_SF_EERKSF_lbbbEUlllE1_EE10hipError_tPvRmT2_T3_mT4_P12ihipStream_tbEUlT_E_NS1_11comp_targetILNS1_3genE3ELNS1_11target_archE908ELNS1_3gpuE7ELNS1_3repE0EEENS1_30default_config_static_selectorELNS0_4arch9wavefront6targetE1EEEvT1_.kd
    .uniform_work_group_size: 1
    .uses_dynamic_stack: false
    .vgpr_count:     0
    .vgpr_spill_count: 0
    .wavefront_size: 64
  - .agpr_count:     0
    .args:
      - .offset:         0
        .size:           64
        .value_kind:     by_value
    .group_segment_fixed_size: 0
    .kernarg_segment_align: 8
    .kernarg_segment_size: 64
    .language:       OpenCL C
    .language_version:
      - 2
      - 0
    .max_flat_workgroup_size: 128
    .name:           _ZN7rocprim17ROCPRIM_400000_NS6detail17trampoline_kernelINS0_14default_configENS1_35adjacent_difference_config_selectorILb1ElEEZNS1_24adjacent_difference_implIS3_Lb1ELb0EPlS7_ZN2at6native12_GLOBAL__N_124unique_dim_cuda_templateIN3c108BFloat16EEESt5tupleIJNS8_6TensorESF_SF_EERKSF_lbbbEUlllE1_EE10hipError_tPvRmT2_T3_mT4_P12ihipStream_tbEUlT_E_NS1_11comp_targetILNS1_3genE2ELNS1_11target_archE906ELNS1_3gpuE6ELNS1_3repE0EEENS1_30default_config_static_selectorELNS0_4arch9wavefront6targetE1EEEvT1_
    .private_segment_fixed_size: 0
    .sgpr_count:     4
    .sgpr_spill_count: 0
    .symbol:         _ZN7rocprim17ROCPRIM_400000_NS6detail17trampoline_kernelINS0_14default_configENS1_35adjacent_difference_config_selectorILb1ElEEZNS1_24adjacent_difference_implIS3_Lb1ELb0EPlS7_ZN2at6native12_GLOBAL__N_124unique_dim_cuda_templateIN3c108BFloat16EEESt5tupleIJNS8_6TensorESF_SF_EERKSF_lbbbEUlllE1_EE10hipError_tPvRmT2_T3_mT4_P12ihipStream_tbEUlT_E_NS1_11comp_targetILNS1_3genE2ELNS1_11target_archE906ELNS1_3gpuE6ELNS1_3repE0EEENS1_30default_config_static_selectorELNS0_4arch9wavefront6targetE1EEEvT1_.kd
    .uniform_work_group_size: 1
    .uses_dynamic_stack: false
    .vgpr_count:     0
    .vgpr_spill_count: 0
    .wavefront_size: 64
  - .agpr_count:     0
    .args:
      - .offset:         0
        .size:           64
        .value_kind:     by_value
    .group_segment_fixed_size: 0
    .kernarg_segment_align: 8
    .kernarg_segment_size: 64
    .language:       OpenCL C
    .language_version:
      - 2
      - 0
    .max_flat_workgroup_size: 128
    .name:           _ZN7rocprim17ROCPRIM_400000_NS6detail17trampoline_kernelINS0_14default_configENS1_35adjacent_difference_config_selectorILb1ElEEZNS1_24adjacent_difference_implIS3_Lb1ELb0EPlS7_ZN2at6native12_GLOBAL__N_124unique_dim_cuda_templateIN3c108BFloat16EEESt5tupleIJNS8_6TensorESF_SF_EERKSF_lbbbEUlllE1_EE10hipError_tPvRmT2_T3_mT4_P12ihipStream_tbEUlT_E_NS1_11comp_targetILNS1_3genE9ELNS1_11target_archE1100ELNS1_3gpuE3ELNS1_3repE0EEENS1_30default_config_static_selectorELNS0_4arch9wavefront6targetE1EEEvT1_
    .private_segment_fixed_size: 0
    .sgpr_count:     4
    .sgpr_spill_count: 0
    .symbol:         _ZN7rocprim17ROCPRIM_400000_NS6detail17trampoline_kernelINS0_14default_configENS1_35adjacent_difference_config_selectorILb1ElEEZNS1_24adjacent_difference_implIS3_Lb1ELb0EPlS7_ZN2at6native12_GLOBAL__N_124unique_dim_cuda_templateIN3c108BFloat16EEESt5tupleIJNS8_6TensorESF_SF_EERKSF_lbbbEUlllE1_EE10hipError_tPvRmT2_T3_mT4_P12ihipStream_tbEUlT_E_NS1_11comp_targetILNS1_3genE9ELNS1_11target_archE1100ELNS1_3gpuE3ELNS1_3repE0EEENS1_30default_config_static_selectorELNS0_4arch9wavefront6targetE1EEEvT1_.kd
    .uniform_work_group_size: 1
    .uses_dynamic_stack: false
    .vgpr_count:     0
    .vgpr_spill_count: 0
    .wavefront_size: 64
  - .agpr_count:     0
    .args:
      - .offset:         0
        .size:           64
        .value_kind:     by_value
    .group_segment_fixed_size: 0
    .kernarg_segment_align: 8
    .kernarg_segment_size: 64
    .language:       OpenCL C
    .language_version:
      - 2
      - 0
    .max_flat_workgroup_size: 32
    .name:           _ZN7rocprim17ROCPRIM_400000_NS6detail17trampoline_kernelINS0_14default_configENS1_35adjacent_difference_config_selectorILb1ElEEZNS1_24adjacent_difference_implIS3_Lb1ELb0EPlS7_ZN2at6native12_GLOBAL__N_124unique_dim_cuda_templateIN3c108BFloat16EEESt5tupleIJNS8_6TensorESF_SF_EERKSF_lbbbEUlllE1_EE10hipError_tPvRmT2_T3_mT4_P12ihipStream_tbEUlT_E_NS1_11comp_targetILNS1_3genE8ELNS1_11target_archE1030ELNS1_3gpuE2ELNS1_3repE0EEENS1_30default_config_static_selectorELNS0_4arch9wavefront6targetE1EEEvT1_
    .private_segment_fixed_size: 0
    .sgpr_count:     4
    .sgpr_spill_count: 0
    .symbol:         _ZN7rocprim17ROCPRIM_400000_NS6detail17trampoline_kernelINS0_14default_configENS1_35adjacent_difference_config_selectorILb1ElEEZNS1_24adjacent_difference_implIS3_Lb1ELb0EPlS7_ZN2at6native12_GLOBAL__N_124unique_dim_cuda_templateIN3c108BFloat16EEESt5tupleIJNS8_6TensorESF_SF_EERKSF_lbbbEUlllE1_EE10hipError_tPvRmT2_T3_mT4_P12ihipStream_tbEUlT_E_NS1_11comp_targetILNS1_3genE8ELNS1_11target_archE1030ELNS1_3gpuE2ELNS1_3repE0EEENS1_30default_config_static_selectorELNS0_4arch9wavefront6targetE1EEEvT1_.kd
    .uniform_work_group_size: 1
    .uses_dynamic_stack: false
    .vgpr_count:     0
    .vgpr_spill_count: 0
    .wavefront_size: 64
  - .agpr_count:     0
    .args:
      - .offset:         0
        .size:           120
        .value_kind:     by_value
    .group_segment_fixed_size: 0
    .kernarg_segment_align: 8
    .kernarg_segment_size: 120
    .language:       OpenCL C
    .language_version:
      - 2
      - 0
    .max_flat_workgroup_size: 512
    .name:           _ZN7rocprim17ROCPRIM_400000_NS6detail17trampoline_kernelINS0_14default_configENS1_25partition_config_selectorILNS1_17partition_subalgoE8ElNS0_10empty_typeEbEEZZNS1_14partition_implILS5_8ELb0ES3_jPlPS6_PKS6_NS0_5tupleIJS9_S6_EEENSD_IJSA_SA_EEENS0_18inequality_wrapperIZN2at6native12_GLOBAL__N_124unique_dim_cuda_templateIN3c108BFloat16EEESt5tupleIJNSH_6TensorESO_SO_EERKSO_lbbbEUlllE0_EEPmJS6_EEE10hipError_tPvRmT3_T4_T5_T6_T7_T9_mT8_P12ihipStream_tbDpT10_ENKUlT_T0_E_clISt17integral_constantIbLb0EES1E_EEDaS19_S1A_EUlS19_E_NS1_11comp_targetILNS1_3genE0ELNS1_11target_archE4294967295ELNS1_3gpuE0ELNS1_3repE0EEENS1_30default_config_static_selectorELNS0_4arch9wavefront6targetE1EEEvT1_
    .private_segment_fixed_size: 0
    .sgpr_count:     4
    .sgpr_spill_count: 0
    .symbol:         _ZN7rocprim17ROCPRIM_400000_NS6detail17trampoline_kernelINS0_14default_configENS1_25partition_config_selectorILNS1_17partition_subalgoE8ElNS0_10empty_typeEbEEZZNS1_14partition_implILS5_8ELb0ES3_jPlPS6_PKS6_NS0_5tupleIJS9_S6_EEENSD_IJSA_SA_EEENS0_18inequality_wrapperIZN2at6native12_GLOBAL__N_124unique_dim_cuda_templateIN3c108BFloat16EEESt5tupleIJNSH_6TensorESO_SO_EERKSO_lbbbEUlllE0_EEPmJS6_EEE10hipError_tPvRmT3_T4_T5_T6_T7_T9_mT8_P12ihipStream_tbDpT10_ENKUlT_T0_E_clISt17integral_constantIbLb0EES1E_EEDaS19_S1A_EUlS19_E_NS1_11comp_targetILNS1_3genE0ELNS1_11target_archE4294967295ELNS1_3gpuE0ELNS1_3repE0EEENS1_30default_config_static_selectorELNS0_4arch9wavefront6targetE1EEEvT1_.kd
    .uniform_work_group_size: 1
    .uses_dynamic_stack: false
    .vgpr_count:     0
    .vgpr_spill_count: 0
    .wavefront_size: 64
  - .agpr_count:     0
    .args:
      - .offset:         0
        .size:           120
        .value_kind:     by_value
    .group_segment_fixed_size: 0
    .kernarg_segment_align: 8
    .kernarg_segment_size: 120
    .language:       OpenCL C
    .language_version:
      - 2
      - 0
    .max_flat_workgroup_size: 512
    .name:           _ZN7rocprim17ROCPRIM_400000_NS6detail17trampoline_kernelINS0_14default_configENS1_25partition_config_selectorILNS1_17partition_subalgoE8ElNS0_10empty_typeEbEEZZNS1_14partition_implILS5_8ELb0ES3_jPlPS6_PKS6_NS0_5tupleIJS9_S6_EEENSD_IJSA_SA_EEENS0_18inequality_wrapperIZN2at6native12_GLOBAL__N_124unique_dim_cuda_templateIN3c108BFloat16EEESt5tupleIJNSH_6TensorESO_SO_EERKSO_lbbbEUlllE0_EEPmJS6_EEE10hipError_tPvRmT3_T4_T5_T6_T7_T9_mT8_P12ihipStream_tbDpT10_ENKUlT_T0_E_clISt17integral_constantIbLb0EES1E_EEDaS19_S1A_EUlS19_E_NS1_11comp_targetILNS1_3genE5ELNS1_11target_archE942ELNS1_3gpuE9ELNS1_3repE0EEENS1_30default_config_static_selectorELNS0_4arch9wavefront6targetE1EEEvT1_
    .private_segment_fixed_size: 0
    .sgpr_count:     4
    .sgpr_spill_count: 0
    .symbol:         _ZN7rocprim17ROCPRIM_400000_NS6detail17trampoline_kernelINS0_14default_configENS1_25partition_config_selectorILNS1_17partition_subalgoE8ElNS0_10empty_typeEbEEZZNS1_14partition_implILS5_8ELb0ES3_jPlPS6_PKS6_NS0_5tupleIJS9_S6_EEENSD_IJSA_SA_EEENS0_18inequality_wrapperIZN2at6native12_GLOBAL__N_124unique_dim_cuda_templateIN3c108BFloat16EEESt5tupleIJNSH_6TensorESO_SO_EERKSO_lbbbEUlllE0_EEPmJS6_EEE10hipError_tPvRmT3_T4_T5_T6_T7_T9_mT8_P12ihipStream_tbDpT10_ENKUlT_T0_E_clISt17integral_constantIbLb0EES1E_EEDaS19_S1A_EUlS19_E_NS1_11comp_targetILNS1_3genE5ELNS1_11target_archE942ELNS1_3gpuE9ELNS1_3repE0EEENS1_30default_config_static_selectorELNS0_4arch9wavefront6targetE1EEEvT1_.kd
    .uniform_work_group_size: 1
    .uses_dynamic_stack: false
    .vgpr_count:     0
    .vgpr_spill_count: 0
    .wavefront_size: 64
  - .agpr_count:     0
    .args:
      - .offset:         0
        .size:           120
        .value_kind:     by_value
    .group_segment_fixed_size: 10252
    .kernarg_segment_align: 8
    .kernarg_segment_size: 120
    .language:       OpenCL C
    .language_version:
      - 2
      - 0
    .max_flat_workgroup_size: 256
    .name:           _ZN7rocprim17ROCPRIM_400000_NS6detail17trampoline_kernelINS0_14default_configENS1_25partition_config_selectorILNS1_17partition_subalgoE8ElNS0_10empty_typeEbEEZZNS1_14partition_implILS5_8ELb0ES3_jPlPS6_PKS6_NS0_5tupleIJS9_S6_EEENSD_IJSA_SA_EEENS0_18inequality_wrapperIZN2at6native12_GLOBAL__N_124unique_dim_cuda_templateIN3c108BFloat16EEESt5tupleIJNSH_6TensorESO_SO_EERKSO_lbbbEUlllE0_EEPmJS6_EEE10hipError_tPvRmT3_T4_T5_T6_T7_T9_mT8_P12ihipStream_tbDpT10_ENKUlT_T0_E_clISt17integral_constantIbLb0EES1E_EEDaS19_S1A_EUlS19_E_NS1_11comp_targetILNS1_3genE4ELNS1_11target_archE910ELNS1_3gpuE8ELNS1_3repE0EEENS1_30default_config_static_selectorELNS0_4arch9wavefront6targetE1EEEvT1_
    .private_segment_fixed_size: 0
    .sgpr_count:     52
    .sgpr_spill_count: 0
    .symbol:         _ZN7rocprim17ROCPRIM_400000_NS6detail17trampoline_kernelINS0_14default_configENS1_25partition_config_selectorILNS1_17partition_subalgoE8ElNS0_10empty_typeEbEEZZNS1_14partition_implILS5_8ELb0ES3_jPlPS6_PKS6_NS0_5tupleIJS9_S6_EEENSD_IJSA_SA_EEENS0_18inequality_wrapperIZN2at6native12_GLOBAL__N_124unique_dim_cuda_templateIN3c108BFloat16EEESt5tupleIJNSH_6TensorESO_SO_EERKSO_lbbbEUlllE0_EEPmJS6_EEE10hipError_tPvRmT3_T4_T5_T6_T7_T9_mT8_P12ihipStream_tbDpT10_ENKUlT_T0_E_clISt17integral_constantIbLb0EES1E_EEDaS19_S1A_EUlS19_E_NS1_11comp_targetILNS1_3genE4ELNS1_11target_archE910ELNS1_3gpuE8ELNS1_3repE0EEENS1_30default_config_static_selectorELNS0_4arch9wavefront6targetE1EEEvT1_.kd
    .uniform_work_group_size: 1
    .uses_dynamic_stack: false
    .vgpr_count:     46
    .vgpr_spill_count: 0
    .wavefront_size: 64
  - .agpr_count:     0
    .args:
      - .offset:         0
        .size:           120
        .value_kind:     by_value
    .group_segment_fixed_size: 0
    .kernarg_segment_align: 8
    .kernarg_segment_size: 120
    .language:       OpenCL C
    .language_version:
      - 2
      - 0
    .max_flat_workgroup_size: 512
    .name:           _ZN7rocprim17ROCPRIM_400000_NS6detail17trampoline_kernelINS0_14default_configENS1_25partition_config_selectorILNS1_17partition_subalgoE8ElNS0_10empty_typeEbEEZZNS1_14partition_implILS5_8ELb0ES3_jPlPS6_PKS6_NS0_5tupleIJS9_S6_EEENSD_IJSA_SA_EEENS0_18inequality_wrapperIZN2at6native12_GLOBAL__N_124unique_dim_cuda_templateIN3c108BFloat16EEESt5tupleIJNSH_6TensorESO_SO_EERKSO_lbbbEUlllE0_EEPmJS6_EEE10hipError_tPvRmT3_T4_T5_T6_T7_T9_mT8_P12ihipStream_tbDpT10_ENKUlT_T0_E_clISt17integral_constantIbLb0EES1E_EEDaS19_S1A_EUlS19_E_NS1_11comp_targetILNS1_3genE3ELNS1_11target_archE908ELNS1_3gpuE7ELNS1_3repE0EEENS1_30default_config_static_selectorELNS0_4arch9wavefront6targetE1EEEvT1_
    .private_segment_fixed_size: 0
    .sgpr_count:     4
    .sgpr_spill_count: 0
    .symbol:         _ZN7rocprim17ROCPRIM_400000_NS6detail17trampoline_kernelINS0_14default_configENS1_25partition_config_selectorILNS1_17partition_subalgoE8ElNS0_10empty_typeEbEEZZNS1_14partition_implILS5_8ELb0ES3_jPlPS6_PKS6_NS0_5tupleIJS9_S6_EEENSD_IJSA_SA_EEENS0_18inequality_wrapperIZN2at6native12_GLOBAL__N_124unique_dim_cuda_templateIN3c108BFloat16EEESt5tupleIJNSH_6TensorESO_SO_EERKSO_lbbbEUlllE0_EEPmJS6_EEE10hipError_tPvRmT3_T4_T5_T6_T7_T9_mT8_P12ihipStream_tbDpT10_ENKUlT_T0_E_clISt17integral_constantIbLb0EES1E_EEDaS19_S1A_EUlS19_E_NS1_11comp_targetILNS1_3genE3ELNS1_11target_archE908ELNS1_3gpuE7ELNS1_3repE0EEENS1_30default_config_static_selectorELNS0_4arch9wavefront6targetE1EEEvT1_.kd
    .uniform_work_group_size: 1
    .uses_dynamic_stack: false
    .vgpr_count:     0
    .vgpr_spill_count: 0
    .wavefront_size: 64
  - .agpr_count:     0
    .args:
      - .offset:         0
        .size:           120
        .value_kind:     by_value
    .group_segment_fixed_size: 0
    .kernarg_segment_align: 8
    .kernarg_segment_size: 120
    .language:       OpenCL C
    .language_version:
      - 2
      - 0
    .max_flat_workgroup_size: 256
    .name:           _ZN7rocprim17ROCPRIM_400000_NS6detail17trampoline_kernelINS0_14default_configENS1_25partition_config_selectorILNS1_17partition_subalgoE8ElNS0_10empty_typeEbEEZZNS1_14partition_implILS5_8ELb0ES3_jPlPS6_PKS6_NS0_5tupleIJS9_S6_EEENSD_IJSA_SA_EEENS0_18inequality_wrapperIZN2at6native12_GLOBAL__N_124unique_dim_cuda_templateIN3c108BFloat16EEESt5tupleIJNSH_6TensorESO_SO_EERKSO_lbbbEUlllE0_EEPmJS6_EEE10hipError_tPvRmT3_T4_T5_T6_T7_T9_mT8_P12ihipStream_tbDpT10_ENKUlT_T0_E_clISt17integral_constantIbLb0EES1E_EEDaS19_S1A_EUlS19_E_NS1_11comp_targetILNS1_3genE2ELNS1_11target_archE906ELNS1_3gpuE6ELNS1_3repE0EEENS1_30default_config_static_selectorELNS0_4arch9wavefront6targetE1EEEvT1_
    .private_segment_fixed_size: 0
    .sgpr_count:     4
    .sgpr_spill_count: 0
    .symbol:         _ZN7rocprim17ROCPRIM_400000_NS6detail17trampoline_kernelINS0_14default_configENS1_25partition_config_selectorILNS1_17partition_subalgoE8ElNS0_10empty_typeEbEEZZNS1_14partition_implILS5_8ELb0ES3_jPlPS6_PKS6_NS0_5tupleIJS9_S6_EEENSD_IJSA_SA_EEENS0_18inequality_wrapperIZN2at6native12_GLOBAL__N_124unique_dim_cuda_templateIN3c108BFloat16EEESt5tupleIJNSH_6TensorESO_SO_EERKSO_lbbbEUlllE0_EEPmJS6_EEE10hipError_tPvRmT3_T4_T5_T6_T7_T9_mT8_P12ihipStream_tbDpT10_ENKUlT_T0_E_clISt17integral_constantIbLb0EES1E_EEDaS19_S1A_EUlS19_E_NS1_11comp_targetILNS1_3genE2ELNS1_11target_archE906ELNS1_3gpuE6ELNS1_3repE0EEENS1_30default_config_static_selectorELNS0_4arch9wavefront6targetE1EEEvT1_.kd
    .uniform_work_group_size: 1
    .uses_dynamic_stack: false
    .vgpr_count:     0
    .vgpr_spill_count: 0
    .wavefront_size: 64
  - .agpr_count:     0
    .args:
      - .offset:         0
        .size:           120
        .value_kind:     by_value
    .group_segment_fixed_size: 0
    .kernarg_segment_align: 8
    .kernarg_segment_size: 120
    .language:       OpenCL C
    .language_version:
      - 2
      - 0
    .max_flat_workgroup_size: 384
    .name:           _ZN7rocprim17ROCPRIM_400000_NS6detail17trampoline_kernelINS0_14default_configENS1_25partition_config_selectorILNS1_17partition_subalgoE8ElNS0_10empty_typeEbEEZZNS1_14partition_implILS5_8ELb0ES3_jPlPS6_PKS6_NS0_5tupleIJS9_S6_EEENSD_IJSA_SA_EEENS0_18inequality_wrapperIZN2at6native12_GLOBAL__N_124unique_dim_cuda_templateIN3c108BFloat16EEESt5tupleIJNSH_6TensorESO_SO_EERKSO_lbbbEUlllE0_EEPmJS6_EEE10hipError_tPvRmT3_T4_T5_T6_T7_T9_mT8_P12ihipStream_tbDpT10_ENKUlT_T0_E_clISt17integral_constantIbLb0EES1E_EEDaS19_S1A_EUlS19_E_NS1_11comp_targetILNS1_3genE10ELNS1_11target_archE1200ELNS1_3gpuE4ELNS1_3repE0EEENS1_30default_config_static_selectorELNS0_4arch9wavefront6targetE1EEEvT1_
    .private_segment_fixed_size: 0
    .sgpr_count:     4
    .sgpr_spill_count: 0
    .symbol:         _ZN7rocprim17ROCPRIM_400000_NS6detail17trampoline_kernelINS0_14default_configENS1_25partition_config_selectorILNS1_17partition_subalgoE8ElNS0_10empty_typeEbEEZZNS1_14partition_implILS5_8ELb0ES3_jPlPS6_PKS6_NS0_5tupleIJS9_S6_EEENSD_IJSA_SA_EEENS0_18inequality_wrapperIZN2at6native12_GLOBAL__N_124unique_dim_cuda_templateIN3c108BFloat16EEESt5tupleIJNSH_6TensorESO_SO_EERKSO_lbbbEUlllE0_EEPmJS6_EEE10hipError_tPvRmT3_T4_T5_T6_T7_T9_mT8_P12ihipStream_tbDpT10_ENKUlT_T0_E_clISt17integral_constantIbLb0EES1E_EEDaS19_S1A_EUlS19_E_NS1_11comp_targetILNS1_3genE10ELNS1_11target_archE1200ELNS1_3gpuE4ELNS1_3repE0EEENS1_30default_config_static_selectorELNS0_4arch9wavefront6targetE1EEEvT1_.kd
    .uniform_work_group_size: 1
    .uses_dynamic_stack: false
    .vgpr_count:     0
    .vgpr_spill_count: 0
    .wavefront_size: 64
  - .agpr_count:     0
    .args:
      - .offset:         0
        .size:           120
        .value_kind:     by_value
    .group_segment_fixed_size: 0
    .kernarg_segment_align: 8
    .kernarg_segment_size: 120
    .language:       OpenCL C
    .language_version:
      - 2
      - 0
    .max_flat_workgroup_size: 512
    .name:           _ZN7rocprim17ROCPRIM_400000_NS6detail17trampoline_kernelINS0_14default_configENS1_25partition_config_selectorILNS1_17partition_subalgoE8ElNS0_10empty_typeEbEEZZNS1_14partition_implILS5_8ELb0ES3_jPlPS6_PKS6_NS0_5tupleIJS9_S6_EEENSD_IJSA_SA_EEENS0_18inequality_wrapperIZN2at6native12_GLOBAL__N_124unique_dim_cuda_templateIN3c108BFloat16EEESt5tupleIJNSH_6TensorESO_SO_EERKSO_lbbbEUlllE0_EEPmJS6_EEE10hipError_tPvRmT3_T4_T5_T6_T7_T9_mT8_P12ihipStream_tbDpT10_ENKUlT_T0_E_clISt17integral_constantIbLb0EES1E_EEDaS19_S1A_EUlS19_E_NS1_11comp_targetILNS1_3genE9ELNS1_11target_archE1100ELNS1_3gpuE3ELNS1_3repE0EEENS1_30default_config_static_selectorELNS0_4arch9wavefront6targetE1EEEvT1_
    .private_segment_fixed_size: 0
    .sgpr_count:     4
    .sgpr_spill_count: 0
    .symbol:         _ZN7rocprim17ROCPRIM_400000_NS6detail17trampoline_kernelINS0_14default_configENS1_25partition_config_selectorILNS1_17partition_subalgoE8ElNS0_10empty_typeEbEEZZNS1_14partition_implILS5_8ELb0ES3_jPlPS6_PKS6_NS0_5tupleIJS9_S6_EEENSD_IJSA_SA_EEENS0_18inequality_wrapperIZN2at6native12_GLOBAL__N_124unique_dim_cuda_templateIN3c108BFloat16EEESt5tupleIJNSH_6TensorESO_SO_EERKSO_lbbbEUlllE0_EEPmJS6_EEE10hipError_tPvRmT3_T4_T5_T6_T7_T9_mT8_P12ihipStream_tbDpT10_ENKUlT_T0_E_clISt17integral_constantIbLb0EES1E_EEDaS19_S1A_EUlS19_E_NS1_11comp_targetILNS1_3genE9ELNS1_11target_archE1100ELNS1_3gpuE3ELNS1_3repE0EEENS1_30default_config_static_selectorELNS0_4arch9wavefront6targetE1EEEvT1_.kd
    .uniform_work_group_size: 1
    .uses_dynamic_stack: false
    .vgpr_count:     0
    .vgpr_spill_count: 0
    .wavefront_size: 64
  - .agpr_count:     0
    .args:
      - .offset:         0
        .size:           120
        .value_kind:     by_value
    .group_segment_fixed_size: 0
    .kernarg_segment_align: 8
    .kernarg_segment_size: 120
    .language:       OpenCL C
    .language_version:
      - 2
      - 0
    .max_flat_workgroup_size: 512
    .name:           _ZN7rocprim17ROCPRIM_400000_NS6detail17trampoline_kernelINS0_14default_configENS1_25partition_config_selectorILNS1_17partition_subalgoE8ElNS0_10empty_typeEbEEZZNS1_14partition_implILS5_8ELb0ES3_jPlPS6_PKS6_NS0_5tupleIJS9_S6_EEENSD_IJSA_SA_EEENS0_18inequality_wrapperIZN2at6native12_GLOBAL__N_124unique_dim_cuda_templateIN3c108BFloat16EEESt5tupleIJNSH_6TensorESO_SO_EERKSO_lbbbEUlllE0_EEPmJS6_EEE10hipError_tPvRmT3_T4_T5_T6_T7_T9_mT8_P12ihipStream_tbDpT10_ENKUlT_T0_E_clISt17integral_constantIbLb0EES1E_EEDaS19_S1A_EUlS19_E_NS1_11comp_targetILNS1_3genE8ELNS1_11target_archE1030ELNS1_3gpuE2ELNS1_3repE0EEENS1_30default_config_static_selectorELNS0_4arch9wavefront6targetE1EEEvT1_
    .private_segment_fixed_size: 0
    .sgpr_count:     4
    .sgpr_spill_count: 0
    .symbol:         _ZN7rocprim17ROCPRIM_400000_NS6detail17trampoline_kernelINS0_14default_configENS1_25partition_config_selectorILNS1_17partition_subalgoE8ElNS0_10empty_typeEbEEZZNS1_14partition_implILS5_8ELb0ES3_jPlPS6_PKS6_NS0_5tupleIJS9_S6_EEENSD_IJSA_SA_EEENS0_18inequality_wrapperIZN2at6native12_GLOBAL__N_124unique_dim_cuda_templateIN3c108BFloat16EEESt5tupleIJNSH_6TensorESO_SO_EERKSO_lbbbEUlllE0_EEPmJS6_EEE10hipError_tPvRmT3_T4_T5_T6_T7_T9_mT8_P12ihipStream_tbDpT10_ENKUlT_T0_E_clISt17integral_constantIbLb0EES1E_EEDaS19_S1A_EUlS19_E_NS1_11comp_targetILNS1_3genE8ELNS1_11target_archE1030ELNS1_3gpuE2ELNS1_3repE0EEENS1_30default_config_static_selectorELNS0_4arch9wavefront6targetE1EEEvT1_.kd
    .uniform_work_group_size: 1
    .uses_dynamic_stack: false
    .vgpr_count:     0
    .vgpr_spill_count: 0
    .wavefront_size: 64
  - .agpr_count:     0
    .args:
      - .offset:         0
        .size:           136
        .value_kind:     by_value
    .group_segment_fixed_size: 0
    .kernarg_segment_align: 8
    .kernarg_segment_size: 136
    .language:       OpenCL C
    .language_version:
      - 2
      - 0
    .max_flat_workgroup_size: 512
    .name:           _ZN7rocprim17ROCPRIM_400000_NS6detail17trampoline_kernelINS0_14default_configENS1_25partition_config_selectorILNS1_17partition_subalgoE8ElNS0_10empty_typeEbEEZZNS1_14partition_implILS5_8ELb0ES3_jPlPS6_PKS6_NS0_5tupleIJS9_S6_EEENSD_IJSA_SA_EEENS0_18inequality_wrapperIZN2at6native12_GLOBAL__N_124unique_dim_cuda_templateIN3c108BFloat16EEESt5tupleIJNSH_6TensorESO_SO_EERKSO_lbbbEUlllE0_EEPmJS6_EEE10hipError_tPvRmT3_T4_T5_T6_T7_T9_mT8_P12ihipStream_tbDpT10_ENKUlT_T0_E_clISt17integral_constantIbLb1EES1E_EEDaS19_S1A_EUlS19_E_NS1_11comp_targetILNS1_3genE0ELNS1_11target_archE4294967295ELNS1_3gpuE0ELNS1_3repE0EEENS1_30default_config_static_selectorELNS0_4arch9wavefront6targetE1EEEvT1_
    .private_segment_fixed_size: 0
    .sgpr_count:     4
    .sgpr_spill_count: 0
    .symbol:         _ZN7rocprim17ROCPRIM_400000_NS6detail17trampoline_kernelINS0_14default_configENS1_25partition_config_selectorILNS1_17partition_subalgoE8ElNS0_10empty_typeEbEEZZNS1_14partition_implILS5_8ELb0ES3_jPlPS6_PKS6_NS0_5tupleIJS9_S6_EEENSD_IJSA_SA_EEENS0_18inequality_wrapperIZN2at6native12_GLOBAL__N_124unique_dim_cuda_templateIN3c108BFloat16EEESt5tupleIJNSH_6TensorESO_SO_EERKSO_lbbbEUlllE0_EEPmJS6_EEE10hipError_tPvRmT3_T4_T5_T6_T7_T9_mT8_P12ihipStream_tbDpT10_ENKUlT_T0_E_clISt17integral_constantIbLb1EES1E_EEDaS19_S1A_EUlS19_E_NS1_11comp_targetILNS1_3genE0ELNS1_11target_archE4294967295ELNS1_3gpuE0ELNS1_3repE0EEENS1_30default_config_static_selectorELNS0_4arch9wavefront6targetE1EEEvT1_.kd
    .uniform_work_group_size: 1
    .uses_dynamic_stack: false
    .vgpr_count:     0
    .vgpr_spill_count: 0
    .wavefront_size: 64
  - .agpr_count:     0
    .args:
      - .offset:         0
        .size:           136
        .value_kind:     by_value
    .group_segment_fixed_size: 0
    .kernarg_segment_align: 8
    .kernarg_segment_size: 136
    .language:       OpenCL C
    .language_version:
      - 2
      - 0
    .max_flat_workgroup_size: 512
    .name:           _ZN7rocprim17ROCPRIM_400000_NS6detail17trampoline_kernelINS0_14default_configENS1_25partition_config_selectorILNS1_17partition_subalgoE8ElNS0_10empty_typeEbEEZZNS1_14partition_implILS5_8ELb0ES3_jPlPS6_PKS6_NS0_5tupleIJS9_S6_EEENSD_IJSA_SA_EEENS0_18inequality_wrapperIZN2at6native12_GLOBAL__N_124unique_dim_cuda_templateIN3c108BFloat16EEESt5tupleIJNSH_6TensorESO_SO_EERKSO_lbbbEUlllE0_EEPmJS6_EEE10hipError_tPvRmT3_T4_T5_T6_T7_T9_mT8_P12ihipStream_tbDpT10_ENKUlT_T0_E_clISt17integral_constantIbLb1EES1E_EEDaS19_S1A_EUlS19_E_NS1_11comp_targetILNS1_3genE5ELNS1_11target_archE942ELNS1_3gpuE9ELNS1_3repE0EEENS1_30default_config_static_selectorELNS0_4arch9wavefront6targetE1EEEvT1_
    .private_segment_fixed_size: 0
    .sgpr_count:     4
    .sgpr_spill_count: 0
    .symbol:         _ZN7rocprim17ROCPRIM_400000_NS6detail17trampoline_kernelINS0_14default_configENS1_25partition_config_selectorILNS1_17partition_subalgoE8ElNS0_10empty_typeEbEEZZNS1_14partition_implILS5_8ELb0ES3_jPlPS6_PKS6_NS0_5tupleIJS9_S6_EEENSD_IJSA_SA_EEENS0_18inequality_wrapperIZN2at6native12_GLOBAL__N_124unique_dim_cuda_templateIN3c108BFloat16EEESt5tupleIJNSH_6TensorESO_SO_EERKSO_lbbbEUlllE0_EEPmJS6_EEE10hipError_tPvRmT3_T4_T5_T6_T7_T9_mT8_P12ihipStream_tbDpT10_ENKUlT_T0_E_clISt17integral_constantIbLb1EES1E_EEDaS19_S1A_EUlS19_E_NS1_11comp_targetILNS1_3genE5ELNS1_11target_archE942ELNS1_3gpuE9ELNS1_3repE0EEENS1_30default_config_static_selectorELNS0_4arch9wavefront6targetE1EEEvT1_.kd
    .uniform_work_group_size: 1
    .uses_dynamic_stack: false
    .vgpr_count:     0
    .vgpr_spill_count: 0
    .wavefront_size: 64
  - .agpr_count:     0
    .args:
      - .offset:         0
        .size:           136
        .value_kind:     by_value
    .group_segment_fixed_size: 10252
    .kernarg_segment_align: 8
    .kernarg_segment_size: 136
    .language:       OpenCL C
    .language_version:
      - 2
      - 0
    .max_flat_workgroup_size: 256
    .name:           _ZN7rocprim17ROCPRIM_400000_NS6detail17trampoline_kernelINS0_14default_configENS1_25partition_config_selectorILNS1_17partition_subalgoE8ElNS0_10empty_typeEbEEZZNS1_14partition_implILS5_8ELb0ES3_jPlPS6_PKS6_NS0_5tupleIJS9_S6_EEENSD_IJSA_SA_EEENS0_18inequality_wrapperIZN2at6native12_GLOBAL__N_124unique_dim_cuda_templateIN3c108BFloat16EEESt5tupleIJNSH_6TensorESO_SO_EERKSO_lbbbEUlllE0_EEPmJS6_EEE10hipError_tPvRmT3_T4_T5_T6_T7_T9_mT8_P12ihipStream_tbDpT10_ENKUlT_T0_E_clISt17integral_constantIbLb1EES1E_EEDaS19_S1A_EUlS19_E_NS1_11comp_targetILNS1_3genE4ELNS1_11target_archE910ELNS1_3gpuE8ELNS1_3repE0EEENS1_30default_config_static_selectorELNS0_4arch9wavefront6targetE1EEEvT1_
    .private_segment_fixed_size: 0
    .sgpr_count:     56
    .sgpr_spill_count: 0
    .symbol:         _ZN7rocprim17ROCPRIM_400000_NS6detail17trampoline_kernelINS0_14default_configENS1_25partition_config_selectorILNS1_17partition_subalgoE8ElNS0_10empty_typeEbEEZZNS1_14partition_implILS5_8ELb0ES3_jPlPS6_PKS6_NS0_5tupleIJS9_S6_EEENSD_IJSA_SA_EEENS0_18inequality_wrapperIZN2at6native12_GLOBAL__N_124unique_dim_cuda_templateIN3c108BFloat16EEESt5tupleIJNSH_6TensorESO_SO_EERKSO_lbbbEUlllE0_EEPmJS6_EEE10hipError_tPvRmT3_T4_T5_T6_T7_T9_mT8_P12ihipStream_tbDpT10_ENKUlT_T0_E_clISt17integral_constantIbLb1EES1E_EEDaS19_S1A_EUlS19_E_NS1_11comp_targetILNS1_3genE4ELNS1_11target_archE910ELNS1_3gpuE8ELNS1_3repE0EEENS1_30default_config_static_selectorELNS0_4arch9wavefront6targetE1EEEvT1_.kd
    .uniform_work_group_size: 1
    .uses_dynamic_stack: false
    .vgpr_count:     46
    .vgpr_spill_count: 0
    .wavefront_size: 64
  - .agpr_count:     0
    .args:
      - .offset:         0
        .size:           136
        .value_kind:     by_value
    .group_segment_fixed_size: 0
    .kernarg_segment_align: 8
    .kernarg_segment_size: 136
    .language:       OpenCL C
    .language_version:
      - 2
      - 0
    .max_flat_workgroup_size: 512
    .name:           _ZN7rocprim17ROCPRIM_400000_NS6detail17trampoline_kernelINS0_14default_configENS1_25partition_config_selectorILNS1_17partition_subalgoE8ElNS0_10empty_typeEbEEZZNS1_14partition_implILS5_8ELb0ES3_jPlPS6_PKS6_NS0_5tupleIJS9_S6_EEENSD_IJSA_SA_EEENS0_18inequality_wrapperIZN2at6native12_GLOBAL__N_124unique_dim_cuda_templateIN3c108BFloat16EEESt5tupleIJNSH_6TensorESO_SO_EERKSO_lbbbEUlllE0_EEPmJS6_EEE10hipError_tPvRmT3_T4_T5_T6_T7_T9_mT8_P12ihipStream_tbDpT10_ENKUlT_T0_E_clISt17integral_constantIbLb1EES1E_EEDaS19_S1A_EUlS19_E_NS1_11comp_targetILNS1_3genE3ELNS1_11target_archE908ELNS1_3gpuE7ELNS1_3repE0EEENS1_30default_config_static_selectorELNS0_4arch9wavefront6targetE1EEEvT1_
    .private_segment_fixed_size: 0
    .sgpr_count:     4
    .sgpr_spill_count: 0
    .symbol:         _ZN7rocprim17ROCPRIM_400000_NS6detail17trampoline_kernelINS0_14default_configENS1_25partition_config_selectorILNS1_17partition_subalgoE8ElNS0_10empty_typeEbEEZZNS1_14partition_implILS5_8ELb0ES3_jPlPS6_PKS6_NS0_5tupleIJS9_S6_EEENSD_IJSA_SA_EEENS0_18inequality_wrapperIZN2at6native12_GLOBAL__N_124unique_dim_cuda_templateIN3c108BFloat16EEESt5tupleIJNSH_6TensorESO_SO_EERKSO_lbbbEUlllE0_EEPmJS6_EEE10hipError_tPvRmT3_T4_T5_T6_T7_T9_mT8_P12ihipStream_tbDpT10_ENKUlT_T0_E_clISt17integral_constantIbLb1EES1E_EEDaS19_S1A_EUlS19_E_NS1_11comp_targetILNS1_3genE3ELNS1_11target_archE908ELNS1_3gpuE7ELNS1_3repE0EEENS1_30default_config_static_selectorELNS0_4arch9wavefront6targetE1EEEvT1_.kd
    .uniform_work_group_size: 1
    .uses_dynamic_stack: false
    .vgpr_count:     0
    .vgpr_spill_count: 0
    .wavefront_size: 64
  - .agpr_count:     0
    .args:
      - .offset:         0
        .size:           136
        .value_kind:     by_value
    .group_segment_fixed_size: 0
    .kernarg_segment_align: 8
    .kernarg_segment_size: 136
    .language:       OpenCL C
    .language_version:
      - 2
      - 0
    .max_flat_workgroup_size: 256
    .name:           _ZN7rocprim17ROCPRIM_400000_NS6detail17trampoline_kernelINS0_14default_configENS1_25partition_config_selectorILNS1_17partition_subalgoE8ElNS0_10empty_typeEbEEZZNS1_14partition_implILS5_8ELb0ES3_jPlPS6_PKS6_NS0_5tupleIJS9_S6_EEENSD_IJSA_SA_EEENS0_18inequality_wrapperIZN2at6native12_GLOBAL__N_124unique_dim_cuda_templateIN3c108BFloat16EEESt5tupleIJNSH_6TensorESO_SO_EERKSO_lbbbEUlllE0_EEPmJS6_EEE10hipError_tPvRmT3_T4_T5_T6_T7_T9_mT8_P12ihipStream_tbDpT10_ENKUlT_T0_E_clISt17integral_constantIbLb1EES1E_EEDaS19_S1A_EUlS19_E_NS1_11comp_targetILNS1_3genE2ELNS1_11target_archE906ELNS1_3gpuE6ELNS1_3repE0EEENS1_30default_config_static_selectorELNS0_4arch9wavefront6targetE1EEEvT1_
    .private_segment_fixed_size: 0
    .sgpr_count:     4
    .sgpr_spill_count: 0
    .symbol:         _ZN7rocprim17ROCPRIM_400000_NS6detail17trampoline_kernelINS0_14default_configENS1_25partition_config_selectorILNS1_17partition_subalgoE8ElNS0_10empty_typeEbEEZZNS1_14partition_implILS5_8ELb0ES3_jPlPS6_PKS6_NS0_5tupleIJS9_S6_EEENSD_IJSA_SA_EEENS0_18inequality_wrapperIZN2at6native12_GLOBAL__N_124unique_dim_cuda_templateIN3c108BFloat16EEESt5tupleIJNSH_6TensorESO_SO_EERKSO_lbbbEUlllE0_EEPmJS6_EEE10hipError_tPvRmT3_T4_T5_T6_T7_T9_mT8_P12ihipStream_tbDpT10_ENKUlT_T0_E_clISt17integral_constantIbLb1EES1E_EEDaS19_S1A_EUlS19_E_NS1_11comp_targetILNS1_3genE2ELNS1_11target_archE906ELNS1_3gpuE6ELNS1_3repE0EEENS1_30default_config_static_selectorELNS0_4arch9wavefront6targetE1EEEvT1_.kd
    .uniform_work_group_size: 1
    .uses_dynamic_stack: false
    .vgpr_count:     0
    .vgpr_spill_count: 0
    .wavefront_size: 64
  - .agpr_count:     0
    .args:
      - .offset:         0
        .size:           136
        .value_kind:     by_value
    .group_segment_fixed_size: 0
    .kernarg_segment_align: 8
    .kernarg_segment_size: 136
    .language:       OpenCL C
    .language_version:
      - 2
      - 0
    .max_flat_workgroup_size: 384
    .name:           _ZN7rocprim17ROCPRIM_400000_NS6detail17trampoline_kernelINS0_14default_configENS1_25partition_config_selectorILNS1_17partition_subalgoE8ElNS0_10empty_typeEbEEZZNS1_14partition_implILS5_8ELb0ES3_jPlPS6_PKS6_NS0_5tupleIJS9_S6_EEENSD_IJSA_SA_EEENS0_18inequality_wrapperIZN2at6native12_GLOBAL__N_124unique_dim_cuda_templateIN3c108BFloat16EEESt5tupleIJNSH_6TensorESO_SO_EERKSO_lbbbEUlllE0_EEPmJS6_EEE10hipError_tPvRmT3_T4_T5_T6_T7_T9_mT8_P12ihipStream_tbDpT10_ENKUlT_T0_E_clISt17integral_constantIbLb1EES1E_EEDaS19_S1A_EUlS19_E_NS1_11comp_targetILNS1_3genE10ELNS1_11target_archE1200ELNS1_3gpuE4ELNS1_3repE0EEENS1_30default_config_static_selectorELNS0_4arch9wavefront6targetE1EEEvT1_
    .private_segment_fixed_size: 0
    .sgpr_count:     4
    .sgpr_spill_count: 0
    .symbol:         _ZN7rocprim17ROCPRIM_400000_NS6detail17trampoline_kernelINS0_14default_configENS1_25partition_config_selectorILNS1_17partition_subalgoE8ElNS0_10empty_typeEbEEZZNS1_14partition_implILS5_8ELb0ES3_jPlPS6_PKS6_NS0_5tupleIJS9_S6_EEENSD_IJSA_SA_EEENS0_18inequality_wrapperIZN2at6native12_GLOBAL__N_124unique_dim_cuda_templateIN3c108BFloat16EEESt5tupleIJNSH_6TensorESO_SO_EERKSO_lbbbEUlllE0_EEPmJS6_EEE10hipError_tPvRmT3_T4_T5_T6_T7_T9_mT8_P12ihipStream_tbDpT10_ENKUlT_T0_E_clISt17integral_constantIbLb1EES1E_EEDaS19_S1A_EUlS19_E_NS1_11comp_targetILNS1_3genE10ELNS1_11target_archE1200ELNS1_3gpuE4ELNS1_3repE0EEENS1_30default_config_static_selectorELNS0_4arch9wavefront6targetE1EEEvT1_.kd
    .uniform_work_group_size: 1
    .uses_dynamic_stack: false
    .vgpr_count:     0
    .vgpr_spill_count: 0
    .wavefront_size: 64
  - .agpr_count:     0
    .args:
      - .offset:         0
        .size:           136
        .value_kind:     by_value
    .group_segment_fixed_size: 0
    .kernarg_segment_align: 8
    .kernarg_segment_size: 136
    .language:       OpenCL C
    .language_version:
      - 2
      - 0
    .max_flat_workgroup_size: 512
    .name:           _ZN7rocprim17ROCPRIM_400000_NS6detail17trampoline_kernelINS0_14default_configENS1_25partition_config_selectorILNS1_17partition_subalgoE8ElNS0_10empty_typeEbEEZZNS1_14partition_implILS5_8ELb0ES3_jPlPS6_PKS6_NS0_5tupleIJS9_S6_EEENSD_IJSA_SA_EEENS0_18inequality_wrapperIZN2at6native12_GLOBAL__N_124unique_dim_cuda_templateIN3c108BFloat16EEESt5tupleIJNSH_6TensorESO_SO_EERKSO_lbbbEUlllE0_EEPmJS6_EEE10hipError_tPvRmT3_T4_T5_T6_T7_T9_mT8_P12ihipStream_tbDpT10_ENKUlT_T0_E_clISt17integral_constantIbLb1EES1E_EEDaS19_S1A_EUlS19_E_NS1_11comp_targetILNS1_3genE9ELNS1_11target_archE1100ELNS1_3gpuE3ELNS1_3repE0EEENS1_30default_config_static_selectorELNS0_4arch9wavefront6targetE1EEEvT1_
    .private_segment_fixed_size: 0
    .sgpr_count:     4
    .sgpr_spill_count: 0
    .symbol:         _ZN7rocprim17ROCPRIM_400000_NS6detail17trampoline_kernelINS0_14default_configENS1_25partition_config_selectorILNS1_17partition_subalgoE8ElNS0_10empty_typeEbEEZZNS1_14partition_implILS5_8ELb0ES3_jPlPS6_PKS6_NS0_5tupleIJS9_S6_EEENSD_IJSA_SA_EEENS0_18inequality_wrapperIZN2at6native12_GLOBAL__N_124unique_dim_cuda_templateIN3c108BFloat16EEESt5tupleIJNSH_6TensorESO_SO_EERKSO_lbbbEUlllE0_EEPmJS6_EEE10hipError_tPvRmT3_T4_T5_T6_T7_T9_mT8_P12ihipStream_tbDpT10_ENKUlT_T0_E_clISt17integral_constantIbLb1EES1E_EEDaS19_S1A_EUlS19_E_NS1_11comp_targetILNS1_3genE9ELNS1_11target_archE1100ELNS1_3gpuE3ELNS1_3repE0EEENS1_30default_config_static_selectorELNS0_4arch9wavefront6targetE1EEEvT1_.kd
    .uniform_work_group_size: 1
    .uses_dynamic_stack: false
    .vgpr_count:     0
    .vgpr_spill_count: 0
    .wavefront_size: 64
  - .agpr_count:     0
    .args:
      - .offset:         0
        .size:           136
        .value_kind:     by_value
    .group_segment_fixed_size: 0
    .kernarg_segment_align: 8
    .kernarg_segment_size: 136
    .language:       OpenCL C
    .language_version:
      - 2
      - 0
    .max_flat_workgroup_size: 512
    .name:           _ZN7rocprim17ROCPRIM_400000_NS6detail17trampoline_kernelINS0_14default_configENS1_25partition_config_selectorILNS1_17partition_subalgoE8ElNS0_10empty_typeEbEEZZNS1_14partition_implILS5_8ELb0ES3_jPlPS6_PKS6_NS0_5tupleIJS9_S6_EEENSD_IJSA_SA_EEENS0_18inequality_wrapperIZN2at6native12_GLOBAL__N_124unique_dim_cuda_templateIN3c108BFloat16EEESt5tupleIJNSH_6TensorESO_SO_EERKSO_lbbbEUlllE0_EEPmJS6_EEE10hipError_tPvRmT3_T4_T5_T6_T7_T9_mT8_P12ihipStream_tbDpT10_ENKUlT_T0_E_clISt17integral_constantIbLb1EES1E_EEDaS19_S1A_EUlS19_E_NS1_11comp_targetILNS1_3genE8ELNS1_11target_archE1030ELNS1_3gpuE2ELNS1_3repE0EEENS1_30default_config_static_selectorELNS0_4arch9wavefront6targetE1EEEvT1_
    .private_segment_fixed_size: 0
    .sgpr_count:     4
    .sgpr_spill_count: 0
    .symbol:         _ZN7rocprim17ROCPRIM_400000_NS6detail17trampoline_kernelINS0_14default_configENS1_25partition_config_selectorILNS1_17partition_subalgoE8ElNS0_10empty_typeEbEEZZNS1_14partition_implILS5_8ELb0ES3_jPlPS6_PKS6_NS0_5tupleIJS9_S6_EEENSD_IJSA_SA_EEENS0_18inequality_wrapperIZN2at6native12_GLOBAL__N_124unique_dim_cuda_templateIN3c108BFloat16EEESt5tupleIJNSH_6TensorESO_SO_EERKSO_lbbbEUlllE0_EEPmJS6_EEE10hipError_tPvRmT3_T4_T5_T6_T7_T9_mT8_P12ihipStream_tbDpT10_ENKUlT_T0_E_clISt17integral_constantIbLb1EES1E_EEDaS19_S1A_EUlS19_E_NS1_11comp_targetILNS1_3genE8ELNS1_11target_archE1030ELNS1_3gpuE2ELNS1_3repE0EEENS1_30default_config_static_selectorELNS0_4arch9wavefront6targetE1EEEvT1_.kd
    .uniform_work_group_size: 1
    .uses_dynamic_stack: false
    .vgpr_count:     0
    .vgpr_spill_count: 0
    .wavefront_size: 64
  - .agpr_count:     0
    .args:
      - .offset:         0
        .size:           120
        .value_kind:     by_value
    .group_segment_fixed_size: 0
    .kernarg_segment_align: 8
    .kernarg_segment_size: 120
    .language:       OpenCL C
    .language_version:
      - 2
      - 0
    .max_flat_workgroup_size: 512
    .name:           _ZN7rocprim17ROCPRIM_400000_NS6detail17trampoline_kernelINS0_14default_configENS1_25partition_config_selectorILNS1_17partition_subalgoE8ElNS0_10empty_typeEbEEZZNS1_14partition_implILS5_8ELb0ES3_jPlPS6_PKS6_NS0_5tupleIJS9_S6_EEENSD_IJSA_SA_EEENS0_18inequality_wrapperIZN2at6native12_GLOBAL__N_124unique_dim_cuda_templateIN3c108BFloat16EEESt5tupleIJNSH_6TensorESO_SO_EERKSO_lbbbEUlllE0_EEPmJS6_EEE10hipError_tPvRmT3_T4_T5_T6_T7_T9_mT8_P12ihipStream_tbDpT10_ENKUlT_T0_E_clISt17integral_constantIbLb1EES1D_IbLb0EEEEDaS19_S1A_EUlS19_E_NS1_11comp_targetILNS1_3genE0ELNS1_11target_archE4294967295ELNS1_3gpuE0ELNS1_3repE0EEENS1_30default_config_static_selectorELNS0_4arch9wavefront6targetE1EEEvT1_
    .private_segment_fixed_size: 0
    .sgpr_count:     4
    .sgpr_spill_count: 0
    .symbol:         _ZN7rocprim17ROCPRIM_400000_NS6detail17trampoline_kernelINS0_14default_configENS1_25partition_config_selectorILNS1_17partition_subalgoE8ElNS0_10empty_typeEbEEZZNS1_14partition_implILS5_8ELb0ES3_jPlPS6_PKS6_NS0_5tupleIJS9_S6_EEENSD_IJSA_SA_EEENS0_18inequality_wrapperIZN2at6native12_GLOBAL__N_124unique_dim_cuda_templateIN3c108BFloat16EEESt5tupleIJNSH_6TensorESO_SO_EERKSO_lbbbEUlllE0_EEPmJS6_EEE10hipError_tPvRmT3_T4_T5_T6_T7_T9_mT8_P12ihipStream_tbDpT10_ENKUlT_T0_E_clISt17integral_constantIbLb1EES1D_IbLb0EEEEDaS19_S1A_EUlS19_E_NS1_11comp_targetILNS1_3genE0ELNS1_11target_archE4294967295ELNS1_3gpuE0ELNS1_3repE0EEENS1_30default_config_static_selectorELNS0_4arch9wavefront6targetE1EEEvT1_.kd
    .uniform_work_group_size: 1
    .uses_dynamic_stack: false
    .vgpr_count:     0
    .vgpr_spill_count: 0
    .wavefront_size: 64
  - .agpr_count:     0
    .args:
      - .offset:         0
        .size:           120
        .value_kind:     by_value
    .group_segment_fixed_size: 0
    .kernarg_segment_align: 8
    .kernarg_segment_size: 120
    .language:       OpenCL C
    .language_version:
      - 2
      - 0
    .max_flat_workgroup_size: 512
    .name:           _ZN7rocprim17ROCPRIM_400000_NS6detail17trampoline_kernelINS0_14default_configENS1_25partition_config_selectorILNS1_17partition_subalgoE8ElNS0_10empty_typeEbEEZZNS1_14partition_implILS5_8ELb0ES3_jPlPS6_PKS6_NS0_5tupleIJS9_S6_EEENSD_IJSA_SA_EEENS0_18inequality_wrapperIZN2at6native12_GLOBAL__N_124unique_dim_cuda_templateIN3c108BFloat16EEESt5tupleIJNSH_6TensorESO_SO_EERKSO_lbbbEUlllE0_EEPmJS6_EEE10hipError_tPvRmT3_T4_T5_T6_T7_T9_mT8_P12ihipStream_tbDpT10_ENKUlT_T0_E_clISt17integral_constantIbLb1EES1D_IbLb0EEEEDaS19_S1A_EUlS19_E_NS1_11comp_targetILNS1_3genE5ELNS1_11target_archE942ELNS1_3gpuE9ELNS1_3repE0EEENS1_30default_config_static_selectorELNS0_4arch9wavefront6targetE1EEEvT1_
    .private_segment_fixed_size: 0
    .sgpr_count:     4
    .sgpr_spill_count: 0
    .symbol:         _ZN7rocprim17ROCPRIM_400000_NS6detail17trampoline_kernelINS0_14default_configENS1_25partition_config_selectorILNS1_17partition_subalgoE8ElNS0_10empty_typeEbEEZZNS1_14partition_implILS5_8ELb0ES3_jPlPS6_PKS6_NS0_5tupleIJS9_S6_EEENSD_IJSA_SA_EEENS0_18inequality_wrapperIZN2at6native12_GLOBAL__N_124unique_dim_cuda_templateIN3c108BFloat16EEESt5tupleIJNSH_6TensorESO_SO_EERKSO_lbbbEUlllE0_EEPmJS6_EEE10hipError_tPvRmT3_T4_T5_T6_T7_T9_mT8_P12ihipStream_tbDpT10_ENKUlT_T0_E_clISt17integral_constantIbLb1EES1D_IbLb0EEEEDaS19_S1A_EUlS19_E_NS1_11comp_targetILNS1_3genE5ELNS1_11target_archE942ELNS1_3gpuE9ELNS1_3repE0EEENS1_30default_config_static_selectorELNS0_4arch9wavefront6targetE1EEEvT1_.kd
    .uniform_work_group_size: 1
    .uses_dynamic_stack: false
    .vgpr_count:     0
    .vgpr_spill_count: 0
    .wavefront_size: 64
  - .agpr_count:     0
    .args:
      - .offset:         0
        .size:           120
        .value_kind:     by_value
    .group_segment_fixed_size: 10252
    .kernarg_segment_align: 8
    .kernarg_segment_size: 120
    .language:       OpenCL C
    .language_version:
      - 2
      - 0
    .max_flat_workgroup_size: 256
    .name:           _ZN7rocprim17ROCPRIM_400000_NS6detail17trampoline_kernelINS0_14default_configENS1_25partition_config_selectorILNS1_17partition_subalgoE8ElNS0_10empty_typeEbEEZZNS1_14partition_implILS5_8ELb0ES3_jPlPS6_PKS6_NS0_5tupleIJS9_S6_EEENSD_IJSA_SA_EEENS0_18inequality_wrapperIZN2at6native12_GLOBAL__N_124unique_dim_cuda_templateIN3c108BFloat16EEESt5tupleIJNSH_6TensorESO_SO_EERKSO_lbbbEUlllE0_EEPmJS6_EEE10hipError_tPvRmT3_T4_T5_T6_T7_T9_mT8_P12ihipStream_tbDpT10_ENKUlT_T0_E_clISt17integral_constantIbLb1EES1D_IbLb0EEEEDaS19_S1A_EUlS19_E_NS1_11comp_targetILNS1_3genE4ELNS1_11target_archE910ELNS1_3gpuE8ELNS1_3repE0EEENS1_30default_config_static_selectorELNS0_4arch9wavefront6targetE1EEEvT1_
    .private_segment_fixed_size: 0
    .sgpr_count:     52
    .sgpr_spill_count: 0
    .symbol:         _ZN7rocprim17ROCPRIM_400000_NS6detail17trampoline_kernelINS0_14default_configENS1_25partition_config_selectorILNS1_17partition_subalgoE8ElNS0_10empty_typeEbEEZZNS1_14partition_implILS5_8ELb0ES3_jPlPS6_PKS6_NS0_5tupleIJS9_S6_EEENSD_IJSA_SA_EEENS0_18inequality_wrapperIZN2at6native12_GLOBAL__N_124unique_dim_cuda_templateIN3c108BFloat16EEESt5tupleIJNSH_6TensorESO_SO_EERKSO_lbbbEUlllE0_EEPmJS6_EEE10hipError_tPvRmT3_T4_T5_T6_T7_T9_mT8_P12ihipStream_tbDpT10_ENKUlT_T0_E_clISt17integral_constantIbLb1EES1D_IbLb0EEEEDaS19_S1A_EUlS19_E_NS1_11comp_targetILNS1_3genE4ELNS1_11target_archE910ELNS1_3gpuE8ELNS1_3repE0EEENS1_30default_config_static_selectorELNS0_4arch9wavefront6targetE1EEEvT1_.kd
    .uniform_work_group_size: 1
    .uses_dynamic_stack: false
    .vgpr_count:     46
    .vgpr_spill_count: 0
    .wavefront_size: 64
  - .agpr_count:     0
    .args:
      - .offset:         0
        .size:           120
        .value_kind:     by_value
    .group_segment_fixed_size: 0
    .kernarg_segment_align: 8
    .kernarg_segment_size: 120
    .language:       OpenCL C
    .language_version:
      - 2
      - 0
    .max_flat_workgroup_size: 512
    .name:           _ZN7rocprim17ROCPRIM_400000_NS6detail17trampoline_kernelINS0_14default_configENS1_25partition_config_selectorILNS1_17partition_subalgoE8ElNS0_10empty_typeEbEEZZNS1_14partition_implILS5_8ELb0ES3_jPlPS6_PKS6_NS0_5tupleIJS9_S6_EEENSD_IJSA_SA_EEENS0_18inequality_wrapperIZN2at6native12_GLOBAL__N_124unique_dim_cuda_templateIN3c108BFloat16EEESt5tupleIJNSH_6TensorESO_SO_EERKSO_lbbbEUlllE0_EEPmJS6_EEE10hipError_tPvRmT3_T4_T5_T6_T7_T9_mT8_P12ihipStream_tbDpT10_ENKUlT_T0_E_clISt17integral_constantIbLb1EES1D_IbLb0EEEEDaS19_S1A_EUlS19_E_NS1_11comp_targetILNS1_3genE3ELNS1_11target_archE908ELNS1_3gpuE7ELNS1_3repE0EEENS1_30default_config_static_selectorELNS0_4arch9wavefront6targetE1EEEvT1_
    .private_segment_fixed_size: 0
    .sgpr_count:     4
    .sgpr_spill_count: 0
    .symbol:         _ZN7rocprim17ROCPRIM_400000_NS6detail17trampoline_kernelINS0_14default_configENS1_25partition_config_selectorILNS1_17partition_subalgoE8ElNS0_10empty_typeEbEEZZNS1_14partition_implILS5_8ELb0ES3_jPlPS6_PKS6_NS0_5tupleIJS9_S6_EEENSD_IJSA_SA_EEENS0_18inequality_wrapperIZN2at6native12_GLOBAL__N_124unique_dim_cuda_templateIN3c108BFloat16EEESt5tupleIJNSH_6TensorESO_SO_EERKSO_lbbbEUlllE0_EEPmJS6_EEE10hipError_tPvRmT3_T4_T5_T6_T7_T9_mT8_P12ihipStream_tbDpT10_ENKUlT_T0_E_clISt17integral_constantIbLb1EES1D_IbLb0EEEEDaS19_S1A_EUlS19_E_NS1_11comp_targetILNS1_3genE3ELNS1_11target_archE908ELNS1_3gpuE7ELNS1_3repE0EEENS1_30default_config_static_selectorELNS0_4arch9wavefront6targetE1EEEvT1_.kd
    .uniform_work_group_size: 1
    .uses_dynamic_stack: false
    .vgpr_count:     0
    .vgpr_spill_count: 0
    .wavefront_size: 64
  - .agpr_count:     0
    .args:
      - .offset:         0
        .size:           120
        .value_kind:     by_value
    .group_segment_fixed_size: 0
    .kernarg_segment_align: 8
    .kernarg_segment_size: 120
    .language:       OpenCL C
    .language_version:
      - 2
      - 0
    .max_flat_workgroup_size: 256
    .name:           _ZN7rocprim17ROCPRIM_400000_NS6detail17trampoline_kernelINS0_14default_configENS1_25partition_config_selectorILNS1_17partition_subalgoE8ElNS0_10empty_typeEbEEZZNS1_14partition_implILS5_8ELb0ES3_jPlPS6_PKS6_NS0_5tupleIJS9_S6_EEENSD_IJSA_SA_EEENS0_18inequality_wrapperIZN2at6native12_GLOBAL__N_124unique_dim_cuda_templateIN3c108BFloat16EEESt5tupleIJNSH_6TensorESO_SO_EERKSO_lbbbEUlllE0_EEPmJS6_EEE10hipError_tPvRmT3_T4_T5_T6_T7_T9_mT8_P12ihipStream_tbDpT10_ENKUlT_T0_E_clISt17integral_constantIbLb1EES1D_IbLb0EEEEDaS19_S1A_EUlS19_E_NS1_11comp_targetILNS1_3genE2ELNS1_11target_archE906ELNS1_3gpuE6ELNS1_3repE0EEENS1_30default_config_static_selectorELNS0_4arch9wavefront6targetE1EEEvT1_
    .private_segment_fixed_size: 0
    .sgpr_count:     4
    .sgpr_spill_count: 0
    .symbol:         _ZN7rocprim17ROCPRIM_400000_NS6detail17trampoline_kernelINS0_14default_configENS1_25partition_config_selectorILNS1_17partition_subalgoE8ElNS0_10empty_typeEbEEZZNS1_14partition_implILS5_8ELb0ES3_jPlPS6_PKS6_NS0_5tupleIJS9_S6_EEENSD_IJSA_SA_EEENS0_18inequality_wrapperIZN2at6native12_GLOBAL__N_124unique_dim_cuda_templateIN3c108BFloat16EEESt5tupleIJNSH_6TensorESO_SO_EERKSO_lbbbEUlllE0_EEPmJS6_EEE10hipError_tPvRmT3_T4_T5_T6_T7_T9_mT8_P12ihipStream_tbDpT10_ENKUlT_T0_E_clISt17integral_constantIbLb1EES1D_IbLb0EEEEDaS19_S1A_EUlS19_E_NS1_11comp_targetILNS1_3genE2ELNS1_11target_archE906ELNS1_3gpuE6ELNS1_3repE0EEENS1_30default_config_static_selectorELNS0_4arch9wavefront6targetE1EEEvT1_.kd
    .uniform_work_group_size: 1
    .uses_dynamic_stack: false
    .vgpr_count:     0
    .vgpr_spill_count: 0
    .wavefront_size: 64
  - .agpr_count:     0
    .args:
      - .offset:         0
        .size:           120
        .value_kind:     by_value
    .group_segment_fixed_size: 0
    .kernarg_segment_align: 8
    .kernarg_segment_size: 120
    .language:       OpenCL C
    .language_version:
      - 2
      - 0
    .max_flat_workgroup_size: 384
    .name:           _ZN7rocprim17ROCPRIM_400000_NS6detail17trampoline_kernelINS0_14default_configENS1_25partition_config_selectorILNS1_17partition_subalgoE8ElNS0_10empty_typeEbEEZZNS1_14partition_implILS5_8ELb0ES3_jPlPS6_PKS6_NS0_5tupleIJS9_S6_EEENSD_IJSA_SA_EEENS0_18inequality_wrapperIZN2at6native12_GLOBAL__N_124unique_dim_cuda_templateIN3c108BFloat16EEESt5tupleIJNSH_6TensorESO_SO_EERKSO_lbbbEUlllE0_EEPmJS6_EEE10hipError_tPvRmT3_T4_T5_T6_T7_T9_mT8_P12ihipStream_tbDpT10_ENKUlT_T0_E_clISt17integral_constantIbLb1EES1D_IbLb0EEEEDaS19_S1A_EUlS19_E_NS1_11comp_targetILNS1_3genE10ELNS1_11target_archE1200ELNS1_3gpuE4ELNS1_3repE0EEENS1_30default_config_static_selectorELNS0_4arch9wavefront6targetE1EEEvT1_
    .private_segment_fixed_size: 0
    .sgpr_count:     4
    .sgpr_spill_count: 0
    .symbol:         _ZN7rocprim17ROCPRIM_400000_NS6detail17trampoline_kernelINS0_14default_configENS1_25partition_config_selectorILNS1_17partition_subalgoE8ElNS0_10empty_typeEbEEZZNS1_14partition_implILS5_8ELb0ES3_jPlPS6_PKS6_NS0_5tupleIJS9_S6_EEENSD_IJSA_SA_EEENS0_18inequality_wrapperIZN2at6native12_GLOBAL__N_124unique_dim_cuda_templateIN3c108BFloat16EEESt5tupleIJNSH_6TensorESO_SO_EERKSO_lbbbEUlllE0_EEPmJS6_EEE10hipError_tPvRmT3_T4_T5_T6_T7_T9_mT8_P12ihipStream_tbDpT10_ENKUlT_T0_E_clISt17integral_constantIbLb1EES1D_IbLb0EEEEDaS19_S1A_EUlS19_E_NS1_11comp_targetILNS1_3genE10ELNS1_11target_archE1200ELNS1_3gpuE4ELNS1_3repE0EEENS1_30default_config_static_selectorELNS0_4arch9wavefront6targetE1EEEvT1_.kd
    .uniform_work_group_size: 1
    .uses_dynamic_stack: false
    .vgpr_count:     0
    .vgpr_spill_count: 0
    .wavefront_size: 64
  - .agpr_count:     0
    .args:
      - .offset:         0
        .size:           120
        .value_kind:     by_value
    .group_segment_fixed_size: 0
    .kernarg_segment_align: 8
    .kernarg_segment_size: 120
    .language:       OpenCL C
    .language_version:
      - 2
      - 0
    .max_flat_workgroup_size: 512
    .name:           _ZN7rocprim17ROCPRIM_400000_NS6detail17trampoline_kernelINS0_14default_configENS1_25partition_config_selectorILNS1_17partition_subalgoE8ElNS0_10empty_typeEbEEZZNS1_14partition_implILS5_8ELb0ES3_jPlPS6_PKS6_NS0_5tupleIJS9_S6_EEENSD_IJSA_SA_EEENS0_18inequality_wrapperIZN2at6native12_GLOBAL__N_124unique_dim_cuda_templateIN3c108BFloat16EEESt5tupleIJNSH_6TensorESO_SO_EERKSO_lbbbEUlllE0_EEPmJS6_EEE10hipError_tPvRmT3_T4_T5_T6_T7_T9_mT8_P12ihipStream_tbDpT10_ENKUlT_T0_E_clISt17integral_constantIbLb1EES1D_IbLb0EEEEDaS19_S1A_EUlS19_E_NS1_11comp_targetILNS1_3genE9ELNS1_11target_archE1100ELNS1_3gpuE3ELNS1_3repE0EEENS1_30default_config_static_selectorELNS0_4arch9wavefront6targetE1EEEvT1_
    .private_segment_fixed_size: 0
    .sgpr_count:     4
    .sgpr_spill_count: 0
    .symbol:         _ZN7rocprim17ROCPRIM_400000_NS6detail17trampoline_kernelINS0_14default_configENS1_25partition_config_selectorILNS1_17partition_subalgoE8ElNS0_10empty_typeEbEEZZNS1_14partition_implILS5_8ELb0ES3_jPlPS6_PKS6_NS0_5tupleIJS9_S6_EEENSD_IJSA_SA_EEENS0_18inequality_wrapperIZN2at6native12_GLOBAL__N_124unique_dim_cuda_templateIN3c108BFloat16EEESt5tupleIJNSH_6TensorESO_SO_EERKSO_lbbbEUlllE0_EEPmJS6_EEE10hipError_tPvRmT3_T4_T5_T6_T7_T9_mT8_P12ihipStream_tbDpT10_ENKUlT_T0_E_clISt17integral_constantIbLb1EES1D_IbLb0EEEEDaS19_S1A_EUlS19_E_NS1_11comp_targetILNS1_3genE9ELNS1_11target_archE1100ELNS1_3gpuE3ELNS1_3repE0EEENS1_30default_config_static_selectorELNS0_4arch9wavefront6targetE1EEEvT1_.kd
    .uniform_work_group_size: 1
    .uses_dynamic_stack: false
    .vgpr_count:     0
    .vgpr_spill_count: 0
    .wavefront_size: 64
  - .agpr_count:     0
    .args:
      - .offset:         0
        .size:           120
        .value_kind:     by_value
    .group_segment_fixed_size: 0
    .kernarg_segment_align: 8
    .kernarg_segment_size: 120
    .language:       OpenCL C
    .language_version:
      - 2
      - 0
    .max_flat_workgroup_size: 512
    .name:           _ZN7rocprim17ROCPRIM_400000_NS6detail17trampoline_kernelINS0_14default_configENS1_25partition_config_selectorILNS1_17partition_subalgoE8ElNS0_10empty_typeEbEEZZNS1_14partition_implILS5_8ELb0ES3_jPlPS6_PKS6_NS0_5tupleIJS9_S6_EEENSD_IJSA_SA_EEENS0_18inequality_wrapperIZN2at6native12_GLOBAL__N_124unique_dim_cuda_templateIN3c108BFloat16EEESt5tupleIJNSH_6TensorESO_SO_EERKSO_lbbbEUlllE0_EEPmJS6_EEE10hipError_tPvRmT3_T4_T5_T6_T7_T9_mT8_P12ihipStream_tbDpT10_ENKUlT_T0_E_clISt17integral_constantIbLb1EES1D_IbLb0EEEEDaS19_S1A_EUlS19_E_NS1_11comp_targetILNS1_3genE8ELNS1_11target_archE1030ELNS1_3gpuE2ELNS1_3repE0EEENS1_30default_config_static_selectorELNS0_4arch9wavefront6targetE1EEEvT1_
    .private_segment_fixed_size: 0
    .sgpr_count:     4
    .sgpr_spill_count: 0
    .symbol:         _ZN7rocprim17ROCPRIM_400000_NS6detail17trampoline_kernelINS0_14default_configENS1_25partition_config_selectorILNS1_17partition_subalgoE8ElNS0_10empty_typeEbEEZZNS1_14partition_implILS5_8ELb0ES3_jPlPS6_PKS6_NS0_5tupleIJS9_S6_EEENSD_IJSA_SA_EEENS0_18inequality_wrapperIZN2at6native12_GLOBAL__N_124unique_dim_cuda_templateIN3c108BFloat16EEESt5tupleIJNSH_6TensorESO_SO_EERKSO_lbbbEUlllE0_EEPmJS6_EEE10hipError_tPvRmT3_T4_T5_T6_T7_T9_mT8_P12ihipStream_tbDpT10_ENKUlT_T0_E_clISt17integral_constantIbLb1EES1D_IbLb0EEEEDaS19_S1A_EUlS19_E_NS1_11comp_targetILNS1_3genE8ELNS1_11target_archE1030ELNS1_3gpuE2ELNS1_3repE0EEENS1_30default_config_static_selectorELNS0_4arch9wavefront6targetE1EEEvT1_.kd
    .uniform_work_group_size: 1
    .uses_dynamic_stack: false
    .vgpr_count:     0
    .vgpr_spill_count: 0
    .wavefront_size: 64
  - .agpr_count:     0
    .args:
      - .offset:         0
        .size:           136
        .value_kind:     by_value
    .group_segment_fixed_size: 0
    .kernarg_segment_align: 8
    .kernarg_segment_size: 136
    .language:       OpenCL C
    .language_version:
      - 2
      - 0
    .max_flat_workgroup_size: 512
    .name:           _ZN7rocprim17ROCPRIM_400000_NS6detail17trampoline_kernelINS0_14default_configENS1_25partition_config_selectorILNS1_17partition_subalgoE8ElNS0_10empty_typeEbEEZZNS1_14partition_implILS5_8ELb0ES3_jPlPS6_PKS6_NS0_5tupleIJS9_S6_EEENSD_IJSA_SA_EEENS0_18inequality_wrapperIZN2at6native12_GLOBAL__N_124unique_dim_cuda_templateIN3c108BFloat16EEESt5tupleIJNSH_6TensorESO_SO_EERKSO_lbbbEUlllE0_EEPmJS6_EEE10hipError_tPvRmT3_T4_T5_T6_T7_T9_mT8_P12ihipStream_tbDpT10_ENKUlT_T0_E_clISt17integral_constantIbLb0EES1D_IbLb1EEEEDaS19_S1A_EUlS19_E_NS1_11comp_targetILNS1_3genE0ELNS1_11target_archE4294967295ELNS1_3gpuE0ELNS1_3repE0EEENS1_30default_config_static_selectorELNS0_4arch9wavefront6targetE1EEEvT1_
    .private_segment_fixed_size: 0
    .sgpr_count:     4
    .sgpr_spill_count: 0
    .symbol:         _ZN7rocprim17ROCPRIM_400000_NS6detail17trampoline_kernelINS0_14default_configENS1_25partition_config_selectorILNS1_17partition_subalgoE8ElNS0_10empty_typeEbEEZZNS1_14partition_implILS5_8ELb0ES3_jPlPS6_PKS6_NS0_5tupleIJS9_S6_EEENSD_IJSA_SA_EEENS0_18inequality_wrapperIZN2at6native12_GLOBAL__N_124unique_dim_cuda_templateIN3c108BFloat16EEESt5tupleIJNSH_6TensorESO_SO_EERKSO_lbbbEUlllE0_EEPmJS6_EEE10hipError_tPvRmT3_T4_T5_T6_T7_T9_mT8_P12ihipStream_tbDpT10_ENKUlT_T0_E_clISt17integral_constantIbLb0EES1D_IbLb1EEEEDaS19_S1A_EUlS19_E_NS1_11comp_targetILNS1_3genE0ELNS1_11target_archE4294967295ELNS1_3gpuE0ELNS1_3repE0EEENS1_30default_config_static_selectorELNS0_4arch9wavefront6targetE1EEEvT1_.kd
    .uniform_work_group_size: 1
    .uses_dynamic_stack: false
    .vgpr_count:     0
    .vgpr_spill_count: 0
    .wavefront_size: 64
  - .agpr_count:     0
    .args:
      - .offset:         0
        .size:           136
        .value_kind:     by_value
    .group_segment_fixed_size: 0
    .kernarg_segment_align: 8
    .kernarg_segment_size: 136
    .language:       OpenCL C
    .language_version:
      - 2
      - 0
    .max_flat_workgroup_size: 512
    .name:           _ZN7rocprim17ROCPRIM_400000_NS6detail17trampoline_kernelINS0_14default_configENS1_25partition_config_selectorILNS1_17partition_subalgoE8ElNS0_10empty_typeEbEEZZNS1_14partition_implILS5_8ELb0ES3_jPlPS6_PKS6_NS0_5tupleIJS9_S6_EEENSD_IJSA_SA_EEENS0_18inequality_wrapperIZN2at6native12_GLOBAL__N_124unique_dim_cuda_templateIN3c108BFloat16EEESt5tupleIJNSH_6TensorESO_SO_EERKSO_lbbbEUlllE0_EEPmJS6_EEE10hipError_tPvRmT3_T4_T5_T6_T7_T9_mT8_P12ihipStream_tbDpT10_ENKUlT_T0_E_clISt17integral_constantIbLb0EES1D_IbLb1EEEEDaS19_S1A_EUlS19_E_NS1_11comp_targetILNS1_3genE5ELNS1_11target_archE942ELNS1_3gpuE9ELNS1_3repE0EEENS1_30default_config_static_selectorELNS0_4arch9wavefront6targetE1EEEvT1_
    .private_segment_fixed_size: 0
    .sgpr_count:     4
    .sgpr_spill_count: 0
    .symbol:         _ZN7rocprim17ROCPRIM_400000_NS6detail17trampoline_kernelINS0_14default_configENS1_25partition_config_selectorILNS1_17partition_subalgoE8ElNS0_10empty_typeEbEEZZNS1_14partition_implILS5_8ELb0ES3_jPlPS6_PKS6_NS0_5tupleIJS9_S6_EEENSD_IJSA_SA_EEENS0_18inequality_wrapperIZN2at6native12_GLOBAL__N_124unique_dim_cuda_templateIN3c108BFloat16EEESt5tupleIJNSH_6TensorESO_SO_EERKSO_lbbbEUlllE0_EEPmJS6_EEE10hipError_tPvRmT3_T4_T5_T6_T7_T9_mT8_P12ihipStream_tbDpT10_ENKUlT_T0_E_clISt17integral_constantIbLb0EES1D_IbLb1EEEEDaS19_S1A_EUlS19_E_NS1_11comp_targetILNS1_3genE5ELNS1_11target_archE942ELNS1_3gpuE9ELNS1_3repE0EEENS1_30default_config_static_selectorELNS0_4arch9wavefront6targetE1EEEvT1_.kd
    .uniform_work_group_size: 1
    .uses_dynamic_stack: false
    .vgpr_count:     0
    .vgpr_spill_count: 0
    .wavefront_size: 64
  - .agpr_count:     0
    .args:
      - .offset:         0
        .size:           136
        .value_kind:     by_value
    .group_segment_fixed_size: 10252
    .kernarg_segment_align: 8
    .kernarg_segment_size: 136
    .language:       OpenCL C
    .language_version:
      - 2
      - 0
    .max_flat_workgroup_size: 256
    .name:           _ZN7rocprim17ROCPRIM_400000_NS6detail17trampoline_kernelINS0_14default_configENS1_25partition_config_selectorILNS1_17partition_subalgoE8ElNS0_10empty_typeEbEEZZNS1_14partition_implILS5_8ELb0ES3_jPlPS6_PKS6_NS0_5tupleIJS9_S6_EEENSD_IJSA_SA_EEENS0_18inequality_wrapperIZN2at6native12_GLOBAL__N_124unique_dim_cuda_templateIN3c108BFloat16EEESt5tupleIJNSH_6TensorESO_SO_EERKSO_lbbbEUlllE0_EEPmJS6_EEE10hipError_tPvRmT3_T4_T5_T6_T7_T9_mT8_P12ihipStream_tbDpT10_ENKUlT_T0_E_clISt17integral_constantIbLb0EES1D_IbLb1EEEEDaS19_S1A_EUlS19_E_NS1_11comp_targetILNS1_3genE4ELNS1_11target_archE910ELNS1_3gpuE8ELNS1_3repE0EEENS1_30default_config_static_selectorELNS0_4arch9wavefront6targetE1EEEvT1_
    .private_segment_fixed_size: 0
    .sgpr_count:     56
    .sgpr_spill_count: 0
    .symbol:         _ZN7rocprim17ROCPRIM_400000_NS6detail17trampoline_kernelINS0_14default_configENS1_25partition_config_selectorILNS1_17partition_subalgoE8ElNS0_10empty_typeEbEEZZNS1_14partition_implILS5_8ELb0ES3_jPlPS6_PKS6_NS0_5tupleIJS9_S6_EEENSD_IJSA_SA_EEENS0_18inequality_wrapperIZN2at6native12_GLOBAL__N_124unique_dim_cuda_templateIN3c108BFloat16EEESt5tupleIJNSH_6TensorESO_SO_EERKSO_lbbbEUlllE0_EEPmJS6_EEE10hipError_tPvRmT3_T4_T5_T6_T7_T9_mT8_P12ihipStream_tbDpT10_ENKUlT_T0_E_clISt17integral_constantIbLb0EES1D_IbLb1EEEEDaS19_S1A_EUlS19_E_NS1_11comp_targetILNS1_3genE4ELNS1_11target_archE910ELNS1_3gpuE8ELNS1_3repE0EEENS1_30default_config_static_selectorELNS0_4arch9wavefront6targetE1EEEvT1_.kd
    .uniform_work_group_size: 1
    .uses_dynamic_stack: false
    .vgpr_count:     46
    .vgpr_spill_count: 0
    .wavefront_size: 64
  - .agpr_count:     0
    .args:
      - .offset:         0
        .size:           136
        .value_kind:     by_value
    .group_segment_fixed_size: 0
    .kernarg_segment_align: 8
    .kernarg_segment_size: 136
    .language:       OpenCL C
    .language_version:
      - 2
      - 0
    .max_flat_workgroup_size: 512
    .name:           _ZN7rocprim17ROCPRIM_400000_NS6detail17trampoline_kernelINS0_14default_configENS1_25partition_config_selectorILNS1_17partition_subalgoE8ElNS0_10empty_typeEbEEZZNS1_14partition_implILS5_8ELb0ES3_jPlPS6_PKS6_NS0_5tupleIJS9_S6_EEENSD_IJSA_SA_EEENS0_18inequality_wrapperIZN2at6native12_GLOBAL__N_124unique_dim_cuda_templateIN3c108BFloat16EEESt5tupleIJNSH_6TensorESO_SO_EERKSO_lbbbEUlllE0_EEPmJS6_EEE10hipError_tPvRmT3_T4_T5_T6_T7_T9_mT8_P12ihipStream_tbDpT10_ENKUlT_T0_E_clISt17integral_constantIbLb0EES1D_IbLb1EEEEDaS19_S1A_EUlS19_E_NS1_11comp_targetILNS1_3genE3ELNS1_11target_archE908ELNS1_3gpuE7ELNS1_3repE0EEENS1_30default_config_static_selectorELNS0_4arch9wavefront6targetE1EEEvT1_
    .private_segment_fixed_size: 0
    .sgpr_count:     4
    .sgpr_spill_count: 0
    .symbol:         _ZN7rocprim17ROCPRIM_400000_NS6detail17trampoline_kernelINS0_14default_configENS1_25partition_config_selectorILNS1_17partition_subalgoE8ElNS0_10empty_typeEbEEZZNS1_14partition_implILS5_8ELb0ES3_jPlPS6_PKS6_NS0_5tupleIJS9_S6_EEENSD_IJSA_SA_EEENS0_18inequality_wrapperIZN2at6native12_GLOBAL__N_124unique_dim_cuda_templateIN3c108BFloat16EEESt5tupleIJNSH_6TensorESO_SO_EERKSO_lbbbEUlllE0_EEPmJS6_EEE10hipError_tPvRmT3_T4_T5_T6_T7_T9_mT8_P12ihipStream_tbDpT10_ENKUlT_T0_E_clISt17integral_constantIbLb0EES1D_IbLb1EEEEDaS19_S1A_EUlS19_E_NS1_11comp_targetILNS1_3genE3ELNS1_11target_archE908ELNS1_3gpuE7ELNS1_3repE0EEENS1_30default_config_static_selectorELNS0_4arch9wavefront6targetE1EEEvT1_.kd
    .uniform_work_group_size: 1
    .uses_dynamic_stack: false
    .vgpr_count:     0
    .vgpr_spill_count: 0
    .wavefront_size: 64
  - .agpr_count:     0
    .args:
      - .offset:         0
        .size:           136
        .value_kind:     by_value
    .group_segment_fixed_size: 0
    .kernarg_segment_align: 8
    .kernarg_segment_size: 136
    .language:       OpenCL C
    .language_version:
      - 2
      - 0
    .max_flat_workgroup_size: 256
    .name:           _ZN7rocprim17ROCPRIM_400000_NS6detail17trampoline_kernelINS0_14default_configENS1_25partition_config_selectorILNS1_17partition_subalgoE8ElNS0_10empty_typeEbEEZZNS1_14partition_implILS5_8ELb0ES3_jPlPS6_PKS6_NS0_5tupleIJS9_S6_EEENSD_IJSA_SA_EEENS0_18inequality_wrapperIZN2at6native12_GLOBAL__N_124unique_dim_cuda_templateIN3c108BFloat16EEESt5tupleIJNSH_6TensorESO_SO_EERKSO_lbbbEUlllE0_EEPmJS6_EEE10hipError_tPvRmT3_T4_T5_T6_T7_T9_mT8_P12ihipStream_tbDpT10_ENKUlT_T0_E_clISt17integral_constantIbLb0EES1D_IbLb1EEEEDaS19_S1A_EUlS19_E_NS1_11comp_targetILNS1_3genE2ELNS1_11target_archE906ELNS1_3gpuE6ELNS1_3repE0EEENS1_30default_config_static_selectorELNS0_4arch9wavefront6targetE1EEEvT1_
    .private_segment_fixed_size: 0
    .sgpr_count:     4
    .sgpr_spill_count: 0
    .symbol:         _ZN7rocprim17ROCPRIM_400000_NS6detail17trampoline_kernelINS0_14default_configENS1_25partition_config_selectorILNS1_17partition_subalgoE8ElNS0_10empty_typeEbEEZZNS1_14partition_implILS5_8ELb0ES3_jPlPS6_PKS6_NS0_5tupleIJS9_S6_EEENSD_IJSA_SA_EEENS0_18inequality_wrapperIZN2at6native12_GLOBAL__N_124unique_dim_cuda_templateIN3c108BFloat16EEESt5tupleIJNSH_6TensorESO_SO_EERKSO_lbbbEUlllE0_EEPmJS6_EEE10hipError_tPvRmT3_T4_T5_T6_T7_T9_mT8_P12ihipStream_tbDpT10_ENKUlT_T0_E_clISt17integral_constantIbLb0EES1D_IbLb1EEEEDaS19_S1A_EUlS19_E_NS1_11comp_targetILNS1_3genE2ELNS1_11target_archE906ELNS1_3gpuE6ELNS1_3repE0EEENS1_30default_config_static_selectorELNS0_4arch9wavefront6targetE1EEEvT1_.kd
    .uniform_work_group_size: 1
    .uses_dynamic_stack: false
    .vgpr_count:     0
    .vgpr_spill_count: 0
    .wavefront_size: 64
  - .agpr_count:     0
    .args:
      - .offset:         0
        .size:           136
        .value_kind:     by_value
    .group_segment_fixed_size: 0
    .kernarg_segment_align: 8
    .kernarg_segment_size: 136
    .language:       OpenCL C
    .language_version:
      - 2
      - 0
    .max_flat_workgroup_size: 384
    .name:           _ZN7rocprim17ROCPRIM_400000_NS6detail17trampoline_kernelINS0_14default_configENS1_25partition_config_selectorILNS1_17partition_subalgoE8ElNS0_10empty_typeEbEEZZNS1_14partition_implILS5_8ELb0ES3_jPlPS6_PKS6_NS0_5tupleIJS9_S6_EEENSD_IJSA_SA_EEENS0_18inequality_wrapperIZN2at6native12_GLOBAL__N_124unique_dim_cuda_templateIN3c108BFloat16EEESt5tupleIJNSH_6TensorESO_SO_EERKSO_lbbbEUlllE0_EEPmJS6_EEE10hipError_tPvRmT3_T4_T5_T6_T7_T9_mT8_P12ihipStream_tbDpT10_ENKUlT_T0_E_clISt17integral_constantIbLb0EES1D_IbLb1EEEEDaS19_S1A_EUlS19_E_NS1_11comp_targetILNS1_3genE10ELNS1_11target_archE1200ELNS1_3gpuE4ELNS1_3repE0EEENS1_30default_config_static_selectorELNS0_4arch9wavefront6targetE1EEEvT1_
    .private_segment_fixed_size: 0
    .sgpr_count:     4
    .sgpr_spill_count: 0
    .symbol:         _ZN7rocprim17ROCPRIM_400000_NS6detail17trampoline_kernelINS0_14default_configENS1_25partition_config_selectorILNS1_17partition_subalgoE8ElNS0_10empty_typeEbEEZZNS1_14partition_implILS5_8ELb0ES3_jPlPS6_PKS6_NS0_5tupleIJS9_S6_EEENSD_IJSA_SA_EEENS0_18inequality_wrapperIZN2at6native12_GLOBAL__N_124unique_dim_cuda_templateIN3c108BFloat16EEESt5tupleIJNSH_6TensorESO_SO_EERKSO_lbbbEUlllE0_EEPmJS6_EEE10hipError_tPvRmT3_T4_T5_T6_T7_T9_mT8_P12ihipStream_tbDpT10_ENKUlT_T0_E_clISt17integral_constantIbLb0EES1D_IbLb1EEEEDaS19_S1A_EUlS19_E_NS1_11comp_targetILNS1_3genE10ELNS1_11target_archE1200ELNS1_3gpuE4ELNS1_3repE0EEENS1_30default_config_static_selectorELNS0_4arch9wavefront6targetE1EEEvT1_.kd
    .uniform_work_group_size: 1
    .uses_dynamic_stack: false
    .vgpr_count:     0
    .vgpr_spill_count: 0
    .wavefront_size: 64
  - .agpr_count:     0
    .args:
      - .offset:         0
        .size:           136
        .value_kind:     by_value
    .group_segment_fixed_size: 0
    .kernarg_segment_align: 8
    .kernarg_segment_size: 136
    .language:       OpenCL C
    .language_version:
      - 2
      - 0
    .max_flat_workgroup_size: 512
    .name:           _ZN7rocprim17ROCPRIM_400000_NS6detail17trampoline_kernelINS0_14default_configENS1_25partition_config_selectorILNS1_17partition_subalgoE8ElNS0_10empty_typeEbEEZZNS1_14partition_implILS5_8ELb0ES3_jPlPS6_PKS6_NS0_5tupleIJS9_S6_EEENSD_IJSA_SA_EEENS0_18inequality_wrapperIZN2at6native12_GLOBAL__N_124unique_dim_cuda_templateIN3c108BFloat16EEESt5tupleIJNSH_6TensorESO_SO_EERKSO_lbbbEUlllE0_EEPmJS6_EEE10hipError_tPvRmT3_T4_T5_T6_T7_T9_mT8_P12ihipStream_tbDpT10_ENKUlT_T0_E_clISt17integral_constantIbLb0EES1D_IbLb1EEEEDaS19_S1A_EUlS19_E_NS1_11comp_targetILNS1_3genE9ELNS1_11target_archE1100ELNS1_3gpuE3ELNS1_3repE0EEENS1_30default_config_static_selectorELNS0_4arch9wavefront6targetE1EEEvT1_
    .private_segment_fixed_size: 0
    .sgpr_count:     4
    .sgpr_spill_count: 0
    .symbol:         _ZN7rocprim17ROCPRIM_400000_NS6detail17trampoline_kernelINS0_14default_configENS1_25partition_config_selectorILNS1_17partition_subalgoE8ElNS0_10empty_typeEbEEZZNS1_14partition_implILS5_8ELb0ES3_jPlPS6_PKS6_NS0_5tupleIJS9_S6_EEENSD_IJSA_SA_EEENS0_18inequality_wrapperIZN2at6native12_GLOBAL__N_124unique_dim_cuda_templateIN3c108BFloat16EEESt5tupleIJNSH_6TensorESO_SO_EERKSO_lbbbEUlllE0_EEPmJS6_EEE10hipError_tPvRmT3_T4_T5_T6_T7_T9_mT8_P12ihipStream_tbDpT10_ENKUlT_T0_E_clISt17integral_constantIbLb0EES1D_IbLb1EEEEDaS19_S1A_EUlS19_E_NS1_11comp_targetILNS1_3genE9ELNS1_11target_archE1100ELNS1_3gpuE3ELNS1_3repE0EEENS1_30default_config_static_selectorELNS0_4arch9wavefront6targetE1EEEvT1_.kd
    .uniform_work_group_size: 1
    .uses_dynamic_stack: false
    .vgpr_count:     0
    .vgpr_spill_count: 0
    .wavefront_size: 64
  - .agpr_count:     0
    .args:
      - .offset:         0
        .size:           136
        .value_kind:     by_value
    .group_segment_fixed_size: 0
    .kernarg_segment_align: 8
    .kernarg_segment_size: 136
    .language:       OpenCL C
    .language_version:
      - 2
      - 0
    .max_flat_workgroup_size: 512
    .name:           _ZN7rocprim17ROCPRIM_400000_NS6detail17trampoline_kernelINS0_14default_configENS1_25partition_config_selectorILNS1_17partition_subalgoE8ElNS0_10empty_typeEbEEZZNS1_14partition_implILS5_8ELb0ES3_jPlPS6_PKS6_NS0_5tupleIJS9_S6_EEENSD_IJSA_SA_EEENS0_18inequality_wrapperIZN2at6native12_GLOBAL__N_124unique_dim_cuda_templateIN3c108BFloat16EEESt5tupleIJNSH_6TensorESO_SO_EERKSO_lbbbEUlllE0_EEPmJS6_EEE10hipError_tPvRmT3_T4_T5_T6_T7_T9_mT8_P12ihipStream_tbDpT10_ENKUlT_T0_E_clISt17integral_constantIbLb0EES1D_IbLb1EEEEDaS19_S1A_EUlS19_E_NS1_11comp_targetILNS1_3genE8ELNS1_11target_archE1030ELNS1_3gpuE2ELNS1_3repE0EEENS1_30default_config_static_selectorELNS0_4arch9wavefront6targetE1EEEvT1_
    .private_segment_fixed_size: 0
    .sgpr_count:     4
    .sgpr_spill_count: 0
    .symbol:         _ZN7rocprim17ROCPRIM_400000_NS6detail17trampoline_kernelINS0_14default_configENS1_25partition_config_selectorILNS1_17partition_subalgoE8ElNS0_10empty_typeEbEEZZNS1_14partition_implILS5_8ELb0ES3_jPlPS6_PKS6_NS0_5tupleIJS9_S6_EEENSD_IJSA_SA_EEENS0_18inequality_wrapperIZN2at6native12_GLOBAL__N_124unique_dim_cuda_templateIN3c108BFloat16EEESt5tupleIJNSH_6TensorESO_SO_EERKSO_lbbbEUlllE0_EEPmJS6_EEE10hipError_tPvRmT3_T4_T5_T6_T7_T9_mT8_P12ihipStream_tbDpT10_ENKUlT_T0_E_clISt17integral_constantIbLb0EES1D_IbLb1EEEEDaS19_S1A_EUlS19_E_NS1_11comp_targetILNS1_3genE8ELNS1_11target_archE1030ELNS1_3gpuE2ELNS1_3repE0EEENS1_30default_config_static_selectorELNS0_4arch9wavefront6targetE1EEEvT1_.kd
    .uniform_work_group_size: 1
    .uses_dynamic_stack: false
    .vgpr_count:     0
    .vgpr_spill_count: 0
    .wavefront_size: 64
  - .agpr_count:     0
    .args:
      - .offset:         0
        .size:           120
        .value_kind:     by_value
    .group_segment_fixed_size: 0
    .kernarg_segment_align: 8
    .kernarg_segment_size: 120
    .language:       OpenCL C
    .language_version:
      - 2
      - 0
    .max_flat_workgroup_size: 128
    .name:           _ZN7rocprim17ROCPRIM_400000_NS6detail17trampoline_kernelINS0_14default_configENS1_25partition_config_selectorILNS1_17partition_subalgoE9EllbEEZZNS1_14partition_implILS5_9ELb0ES3_jPlS8_PNS0_10empty_typeENS0_5tupleIJS8_S9_EEENSB_IJS8_SA_EEENS0_18inequality_wrapperIZN2at6native12_GLOBAL__N_124unique_dim_cuda_templateIN3c108BFloat16EEESt5tupleIJNSF_6TensorESM_SM_EERKSM_lbbbEUlllE0_EEPmJS9_EEE10hipError_tPvRmT3_T4_T5_T6_T7_T9_mT8_P12ihipStream_tbDpT10_ENKUlT_T0_E_clISt17integral_constantIbLb0EES1C_EEDaS17_S18_EUlS17_E_NS1_11comp_targetILNS1_3genE0ELNS1_11target_archE4294967295ELNS1_3gpuE0ELNS1_3repE0EEENS1_30default_config_static_selectorELNS0_4arch9wavefront6targetE1EEEvT1_
    .private_segment_fixed_size: 0
    .sgpr_count:     4
    .sgpr_spill_count: 0
    .symbol:         _ZN7rocprim17ROCPRIM_400000_NS6detail17trampoline_kernelINS0_14default_configENS1_25partition_config_selectorILNS1_17partition_subalgoE9EllbEEZZNS1_14partition_implILS5_9ELb0ES3_jPlS8_PNS0_10empty_typeENS0_5tupleIJS8_S9_EEENSB_IJS8_SA_EEENS0_18inequality_wrapperIZN2at6native12_GLOBAL__N_124unique_dim_cuda_templateIN3c108BFloat16EEESt5tupleIJNSF_6TensorESM_SM_EERKSM_lbbbEUlllE0_EEPmJS9_EEE10hipError_tPvRmT3_T4_T5_T6_T7_T9_mT8_P12ihipStream_tbDpT10_ENKUlT_T0_E_clISt17integral_constantIbLb0EES1C_EEDaS17_S18_EUlS17_E_NS1_11comp_targetILNS1_3genE0ELNS1_11target_archE4294967295ELNS1_3gpuE0ELNS1_3repE0EEENS1_30default_config_static_selectorELNS0_4arch9wavefront6targetE1EEEvT1_.kd
    .uniform_work_group_size: 1
    .uses_dynamic_stack: false
    .vgpr_count:     0
    .vgpr_spill_count: 0
    .wavefront_size: 64
  - .agpr_count:     0
    .args:
      - .offset:         0
        .size:           120
        .value_kind:     by_value
    .group_segment_fixed_size: 0
    .kernarg_segment_align: 8
    .kernarg_segment_size: 120
    .language:       OpenCL C
    .language_version:
      - 2
      - 0
    .max_flat_workgroup_size: 512
    .name:           _ZN7rocprim17ROCPRIM_400000_NS6detail17trampoline_kernelINS0_14default_configENS1_25partition_config_selectorILNS1_17partition_subalgoE9EllbEEZZNS1_14partition_implILS5_9ELb0ES3_jPlS8_PNS0_10empty_typeENS0_5tupleIJS8_S9_EEENSB_IJS8_SA_EEENS0_18inequality_wrapperIZN2at6native12_GLOBAL__N_124unique_dim_cuda_templateIN3c108BFloat16EEESt5tupleIJNSF_6TensorESM_SM_EERKSM_lbbbEUlllE0_EEPmJS9_EEE10hipError_tPvRmT3_T4_T5_T6_T7_T9_mT8_P12ihipStream_tbDpT10_ENKUlT_T0_E_clISt17integral_constantIbLb0EES1C_EEDaS17_S18_EUlS17_E_NS1_11comp_targetILNS1_3genE5ELNS1_11target_archE942ELNS1_3gpuE9ELNS1_3repE0EEENS1_30default_config_static_selectorELNS0_4arch9wavefront6targetE1EEEvT1_
    .private_segment_fixed_size: 0
    .sgpr_count:     4
    .sgpr_spill_count: 0
    .symbol:         _ZN7rocprim17ROCPRIM_400000_NS6detail17trampoline_kernelINS0_14default_configENS1_25partition_config_selectorILNS1_17partition_subalgoE9EllbEEZZNS1_14partition_implILS5_9ELb0ES3_jPlS8_PNS0_10empty_typeENS0_5tupleIJS8_S9_EEENSB_IJS8_SA_EEENS0_18inequality_wrapperIZN2at6native12_GLOBAL__N_124unique_dim_cuda_templateIN3c108BFloat16EEESt5tupleIJNSF_6TensorESM_SM_EERKSM_lbbbEUlllE0_EEPmJS9_EEE10hipError_tPvRmT3_T4_T5_T6_T7_T9_mT8_P12ihipStream_tbDpT10_ENKUlT_T0_E_clISt17integral_constantIbLb0EES1C_EEDaS17_S18_EUlS17_E_NS1_11comp_targetILNS1_3genE5ELNS1_11target_archE942ELNS1_3gpuE9ELNS1_3repE0EEENS1_30default_config_static_selectorELNS0_4arch9wavefront6targetE1EEEvT1_.kd
    .uniform_work_group_size: 1
    .uses_dynamic_stack: false
    .vgpr_count:     0
    .vgpr_spill_count: 0
    .wavefront_size: 64
  - .agpr_count:     0
    .args:
      - .offset:         0
        .size:           120
        .value_kind:     by_value
    .group_segment_fixed_size: 4236
    .kernarg_segment_align: 8
    .kernarg_segment_size: 120
    .language:       OpenCL C
    .language_version:
      - 2
      - 0
    .max_flat_workgroup_size: 128
    .name:           _ZN7rocprim17ROCPRIM_400000_NS6detail17trampoline_kernelINS0_14default_configENS1_25partition_config_selectorILNS1_17partition_subalgoE9EllbEEZZNS1_14partition_implILS5_9ELb0ES3_jPlS8_PNS0_10empty_typeENS0_5tupleIJS8_S9_EEENSB_IJS8_SA_EEENS0_18inequality_wrapperIZN2at6native12_GLOBAL__N_124unique_dim_cuda_templateIN3c108BFloat16EEESt5tupleIJNSF_6TensorESM_SM_EERKSM_lbbbEUlllE0_EEPmJS9_EEE10hipError_tPvRmT3_T4_T5_T6_T7_T9_mT8_P12ihipStream_tbDpT10_ENKUlT_T0_E_clISt17integral_constantIbLb0EES1C_EEDaS17_S18_EUlS17_E_NS1_11comp_targetILNS1_3genE4ELNS1_11target_archE910ELNS1_3gpuE8ELNS1_3repE0EEENS1_30default_config_static_selectorELNS0_4arch9wavefront6targetE1EEEvT1_
    .private_segment_fixed_size: 0
    .sgpr_count:     50
    .sgpr_spill_count: 0
    .symbol:         _ZN7rocprim17ROCPRIM_400000_NS6detail17trampoline_kernelINS0_14default_configENS1_25partition_config_selectorILNS1_17partition_subalgoE9EllbEEZZNS1_14partition_implILS5_9ELb0ES3_jPlS8_PNS0_10empty_typeENS0_5tupleIJS8_S9_EEENSB_IJS8_SA_EEENS0_18inequality_wrapperIZN2at6native12_GLOBAL__N_124unique_dim_cuda_templateIN3c108BFloat16EEESt5tupleIJNSF_6TensorESM_SM_EERKSM_lbbbEUlllE0_EEPmJS9_EEE10hipError_tPvRmT3_T4_T5_T6_T7_T9_mT8_P12ihipStream_tbDpT10_ENKUlT_T0_E_clISt17integral_constantIbLb0EES1C_EEDaS17_S18_EUlS17_E_NS1_11comp_targetILNS1_3genE4ELNS1_11target_archE910ELNS1_3gpuE8ELNS1_3repE0EEENS1_30default_config_static_selectorELNS0_4arch9wavefront6targetE1EEEvT1_.kd
    .uniform_work_group_size: 1
    .uses_dynamic_stack: false
    .vgpr_count:     50
    .vgpr_spill_count: 0
    .wavefront_size: 64
  - .agpr_count:     0
    .args:
      - .offset:         0
        .size:           120
        .value_kind:     by_value
    .group_segment_fixed_size: 0
    .kernarg_segment_align: 8
    .kernarg_segment_size: 120
    .language:       OpenCL C
    .language_version:
      - 2
      - 0
    .max_flat_workgroup_size: 128
    .name:           _ZN7rocprim17ROCPRIM_400000_NS6detail17trampoline_kernelINS0_14default_configENS1_25partition_config_selectorILNS1_17partition_subalgoE9EllbEEZZNS1_14partition_implILS5_9ELb0ES3_jPlS8_PNS0_10empty_typeENS0_5tupleIJS8_S9_EEENSB_IJS8_SA_EEENS0_18inequality_wrapperIZN2at6native12_GLOBAL__N_124unique_dim_cuda_templateIN3c108BFloat16EEESt5tupleIJNSF_6TensorESM_SM_EERKSM_lbbbEUlllE0_EEPmJS9_EEE10hipError_tPvRmT3_T4_T5_T6_T7_T9_mT8_P12ihipStream_tbDpT10_ENKUlT_T0_E_clISt17integral_constantIbLb0EES1C_EEDaS17_S18_EUlS17_E_NS1_11comp_targetILNS1_3genE3ELNS1_11target_archE908ELNS1_3gpuE7ELNS1_3repE0EEENS1_30default_config_static_selectorELNS0_4arch9wavefront6targetE1EEEvT1_
    .private_segment_fixed_size: 0
    .sgpr_count:     4
    .sgpr_spill_count: 0
    .symbol:         _ZN7rocprim17ROCPRIM_400000_NS6detail17trampoline_kernelINS0_14default_configENS1_25partition_config_selectorILNS1_17partition_subalgoE9EllbEEZZNS1_14partition_implILS5_9ELb0ES3_jPlS8_PNS0_10empty_typeENS0_5tupleIJS8_S9_EEENSB_IJS8_SA_EEENS0_18inequality_wrapperIZN2at6native12_GLOBAL__N_124unique_dim_cuda_templateIN3c108BFloat16EEESt5tupleIJNSF_6TensorESM_SM_EERKSM_lbbbEUlllE0_EEPmJS9_EEE10hipError_tPvRmT3_T4_T5_T6_T7_T9_mT8_P12ihipStream_tbDpT10_ENKUlT_T0_E_clISt17integral_constantIbLb0EES1C_EEDaS17_S18_EUlS17_E_NS1_11comp_targetILNS1_3genE3ELNS1_11target_archE908ELNS1_3gpuE7ELNS1_3repE0EEENS1_30default_config_static_selectorELNS0_4arch9wavefront6targetE1EEEvT1_.kd
    .uniform_work_group_size: 1
    .uses_dynamic_stack: false
    .vgpr_count:     0
    .vgpr_spill_count: 0
    .wavefront_size: 64
  - .agpr_count:     0
    .args:
      - .offset:         0
        .size:           120
        .value_kind:     by_value
    .group_segment_fixed_size: 0
    .kernarg_segment_align: 8
    .kernarg_segment_size: 120
    .language:       OpenCL C
    .language_version:
      - 2
      - 0
    .max_flat_workgroup_size: 192
    .name:           _ZN7rocprim17ROCPRIM_400000_NS6detail17trampoline_kernelINS0_14default_configENS1_25partition_config_selectorILNS1_17partition_subalgoE9EllbEEZZNS1_14partition_implILS5_9ELb0ES3_jPlS8_PNS0_10empty_typeENS0_5tupleIJS8_S9_EEENSB_IJS8_SA_EEENS0_18inequality_wrapperIZN2at6native12_GLOBAL__N_124unique_dim_cuda_templateIN3c108BFloat16EEESt5tupleIJNSF_6TensorESM_SM_EERKSM_lbbbEUlllE0_EEPmJS9_EEE10hipError_tPvRmT3_T4_T5_T6_T7_T9_mT8_P12ihipStream_tbDpT10_ENKUlT_T0_E_clISt17integral_constantIbLb0EES1C_EEDaS17_S18_EUlS17_E_NS1_11comp_targetILNS1_3genE2ELNS1_11target_archE906ELNS1_3gpuE6ELNS1_3repE0EEENS1_30default_config_static_selectorELNS0_4arch9wavefront6targetE1EEEvT1_
    .private_segment_fixed_size: 0
    .sgpr_count:     4
    .sgpr_spill_count: 0
    .symbol:         _ZN7rocprim17ROCPRIM_400000_NS6detail17trampoline_kernelINS0_14default_configENS1_25partition_config_selectorILNS1_17partition_subalgoE9EllbEEZZNS1_14partition_implILS5_9ELb0ES3_jPlS8_PNS0_10empty_typeENS0_5tupleIJS8_S9_EEENSB_IJS8_SA_EEENS0_18inequality_wrapperIZN2at6native12_GLOBAL__N_124unique_dim_cuda_templateIN3c108BFloat16EEESt5tupleIJNSF_6TensorESM_SM_EERKSM_lbbbEUlllE0_EEPmJS9_EEE10hipError_tPvRmT3_T4_T5_T6_T7_T9_mT8_P12ihipStream_tbDpT10_ENKUlT_T0_E_clISt17integral_constantIbLb0EES1C_EEDaS17_S18_EUlS17_E_NS1_11comp_targetILNS1_3genE2ELNS1_11target_archE906ELNS1_3gpuE6ELNS1_3repE0EEENS1_30default_config_static_selectorELNS0_4arch9wavefront6targetE1EEEvT1_.kd
    .uniform_work_group_size: 1
    .uses_dynamic_stack: false
    .vgpr_count:     0
    .vgpr_spill_count: 0
    .wavefront_size: 64
  - .agpr_count:     0
    .args:
      - .offset:         0
        .size:           120
        .value_kind:     by_value
    .group_segment_fixed_size: 0
    .kernarg_segment_align: 8
    .kernarg_segment_size: 120
    .language:       OpenCL C
    .language_version:
      - 2
      - 0
    .max_flat_workgroup_size: 384
    .name:           _ZN7rocprim17ROCPRIM_400000_NS6detail17trampoline_kernelINS0_14default_configENS1_25partition_config_selectorILNS1_17partition_subalgoE9EllbEEZZNS1_14partition_implILS5_9ELb0ES3_jPlS8_PNS0_10empty_typeENS0_5tupleIJS8_S9_EEENSB_IJS8_SA_EEENS0_18inequality_wrapperIZN2at6native12_GLOBAL__N_124unique_dim_cuda_templateIN3c108BFloat16EEESt5tupleIJNSF_6TensorESM_SM_EERKSM_lbbbEUlllE0_EEPmJS9_EEE10hipError_tPvRmT3_T4_T5_T6_T7_T9_mT8_P12ihipStream_tbDpT10_ENKUlT_T0_E_clISt17integral_constantIbLb0EES1C_EEDaS17_S18_EUlS17_E_NS1_11comp_targetILNS1_3genE10ELNS1_11target_archE1200ELNS1_3gpuE4ELNS1_3repE0EEENS1_30default_config_static_selectorELNS0_4arch9wavefront6targetE1EEEvT1_
    .private_segment_fixed_size: 0
    .sgpr_count:     4
    .sgpr_spill_count: 0
    .symbol:         _ZN7rocprim17ROCPRIM_400000_NS6detail17trampoline_kernelINS0_14default_configENS1_25partition_config_selectorILNS1_17partition_subalgoE9EllbEEZZNS1_14partition_implILS5_9ELb0ES3_jPlS8_PNS0_10empty_typeENS0_5tupleIJS8_S9_EEENSB_IJS8_SA_EEENS0_18inequality_wrapperIZN2at6native12_GLOBAL__N_124unique_dim_cuda_templateIN3c108BFloat16EEESt5tupleIJNSF_6TensorESM_SM_EERKSM_lbbbEUlllE0_EEPmJS9_EEE10hipError_tPvRmT3_T4_T5_T6_T7_T9_mT8_P12ihipStream_tbDpT10_ENKUlT_T0_E_clISt17integral_constantIbLb0EES1C_EEDaS17_S18_EUlS17_E_NS1_11comp_targetILNS1_3genE10ELNS1_11target_archE1200ELNS1_3gpuE4ELNS1_3repE0EEENS1_30default_config_static_selectorELNS0_4arch9wavefront6targetE1EEEvT1_.kd
    .uniform_work_group_size: 1
    .uses_dynamic_stack: false
    .vgpr_count:     0
    .vgpr_spill_count: 0
    .wavefront_size: 64
  - .agpr_count:     0
    .args:
      - .offset:         0
        .size:           120
        .value_kind:     by_value
    .group_segment_fixed_size: 0
    .kernarg_segment_align: 8
    .kernarg_segment_size: 120
    .language:       OpenCL C
    .language_version:
      - 2
      - 0
    .max_flat_workgroup_size: 512
    .name:           _ZN7rocprim17ROCPRIM_400000_NS6detail17trampoline_kernelINS0_14default_configENS1_25partition_config_selectorILNS1_17partition_subalgoE9EllbEEZZNS1_14partition_implILS5_9ELb0ES3_jPlS8_PNS0_10empty_typeENS0_5tupleIJS8_S9_EEENSB_IJS8_SA_EEENS0_18inequality_wrapperIZN2at6native12_GLOBAL__N_124unique_dim_cuda_templateIN3c108BFloat16EEESt5tupleIJNSF_6TensorESM_SM_EERKSM_lbbbEUlllE0_EEPmJS9_EEE10hipError_tPvRmT3_T4_T5_T6_T7_T9_mT8_P12ihipStream_tbDpT10_ENKUlT_T0_E_clISt17integral_constantIbLb0EES1C_EEDaS17_S18_EUlS17_E_NS1_11comp_targetILNS1_3genE9ELNS1_11target_archE1100ELNS1_3gpuE3ELNS1_3repE0EEENS1_30default_config_static_selectorELNS0_4arch9wavefront6targetE1EEEvT1_
    .private_segment_fixed_size: 0
    .sgpr_count:     4
    .sgpr_spill_count: 0
    .symbol:         _ZN7rocprim17ROCPRIM_400000_NS6detail17trampoline_kernelINS0_14default_configENS1_25partition_config_selectorILNS1_17partition_subalgoE9EllbEEZZNS1_14partition_implILS5_9ELb0ES3_jPlS8_PNS0_10empty_typeENS0_5tupleIJS8_S9_EEENSB_IJS8_SA_EEENS0_18inequality_wrapperIZN2at6native12_GLOBAL__N_124unique_dim_cuda_templateIN3c108BFloat16EEESt5tupleIJNSF_6TensorESM_SM_EERKSM_lbbbEUlllE0_EEPmJS9_EEE10hipError_tPvRmT3_T4_T5_T6_T7_T9_mT8_P12ihipStream_tbDpT10_ENKUlT_T0_E_clISt17integral_constantIbLb0EES1C_EEDaS17_S18_EUlS17_E_NS1_11comp_targetILNS1_3genE9ELNS1_11target_archE1100ELNS1_3gpuE3ELNS1_3repE0EEENS1_30default_config_static_selectorELNS0_4arch9wavefront6targetE1EEEvT1_.kd
    .uniform_work_group_size: 1
    .uses_dynamic_stack: false
    .vgpr_count:     0
    .vgpr_spill_count: 0
    .wavefront_size: 64
  - .agpr_count:     0
    .args:
      - .offset:         0
        .size:           120
        .value_kind:     by_value
    .group_segment_fixed_size: 0
    .kernarg_segment_align: 8
    .kernarg_segment_size: 120
    .language:       OpenCL C
    .language_version:
      - 2
      - 0
    .max_flat_workgroup_size: 512
    .name:           _ZN7rocprim17ROCPRIM_400000_NS6detail17trampoline_kernelINS0_14default_configENS1_25partition_config_selectorILNS1_17partition_subalgoE9EllbEEZZNS1_14partition_implILS5_9ELb0ES3_jPlS8_PNS0_10empty_typeENS0_5tupleIJS8_S9_EEENSB_IJS8_SA_EEENS0_18inequality_wrapperIZN2at6native12_GLOBAL__N_124unique_dim_cuda_templateIN3c108BFloat16EEESt5tupleIJNSF_6TensorESM_SM_EERKSM_lbbbEUlllE0_EEPmJS9_EEE10hipError_tPvRmT3_T4_T5_T6_T7_T9_mT8_P12ihipStream_tbDpT10_ENKUlT_T0_E_clISt17integral_constantIbLb0EES1C_EEDaS17_S18_EUlS17_E_NS1_11comp_targetILNS1_3genE8ELNS1_11target_archE1030ELNS1_3gpuE2ELNS1_3repE0EEENS1_30default_config_static_selectorELNS0_4arch9wavefront6targetE1EEEvT1_
    .private_segment_fixed_size: 0
    .sgpr_count:     4
    .sgpr_spill_count: 0
    .symbol:         _ZN7rocprim17ROCPRIM_400000_NS6detail17trampoline_kernelINS0_14default_configENS1_25partition_config_selectorILNS1_17partition_subalgoE9EllbEEZZNS1_14partition_implILS5_9ELb0ES3_jPlS8_PNS0_10empty_typeENS0_5tupleIJS8_S9_EEENSB_IJS8_SA_EEENS0_18inequality_wrapperIZN2at6native12_GLOBAL__N_124unique_dim_cuda_templateIN3c108BFloat16EEESt5tupleIJNSF_6TensorESM_SM_EERKSM_lbbbEUlllE0_EEPmJS9_EEE10hipError_tPvRmT3_T4_T5_T6_T7_T9_mT8_P12ihipStream_tbDpT10_ENKUlT_T0_E_clISt17integral_constantIbLb0EES1C_EEDaS17_S18_EUlS17_E_NS1_11comp_targetILNS1_3genE8ELNS1_11target_archE1030ELNS1_3gpuE2ELNS1_3repE0EEENS1_30default_config_static_selectorELNS0_4arch9wavefront6targetE1EEEvT1_.kd
    .uniform_work_group_size: 1
    .uses_dynamic_stack: false
    .vgpr_count:     0
    .vgpr_spill_count: 0
    .wavefront_size: 64
  - .agpr_count:     0
    .args:
      - .offset:         0
        .size:           136
        .value_kind:     by_value
    .group_segment_fixed_size: 0
    .kernarg_segment_align: 8
    .kernarg_segment_size: 136
    .language:       OpenCL C
    .language_version:
      - 2
      - 0
    .max_flat_workgroup_size: 128
    .name:           _ZN7rocprim17ROCPRIM_400000_NS6detail17trampoline_kernelINS0_14default_configENS1_25partition_config_selectorILNS1_17partition_subalgoE9EllbEEZZNS1_14partition_implILS5_9ELb0ES3_jPlS8_PNS0_10empty_typeENS0_5tupleIJS8_S9_EEENSB_IJS8_SA_EEENS0_18inequality_wrapperIZN2at6native12_GLOBAL__N_124unique_dim_cuda_templateIN3c108BFloat16EEESt5tupleIJNSF_6TensorESM_SM_EERKSM_lbbbEUlllE0_EEPmJS9_EEE10hipError_tPvRmT3_T4_T5_T6_T7_T9_mT8_P12ihipStream_tbDpT10_ENKUlT_T0_E_clISt17integral_constantIbLb1EES1C_EEDaS17_S18_EUlS17_E_NS1_11comp_targetILNS1_3genE0ELNS1_11target_archE4294967295ELNS1_3gpuE0ELNS1_3repE0EEENS1_30default_config_static_selectorELNS0_4arch9wavefront6targetE1EEEvT1_
    .private_segment_fixed_size: 0
    .sgpr_count:     4
    .sgpr_spill_count: 0
    .symbol:         _ZN7rocprim17ROCPRIM_400000_NS6detail17trampoline_kernelINS0_14default_configENS1_25partition_config_selectorILNS1_17partition_subalgoE9EllbEEZZNS1_14partition_implILS5_9ELb0ES3_jPlS8_PNS0_10empty_typeENS0_5tupleIJS8_S9_EEENSB_IJS8_SA_EEENS0_18inequality_wrapperIZN2at6native12_GLOBAL__N_124unique_dim_cuda_templateIN3c108BFloat16EEESt5tupleIJNSF_6TensorESM_SM_EERKSM_lbbbEUlllE0_EEPmJS9_EEE10hipError_tPvRmT3_T4_T5_T6_T7_T9_mT8_P12ihipStream_tbDpT10_ENKUlT_T0_E_clISt17integral_constantIbLb1EES1C_EEDaS17_S18_EUlS17_E_NS1_11comp_targetILNS1_3genE0ELNS1_11target_archE4294967295ELNS1_3gpuE0ELNS1_3repE0EEENS1_30default_config_static_selectorELNS0_4arch9wavefront6targetE1EEEvT1_.kd
    .uniform_work_group_size: 1
    .uses_dynamic_stack: false
    .vgpr_count:     0
    .vgpr_spill_count: 0
    .wavefront_size: 64
  - .agpr_count:     0
    .args:
      - .offset:         0
        .size:           136
        .value_kind:     by_value
    .group_segment_fixed_size: 0
    .kernarg_segment_align: 8
    .kernarg_segment_size: 136
    .language:       OpenCL C
    .language_version:
      - 2
      - 0
    .max_flat_workgroup_size: 512
    .name:           _ZN7rocprim17ROCPRIM_400000_NS6detail17trampoline_kernelINS0_14default_configENS1_25partition_config_selectorILNS1_17partition_subalgoE9EllbEEZZNS1_14partition_implILS5_9ELb0ES3_jPlS8_PNS0_10empty_typeENS0_5tupleIJS8_S9_EEENSB_IJS8_SA_EEENS0_18inequality_wrapperIZN2at6native12_GLOBAL__N_124unique_dim_cuda_templateIN3c108BFloat16EEESt5tupleIJNSF_6TensorESM_SM_EERKSM_lbbbEUlllE0_EEPmJS9_EEE10hipError_tPvRmT3_T4_T5_T6_T7_T9_mT8_P12ihipStream_tbDpT10_ENKUlT_T0_E_clISt17integral_constantIbLb1EES1C_EEDaS17_S18_EUlS17_E_NS1_11comp_targetILNS1_3genE5ELNS1_11target_archE942ELNS1_3gpuE9ELNS1_3repE0EEENS1_30default_config_static_selectorELNS0_4arch9wavefront6targetE1EEEvT1_
    .private_segment_fixed_size: 0
    .sgpr_count:     4
    .sgpr_spill_count: 0
    .symbol:         _ZN7rocprim17ROCPRIM_400000_NS6detail17trampoline_kernelINS0_14default_configENS1_25partition_config_selectorILNS1_17partition_subalgoE9EllbEEZZNS1_14partition_implILS5_9ELb0ES3_jPlS8_PNS0_10empty_typeENS0_5tupleIJS8_S9_EEENSB_IJS8_SA_EEENS0_18inequality_wrapperIZN2at6native12_GLOBAL__N_124unique_dim_cuda_templateIN3c108BFloat16EEESt5tupleIJNSF_6TensorESM_SM_EERKSM_lbbbEUlllE0_EEPmJS9_EEE10hipError_tPvRmT3_T4_T5_T6_T7_T9_mT8_P12ihipStream_tbDpT10_ENKUlT_T0_E_clISt17integral_constantIbLb1EES1C_EEDaS17_S18_EUlS17_E_NS1_11comp_targetILNS1_3genE5ELNS1_11target_archE942ELNS1_3gpuE9ELNS1_3repE0EEENS1_30default_config_static_selectorELNS0_4arch9wavefront6targetE1EEEvT1_.kd
    .uniform_work_group_size: 1
    .uses_dynamic_stack: false
    .vgpr_count:     0
    .vgpr_spill_count: 0
    .wavefront_size: 64
  - .agpr_count:     0
    .args:
      - .offset:         0
        .size:           136
        .value_kind:     by_value
    .group_segment_fixed_size: 4236
    .kernarg_segment_align: 8
    .kernarg_segment_size: 136
    .language:       OpenCL C
    .language_version:
      - 2
      - 0
    .max_flat_workgroup_size: 128
    .name:           _ZN7rocprim17ROCPRIM_400000_NS6detail17trampoline_kernelINS0_14default_configENS1_25partition_config_selectorILNS1_17partition_subalgoE9EllbEEZZNS1_14partition_implILS5_9ELb0ES3_jPlS8_PNS0_10empty_typeENS0_5tupleIJS8_S9_EEENSB_IJS8_SA_EEENS0_18inequality_wrapperIZN2at6native12_GLOBAL__N_124unique_dim_cuda_templateIN3c108BFloat16EEESt5tupleIJNSF_6TensorESM_SM_EERKSM_lbbbEUlllE0_EEPmJS9_EEE10hipError_tPvRmT3_T4_T5_T6_T7_T9_mT8_P12ihipStream_tbDpT10_ENKUlT_T0_E_clISt17integral_constantIbLb1EES1C_EEDaS17_S18_EUlS17_E_NS1_11comp_targetILNS1_3genE4ELNS1_11target_archE910ELNS1_3gpuE8ELNS1_3repE0EEENS1_30default_config_static_selectorELNS0_4arch9wavefront6targetE1EEEvT1_
    .private_segment_fixed_size: 0
    .sgpr_count:     56
    .sgpr_spill_count: 0
    .symbol:         _ZN7rocprim17ROCPRIM_400000_NS6detail17trampoline_kernelINS0_14default_configENS1_25partition_config_selectorILNS1_17partition_subalgoE9EllbEEZZNS1_14partition_implILS5_9ELb0ES3_jPlS8_PNS0_10empty_typeENS0_5tupleIJS8_S9_EEENSB_IJS8_SA_EEENS0_18inequality_wrapperIZN2at6native12_GLOBAL__N_124unique_dim_cuda_templateIN3c108BFloat16EEESt5tupleIJNSF_6TensorESM_SM_EERKSM_lbbbEUlllE0_EEPmJS9_EEE10hipError_tPvRmT3_T4_T5_T6_T7_T9_mT8_P12ihipStream_tbDpT10_ENKUlT_T0_E_clISt17integral_constantIbLb1EES1C_EEDaS17_S18_EUlS17_E_NS1_11comp_targetILNS1_3genE4ELNS1_11target_archE910ELNS1_3gpuE8ELNS1_3repE0EEENS1_30default_config_static_selectorELNS0_4arch9wavefront6targetE1EEEvT1_.kd
    .uniform_work_group_size: 1
    .uses_dynamic_stack: false
    .vgpr_count:     50
    .vgpr_spill_count: 0
    .wavefront_size: 64
  - .agpr_count:     0
    .args:
      - .offset:         0
        .size:           136
        .value_kind:     by_value
    .group_segment_fixed_size: 0
    .kernarg_segment_align: 8
    .kernarg_segment_size: 136
    .language:       OpenCL C
    .language_version:
      - 2
      - 0
    .max_flat_workgroup_size: 128
    .name:           _ZN7rocprim17ROCPRIM_400000_NS6detail17trampoline_kernelINS0_14default_configENS1_25partition_config_selectorILNS1_17partition_subalgoE9EllbEEZZNS1_14partition_implILS5_9ELb0ES3_jPlS8_PNS0_10empty_typeENS0_5tupleIJS8_S9_EEENSB_IJS8_SA_EEENS0_18inequality_wrapperIZN2at6native12_GLOBAL__N_124unique_dim_cuda_templateIN3c108BFloat16EEESt5tupleIJNSF_6TensorESM_SM_EERKSM_lbbbEUlllE0_EEPmJS9_EEE10hipError_tPvRmT3_T4_T5_T6_T7_T9_mT8_P12ihipStream_tbDpT10_ENKUlT_T0_E_clISt17integral_constantIbLb1EES1C_EEDaS17_S18_EUlS17_E_NS1_11comp_targetILNS1_3genE3ELNS1_11target_archE908ELNS1_3gpuE7ELNS1_3repE0EEENS1_30default_config_static_selectorELNS0_4arch9wavefront6targetE1EEEvT1_
    .private_segment_fixed_size: 0
    .sgpr_count:     4
    .sgpr_spill_count: 0
    .symbol:         _ZN7rocprim17ROCPRIM_400000_NS6detail17trampoline_kernelINS0_14default_configENS1_25partition_config_selectorILNS1_17partition_subalgoE9EllbEEZZNS1_14partition_implILS5_9ELb0ES3_jPlS8_PNS0_10empty_typeENS0_5tupleIJS8_S9_EEENSB_IJS8_SA_EEENS0_18inequality_wrapperIZN2at6native12_GLOBAL__N_124unique_dim_cuda_templateIN3c108BFloat16EEESt5tupleIJNSF_6TensorESM_SM_EERKSM_lbbbEUlllE0_EEPmJS9_EEE10hipError_tPvRmT3_T4_T5_T6_T7_T9_mT8_P12ihipStream_tbDpT10_ENKUlT_T0_E_clISt17integral_constantIbLb1EES1C_EEDaS17_S18_EUlS17_E_NS1_11comp_targetILNS1_3genE3ELNS1_11target_archE908ELNS1_3gpuE7ELNS1_3repE0EEENS1_30default_config_static_selectorELNS0_4arch9wavefront6targetE1EEEvT1_.kd
    .uniform_work_group_size: 1
    .uses_dynamic_stack: false
    .vgpr_count:     0
    .vgpr_spill_count: 0
    .wavefront_size: 64
  - .agpr_count:     0
    .args:
      - .offset:         0
        .size:           136
        .value_kind:     by_value
    .group_segment_fixed_size: 0
    .kernarg_segment_align: 8
    .kernarg_segment_size: 136
    .language:       OpenCL C
    .language_version:
      - 2
      - 0
    .max_flat_workgroup_size: 192
    .name:           _ZN7rocprim17ROCPRIM_400000_NS6detail17trampoline_kernelINS0_14default_configENS1_25partition_config_selectorILNS1_17partition_subalgoE9EllbEEZZNS1_14partition_implILS5_9ELb0ES3_jPlS8_PNS0_10empty_typeENS0_5tupleIJS8_S9_EEENSB_IJS8_SA_EEENS0_18inequality_wrapperIZN2at6native12_GLOBAL__N_124unique_dim_cuda_templateIN3c108BFloat16EEESt5tupleIJNSF_6TensorESM_SM_EERKSM_lbbbEUlllE0_EEPmJS9_EEE10hipError_tPvRmT3_T4_T5_T6_T7_T9_mT8_P12ihipStream_tbDpT10_ENKUlT_T0_E_clISt17integral_constantIbLb1EES1C_EEDaS17_S18_EUlS17_E_NS1_11comp_targetILNS1_3genE2ELNS1_11target_archE906ELNS1_3gpuE6ELNS1_3repE0EEENS1_30default_config_static_selectorELNS0_4arch9wavefront6targetE1EEEvT1_
    .private_segment_fixed_size: 0
    .sgpr_count:     4
    .sgpr_spill_count: 0
    .symbol:         _ZN7rocprim17ROCPRIM_400000_NS6detail17trampoline_kernelINS0_14default_configENS1_25partition_config_selectorILNS1_17partition_subalgoE9EllbEEZZNS1_14partition_implILS5_9ELb0ES3_jPlS8_PNS0_10empty_typeENS0_5tupleIJS8_S9_EEENSB_IJS8_SA_EEENS0_18inequality_wrapperIZN2at6native12_GLOBAL__N_124unique_dim_cuda_templateIN3c108BFloat16EEESt5tupleIJNSF_6TensorESM_SM_EERKSM_lbbbEUlllE0_EEPmJS9_EEE10hipError_tPvRmT3_T4_T5_T6_T7_T9_mT8_P12ihipStream_tbDpT10_ENKUlT_T0_E_clISt17integral_constantIbLb1EES1C_EEDaS17_S18_EUlS17_E_NS1_11comp_targetILNS1_3genE2ELNS1_11target_archE906ELNS1_3gpuE6ELNS1_3repE0EEENS1_30default_config_static_selectorELNS0_4arch9wavefront6targetE1EEEvT1_.kd
    .uniform_work_group_size: 1
    .uses_dynamic_stack: false
    .vgpr_count:     0
    .vgpr_spill_count: 0
    .wavefront_size: 64
  - .agpr_count:     0
    .args:
      - .offset:         0
        .size:           136
        .value_kind:     by_value
    .group_segment_fixed_size: 0
    .kernarg_segment_align: 8
    .kernarg_segment_size: 136
    .language:       OpenCL C
    .language_version:
      - 2
      - 0
    .max_flat_workgroup_size: 384
    .name:           _ZN7rocprim17ROCPRIM_400000_NS6detail17trampoline_kernelINS0_14default_configENS1_25partition_config_selectorILNS1_17partition_subalgoE9EllbEEZZNS1_14partition_implILS5_9ELb0ES3_jPlS8_PNS0_10empty_typeENS0_5tupleIJS8_S9_EEENSB_IJS8_SA_EEENS0_18inequality_wrapperIZN2at6native12_GLOBAL__N_124unique_dim_cuda_templateIN3c108BFloat16EEESt5tupleIJNSF_6TensorESM_SM_EERKSM_lbbbEUlllE0_EEPmJS9_EEE10hipError_tPvRmT3_T4_T5_T6_T7_T9_mT8_P12ihipStream_tbDpT10_ENKUlT_T0_E_clISt17integral_constantIbLb1EES1C_EEDaS17_S18_EUlS17_E_NS1_11comp_targetILNS1_3genE10ELNS1_11target_archE1200ELNS1_3gpuE4ELNS1_3repE0EEENS1_30default_config_static_selectorELNS0_4arch9wavefront6targetE1EEEvT1_
    .private_segment_fixed_size: 0
    .sgpr_count:     4
    .sgpr_spill_count: 0
    .symbol:         _ZN7rocprim17ROCPRIM_400000_NS6detail17trampoline_kernelINS0_14default_configENS1_25partition_config_selectorILNS1_17partition_subalgoE9EllbEEZZNS1_14partition_implILS5_9ELb0ES3_jPlS8_PNS0_10empty_typeENS0_5tupleIJS8_S9_EEENSB_IJS8_SA_EEENS0_18inequality_wrapperIZN2at6native12_GLOBAL__N_124unique_dim_cuda_templateIN3c108BFloat16EEESt5tupleIJNSF_6TensorESM_SM_EERKSM_lbbbEUlllE0_EEPmJS9_EEE10hipError_tPvRmT3_T4_T5_T6_T7_T9_mT8_P12ihipStream_tbDpT10_ENKUlT_T0_E_clISt17integral_constantIbLb1EES1C_EEDaS17_S18_EUlS17_E_NS1_11comp_targetILNS1_3genE10ELNS1_11target_archE1200ELNS1_3gpuE4ELNS1_3repE0EEENS1_30default_config_static_selectorELNS0_4arch9wavefront6targetE1EEEvT1_.kd
    .uniform_work_group_size: 1
    .uses_dynamic_stack: false
    .vgpr_count:     0
    .vgpr_spill_count: 0
    .wavefront_size: 64
  - .agpr_count:     0
    .args:
      - .offset:         0
        .size:           136
        .value_kind:     by_value
    .group_segment_fixed_size: 0
    .kernarg_segment_align: 8
    .kernarg_segment_size: 136
    .language:       OpenCL C
    .language_version:
      - 2
      - 0
    .max_flat_workgroup_size: 512
    .name:           _ZN7rocprim17ROCPRIM_400000_NS6detail17trampoline_kernelINS0_14default_configENS1_25partition_config_selectorILNS1_17partition_subalgoE9EllbEEZZNS1_14partition_implILS5_9ELb0ES3_jPlS8_PNS0_10empty_typeENS0_5tupleIJS8_S9_EEENSB_IJS8_SA_EEENS0_18inequality_wrapperIZN2at6native12_GLOBAL__N_124unique_dim_cuda_templateIN3c108BFloat16EEESt5tupleIJNSF_6TensorESM_SM_EERKSM_lbbbEUlllE0_EEPmJS9_EEE10hipError_tPvRmT3_T4_T5_T6_T7_T9_mT8_P12ihipStream_tbDpT10_ENKUlT_T0_E_clISt17integral_constantIbLb1EES1C_EEDaS17_S18_EUlS17_E_NS1_11comp_targetILNS1_3genE9ELNS1_11target_archE1100ELNS1_3gpuE3ELNS1_3repE0EEENS1_30default_config_static_selectorELNS0_4arch9wavefront6targetE1EEEvT1_
    .private_segment_fixed_size: 0
    .sgpr_count:     4
    .sgpr_spill_count: 0
    .symbol:         _ZN7rocprim17ROCPRIM_400000_NS6detail17trampoline_kernelINS0_14default_configENS1_25partition_config_selectorILNS1_17partition_subalgoE9EllbEEZZNS1_14partition_implILS5_9ELb0ES3_jPlS8_PNS0_10empty_typeENS0_5tupleIJS8_S9_EEENSB_IJS8_SA_EEENS0_18inequality_wrapperIZN2at6native12_GLOBAL__N_124unique_dim_cuda_templateIN3c108BFloat16EEESt5tupleIJNSF_6TensorESM_SM_EERKSM_lbbbEUlllE0_EEPmJS9_EEE10hipError_tPvRmT3_T4_T5_T6_T7_T9_mT8_P12ihipStream_tbDpT10_ENKUlT_T0_E_clISt17integral_constantIbLb1EES1C_EEDaS17_S18_EUlS17_E_NS1_11comp_targetILNS1_3genE9ELNS1_11target_archE1100ELNS1_3gpuE3ELNS1_3repE0EEENS1_30default_config_static_selectorELNS0_4arch9wavefront6targetE1EEEvT1_.kd
    .uniform_work_group_size: 1
    .uses_dynamic_stack: false
    .vgpr_count:     0
    .vgpr_spill_count: 0
    .wavefront_size: 64
  - .agpr_count:     0
    .args:
      - .offset:         0
        .size:           136
        .value_kind:     by_value
    .group_segment_fixed_size: 0
    .kernarg_segment_align: 8
    .kernarg_segment_size: 136
    .language:       OpenCL C
    .language_version:
      - 2
      - 0
    .max_flat_workgroup_size: 512
    .name:           _ZN7rocprim17ROCPRIM_400000_NS6detail17trampoline_kernelINS0_14default_configENS1_25partition_config_selectorILNS1_17partition_subalgoE9EllbEEZZNS1_14partition_implILS5_9ELb0ES3_jPlS8_PNS0_10empty_typeENS0_5tupleIJS8_S9_EEENSB_IJS8_SA_EEENS0_18inequality_wrapperIZN2at6native12_GLOBAL__N_124unique_dim_cuda_templateIN3c108BFloat16EEESt5tupleIJNSF_6TensorESM_SM_EERKSM_lbbbEUlllE0_EEPmJS9_EEE10hipError_tPvRmT3_T4_T5_T6_T7_T9_mT8_P12ihipStream_tbDpT10_ENKUlT_T0_E_clISt17integral_constantIbLb1EES1C_EEDaS17_S18_EUlS17_E_NS1_11comp_targetILNS1_3genE8ELNS1_11target_archE1030ELNS1_3gpuE2ELNS1_3repE0EEENS1_30default_config_static_selectorELNS0_4arch9wavefront6targetE1EEEvT1_
    .private_segment_fixed_size: 0
    .sgpr_count:     4
    .sgpr_spill_count: 0
    .symbol:         _ZN7rocprim17ROCPRIM_400000_NS6detail17trampoline_kernelINS0_14default_configENS1_25partition_config_selectorILNS1_17partition_subalgoE9EllbEEZZNS1_14partition_implILS5_9ELb0ES3_jPlS8_PNS0_10empty_typeENS0_5tupleIJS8_S9_EEENSB_IJS8_SA_EEENS0_18inequality_wrapperIZN2at6native12_GLOBAL__N_124unique_dim_cuda_templateIN3c108BFloat16EEESt5tupleIJNSF_6TensorESM_SM_EERKSM_lbbbEUlllE0_EEPmJS9_EEE10hipError_tPvRmT3_T4_T5_T6_T7_T9_mT8_P12ihipStream_tbDpT10_ENKUlT_T0_E_clISt17integral_constantIbLb1EES1C_EEDaS17_S18_EUlS17_E_NS1_11comp_targetILNS1_3genE8ELNS1_11target_archE1030ELNS1_3gpuE2ELNS1_3repE0EEENS1_30default_config_static_selectorELNS0_4arch9wavefront6targetE1EEEvT1_.kd
    .uniform_work_group_size: 1
    .uses_dynamic_stack: false
    .vgpr_count:     0
    .vgpr_spill_count: 0
    .wavefront_size: 64
  - .agpr_count:     0
    .args:
      - .offset:         0
        .size:           120
        .value_kind:     by_value
    .group_segment_fixed_size: 0
    .kernarg_segment_align: 8
    .kernarg_segment_size: 120
    .language:       OpenCL C
    .language_version:
      - 2
      - 0
    .max_flat_workgroup_size: 128
    .name:           _ZN7rocprim17ROCPRIM_400000_NS6detail17trampoline_kernelINS0_14default_configENS1_25partition_config_selectorILNS1_17partition_subalgoE9EllbEEZZNS1_14partition_implILS5_9ELb0ES3_jPlS8_PNS0_10empty_typeENS0_5tupleIJS8_S9_EEENSB_IJS8_SA_EEENS0_18inequality_wrapperIZN2at6native12_GLOBAL__N_124unique_dim_cuda_templateIN3c108BFloat16EEESt5tupleIJNSF_6TensorESM_SM_EERKSM_lbbbEUlllE0_EEPmJS9_EEE10hipError_tPvRmT3_T4_T5_T6_T7_T9_mT8_P12ihipStream_tbDpT10_ENKUlT_T0_E_clISt17integral_constantIbLb1EES1B_IbLb0EEEEDaS17_S18_EUlS17_E_NS1_11comp_targetILNS1_3genE0ELNS1_11target_archE4294967295ELNS1_3gpuE0ELNS1_3repE0EEENS1_30default_config_static_selectorELNS0_4arch9wavefront6targetE1EEEvT1_
    .private_segment_fixed_size: 0
    .sgpr_count:     4
    .sgpr_spill_count: 0
    .symbol:         _ZN7rocprim17ROCPRIM_400000_NS6detail17trampoline_kernelINS0_14default_configENS1_25partition_config_selectorILNS1_17partition_subalgoE9EllbEEZZNS1_14partition_implILS5_9ELb0ES3_jPlS8_PNS0_10empty_typeENS0_5tupleIJS8_S9_EEENSB_IJS8_SA_EEENS0_18inequality_wrapperIZN2at6native12_GLOBAL__N_124unique_dim_cuda_templateIN3c108BFloat16EEESt5tupleIJNSF_6TensorESM_SM_EERKSM_lbbbEUlllE0_EEPmJS9_EEE10hipError_tPvRmT3_T4_T5_T6_T7_T9_mT8_P12ihipStream_tbDpT10_ENKUlT_T0_E_clISt17integral_constantIbLb1EES1B_IbLb0EEEEDaS17_S18_EUlS17_E_NS1_11comp_targetILNS1_3genE0ELNS1_11target_archE4294967295ELNS1_3gpuE0ELNS1_3repE0EEENS1_30default_config_static_selectorELNS0_4arch9wavefront6targetE1EEEvT1_.kd
    .uniform_work_group_size: 1
    .uses_dynamic_stack: false
    .vgpr_count:     0
    .vgpr_spill_count: 0
    .wavefront_size: 64
  - .agpr_count:     0
    .args:
      - .offset:         0
        .size:           120
        .value_kind:     by_value
    .group_segment_fixed_size: 0
    .kernarg_segment_align: 8
    .kernarg_segment_size: 120
    .language:       OpenCL C
    .language_version:
      - 2
      - 0
    .max_flat_workgroup_size: 512
    .name:           _ZN7rocprim17ROCPRIM_400000_NS6detail17trampoline_kernelINS0_14default_configENS1_25partition_config_selectorILNS1_17partition_subalgoE9EllbEEZZNS1_14partition_implILS5_9ELb0ES3_jPlS8_PNS0_10empty_typeENS0_5tupleIJS8_S9_EEENSB_IJS8_SA_EEENS0_18inequality_wrapperIZN2at6native12_GLOBAL__N_124unique_dim_cuda_templateIN3c108BFloat16EEESt5tupleIJNSF_6TensorESM_SM_EERKSM_lbbbEUlllE0_EEPmJS9_EEE10hipError_tPvRmT3_T4_T5_T6_T7_T9_mT8_P12ihipStream_tbDpT10_ENKUlT_T0_E_clISt17integral_constantIbLb1EES1B_IbLb0EEEEDaS17_S18_EUlS17_E_NS1_11comp_targetILNS1_3genE5ELNS1_11target_archE942ELNS1_3gpuE9ELNS1_3repE0EEENS1_30default_config_static_selectorELNS0_4arch9wavefront6targetE1EEEvT1_
    .private_segment_fixed_size: 0
    .sgpr_count:     4
    .sgpr_spill_count: 0
    .symbol:         _ZN7rocprim17ROCPRIM_400000_NS6detail17trampoline_kernelINS0_14default_configENS1_25partition_config_selectorILNS1_17partition_subalgoE9EllbEEZZNS1_14partition_implILS5_9ELb0ES3_jPlS8_PNS0_10empty_typeENS0_5tupleIJS8_S9_EEENSB_IJS8_SA_EEENS0_18inequality_wrapperIZN2at6native12_GLOBAL__N_124unique_dim_cuda_templateIN3c108BFloat16EEESt5tupleIJNSF_6TensorESM_SM_EERKSM_lbbbEUlllE0_EEPmJS9_EEE10hipError_tPvRmT3_T4_T5_T6_T7_T9_mT8_P12ihipStream_tbDpT10_ENKUlT_T0_E_clISt17integral_constantIbLb1EES1B_IbLb0EEEEDaS17_S18_EUlS17_E_NS1_11comp_targetILNS1_3genE5ELNS1_11target_archE942ELNS1_3gpuE9ELNS1_3repE0EEENS1_30default_config_static_selectorELNS0_4arch9wavefront6targetE1EEEvT1_.kd
    .uniform_work_group_size: 1
    .uses_dynamic_stack: false
    .vgpr_count:     0
    .vgpr_spill_count: 0
    .wavefront_size: 64
  - .agpr_count:     0
    .args:
      - .offset:         0
        .size:           120
        .value_kind:     by_value
    .group_segment_fixed_size: 4236
    .kernarg_segment_align: 8
    .kernarg_segment_size: 120
    .language:       OpenCL C
    .language_version:
      - 2
      - 0
    .max_flat_workgroup_size: 128
    .name:           _ZN7rocprim17ROCPRIM_400000_NS6detail17trampoline_kernelINS0_14default_configENS1_25partition_config_selectorILNS1_17partition_subalgoE9EllbEEZZNS1_14partition_implILS5_9ELb0ES3_jPlS8_PNS0_10empty_typeENS0_5tupleIJS8_S9_EEENSB_IJS8_SA_EEENS0_18inequality_wrapperIZN2at6native12_GLOBAL__N_124unique_dim_cuda_templateIN3c108BFloat16EEESt5tupleIJNSF_6TensorESM_SM_EERKSM_lbbbEUlllE0_EEPmJS9_EEE10hipError_tPvRmT3_T4_T5_T6_T7_T9_mT8_P12ihipStream_tbDpT10_ENKUlT_T0_E_clISt17integral_constantIbLb1EES1B_IbLb0EEEEDaS17_S18_EUlS17_E_NS1_11comp_targetILNS1_3genE4ELNS1_11target_archE910ELNS1_3gpuE8ELNS1_3repE0EEENS1_30default_config_static_selectorELNS0_4arch9wavefront6targetE1EEEvT1_
    .private_segment_fixed_size: 0
    .sgpr_count:     50
    .sgpr_spill_count: 0
    .symbol:         _ZN7rocprim17ROCPRIM_400000_NS6detail17trampoline_kernelINS0_14default_configENS1_25partition_config_selectorILNS1_17partition_subalgoE9EllbEEZZNS1_14partition_implILS5_9ELb0ES3_jPlS8_PNS0_10empty_typeENS0_5tupleIJS8_S9_EEENSB_IJS8_SA_EEENS0_18inequality_wrapperIZN2at6native12_GLOBAL__N_124unique_dim_cuda_templateIN3c108BFloat16EEESt5tupleIJNSF_6TensorESM_SM_EERKSM_lbbbEUlllE0_EEPmJS9_EEE10hipError_tPvRmT3_T4_T5_T6_T7_T9_mT8_P12ihipStream_tbDpT10_ENKUlT_T0_E_clISt17integral_constantIbLb1EES1B_IbLb0EEEEDaS17_S18_EUlS17_E_NS1_11comp_targetILNS1_3genE4ELNS1_11target_archE910ELNS1_3gpuE8ELNS1_3repE0EEENS1_30default_config_static_selectorELNS0_4arch9wavefront6targetE1EEEvT1_.kd
    .uniform_work_group_size: 1
    .uses_dynamic_stack: false
    .vgpr_count:     50
    .vgpr_spill_count: 0
    .wavefront_size: 64
  - .agpr_count:     0
    .args:
      - .offset:         0
        .size:           120
        .value_kind:     by_value
    .group_segment_fixed_size: 0
    .kernarg_segment_align: 8
    .kernarg_segment_size: 120
    .language:       OpenCL C
    .language_version:
      - 2
      - 0
    .max_flat_workgroup_size: 128
    .name:           _ZN7rocprim17ROCPRIM_400000_NS6detail17trampoline_kernelINS0_14default_configENS1_25partition_config_selectorILNS1_17partition_subalgoE9EllbEEZZNS1_14partition_implILS5_9ELb0ES3_jPlS8_PNS0_10empty_typeENS0_5tupleIJS8_S9_EEENSB_IJS8_SA_EEENS0_18inequality_wrapperIZN2at6native12_GLOBAL__N_124unique_dim_cuda_templateIN3c108BFloat16EEESt5tupleIJNSF_6TensorESM_SM_EERKSM_lbbbEUlllE0_EEPmJS9_EEE10hipError_tPvRmT3_T4_T5_T6_T7_T9_mT8_P12ihipStream_tbDpT10_ENKUlT_T0_E_clISt17integral_constantIbLb1EES1B_IbLb0EEEEDaS17_S18_EUlS17_E_NS1_11comp_targetILNS1_3genE3ELNS1_11target_archE908ELNS1_3gpuE7ELNS1_3repE0EEENS1_30default_config_static_selectorELNS0_4arch9wavefront6targetE1EEEvT1_
    .private_segment_fixed_size: 0
    .sgpr_count:     4
    .sgpr_spill_count: 0
    .symbol:         _ZN7rocprim17ROCPRIM_400000_NS6detail17trampoline_kernelINS0_14default_configENS1_25partition_config_selectorILNS1_17partition_subalgoE9EllbEEZZNS1_14partition_implILS5_9ELb0ES3_jPlS8_PNS0_10empty_typeENS0_5tupleIJS8_S9_EEENSB_IJS8_SA_EEENS0_18inequality_wrapperIZN2at6native12_GLOBAL__N_124unique_dim_cuda_templateIN3c108BFloat16EEESt5tupleIJNSF_6TensorESM_SM_EERKSM_lbbbEUlllE0_EEPmJS9_EEE10hipError_tPvRmT3_T4_T5_T6_T7_T9_mT8_P12ihipStream_tbDpT10_ENKUlT_T0_E_clISt17integral_constantIbLb1EES1B_IbLb0EEEEDaS17_S18_EUlS17_E_NS1_11comp_targetILNS1_3genE3ELNS1_11target_archE908ELNS1_3gpuE7ELNS1_3repE0EEENS1_30default_config_static_selectorELNS0_4arch9wavefront6targetE1EEEvT1_.kd
    .uniform_work_group_size: 1
    .uses_dynamic_stack: false
    .vgpr_count:     0
    .vgpr_spill_count: 0
    .wavefront_size: 64
  - .agpr_count:     0
    .args:
      - .offset:         0
        .size:           120
        .value_kind:     by_value
    .group_segment_fixed_size: 0
    .kernarg_segment_align: 8
    .kernarg_segment_size: 120
    .language:       OpenCL C
    .language_version:
      - 2
      - 0
    .max_flat_workgroup_size: 192
    .name:           _ZN7rocprim17ROCPRIM_400000_NS6detail17trampoline_kernelINS0_14default_configENS1_25partition_config_selectorILNS1_17partition_subalgoE9EllbEEZZNS1_14partition_implILS5_9ELb0ES3_jPlS8_PNS0_10empty_typeENS0_5tupleIJS8_S9_EEENSB_IJS8_SA_EEENS0_18inequality_wrapperIZN2at6native12_GLOBAL__N_124unique_dim_cuda_templateIN3c108BFloat16EEESt5tupleIJNSF_6TensorESM_SM_EERKSM_lbbbEUlllE0_EEPmJS9_EEE10hipError_tPvRmT3_T4_T5_T6_T7_T9_mT8_P12ihipStream_tbDpT10_ENKUlT_T0_E_clISt17integral_constantIbLb1EES1B_IbLb0EEEEDaS17_S18_EUlS17_E_NS1_11comp_targetILNS1_3genE2ELNS1_11target_archE906ELNS1_3gpuE6ELNS1_3repE0EEENS1_30default_config_static_selectorELNS0_4arch9wavefront6targetE1EEEvT1_
    .private_segment_fixed_size: 0
    .sgpr_count:     4
    .sgpr_spill_count: 0
    .symbol:         _ZN7rocprim17ROCPRIM_400000_NS6detail17trampoline_kernelINS0_14default_configENS1_25partition_config_selectorILNS1_17partition_subalgoE9EllbEEZZNS1_14partition_implILS5_9ELb0ES3_jPlS8_PNS0_10empty_typeENS0_5tupleIJS8_S9_EEENSB_IJS8_SA_EEENS0_18inequality_wrapperIZN2at6native12_GLOBAL__N_124unique_dim_cuda_templateIN3c108BFloat16EEESt5tupleIJNSF_6TensorESM_SM_EERKSM_lbbbEUlllE0_EEPmJS9_EEE10hipError_tPvRmT3_T4_T5_T6_T7_T9_mT8_P12ihipStream_tbDpT10_ENKUlT_T0_E_clISt17integral_constantIbLb1EES1B_IbLb0EEEEDaS17_S18_EUlS17_E_NS1_11comp_targetILNS1_3genE2ELNS1_11target_archE906ELNS1_3gpuE6ELNS1_3repE0EEENS1_30default_config_static_selectorELNS0_4arch9wavefront6targetE1EEEvT1_.kd
    .uniform_work_group_size: 1
    .uses_dynamic_stack: false
    .vgpr_count:     0
    .vgpr_spill_count: 0
    .wavefront_size: 64
  - .agpr_count:     0
    .args:
      - .offset:         0
        .size:           120
        .value_kind:     by_value
    .group_segment_fixed_size: 0
    .kernarg_segment_align: 8
    .kernarg_segment_size: 120
    .language:       OpenCL C
    .language_version:
      - 2
      - 0
    .max_flat_workgroup_size: 384
    .name:           _ZN7rocprim17ROCPRIM_400000_NS6detail17trampoline_kernelINS0_14default_configENS1_25partition_config_selectorILNS1_17partition_subalgoE9EllbEEZZNS1_14partition_implILS5_9ELb0ES3_jPlS8_PNS0_10empty_typeENS0_5tupleIJS8_S9_EEENSB_IJS8_SA_EEENS0_18inequality_wrapperIZN2at6native12_GLOBAL__N_124unique_dim_cuda_templateIN3c108BFloat16EEESt5tupleIJNSF_6TensorESM_SM_EERKSM_lbbbEUlllE0_EEPmJS9_EEE10hipError_tPvRmT3_T4_T5_T6_T7_T9_mT8_P12ihipStream_tbDpT10_ENKUlT_T0_E_clISt17integral_constantIbLb1EES1B_IbLb0EEEEDaS17_S18_EUlS17_E_NS1_11comp_targetILNS1_3genE10ELNS1_11target_archE1200ELNS1_3gpuE4ELNS1_3repE0EEENS1_30default_config_static_selectorELNS0_4arch9wavefront6targetE1EEEvT1_
    .private_segment_fixed_size: 0
    .sgpr_count:     4
    .sgpr_spill_count: 0
    .symbol:         _ZN7rocprim17ROCPRIM_400000_NS6detail17trampoline_kernelINS0_14default_configENS1_25partition_config_selectorILNS1_17partition_subalgoE9EllbEEZZNS1_14partition_implILS5_9ELb0ES3_jPlS8_PNS0_10empty_typeENS0_5tupleIJS8_S9_EEENSB_IJS8_SA_EEENS0_18inequality_wrapperIZN2at6native12_GLOBAL__N_124unique_dim_cuda_templateIN3c108BFloat16EEESt5tupleIJNSF_6TensorESM_SM_EERKSM_lbbbEUlllE0_EEPmJS9_EEE10hipError_tPvRmT3_T4_T5_T6_T7_T9_mT8_P12ihipStream_tbDpT10_ENKUlT_T0_E_clISt17integral_constantIbLb1EES1B_IbLb0EEEEDaS17_S18_EUlS17_E_NS1_11comp_targetILNS1_3genE10ELNS1_11target_archE1200ELNS1_3gpuE4ELNS1_3repE0EEENS1_30default_config_static_selectorELNS0_4arch9wavefront6targetE1EEEvT1_.kd
    .uniform_work_group_size: 1
    .uses_dynamic_stack: false
    .vgpr_count:     0
    .vgpr_spill_count: 0
    .wavefront_size: 64
  - .agpr_count:     0
    .args:
      - .offset:         0
        .size:           120
        .value_kind:     by_value
    .group_segment_fixed_size: 0
    .kernarg_segment_align: 8
    .kernarg_segment_size: 120
    .language:       OpenCL C
    .language_version:
      - 2
      - 0
    .max_flat_workgroup_size: 512
    .name:           _ZN7rocprim17ROCPRIM_400000_NS6detail17trampoline_kernelINS0_14default_configENS1_25partition_config_selectorILNS1_17partition_subalgoE9EllbEEZZNS1_14partition_implILS5_9ELb0ES3_jPlS8_PNS0_10empty_typeENS0_5tupleIJS8_S9_EEENSB_IJS8_SA_EEENS0_18inequality_wrapperIZN2at6native12_GLOBAL__N_124unique_dim_cuda_templateIN3c108BFloat16EEESt5tupleIJNSF_6TensorESM_SM_EERKSM_lbbbEUlllE0_EEPmJS9_EEE10hipError_tPvRmT3_T4_T5_T6_T7_T9_mT8_P12ihipStream_tbDpT10_ENKUlT_T0_E_clISt17integral_constantIbLb1EES1B_IbLb0EEEEDaS17_S18_EUlS17_E_NS1_11comp_targetILNS1_3genE9ELNS1_11target_archE1100ELNS1_3gpuE3ELNS1_3repE0EEENS1_30default_config_static_selectorELNS0_4arch9wavefront6targetE1EEEvT1_
    .private_segment_fixed_size: 0
    .sgpr_count:     4
    .sgpr_spill_count: 0
    .symbol:         _ZN7rocprim17ROCPRIM_400000_NS6detail17trampoline_kernelINS0_14default_configENS1_25partition_config_selectorILNS1_17partition_subalgoE9EllbEEZZNS1_14partition_implILS5_9ELb0ES3_jPlS8_PNS0_10empty_typeENS0_5tupleIJS8_S9_EEENSB_IJS8_SA_EEENS0_18inequality_wrapperIZN2at6native12_GLOBAL__N_124unique_dim_cuda_templateIN3c108BFloat16EEESt5tupleIJNSF_6TensorESM_SM_EERKSM_lbbbEUlllE0_EEPmJS9_EEE10hipError_tPvRmT3_T4_T5_T6_T7_T9_mT8_P12ihipStream_tbDpT10_ENKUlT_T0_E_clISt17integral_constantIbLb1EES1B_IbLb0EEEEDaS17_S18_EUlS17_E_NS1_11comp_targetILNS1_3genE9ELNS1_11target_archE1100ELNS1_3gpuE3ELNS1_3repE0EEENS1_30default_config_static_selectorELNS0_4arch9wavefront6targetE1EEEvT1_.kd
    .uniform_work_group_size: 1
    .uses_dynamic_stack: false
    .vgpr_count:     0
    .vgpr_spill_count: 0
    .wavefront_size: 64
  - .agpr_count:     0
    .args:
      - .offset:         0
        .size:           120
        .value_kind:     by_value
    .group_segment_fixed_size: 0
    .kernarg_segment_align: 8
    .kernarg_segment_size: 120
    .language:       OpenCL C
    .language_version:
      - 2
      - 0
    .max_flat_workgroup_size: 512
    .name:           _ZN7rocprim17ROCPRIM_400000_NS6detail17trampoline_kernelINS0_14default_configENS1_25partition_config_selectorILNS1_17partition_subalgoE9EllbEEZZNS1_14partition_implILS5_9ELb0ES3_jPlS8_PNS0_10empty_typeENS0_5tupleIJS8_S9_EEENSB_IJS8_SA_EEENS0_18inequality_wrapperIZN2at6native12_GLOBAL__N_124unique_dim_cuda_templateIN3c108BFloat16EEESt5tupleIJNSF_6TensorESM_SM_EERKSM_lbbbEUlllE0_EEPmJS9_EEE10hipError_tPvRmT3_T4_T5_T6_T7_T9_mT8_P12ihipStream_tbDpT10_ENKUlT_T0_E_clISt17integral_constantIbLb1EES1B_IbLb0EEEEDaS17_S18_EUlS17_E_NS1_11comp_targetILNS1_3genE8ELNS1_11target_archE1030ELNS1_3gpuE2ELNS1_3repE0EEENS1_30default_config_static_selectorELNS0_4arch9wavefront6targetE1EEEvT1_
    .private_segment_fixed_size: 0
    .sgpr_count:     4
    .sgpr_spill_count: 0
    .symbol:         _ZN7rocprim17ROCPRIM_400000_NS6detail17trampoline_kernelINS0_14default_configENS1_25partition_config_selectorILNS1_17partition_subalgoE9EllbEEZZNS1_14partition_implILS5_9ELb0ES3_jPlS8_PNS0_10empty_typeENS0_5tupleIJS8_S9_EEENSB_IJS8_SA_EEENS0_18inequality_wrapperIZN2at6native12_GLOBAL__N_124unique_dim_cuda_templateIN3c108BFloat16EEESt5tupleIJNSF_6TensorESM_SM_EERKSM_lbbbEUlllE0_EEPmJS9_EEE10hipError_tPvRmT3_T4_T5_T6_T7_T9_mT8_P12ihipStream_tbDpT10_ENKUlT_T0_E_clISt17integral_constantIbLb1EES1B_IbLb0EEEEDaS17_S18_EUlS17_E_NS1_11comp_targetILNS1_3genE8ELNS1_11target_archE1030ELNS1_3gpuE2ELNS1_3repE0EEENS1_30default_config_static_selectorELNS0_4arch9wavefront6targetE1EEEvT1_.kd
    .uniform_work_group_size: 1
    .uses_dynamic_stack: false
    .vgpr_count:     0
    .vgpr_spill_count: 0
    .wavefront_size: 64
  - .agpr_count:     0
    .args:
      - .offset:         0
        .size:           136
        .value_kind:     by_value
    .group_segment_fixed_size: 0
    .kernarg_segment_align: 8
    .kernarg_segment_size: 136
    .language:       OpenCL C
    .language_version:
      - 2
      - 0
    .max_flat_workgroup_size: 128
    .name:           _ZN7rocprim17ROCPRIM_400000_NS6detail17trampoline_kernelINS0_14default_configENS1_25partition_config_selectorILNS1_17partition_subalgoE9EllbEEZZNS1_14partition_implILS5_9ELb0ES3_jPlS8_PNS0_10empty_typeENS0_5tupleIJS8_S9_EEENSB_IJS8_SA_EEENS0_18inequality_wrapperIZN2at6native12_GLOBAL__N_124unique_dim_cuda_templateIN3c108BFloat16EEESt5tupleIJNSF_6TensorESM_SM_EERKSM_lbbbEUlllE0_EEPmJS9_EEE10hipError_tPvRmT3_T4_T5_T6_T7_T9_mT8_P12ihipStream_tbDpT10_ENKUlT_T0_E_clISt17integral_constantIbLb0EES1B_IbLb1EEEEDaS17_S18_EUlS17_E_NS1_11comp_targetILNS1_3genE0ELNS1_11target_archE4294967295ELNS1_3gpuE0ELNS1_3repE0EEENS1_30default_config_static_selectorELNS0_4arch9wavefront6targetE1EEEvT1_
    .private_segment_fixed_size: 0
    .sgpr_count:     4
    .sgpr_spill_count: 0
    .symbol:         _ZN7rocprim17ROCPRIM_400000_NS6detail17trampoline_kernelINS0_14default_configENS1_25partition_config_selectorILNS1_17partition_subalgoE9EllbEEZZNS1_14partition_implILS5_9ELb0ES3_jPlS8_PNS0_10empty_typeENS0_5tupleIJS8_S9_EEENSB_IJS8_SA_EEENS0_18inequality_wrapperIZN2at6native12_GLOBAL__N_124unique_dim_cuda_templateIN3c108BFloat16EEESt5tupleIJNSF_6TensorESM_SM_EERKSM_lbbbEUlllE0_EEPmJS9_EEE10hipError_tPvRmT3_T4_T5_T6_T7_T9_mT8_P12ihipStream_tbDpT10_ENKUlT_T0_E_clISt17integral_constantIbLb0EES1B_IbLb1EEEEDaS17_S18_EUlS17_E_NS1_11comp_targetILNS1_3genE0ELNS1_11target_archE4294967295ELNS1_3gpuE0ELNS1_3repE0EEENS1_30default_config_static_selectorELNS0_4arch9wavefront6targetE1EEEvT1_.kd
    .uniform_work_group_size: 1
    .uses_dynamic_stack: false
    .vgpr_count:     0
    .vgpr_spill_count: 0
    .wavefront_size: 64
  - .agpr_count:     0
    .args:
      - .offset:         0
        .size:           136
        .value_kind:     by_value
    .group_segment_fixed_size: 0
    .kernarg_segment_align: 8
    .kernarg_segment_size: 136
    .language:       OpenCL C
    .language_version:
      - 2
      - 0
    .max_flat_workgroup_size: 512
    .name:           _ZN7rocprim17ROCPRIM_400000_NS6detail17trampoline_kernelINS0_14default_configENS1_25partition_config_selectorILNS1_17partition_subalgoE9EllbEEZZNS1_14partition_implILS5_9ELb0ES3_jPlS8_PNS0_10empty_typeENS0_5tupleIJS8_S9_EEENSB_IJS8_SA_EEENS0_18inequality_wrapperIZN2at6native12_GLOBAL__N_124unique_dim_cuda_templateIN3c108BFloat16EEESt5tupleIJNSF_6TensorESM_SM_EERKSM_lbbbEUlllE0_EEPmJS9_EEE10hipError_tPvRmT3_T4_T5_T6_T7_T9_mT8_P12ihipStream_tbDpT10_ENKUlT_T0_E_clISt17integral_constantIbLb0EES1B_IbLb1EEEEDaS17_S18_EUlS17_E_NS1_11comp_targetILNS1_3genE5ELNS1_11target_archE942ELNS1_3gpuE9ELNS1_3repE0EEENS1_30default_config_static_selectorELNS0_4arch9wavefront6targetE1EEEvT1_
    .private_segment_fixed_size: 0
    .sgpr_count:     4
    .sgpr_spill_count: 0
    .symbol:         _ZN7rocprim17ROCPRIM_400000_NS6detail17trampoline_kernelINS0_14default_configENS1_25partition_config_selectorILNS1_17partition_subalgoE9EllbEEZZNS1_14partition_implILS5_9ELb0ES3_jPlS8_PNS0_10empty_typeENS0_5tupleIJS8_S9_EEENSB_IJS8_SA_EEENS0_18inequality_wrapperIZN2at6native12_GLOBAL__N_124unique_dim_cuda_templateIN3c108BFloat16EEESt5tupleIJNSF_6TensorESM_SM_EERKSM_lbbbEUlllE0_EEPmJS9_EEE10hipError_tPvRmT3_T4_T5_T6_T7_T9_mT8_P12ihipStream_tbDpT10_ENKUlT_T0_E_clISt17integral_constantIbLb0EES1B_IbLb1EEEEDaS17_S18_EUlS17_E_NS1_11comp_targetILNS1_3genE5ELNS1_11target_archE942ELNS1_3gpuE9ELNS1_3repE0EEENS1_30default_config_static_selectorELNS0_4arch9wavefront6targetE1EEEvT1_.kd
    .uniform_work_group_size: 1
    .uses_dynamic_stack: false
    .vgpr_count:     0
    .vgpr_spill_count: 0
    .wavefront_size: 64
  - .agpr_count:     0
    .args:
      - .offset:         0
        .size:           136
        .value_kind:     by_value
    .group_segment_fixed_size: 4236
    .kernarg_segment_align: 8
    .kernarg_segment_size: 136
    .language:       OpenCL C
    .language_version:
      - 2
      - 0
    .max_flat_workgroup_size: 128
    .name:           _ZN7rocprim17ROCPRIM_400000_NS6detail17trampoline_kernelINS0_14default_configENS1_25partition_config_selectorILNS1_17partition_subalgoE9EllbEEZZNS1_14partition_implILS5_9ELb0ES3_jPlS8_PNS0_10empty_typeENS0_5tupleIJS8_S9_EEENSB_IJS8_SA_EEENS0_18inequality_wrapperIZN2at6native12_GLOBAL__N_124unique_dim_cuda_templateIN3c108BFloat16EEESt5tupleIJNSF_6TensorESM_SM_EERKSM_lbbbEUlllE0_EEPmJS9_EEE10hipError_tPvRmT3_T4_T5_T6_T7_T9_mT8_P12ihipStream_tbDpT10_ENKUlT_T0_E_clISt17integral_constantIbLb0EES1B_IbLb1EEEEDaS17_S18_EUlS17_E_NS1_11comp_targetILNS1_3genE4ELNS1_11target_archE910ELNS1_3gpuE8ELNS1_3repE0EEENS1_30default_config_static_selectorELNS0_4arch9wavefront6targetE1EEEvT1_
    .private_segment_fixed_size: 0
    .sgpr_count:     56
    .sgpr_spill_count: 0
    .symbol:         _ZN7rocprim17ROCPRIM_400000_NS6detail17trampoline_kernelINS0_14default_configENS1_25partition_config_selectorILNS1_17partition_subalgoE9EllbEEZZNS1_14partition_implILS5_9ELb0ES3_jPlS8_PNS0_10empty_typeENS0_5tupleIJS8_S9_EEENSB_IJS8_SA_EEENS0_18inequality_wrapperIZN2at6native12_GLOBAL__N_124unique_dim_cuda_templateIN3c108BFloat16EEESt5tupleIJNSF_6TensorESM_SM_EERKSM_lbbbEUlllE0_EEPmJS9_EEE10hipError_tPvRmT3_T4_T5_T6_T7_T9_mT8_P12ihipStream_tbDpT10_ENKUlT_T0_E_clISt17integral_constantIbLb0EES1B_IbLb1EEEEDaS17_S18_EUlS17_E_NS1_11comp_targetILNS1_3genE4ELNS1_11target_archE910ELNS1_3gpuE8ELNS1_3repE0EEENS1_30default_config_static_selectorELNS0_4arch9wavefront6targetE1EEEvT1_.kd
    .uniform_work_group_size: 1
    .uses_dynamic_stack: false
    .vgpr_count:     50
    .vgpr_spill_count: 0
    .wavefront_size: 64
  - .agpr_count:     0
    .args:
      - .offset:         0
        .size:           136
        .value_kind:     by_value
    .group_segment_fixed_size: 0
    .kernarg_segment_align: 8
    .kernarg_segment_size: 136
    .language:       OpenCL C
    .language_version:
      - 2
      - 0
    .max_flat_workgroup_size: 128
    .name:           _ZN7rocprim17ROCPRIM_400000_NS6detail17trampoline_kernelINS0_14default_configENS1_25partition_config_selectorILNS1_17partition_subalgoE9EllbEEZZNS1_14partition_implILS5_9ELb0ES3_jPlS8_PNS0_10empty_typeENS0_5tupleIJS8_S9_EEENSB_IJS8_SA_EEENS0_18inequality_wrapperIZN2at6native12_GLOBAL__N_124unique_dim_cuda_templateIN3c108BFloat16EEESt5tupleIJNSF_6TensorESM_SM_EERKSM_lbbbEUlllE0_EEPmJS9_EEE10hipError_tPvRmT3_T4_T5_T6_T7_T9_mT8_P12ihipStream_tbDpT10_ENKUlT_T0_E_clISt17integral_constantIbLb0EES1B_IbLb1EEEEDaS17_S18_EUlS17_E_NS1_11comp_targetILNS1_3genE3ELNS1_11target_archE908ELNS1_3gpuE7ELNS1_3repE0EEENS1_30default_config_static_selectorELNS0_4arch9wavefront6targetE1EEEvT1_
    .private_segment_fixed_size: 0
    .sgpr_count:     4
    .sgpr_spill_count: 0
    .symbol:         _ZN7rocprim17ROCPRIM_400000_NS6detail17trampoline_kernelINS0_14default_configENS1_25partition_config_selectorILNS1_17partition_subalgoE9EllbEEZZNS1_14partition_implILS5_9ELb0ES3_jPlS8_PNS0_10empty_typeENS0_5tupleIJS8_S9_EEENSB_IJS8_SA_EEENS0_18inequality_wrapperIZN2at6native12_GLOBAL__N_124unique_dim_cuda_templateIN3c108BFloat16EEESt5tupleIJNSF_6TensorESM_SM_EERKSM_lbbbEUlllE0_EEPmJS9_EEE10hipError_tPvRmT3_T4_T5_T6_T7_T9_mT8_P12ihipStream_tbDpT10_ENKUlT_T0_E_clISt17integral_constantIbLb0EES1B_IbLb1EEEEDaS17_S18_EUlS17_E_NS1_11comp_targetILNS1_3genE3ELNS1_11target_archE908ELNS1_3gpuE7ELNS1_3repE0EEENS1_30default_config_static_selectorELNS0_4arch9wavefront6targetE1EEEvT1_.kd
    .uniform_work_group_size: 1
    .uses_dynamic_stack: false
    .vgpr_count:     0
    .vgpr_spill_count: 0
    .wavefront_size: 64
  - .agpr_count:     0
    .args:
      - .offset:         0
        .size:           136
        .value_kind:     by_value
    .group_segment_fixed_size: 0
    .kernarg_segment_align: 8
    .kernarg_segment_size: 136
    .language:       OpenCL C
    .language_version:
      - 2
      - 0
    .max_flat_workgroup_size: 192
    .name:           _ZN7rocprim17ROCPRIM_400000_NS6detail17trampoline_kernelINS0_14default_configENS1_25partition_config_selectorILNS1_17partition_subalgoE9EllbEEZZNS1_14partition_implILS5_9ELb0ES3_jPlS8_PNS0_10empty_typeENS0_5tupleIJS8_S9_EEENSB_IJS8_SA_EEENS0_18inequality_wrapperIZN2at6native12_GLOBAL__N_124unique_dim_cuda_templateIN3c108BFloat16EEESt5tupleIJNSF_6TensorESM_SM_EERKSM_lbbbEUlllE0_EEPmJS9_EEE10hipError_tPvRmT3_T4_T5_T6_T7_T9_mT8_P12ihipStream_tbDpT10_ENKUlT_T0_E_clISt17integral_constantIbLb0EES1B_IbLb1EEEEDaS17_S18_EUlS17_E_NS1_11comp_targetILNS1_3genE2ELNS1_11target_archE906ELNS1_3gpuE6ELNS1_3repE0EEENS1_30default_config_static_selectorELNS0_4arch9wavefront6targetE1EEEvT1_
    .private_segment_fixed_size: 0
    .sgpr_count:     4
    .sgpr_spill_count: 0
    .symbol:         _ZN7rocprim17ROCPRIM_400000_NS6detail17trampoline_kernelINS0_14default_configENS1_25partition_config_selectorILNS1_17partition_subalgoE9EllbEEZZNS1_14partition_implILS5_9ELb0ES3_jPlS8_PNS0_10empty_typeENS0_5tupleIJS8_S9_EEENSB_IJS8_SA_EEENS0_18inequality_wrapperIZN2at6native12_GLOBAL__N_124unique_dim_cuda_templateIN3c108BFloat16EEESt5tupleIJNSF_6TensorESM_SM_EERKSM_lbbbEUlllE0_EEPmJS9_EEE10hipError_tPvRmT3_T4_T5_T6_T7_T9_mT8_P12ihipStream_tbDpT10_ENKUlT_T0_E_clISt17integral_constantIbLb0EES1B_IbLb1EEEEDaS17_S18_EUlS17_E_NS1_11comp_targetILNS1_3genE2ELNS1_11target_archE906ELNS1_3gpuE6ELNS1_3repE0EEENS1_30default_config_static_selectorELNS0_4arch9wavefront6targetE1EEEvT1_.kd
    .uniform_work_group_size: 1
    .uses_dynamic_stack: false
    .vgpr_count:     0
    .vgpr_spill_count: 0
    .wavefront_size: 64
  - .agpr_count:     0
    .args:
      - .offset:         0
        .size:           136
        .value_kind:     by_value
    .group_segment_fixed_size: 0
    .kernarg_segment_align: 8
    .kernarg_segment_size: 136
    .language:       OpenCL C
    .language_version:
      - 2
      - 0
    .max_flat_workgroup_size: 384
    .name:           _ZN7rocprim17ROCPRIM_400000_NS6detail17trampoline_kernelINS0_14default_configENS1_25partition_config_selectorILNS1_17partition_subalgoE9EllbEEZZNS1_14partition_implILS5_9ELb0ES3_jPlS8_PNS0_10empty_typeENS0_5tupleIJS8_S9_EEENSB_IJS8_SA_EEENS0_18inequality_wrapperIZN2at6native12_GLOBAL__N_124unique_dim_cuda_templateIN3c108BFloat16EEESt5tupleIJNSF_6TensorESM_SM_EERKSM_lbbbEUlllE0_EEPmJS9_EEE10hipError_tPvRmT3_T4_T5_T6_T7_T9_mT8_P12ihipStream_tbDpT10_ENKUlT_T0_E_clISt17integral_constantIbLb0EES1B_IbLb1EEEEDaS17_S18_EUlS17_E_NS1_11comp_targetILNS1_3genE10ELNS1_11target_archE1200ELNS1_3gpuE4ELNS1_3repE0EEENS1_30default_config_static_selectorELNS0_4arch9wavefront6targetE1EEEvT1_
    .private_segment_fixed_size: 0
    .sgpr_count:     4
    .sgpr_spill_count: 0
    .symbol:         _ZN7rocprim17ROCPRIM_400000_NS6detail17trampoline_kernelINS0_14default_configENS1_25partition_config_selectorILNS1_17partition_subalgoE9EllbEEZZNS1_14partition_implILS5_9ELb0ES3_jPlS8_PNS0_10empty_typeENS0_5tupleIJS8_S9_EEENSB_IJS8_SA_EEENS0_18inequality_wrapperIZN2at6native12_GLOBAL__N_124unique_dim_cuda_templateIN3c108BFloat16EEESt5tupleIJNSF_6TensorESM_SM_EERKSM_lbbbEUlllE0_EEPmJS9_EEE10hipError_tPvRmT3_T4_T5_T6_T7_T9_mT8_P12ihipStream_tbDpT10_ENKUlT_T0_E_clISt17integral_constantIbLb0EES1B_IbLb1EEEEDaS17_S18_EUlS17_E_NS1_11comp_targetILNS1_3genE10ELNS1_11target_archE1200ELNS1_3gpuE4ELNS1_3repE0EEENS1_30default_config_static_selectorELNS0_4arch9wavefront6targetE1EEEvT1_.kd
    .uniform_work_group_size: 1
    .uses_dynamic_stack: false
    .vgpr_count:     0
    .vgpr_spill_count: 0
    .wavefront_size: 64
  - .agpr_count:     0
    .args:
      - .offset:         0
        .size:           136
        .value_kind:     by_value
    .group_segment_fixed_size: 0
    .kernarg_segment_align: 8
    .kernarg_segment_size: 136
    .language:       OpenCL C
    .language_version:
      - 2
      - 0
    .max_flat_workgroup_size: 512
    .name:           _ZN7rocprim17ROCPRIM_400000_NS6detail17trampoline_kernelINS0_14default_configENS1_25partition_config_selectorILNS1_17partition_subalgoE9EllbEEZZNS1_14partition_implILS5_9ELb0ES3_jPlS8_PNS0_10empty_typeENS0_5tupleIJS8_S9_EEENSB_IJS8_SA_EEENS0_18inequality_wrapperIZN2at6native12_GLOBAL__N_124unique_dim_cuda_templateIN3c108BFloat16EEESt5tupleIJNSF_6TensorESM_SM_EERKSM_lbbbEUlllE0_EEPmJS9_EEE10hipError_tPvRmT3_T4_T5_T6_T7_T9_mT8_P12ihipStream_tbDpT10_ENKUlT_T0_E_clISt17integral_constantIbLb0EES1B_IbLb1EEEEDaS17_S18_EUlS17_E_NS1_11comp_targetILNS1_3genE9ELNS1_11target_archE1100ELNS1_3gpuE3ELNS1_3repE0EEENS1_30default_config_static_selectorELNS0_4arch9wavefront6targetE1EEEvT1_
    .private_segment_fixed_size: 0
    .sgpr_count:     4
    .sgpr_spill_count: 0
    .symbol:         _ZN7rocprim17ROCPRIM_400000_NS6detail17trampoline_kernelINS0_14default_configENS1_25partition_config_selectorILNS1_17partition_subalgoE9EllbEEZZNS1_14partition_implILS5_9ELb0ES3_jPlS8_PNS0_10empty_typeENS0_5tupleIJS8_S9_EEENSB_IJS8_SA_EEENS0_18inequality_wrapperIZN2at6native12_GLOBAL__N_124unique_dim_cuda_templateIN3c108BFloat16EEESt5tupleIJNSF_6TensorESM_SM_EERKSM_lbbbEUlllE0_EEPmJS9_EEE10hipError_tPvRmT3_T4_T5_T6_T7_T9_mT8_P12ihipStream_tbDpT10_ENKUlT_T0_E_clISt17integral_constantIbLb0EES1B_IbLb1EEEEDaS17_S18_EUlS17_E_NS1_11comp_targetILNS1_3genE9ELNS1_11target_archE1100ELNS1_3gpuE3ELNS1_3repE0EEENS1_30default_config_static_selectorELNS0_4arch9wavefront6targetE1EEEvT1_.kd
    .uniform_work_group_size: 1
    .uses_dynamic_stack: false
    .vgpr_count:     0
    .vgpr_spill_count: 0
    .wavefront_size: 64
  - .agpr_count:     0
    .args:
      - .offset:         0
        .size:           136
        .value_kind:     by_value
    .group_segment_fixed_size: 0
    .kernarg_segment_align: 8
    .kernarg_segment_size: 136
    .language:       OpenCL C
    .language_version:
      - 2
      - 0
    .max_flat_workgroup_size: 512
    .name:           _ZN7rocprim17ROCPRIM_400000_NS6detail17trampoline_kernelINS0_14default_configENS1_25partition_config_selectorILNS1_17partition_subalgoE9EllbEEZZNS1_14partition_implILS5_9ELb0ES3_jPlS8_PNS0_10empty_typeENS0_5tupleIJS8_S9_EEENSB_IJS8_SA_EEENS0_18inequality_wrapperIZN2at6native12_GLOBAL__N_124unique_dim_cuda_templateIN3c108BFloat16EEESt5tupleIJNSF_6TensorESM_SM_EERKSM_lbbbEUlllE0_EEPmJS9_EEE10hipError_tPvRmT3_T4_T5_T6_T7_T9_mT8_P12ihipStream_tbDpT10_ENKUlT_T0_E_clISt17integral_constantIbLb0EES1B_IbLb1EEEEDaS17_S18_EUlS17_E_NS1_11comp_targetILNS1_3genE8ELNS1_11target_archE1030ELNS1_3gpuE2ELNS1_3repE0EEENS1_30default_config_static_selectorELNS0_4arch9wavefront6targetE1EEEvT1_
    .private_segment_fixed_size: 0
    .sgpr_count:     4
    .sgpr_spill_count: 0
    .symbol:         _ZN7rocprim17ROCPRIM_400000_NS6detail17trampoline_kernelINS0_14default_configENS1_25partition_config_selectorILNS1_17partition_subalgoE9EllbEEZZNS1_14partition_implILS5_9ELb0ES3_jPlS8_PNS0_10empty_typeENS0_5tupleIJS8_S9_EEENSB_IJS8_SA_EEENS0_18inequality_wrapperIZN2at6native12_GLOBAL__N_124unique_dim_cuda_templateIN3c108BFloat16EEESt5tupleIJNSF_6TensorESM_SM_EERKSM_lbbbEUlllE0_EEPmJS9_EEE10hipError_tPvRmT3_T4_T5_T6_T7_T9_mT8_P12ihipStream_tbDpT10_ENKUlT_T0_E_clISt17integral_constantIbLb0EES1B_IbLb1EEEEDaS17_S18_EUlS17_E_NS1_11comp_targetILNS1_3genE8ELNS1_11target_archE1030ELNS1_3gpuE2ELNS1_3repE0EEENS1_30default_config_static_selectorELNS0_4arch9wavefront6targetE1EEEvT1_.kd
    .uniform_work_group_size: 1
    .uses_dynamic_stack: false
    .vgpr_count:     0
    .vgpr_spill_count: 0
    .wavefront_size: 64
  - .agpr_count:     0
    .args:
      - .offset:         0
        .size:           72
        .value_kind:     by_value
    .group_segment_fixed_size: 0
    .kernarg_segment_align: 8
    .kernarg_segment_size: 72
    .language:       OpenCL C
    .language_version:
      - 2
      - 0
    .max_flat_workgroup_size: 256
    .name:           _ZN7rocprim17ROCPRIM_400000_NS6detail17trampoline_kernelINS0_14default_configENS1_37merge_sort_block_sort_config_selectorIlNS0_10empty_typeEEEZNS1_21merge_sort_block_sortIS3_PlS8_PS5_S9_ZN2at6native12_GLOBAL__N_124unique_dim_cuda_templateIN3c104HalfEEESt5tupleIJNSA_6TensorESH_SH_EERKSH_lbbbEUlllE_EE10hipError_tT0_T1_T2_T3_mRjT4_P12ihipStream_tbNS1_7vsmem_tEEUlT_E_NS1_11comp_targetILNS1_3genE0ELNS1_11target_archE4294967295ELNS1_3gpuE0ELNS1_3repE0EEENS1_30default_config_static_selectorELNS0_4arch9wavefront6targetE1EEEvSO_
    .private_segment_fixed_size: 0
    .sgpr_count:     4
    .sgpr_spill_count: 0
    .symbol:         _ZN7rocprim17ROCPRIM_400000_NS6detail17trampoline_kernelINS0_14default_configENS1_37merge_sort_block_sort_config_selectorIlNS0_10empty_typeEEEZNS1_21merge_sort_block_sortIS3_PlS8_PS5_S9_ZN2at6native12_GLOBAL__N_124unique_dim_cuda_templateIN3c104HalfEEESt5tupleIJNSA_6TensorESH_SH_EERKSH_lbbbEUlllE_EE10hipError_tT0_T1_T2_T3_mRjT4_P12ihipStream_tbNS1_7vsmem_tEEUlT_E_NS1_11comp_targetILNS1_3genE0ELNS1_11target_archE4294967295ELNS1_3gpuE0ELNS1_3repE0EEENS1_30default_config_static_selectorELNS0_4arch9wavefront6targetE1EEEvSO_.kd
    .uniform_work_group_size: 1
    .uses_dynamic_stack: false
    .vgpr_count:     0
    .vgpr_spill_count: 0
    .wavefront_size: 64
  - .agpr_count:     0
    .args:
      - .offset:         0
        .size:           72
        .value_kind:     by_value
    .group_segment_fixed_size: 0
    .kernarg_segment_align: 8
    .kernarg_segment_size: 72
    .language:       OpenCL C
    .language_version:
      - 2
      - 0
    .max_flat_workgroup_size: 256
    .name:           _ZN7rocprim17ROCPRIM_400000_NS6detail17trampoline_kernelINS0_14default_configENS1_37merge_sort_block_sort_config_selectorIlNS0_10empty_typeEEEZNS1_21merge_sort_block_sortIS3_PlS8_PS5_S9_ZN2at6native12_GLOBAL__N_124unique_dim_cuda_templateIN3c104HalfEEESt5tupleIJNSA_6TensorESH_SH_EERKSH_lbbbEUlllE_EE10hipError_tT0_T1_T2_T3_mRjT4_P12ihipStream_tbNS1_7vsmem_tEEUlT_E_NS1_11comp_targetILNS1_3genE5ELNS1_11target_archE942ELNS1_3gpuE9ELNS1_3repE0EEENS1_30default_config_static_selectorELNS0_4arch9wavefront6targetE1EEEvSO_
    .private_segment_fixed_size: 0
    .sgpr_count:     4
    .sgpr_spill_count: 0
    .symbol:         _ZN7rocprim17ROCPRIM_400000_NS6detail17trampoline_kernelINS0_14default_configENS1_37merge_sort_block_sort_config_selectorIlNS0_10empty_typeEEEZNS1_21merge_sort_block_sortIS3_PlS8_PS5_S9_ZN2at6native12_GLOBAL__N_124unique_dim_cuda_templateIN3c104HalfEEESt5tupleIJNSA_6TensorESH_SH_EERKSH_lbbbEUlllE_EE10hipError_tT0_T1_T2_T3_mRjT4_P12ihipStream_tbNS1_7vsmem_tEEUlT_E_NS1_11comp_targetILNS1_3genE5ELNS1_11target_archE942ELNS1_3gpuE9ELNS1_3repE0EEENS1_30default_config_static_selectorELNS0_4arch9wavefront6targetE1EEEvSO_.kd
    .uniform_work_group_size: 1
    .uses_dynamic_stack: false
    .vgpr_count:     0
    .vgpr_spill_count: 0
    .wavefront_size: 64
  - .agpr_count:     0
    .args:
      - .offset:         0
        .size:           72
        .value_kind:     by_value
      - .offset:         72
        .size:           4
        .value_kind:     hidden_block_count_x
      - .offset:         76
        .size:           4
        .value_kind:     hidden_block_count_y
      - .offset:         80
        .size:           4
        .value_kind:     hidden_block_count_z
      - .offset:         84
        .size:           2
        .value_kind:     hidden_group_size_x
      - .offset:         86
        .size:           2
        .value_kind:     hidden_group_size_y
      - .offset:         88
        .size:           2
        .value_kind:     hidden_group_size_z
      - .offset:         90
        .size:           2
        .value_kind:     hidden_remainder_x
      - .offset:         92
        .size:           2
        .value_kind:     hidden_remainder_y
      - .offset:         94
        .size:           2
        .value_kind:     hidden_remainder_z
      - .offset:         112
        .size:           8
        .value_kind:     hidden_global_offset_x
      - .offset:         120
        .size:           8
        .value_kind:     hidden_global_offset_y
      - .offset:         128
        .size:           8
        .value_kind:     hidden_global_offset_z
      - .offset:         136
        .size:           2
        .value_kind:     hidden_grid_dims
    .group_segment_fixed_size: 8448
    .kernarg_segment_align: 8
    .kernarg_segment_size: 328
    .language:       OpenCL C
    .language_version:
      - 2
      - 0
    .max_flat_workgroup_size: 256
    .name:           _ZN7rocprim17ROCPRIM_400000_NS6detail17trampoline_kernelINS0_14default_configENS1_37merge_sort_block_sort_config_selectorIlNS0_10empty_typeEEEZNS1_21merge_sort_block_sortIS3_PlS8_PS5_S9_ZN2at6native12_GLOBAL__N_124unique_dim_cuda_templateIN3c104HalfEEESt5tupleIJNSA_6TensorESH_SH_EERKSH_lbbbEUlllE_EE10hipError_tT0_T1_T2_T3_mRjT4_P12ihipStream_tbNS1_7vsmem_tEEUlT_E_NS1_11comp_targetILNS1_3genE4ELNS1_11target_archE910ELNS1_3gpuE8ELNS1_3repE0EEENS1_30default_config_static_selectorELNS0_4arch9wavefront6targetE1EEEvSO_
    .private_segment_fixed_size: 0
    .sgpr_count:     59
    .sgpr_spill_count: 0
    .symbol:         _ZN7rocprim17ROCPRIM_400000_NS6detail17trampoline_kernelINS0_14default_configENS1_37merge_sort_block_sort_config_selectorIlNS0_10empty_typeEEEZNS1_21merge_sort_block_sortIS3_PlS8_PS5_S9_ZN2at6native12_GLOBAL__N_124unique_dim_cuda_templateIN3c104HalfEEESt5tupleIJNSA_6TensorESH_SH_EERKSH_lbbbEUlllE_EE10hipError_tT0_T1_T2_T3_mRjT4_P12ihipStream_tbNS1_7vsmem_tEEUlT_E_NS1_11comp_targetILNS1_3genE4ELNS1_11target_archE910ELNS1_3gpuE8ELNS1_3repE0EEENS1_30default_config_static_selectorELNS0_4arch9wavefront6targetE1EEEvSO_.kd
    .uniform_work_group_size: 1
    .uses_dynamic_stack: false
    .vgpr_count:     42
    .vgpr_spill_count: 0
    .wavefront_size: 64
  - .agpr_count:     0
    .args:
      - .offset:         0
        .size:           72
        .value_kind:     by_value
    .group_segment_fixed_size: 0
    .kernarg_segment_align: 8
    .kernarg_segment_size: 72
    .language:       OpenCL C
    .language_version:
      - 2
      - 0
    .max_flat_workgroup_size: 256
    .name:           _ZN7rocprim17ROCPRIM_400000_NS6detail17trampoline_kernelINS0_14default_configENS1_37merge_sort_block_sort_config_selectorIlNS0_10empty_typeEEEZNS1_21merge_sort_block_sortIS3_PlS8_PS5_S9_ZN2at6native12_GLOBAL__N_124unique_dim_cuda_templateIN3c104HalfEEESt5tupleIJNSA_6TensorESH_SH_EERKSH_lbbbEUlllE_EE10hipError_tT0_T1_T2_T3_mRjT4_P12ihipStream_tbNS1_7vsmem_tEEUlT_E_NS1_11comp_targetILNS1_3genE3ELNS1_11target_archE908ELNS1_3gpuE7ELNS1_3repE0EEENS1_30default_config_static_selectorELNS0_4arch9wavefront6targetE1EEEvSO_
    .private_segment_fixed_size: 0
    .sgpr_count:     4
    .sgpr_spill_count: 0
    .symbol:         _ZN7rocprim17ROCPRIM_400000_NS6detail17trampoline_kernelINS0_14default_configENS1_37merge_sort_block_sort_config_selectorIlNS0_10empty_typeEEEZNS1_21merge_sort_block_sortIS3_PlS8_PS5_S9_ZN2at6native12_GLOBAL__N_124unique_dim_cuda_templateIN3c104HalfEEESt5tupleIJNSA_6TensorESH_SH_EERKSH_lbbbEUlllE_EE10hipError_tT0_T1_T2_T3_mRjT4_P12ihipStream_tbNS1_7vsmem_tEEUlT_E_NS1_11comp_targetILNS1_3genE3ELNS1_11target_archE908ELNS1_3gpuE7ELNS1_3repE0EEENS1_30default_config_static_selectorELNS0_4arch9wavefront6targetE1EEEvSO_.kd
    .uniform_work_group_size: 1
    .uses_dynamic_stack: false
    .vgpr_count:     0
    .vgpr_spill_count: 0
    .wavefront_size: 64
  - .agpr_count:     0
    .args:
      - .offset:         0
        .size:           72
        .value_kind:     by_value
    .group_segment_fixed_size: 0
    .kernarg_segment_align: 8
    .kernarg_segment_size: 72
    .language:       OpenCL C
    .language_version:
      - 2
      - 0
    .max_flat_workgroup_size: 256
    .name:           _ZN7rocprim17ROCPRIM_400000_NS6detail17trampoline_kernelINS0_14default_configENS1_37merge_sort_block_sort_config_selectorIlNS0_10empty_typeEEEZNS1_21merge_sort_block_sortIS3_PlS8_PS5_S9_ZN2at6native12_GLOBAL__N_124unique_dim_cuda_templateIN3c104HalfEEESt5tupleIJNSA_6TensorESH_SH_EERKSH_lbbbEUlllE_EE10hipError_tT0_T1_T2_T3_mRjT4_P12ihipStream_tbNS1_7vsmem_tEEUlT_E_NS1_11comp_targetILNS1_3genE2ELNS1_11target_archE906ELNS1_3gpuE6ELNS1_3repE0EEENS1_30default_config_static_selectorELNS0_4arch9wavefront6targetE1EEEvSO_
    .private_segment_fixed_size: 0
    .sgpr_count:     4
    .sgpr_spill_count: 0
    .symbol:         _ZN7rocprim17ROCPRIM_400000_NS6detail17trampoline_kernelINS0_14default_configENS1_37merge_sort_block_sort_config_selectorIlNS0_10empty_typeEEEZNS1_21merge_sort_block_sortIS3_PlS8_PS5_S9_ZN2at6native12_GLOBAL__N_124unique_dim_cuda_templateIN3c104HalfEEESt5tupleIJNSA_6TensorESH_SH_EERKSH_lbbbEUlllE_EE10hipError_tT0_T1_T2_T3_mRjT4_P12ihipStream_tbNS1_7vsmem_tEEUlT_E_NS1_11comp_targetILNS1_3genE2ELNS1_11target_archE906ELNS1_3gpuE6ELNS1_3repE0EEENS1_30default_config_static_selectorELNS0_4arch9wavefront6targetE1EEEvSO_.kd
    .uniform_work_group_size: 1
    .uses_dynamic_stack: false
    .vgpr_count:     0
    .vgpr_spill_count: 0
    .wavefront_size: 64
  - .agpr_count:     0
    .args:
      - .offset:         0
        .size:           72
        .value_kind:     by_value
    .group_segment_fixed_size: 0
    .kernarg_segment_align: 8
    .kernarg_segment_size: 72
    .language:       OpenCL C
    .language_version:
      - 2
      - 0
    .max_flat_workgroup_size: 256
    .name:           _ZN7rocprim17ROCPRIM_400000_NS6detail17trampoline_kernelINS0_14default_configENS1_37merge_sort_block_sort_config_selectorIlNS0_10empty_typeEEEZNS1_21merge_sort_block_sortIS3_PlS8_PS5_S9_ZN2at6native12_GLOBAL__N_124unique_dim_cuda_templateIN3c104HalfEEESt5tupleIJNSA_6TensorESH_SH_EERKSH_lbbbEUlllE_EE10hipError_tT0_T1_T2_T3_mRjT4_P12ihipStream_tbNS1_7vsmem_tEEUlT_E_NS1_11comp_targetILNS1_3genE10ELNS1_11target_archE1201ELNS1_3gpuE5ELNS1_3repE0EEENS1_30default_config_static_selectorELNS0_4arch9wavefront6targetE1EEEvSO_
    .private_segment_fixed_size: 0
    .sgpr_count:     4
    .sgpr_spill_count: 0
    .symbol:         _ZN7rocprim17ROCPRIM_400000_NS6detail17trampoline_kernelINS0_14default_configENS1_37merge_sort_block_sort_config_selectorIlNS0_10empty_typeEEEZNS1_21merge_sort_block_sortIS3_PlS8_PS5_S9_ZN2at6native12_GLOBAL__N_124unique_dim_cuda_templateIN3c104HalfEEESt5tupleIJNSA_6TensorESH_SH_EERKSH_lbbbEUlllE_EE10hipError_tT0_T1_T2_T3_mRjT4_P12ihipStream_tbNS1_7vsmem_tEEUlT_E_NS1_11comp_targetILNS1_3genE10ELNS1_11target_archE1201ELNS1_3gpuE5ELNS1_3repE0EEENS1_30default_config_static_selectorELNS0_4arch9wavefront6targetE1EEEvSO_.kd
    .uniform_work_group_size: 1
    .uses_dynamic_stack: false
    .vgpr_count:     0
    .vgpr_spill_count: 0
    .wavefront_size: 64
  - .agpr_count:     0
    .args:
      - .offset:         0
        .size:           72
        .value_kind:     by_value
    .group_segment_fixed_size: 0
    .kernarg_segment_align: 8
    .kernarg_segment_size: 72
    .language:       OpenCL C
    .language_version:
      - 2
      - 0
    .max_flat_workgroup_size: 512
    .name:           _ZN7rocprim17ROCPRIM_400000_NS6detail17trampoline_kernelINS0_14default_configENS1_37merge_sort_block_sort_config_selectorIlNS0_10empty_typeEEEZNS1_21merge_sort_block_sortIS3_PlS8_PS5_S9_ZN2at6native12_GLOBAL__N_124unique_dim_cuda_templateIN3c104HalfEEESt5tupleIJNSA_6TensorESH_SH_EERKSH_lbbbEUlllE_EE10hipError_tT0_T1_T2_T3_mRjT4_P12ihipStream_tbNS1_7vsmem_tEEUlT_E_NS1_11comp_targetILNS1_3genE10ELNS1_11target_archE1200ELNS1_3gpuE4ELNS1_3repE0EEENS1_30default_config_static_selectorELNS0_4arch9wavefront6targetE1EEEvSO_
    .private_segment_fixed_size: 0
    .sgpr_count:     4
    .sgpr_spill_count: 0
    .symbol:         _ZN7rocprim17ROCPRIM_400000_NS6detail17trampoline_kernelINS0_14default_configENS1_37merge_sort_block_sort_config_selectorIlNS0_10empty_typeEEEZNS1_21merge_sort_block_sortIS3_PlS8_PS5_S9_ZN2at6native12_GLOBAL__N_124unique_dim_cuda_templateIN3c104HalfEEESt5tupleIJNSA_6TensorESH_SH_EERKSH_lbbbEUlllE_EE10hipError_tT0_T1_T2_T3_mRjT4_P12ihipStream_tbNS1_7vsmem_tEEUlT_E_NS1_11comp_targetILNS1_3genE10ELNS1_11target_archE1200ELNS1_3gpuE4ELNS1_3repE0EEENS1_30default_config_static_selectorELNS0_4arch9wavefront6targetE1EEEvSO_.kd
    .uniform_work_group_size: 1
    .uses_dynamic_stack: false
    .vgpr_count:     0
    .vgpr_spill_count: 0
    .wavefront_size: 64
  - .agpr_count:     0
    .args:
      - .offset:         0
        .size:           72
        .value_kind:     by_value
    .group_segment_fixed_size: 0
    .kernarg_segment_align: 8
    .kernarg_segment_size: 72
    .language:       OpenCL C
    .language_version:
      - 2
      - 0
    .max_flat_workgroup_size: 256
    .name:           _ZN7rocprim17ROCPRIM_400000_NS6detail17trampoline_kernelINS0_14default_configENS1_37merge_sort_block_sort_config_selectorIlNS0_10empty_typeEEEZNS1_21merge_sort_block_sortIS3_PlS8_PS5_S9_ZN2at6native12_GLOBAL__N_124unique_dim_cuda_templateIN3c104HalfEEESt5tupleIJNSA_6TensorESH_SH_EERKSH_lbbbEUlllE_EE10hipError_tT0_T1_T2_T3_mRjT4_P12ihipStream_tbNS1_7vsmem_tEEUlT_E_NS1_11comp_targetILNS1_3genE9ELNS1_11target_archE1100ELNS1_3gpuE3ELNS1_3repE0EEENS1_30default_config_static_selectorELNS0_4arch9wavefront6targetE1EEEvSO_
    .private_segment_fixed_size: 0
    .sgpr_count:     4
    .sgpr_spill_count: 0
    .symbol:         _ZN7rocprim17ROCPRIM_400000_NS6detail17trampoline_kernelINS0_14default_configENS1_37merge_sort_block_sort_config_selectorIlNS0_10empty_typeEEEZNS1_21merge_sort_block_sortIS3_PlS8_PS5_S9_ZN2at6native12_GLOBAL__N_124unique_dim_cuda_templateIN3c104HalfEEESt5tupleIJNSA_6TensorESH_SH_EERKSH_lbbbEUlllE_EE10hipError_tT0_T1_T2_T3_mRjT4_P12ihipStream_tbNS1_7vsmem_tEEUlT_E_NS1_11comp_targetILNS1_3genE9ELNS1_11target_archE1100ELNS1_3gpuE3ELNS1_3repE0EEENS1_30default_config_static_selectorELNS0_4arch9wavefront6targetE1EEEvSO_.kd
    .uniform_work_group_size: 1
    .uses_dynamic_stack: false
    .vgpr_count:     0
    .vgpr_spill_count: 0
    .wavefront_size: 64
  - .agpr_count:     0
    .args:
      - .offset:         0
        .size:           72
        .value_kind:     by_value
    .group_segment_fixed_size: 0
    .kernarg_segment_align: 8
    .kernarg_segment_size: 72
    .language:       OpenCL C
    .language_version:
      - 2
      - 0
    .max_flat_workgroup_size: 256
    .name:           _ZN7rocprim17ROCPRIM_400000_NS6detail17trampoline_kernelINS0_14default_configENS1_37merge_sort_block_sort_config_selectorIlNS0_10empty_typeEEEZNS1_21merge_sort_block_sortIS3_PlS8_PS5_S9_ZN2at6native12_GLOBAL__N_124unique_dim_cuda_templateIN3c104HalfEEESt5tupleIJNSA_6TensorESH_SH_EERKSH_lbbbEUlllE_EE10hipError_tT0_T1_T2_T3_mRjT4_P12ihipStream_tbNS1_7vsmem_tEEUlT_E_NS1_11comp_targetILNS1_3genE8ELNS1_11target_archE1030ELNS1_3gpuE2ELNS1_3repE0EEENS1_30default_config_static_selectorELNS0_4arch9wavefront6targetE1EEEvSO_
    .private_segment_fixed_size: 0
    .sgpr_count:     4
    .sgpr_spill_count: 0
    .symbol:         _ZN7rocprim17ROCPRIM_400000_NS6detail17trampoline_kernelINS0_14default_configENS1_37merge_sort_block_sort_config_selectorIlNS0_10empty_typeEEEZNS1_21merge_sort_block_sortIS3_PlS8_PS5_S9_ZN2at6native12_GLOBAL__N_124unique_dim_cuda_templateIN3c104HalfEEESt5tupleIJNSA_6TensorESH_SH_EERKSH_lbbbEUlllE_EE10hipError_tT0_T1_T2_T3_mRjT4_P12ihipStream_tbNS1_7vsmem_tEEUlT_E_NS1_11comp_targetILNS1_3genE8ELNS1_11target_archE1030ELNS1_3gpuE2ELNS1_3repE0EEENS1_30default_config_static_selectorELNS0_4arch9wavefront6targetE1EEEvSO_.kd
    .uniform_work_group_size: 1
    .uses_dynamic_stack: false
    .vgpr_count:     0
    .vgpr_spill_count: 0
    .wavefront_size: 64
  - .agpr_count:     0
    .args:
      - .offset:         0
        .size:           56
        .value_kind:     by_value
    .group_segment_fixed_size: 0
    .kernarg_segment_align: 8
    .kernarg_segment_size: 56
    .language:       OpenCL C
    .language_version:
      - 2
      - 0
    .max_flat_workgroup_size: 128
    .name:           _ZN7rocprim17ROCPRIM_400000_NS6detail17trampoline_kernelINS0_14default_configENS1_38merge_sort_block_merge_config_selectorIlNS0_10empty_typeEEEZZNS1_27merge_sort_block_merge_implIS3_PlPS5_mZN2at6native12_GLOBAL__N_124unique_dim_cuda_templateIN3c104HalfEEESt5tupleIJNSA_6TensorESH_SH_EERKSH_lbbbEUlllE_EE10hipError_tT0_T1_T2_jT3_P12ihipStream_tbPNSt15iterator_traitsISN_E10value_typeEPNST_ISO_E10value_typeEPSP_NS1_7vsmem_tEENKUlT_SN_SO_SP_E_clIS8_S8_S9_S9_EESM_S12_SN_SO_SP_EUlS12_E_NS1_11comp_targetILNS1_3genE0ELNS1_11target_archE4294967295ELNS1_3gpuE0ELNS1_3repE0EEENS1_48merge_mergepath_partition_config_static_selectorELNS0_4arch9wavefront6targetE1EEEvSO_
    .private_segment_fixed_size: 0
    .sgpr_count:     4
    .sgpr_spill_count: 0
    .symbol:         _ZN7rocprim17ROCPRIM_400000_NS6detail17trampoline_kernelINS0_14default_configENS1_38merge_sort_block_merge_config_selectorIlNS0_10empty_typeEEEZZNS1_27merge_sort_block_merge_implIS3_PlPS5_mZN2at6native12_GLOBAL__N_124unique_dim_cuda_templateIN3c104HalfEEESt5tupleIJNSA_6TensorESH_SH_EERKSH_lbbbEUlllE_EE10hipError_tT0_T1_T2_jT3_P12ihipStream_tbPNSt15iterator_traitsISN_E10value_typeEPNST_ISO_E10value_typeEPSP_NS1_7vsmem_tEENKUlT_SN_SO_SP_E_clIS8_S8_S9_S9_EESM_S12_SN_SO_SP_EUlS12_E_NS1_11comp_targetILNS1_3genE0ELNS1_11target_archE4294967295ELNS1_3gpuE0ELNS1_3repE0EEENS1_48merge_mergepath_partition_config_static_selectorELNS0_4arch9wavefront6targetE1EEEvSO_.kd
    .uniform_work_group_size: 1
    .uses_dynamic_stack: false
    .vgpr_count:     0
    .vgpr_spill_count: 0
    .wavefront_size: 64
  - .agpr_count:     0
    .args:
      - .offset:         0
        .size:           56
        .value_kind:     by_value
    .group_segment_fixed_size: 0
    .kernarg_segment_align: 8
    .kernarg_segment_size: 56
    .language:       OpenCL C
    .language_version:
      - 2
      - 0
    .max_flat_workgroup_size: 128
    .name:           _ZN7rocprim17ROCPRIM_400000_NS6detail17trampoline_kernelINS0_14default_configENS1_38merge_sort_block_merge_config_selectorIlNS0_10empty_typeEEEZZNS1_27merge_sort_block_merge_implIS3_PlPS5_mZN2at6native12_GLOBAL__N_124unique_dim_cuda_templateIN3c104HalfEEESt5tupleIJNSA_6TensorESH_SH_EERKSH_lbbbEUlllE_EE10hipError_tT0_T1_T2_jT3_P12ihipStream_tbPNSt15iterator_traitsISN_E10value_typeEPNST_ISO_E10value_typeEPSP_NS1_7vsmem_tEENKUlT_SN_SO_SP_E_clIS8_S8_S9_S9_EESM_S12_SN_SO_SP_EUlS12_E_NS1_11comp_targetILNS1_3genE10ELNS1_11target_archE1201ELNS1_3gpuE5ELNS1_3repE0EEENS1_48merge_mergepath_partition_config_static_selectorELNS0_4arch9wavefront6targetE1EEEvSO_
    .private_segment_fixed_size: 0
    .sgpr_count:     4
    .sgpr_spill_count: 0
    .symbol:         _ZN7rocprim17ROCPRIM_400000_NS6detail17trampoline_kernelINS0_14default_configENS1_38merge_sort_block_merge_config_selectorIlNS0_10empty_typeEEEZZNS1_27merge_sort_block_merge_implIS3_PlPS5_mZN2at6native12_GLOBAL__N_124unique_dim_cuda_templateIN3c104HalfEEESt5tupleIJNSA_6TensorESH_SH_EERKSH_lbbbEUlllE_EE10hipError_tT0_T1_T2_jT3_P12ihipStream_tbPNSt15iterator_traitsISN_E10value_typeEPNST_ISO_E10value_typeEPSP_NS1_7vsmem_tEENKUlT_SN_SO_SP_E_clIS8_S8_S9_S9_EESM_S12_SN_SO_SP_EUlS12_E_NS1_11comp_targetILNS1_3genE10ELNS1_11target_archE1201ELNS1_3gpuE5ELNS1_3repE0EEENS1_48merge_mergepath_partition_config_static_selectorELNS0_4arch9wavefront6targetE1EEEvSO_.kd
    .uniform_work_group_size: 1
    .uses_dynamic_stack: false
    .vgpr_count:     0
    .vgpr_spill_count: 0
    .wavefront_size: 64
  - .agpr_count:     0
    .args:
      - .offset:         0
        .size:           56
        .value_kind:     by_value
    .group_segment_fixed_size: 0
    .kernarg_segment_align: 8
    .kernarg_segment_size: 56
    .language:       OpenCL C
    .language_version:
      - 2
      - 0
    .max_flat_workgroup_size: 128
    .name:           _ZN7rocprim17ROCPRIM_400000_NS6detail17trampoline_kernelINS0_14default_configENS1_38merge_sort_block_merge_config_selectorIlNS0_10empty_typeEEEZZNS1_27merge_sort_block_merge_implIS3_PlPS5_mZN2at6native12_GLOBAL__N_124unique_dim_cuda_templateIN3c104HalfEEESt5tupleIJNSA_6TensorESH_SH_EERKSH_lbbbEUlllE_EE10hipError_tT0_T1_T2_jT3_P12ihipStream_tbPNSt15iterator_traitsISN_E10value_typeEPNST_ISO_E10value_typeEPSP_NS1_7vsmem_tEENKUlT_SN_SO_SP_E_clIS8_S8_S9_S9_EESM_S12_SN_SO_SP_EUlS12_E_NS1_11comp_targetILNS1_3genE5ELNS1_11target_archE942ELNS1_3gpuE9ELNS1_3repE0EEENS1_48merge_mergepath_partition_config_static_selectorELNS0_4arch9wavefront6targetE1EEEvSO_
    .private_segment_fixed_size: 0
    .sgpr_count:     4
    .sgpr_spill_count: 0
    .symbol:         _ZN7rocprim17ROCPRIM_400000_NS6detail17trampoline_kernelINS0_14default_configENS1_38merge_sort_block_merge_config_selectorIlNS0_10empty_typeEEEZZNS1_27merge_sort_block_merge_implIS3_PlPS5_mZN2at6native12_GLOBAL__N_124unique_dim_cuda_templateIN3c104HalfEEESt5tupleIJNSA_6TensorESH_SH_EERKSH_lbbbEUlllE_EE10hipError_tT0_T1_T2_jT3_P12ihipStream_tbPNSt15iterator_traitsISN_E10value_typeEPNST_ISO_E10value_typeEPSP_NS1_7vsmem_tEENKUlT_SN_SO_SP_E_clIS8_S8_S9_S9_EESM_S12_SN_SO_SP_EUlS12_E_NS1_11comp_targetILNS1_3genE5ELNS1_11target_archE942ELNS1_3gpuE9ELNS1_3repE0EEENS1_48merge_mergepath_partition_config_static_selectorELNS0_4arch9wavefront6targetE1EEEvSO_.kd
    .uniform_work_group_size: 1
    .uses_dynamic_stack: false
    .vgpr_count:     0
    .vgpr_spill_count: 0
    .wavefront_size: 64
  - .agpr_count:     0
    .args:
      - .offset:         0
        .size:           56
        .value_kind:     by_value
    .group_segment_fixed_size: 0
    .kernarg_segment_align: 8
    .kernarg_segment_size: 56
    .language:       OpenCL C
    .language_version:
      - 2
      - 0
    .max_flat_workgroup_size: 128
    .name:           _ZN7rocprim17ROCPRIM_400000_NS6detail17trampoline_kernelINS0_14default_configENS1_38merge_sort_block_merge_config_selectorIlNS0_10empty_typeEEEZZNS1_27merge_sort_block_merge_implIS3_PlPS5_mZN2at6native12_GLOBAL__N_124unique_dim_cuda_templateIN3c104HalfEEESt5tupleIJNSA_6TensorESH_SH_EERKSH_lbbbEUlllE_EE10hipError_tT0_T1_T2_jT3_P12ihipStream_tbPNSt15iterator_traitsISN_E10value_typeEPNST_ISO_E10value_typeEPSP_NS1_7vsmem_tEENKUlT_SN_SO_SP_E_clIS8_S8_S9_S9_EESM_S12_SN_SO_SP_EUlS12_E_NS1_11comp_targetILNS1_3genE4ELNS1_11target_archE910ELNS1_3gpuE8ELNS1_3repE0EEENS1_48merge_mergepath_partition_config_static_selectorELNS0_4arch9wavefront6targetE1EEEvSO_
    .private_segment_fixed_size: 0
    .sgpr_count:     36
    .sgpr_spill_count: 0
    .symbol:         _ZN7rocprim17ROCPRIM_400000_NS6detail17trampoline_kernelINS0_14default_configENS1_38merge_sort_block_merge_config_selectorIlNS0_10empty_typeEEEZZNS1_27merge_sort_block_merge_implIS3_PlPS5_mZN2at6native12_GLOBAL__N_124unique_dim_cuda_templateIN3c104HalfEEESt5tupleIJNSA_6TensorESH_SH_EERKSH_lbbbEUlllE_EE10hipError_tT0_T1_T2_jT3_P12ihipStream_tbPNSt15iterator_traitsISN_E10value_typeEPNST_ISO_E10value_typeEPSP_NS1_7vsmem_tEENKUlT_SN_SO_SP_E_clIS8_S8_S9_S9_EESM_S12_SN_SO_SP_EUlS12_E_NS1_11comp_targetILNS1_3genE4ELNS1_11target_archE910ELNS1_3gpuE8ELNS1_3repE0EEENS1_48merge_mergepath_partition_config_static_selectorELNS0_4arch9wavefront6targetE1EEEvSO_.kd
    .uniform_work_group_size: 1
    .uses_dynamic_stack: false
    .vgpr_count:     23
    .vgpr_spill_count: 0
    .wavefront_size: 64
  - .agpr_count:     0
    .args:
      - .offset:         0
        .size:           56
        .value_kind:     by_value
    .group_segment_fixed_size: 0
    .kernarg_segment_align: 8
    .kernarg_segment_size: 56
    .language:       OpenCL C
    .language_version:
      - 2
      - 0
    .max_flat_workgroup_size: 128
    .name:           _ZN7rocprim17ROCPRIM_400000_NS6detail17trampoline_kernelINS0_14default_configENS1_38merge_sort_block_merge_config_selectorIlNS0_10empty_typeEEEZZNS1_27merge_sort_block_merge_implIS3_PlPS5_mZN2at6native12_GLOBAL__N_124unique_dim_cuda_templateIN3c104HalfEEESt5tupleIJNSA_6TensorESH_SH_EERKSH_lbbbEUlllE_EE10hipError_tT0_T1_T2_jT3_P12ihipStream_tbPNSt15iterator_traitsISN_E10value_typeEPNST_ISO_E10value_typeEPSP_NS1_7vsmem_tEENKUlT_SN_SO_SP_E_clIS8_S8_S9_S9_EESM_S12_SN_SO_SP_EUlS12_E_NS1_11comp_targetILNS1_3genE3ELNS1_11target_archE908ELNS1_3gpuE7ELNS1_3repE0EEENS1_48merge_mergepath_partition_config_static_selectorELNS0_4arch9wavefront6targetE1EEEvSO_
    .private_segment_fixed_size: 0
    .sgpr_count:     4
    .sgpr_spill_count: 0
    .symbol:         _ZN7rocprim17ROCPRIM_400000_NS6detail17trampoline_kernelINS0_14default_configENS1_38merge_sort_block_merge_config_selectorIlNS0_10empty_typeEEEZZNS1_27merge_sort_block_merge_implIS3_PlPS5_mZN2at6native12_GLOBAL__N_124unique_dim_cuda_templateIN3c104HalfEEESt5tupleIJNSA_6TensorESH_SH_EERKSH_lbbbEUlllE_EE10hipError_tT0_T1_T2_jT3_P12ihipStream_tbPNSt15iterator_traitsISN_E10value_typeEPNST_ISO_E10value_typeEPSP_NS1_7vsmem_tEENKUlT_SN_SO_SP_E_clIS8_S8_S9_S9_EESM_S12_SN_SO_SP_EUlS12_E_NS1_11comp_targetILNS1_3genE3ELNS1_11target_archE908ELNS1_3gpuE7ELNS1_3repE0EEENS1_48merge_mergepath_partition_config_static_selectorELNS0_4arch9wavefront6targetE1EEEvSO_.kd
    .uniform_work_group_size: 1
    .uses_dynamic_stack: false
    .vgpr_count:     0
    .vgpr_spill_count: 0
    .wavefront_size: 64
  - .agpr_count:     0
    .args:
      - .offset:         0
        .size:           56
        .value_kind:     by_value
    .group_segment_fixed_size: 0
    .kernarg_segment_align: 8
    .kernarg_segment_size: 56
    .language:       OpenCL C
    .language_version:
      - 2
      - 0
    .max_flat_workgroup_size: 128
    .name:           _ZN7rocprim17ROCPRIM_400000_NS6detail17trampoline_kernelINS0_14default_configENS1_38merge_sort_block_merge_config_selectorIlNS0_10empty_typeEEEZZNS1_27merge_sort_block_merge_implIS3_PlPS5_mZN2at6native12_GLOBAL__N_124unique_dim_cuda_templateIN3c104HalfEEESt5tupleIJNSA_6TensorESH_SH_EERKSH_lbbbEUlllE_EE10hipError_tT0_T1_T2_jT3_P12ihipStream_tbPNSt15iterator_traitsISN_E10value_typeEPNST_ISO_E10value_typeEPSP_NS1_7vsmem_tEENKUlT_SN_SO_SP_E_clIS8_S8_S9_S9_EESM_S12_SN_SO_SP_EUlS12_E_NS1_11comp_targetILNS1_3genE2ELNS1_11target_archE906ELNS1_3gpuE6ELNS1_3repE0EEENS1_48merge_mergepath_partition_config_static_selectorELNS0_4arch9wavefront6targetE1EEEvSO_
    .private_segment_fixed_size: 0
    .sgpr_count:     4
    .sgpr_spill_count: 0
    .symbol:         _ZN7rocprim17ROCPRIM_400000_NS6detail17trampoline_kernelINS0_14default_configENS1_38merge_sort_block_merge_config_selectorIlNS0_10empty_typeEEEZZNS1_27merge_sort_block_merge_implIS3_PlPS5_mZN2at6native12_GLOBAL__N_124unique_dim_cuda_templateIN3c104HalfEEESt5tupleIJNSA_6TensorESH_SH_EERKSH_lbbbEUlllE_EE10hipError_tT0_T1_T2_jT3_P12ihipStream_tbPNSt15iterator_traitsISN_E10value_typeEPNST_ISO_E10value_typeEPSP_NS1_7vsmem_tEENKUlT_SN_SO_SP_E_clIS8_S8_S9_S9_EESM_S12_SN_SO_SP_EUlS12_E_NS1_11comp_targetILNS1_3genE2ELNS1_11target_archE906ELNS1_3gpuE6ELNS1_3repE0EEENS1_48merge_mergepath_partition_config_static_selectorELNS0_4arch9wavefront6targetE1EEEvSO_.kd
    .uniform_work_group_size: 1
    .uses_dynamic_stack: false
    .vgpr_count:     0
    .vgpr_spill_count: 0
    .wavefront_size: 64
  - .agpr_count:     0
    .args:
      - .offset:         0
        .size:           56
        .value_kind:     by_value
    .group_segment_fixed_size: 0
    .kernarg_segment_align: 8
    .kernarg_segment_size: 56
    .language:       OpenCL C
    .language_version:
      - 2
      - 0
    .max_flat_workgroup_size: 128
    .name:           _ZN7rocprim17ROCPRIM_400000_NS6detail17trampoline_kernelINS0_14default_configENS1_38merge_sort_block_merge_config_selectorIlNS0_10empty_typeEEEZZNS1_27merge_sort_block_merge_implIS3_PlPS5_mZN2at6native12_GLOBAL__N_124unique_dim_cuda_templateIN3c104HalfEEESt5tupleIJNSA_6TensorESH_SH_EERKSH_lbbbEUlllE_EE10hipError_tT0_T1_T2_jT3_P12ihipStream_tbPNSt15iterator_traitsISN_E10value_typeEPNST_ISO_E10value_typeEPSP_NS1_7vsmem_tEENKUlT_SN_SO_SP_E_clIS8_S8_S9_S9_EESM_S12_SN_SO_SP_EUlS12_E_NS1_11comp_targetILNS1_3genE9ELNS1_11target_archE1100ELNS1_3gpuE3ELNS1_3repE0EEENS1_48merge_mergepath_partition_config_static_selectorELNS0_4arch9wavefront6targetE1EEEvSO_
    .private_segment_fixed_size: 0
    .sgpr_count:     4
    .sgpr_spill_count: 0
    .symbol:         _ZN7rocprim17ROCPRIM_400000_NS6detail17trampoline_kernelINS0_14default_configENS1_38merge_sort_block_merge_config_selectorIlNS0_10empty_typeEEEZZNS1_27merge_sort_block_merge_implIS3_PlPS5_mZN2at6native12_GLOBAL__N_124unique_dim_cuda_templateIN3c104HalfEEESt5tupleIJNSA_6TensorESH_SH_EERKSH_lbbbEUlllE_EE10hipError_tT0_T1_T2_jT3_P12ihipStream_tbPNSt15iterator_traitsISN_E10value_typeEPNST_ISO_E10value_typeEPSP_NS1_7vsmem_tEENKUlT_SN_SO_SP_E_clIS8_S8_S9_S9_EESM_S12_SN_SO_SP_EUlS12_E_NS1_11comp_targetILNS1_3genE9ELNS1_11target_archE1100ELNS1_3gpuE3ELNS1_3repE0EEENS1_48merge_mergepath_partition_config_static_selectorELNS0_4arch9wavefront6targetE1EEEvSO_.kd
    .uniform_work_group_size: 1
    .uses_dynamic_stack: false
    .vgpr_count:     0
    .vgpr_spill_count: 0
    .wavefront_size: 64
  - .agpr_count:     0
    .args:
      - .offset:         0
        .size:           56
        .value_kind:     by_value
    .group_segment_fixed_size: 0
    .kernarg_segment_align: 8
    .kernarg_segment_size: 56
    .language:       OpenCL C
    .language_version:
      - 2
      - 0
    .max_flat_workgroup_size: 128
    .name:           _ZN7rocprim17ROCPRIM_400000_NS6detail17trampoline_kernelINS0_14default_configENS1_38merge_sort_block_merge_config_selectorIlNS0_10empty_typeEEEZZNS1_27merge_sort_block_merge_implIS3_PlPS5_mZN2at6native12_GLOBAL__N_124unique_dim_cuda_templateIN3c104HalfEEESt5tupleIJNSA_6TensorESH_SH_EERKSH_lbbbEUlllE_EE10hipError_tT0_T1_T2_jT3_P12ihipStream_tbPNSt15iterator_traitsISN_E10value_typeEPNST_ISO_E10value_typeEPSP_NS1_7vsmem_tEENKUlT_SN_SO_SP_E_clIS8_S8_S9_S9_EESM_S12_SN_SO_SP_EUlS12_E_NS1_11comp_targetILNS1_3genE8ELNS1_11target_archE1030ELNS1_3gpuE2ELNS1_3repE0EEENS1_48merge_mergepath_partition_config_static_selectorELNS0_4arch9wavefront6targetE1EEEvSO_
    .private_segment_fixed_size: 0
    .sgpr_count:     4
    .sgpr_spill_count: 0
    .symbol:         _ZN7rocprim17ROCPRIM_400000_NS6detail17trampoline_kernelINS0_14default_configENS1_38merge_sort_block_merge_config_selectorIlNS0_10empty_typeEEEZZNS1_27merge_sort_block_merge_implIS3_PlPS5_mZN2at6native12_GLOBAL__N_124unique_dim_cuda_templateIN3c104HalfEEESt5tupleIJNSA_6TensorESH_SH_EERKSH_lbbbEUlllE_EE10hipError_tT0_T1_T2_jT3_P12ihipStream_tbPNSt15iterator_traitsISN_E10value_typeEPNST_ISO_E10value_typeEPSP_NS1_7vsmem_tEENKUlT_SN_SO_SP_E_clIS8_S8_S9_S9_EESM_S12_SN_SO_SP_EUlS12_E_NS1_11comp_targetILNS1_3genE8ELNS1_11target_archE1030ELNS1_3gpuE2ELNS1_3repE0EEENS1_48merge_mergepath_partition_config_static_selectorELNS0_4arch9wavefront6targetE1EEEvSO_.kd
    .uniform_work_group_size: 1
    .uses_dynamic_stack: false
    .vgpr_count:     0
    .vgpr_spill_count: 0
    .wavefront_size: 64
  - .agpr_count:     0
    .args:
      - .offset:         0
        .size:           88
        .value_kind:     by_value
    .group_segment_fixed_size: 0
    .kernarg_segment_align: 8
    .kernarg_segment_size: 88
    .language:       OpenCL C
    .language_version:
      - 2
      - 0
    .max_flat_workgroup_size: 128
    .name:           _ZN7rocprim17ROCPRIM_400000_NS6detail17trampoline_kernelINS0_14default_configENS1_38merge_sort_block_merge_config_selectorIlNS0_10empty_typeEEEZZNS1_27merge_sort_block_merge_implIS3_PlPS5_mZN2at6native12_GLOBAL__N_124unique_dim_cuda_templateIN3c104HalfEEESt5tupleIJNSA_6TensorESH_SH_EERKSH_lbbbEUlllE_EE10hipError_tT0_T1_T2_jT3_P12ihipStream_tbPNSt15iterator_traitsISN_E10value_typeEPNST_ISO_E10value_typeEPSP_NS1_7vsmem_tEENKUlT_SN_SO_SP_E_clIS8_S8_S9_S9_EESM_S12_SN_SO_SP_EUlS12_E0_NS1_11comp_targetILNS1_3genE0ELNS1_11target_archE4294967295ELNS1_3gpuE0ELNS1_3repE0EEENS1_38merge_mergepath_config_static_selectorELNS0_4arch9wavefront6targetE1EEEvSO_
    .private_segment_fixed_size: 0
    .sgpr_count:     4
    .sgpr_spill_count: 0
    .symbol:         _ZN7rocprim17ROCPRIM_400000_NS6detail17trampoline_kernelINS0_14default_configENS1_38merge_sort_block_merge_config_selectorIlNS0_10empty_typeEEEZZNS1_27merge_sort_block_merge_implIS3_PlPS5_mZN2at6native12_GLOBAL__N_124unique_dim_cuda_templateIN3c104HalfEEESt5tupleIJNSA_6TensorESH_SH_EERKSH_lbbbEUlllE_EE10hipError_tT0_T1_T2_jT3_P12ihipStream_tbPNSt15iterator_traitsISN_E10value_typeEPNST_ISO_E10value_typeEPSP_NS1_7vsmem_tEENKUlT_SN_SO_SP_E_clIS8_S8_S9_S9_EESM_S12_SN_SO_SP_EUlS12_E0_NS1_11comp_targetILNS1_3genE0ELNS1_11target_archE4294967295ELNS1_3gpuE0ELNS1_3repE0EEENS1_38merge_mergepath_config_static_selectorELNS0_4arch9wavefront6targetE1EEEvSO_.kd
    .uniform_work_group_size: 1
    .uses_dynamic_stack: false
    .vgpr_count:     0
    .vgpr_spill_count: 0
    .wavefront_size: 64
  - .agpr_count:     0
    .args:
      - .offset:         0
        .size:           88
        .value_kind:     by_value
    .group_segment_fixed_size: 0
    .kernarg_segment_align: 8
    .kernarg_segment_size: 88
    .language:       OpenCL C
    .language_version:
      - 2
      - 0
    .max_flat_workgroup_size: 512
    .name:           _ZN7rocprim17ROCPRIM_400000_NS6detail17trampoline_kernelINS0_14default_configENS1_38merge_sort_block_merge_config_selectorIlNS0_10empty_typeEEEZZNS1_27merge_sort_block_merge_implIS3_PlPS5_mZN2at6native12_GLOBAL__N_124unique_dim_cuda_templateIN3c104HalfEEESt5tupleIJNSA_6TensorESH_SH_EERKSH_lbbbEUlllE_EE10hipError_tT0_T1_T2_jT3_P12ihipStream_tbPNSt15iterator_traitsISN_E10value_typeEPNST_ISO_E10value_typeEPSP_NS1_7vsmem_tEENKUlT_SN_SO_SP_E_clIS8_S8_S9_S9_EESM_S12_SN_SO_SP_EUlS12_E0_NS1_11comp_targetILNS1_3genE10ELNS1_11target_archE1201ELNS1_3gpuE5ELNS1_3repE0EEENS1_38merge_mergepath_config_static_selectorELNS0_4arch9wavefront6targetE1EEEvSO_
    .private_segment_fixed_size: 0
    .sgpr_count:     4
    .sgpr_spill_count: 0
    .symbol:         _ZN7rocprim17ROCPRIM_400000_NS6detail17trampoline_kernelINS0_14default_configENS1_38merge_sort_block_merge_config_selectorIlNS0_10empty_typeEEEZZNS1_27merge_sort_block_merge_implIS3_PlPS5_mZN2at6native12_GLOBAL__N_124unique_dim_cuda_templateIN3c104HalfEEESt5tupleIJNSA_6TensorESH_SH_EERKSH_lbbbEUlllE_EE10hipError_tT0_T1_T2_jT3_P12ihipStream_tbPNSt15iterator_traitsISN_E10value_typeEPNST_ISO_E10value_typeEPSP_NS1_7vsmem_tEENKUlT_SN_SO_SP_E_clIS8_S8_S9_S9_EESM_S12_SN_SO_SP_EUlS12_E0_NS1_11comp_targetILNS1_3genE10ELNS1_11target_archE1201ELNS1_3gpuE5ELNS1_3repE0EEENS1_38merge_mergepath_config_static_selectorELNS0_4arch9wavefront6targetE1EEEvSO_.kd
    .uniform_work_group_size: 1
    .uses_dynamic_stack: false
    .vgpr_count:     0
    .vgpr_spill_count: 0
    .wavefront_size: 64
  - .agpr_count:     0
    .args:
      - .offset:         0
        .size:           88
        .value_kind:     by_value
    .group_segment_fixed_size: 0
    .kernarg_segment_align: 8
    .kernarg_segment_size: 88
    .language:       OpenCL C
    .language_version:
      - 2
      - 0
    .max_flat_workgroup_size: 128
    .name:           _ZN7rocprim17ROCPRIM_400000_NS6detail17trampoline_kernelINS0_14default_configENS1_38merge_sort_block_merge_config_selectorIlNS0_10empty_typeEEEZZNS1_27merge_sort_block_merge_implIS3_PlPS5_mZN2at6native12_GLOBAL__N_124unique_dim_cuda_templateIN3c104HalfEEESt5tupleIJNSA_6TensorESH_SH_EERKSH_lbbbEUlllE_EE10hipError_tT0_T1_T2_jT3_P12ihipStream_tbPNSt15iterator_traitsISN_E10value_typeEPNST_ISO_E10value_typeEPSP_NS1_7vsmem_tEENKUlT_SN_SO_SP_E_clIS8_S8_S9_S9_EESM_S12_SN_SO_SP_EUlS12_E0_NS1_11comp_targetILNS1_3genE5ELNS1_11target_archE942ELNS1_3gpuE9ELNS1_3repE0EEENS1_38merge_mergepath_config_static_selectorELNS0_4arch9wavefront6targetE1EEEvSO_
    .private_segment_fixed_size: 0
    .sgpr_count:     4
    .sgpr_spill_count: 0
    .symbol:         _ZN7rocprim17ROCPRIM_400000_NS6detail17trampoline_kernelINS0_14default_configENS1_38merge_sort_block_merge_config_selectorIlNS0_10empty_typeEEEZZNS1_27merge_sort_block_merge_implIS3_PlPS5_mZN2at6native12_GLOBAL__N_124unique_dim_cuda_templateIN3c104HalfEEESt5tupleIJNSA_6TensorESH_SH_EERKSH_lbbbEUlllE_EE10hipError_tT0_T1_T2_jT3_P12ihipStream_tbPNSt15iterator_traitsISN_E10value_typeEPNST_ISO_E10value_typeEPSP_NS1_7vsmem_tEENKUlT_SN_SO_SP_E_clIS8_S8_S9_S9_EESM_S12_SN_SO_SP_EUlS12_E0_NS1_11comp_targetILNS1_3genE5ELNS1_11target_archE942ELNS1_3gpuE9ELNS1_3repE0EEENS1_38merge_mergepath_config_static_selectorELNS0_4arch9wavefront6targetE1EEEvSO_.kd
    .uniform_work_group_size: 1
    .uses_dynamic_stack: false
    .vgpr_count:     0
    .vgpr_spill_count: 0
    .wavefront_size: 64
  - .agpr_count:     0
    .args:
      - .offset:         0
        .size:           88
        .value_kind:     by_value
      - .offset:         88
        .size:           4
        .value_kind:     hidden_block_count_x
      - .offset:         92
        .size:           4
        .value_kind:     hidden_block_count_y
      - .offset:         96
        .size:           4
        .value_kind:     hidden_block_count_z
      - .offset:         100
        .size:           2
        .value_kind:     hidden_group_size_x
      - .offset:         102
        .size:           2
        .value_kind:     hidden_group_size_y
      - .offset:         104
        .size:           2
        .value_kind:     hidden_group_size_z
      - .offset:         106
        .size:           2
        .value_kind:     hidden_remainder_x
      - .offset:         108
        .size:           2
        .value_kind:     hidden_remainder_y
      - .offset:         110
        .size:           2
        .value_kind:     hidden_remainder_z
      - .offset:         128
        .size:           8
        .value_kind:     hidden_global_offset_x
      - .offset:         136
        .size:           8
        .value_kind:     hidden_global_offset_y
      - .offset:         144
        .size:           8
        .value_kind:     hidden_global_offset_z
      - .offset:         152
        .size:           2
        .value_kind:     hidden_grid_dims
    .group_segment_fixed_size: 8448
    .kernarg_segment_align: 8
    .kernarg_segment_size: 344
    .language:       OpenCL C
    .language_version:
      - 2
      - 0
    .max_flat_workgroup_size: 256
    .name:           _ZN7rocprim17ROCPRIM_400000_NS6detail17trampoline_kernelINS0_14default_configENS1_38merge_sort_block_merge_config_selectorIlNS0_10empty_typeEEEZZNS1_27merge_sort_block_merge_implIS3_PlPS5_mZN2at6native12_GLOBAL__N_124unique_dim_cuda_templateIN3c104HalfEEESt5tupleIJNSA_6TensorESH_SH_EERKSH_lbbbEUlllE_EE10hipError_tT0_T1_T2_jT3_P12ihipStream_tbPNSt15iterator_traitsISN_E10value_typeEPNST_ISO_E10value_typeEPSP_NS1_7vsmem_tEENKUlT_SN_SO_SP_E_clIS8_S8_S9_S9_EESM_S12_SN_SO_SP_EUlS12_E0_NS1_11comp_targetILNS1_3genE4ELNS1_11target_archE910ELNS1_3gpuE8ELNS1_3repE0EEENS1_38merge_mergepath_config_static_selectorELNS0_4arch9wavefront6targetE1EEEvSO_
    .private_segment_fixed_size: 0
    .sgpr_count:     50
    .sgpr_spill_count: 0
    .symbol:         _ZN7rocprim17ROCPRIM_400000_NS6detail17trampoline_kernelINS0_14default_configENS1_38merge_sort_block_merge_config_selectorIlNS0_10empty_typeEEEZZNS1_27merge_sort_block_merge_implIS3_PlPS5_mZN2at6native12_GLOBAL__N_124unique_dim_cuda_templateIN3c104HalfEEESt5tupleIJNSA_6TensorESH_SH_EERKSH_lbbbEUlllE_EE10hipError_tT0_T1_T2_jT3_P12ihipStream_tbPNSt15iterator_traitsISN_E10value_typeEPNST_ISO_E10value_typeEPSP_NS1_7vsmem_tEENKUlT_SN_SO_SP_E_clIS8_S8_S9_S9_EESM_S12_SN_SO_SP_EUlS12_E0_NS1_11comp_targetILNS1_3genE4ELNS1_11target_archE910ELNS1_3gpuE8ELNS1_3repE0EEENS1_38merge_mergepath_config_static_selectorELNS0_4arch9wavefront6targetE1EEEvSO_.kd
    .uniform_work_group_size: 1
    .uses_dynamic_stack: false
    .vgpr_count:     25
    .vgpr_spill_count: 0
    .wavefront_size: 64
  - .agpr_count:     0
    .args:
      - .offset:         0
        .size:           88
        .value_kind:     by_value
    .group_segment_fixed_size: 0
    .kernarg_segment_align: 8
    .kernarg_segment_size: 88
    .language:       OpenCL C
    .language_version:
      - 2
      - 0
    .max_flat_workgroup_size: 128
    .name:           _ZN7rocprim17ROCPRIM_400000_NS6detail17trampoline_kernelINS0_14default_configENS1_38merge_sort_block_merge_config_selectorIlNS0_10empty_typeEEEZZNS1_27merge_sort_block_merge_implIS3_PlPS5_mZN2at6native12_GLOBAL__N_124unique_dim_cuda_templateIN3c104HalfEEESt5tupleIJNSA_6TensorESH_SH_EERKSH_lbbbEUlllE_EE10hipError_tT0_T1_T2_jT3_P12ihipStream_tbPNSt15iterator_traitsISN_E10value_typeEPNST_ISO_E10value_typeEPSP_NS1_7vsmem_tEENKUlT_SN_SO_SP_E_clIS8_S8_S9_S9_EESM_S12_SN_SO_SP_EUlS12_E0_NS1_11comp_targetILNS1_3genE3ELNS1_11target_archE908ELNS1_3gpuE7ELNS1_3repE0EEENS1_38merge_mergepath_config_static_selectorELNS0_4arch9wavefront6targetE1EEEvSO_
    .private_segment_fixed_size: 0
    .sgpr_count:     4
    .sgpr_spill_count: 0
    .symbol:         _ZN7rocprim17ROCPRIM_400000_NS6detail17trampoline_kernelINS0_14default_configENS1_38merge_sort_block_merge_config_selectorIlNS0_10empty_typeEEEZZNS1_27merge_sort_block_merge_implIS3_PlPS5_mZN2at6native12_GLOBAL__N_124unique_dim_cuda_templateIN3c104HalfEEESt5tupleIJNSA_6TensorESH_SH_EERKSH_lbbbEUlllE_EE10hipError_tT0_T1_T2_jT3_P12ihipStream_tbPNSt15iterator_traitsISN_E10value_typeEPNST_ISO_E10value_typeEPSP_NS1_7vsmem_tEENKUlT_SN_SO_SP_E_clIS8_S8_S9_S9_EESM_S12_SN_SO_SP_EUlS12_E0_NS1_11comp_targetILNS1_3genE3ELNS1_11target_archE908ELNS1_3gpuE7ELNS1_3repE0EEENS1_38merge_mergepath_config_static_selectorELNS0_4arch9wavefront6targetE1EEEvSO_.kd
    .uniform_work_group_size: 1
    .uses_dynamic_stack: false
    .vgpr_count:     0
    .vgpr_spill_count: 0
    .wavefront_size: 64
  - .agpr_count:     0
    .args:
      - .offset:         0
        .size:           88
        .value_kind:     by_value
    .group_segment_fixed_size: 0
    .kernarg_segment_align: 8
    .kernarg_segment_size: 88
    .language:       OpenCL C
    .language_version:
      - 2
      - 0
    .max_flat_workgroup_size: 256
    .name:           _ZN7rocprim17ROCPRIM_400000_NS6detail17trampoline_kernelINS0_14default_configENS1_38merge_sort_block_merge_config_selectorIlNS0_10empty_typeEEEZZNS1_27merge_sort_block_merge_implIS3_PlPS5_mZN2at6native12_GLOBAL__N_124unique_dim_cuda_templateIN3c104HalfEEESt5tupleIJNSA_6TensorESH_SH_EERKSH_lbbbEUlllE_EE10hipError_tT0_T1_T2_jT3_P12ihipStream_tbPNSt15iterator_traitsISN_E10value_typeEPNST_ISO_E10value_typeEPSP_NS1_7vsmem_tEENKUlT_SN_SO_SP_E_clIS8_S8_S9_S9_EESM_S12_SN_SO_SP_EUlS12_E0_NS1_11comp_targetILNS1_3genE2ELNS1_11target_archE906ELNS1_3gpuE6ELNS1_3repE0EEENS1_38merge_mergepath_config_static_selectorELNS0_4arch9wavefront6targetE1EEEvSO_
    .private_segment_fixed_size: 0
    .sgpr_count:     4
    .sgpr_spill_count: 0
    .symbol:         _ZN7rocprim17ROCPRIM_400000_NS6detail17trampoline_kernelINS0_14default_configENS1_38merge_sort_block_merge_config_selectorIlNS0_10empty_typeEEEZZNS1_27merge_sort_block_merge_implIS3_PlPS5_mZN2at6native12_GLOBAL__N_124unique_dim_cuda_templateIN3c104HalfEEESt5tupleIJNSA_6TensorESH_SH_EERKSH_lbbbEUlllE_EE10hipError_tT0_T1_T2_jT3_P12ihipStream_tbPNSt15iterator_traitsISN_E10value_typeEPNST_ISO_E10value_typeEPSP_NS1_7vsmem_tEENKUlT_SN_SO_SP_E_clIS8_S8_S9_S9_EESM_S12_SN_SO_SP_EUlS12_E0_NS1_11comp_targetILNS1_3genE2ELNS1_11target_archE906ELNS1_3gpuE6ELNS1_3repE0EEENS1_38merge_mergepath_config_static_selectorELNS0_4arch9wavefront6targetE1EEEvSO_.kd
    .uniform_work_group_size: 1
    .uses_dynamic_stack: false
    .vgpr_count:     0
    .vgpr_spill_count: 0
    .wavefront_size: 64
  - .agpr_count:     0
    .args:
      - .offset:         0
        .size:           88
        .value_kind:     by_value
    .group_segment_fixed_size: 0
    .kernarg_segment_align: 8
    .kernarg_segment_size: 88
    .language:       OpenCL C
    .language_version:
      - 2
      - 0
    .max_flat_workgroup_size: 512
    .name:           _ZN7rocprim17ROCPRIM_400000_NS6detail17trampoline_kernelINS0_14default_configENS1_38merge_sort_block_merge_config_selectorIlNS0_10empty_typeEEEZZNS1_27merge_sort_block_merge_implIS3_PlPS5_mZN2at6native12_GLOBAL__N_124unique_dim_cuda_templateIN3c104HalfEEESt5tupleIJNSA_6TensorESH_SH_EERKSH_lbbbEUlllE_EE10hipError_tT0_T1_T2_jT3_P12ihipStream_tbPNSt15iterator_traitsISN_E10value_typeEPNST_ISO_E10value_typeEPSP_NS1_7vsmem_tEENKUlT_SN_SO_SP_E_clIS8_S8_S9_S9_EESM_S12_SN_SO_SP_EUlS12_E0_NS1_11comp_targetILNS1_3genE9ELNS1_11target_archE1100ELNS1_3gpuE3ELNS1_3repE0EEENS1_38merge_mergepath_config_static_selectorELNS0_4arch9wavefront6targetE1EEEvSO_
    .private_segment_fixed_size: 0
    .sgpr_count:     4
    .sgpr_spill_count: 0
    .symbol:         _ZN7rocprim17ROCPRIM_400000_NS6detail17trampoline_kernelINS0_14default_configENS1_38merge_sort_block_merge_config_selectorIlNS0_10empty_typeEEEZZNS1_27merge_sort_block_merge_implIS3_PlPS5_mZN2at6native12_GLOBAL__N_124unique_dim_cuda_templateIN3c104HalfEEESt5tupleIJNSA_6TensorESH_SH_EERKSH_lbbbEUlllE_EE10hipError_tT0_T1_T2_jT3_P12ihipStream_tbPNSt15iterator_traitsISN_E10value_typeEPNST_ISO_E10value_typeEPSP_NS1_7vsmem_tEENKUlT_SN_SO_SP_E_clIS8_S8_S9_S9_EESM_S12_SN_SO_SP_EUlS12_E0_NS1_11comp_targetILNS1_3genE9ELNS1_11target_archE1100ELNS1_3gpuE3ELNS1_3repE0EEENS1_38merge_mergepath_config_static_selectorELNS0_4arch9wavefront6targetE1EEEvSO_.kd
    .uniform_work_group_size: 1
    .uses_dynamic_stack: false
    .vgpr_count:     0
    .vgpr_spill_count: 0
    .wavefront_size: 64
  - .agpr_count:     0
    .args:
      - .offset:         0
        .size:           88
        .value_kind:     by_value
    .group_segment_fixed_size: 0
    .kernarg_segment_align: 8
    .kernarg_segment_size: 88
    .language:       OpenCL C
    .language_version:
      - 2
      - 0
    .max_flat_workgroup_size: 1024
    .name:           _ZN7rocprim17ROCPRIM_400000_NS6detail17trampoline_kernelINS0_14default_configENS1_38merge_sort_block_merge_config_selectorIlNS0_10empty_typeEEEZZNS1_27merge_sort_block_merge_implIS3_PlPS5_mZN2at6native12_GLOBAL__N_124unique_dim_cuda_templateIN3c104HalfEEESt5tupleIJNSA_6TensorESH_SH_EERKSH_lbbbEUlllE_EE10hipError_tT0_T1_T2_jT3_P12ihipStream_tbPNSt15iterator_traitsISN_E10value_typeEPNST_ISO_E10value_typeEPSP_NS1_7vsmem_tEENKUlT_SN_SO_SP_E_clIS8_S8_S9_S9_EESM_S12_SN_SO_SP_EUlS12_E0_NS1_11comp_targetILNS1_3genE8ELNS1_11target_archE1030ELNS1_3gpuE2ELNS1_3repE0EEENS1_38merge_mergepath_config_static_selectorELNS0_4arch9wavefront6targetE1EEEvSO_
    .private_segment_fixed_size: 0
    .sgpr_count:     4
    .sgpr_spill_count: 0
    .symbol:         _ZN7rocprim17ROCPRIM_400000_NS6detail17trampoline_kernelINS0_14default_configENS1_38merge_sort_block_merge_config_selectorIlNS0_10empty_typeEEEZZNS1_27merge_sort_block_merge_implIS3_PlPS5_mZN2at6native12_GLOBAL__N_124unique_dim_cuda_templateIN3c104HalfEEESt5tupleIJNSA_6TensorESH_SH_EERKSH_lbbbEUlllE_EE10hipError_tT0_T1_T2_jT3_P12ihipStream_tbPNSt15iterator_traitsISN_E10value_typeEPNST_ISO_E10value_typeEPSP_NS1_7vsmem_tEENKUlT_SN_SO_SP_E_clIS8_S8_S9_S9_EESM_S12_SN_SO_SP_EUlS12_E0_NS1_11comp_targetILNS1_3genE8ELNS1_11target_archE1030ELNS1_3gpuE2ELNS1_3repE0EEENS1_38merge_mergepath_config_static_selectorELNS0_4arch9wavefront6targetE1EEEvSO_.kd
    .uniform_work_group_size: 1
    .uses_dynamic_stack: false
    .vgpr_count:     0
    .vgpr_spill_count: 0
    .wavefront_size: 64
  - .agpr_count:     0
    .args:
      - .offset:         0
        .size:           64
        .value_kind:     by_value
    .group_segment_fixed_size: 0
    .kernarg_segment_align: 8
    .kernarg_segment_size: 64
    .language:       OpenCL C
    .language_version:
      - 2
      - 0
    .max_flat_workgroup_size: 256
    .name:           _ZN7rocprim17ROCPRIM_400000_NS6detail17trampoline_kernelINS0_14default_configENS1_38merge_sort_block_merge_config_selectorIlNS0_10empty_typeEEEZZNS1_27merge_sort_block_merge_implIS3_PlPS5_mZN2at6native12_GLOBAL__N_124unique_dim_cuda_templateIN3c104HalfEEESt5tupleIJNSA_6TensorESH_SH_EERKSH_lbbbEUlllE_EE10hipError_tT0_T1_T2_jT3_P12ihipStream_tbPNSt15iterator_traitsISN_E10value_typeEPNST_ISO_E10value_typeEPSP_NS1_7vsmem_tEENKUlT_SN_SO_SP_E_clIS8_S8_S9_S9_EESM_S12_SN_SO_SP_EUlS12_E1_NS1_11comp_targetILNS1_3genE0ELNS1_11target_archE4294967295ELNS1_3gpuE0ELNS1_3repE0EEENS1_36merge_oddeven_config_static_selectorELNS0_4arch9wavefront6targetE1EEEvSO_
    .private_segment_fixed_size: 0
    .sgpr_count:     4
    .sgpr_spill_count: 0
    .symbol:         _ZN7rocprim17ROCPRIM_400000_NS6detail17trampoline_kernelINS0_14default_configENS1_38merge_sort_block_merge_config_selectorIlNS0_10empty_typeEEEZZNS1_27merge_sort_block_merge_implIS3_PlPS5_mZN2at6native12_GLOBAL__N_124unique_dim_cuda_templateIN3c104HalfEEESt5tupleIJNSA_6TensorESH_SH_EERKSH_lbbbEUlllE_EE10hipError_tT0_T1_T2_jT3_P12ihipStream_tbPNSt15iterator_traitsISN_E10value_typeEPNST_ISO_E10value_typeEPSP_NS1_7vsmem_tEENKUlT_SN_SO_SP_E_clIS8_S8_S9_S9_EESM_S12_SN_SO_SP_EUlS12_E1_NS1_11comp_targetILNS1_3genE0ELNS1_11target_archE4294967295ELNS1_3gpuE0ELNS1_3repE0EEENS1_36merge_oddeven_config_static_selectorELNS0_4arch9wavefront6targetE1EEEvSO_.kd
    .uniform_work_group_size: 1
    .uses_dynamic_stack: false
    .vgpr_count:     0
    .vgpr_spill_count: 0
    .wavefront_size: 64
  - .agpr_count:     0
    .args:
      - .offset:         0
        .size:           64
        .value_kind:     by_value
    .group_segment_fixed_size: 0
    .kernarg_segment_align: 8
    .kernarg_segment_size: 64
    .language:       OpenCL C
    .language_version:
      - 2
      - 0
    .max_flat_workgroup_size: 256
    .name:           _ZN7rocprim17ROCPRIM_400000_NS6detail17trampoline_kernelINS0_14default_configENS1_38merge_sort_block_merge_config_selectorIlNS0_10empty_typeEEEZZNS1_27merge_sort_block_merge_implIS3_PlPS5_mZN2at6native12_GLOBAL__N_124unique_dim_cuda_templateIN3c104HalfEEESt5tupleIJNSA_6TensorESH_SH_EERKSH_lbbbEUlllE_EE10hipError_tT0_T1_T2_jT3_P12ihipStream_tbPNSt15iterator_traitsISN_E10value_typeEPNST_ISO_E10value_typeEPSP_NS1_7vsmem_tEENKUlT_SN_SO_SP_E_clIS8_S8_S9_S9_EESM_S12_SN_SO_SP_EUlS12_E1_NS1_11comp_targetILNS1_3genE10ELNS1_11target_archE1201ELNS1_3gpuE5ELNS1_3repE0EEENS1_36merge_oddeven_config_static_selectorELNS0_4arch9wavefront6targetE1EEEvSO_
    .private_segment_fixed_size: 0
    .sgpr_count:     4
    .sgpr_spill_count: 0
    .symbol:         _ZN7rocprim17ROCPRIM_400000_NS6detail17trampoline_kernelINS0_14default_configENS1_38merge_sort_block_merge_config_selectorIlNS0_10empty_typeEEEZZNS1_27merge_sort_block_merge_implIS3_PlPS5_mZN2at6native12_GLOBAL__N_124unique_dim_cuda_templateIN3c104HalfEEESt5tupleIJNSA_6TensorESH_SH_EERKSH_lbbbEUlllE_EE10hipError_tT0_T1_T2_jT3_P12ihipStream_tbPNSt15iterator_traitsISN_E10value_typeEPNST_ISO_E10value_typeEPSP_NS1_7vsmem_tEENKUlT_SN_SO_SP_E_clIS8_S8_S9_S9_EESM_S12_SN_SO_SP_EUlS12_E1_NS1_11comp_targetILNS1_3genE10ELNS1_11target_archE1201ELNS1_3gpuE5ELNS1_3repE0EEENS1_36merge_oddeven_config_static_selectorELNS0_4arch9wavefront6targetE1EEEvSO_.kd
    .uniform_work_group_size: 1
    .uses_dynamic_stack: false
    .vgpr_count:     0
    .vgpr_spill_count: 0
    .wavefront_size: 64
  - .agpr_count:     0
    .args:
      - .offset:         0
        .size:           64
        .value_kind:     by_value
    .group_segment_fixed_size: 0
    .kernarg_segment_align: 8
    .kernarg_segment_size: 64
    .language:       OpenCL C
    .language_version:
      - 2
      - 0
    .max_flat_workgroup_size: 256
    .name:           _ZN7rocprim17ROCPRIM_400000_NS6detail17trampoline_kernelINS0_14default_configENS1_38merge_sort_block_merge_config_selectorIlNS0_10empty_typeEEEZZNS1_27merge_sort_block_merge_implIS3_PlPS5_mZN2at6native12_GLOBAL__N_124unique_dim_cuda_templateIN3c104HalfEEESt5tupleIJNSA_6TensorESH_SH_EERKSH_lbbbEUlllE_EE10hipError_tT0_T1_T2_jT3_P12ihipStream_tbPNSt15iterator_traitsISN_E10value_typeEPNST_ISO_E10value_typeEPSP_NS1_7vsmem_tEENKUlT_SN_SO_SP_E_clIS8_S8_S9_S9_EESM_S12_SN_SO_SP_EUlS12_E1_NS1_11comp_targetILNS1_3genE5ELNS1_11target_archE942ELNS1_3gpuE9ELNS1_3repE0EEENS1_36merge_oddeven_config_static_selectorELNS0_4arch9wavefront6targetE1EEEvSO_
    .private_segment_fixed_size: 0
    .sgpr_count:     4
    .sgpr_spill_count: 0
    .symbol:         _ZN7rocprim17ROCPRIM_400000_NS6detail17trampoline_kernelINS0_14default_configENS1_38merge_sort_block_merge_config_selectorIlNS0_10empty_typeEEEZZNS1_27merge_sort_block_merge_implIS3_PlPS5_mZN2at6native12_GLOBAL__N_124unique_dim_cuda_templateIN3c104HalfEEESt5tupleIJNSA_6TensorESH_SH_EERKSH_lbbbEUlllE_EE10hipError_tT0_T1_T2_jT3_P12ihipStream_tbPNSt15iterator_traitsISN_E10value_typeEPNST_ISO_E10value_typeEPSP_NS1_7vsmem_tEENKUlT_SN_SO_SP_E_clIS8_S8_S9_S9_EESM_S12_SN_SO_SP_EUlS12_E1_NS1_11comp_targetILNS1_3genE5ELNS1_11target_archE942ELNS1_3gpuE9ELNS1_3repE0EEENS1_36merge_oddeven_config_static_selectorELNS0_4arch9wavefront6targetE1EEEvSO_.kd
    .uniform_work_group_size: 1
    .uses_dynamic_stack: false
    .vgpr_count:     0
    .vgpr_spill_count: 0
    .wavefront_size: 64
  - .agpr_count:     0
    .args:
      - .offset:         0
        .size:           64
        .value_kind:     by_value
    .group_segment_fixed_size: 0
    .kernarg_segment_align: 8
    .kernarg_segment_size: 64
    .language:       OpenCL C
    .language_version:
      - 2
      - 0
    .max_flat_workgroup_size: 256
    .name:           _ZN7rocprim17ROCPRIM_400000_NS6detail17trampoline_kernelINS0_14default_configENS1_38merge_sort_block_merge_config_selectorIlNS0_10empty_typeEEEZZNS1_27merge_sort_block_merge_implIS3_PlPS5_mZN2at6native12_GLOBAL__N_124unique_dim_cuda_templateIN3c104HalfEEESt5tupleIJNSA_6TensorESH_SH_EERKSH_lbbbEUlllE_EE10hipError_tT0_T1_T2_jT3_P12ihipStream_tbPNSt15iterator_traitsISN_E10value_typeEPNST_ISO_E10value_typeEPSP_NS1_7vsmem_tEENKUlT_SN_SO_SP_E_clIS8_S8_S9_S9_EESM_S12_SN_SO_SP_EUlS12_E1_NS1_11comp_targetILNS1_3genE4ELNS1_11target_archE910ELNS1_3gpuE8ELNS1_3repE0EEENS1_36merge_oddeven_config_static_selectorELNS0_4arch9wavefront6targetE1EEEvSO_
    .private_segment_fixed_size: 0
    .sgpr_count:     48
    .sgpr_spill_count: 0
    .symbol:         _ZN7rocprim17ROCPRIM_400000_NS6detail17trampoline_kernelINS0_14default_configENS1_38merge_sort_block_merge_config_selectorIlNS0_10empty_typeEEEZZNS1_27merge_sort_block_merge_implIS3_PlPS5_mZN2at6native12_GLOBAL__N_124unique_dim_cuda_templateIN3c104HalfEEESt5tupleIJNSA_6TensorESH_SH_EERKSH_lbbbEUlllE_EE10hipError_tT0_T1_T2_jT3_P12ihipStream_tbPNSt15iterator_traitsISN_E10value_typeEPNST_ISO_E10value_typeEPSP_NS1_7vsmem_tEENKUlT_SN_SO_SP_E_clIS8_S8_S9_S9_EESM_S12_SN_SO_SP_EUlS12_E1_NS1_11comp_targetILNS1_3genE4ELNS1_11target_archE910ELNS1_3gpuE8ELNS1_3repE0EEENS1_36merge_oddeven_config_static_selectorELNS0_4arch9wavefront6targetE1EEEvSO_.kd
    .uniform_work_group_size: 1
    .uses_dynamic_stack: false
    .vgpr_count:     18
    .vgpr_spill_count: 0
    .wavefront_size: 64
  - .agpr_count:     0
    .args:
      - .offset:         0
        .size:           64
        .value_kind:     by_value
    .group_segment_fixed_size: 0
    .kernarg_segment_align: 8
    .kernarg_segment_size: 64
    .language:       OpenCL C
    .language_version:
      - 2
      - 0
    .max_flat_workgroup_size: 256
    .name:           _ZN7rocprim17ROCPRIM_400000_NS6detail17trampoline_kernelINS0_14default_configENS1_38merge_sort_block_merge_config_selectorIlNS0_10empty_typeEEEZZNS1_27merge_sort_block_merge_implIS3_PlPS5_mZN2at6native12_GLOBAL__N_124unique_dim_cuda_templateIN3c104HalfEEESt5tupleIJNSA_6TensorESH_SH_EERKSH_lbbbEUlllE_EE10hipError_tT0_T1_T2_jT3_P12ihipStream_tbPNSt15iterator_traitsISN_E10value_typeEPNST_ISO_E10value_typeEPSP_NS1_7vsmem_tEENKUlT_SN_SO_SP_E_clIS8_S8_S9_S9_EESM_S12_SN_SO_SP_EUlS12_E1_NS1_11comp_targetILNS1_3genE3ELNS1_11target_archE908ELNS1_3gpuE7ELNS1_3repE0EEENS1_36merge_oddeven_config_static_selectorELNS0_4arch9wavefront6targetE1EEEvSO_
    .private_segment_fixed_size: 0
    .sgpr_count:     4
    .sgpr_spill_count: 0
    .symbol:         _ZN7rocprim17ROCPRIM_400000_NS6detail17trampoline_kernelINS0_14default_configENS1_38merge_sort_block_merge_config_selectorIlNS0_10empty_typeEEEZZNS1_27merge_sort_block_merge_implIS3_PlPS5_mZN2at6native12_GLOBAL__N_124unique_dim_cuda_templateIN3c104HalfEEESt5tupleIJNSA_6TensorESH_SH_EERKSH_lbbbEUlllE_EE10hipError_tT0_T1_T2_jT3_P12ihipStream_tbPNSt15iterator_traitsISN_E10value_typeEPNST_ISO_E10value_typeEPSP_NS1_7vsmem_tEENKUlT_SN_SO_SP_E_clIS8_S8_S9_S9_EESM_S12_SN_SO_SP_EUlS12_E1_NS1_11comp_targetILNS1_3genE3ELNS1_11target_archE908ELNS1_3gpuE7ELNS1_3repE0EEENS1_36merge_oddeven_config_static_selectorELNS0_4arch9wavefront6targetE1EEEvSO_.kd
    .uniform_work_group_size: 1
    .uses_dynamic_stack: false
    .vgpr_count:     0
    .vgpr_spill_count: 0
    .wavefront_size: 64
  - .agpr_count:     0
    .args:
      - .offset:         0
        .size:           64
        .value_kind:     by_value
    .group_segment_fixed_size: 0
    .kernarg_segment_align: 8
    .kernarg_segment_size: 64
    .language:       OpenCL C
    .language_version:
      - 2
      - 0
    .max_flat_workgroup_size: 256
    .name:           _ZN7rocprim17ROCPRIM_400000_NS6detail17trampoline_kernelINS0_14default_configENS1_38merge_sort_block_merge_config_selectorIlNS0_10empty_typeEEEZZNS1_27merge_sort_block_merge_implIS3_PlPS5_mZN2at6native12_GLOBAL__N_124unique_dim_cuda_templateIN3c104HalfEEESt5tupleIJNSA_6TensorESH_SH_EERKSH_lbbbEUlllE_EE10hipError_tT0_T1_T2_jT3_P12ihipStream_tbPNSt15iterator_traitsISN_E10value_typeEPNST_ISO_E10value_typeEPSP_NS1_7vsmem_tEENKUlT_SN_SO_SP_E_clIS8_S8_S9_S9_EESM_S12_SN_SO_SP_EUlS12_E1_NS1_11comp_targetILNS1_3genE2ELNS1_11target_archE906ELNS1_3gpuE6ELNS1_3repE0EEENS1_36merge_oddeven_config_static_selectorELNS0_4arch9wavefront6targetE1EEEvSO_
    .private_segment_fixed_size: 0
    .sgpr_count:     4
    .sgpr_spill_count: 0
    .symbol:         _ZN7rocprim17ROCPRIM_400000_NS6detail17trampoline_kernelINS0_14default_configENS1_38merge_sort_block_merge_config_selectorIlNS0_10empty_typeEEEZZNS1_27merge_sort_block_merge_implIS3_PlPS5_mZN2at6native12_GLOBAL__N_124unique_dim_cuda_templateIN3c104HalfEEESt5tupleIJNSA_6TensorESH_SH_EERKSH_lbbbEUlllE_EE10hipError_tT0_T1_T2_jT3_P12ihipStream_tbPNSt15iterator_traitsISN_E10value_typeEPNST_ISO_E10value_typeEPSP_NS1_7vsmem_tEENKUlT_SN_SO_SP_E_clIS8_S8_S9_S9_EESM_S12_SN_SO_SP_EUlS12_E1_NS1_11comp_targetILNS1_3genE2ELNS1_11target_archE906ELNS1_3gpuE6ELNS1_3repE0EEENS1_36merge_oddeven_config_static_selectorELNS0_4arch9wavefront6targetE1EEEvSO_.kd
    .uniform_work_group_size: 1
    .uses_dynamic_stack: false
    .vgpr_count:     0
    .vgpr_spill_count: 0
    .wavefront_size: 64
  - .agpr_count:     0
    .args:
      - .offset:         0
        .size:           64
        .value_kind:     by_value
    .group_segment_fixed_size: 0
    .kernarg_segment_align: 8
    .kernarg_segment_size: 64
    .language:       OpenCL C
    .language_version:
      - 2
      - 0
    .max_flat_workgroup_size: 256
    .name:           _ZN7rocprim17ROCPRIM_400000_NS6detail17trampoline_kernelINS0_14default_configENS1_38merge_sort_block_merge_config_selectorIlNS0_10empty_typeEEEZZNS1_27merge_sort_block_merge_implIS3_PlPS5_mZN2at6native12_GLOBAL__N_124unique_dim_cuda_templateIN3c104HalfEEESt5tupleIJNSA_6TensorESH_SH_EERKSH_lbbbEUlllE_EE10hipError_tT0_T1_T2_jT3_P12ihipStream_tbPNSt15iterator_traitsISN_E10value_typeEPNST_ISO_E10value_typeEPSP_NS1_7vsmem_tEENKUlT_SN_SO_SP_E_clIS8_S8_S9_S9_EESM_S12_SN_SO_SP_EUlS12_E1_NS1_11comp_targetILNS1_3genE9ELNS1_11target_archE1100ELNS1_3gpuE3ELNS1_3repE0EEENS1_36merge_oddeven_config_static_selectorELNS0_4arch9wavefront6targetE1EEEvSO_
    .private_segment_fixed_size: 0
    .sgpr_count:     4
    .sgpr_spill_count: 0
    .symbol:         _ZN7rocprim17ROCPRIM_400000_NS6detail17trampoline_kernelINS0_14default_configENS1_38merge_sort_block_merge_config_selectorIlNS0_10empty_typeEEEZZNS1_27merge_sort_block_merge_implIS3_PlPS5_mZN2at6native12_GLOBAL__N_124unique_dim_cuda_templateIN3c104HalfEEESt5tupleIJNSA_6TensorESH_SH_EERKSH_lbbbEUlllE_EE10hipError_tT0_T1_T2_jT3_P12ihipStream_tbPNSt15iterator_traitsISN_E10value_typeEPNST_ISO_E10value_typeEPSP_NS1_7vsmem_tEENKUlT_SN_SO_SP_E_clIS8_S8_S9_S9_EESM_S12_SN_SO_SP_EUlS12_E1_NS1_11comp_targetILNS1_3genE9ELNS1_11target_archE1100ELNS1_3gpuE3ELNS1_3repE0EEENS1_36merge_oddeven_config_static_selectorELNS0_4arch9wavefront6targetE1EEEvSO_.kd
    .uniform_work_group_size: 1
    .uses_dynamic_stack: false
    .vgpr_count:     0
    .vgpr_spill_count: 0
    .wavefront_size: 64
  - .agpr_count:     0
    .args:
      - .offset:         0
        .size:           64
        .value_kind:     by_value
    .group_segment_fixed_size: 0
    .kernarg_segment_align: 8
    .kernarg_segment_size: 64
    .language:       OpenCL C
    .language_version:
      - 2
      - 0
    .max_flat_workgroup_size: 256
    .name:           _ZN7rocprim17ROCPRIM_400000_NS6detail17trampoline_kernelINS0_14default_configENS1_38merge_sort_block_merge_config_selectorIlNS0_10empty_typeEEEZZNS1_27merge_sort_block_merge_implIS3_PlPS5_mZN2at6native12_GLOBAL__N_124unique_dim_cuda_templateIN3c104HalfEEESt5tupleIJNSA_6TensorESH_SH_EERKSH_lbbbEUlllE_EE10hipError_tT0_T1_T2_jT3_P12ihipStream_tbPNSt15iterator_traitsISN_E10value_typeEPNST_ISO_E10value_typeEPSP_NS1_7vsmem_tEENKUlT_SN_SO_SP_E_clIS8_S8_S9_S9_EESM_S12_SN_SO_SP_EUlS12_E1_NS1_11comp_targetILNS1_3genE8ELNS1_11target_archE1030ELNS1_3gpuE2ELNS1_3repE0EEENS1_36merge_oddeven_config_static_selectorELNS0_4arch9wavefront6targetE1EEEvSO_
    .private_segment_fixed_size: 0
    .sgpr_count:     4
    .sgpr_spill_count: 0
    .symbol:         _ZN7rocprim17ROCPRIM_400000_NS6detail17trampoline_kernelINS0_14default_configENS1_38merge_sort_block_merge_config_selectorIlNS0_10empty_typeEEEZZNS1_27merge_sort_block_merge_implIS3_PlPS5_mZN2at6native12_GLOBAL__N_124unique_dim_cuda_templateIN3c104HalfEEESt5tupleIJNSA_6TensorESH_SH_EERKSH_lbbbEUlllE_EE10hipError_tT0_T1_T2_jT3_P12ihipStream_tbPNSt15iterator_traitsISN_E10value_typeEPNST_ISO_E10value_typeEPSP_NS1_7vsmem_tEENKUlT_SN_SO_SP_E_clIS8_S8_S9_S9_EESM_S12_SN_SO_SP_EUlS12_E1_NS1_11comp_targetILNS1_3genE8ELNS1_11target_archE1030ELNS1_3gpuE2ELNS1_3repE0EEENS1_36merge_oddeven_config_static_selectorELNS0_4arch9wavefront6targetE1EEEvSO_.kd
    .uniform_work_group_size: 1
    .uses_dynamic_stack: false
    .vgpr_count:     0
    .vgpr_spill_count: 0
    .wavefront_size: 64
  - .agpr_count:     0
    .args:
      - .offset:         0
        .size:           64
        .value_kind:     by_value
    .group_segment_fixed_size: 0
    .kernarg_segment_align: 8
    .kernarg_segment_size: 64
    .language:       OpenCL C
    .language_version:
      - 2
      - 0
    .max_flat_workgroup_size: 128
    .name:           _ZN7rocprim17ROCPRIM_400000_NS6detail17trampoline_kernelINS0_14default_configENS1_35adjacent_difference_config_selectorILb0ElEEZNS1_24adjacent_difference_implIS3_Lb0ELb0EPlS7_ZN2at6native12_GLOBAL__N_124unique_dim_cuda_templateIN3c104HalfEEESt5tupleIJNS8_6TensorESF_SF_EERKSF_lbbbEUlllE1_EE10hipError_tPvRmT2_T3_mT4_P12ihipStream_tbEUlT_E_NS1_11comp_targetILNS1_3genE0ELNS1_11target_archE4294967295ELNS1_3gpuE0ELNS1_3repE0EEENS1_30default_config_static_selectorELNS0_4arch9wavefront6targetE1EEEvT1_
    .private_segment_fixed_size: 0
    .sgpr_count:     4
    .sgpr_spill_count: 0
    .symbol:         _ZN7rocprim17ROCPRIM_400000_NS6detail17trampoline_kernelINS0_14default_configENS1_35adjacent_difference_config_selectorILb0ElEEZNS1_24adjacent_difference_implIS3_Lb0ELb0EPlS7_ZN2at6native12_GLOBAL__N_124unique_dim_cuda_templateIN3c104HalfEEESt5tupleIJNS8_6TensorESF_SF_EERKSF_lbbbEUlllE1_EE10hipError_tPvRmT2_T3_mT4_P12ihipStream_tbEUlT_E_NS1_11comp_targetILNS1_3genE0ELNS1_11target_archE4294967295ELNS1_3gpuE0ELNS1_3repE0EEENS1_30default_config_static_selectorELNS0_4arch9wavefront6targetE1EEEvT1_.kd
    .uniform_work_group_size: 1
    .uses_dynamic_stack: false
    .vgpr_count:     0
    .vgpr_spill_count: 0
    .wavefront_size: 64
  - .agpr_count:     0
    .args:
      - .offset:         0
        .size:           64
        .value_kind:     by_value
    .group_segment_fixed_size: 0
    .kernarg_segment_align: 8
    .kernarg_segment_size: 64
    .language:       OpenCL C
    .language_version:
      - 2
      - 0
    .max_flat_workgroup_size: 128
    .name:           _ZN7rocprim17ROCPRIM_400000_NS6detail17trampoline_kernelINS0_14default_configENS1_35adjacent_difference_config_selectorILb0ElEEZNS1_24adjacent_difference_implIS3_Lb0ELb0EPlS7_ZN2at6native12_GLOBAL__N_124unique_dim_cuda_templateIN3c104HalfEEESt5tupleIJNS8_6TensorESF_SF_EERKSF_lbbbEUlllE1_EE10hipError_tPvRmT2_T3_mT4_P12ihipStream_tbEUlT_E_NS1_11comp_targetILNS1_3genE10ELNS1_11target_archE1201ELNS1_3gpuE5ELNS1_3repE0EEENS1_30default_config_static_selectorELNS0_4arch9wavefront6targetE1EEEvT1_
    .private_segment_fixed_size: 0
    .sgpr_count:     4
    .sgpr_spill_count: 0
    .symbol:         _ZN7rocprim17ROCPRIM_400000_NS6detail17trampoline_kernelINS0_14default_configENS1_35adjacent_difference_config_selectorILb0ElEEZNS1_24adjacent_difference_implIS3_Lb0ELb0EPlS7_ZN2at6native12_GLOBAL__N_124unique_dim_cuda_templateIN3c104HalfEEESt5tupleIJNS8_6TensorESF_SF_EERKSF_lbbbEUlllE1_EE10hipError_tPvRmT2_T3_mT4_P12ihipStream_tbEUlT_E_NS1_11comp_targetILNS1_3genE10ELNS1_11target_archE1201ELNS1_3gpuE5ELNS1_3repE0EEENS1_30default_config_static_selectorELNS0_4arch9wavefront6targetE1EEEvT1_.kd
    .uniform_work_group_size: 1
    .uses_dynamic_stack: false
    .vgpr_count:     0
    .vgpr_spill_count: 0
    .wavefront_size: 64
  - .agpr_count:     0
    .args:
      - .offset:         0
        .size:           64
        .value_kind:     by_value
    .group_segment_fixed_size: 0
    .kernarg_segment_align: 8
    .kernarg_segment_size: 64
    .language:       OpenCL C
    .language_version:
      - 2
      - 0
    .max_flat_workgroup_size: 64
    .name:           _ZN7rocprim17ROCPRIM_400000_NS6detail17trampoline_kernelINS0_14default_configENS1_35adjacent_difference_config_selectorILb0ElEEZNS1_24adjacent_difference_implIS3_Lb0ELb0EPlS7_ZN2at6native12_GLOBAL__N_124unique_dim_cuda_templateIN3c104HalfEEESt5tupleIJNS8_6TensorESF_SF_EERKSF_lbbbEUlllE1_EE10hipError_tPvRmT2_T3_mT4_P12ihipStream_tbEUlT_E_NS1_11comp_targetILNS1_3genE5ELNS1_11target_archE942ELNS1_3gpuE9ELNS1_3repE0EEENS1_30default_config_static_selectorELNS0_4arch9wavefront6targetE1EEEvT1_
    .private_segment_fixed_size: 0
    .sgpr_count:     4
    .sgpr_spill_count: 0
    .symbol:         _ZN7rocprim17ROCPRIM_400000_NS6detail17trampoline_kernelINS0_14default_configENS1_35adjacent_difference_config_selectorILb0ElEEZNS1_24adjacent_difference_implIS3_Lb0ELb0EPlS7_ZN2at6native12_GLOBAL__N_124unique_dim_cuda_templateIN3c104HalfEEESt5tupleIJNS8_6TensorESF_SF_EERKSF_lbbbEUlllE1_EE10hipError_tPvRmT2_T3_mT4_P12ihipStream_tbEUlT_E_NS1_11comp_targetILNS1_3genE5ELNS1_11target_archE942ELNS1_3gpuE9ELNS1_3repE0EEENS1_30default_config_static_selectorELNS0_4arch9wavefront6targetE1EEEvT1_.kd
    .uniform_work_group_size: 1
    .uses_dynamic_stack: false
    .vgpr_count:     0
    .vgpr_spill_count: 0
    .wavefront_size: 64
  - .agpr_count:     0
    .args:
      - .offset:         0
        .size:           64
        .value_kind:     by_value
    .group_segment_fixed_size: 4224
    .kernarg_segment_align: 8
    .kernarg_segment_size: 64
    .language:       OpenCL C
    .language_version:
      - 2
      - 0
    .max_flat_workgroup_size: 256
    .name:           _ZN7rocprim17ROCPRIM_400000_NS6detail17trampoline_kernelINS0_14default_configENS1_35adjacent_difference_config_selectorILb0ElEEZNS1_24adjacent_difference_implIS3_Lb0ELb0EPlS7_ZN2at6native12_GLOBAL__N_124unique_dim_cuda_templateIN3c104HalfEEESt5tupleIJNS8_6TensorESF_SF_EERKSF_lbbbEUlllE1_EE10hipError_tPvRmT2_T3_mT4_P12ihipStream_tbEUlT_E_NS1_11comp_targetILNS1_3genE4ELNS1_11target_archE910ELNS1_3gpuE8ELNS1_3repE0EEENS1_30default_config_static_selectorELNS0_4arch9wavefront6targetE1EEEvT1_
    .private_segment_fixed_size: 0
    .sgpr_count:     42
    .sgpr_spill_count: 0
    .symbol:         _ZN7rocprim17ROCPRIM_400000_NS6detail17trampoline_kernelINS0_14default_configENS1_35adjacent_difference_config_selectorILb0ElEEZNS1_24adjacent_difference_implIS3_Lb0ELb0EPlS7_ZN2at6native12_GLOBAL__N_124unique_dim_cuda_templateIN3c104HalfEEESt5tupleIJNS8_6TensorESF_SF_EERKSF_lbbbEUlllE1_EE10hipError_tPvRmT2_T3_mT4_P12ihipStream_tbEUlT_E_NS1_11comp_targetILNS1_3genE4ELNS1_11target_archE910ELNS1_3gpuE8ELNS1_3repE0EEENS1_30default_config_static_selectorELNS0_4arch9wavefront6targetE1EEEvT1_.kd
    .uniform_work_group_size: 1
    .uses_dynamic_stack: false
    .vgpr_count:     17
    .vgpr_spill_count: 0
    .wavefront_size: 64
  - .agpr_count:     0
    .args:
      - .offset:         0
        .size:           64
        .value_kind:     by_value
    .group_segment_fixed_size: 0
    .kernarg_segment_align: 8
    .kernarg_segment_size: 64
    .language:       OpenCL C
    .language_version:
      - 2
      - 0
    .max_flat_workgroup_size: 128
    .name:           _ZN7rocprim17ROCPRIM_400000_NS6detail17trampoline_kernelINS0_14default_configENS1_35adjacent_difference_config_selectorILb0ElEEZNS1_24adjacent_difference_implIS3_Lb0ELb0EPlS7_ZN2at6native12_GLOBAL__N_124unique_dim_cuda_templateIN3c104HalfEEESt5tupleIJNS8_6TensorESF_SF_EERKSF_lbbbEUlllE1_EE10hipError_tPvRmT2_T3_mT4_P12ihipStream_tbEUlT_E_NS1_11comp_targetILNS1_3genE3ELNS1_11target_archE908ELNS1_3gpuE7ELNS1_3repE0EEENS1_30default_config_static_selectorELNS0_4arch9wavefront6targetE1EEEvT1_
    .private_segment_fixed_size: 0
    .sgpr_count:     4
    .sgpr_spill_count: 0
    .symbol:         _ZN7rocprim17ROCPRIM_400000_NS6detail17trampoline_kernelINS0_14default_configENS1_35adjacent_difference_config_selectorILb0ElEEZNS1_24adjacent_difference_implIS3_Lb0ELb0EPlS7_ZN2at6native12_GLOBAL__N_124unique_dim_cuda_templateIN3c104HalfEEESt5tupleIJNS8_6TensorESF_SF_EERKSF_lbbbEUlllE1_EE10hipError_tPvRmT2_T3_mT4_P12ihipStream_tbEUlT_E_NS1_11comp_targetILNS1_3genE3ELNS1_11target_archE908ELNS1_3gpuE7ELNS1_3repE0EEENS1_30default_config_static_selectorELNS0_4arch9wavefront6targetE1EEEvT1_.kd
    .uniform_work_group_size: 1
    .uses_dynamic_stack: false
    .vgpr_count:     0
    .vgpr_spill_count: 0
    .wavefront_size: 64
  - .agpr_count:     0
    .args:
      - .offset:         0
        .size:           64
        .value_kind:     by_value
    .group_segment_fixed_size: 0
    .kernarg_segment_align: 8
    .kernarg_segment_size: 64
    .language:       OpenCL C
    .language_version:
      - 2
      - 0
    .max_flat_workgroup_size: 128
    .name:           _ZN7rocprim17ROCPRIM_400000_NS6detail17trampoline_kernelINS0_14default_configENS1_35adjacent_difference_config_selectorILb0ElEEZNS1_24adjacent_difference_implIS3_Lb0ELb0EPlS7_ZN2at6native12_GLOBAL__N_124unique_dim_cuda_templateIN3c104HalfEEESt5tupleIJNS8_6TensorESF_SF_EERKSF_lbbbEUlllE1_EE10hipError_tPvRmT2_T3_mT4_P12ihipStream_tbEUlT_E_NS1_11comp_targetILNS1_3genE2ELNS1_11target_archE906ELNS1_3gpuE6ELNS1_3repE0EEENS1_30default_config_static_selectorELNS0_4arch9wavefront6targetE1EEEvT1_
    .private_segment_fixed_size: 0
    .sgpr_count:     4
    .sgpr_spill_count: 0
    .symbol:         _ZN7rocprim17ROCPRIM_400000_NS6detail17trampoline_kernelINS0_14default_configENS1_35adjacent_difference_config_selectorILb0ElEEZNS1_24adjacent_difference_implIS3_Lb0ELb0EPlS7_ZN2at6native12_GLOBAL__N_124unique_dim_cuda_templateIN3c104HalfEEESt5tupleIJNS8_6TensorESF_SF_EERKSF_lbbbEUlllE1_EE10hipError_tPvRmT2_T3_mT4_P12ihipStream_tbEUlT_E_NS1_11comp_targetILNS1_3genE2ELNS1_11target_archE906ELNS1_3gpuE6ELNS1_3repE0EEENS1_30default_config_static_selectorELNS0_4arch9wavefront6targetE1EEEvT1_.kd
    .uniform_work_group_size: 1
    .uses_dynamic_stack: false
    .vgpr_count:     0
    .vgpr_spill_count: 0
    .wavefront_size: 64
  - .agpr_count:     0
    .args:
      - .offset:         0
        .size:           64
        .value_kind:     by_value
    .group_segment_fixed_size: 0
    .kernarg_segment_align: 8
    .kernarg_segment_size: 64
    .language:       OpenCL C
    .language_version:
      - 2
      - 0
    .max_flat_workgroup_size: 512
    .name:           _ZN7rocprim17ROCPRIM_400000_NS6detail17trampoline_kernelINS0_14default_configENS1_35adjacent_difference_config_selectorILb0ElEEZNS1_24adjacent_difference_implIS3_Lb0ELb0EPlS7_ZN2at6native12_GLOBAL__N_124unique_dim_cuda_templateIN3c104HalfEEESt5tupleIJNS8_6TensorESF_SF_EERKSF_lbbbEUlllE1_EE10hipError_tPvRmT2_T3_mT4_P12ihipStream_tbEUlT_E_NS1_11comp_targetILNS1_3genE9ELNS1_11target_archE1100ELNS1_3gpuE3ELNS1_3repE0EEENS1_30default_config_static_selectorELNS0_4arch9wavefront6targetE1EEEvT1_
    .private_segment_fixed_size: 0
    .sgpr_count:     4
    .sgpr_spill_count: 0
    .symbol:         _ZN7rocprim17ROCPRIM_400000_NS6detail17trampoline_kernelINS0_14default_configENS1_35adjacent_difference_config_selectorILb0ElEEZNS1_24adjacent_difference_implIS3_Lb0ELb0EPlS7_ZN2at6native12_GLOBAL__N_124unique_dim_cuda_templateIN3c104HalfEEESt5tupleIJNS8_6TensorESF_SF_EERKSF_lbbbEUlllE1_EE10hipError_tPvRmT2_T3_mT4_P12ihipStream_tbEUlT_E_NS1_11comp_targetILNS1_3genE9ELNS1_11target_archE1100ELNS1_3gpuE3ELNS1_3repE0EEENS1_30default_config_static_selectorELNS0_4arch9wavefront6targetE1EEEvT1_.kd
    .uniform_work_group_size: 1
    .uses_dynamic_stack: false
    .vgpr_count:     0
    .vgpr_spill_count: 0
    .wavefront_size: 64
  - .agpr_count:     0
    .args:
      - .offset:         0
        .size:           64
        .value_kind:     by_value
    .group_segment_fixed_size: 0
    .kernarg_segment_align: 8
    .kernarg_segment_size: 64
    .language:       OpenCL C
    .language_version:
      - 2
      - 0
    .max_flat_workgroup_size: 1024
    .name:           _ZN7rocprim17ROCPRIM_400000_NS6detail17trampoline_kernelINS0_14default_configENS1_35adjacent_difference_config_selectorILb0ElEEZNS1_24adjacent_difference_implIS3_Lb0ELb0EPlS7_ZN2at6native12_GLOBAL__N_124unique_dim_cuda_templateIN3c104HalfEEESt5tupleIJNS8_6TensorESF_SF_EERKSF_lbbbEUlllE1_EE10hipError_tPvRmT2_T3_mT4_P12ihipStream_tbEUlT_E_NS1_11comp_targetILNS1_3genE8ELNS1_11target_archE1030ELNS1_3gpuE2ELNS1_3repE0EEENS1_30default_config_static_selectorELNS0_4arch9wavefront6targetE1EEEvT1_
    .private_segment_fixed_size: 0
    .sgpr_count:     4
    .sgpr_spill_count: 0
    .symbol:         _ZN7rocprim17ROCPRIM_400000_NS6detail17trampoline_kernelINS0_14default_configENS1_35adjacent_difference_config_selectorILb0ElEEZNS1_24adjacent_difference_implIS3_Lb0ELb0EPlS7_ZN2at6native12_GLOBAL__N_124unique_dim_cuda_templateIN3c104HalfEEESt5tupleIJNS8_6TensorESF_SF_EERKSF_lbbbEUlllE1_EE10hipError_tPvRmT2_T3_mT4_P12ihipStream_tbEUlT_E_NS1_11comp_targetILNS1_3genE8ELNS1_11target_archE1030ELNS1_3gpuE2ELNS1_3repE0EEENS1_30default_config_static_selectorELNS0_4arch9wavefront6targetE1EEEvT1_.kd
    .uniform_work_group_size: 1
    .uses_dynamic_stack: false
    .vgpr_count:     0
    .vgpr_spill_count: 0
    .wavefront_size: 64
  - .agpr_count:     0
    .args:
      - .offset:         0
        .size:           56
        .value_kind:     by_value
    .group_segment_fixed_size: 0
    .kernarg_segment_align: 8
    .kernarg_segment_size: 56
    .language:       OpenCL C
    .language_version:
      - 2
      - 0
    .max_flat_workgroup_size: 128
    .name:           _ZN7rocprim17ROCPRIM_400000_NS6detail17trampoline_kernelINS0_14default_configENS1_25transform_config_selectorIlLb0EEEZNS1_14transform_implILb0ES3_S5_NS0_18transform_iteratorINS0_17counting_iteratorImlEEZNS1_24adjacent_difference_implIS3_Lb1ELb0EPlSB_ZN2at6native12_GLOBAL__N_124unique_dim_cuda_templateIN3c104HalfEEESt5tupleIJNSC_6TensorESJ_SJ_EERKSJ_lbbbEUlllE1_EE10hipError_tPvRmT2_T3_mT4_P12ihipStream_tbEUlmE_lEESB_NS0_8identityIvEEEESO_SR_SS_mST_SV_bEUlT_E_NS1_11comp_targetILNS1_3genE0ELNS1_11target_archE4294967295ELNS1_3gpuE0ELNS1_3repE0EEENS1_30default_config_static_selectorELNS0_4arch9wavefront6targetE1EEEvT1_
    .private_segment_fixed_size: 0
    .sgpr_count:     4
    .sgpr_spill_count: 0
    .symbol:         _ZN7rocprim17ROCPRIM_400000_NS6detail17trampoline_kernelINS0_14default_configENS1_25transform_config_selectorIlLb0EEEZNS1_14transform_implILb0ES3_S5_NS0_18transform_iteratorINS0_17counting_iteratorImlEEZNS1_24adjacent_difference_implIS3_Lb1ELb0EPlSB_ZN2at6native12_GLOBAL__N_124unique_dim_cuda_templateIN3c104HalfEEESt5tupleIJNSC_6TensorESJ_SJ_EERKSJ_lbbbEUlllE1_EE10hipError_tPvRmT2_T3_mT4_P12ihipStream_tbEUlmE_lEESB_NS0_8identityIvEEEESO_SR_SS_mST_SV_bEUlT_E_NS1_11comp_targetILNS1_3genE0ELNS1_11target_archE4294967295ELNS1_3gpuE0ELNS1_3repE0EEENS1_30default_config_static_selectorELNS0_4arch9wavefront6targetE1EEEvT1_.kd
    .uniform_work_group_size: 1
    .uses_dynamic_stack: false
    .vgpr_count:     0
    .vgpr_spill_count: 0
    .wavefront_size: 64
  - .agpr_count:     0
    .args:
      - .offset:         0
        .size:           56
        .value_kind:     by_value
    .group_segment_fixed_size: 0
    .kernarg_segment_align: 8
    .kernarg_segment_size: 56
    .language:       OpenCL C
    .language_version:
      - 2
      - 0
    .max_flat_workgroup_size: 512
    .name:           _ZN7rocprim17ROCPRIM_400000_NS6detail17trampoline_kernelINS0_14default_configENS1_25transform_config_selectorIlLb0EEEZNS1_14transform_implILb0ES3_S5_NS0_18transform_iteratorINS0_17counting_iteratorImlEEZNS1_24adjacent_difference_implIS3_Lb1ELb0EPlSB_ZN2at6native12_GLOBAL__N_124unique_dim_cuda_templateIN3c104HalfEEESt5tupleIJNSC_6TensorESJ_SJ_EERKSJ_lbbbEUlllE1_EE10hipError_tPvRmT2_T3_mT4_P12ihipStream_tbEUlmE_lEESB_NS0_8identityIvEEEESO_SR_SS_mST_SV_bEUlT_E_NS1_11comp_targetILNS1_3genE5ELNS1_11target_archE942ELNS1_3gpuE9ELNS1_3repE0EEENS1_30default_config_static_selectorELNS0_4arch9wavefront6targetE1EEEvT1_
    .private_segment_fixed_size: 0
    .sgpr_count:     4
    .sgpr_spill_count: 0
    .symbol:         _ZN7rocprim17ROCPRIM_400000_NS6detail17trampoline_kernelINS0_14default_configENS1_25transform_config_selectorIlLb0EEEZNS1_14transform_implILb0ES3_S5_NS0_18transform_iteratorINS0_17counting_iteratorImlEEZNS1_24adjacent_difference_implIS3_Lb1ELb0EPlSB_ZN2at6native12_GLOBAL__N_124unique_dim_cuda_templateIN3c104HalfEEESt5tupleIJNSC_6TensorESJ_SJ_EERKSJ_lbbbEUlllE1_EE10hipError_tPvRmT2_T3_mT4_P12ihipStream_tbEUlmE_lEESB_NS0_8identityIvEEEESO_SR_SS_mST_SV_bEUlT_E_NS1_11comp_targetILNS1_3genE5ELNS1_11target_archE942ELNS1_3gpuE9ELNS1_3repE0EEENS1_30default_config_static_selectorELNS0_4arch9wavefront6targetE1EEEvT1_.kd
    .uniform_work_group_size: 1
    .uses_dynamic_stack: false
    .vgpr_count:     0
    .vgpr_spill_count: 0
    .wavefront_size: 64
  - .agpr_count:     0
    .args:
      - .offset:         0
        .size:           56
        .value_kind:     by_value
      - .offset:         56
        .size:           4
        .value_kind:     hidden_block_count_x
      - .offset:         60
        .size:           4
        .value_kind:     hidden_block_count_y
      - .offset:         64
        .size:           4
        .value_kind:     hidden_block_count_z
      - .offset:         68
        .size:           2
        .value_kind:     hidden_group_size_x
      - .offset:         70
        .size:           2
        .value_kind:     hidden_group_size_y
      - .offset:         72
        .size:           2
        .value_kind:     hidden_group_size_z
      - .offset:         74
        .size:           2
        .value_kind:     hidden_remainder_x
      - .offset:         76
        .size:           2
        .value_kind:     hidden_remainder_y
      - .offset:         78
        .size:           2
        .value_kind:     hidden_remainder_z
      - .offset:         96
        .size:           8
        .value_kind:     hidden_global_offset_x
      - .offset:         104
        .size:           8
        .value_kind:     hidden_global_offset_y
      - .offset:         112
        .size:           8
        .value_kind:     hidden_global_offset_z
      - .offset:         120
        .size:           2
        .value_kind:     hidden_grid_dims
    .group_segment_fixed_size: 0
    .kernarg_segment_align: 8
    .kernarg_segment_size: 312
    .language:       OpenCL C
    .language_version:
      - 2
      - 0
    .max_flat_workgroup_size: 256
    .name:           _ZN7rocprim17ROCPRIM_400000_NS6detail17trampoline_kernelINS0_14default_configENS1_25transform_config_selectorIlLb0EEEZNS1_14transform_implILb0ES3_S5_NS0_18transform_iteratorINS0_17counting_iteratorImlEEZNS1_24adjacent_difference_implIS3_Lb1ELb0EPlSB_ZN2at6native12_GLOBAL__N_124unique_dim_cuda_templateIN3c104HalfEEESt5tupleIJNSC_6TensorESJ_SJ_EERKSJ_lbbbEUlllE1_EE10hipError_tPvRmT2_T3_mT4_P12ihipStream_tbEUlmE_lEESB_NS0_8identityIvEEEESO_SR_SS_mST_SV_bEUlT_E_NS1_11comp_targetILNS1_3genE4ELNS1_11target_archE910ELNS1_3gpuE8ELNS1_3repE0EEENS1_30default_config_static_selectorELNS0_4arch9wavefront6targetE1EEEvT1_
    .private_segment_fixed_size: 0
    .sgpr_count:     22
    .sgpr_spill_count: 0
    .symbol:         _ZN7rocprim17ROCPRIM_400000_NS6detail17trampoline_kernelINS0_14default_configENS1_25transform_config_selectorIlLb0EEEZNS1_14transform_implILb0ES3_S5_NS0_18transform_iteratorINS0_17counting_iteratorImlEEZNS1_24adjacent_difference_implIS3_Lb1ELb0EPlSB_ZN2at6native12_GLOBAL__N_124unique_dim_cuda_templateIN3c104HalfEEESt5tupleIJNSC_6TensorESJ_SJ_EERKSJ_lbbbEUlllE1_EE10hipError_tPvRmT2_T3_mT4_P12ihipStream_tbEUlmE_lEESB_NS0_8identityIvEEEESO_SR_SS_mST_SV_bEUlT_E_NS1_11comp_targetILNS1_3genE4ELNS1_11target_archE910ELNS1_3gpuE8ELNS1_3repE0EEENS1_30default_config_static_selectorELNS0_4arch9wavefront6targetE1EEEvT1_.kd
    .uniform_work_group_size: 1
    .uses_dynamic_stack: false
    .vgpr_count:     10
    .vgpr_spill_count: 0
    .wavefront_size: 64
  - .agpr_count:     0
    .args:
      - .offset:         0
        .size:           56
        .value_kind:     by_value
    .group_segment_fixed_size: 0
    .kernarg_segment_align: 8
    .kernarg_segment_size: 56
    .language:       OpenCL C
    .language_version:
      - 2
      - 0
    .max_flat_workgroup_size: 128
    .name:           _ZN7rocprim17ROCPRIM_400000_NS6detail17trampoline_kernelINS0_14default_configENS1_25transform_config_selectorIlLb0EEEZNS1_14transform_implILb0ES3_S5_NS0_18transform_iteratorINS0_17counting_iteratorImlEEZNS1_24adjacent_difference_implIS3_Lb1ELb0EPlSB_ZN2at6native12_GLOBAL__N_124unique_dim_cuda_templateIN3c104HalfEEESt5tupleIJNSC_6TensorESJ_SJ_EERKSJ_lbbbEUlllE1_EE10hipError_tPvRmT2_T3_mT4_P12ihipStream_tbEUlmE_lEESB_NS0_8identityIvEEEESO_SR_SS_mST_SV_bEUlT_E_NS1_11comp_targetILNS1_3genE3ELNS1_11target_archE908ELNS1_3gpuE7ELNS1_3repE0EEENS1_30default_config_static_selectorELNS0_4arch9wavefront6targetE1EEEvT1_
    .private_segment_fixed_size: 0
    .sgpr_count:     4
    .sgpr_spill_count: 0
    .symbol:         _ZN7rocprim17ROCPRIM_400000_NS6detail17trampoline_kernelINS0_14default_configENS1_25transform_config_selectorIlLb0EEEZNS1_14transform_implILb0ES3_S5_NS0_18transform_iteratorINS0_17counting_iteratorImlEEZNS1_24adjacent_difference_implIS3_Lb1ELb0EPlSB_ZN2at6native12_GLOBAL__N_124unique_dim_cuda_templateIN3c104HalfEEESt5tupleIJNSC_6TensorESJ_SJ_EERKSJ_lbbbEUlllE1_EE10hipError_tPvRmT2_T3_mT4_P12ihipStream_tbEUlmE_lEESB_NS0_8identityIvEEEESO_SR_SS_mST_SV_bEUlT_E_NS1_11comp_targetILNS1_3genE3ELNS1_11target_archE908ELNS1_3gpuE7ELNS1_3repE0EEENS1_30default_config_static_selectorELNS0_4arch9wavefront6targetE1EEEvT1_.kd
    .uniform_work_group_size: 1
    .uses_dynamic_stack: false
    .vgpr_count:     0
    .vgpr_spill_count: 0
    .wavefront_size: 64
  - .agpr_count:     0
    .args:
      - .offset:         0
        .size:           56
        .value_kind:     by_value
    .group_segment_fixed_size: 0
    .kernarg_segment_align: 8
    .kernarg_segment_size: 56
    .language:       OpenCL C
    .language_version:
      - 2
      - 0
    .max_flat_workgroup_size: 512
    .name:           _ZN7rocprim17ROCPRIM_400000_NS6detail17trampoline_kernelINS0_14default_configENS1_25transform_config_selectorIlLb0EEEZNS1_14transform_implILb0ES3_S5_NS0_18transform_iteratorINS0_17counting_iteratorImlEEZNS1_24adjacent_difference_implIS3_Lb1ELb0EPlSB_ZN2at6native12_GLOBAL__N_124unique_dim_cuda_templateIN3c104HalfEEESt5tupleIJNSC_6TensorESJ_SJ_EERKSJ_lbbbEUlllE1_EE10hipError_tPvRmT2_T3_mT4_P12ihipStream_tbEUlmE_lEESB_NS0_8identityIvEEEESO_SR_SS_mST_SV_bEUlT_E_NS1_11comp_targetILNS1_3genE2ELNS1_11target_archE906ELNS1_3gpuE6ELNS1_3repE0EEENS1_30default_config_static_selectorELNS0_4arch9wavefront6targetE1EEEvT1_
    .private_segment_fixed_size: 0
    .sgpr_count:     4
    .sgpr_spill_count: 0
    .symbol:         _ZN7rocprim17ROCPRIM_400000_NS6detail17trampoline_kernelINS0_14default_configENS1_25transform_config_selectorIlLb0EEEZNS1_14transform_implILb0ES3_S5_NS0_18transform_iteratorINS0_17counting_iteratorImlEEZNS1_24adjacent_difference_implIS3_Lb1ELb0EPlSB_ZN2at6native12_GLOBAL__N_124unique_dim_cuda_templateIN3c104HalfEEESt5tupleIJNSC_6TensorESJ_SJ_EERKSJ_lbbbEUlllE1_EE10hipError_tPvRmT2_T3_mT4_P12ihipStream_tbEUlmE_lEESB_NS0_8identityIvEEEESO_SR_SS_mST_SV_bEUlT_E_NS1_11comp_targetILNS1_3genE2ELNS1_11target_archE906ELNS1_3gpuE6ELNS1_3repE0EEENS1_30default_config_static_selectorELNS0_4arch9wavefront6targetE1EEEvT1_.kd
    .uniform_work_group_size: 1
    .uses_dynamic_stack: false
    .vgpr_count:     0
    .vgpr_spill_count: 0
    .wavefront_size: 64
  - .agpr_count:     0
    .args:
      - .offset:         0
        .size:           56
        .value_kind:     by_value
    .group_segment_fixed_size: 0
    .kernarg_segment_align: 8
    .kernarg_segment_size: 56
    .language:       OpenCL C
    .language_version:
      - 2
      - 0
    .max_flat_workgroup_size: 1024
    .name:           _ZN7rocprim17ROCPRIM_400000_NS6detail17trampoline_kernelINS0_14default_configENS1_25transform_config_selectorIlLb0EEEZNS1_14transform_implILb0ES3_S5_NS0_18transform_iteratorINS0_17counting_iteratorImlEEZNS1_24adjacent_difference_implIS3_Lb1ELb0EPlSB_ZN2at6native12_GLOBAL__N_124unique_dim_cuda_templateIN3c104HalfEEESt5tupleIJNSC_6TensorESJ_SJ_EERKSJ_lbbbEUlllE1_EE10hipError_tPvRmT2_T3_mT4_P12ihipStream_tbEUlmE_lEESB_NS0_8identityIvEEEESO_SR_SS_mST_SV_bEUlT_E_NS1_11comp_targetILNS1_3genE10ELNS1_11target_archE1201ELNS1_3gpuE5ELNS1_3repE0EEENS1_30default_config_static_selectorELNS0_4arch9wavefront6targetE1EEEvT1_
    .private_segment_fixed_size: 0
    .sgpr_count:     4
    .sgpr_spill_count: 0
    .symbol:         _ZN7rocprim17ROCPRIM_400000_NS6detail17trampoline_kernelINS0_14default_configENS1_25transform_config_selectorIlLb0EEEZNS1_14transform_implILb0ES3_S5_NS0_18transform_iteratorINS0_17counting_iteratorImlEEZNS1_24adjacent_difference_implIS3_Lb1ELb0EPlSB_ZN2at6native12_GLOBAL__N_124unique_dim_cuda_templateIN3c104HalfEEESt5tupleIJNSC_6TensorESJ_SJ_EERKSJ_lbbbEUlllE1_EE10hipError_tPvRmT2_T3_mT4_P12ihipStream_tbEUlmE_lEESB_NS0_8identityIvEEEESO_SR_SS_mST_SV_bEUlT_E_NS1_11comp_targetILNS1_3genE10ELNS1_11target_archE1201ELNS1_3gpuE5ELNS1_3repE0EEENS1_30default_config_static_selectorELNS0_4arch9wavefront6targetE1EEEvT1_.kd
    .uniform_work_group_size: 1
    .uses_dynamic_stack: false
    .vgpr_count:     0
    .vgpr_spill_count: 0
    .wavefront_size: 64
  - .agpr_count:     0
    .args:
      - .offset:         0
        .size:           56
        .value_kind:     by_value
    .group_segment_fixed_size: 0
    .kernarg_segment_align: 8
    .kernarg_segment_size: 56
    .language:       OpenCL C
    .language_version:
      - 2
      - 0
    .max_flat_workgroup_size: 512
    .name:           _ZN7rocprim17ROCPRIM_400000_NS6detail17trampoline_kernelINS0_14default_configENS1_25transform_config_selectorIlLb0EEEZNS1_14transform_implILb0ES3_S5_NS0_18transform_iteratorINS0_17counting_iteratorImlEEZNS1_24adjacent_difference_implIS3_Lb1ELb0EPlSB_ZN2at6native12_GLOBAL__N_124unique_dim_cuda_templateIN3c104HalfEEESt5tupleIJNSC_6TensorESJ_SJ_EERKSJ_lbbbEUlllE1_EE10hipError_tPvRmT2_T3_mT4_P12ihipStream_tbEUlmE_lEESB_NS0_8identityIvEEEESO_SR_SS_mST_SV_bEUlT_E_NS1_11comp_targetILNS1_3genE10ELNS1_11target_archE1200ELNS1_3gpuE4ELNS1_3repE0EEENS1_30default_config_static_selectorELNS0_4arch9wavefront6targetE1EEEvT1_
    .private_segment_fixed_size: 0
    .sgpr_count:     4
    .sgpr_spill_count: 0
    .symbol:         _ZN7rocprim17ROCPRIM_400000_NS6detail17trampoline_kernelINS0_14default_configENS1_25transform_config_selectorIlLb0EEEZNS1_14transform_implILb0ES3_S5_NS0_18transform_iteratorINS0_17counting_iteratorImlEEZNS1_24adjacent_difference_implIS3_Lb1ELb0EPlSB_ZN2at6native12_GLOBAL__N_124unique_dim_cuda_templateIN3c104HalfEEESt5tupleIJNSC_6TensorESJ_SJ_EERKSJ_lbbbEUlllE1_EE10hipError_tPvRmT2_T3_mT4_P12ihipStream_tbEUlmE_lEESB_NS0_8identityIvEEEESO_SR_SS_mST_SV_bEUlT_E_NS1_11comp_targetILNS1_3genE10ELNS1_11target_archE1200ELNS1_3gpuE4ELNS1_3repE0EEENS1_30default_config_static_selectorELNS0_4arch9wavefront6targetE1EEEvT1_.kd
    .uniform_work_group_size: 1
    .uses_dynamic_stack: false
    .vgpr_count:     0
    .vgpr_spill_count: 0
    .wavefront_size: 64
  - .agpr_count:     0
    .args:
      - .offset:         0
        .size:           56
        .value_kind:     by_value
    .group_segment_fixed_size: 0
    .kernarg_segment_align: 8
    .kernarg_segment_size: 56
    .language:       OpenCL C
    .language_version:
      - 2
      - 0
    .max_flat_workgroup_size: 512
    .name:           _ZN7rocprim17ROCPRIM_400000_NS6detail17trampoline_kernelINS0_14default_configENS1_25transform_config_selectorIlLb0EEEZNS1_14transform_implILb0ES3_S5_NS0_18transform_iteratorINS0_17counting_iteratorImlEEZNS1_24adjacent_difference_implIS3_Lb1ELb0EPlSB_ZN2at6native12_GLOBAL__N_124unique_dim_cuda_templateIN3c104HalfEEESt5tupleIJNSC_6TensorESJ_SJ_EERKSJ_lbbbEUlllE1_EE10hipError_tPvRmT2_T3_mT4_P12ihipStream_tbEUlmE_lEESB_NS0_8identityIvEEEESO_SR_SS_mST_SV_bEUlT_E_NS1_11comp_targetILNS1_3genE9ELNS1_11target_archE1100ELNS1_3gpuE3ELNS1_3repE0EEENS1_30default_config_static_selectorELNS0_4arch9wavefront6targetE1EEEvT1_
    .private_segment_fixed_size: 0
    .sgpr_count:     4
    .sgpr_spill_count: 0
    .symbol:         _ZN7rocprim17ROCPRIM_400000_NS6detail17trampoline_kernelINS0_14default_configENS1_25transform_config_selectorIlLb0EEEZNS1_14transform_implILb0ES3_S5_NS0_18transform_iteratorINS0_17counting_iteratorImlEEZNS1_24adjacent_difference_implIS3_Lb1ELb0EPlSB_ZN2at6native12_GLOBAL__N_124unique_dim_cuda_templateIN3c104HalfEEESt5tupleIJNSC_6TensorESJ_SJ_EERKSJ_lbbbEUlllE1_EE10hipError_tPvRmT2_T3_mT4_P12ihipStream_tbEUlmE_lEESB_NS0_8identityIvEEEESO_SR_SS_mST_SV_bEUlT_E_NS1_11comp_targetILNS1_3genE9ELNS1_11target_archE1100ELNS1_3gpuE3ELNS1_3repE0EEENS1_30default_config_static_selectorELNS0_4arch9wavefront6targetE1EEEvT1_.kd
    .uniform_work_group_size: 1
    .uses_dynamic_stack: false
    .vgpr_count:     0
    .vgpr_spill_count: 0
    .wavefront_size: 64
  - .agpr_count:     0
    .args:
      - .offset:         0
        .size:           56
        .value_kind:     by_value
    .group_segment_fixed_size: 0
    .kernarg_segment_align: 8
    .kernarg_segment_size: 56
    .language:       OpenCL C
    .language_version:
      - 2
      - 0
    .max_flat_workgroup_size: 512
    .name:           _ZN7rocprim17ROCPRIM_400000_NS6detail17trampoline_kernelINS0_14default_configENS1_25transform_config_selectorIlLb0EEEZNS1_14transform_implILb0ES3_S5_NS0_18transform_iteratorINS0_17counting_iteratorImlEEZNS1_24adjacent_difference_implIS3_Lb1ELb0EPlSB_ZN2at6native12_GLOBAL__N_124unique_dim_cuda_templateIN3c104HalfEEESt5tupleIJNSC_6TensorESJ_SJ_EERKSJ_lbbbEUlllE1_EE10hipError_tPvRmT2_T3_mT4_P12ihipStream_tbEUlmE_lEESB_NS0_8identityIvEEEESO_SR_SS_mST_SV_bEUlT_E_NS1_11comp_targetILNS1_3genE8ELNS1_11target_archE1030ELNS1_3gpuE2ELNS1_3repE0EEENS1_30default_config_static_selectorELNS0_4arch9wavefront6targetE1EEEvT1_
    .private_segment_fixed_size: 0
    .sgpr_count:     4
    .sgpr_spill_count: 0
    .symbol:         _ZN7rocprim17ROCPRIM_400000_NS6detail17trampoline_kernelINS0_14default_configENS1_25transform_config_selectorIlLb0EEEZNS1_14transform_implILb0ES3_S5_NS0_18transform_iteratorINS0_17counting_iteratorImlEEZNS1_24adjacent_difference_implIS3_Lb1ELb0EPlSB_ZN2at6native12_GLOBAL__N_124unique_dim_cuda_templateIN3c104HalfEEESt5tupleIJNSC_6TensorESJ_SJ_EERKSJ_lbbbEUlllE1_EE10hipError_tPvRmT2_T3_mT4_P12ihipStream_tbEUlmE_lEESB_NS0_8identityIvEEEESO_SR_SS_mST_SV_bEUlT_E_NS1_11comp_targetILNS1_3genE8ELNS1_11target_archE1030ELNS1_3gpuE2ELNS1_3repE0EEENS1_30default_config_static_selectorELNS0_4arch9wavefront6targetE1EEEvT1_.kd
    .uniform_work_group_size: 1
    .uses_dynamic_stack: false
    .vgpr_count:     0
    .vgpr_spill_count: 0
    .wavefront_size: 64
  - .agpr_count:     0
    .args:
      - .offset:         0
        .size:           64
        .value_kind:     by_value
    .group_segment_fixed_size: 0
    .kernarg_segment_align: 8
    .kernarg_segment_size: 64
    .language:       OpenCL C
    .language_version:
      - 2
      - 0
    .max_flat_workgroup_size: 512
    .name:           _ZN7rocprim17ROCPRIM_400000_NS6detail17trampoline_kernelINS0_14default_configENS1_35adjacent_difference_config_selectorILb1ElEEZNS1_24adjacent_difference_implIS3_Lb1ELb0EPlS7_ZN2at6native12_GLOBAL__N_124unique_dim_cuda_templateIN3c104HalfEEESt5tupleIJNS8_6TensorESF_SF_EERKSF_lbbbEUlllE1_EE10hipError_tPvRmT2_T3_mT4_P12ihipStream_tbEUlT_E_NS1_11comp_targetILNS1_3genE0ELNS1_11target_archE4294967295ELNS1_3gpuE0ELNS1_3repE0EEENS1_30default_config_static_selectorELNS0_4arch9wavefront6targetE1EEEvT1_
    .private_segment_fixed_size: 0
    .sgpr_count:     4
    .sgpr_spill_count: 0
    .symbol:         _ZN7rocprim17ROCPRIM_400000_NS6detail17trampoline_kernelINS0_14default_configENS1_35adjacent_difference_config_selectorILb1ElEEZNS1_24adjacent_difference_implIS3_Lb1ELb0EPlS7_ZN2at6native12_GLOBAL__N_124unique_dim_cuda_templateIN3c104HalfEEESt5tupleIJNS8_6TensorESF_SF_EERKSF_lbbbEUlllE1_EE10hipError_tPvRmT2_T3_mT4_P12ihipStream_tbEUlT_E_NS1_11comp_targetILNS1_3genE0ELNS1_11target_archE4294967295ELNS1_3gpuE0ELNS1_3repE0EEENS1_30default_config_static_selectorELNS0_4arch9wavefront6targetE1EEEvT1_.kd
    .uniform_work_group_size: 1
    .uses_dynamic_stack: false
    .vgpr_count:     0
    .vgpr_spill_count: 0
    .wavefront_size: 64
  - .agpr_count:     0
    .args:
      - .offset:         0
        .size:           64
        .value_kind:     by_value
    .group_segment_fixed_size: 0
    .kernarg_segment_align: 8
    .kernarg_segment_size: 64
    .language:       OpenCL C
    .language_version:
      - 2
      - 0
    .max_flat_workgroup_size: 32
    .name:           _ZN7rocprim17ROCPRIM_400000_NS6detail17trampoline_kernelINS0_14default_configENS1_35adjacent_difference_config_selectorILb1ElEEZNS1_24adjacent_difference_implIS3_Lb1ELb0EPlS7_ZN2at6native12_GLOBAL__N_124unique_dim_cuda_templateIN3c104HalfEEESt5tupleIJNS8_6TensorESF_SF_EERKSF_lbbbEUlllE1_EE10hipError_tPvRmT2_T3_mT4_P12ihipStream_tbEUlT_E_NS1_11comp_targetILNS1_3genE10ELNS1_11target_archE1201ELNS1_3gpuE5ELNS1_3repE0EEENS1_30default_config_static_selectorELNS0_4arch9wavefront6targetE1EEEvT1_
    .private_segment_fixed_size: 0
    .sgpr_count:     4
    .sgpr_spill_count: 0
    .symbol:         _ZN7rocprim17ROCPRIM_400000_NS6detail17trampoline_kernelINS0_14default_configENS1_35adjacent_difference_config_selectorILb1ElEEZNS1_24adjacent_difference_implIS3_Lb1ELb0EPlS7_ZN2at6native12_GLOBAL__N_124unique_dim_cuda_templateIN3c104HalfEEESt5tupleIJNS8_6TensorESF_SF_EERKSF_lbbbEUlllE1_EE10hipError_tPvRmT2_T3_mT4_P12ihipStream_tbEUlT_E_NS1_11comp_targetILNS1_3genE10ELNS1_11target_archE1201ELNS1_3gpuE5ELNS1_3repE0EEENS1_30default_config_static_selectorELNS0_4arch9wavefront6targetE1EEEvT1_.kd
    .uniform_work_group_size: 1
    .uses_dynamic_stack: false
    .vgpr_count:     0
    .vgpr_spill_count: 0
    .wavefront_size: 64
  - .agpr_count:     0
    .args:
      - .offset:         0
        .size:           64
        .value_kind:     by_value
    .group_segment_fixed_size: 0
    .kernarg_segment_align: 8
    .kernarg_segment_size: 64
    .language:       OpenCL C
    .language_version:
      - 2
      - 0
    .max_flat_workgroup_size: 256
    .name:           _ZN7rocprim17ROCPRIM_400000_NS6detail17trampoline_kernelINS0_14default_configENS1_35adjacent_difference_config_selectorILb1ElEEZNS1_24adjacent_difference_implIS3_Lb1ELb0EPlS7_ZN2at6native12_GLOBAL__N_124unique_dim_cuda_templateIN3c104HalfEEESt5tupleIJNS8_6TensorESF_SF_EERKSF_lbbbEUlllE1_EE10hipError_tPvRmT2_T3_mT4_P12ihipStream_tbEUlT_E_NS1_11comp_targetILNS1_3genE5ELNS1_11target_archE942ELNS1_3gpuE9ELNS1_3repE0EEENS1_30default_config_static_selectorELNS0_4arch9wavefront6targetE1EEEvT1_
    .private_segment_fixed_size: 0
    .sgpr_count:     4
    .sgpr_spill_count: 0
    .symbol:         _ZN7rocprim17ROCPRIM_400000_NS6detail17trampoline_kernelINS0_14default_configENS1_35adjacent_difference_config_selectorILb1ElEEZNS1_24adjacent_difference_implIS3_Lb1ELb0EPlS7_ZN2at6native12_GLOBAL__N_124unique_dim_cuda_templateIN3c104HalfEEESt5tupleIJNS8_6TensorESF_SF_EERKSF_lbbbEUlllE1_EE10hipError_tPvRmT2_T3_mT4_P12ihipStream_tbEUlT_E_NS1_11comp_targetILNS1_3genE5ELNS1_11target_archE942ELNS1_3gpuE9ELNS1_3repE0EEENS1_30default_config_static_selectorELNS0_4arch9wavefront6targetE1EEEvT1_.kd
    .uniform_work_group_size: 1
    .uses_dynamic_stack: false
    .vgpr_count:     0
    .vgpr_spill_count: 0
    .wavefront_size: 64
  - .agpr_count:     0
    .args:
      - .offset:         0
        .size:           64
        .value_kind:     by_value
    .group_segment_fixed_size: 8448
    .kernarg_segment_align: 8
    .kernarg_segment_size: 64
    .language:       OpenCL C
    .language_version:
      - 2
      - 0
    .max_flat_workgroup_size: 512
    .name:           _ZN7rocprim17ROCPRIM_400000_NS6detail17trampoline_kernelINS0_14default_configENS1_35adjacent_difference_config_selectorILb1ElEEZNS1_24adjacent_difference_implIS3_Lb1ELb0EPlS7_ZN2at6native12_GLOBAL__N_124unique_dim_cuda_templateIN3c104HalfEEESt5tupleIJNS8_6TensorESF_SF_EERKSF_lbbbEUlllE1_EE10hipError_tPvRmT2_T3_mT4_P12ihipStream_tbEUlT_E_NS1_11comp_targetILNS1_3genE4ELNS1_11target_archE910ELNS1_3gpuE8ELNS1_3repE0EEENS1_30default_config_static_selectorELNS0_4arch9wavefront6targetE1EEEvT1_
    .private_segment_fixed_size: 0
    .sgpr_count:     42
    .sgpr_spill_count: 0
    .symbol:         _ZN7rocprim17ROCPRIM_400000_NS6detail17trampoline_kernelINS0_14default_configENS1_35adjacent_difference_config_selectorILb1ElEEZNS1_24adjacent_difference_implIS3_Lb1ELb0EPlS7_ZN2at6native12_GLOBAL__N_124unique_dim_cuda_templateIN3c104HalfEEESt5tupleIJNS8_6TensorESF_SF_EERKSF_lbbbEUlllE1_EE10hipError_tPvRmT2_T3_mT4_P12ihipStream_tbEUlT_E_NS1_11comp_targetILNS1_3genE4ELNS1_11target_archE910ELNS1_3gpuE8ELNS1_3repE0EEENS1_30default_config_static_selectorELNS0_4arch9wavefront6targetE1EEEvT1_.kd
    .uniform_work_group_size: 1
    .uses_dynamic_stack: false
    .vgpr_count:     17
    .vgpr_spill_count: 0
    .wavefront_size: 64
  - .agpr_count:     0
    .args:
      - .offset:         0
        .size:           64
        .value_kind:     by_value
    .group_segment_fixed_size: 0
    .kernarg_segment_align: 8
    .kernarg_segment_size: 64
    .language:       OpenCL C
    .language_version:
      - 2
      - 0
    .max_flat_workgroup_size: 512
    .name:           _ZN7rocprim17ROCPRIM_400000_NS6detail17trampoline_kernelINS0_14default_configENS1_35adjacent_difference_config_selectorILb1ElEEZNS1_24adjacent_difference_implIS3_Lb1ELb0EPlS7_ZN2at6native12_GLOBAL__N_124unique_dim_cuda_templateIN3c104HalfEEESt5tupleIJNS8_6TensorESF_SF_EERKSF_lbbbEUlllE1_EE10hipError_tPvRmT2_T3_mT4_P12ihipStream_tbEUlT_E_NS1_11comp_targetILNS1_3genE3ELNS1_11target_archE908ELNS1_3gpuE7ELNS1_3repE0EEENS1_30default_config_static_selectorELNS0_4arch9wavefront6targetE1EEEvT1_
    .private_segment_fixed_size: 0
    .sgpr_count:     4
    .sgpr_spill_count: 0
    .symbol:         _ZN7rocprim17ROCPRIM_400000_NS6detail17trampoline_kernelINS0_14default_configENS1_35adjacent_difference_config_selectorILb1ElEEZNS1_24adjacent_difference_implIS3_Lb1ELb0EPlS7_ZN2at6native12_GLOBAL__N_124unique_dim_cuda_templateIN3c104HalfEEESt5tupleIJNS8_6TensorESF_SF_EERKSF_lbbbEUlllE1_EE10hipError_tPvRmT2_T3_mT4_P12ihipStream_tbEUlT_E_NS1_11comp_targetILNS1_3genE3ELNS1_11target_archE908ELNS1_3gpuE7ELNS1_3repE0EEENS1_30default_config_static_selectorELNS0_4arch9wavefront6targetE1EEEvT1_.kd
    .uniform_work_group_size: 1
    .uses_dynamic_stack: false
    .vgpr_count:     0
    .vgpr_spill_count: 0
    .wavefront_size: 64
  - .agpr_count:     0
    .args:
      - .offset:         0
        .size:           64
        .value_kind:     by_value
    .group_segment_fixed_size: 0
    .kernarg_segment_align: 8
    .kernarg_segment_size: 64
    .language:       OpenCL C
    .language_version:
      - 2
      - 0
    .max_flat_workgroup_size: 128
    .name:           _ZN7rocprim17ROCPRIM_400000_NS6detail17trampoline_kernelINS0_14default_configENS1_35adjacent_difference_config_selectorILb1ElEEZNS1_24adjacent_difference_implIS3_Lb1ELb0EPlS7_ZN2at6native12_GLOBAL__N_124unique_dim_cuda_templateIN3c104HalfEEESt5tupleIJNS8_6TensorESF_SF_EERKSF_lbbbEUlllE1_EE10hipError_tPvRmT2_T3_mT4_P12ihipStream_tbEUlT_E_NS1_11comp_targetILNS1_3genE2ELNS1_11target_archE906ELNS1_3gpuE6ELNS1_3repE0EEENS1_30default_config_static_selectorELNS0_4arch9wavefront6targetE1EEEvT1_
    .private_segment_fixed_size: 0
    .sgpr_count:     4
    .sgpr_spill_count: 0
    .symbol:         _ZN7rocprim17ROCPRIM_400000_NS6detail17trampoline_kernelINS0_14default_configENS1_35adjacent_difference_config_selectorILb1ElEEZNS1_24adjacent_difference_implIS3_Lb1ELb0EPlS7_ZN2at6native12_GLOBAL__N_124unique_dim_cuda_templateIN3c104HalfEEESt5tupleIJNS8_6TensorESF_SF_EERKSF_lbbbEUlllE1_EE10hipError_tPvRmT2_T3_mT4_P12ihipStream_tbEUlT_E_NS1_11comp_targetILNS1_3genE2ELNS1_11target_archE906ELNS1_3gpuE6ELNS1_3repE0EEENS1_30default_config_static_selectorELNS0_4arch9wavefront6targetE1EEEvT1_.kd
    .uniform_work_group_size: 1
    .uses_dynamic_stack: false
    .vgpr_count:     0
    .vgpr_spill_count: 0
    .wavefront_size: 64
  - .agpr_count:     0
    .args:
      - .offset:         0
        .size:           64
        .value_kind:     by_value
    .group_segment_fixed_size: 0
    .kernarg_segment_align: 8
    .kernarg_segment_size: 64
    .language:       OpenCL C
    .language_version:
      - 2
      - 0
    .max_flat_workgroup_size: 128
    .name:           _ZN7rocprim17ROCPRIM_400000_NS6detail17trampoline_kernelINS0_14default_configENS1_35adjacent_difference_config_selectorILb1ElEEZNS1_24adjacent_difference_implIS3_Lb1ELb0EPlS7_ZN2at6native12_GLOBAL__N_124unique_dim_cuda_templateIN3c104HalfEEESt5tupleIJNS8_6TensorESF_SF_EERKSF_lbbbEUlllE1_EE10hipError_tPvRmT2_T3_mT4_P12ihipStream_tbEUlT_E_NS1_11comp_targetILNS1_3genE9ELNS1_11target_archE1100ELNS1_3gpuE3ELNS1_3repE0EEENS1_30default_config_static_selectorELNS0_4arch9wavefront6targetE1EEEvT1_
    .private_segment_fixed_size: 0
    .sgpr_count:     4
    .sgpr_spill_count: 0
    .symbol:         _ZN7rocprim17ROCPRIM_400000_NS6detail17trampoline_kernelINS0_14default_configENS1_35adjacent_difference_config_selectorILb1ElEEZNS1_24adjacent_difference_implIS3_Lb1ELb0EPlS7_ZN2at6native12_GLOBAL__N_124unique_dim_cuda_templateIN3c104HalfEEESt5tupleIJNS8_6TensorESF_SF_EERKSF_lbbbEUlllE1_EE10hipError_tPvRmT2_T3_mT4_P12ihipStream_tbEUlT_E_NS1_11comp_targetILNS1_3genE9ELNS1_11target_archE1100ELNS1_3gpuE3ELNS1_3repE0EEENS1_30default_config_static_selectorELNS0_4arch9wavefront6targetE1EEEvT1_.kd
    .uniform_work_group_size: 1
    .uses_dynamic_stack: false
    .vgpr_count:     0
    .vgpr_spill_count: 0
    .wavefront_size: 64
  - .agpr_count:     0
    .args:
      - .offset:         0
        .size:           64
        .value_kind:     by_value
    .group_segment_fixed_size: 0
    .kernarg_segment_align: 8
    .kernarg_segment_size: 64
    .language:       OpenCL C
    .language_version:
      - 2
      - 0
    .max_flat_workgroup_size: 32
    .name:           _ZN7rocprim17ROCPRIM_400000_NS6detail17trampoline_kernelINS0_14default_configENS1_35adjacent_difference_config_selectorILb1ElEEZNS1_24adjacent_difference_implIS3_Lb1ELb0EPlS7_ZN2at6native12_GLOBAL__N_124unique_dim_cuda_templateIN3c104HalfEEESt5tupleIJNS8_6TensorESF_SF_EERKSF_lbbbEUlllE1_EE10hipError_tPvRmT2_T3_mT4_P12ihipStream_tbEUlT_E_NS1_11comp_targetILNS1_3genE8ELNS1_11target_archE1030ELNS1_3gpuE2ELNS1_3repE0EEENS1_30default_config_static_selectorELNS0_4arch9wavefront6targetE1EEEvT1_
    .private_segment_fixed_size: 0
    .sgpr_count:     4
    .sgpr_spill_count: 0
    .symbol:         _ZN7rocprim17ROCPRIM_400000_NS6detail17trampoline_kernelINS0_14default_configENS1_35adjacent_difference_config_selectorILb1ElEEZNS1_24adjacent_difference_implIS3_Lb1ELb0EPlS7_ZN2at6native12_GLOBAL__N_124unique_dim_cuda_templateIN3c104HalfEEESt5tupleIJNS8_6TensorESF_SF_EERKSF_lbbbEUlllE1_EE10hipError_tPvRmT2_T3_mT4_P12ihipStream_tbEUlT_E_NS1_11comp_targetILNS1_3genE8ELNS1_11target_archE1030ELNS1_3gpuE2ELNS1_3repE0EEENS1_30default_config_static_selectorELNS0_4arch9wavefront6targetE1EEEvT1_.kd
    .uniform_work_group_size: 1
    .uses_dynamic_stack: false
    .vgpr_count:     0
    .vgpr_spill_count: 0
    .wavefront_size: 64
  - .agpr_count:     0
    .args:
      - .offset:         0
        .size:           120
        .value_kind:     by_value
    .group_segment_fixed_size: 0
    .kernarg_segment_align: 8
    .kernarg_segment_size: 120
    .language:       OpenCL C
    .language_version:
      - 2
      - 0
    .max_flat_workgroup_size: 512
    .name:           _ZN7rocprim17ROCPRIM_400000_NS6detail17trampoline_kernelINS0_14default_configENS1_25partition_config_selectorILNS1_17partition_subalgoE8ElNS0_10empty_typeEbEEZZNS1_14partition_implILS5_8ELb0ES3_jPlPS6_PKS6_NS0_5tupleIJS9_S6_EEENSD_IJSA_SA_EEENS0_18inequality_wrapperIZN2at6native12_GLOBAL__N_124unique_dim_cuda_templateIN3c104HalfEEESt5tupleIJNSH_6TensorESO_SO_EERKSO_lbbbEUlllE0_EEPmJS6_EEE10hipError_tPvRmT3_T4_T5_T6_T7_T9_mT8_P12ihipStream_tbDpT10_ENKUlT_T0_E_clISt17integral_constantIbLb0EES1E_EEDaS19_S1A_EUlS19_E_NS1_11comp_targetILNS1_3genE0ELNS1_11target_archE4294967295ELNS1_3gpuE0ELNS1_3repE0EEENS1_30default_config_static_selectorELNS0_4arch9wavefront6targetE1EEEvT1_
    .private_segment_fixed_size: 0
    .sgpr_count:     4
    .sgpr_spill_count: 0
    .symbol:         _ZN7rocprim17ROCPRIM_400000_NS6detail17trampoline_kernelINS0_14default_configENS1_25partition_config_selectorILNS1_17partition_subalgoE8ElNS0_10empty_typeEbEEZZNS1_14partition_implILS5_8ELb0ES3_jPlPS6_PKS6_NS0_5tupleIJS9_S6_EEENSD_IJSA_SA_EEENS0_18inequality_wrapperIZN2at6native12_GLOBAL__N_124unique_dim_cuda_templateIN3c104HalfEEESt5tupleIJNSH_6TensorESO_SO_EERKSO_lbbbEUlllE0_EEPmJS6_EEE10hipError_tPvRmT3_T4_T5_T6_T7_T9_mT8_P12ihipStream_tbDpT10_ENKUlT_T0_E_clISt17integral_constantIbLb0EES1E_EEDaS19_S1A_EUlS19_E_NS1_11comp_targetILNS1_3genE0ELNS1_11target_archE4294967295ELNS1_3gpuE0ELNS1_3repE0EEENS1_30default_config_static_selectorELNS0_4arch9wavefront6targetE1EEEvT1_.kd
    .uniform_work_group_size: 1
    .uses_dynamic_stack: false
    .vgpr_count:     0
    .vgpr_spill_count: 0
    .wavefront_size: 64
  - .agpr_count:     0
    .args:
      - .offset:         0
        .size:           120
        .value_kind:     by_value
    .group_segment_fixed_size: 0
    .kernarg_segment_align: 8
    .kernarg_segment_size: 120
    .language:       OpenCL C
    .language_version:
      - 2
      - 0
    .max_flat_workgroup_size: 512
    .name:           _ZN7rocprim17ROCPRIM_400000_NS6detail17trampoline_kernelINS0_14default_configENS1_25partition_config_selectorILNS1_17partition_subalgoE8ElNS0_10empty_typeEbEEZZNS1_14partition_implILS5_8ELb0ES3_jPlPS6_PKS6_NS0_5tupleIJS9_S6_EEENSD_IJSA_SA_EEENS0_18inequality_wrapperIZN2at6native12_GLOBAL__N_124unique_dim_cuda_templateIN3c104HalfEEESt5tupleIJNSH_6TensorESO_SO_EERKSO_lbbbEUlllE0_EEPmJS6_EEE10hipError_tPvRmT3_T4_T5_T6_T7_T9_mT8_P12ihipStream_tbDpT10_ENKUlT_T0_E_clISt17integral_constantIbLb0EES1E_EEDaS19_S1A_EUlS19_E_NS1_11comp_targetILNS1_3genE5ELNS1_11target_archE942ELNS1_3gpuE9ELNS1_3repE0EEENS1_30default_config_static_selectorELNS0_4arch9wavefront6targetE1EEEvT1_
    .private_segment_fixed_size: 0
    .sgpr_count:     4
    .sgpr_spill_count: 0
    .symbol:         _ZN7rocprim17ROCPRIM_400000_NS6detail17trampoline_kernelINS0_14default_configENS1_25partition_config_selectorILNS1_17partition_subalgoE8ElNS0_10empty_typeEbEEZZNS1_14partition_implILS5_8ELb0ES3_jPlPS6_PKS6_NS0_5tupleIJS9_S6_EEENSD_IJSA_SA_EEENS0_18inequality_wrapperIZN2at6native12_GLOBAL__N_124unique_dim_cuda_templateIN3c104HalfEEESt5tupleIJNSH_6TensorESO_SO_EERKSO_lbbbEUlllE0_EEPmJS6_EEE10hipError_tPvRmT3_T4_T5_T6_T7_T9_mT8_P12ihipStream_tbDpT10_ENKUlT_T0_E_clISt17integral_constantIbLb0EES1E_EEDaS19_S1A_EUlS19_E_NS1_11comp_targetILNS1_3genE5ELNS1_11target_archE942ELNS1_3gpuE9ELNS1_3repE0EEENS1_30default_config_static_selectorELNS0_4arch9wavefront6targetE1EEEvT1_.kd
    .uniform_work_group_size: 1
    .uses_dynamic_stack: false
    .vgpr_count:     0
    .vgpr_spill_count: 0
    .wavefront_size: 64
  - .agpr_count:     0
    .args:
      - .offset:         0
        .size:           120
        .value_kind:     by_value
    .group_segment_fixed_size: 10252
    .kernarg_segment_align: 8
    .kernarg_segment_size: 120
    .language:       OpenCL C
    .language_version:
      - 2
      - 0
    .max_flat_workgroup_size: 256
    .name:           _ZN7rocprim17ROCPRIM_400000_NS6detail17trampoline_kernelINS0_14default_configENS1_25partition_config_selectorILNS1_17partition_subalgoE8ElNS0_10empty_typeEbEEZZNS1_14partition_implILS5_8ELb0ES3_jPlPS6_PKS6_NS0_5tupleIJS9_S6_EEENSD_IJSA_SA_EEENS0_18inequality_wrapperIZN2at6native12_GLOBAL__N_124unique_dim_cuda_templateIN3c104HalfEEESt5tupleIJNSH_6TensorESO_SO_EERKSO_lbbbEUlllE0_EEPmJS6_EEE10hipError_tPvRmT3_T4_T5_T6_T7_T9_mT8_P12ihipStream_tbDpT10_ENKUlT_T0_E_clISt17integral_constantIbLb0EES1E_EEDaS19_S1A_EUlS19_E_NS1_11comp_targetILNS1_3genE4ELNS1_11target_archE910ELNS1_3gpuE8ELNS1_3repE0EEENS1_30default_config_static_selectorELNS0_4arch9wavefront6targetE1EEEvT1_
    .private_segment_fixed_size: 0
    .sgpr_count:     52
    .sgpr_spill_count: 0
    .symbol:         _ZN7rocprim17ROCPRIM_400000_NS6detail17trampoline_kernelINS0_14default_configENS1_25partition_config_selectorILNS1_17partition_subalgoE8ElNS0_10empty_typeEbEEZZNS1_14partition_implILS5_8ELb0ES3_jPlPS6_PKS6_NS0_5tupleIJS9_S6_EEENSD_IJSA_SA_EEENS0_18inequality_wrapperIZN2at6native12_GLOBAL__N_124unique_dim_cuda_templateIN3c104HalfEEESt5tupleIJNSH_6TensorESO_SO_EERKSO_lbbbEUlllE0_EEPmJS6_EEE10hipError_tPvRmT3_T4_T5_T6_T7_T9_mT8_P12ihipStream_tbDpT10_ENKUlT_T0_E_clISt17integral_constantIbLb0EES1E_EEDaS19_S1A_EUlS19_E_NS1_11comp_targetILNS1_3genE4ELNS1_11target_archE910ELNS1_3gpuE8ELNS1_3repE0EEENS1_30default_config_static_selectorELNS0_4arch9wavefront6targetE1EEEvT1_.kd
    .uniform_work_group_size: 1
    .uses_dynamic_stack: false
    .vgpr_count:     46
    .vgpr_spill_count: 0
    .wavefront_size: 64
  - .agpr_count:     0
    .args:
      - .offset:         0
        .size:           120
        .value_kind:     by_value
    .group_segment_fixed_size: 0
    .kernarg_segment_align: 8
    .kernarg_segment_size: 120
    .language:       OpenCL C
    .language_version:
      - 2
      - 0
    .max_flat_workgroup_size: 512
    .name:           _ZN7rocprim17ROCPRIM_400000_NS6detail17trampoline_kernelINS0_14default_configENS1_25partition_config_selectorILNS1_17partition_subalgoE8ElNS0_10empty_typeEbEEZZNS1_14partition_implILS5_8ELb0ES3_jPlPS6_PKS6_NS0_5tupleIJS9_S6_EEENSD_IJSA_SA_EEENS0_18inequality_wrapperIZN2at6native12_GLOBAL__N_124unique_dim_cuda_templateIN3c104HalfEEESt5tupleIJNSH_6TensorESO_SO_EERKSO_lbbbEUlllE0_EEPmJS6_EEE10hipError_tPvRmT3_T4_T5_T6_T7_T9_mT8_P12ihipStream_tbDpT10_ENKUlT_T0_E_clISt17integral_constantIbLb0EES1E_EEDaS19_S1A_EUlS19_E_NS1_11comp_targetILNS1_3genE3ELNS1_11target_archE908ELNS1_3gpuE7ELNS1_3repE0EEENS1_30default_config_static_selectorELNS0_4arch9wavefront6targetE1EEEvT1_
    .private_segment_fixed_size: 0
    .sgpr_count:     4
    .sgpr_spill_count: 0
    .symbol:         _ZN7rocprim17ROCPRIM_400000_NS6detail17trampoline_kernelINS0_14default_configENS1_25partition_config_selectorILNS1_17partition_subalgoE8ElNS0_10empty_typeEbEEZZNS1_14partition_implILS5_8ELb0ES3_jPlPS6_PKS6_NS0_5tupleIJS9_S6_EEENSD_IJSA_SA_EEENS0_18inequality_wrapperIZN2at6native12_GLOBAL__N_124unique_dim_cuda_templateIN3c104HalfEEESt5tupleIJNSH_6TensorESO_SO_EERKSO_lbbbEUlllE0_EEPmJS6_EEE10hipError_tPvRmT3_T4_T5_T6_T7_T9_mT8_P12ihipStream_tbDpT10_ENKUlT_T0_E_clISt17integral_constantIbLb0EES1E_EEDaS19_S1A_EUlS19_E_NS1_11comp_targetILNS1_3genE3ELNS1_11target_archE908ELNS1_3gpuE7ELNS1_3repE0EEENS1_30default_config_static_selectorELNS0_4arch9wavefront6targetE1EEEvT1_.kd
    .uniform_work_group_size: 1
    .uses_dynamic_stack: false
    .vgpr_count:     0
    .vgpr_spill_count: 0
    .wavefront_size: 64
  - .agpr_count:     0
    .args:
      - .offset:         0
        .size:           120
        .value_kind:     by_value
    .group_segment_fixed_size: 0
    .kernarg_segment_align: 8
    .kernarg_segment_size: 120
    .language:       OpenCL C
    .language_version:
      - 2
      - 0
    .max_flat_workgroup_size: 256
    .name:           _ZN7rocprim17ROCPRIM_400000_NS6detail17trampoline_kernelINS0_14default_configENS1_25partition_config_selectorILNS1_17partition_subalgoE8ElNS0_10empty_typeEbEEZZNS1_14partition_implILS5_8ELb0ES3_jPlPS6_PKS6_NS0_5tupleIJS9_S6_EEENSD_IJSA_SA_EEENS0_18inequality_wrapperIZN2at6native12_GLOBAL__N_124unique_dim_cuda_templateIN3c104HalfEEESt5tupleIJNSH_6TensorESO_SO_EERKSO_lbbbEUlllE0_EEPmJS6_EEE10hipError_tPvRmT3_T4_T5_T6_T7_T9_mT8_P12ihipStream_tbDpT10_ENKUlT_T0_E_clISt17integral_constantIbLb0EES1E_EEDaS19_S1A_EUlS19_E_NS1_11comp_targetILNS1_3genE2ELNS1_11target_archE906ELNS1_3gpuE6ELNS1_3repE0EEENS1_30default_config_static_selectorELNS0_4arch9wavefront6targetE1EEEvT1_
    .private_segment_fixed_size: 0
    .sgpr_count:     4
    .sgpr_spill_count: 0
    .symbol:         _ZN7rocprim17ROCPRIM_400000_NS6detail17trampoline_kernelINS0_14default_configENS1_25partition_config_selectorILNS1_17partition_subalgoE8ElNS0_10empty_typeEbEEZZNS1_14partition_implILS5_8ELb0ES3_jPlPS6_PKS6_NS0_5tupleIJS9_S6_EEENSD_IJSA_SA_EEENS0_18inequality_wrapperIZN2at6native12_GLOBAL__N_124unique_dim_cuda_templateIN3c104HalfEEESt5tupleIJNSH_6TensorESO_SO_EERKSO_lbbbEUlllE0_EEPmJS6_EEE10hipError_tPvRmT3_T4_T5_T6_T7_T9_mT8_P12ihipStream_tbDpT10_ENKUlT_T0_E_clISt17integral_constantIbLb0EES1E_EEDaS19_S1A_EUlS19_E_NS1_11comp_targetILNS1_3genE2ELNS1_11target_archE906ELNS1_3gpuE6ELNS1_3repE0EEENS1_30default_config_static_selectorELNS0_4arch9wavefront6targetE1EEEvT1_.kd
    .uniform_work_group_size: 1
    .uses_dynamic_stack: false
    .vgpr_count:     0
    .vgpr_spill_count: 0
    .wavefront_size: 64
  - .agpr_count:     0
    .args:
      - .offset:         0
        .size:           120
        .value_kind:     by_value
    .group_segment_fixed_size: 0
    .kernarg_segment_align: 8
    .kernarg_segment_size: 120
    .language:       OpenCL C
    .language_version:
      - 2
      - 0
    .max_flat_workgroup_size: 384
    .name:           _ZN7rocprim17ROCPRIM_400000_NS6detail17trampoline_kernelINS0_14default_configENS1_25partition_config_selectorILNS1_17partition_subalgoE8ElNS0_10empty_typeEbEEZZNS1_14partition_implILS5_8ELb0ES3_jPlPS6_PKS6_NS0_5tupleIJS9_S6_EEENSD_IJSA_SA_EEENS0_18inequality_wrapperIZN2at6native12_GLOBAL__N_124unique_dim_cuda_templateIN3c104HalfEEESt5tupleIJNSH_6TensorESO_SO_EERKSO_lbbbEUlllE0_EEPmJS6_EEE10hipError_tPvRmT3_T4_T5_T6_T7_T9_mT8_P12ihipStream_tbDpT10_ENKUlT_T0_E_clISt17integral_constantIbLb0EES1E_EEDaS19_S1A_EUlS19_E_NS1_11comp_targetILNS1_3genE10ELNS1_11target_archE1200ELNS1_3gpuE4ELNS1_3repE0EEENS1_30default_config_static_selectorELNS0_4arch9wavefront6targetE1EEEvT1_
    .private_segment_fixed_size: 0
    .sgpr_count:     4
    .sgpr_spill_count: 0
    .symbol:         _ZN7rocprim17ROCPRIM_400000_NS6detail17trampoline_kernelINS0_14default_configENS1_25partition_config_selectorILNS1_17partition_subalgoE8ElNS0_10empty_typeEbEEZZNS1_14partition_implILS5_8ELb0ES3_jPlPS6_PKS6_NS0_5tupleIJS9_S6_EEENSD_IJSA_SA_EEENS0_18inequality_wrapperIZN2at6native12_GLOBAL__N_124unique_dim_cuda_templateIN3c104HalfEEESt5tupleIJNSH_6TensorESO_SO_EERKSO_lbbbEUlllE0_EEPmJS6_EEE10hipError_tPvRmT3_T4_T5_T6_T7_T9_mT8_P12ihipStream_tbDpT10_ENKUlT_T0_E_clISt17integral_constantIbLb0EES1E_EEDaS19_S1A_EUlS19_E_NS1_11comp_targetILNS1_3genE10ELNS1_11target_archE1200ELNS1_3gpuE4ELNS1_3repE0EEENS1_30default_config_static_selectorELNS0_4arch9wavefront6targetE1EEEvT1_.kd
    .uniform_work_group_size: 1
    .uses_dynamic_stack: false
    .vgpr_count:     0
    .vgpr_spill_count: 0
    .wavefront_size: 64
  - .agpr_count:     0
    .args:
      - .offset:         0
        .size:           120
        .value_kind:     by_value
    .group_segment_fixed_size: 0
    .kernarg_segment_align: 8
    .kernarg_segment_size: 120
    .language:       OpenCL C
    .language_version:
      - 2
      - 0
    .max_flat_workgroup_size: 512
    .name:           _ZN7rocprim17ROCPRIM_400000_NS6detail17trampoline_kernelINS0_14default_configENS1_25partition_config_selectorILNS1_17partition_subalgoE8ElNS0_10empty_typeEbEEZZNS1_14partition_implILS5_8ELb0ES3_jPlPS6_PKS6_NS0_5tupleIJS9_S6_EEENSD_IJSA_SA_EEENS0_18inequality_wrapperIZN2at6native12_GLOBAL__N_124unique_dim_cuda_templateIN3c104HalfEEESt5tupleIJNSH_6TensorESO_SO_EERKSO_lbbbEUlllE0_EEPmJS6_EEE10hipError_tPvRmT3_T4_T5_T6_T7_T9_mT8_P12ihipStream_tbDpT10_ENKUlT_T0_E_clISt17integral_constantIbLb0EES1E_EEDaS19_S1A_EUlS19_E_NS1_11comp_targetILNS1_3genE9ELNS1_11target_archE1100ELNS1_3gpuE3ELNS1_3repE0EEENS1_30default_config_static_selectorELNS0_4arch9wavefront6targetE1EEEvT1_
    .private_segment_fixed_size: 0
    .sgpr_count:     4
    .sgpr_spill_count: 0
    .symbol:         _ZN7rocprim17ROCPRIM_400000_NS6detail17trampoline_kernelINS0_14default_configENS1_25partition_config_selectorILNS1_17partition_subalgoE8ElNS0_10empty_typeEbEEZZNS1_14partition_implILS5_8ELb0ES3_jPlPS6_PKS6_NS0_5tupleIJS9_S6_EEENSD_IJSA_SA_EEENS0_18inequality_wrapperIZN2at6native12_GLOBAL__N_124unique_dim_cuda_templateIN3c104HalfEEESt5tupleIJNSH_6TensorESO_SO_EERKSO_lbbbEUlllE0_EEPmJS6_EEE10hipError_tPvRmT3_T4_T5_T6_T7_T9_mT8_P12ihipStream_tbDpT10_ENKUlT_T0_E_clISt17integral_constantIbLb0EES1E_EEDaS19_S1A_EUlS19_E_NS1_11comp_targetILNS1_3genE9ELNS1_11target_archE1100ELNS1_3gpuE3ELNS1_3repE0EEENS1_30default_config_static_selectorELNS0_4arch9wavefront6targetE1EEEvT1_.kd
    .uniform_work_group_size: 1
    .uses_dynamic_stack: false
    .vgpr_count:     0
    .vgpr_spill_count: 0
    .wavefront_size: 64
  - .agpr_count:     0
    .args:
      - .offset:         0
        .size:           120
        .value_kind:     by_value
    .group_segment_fixed_size: 0
    .kernarg_segment_align: 8
    .kernarg_segment_size: 120
    .language:       OpenCL C
    .language_version:
      - 2
      - 0
    .max_flat_workgroup_size: 512
    .name:           _ZN7rocprim17ROCPRIM_400000_NS6detail17trampoline_kernelINS0_14default_configENS1_25partition_config_selectorILNS1_17partition_subalgoE8ElNS0_10empty_typeEbEEZZNS1_14partition_implILS5_8ELb0ES3_jPlPS6_PKS6_NS0_5tupleIJS9_S6_EEENSD_IJSA_SA_EEENS0_18inequality_wrapperIZN2at6native12_GLOBAL__N_124unique_dim_cuda_templateIN3c104HalfEEESt5tupleIJNSH_6TensorESO_SO_EERKSO_lbbbEUlllE0_EEPmJS6_EEE10hipError_tPvRmT3_T4_T5_T6_T7_T9_mT8_P12ihipStream_tbDpT10_ENKUlT_T0_E_clISt17integral_constantIbLb0EES1E_EEDaS19_S1A_EUlS19_E_NS1_11comp_targetILNS1_3genE8ELNS1_11target_archE1030ELNS1_3gpuE2ELNS1_3repE0EEENS1_30default_config_static_selectorELNS0_4arch9wavefront6targetE1EEEvT1_
    .private_segment_fixed_size: 0
    .sgpr_count:     4
    .sgpr_spill_count: 0
    .symbol:         _ZN7rocprim17ROCPRIM_400000_NS6detail17trampoline_kernelINS0_14default_configENS1_25partition_config_selectorILNS1_17partition_subalgoE8ElNS0_10empty_typeEbEEZZNS1_14partition_implILS5_8ELb0ES3_jPlPS6_PKS6_NS0_5tupleIJS9_S6_EEENSD_IJSA_SA_EEENS0_18inequality_wrapperIZN2at6native12_GLOBAL__N_124unique_dim_cuda_templateIN3c104HalfEEESt5tupleIJNSH_6TensorESO_SO_EERKSO_lbbbEUlllE0_EEPmJS6_EEE10hipError_tPvRmT3_T4_T5_T6_T7_T9_mT8_P12ihipStream_tbDpT10_ENKUlT_T0_E_clISt17integral_constantIbLb0EES1E_EEDaS19_S1A_EUlS19_E_NS1_11comp_targetILNS1_3genE8ELNS1_11target_archE1030ELNS1_3gpuE2ELNS1_3repE0EEENS1_30default_config_static_selectorELNS0_4arch9wavefront6targetE1EEEvT1_.kd
    .uniform_work_group_size: 1
    .uses_dynamic_stack: false
    .vgpr_count:     0
    .vgpr_spill_count: 0
    .wavefront_size: 64
  - .agpr_count:     0
    .args:
      - .offset:         0
        .size:           136
        .value_kind:     by_value
    .group_segment_fixed_size: 0
    .kernarg_segment_align: 8
    .kernarg_segment_size: 136
    .language:       OpenCL C
    .language_version:
      - 2
      - 0
    .max_flat_workgroup_size: 512
    .name:           _ZN7rocprim17ROCPRIM_400000_NS6detail17trampoline_kernelINS0_14default_configENS1_25partition_config_selectorILNS1_17partition_subalgoE8ElNS0_10empty_typeEbEEZZNS1_14partition_implILS5_8ELb0ES3_jPlPS6_PKS6_NS0_5tupleIJS9_S6_EEENSD_IJSA_SA_EEENS0_18inequality_wrapperIZN2at6native12_GLOBAL__N_124unique_dim_cuda_templateIN3c104HalfEEESt5tupleIJNSH_6TensorESO_SO_EERKSO_lbbbEUlllE0_EEPmJS6_EEE10hipError_tPvRmT3_T4_T5_T6_T7_T9_mT8_P12ihipStream_tbDpT10_ENKUlT_T0_E_clISt17integral_constantIbLb1EES1E_EEDaS19_S1A_EUlS19_E_NS1_11comp_targetILNS1_3genE0ELNS1_11target_archE4294967295ELNS1_3gpuE0ELNS1_3repE0EEENS1_30default_config_static_selectorELNS0_4arch9wavefront6targetE1EEEvT1_
    .private_segment_fixed_size: 0
    .sgpr_count:     4
    .sgpr_spill_count: 0
    .symbol:         _ZN7rocprim17ROCPRIM_400000_NS6detail17trampoline_kernelINS0_14default_configENS1_25partition_config_selectorILNS1_17partition_subalgoE8ElNS0_10empty_typeEbEEZZNS1_14partition_implILS5_8ELb0ES3_jPlPS6_PKS6_NS0_5tupleIJS9_S6_EEENSD_IJSA_SA_EEENS0_18inequality_wrapperIZN2at6native12_GLOBAL__N_124unique_dim_cuda_templateIN3c104HalfEEESt5tupleIJNSH_6TensorESO_SO_EERKSO_lbbbEUlllE0_EEPmJS6_EEE10hipError_tPvRmT3_T4_T5_T6_T7_T9_mT8_P12ihipStream_tbDpT10_ENKUlT_T0_E_clISt17integral_constantIbLb1EES1E_EEDaS19_S1A_EUlS19_E_NS1_11comp_targetILNS1_3genE0ELNS1_11target_archE4294967295ELNS1_3gpuE0ELNS1_3repE0EEENS1_30default_config_static_selectorELNS0_4arch9wavefront6targetE1EEEvT1_.kd
    .uniform_work_group_size: 1
    .uses_dynamic_stack: false
    .vgpr_count:     0
    .vgpr_spill_count: 0
    .wavefront_size: 64
  - .agpr_count:     0
    .args:
      - .offset:         0
        .size:           136
        .value_kind:     by_value
    .group_segment_fixed_size: 0
    .kernarg_segment_align: 8
    .kernarg_segment_size: 136
    .language:       OpenCL C
    .language_version:
      - 2
      - 0
    .max_flat_workgroup_size: 512
    .name:           _ZN7rocprim17ROCPRIM_400000_NS6detail17trampoline_kernelINS0_14default_configENS1_25partition_config_selectorILNS1_17partition_subalgoE8ElNS0_10empty_typeEbEEZZNS1_14partition_implILS5_8ELb0ES3_jPlPS6_PKS6_NS0_5tupleIJS9_S6_EEENSD_IJSA_SA_EEENS0_18inequality_wrapperIZN2at6native12_GLOBAL__N_124unique_dim_cuda_templateIN3c104HalfEEESt5tupleIJNSH_6TensorESO_SO_EERKSO_lbbbEUlllE0_EEPmJS6_EEE10hipError_tPvRmT3_T4_T5_T6_T7_T9_mT8_P12ihipStream_tbDpT10_ENKUlT_T0_E_clISt17integral_constantIbLb1EES1E_EEDaS19_S1A_EUlS19_E_NS1_11comp_targetILNS1_3genE5ELNS1_11target_archE942ELNS1_3gpuE9ELNS1_3repE0EEENS1_30default_config_static_selectorELNS0_4arch9wavefront6targetE1EEEvT1_
    .private_segment_fixed_size: 0
    .sgpr_count:     4
    .sgpr_spill_count: 0
    .symbol:         _ZN7rocprim17ROCPRIM_400000_NS6detail17trampoline_kernelINS0_14default_configENS1_25partition_config_selectorILNS1_17partition_subalgoE8ElNS0_10empty_typeEbEEZZNS1_14partition_implILS5_8ELb0ES3_jPlPS6_PKS6_NS0_5tupleIJS9_S6_EEENSD_IJSA_SA_EEENS0_18inequality_wrapperIZN2at6native12_GLOBAL__N_124unique_dim_cuda_templateIN3c104HalfEEESt5tupleIJNSH_6TensorESO_SO_EERKSO_lbbbEUlllE0_EEPmJS6_EEE10hipError_tPvRmT3_T4_T5_T6_T7_T9_mT8_P12ihipStream_tbDpT10_ENKUlT_T0_E_clISt17integral_constantIbLb1EES1E_EEDaS19_S1A_EUlS19_E_NS1_11comp_targetILNS1_3genE5ELNS1_11target_archE942ELNS1_3gpuE9ELNS1_3repE0EEENS1_30default_config_static_selectorELNS0_4arch9wavefront6targetE1EEEvT1_.kd
    .uniform_work_group_size: 1
    .uses_dynamic_stack: false
    .vgpr_count:     0
    .vgpr_spill_count: 0
    .wavefront_size: 64
  - .agpr_count:     0
    .args:
      - .offset:         0
        .size:           136
        .value_kind:     by_value
    .group_segment_fixed_size: 10252
    .kernarg_segment_align: 8
    .kernarg_segment_size: 136
    .language:       OpenCL C
    .language_version:
      - 2
      - 0
    .max_flat_workgroup_size: 256
    .name:           _ZN7rocprim17ROCPRIM_400000_NS6detail17trampoline_kernelINS0_14default_configENS1_25partition_config_selectorILNS1_17partition_subalgoE8ElNS0_10empty_typeEbEEZZNS1_14partition_implILS5_8ELb0ES3_jPlPS6_PKS6_NS0_5tupleIJS9_S6_EEENSD_IJSA_SA_EEENS0_18inequality_wrapperIZN2at6native12_GLOBAL__N_124unique_dim_cuda_templateIN3c104HalfEEESt5tupleIJNSH_6TensorESO_SO_EERKSO_lbbbEUlllE0_EEPmJS6_EEE10hipError_tPvRmT3_T4_T5_T6_T7_T9_mT8_P12ihipStream_tbDpT10_ENKUlT_T0_E_clISt17integral_constantIbLb1EES1E_EEDaS19_S1A_EUlS19_E_NS1_11comp_targetILNS1_3genE4ELNS1_11target_archE910ELNS1_3gpuE8ELNS1_3repE0EEENS1_30default_config_static_selectorELNS0_4arch9wavefront6targetE1EEEvT1_
    .private_segment_fixed_size: 0
    .sgpr_count:     56
    .sgpr_spill_count: 0
    .symbol:         _ZN7rocprim17ROCPRIM_400000_NS6detail17trampoline_kernelINS0_14default_configENS1_25partition_config_selectorILNS1_17partition_subalgoE8ElNS0_10empty_typeEbEEZZNS1_14partition_implILS5_8ELb0ES3_jPlPS6_PKS6_NS0_5tupleIJS9_S6_EEENSD_IJSA_SA_EEENS0_18inequality_wrapperIZN2at6native12_GLOBAL__N_124unique_dim_cuda_templateIN3c104HalfEEESt5tupleIJNSH_6TensorESO_SO_EERKSO_lbbbEUlllE0_EEPmJS6_EEE10hipError_tPvRmT3_T4_T5_T6_T7_T9_mT8_P12ihipStream_tbDpT10_ENKUlT_T0_E_clISt17integral_constantIbLb1EES1E_EEDaS19_S1A_EUlS19_E_NS1_11comp_targetILNS1_3genE4ELNS1_11target_archE910ELNS1_3gpuE8ELNS1_3repE0EEENS1_30default_config_static_selectorELNS0_4arch9wavefront6targetE1EEEvT1_.kd
    .uniform_work_group_size: 1
    .uses_dynamic_stack: false
    .vgpr_count:     46
    .vgpr_spill_count: 0
    .wavefront_size: 64
  - .agpr_count:     0
    .args:
      - .offset:         0
        .size:           136
        .value_kind:     by_value
    .group_segment_fixed_size: 0
    .kernarg_segment_align: 8
    .kernarg_segment_size: 136
    .language:       OpenCL C
    .language_version:
      - 2
      - 0
    .max_flat_workgroup_size: 512
    .name:           _ZN7rocprim17ROCPRIM_400000_NS6detail17trampoline_kernelINS0_14default_configENS1_25partition_config_selectorILNS1_17partition_subalgoE8ElNS0_10empty_typeEbEEZZNS1_14partition_implILS5_8ELb0ES3_jPlPS6_PKS6_NS0_5tupleIJS9_S6_EEENSD_IJSA_SA_EEENS0_18inequality_wrapperIZN2at6native12_GLOBAL__N_124unique_dim_cuda_templateIN3c104HalfEEESt5tupleIJNSH_6TensorESO_SO_EERKSO_lbbbEUlllE0_EEPmJS6_EEE10hipError_tPvRmT3_T4_T5_T6_T7_T9_mT8_P12ihipStream_tbDpT10_ENKUlT_T0_E_clISt17integral_constantIbLb1EES1E_EEDaS19_S1A_EUlS19_E_NS1_11comp_targetILNS1_3genE3ELNS1_11target_archE908ELNS1_3gpuE7ELNS1_3repE0EEENS1_30default_config_static_selectorELNS0_4arch9wavefront6targetE1EEEvT1_
    .private_segment_fixed_size: 0
    .sgpr_count:     4
    .sgpr_spill_count: 0
    .symbol:         _ZN7rocprim17ROCPRIM_400000_NS6detail17trampoline_kernelINS0_14default_configENS1_25partition_config_selectorILNS1_17partition_subalgoE8ElNS0_10empty_typeEbEEZZNS1_14partition_implILS5_8ELb0ES3_jPlPS6_PKS6_NS0_5tupleIJS9_S6_EEENSD_IJSA_SA_EEENS0_18inequality_wrapperIZN2at6native12_GLOBAL__N_124unique_dim_cuda_templateIN3c104HalfEEESt5tupleIJNSH_6TensorESO_SO_EERKSO_lbbbEUlllE0_EEPmJS6_EEE10hipError_tPvRmT3_T4_T5_T6_T7_T9_mT8_P12ihipStream_tbDpT10_ENKUlT_T0_E_clISt17integral_constantIbLb1EES1E_EEDaS19_S1A_EUlS19_E_NS1_11comp_targetILNS1_3genE3ELNS1_11target_archE908ELNS1_3gpuE7ELNS1_3repE0EEENS1_30default_config_static_selectorELNS0_4arch9wavefront6targetE1EEEvT1_.kd
    .uniform_work_group_size: 1
    .uses_dynamic_stack: false
    .vgpr_count:     0
    .vgpr_spill_count: 0
    .wavefront_size: 64
  - .agpr_count:     0
    .args:
      - .offset:         0
        .size:           136
        .value_kind:     by_value
    .group_segment_fixed_size: 0
    .kernarg_segment_align: 8
    .kernarg_segment_size: 136
    .language:       OpenCL C
    .language_version:
      - 2
      - 0
    .max_flat_workgroup_size: 256
    .name:           _ZN7rocprim17ROCPRIM_400000_NS6detail17trampoline_kernelINS0_14default_configENS1_25partition_config_selectorILNS1_17partition_subalgoE8ElNS0_10empty_typeEbEEZZNS1_14partition_implILS5_8ELb0ES3_jPlPS6_PKS6_NS0_5tupleIJS9_S6_EEENSD_IJSA_SA_EEENS0_18inequality_wrapperIZN2at6native12_GLOBAL__N_124unique_dim_cuda_templateIN3c104HalfEEESt5tupleIJNSH_6TensorESO_SO_EERKSO_lbbbEUlllE0_EEPmJS6_EEE10hipError_tPvRmT3_T4_T5_T6_T7_T9_mT8_P12ihipStream_tbDpT10_ENKUlT_T0_E_clISt17integral_constantIbLb1EES1E_EEDaS19_S1A_EUlS19_E_NS1_11comp_targetILNS1_3genE2ELNS1_11target_archE906ELNS1_3gpuE6ELNS1_3repE0EEENS1_30default_config_static_selectorELNS0_4arch9wavefront6targetE1EEEvT1_
    .private_segment_fixed_size: 0
    .sgpr_count:     4
    .sgpr_spill_count: 0
    .symbol:         _ZN7rocprim17ROCPRIM_400000_NS6detail17trampoline_kernelINS0_14default_configENS1_25partition_config_selectorILNS1_17partition_subalgoE8ElNS0_10empty_typeEbEEZZNS1_14partition_implILS5_8ELb0ES3_jPlPS6_PKS6_NS0_5tupleIJS9_S6_EEENSD_IJSA_SA_EEENS0_18inequality_wrapperIZN2at6native12_GLOBAL__N_124unique_dim_cuda_templateIN3c104HalfEEESt5tupleIJNSH_6TensorESO_SO_EERKSO_lbbbEUlllE0_EEPmJS6_EEE10hipError_tPvRmT3_T4_T5_T6_T7_T9_mT8_P12ihipStream_tbDpT10_ENKUlT_T0_E_clISt17integral_constantIbLb1EES1E_EEDaS19_S1A_EUlS19_E_NS1_11comp_targetILNS1_3genE2ELNS1_11target_archE906ELNS1_3gpuE6ELNS1_3repE0EEENS1_30default_config_static_selectorELNS0_4arch9wavefront6targetE1EEEvT1_.kd
    .uniform_work_group_size: 1
    .uses_dynamic_stack: false
    .vgpr_count:     0
    .vgpr_spill_count: 0
    .wavefront_size: 64
  - .agpr_count:     0
    .args:
      - .offset:         0
        .size:           136
        .value_kind:     by_value
    .group_segment_fixed_size: 0
    .kernarg_segment_align: 8
    .kernarg_segment_size: 136
    .language:       OpenCL C
    .language_version:
      - 2
      - 0
    .max_flat_workgroup_size: 384
    .name:           _ZN7rocprim17ROCPRIM_400000_NS6detail17trampoline_kernelINS0_14default_configENS1_25partition_config_selectorILNS1_17partition_subalgoE8ElNS0_10empty_typeEbEEZZNS1_14partition_implILS5_8ELb0ES3_jPlPS6_PKS6_NS0_5tupleIJS9_S6_EEENSD_IJSA_SA_EEENS0_18inequality_wrapperIZN2at6native12_GLOBAL__N_124unique_dim_cuda_templateIN3c104HalfEEESt5tupleIJNSH_6TensorESO_SO_EERKSO_lbbbEUlllE0_EEPmJS6_EEE10hipError_tPvRmT3_T4_T5_T6_T7_T9_mT8_P12ihipStream_tbDpT10_ENKUlT_T0_E_clISt17integral_constantIbLb1EES1E_EEDaS19_S1A_EUlS19_E_NS1_11comp_targetILNS1_3genE10ELNS1_11target_archE1200ELNS1_3gpuE4ELNS1_3repE0EEENS1_30default_config_static_selectorELNS0_4arch9wavefront6targetE1EEEvT1_
    .private_segment_fixed_size: 0
    .sgpr_count:     4
    .sgpr_spill_count: 0
    .symbol:         _ZN7rocprim17ROCPRIM_400000_NS6detail17trampoline_kernelINS0_14default_configENS1_25partition_config_selectorILNS1_17partition_subalgoE8ElNS0_10empty_typeEbEEZZNS1_14partition_implILS5_8ELb0ES3_jPlPS6_PKS6_NS0_5tupleIJS9_S6_EEENSD_IJSA_SA_EEENS0_18inequality_wrapperIZN2at6native12_GLOBAL__N_124unique_dim_cuda_templateIN3c104HalfEEESt5tupleIJNSH_6TensorESO_SO_EERKSO_lbbbEUlllE0_EEPmJS6_EEE10hipError_tPvRmT3_T4_T5_T6_T7_T9_mT8_P12ihipStream_tbDpT10_ENKUlT_T0_E_clISt17integral_constantIbLb1EES1E_EEDaS19_S1A_EUlS19_E_NS1_11comp_targetILNS1_3genE10ELNS1_11target_archE1200ELNS1_3gpuE4ELNS1_3repE0EEENS1_30default_config_static_selectorELNS0_4arch9wavefront6targetE1EEEvT1_.kd
    .uniform_work_group_size: 1
    .uses_dynamic_stack: false
    .vgpr_count:     0
    .vgpr_spill_count: 0
    .wavefront_size: 64
  - .agpr_count:     0
    .args:
      - .offset:         0
        .size:           136
        .value_kind:     by_value
    .group_segment_fixed_size: 0
    .kernarg_segment_align: 8
    .kernarg_segment_size: 136
    .language:       OpenCL C
    .language_version:
      - 2
      - 0
    .max_flat_workgroup_size: 512
    .name:           _ZN7rocprim17ROCPRIM_400000_NS6detail17trampoline_kernelINS0_14default_configENS1_25partition_config_selectorILNS1_17partition_subalgoE8ElNS0_10empty_typeEbEEZZNS1_14partition_implILS5_8ELb0ES3_jPlPS6_PKS6_NS0_5tupleIJS9_S6_EEENSD_IJSA_SA_EEENS0_18inequality_wrapperIZN2at6native12_GLOBAL__N_124unique_dim_cuda_templateIN3c104HalfEEESt5tupleIJNSH_6TensorESO_SO_EERKSO_lbbbEUlllE0_EEPmJS6_EEE10hipError_tPvRmT3_T4_T5_T6_T7_T9_mT8_P12ihipStream_tbDpT10_ENKUlT_T0_E_clISt17integral_constantIbLb1EES1E_EEDaS19_S1A_EUlS19_E_NS1_11comp_targetILNS1_3genE9ELNS1_11target_archE1100ELNS1_3gpuE3ELNS1_3repE0EEENS1_30default_config_static_selectorELNS0_4arch9wavefront6targetE1EEEvT1_
    .private_segment_fixed_size: 0
    .sgpr_count:     4
    .sgpr_spill_count: 0
    .symbol:         _ZN7rocprim17ROCPRIM_400000_NS6detail17trampoline_kernelINS0_14default_configENS1_25partition_config_selectorILNS1_17partition_subalgoE8ElNS0_10empty_typeEbEEZZNS1_14partition_implILS5_8ELb0ES3_jPlPS6_PKS6_NS0_5tupleIJS9_S6_EEENSD_IJSA_SA_EEENS0_18inequality_wrapperIZN2at6native12_GLOBAL__N_124unique_dim_cuda_templateIN3c104HalfEEESt5tupleIJNSH_6TensorESO_SO_EERKSO_lbbbEUlllE0_EEPmJS6_EEE10hipError_tPvRmT3_T4_T5_T6_T7_T9_mT8_P12ihipStream_tbDpT10_ENKUlT_T0_E_clISt17integral_constantIbLb1EES1E_EEDaS19_S1A_EUlS19_E_NS1_11comp_targetILNS1_3genE9ELNS1_11target_archE1100ELNS1_3gpuE3ELNS1_3repE0EEENS1_30default_config_static_selectorELNS0_4arch9wavefront6targetE1EEEvT1_.kd
    .uniform_work_group_size: 1
    .uses_dynamic_stack: false
    .vgpr_count:     0
    .vgpr_spill_count: 0
    .wavefront_size: 64
  - .agpr_count:     0
    .args:
      - .offset:         0
        .size:           136
        .value_kind:     by_value
    .group_segment_fixed_size: 0
    .kernarg_segment_align: 8
    .kernarg_segment_size: 136
    .language:       OpenCL C
    .language_version:
      - 2
      - 0
    .max_flat_workgroup_size: 512
    .name:           _ZN7rocprim17ROCPRIM_400000_NS6detail17trampoline_kernelINS0_14default_configENS1_25partition_config_selectorILNS1_17partition_subalgoE8ElNS0_10empty_typeEbEEZZNS1_14partition_implILS5_8ELb0ES3_jPlPS6_PKS6_NS0_5tupleIJS9_S6_EEENSD_IJSA_SA_EEENS0_18inequality_wrapperIZN2at6native12_GLOBAL__N_124unique_dim_cuda_templateIN3c104HalfEEESt5tupleIJNSH_6TensorESO_SO_EERKSO_lbbbEUlllE0_EEPmJS6_EEE10hipError_tPvRmT3_T4_T5_T6_T7_T9_mT8_P12ihipStream_tbDpT10_ENKUlT_T0_E_clISt17integral_constantIbLb1EES1E_EEDaS19_S1A_EUlS19_E_NS1_11comp_targetILNS1_3genE8ELNS1_11target_archE1030ELNS1_3gpuE2ELNS1_3repE0EEENS1_30default_config_static_selectorELNS0_4arch9wavefront6targetE1EEEvT1_
    .private_segment_fixed_size: 0
    .sgpr_count:     4
    .sgpr_spill_count: 0
    .symbol:         _ZN7rocprim17ROCPRIM_400000_NS6detail17trampoline_kernelINS0_14default_configENS1_25partition_config_selectorILNS1_17partition_subalgoE8ElNS0_10empty_typeEbEEZZNS1_14partition_implILS5_8ELb0ES3_jPlPS6_PKS6_NS0_5tupleIJS9_S6_EEENSD_IJSA_SA_EEENS0_18inequality_wrapperIZN2at6native12_GLOBAL__N_124unique_dim_cuda_templateIN3c104HalfEEESt5tupleIJNSH_6TensorESO_SO_EERKSO_lbbbEUlllE0_EEPmJS6_EEE10hipError_tPvRmT3_T4_T5_T6_T7_T9_mT8_P12ihipStream_tbDpT10_ENKUlT_T0_E_clISt17integral_constantIbLb1EES1E_EEDaS19_S1A_EUlS19_E_NS1_11comp_targetILNS1_3genE8ELNS1_11target_archE1030ELNS1_3gpuE2ELNS1_3repE0EEENS1_30default_config_static_selectorELNS0_4arch9wavefront6targetE1EEEvT1_.kd
    .uniform_work_group_size: 1
    .uses_dynamic_stack: false
    .vgpr_count:     0
    .vgpr_spill_count: 0
    .wavefront_size: 64
  - .agpr_count:     0
    .args:
      - .offset:         0
        .size:           120
        .value_kind:     by_value
    .group_segment_fixed_size: 0
    .kernarg_segment_align: 8
    .kernarg_segment_size: 120
    .language:       OpenCL C
    .language_version:
      - 2
      - 0
    .max_flat_workgroup_size: 512
    .name:           _ZN7rocprim17ROCPRIM_400000_NS6detail17trampoline_kernelINS0_14default_configENS1_25partition_config_selectorILNS1_17partition_subalgoE8ElNS0_10empty_typeEbEEZZNS1_14partition_implILS5_8ELb0ES3_jPlPS6_PKS6_NS0_5tupleIJS9_S6_EEENSD_IJSA_SA_EEENS0_18inequality_wrapperIZN2at6native12_GLOBAL__N_124unique_dim_cuda_templateIN3c104HalfEEESt5tupleIJNSH_6TensorESO_SO_EERKSO_lbbbEUlllE0_EEPmJS6_EEE10hipError_tPvRmT3_T4_T5_T6_T7_T9_mT8_P12ihipStream_tbDpT10_ENKUlT_T0_E_clISt17integral_constantIbLb1EES1D_IbLb0EEEEDaS19_S1A_EUlS19_E_NS1_11comp_targetILNS1_3genE0ELNS1_11target_archE4294967295ELNS1_3gpuE0ELNS1_3repE0EEENS1_30default_config_static_selectorELNS0_4arch9wavefront6targetE1EEEvT1_
    .private_segment_fixed_size: 0
    .sgpr_count:     4
    .sgpr_spill_count: 0
    .symbol:         _ZN7rocprim17ROCPRIM_400000_NS6detail17trampoline_kernelINS0_14default_configENS1_25partition_config_selectorILNS1_17partition_subalgoE8ElNS0_10empty_typeEbEEZZNS1_14partition_implILS5_8ELb0ES3_jPlPS6_PKS6_NS0_5tupleIJS9_S6_EEENSD_IJSA_SA_EEENS0_18inequality_wrapperIZN2at6native12_GLOBAL__N_124unique_dim_cuda_templateIN3c104HalfEEESt5tupleIJNSH_6TensorESO_SO_EERKSO_lbbbEUlllE0_EEPmJS6_EEE10hipError_tPvRmT3_T4_T5_T6_T7_T9_mT8_P12ihipStream_tbDpT10_ENKUlT_T0_E_clISt17integral_constantIbLb1EES1D_IbLb0EEEEDaS19_S1A_EUlS19_E_NS1_11comp_targetILNS1_3genE0ELNS1_11target_archE4294967295ELNS1_3gpuE0ELNS1_3repE0EEENS1_30default_config_static_selectorELNS0_4arch9wavefront6targetE1EEEvT1_.kd
    .uniform_work_group_size: 1
    .uses_dynamic_stack: false
    .vgpr_count:     0
    .vgpr_spill_count: 0
    .wavefront_size: 64
  - .agpr_count:     0
    .args:
      - .offset:         0
        .size:           120
        .value_kind:     by_value
    .group_segment_fixed_size: 0
    .kernarg_segment_align: 8
    .kernarg_segment_size: 120
    .language:       OpenCL C
    .language_version:
      - 2
      - 0
    .max_flat_workgroup_size: 512
    .name:           _ZN7rocprim17ROCPRIM_400000_NS6detail17trampoline_kernelINS0_14default_configENS1_25partition_config_selectorILNS1_17partition_subalgoE8ElNS0_10empty_typeEbEEZZNS1_14partition_implILS5_8ELb0ES3_jPlPS6_PKS6_NS0_5tupleIJS9_S6_EEENSD_IJSA_SA_EEENS0_18inequality_wrapperIZN2at6native12_GLOBAL__N_124unique_dim_cuda_templateIN3c104HalfEEESt5tupleIJNSH_6TensorESO_SO_EERKSO_lbbbEUlllE0_EEPmJS6_EEE10hipError_tPvRmT3_T4_T5_T6_T7_T9_mT8_P12ihipStream_tbDpT10_ENKUlT_T0_E_clISt17integral_constantIbLb1EES1D_IbLb0EEEEDaS19_S1A_EUlS19_E_NS1_11comp_targetILNS1_3genE5ELNS1_11target_archE942ELNS1_3gpuE9ELNS1_3repE0EEENS1_30default_config_static_selectorELNS0_4arch9wavefront6targetE1EEEvT1_
    .private_segment_fixed_size: 0
    .sgpr_count:     4
    .sgpr_spill_count: 0
    .symbol:         _ZN7rocprim17ROCPRIM_400000_NS6detail17trampoline_kernelINS0_14default_configENS1_25partition_config_selectorILNS1_17partition_subalgoE8ElNS0_10empty_typeEbEEZZNS1_14partition_implILS5_8ELb0ES3_jPlPS6_PKS6_NS0_5tupleIJS9_S6_EEENSD_IJSA_SA_EEENS0_18inequality_wrapperIZN2at6native12_GLOBAL__N_124unique_dim_cuda_templateIN3c104HalfEEESt5tupleIJNSH_6TensorESO_SO_EERKSO_lbbbEUlllE0_EEPmJS6_EEE10hipError_tPvRmT3_T4_T5_T6_T7_T9_mT8_P12ihipStream_tbDpT10_ENKUlT_T0_E_clISt17integral_constantIbLb1EES1D_IbLb0EEEEDaS19_S1A_EUlS19_E_NS1_11comp_targetILNS1_3genE5ELNS1_11target_archE942ELNS1_3gpuE9ELNS1_3repE0EEENS1_30default_config_static_selectorELNS0_4arch9wavefront6targetE1EEEvT1_.kd
    .uniform_work_group_size: 1
    .uses_dynamic_stack: false
    .vgpr_count:     0
    .vgpr_spill_count: 0
    .wavefront_size: 64
  - .agpr_count:     0
    .args:
      - .offset:         0
        .size:           120
        .value_kind:     by_value
    .group_segment_fixed_size: 10252
    .kernarg_segment_align: 8
    .kernarg_segment_size: 120
    .language:       OpenCL C
    .language_version:
      - 2
      - 0
    .max_flat_workgroup_size: 256
    .name:           _ZN7rocprim17ROCPRIM_400000_NS6detail17trampoline_kernelINS0_14default_configENS1_25partition_config_selectorILNS1_17partition_subalgoE8ElNS0_10empty_typeEbEEZZNS1_14partition_implILS5_8ELb0ES3_jPlPS6_PKS6_NS0_5tupleIJS9_S6_EEENSD_IJSA_SA_EEENS0_18inequality_wrapperIZN2at6native12_GLOBAL__N_124unique_dim_cuda_templateIN3c104HalfEEESt5tupleIJNSH_6TensorESO_SO_EERKSO_lbbbEUlllE0_EEPmJS6_EEE10hipError_tPvRmT3_T4_T5_T6_T7_T9_mT8_P12ihipStream_tbDpT10_ENKUlT_T0_E_clISt17integral_constantIbLb1EES1D_IbLb0EEEEDaS19_S1A_EUlS19_E_NS1_11comp_targetILNS1_3genE4ELNS1_11target_archE910ELNS1_3gpuE8ELNS1_3repE0EEENS1_30default_config_static_selectorELNS0_4arch9wavefront6targetE1EEEvT1_
    .private_segment_fixed_size: 0
    .sgpr_count:     52
    .sgpr_spill_count: 0
    .symbol:         _ZN7rocprim17ROCPRIM_400000_NS6detail17trampoline_kernelINS0_14default_configENS1_25partition_config_selectorILNS1_17partition_subalgoE8ElNS0_10empty_typeEbEEZZNS1_14partition_implILS5_8ELb0ES3_jPlPS6_PKS6_NS0_5tupleIJS9_S6_EEENSD_IJSA_SA_EEENS0_18inequality_wrapperIZN2at6native12_GLOBAL__N_124unique_dim_cuda_templateIN3c104HalfEEESt5tupleIJNSH_6TensorESO_SO_EERKSO_lbbbEUlllE0_EEPmJS6_EEE10hipError_tPvRmT3_T4_T5_T6_T7_T9_mT8_P12ihipStream_tbDpT10_ENKUlT_T0_E_clISt17integral_constantIbLb1EES1D_IbLb0EEEEDaS19_S1A_EUlS19_E_NS1_11comp_targetILNS1_3genE4ELNS1_11target_archE910ELNS1_3gpuE8ELNS1_3repE0EEENS1_30default_config_static_selectorELNS0_4arch9wavefront6targetE1EEEvT1_.kd
    .uniform_work_group_size: 1
    .uses_dynamic_stack: false
    .vgpr_count:     46
    .vgpr_spill_count: 0
    .wavefront_size: 64
  - .agpr_count:     0
    .args:
      - .offset:         0
        .size:           120
        .value_kind:     by_value
    .group_segment_fixed_size: 0
    .kernarg_segment_align: 8
    .kernarg_segment_size: 120
    .language:       OpenCL C
    .language_version:
      - 2
      - 0
    .max_flat_workgroup_size: 512
    .name:           _ZN7rocprim17ROCPRIM_400000_NS6detail17trampoline_kernelINS0_14default_configENS1_25partition_config_selectorILNS1_17partition_subalgoE8ElNS0_10empty_typeEbEEZZNS1_14partition_implILS5_8ELb0ES3_jPlPS6_PKS6_NS0_5tupleIJS9_S6_EEENSD_IJSA_SA_EEENS0_18inequality_wrapperIZN2at6native12_GLOBAL__N_124unique_dim_cuda_templateIN3c104HalfEEESt5tupleIJNSH_6TensorESO_SO_EERKSO_lbbbEUlllE0_EEPmJS6_EEE10hipError_tPvRmT3_T4_T5_T6_T7_T9_mT8_P12ihipStream_tbDpT10_ENKUlT_T0_E_clISt17integral_constantIbLb1EES1D_IbLb0EEEEDaS19_S1A_EUlS19_E_NS1_11comp_targetILNS1_3genE3ELNS1_11target_archE908ELNS1_3gpuE7ELNS1_3repE0EEENS1_30default_config_static_selectorELNS0_4arch9wavefront6targetE1EEEvT1_
    .private_segment_fixed_size: 0
    .sgpr_count:     4
    .sgpr_spill_count: 0
    .symbol:         _ZN7rocprim17ROCPRIM_400000_NS6detail17trampoline_kernelINS0_14default_configENS1_25partition_config_selectorILNS1_17partition_subalgoE8ElNS0_10empty_typeEbEEZZNS1_14partition_implILS5_8ELb0ES3_jPlPS6_PKS6_NS0_5tupleIJS9_S6_EEENSD_IJSA_SA_EEENS0_18inequality_wrapperIZN2at6native12_GLOBAL__N_124unique_dim_cuda_templateIN3c104HalfEEESt5tupleIJNSH_6TensorESO_SO_EERKSO_lbbbEUlllE0_EEPmJS6_EEE10hipError_tPvRmT3_T4_T5_T6_T7_T9_mT8_P12ihipStream_tbDpT10_ENKUlT_T0_E_clISt17integral_constantIbLb1EES1D_IbLb0EEEEDaS19_S1A_EUlS19_E_NS1_11comp_targetILNS1_3genE3ELNS1_11target_archE908ELNS1_3gpuE7ELNS1_3repE0EEENS1_30default_config_static_selectorELNS0_4arch9wavefront6targetE1EEEvT1_.kd
    .uniform_work_group_size: 1
    .uses_dynamic_stack: false
    .vgpr_count:     0
    .vgpr_spill_count: 0
    .wavefront_size: 64
  - .agpr_count:     0
    .args:
      - .offset:         0
        .size:           120
        .value_kind:     by_value
    .group_segment_fixed_size: 0
    .kernarg_segment_align: 8
    .kernarg_segment_size: 120
    .language:       OpenCL C
    .language_version:
      - 2
      - 0
    .max_flat_workgroup_size: 256
    .name:           _ZN7rocprim17ROCPRIM_400000_NS6detail17trampoline_kernelINS0_14default_configENS1_25partition_config_selectorILNS1_17partition_subalgoE8ElNS0_10empty_typeEbEEZZNS1_14partition_implILS5_8ELb0ES3_jPlPS6_PKS6_NS0_5tupleIJS9_S6_EEENSD_IJSA_SA_EEENS0_18inequality_wrapperIZN2at6native12_GLOBAL__N_124unique_dim_cuda_templateIN3c104HalfEEESt5tupleIJNSH_6TensorESO_SO_EERKSO_lbbbEUlllE0_EEPmJS6_EEE10hipError_tPvRmT3_T4_T5_T6_T7_T9_mT8_P12ihipStream_tbDpT10_ENKUlT_T0_E_clISt17integral_constantIbLb1EES1D_IbLb0EEEEDaS19_S1A_EUlS19_E_NS1_11comp_targetILNS1_3genE2ELNS1_11target_archE906ELNS1_3gpuE6ELNS1_3repE0EEENS1_30default_config_static_selectorELNS0_4arch9wavefront6targetE1EEEvT1_
    .private_segment_fixed_size: 0
    .sgpr_count:     4
    .sgpr_spill_count: 0
    .symbol:         _ZN7rocprim17ROCPRIM_400000_NS6detail17trampoline_kernelINS0_14default_configENS1_25partition_config_selectorILNS1_17partition_subalgoE8ElNS0_10empty_typeEbEEZZNS1_14partition_implILS5_8ELb0ES3_jPlPS6_PKS6_NS0_5tupleIJS9_S6_EEENSD_IJSA_SA_EEENS0_18inequality_wrapperIZN2at6native12_GLOBAL__N_124unique_dim_cuda_templateIN3c104HalfEEESt5tupleIJNSH_6TensorESO_SO_EERKSO_lbbbEUlllE0_EEPmJS6_EEE10hipError_tPvRmT3_T4_T5_T6_T7_T9_mT8_P12ihipStream_tbDpT10_ENKUlT_T0_E_clISt17integral_constantIbLb1EES1D_IbLb0EEEEDaS19_S1A_EUlS19_E_NS1_11comp_targetILNS1_3genE2ELNS1_11target_archE906ELNS1_3gpuE6ELNS1_3repE0EEENS1_30default_config_static_selectorELNS0_4arch9wavefront6targetE1EEEvT1_.kd
    .uniform_work_group_size: 1
    .uses_dynamic_stack: false
    .vgpr_count:     0
    .vgpr_spill_count: 0
    .wavefront_size: 64
  - .agpr_count:     0
    .args:
      - .offset:         0
        .size:           120
        .value_kind:     by_value
    .group_segment_fixed_size: 0
    .kernarg_segment_align: 8
    .kernarg_segment_size: 120
    .language:       OpenCL C
    .language_version:
      - 2
      - 0
    .max_flat_workgroup_size: 384
    .name:           _ZN7rocprim17ROCPRIM_400000_NS6detail17trampoline_kernelINS0_14default_configENS1_25partition_config_selectorILNS1_17partition_subalgoE8ElNS0_10empty_typeEbEEZZNS1_14partition_implILS5_8ELb0ES3_jPlPS6_PKS6_NS0_5tupleIJS9_S6_EEENSD_IJSA_SA_EEENS0_18inequality_wrapperIZN2at6native12_GLOBAL__N_124unique_dim_cuda_templateIN3c104HalfEEESt5tupleIJNSH_6TensorESO_SO_EERKSO_lbbbEUlllE0_EEPmJS6_EEE10hipError_tPvRmT3_T4_T5_T6_T7_T9_mT8_P12ihipStream_tbDpT10_ENKUlT_T0_E_clISt17integral_constantIbLb1EES1D_IbLb0EEEEDaS19_S1A_EUlS19_E_NS1_11comp_targetILNS1_3genE10ELNS1_11target_archE1200ELNS1_3gpuE4ELNS1_3repE0EEENS1_30default_config_static_selectorELNS0_4arch9wavefront6targetE1EEEvT1_
    .private_segment_fixed_size: 0
    .sgpr_count:     4
    .sgpr_spill_count: 0
    .symbol:         _ZN7rocprim17ROCPRIM_400000_NS6detail17trampoline_kernelINS0_14default_configENS1_25partition_config_selectorILNS1_17partition_subalgoE8ElNS0_10empty_typeEbEEZZNS1_14partition_implILS5_8ELb0ES3_jPlPS6_PKS6_NS0_5tupleIJS9_S6_EEENSD_IJSA_SA_EEENS0_18inequality_wrapperIZN2at6native12_GLOBAL__N_124unique_dim_cuda_templateIN3c104HalfEEESt5tupleIJNSH_6TensorESO_SO_EERKSO_lbbbEUlllE0_EEPmJS6_EEE10hipError_tPvRmT3_T4_T5_T6_T7_T9_mT8_P12ihipStream_tbDpT10_ENKUlT_T0_E_clISt17integral_constantIbLb1EES1D_IbLb0EEEEDaS19_S1A_EUlS19_E_NS1_11comp_targetILNS1_3genE10ELNS1_11target_archE1200ELNS1_3gpuE4ELNS1_3repE0EEENS1_30default_config_static_selectorELNS0_4arch9wavefront6targetE1EEEvT1_.kd
    .uniform_work_group_size: 1
    .uses_dynamic_stack: false
    .vgpr_count:     0
    .vgpr_spill_count: 0
    .wavefront_size: 64
  - .agpr_count:     0
    .args:
      - .offset:         0
        .size:           120
        .value_kind:     by_value
    .group_segment_fixed_size: 0
    .kernarg_segment_align: 8
    .kernarg_segment_size: 120
    .language:       OpenCL C
    .language_version:
      - 2
      - 0
    .max_flat_workgroup_size: 512
    .name:           _ZN7rocprim17ROCPRIM_400000_NS6detail17trampoline_kernelINS0_14default_configENS1_25partition_config_selectorILNS1_17partition_subalgoE8ElNS0_10empty_typeEbEEZZNS1_14partition_implILS5_8ELb0ES3_jPlPS6_PKS6_NS0_5tupleIJS9_S6_EEENSD_IJSA_SA_EEENS0_18inequality_wrapperIZN2at6native12_GLOBAL__N_124unique_dim_cuda_templateIN3c104HalfEEESt5tupleIJNSH_6TensorESO_SO_EERKSO_lbbbEUlllE0_EEPmJS6_EEE10hipError_tPvRmT3_T4_T5_T6_T7_T9_mT8_P12ihipStream_tbDpT10_ENKUlT_T0_E_clISt17integral_constantIbLb1EES1D_IbLb0EEEEDaS19_S1A_EUlS19_E_NS1_11comp_targetILNS1_3genE9ELNS1_11target_archE1100ELNS1_3gpuE3ELNS1_3repE0EEENS1_30default_config_static_selectorELNS0_4arch9wavefront6targetE1EEEvT1_
    .private_segment_fixed_size: 0
    .sgpr_count:     4
    .sgpr_spill_count: 0
    .symbol:         _ZN7rocprim17ROCPRIM_400000_NS6detail17trampoline_kernelINS0_14default_configENS1_25partition_config_selectorILNS1_17partition_subalgoE8ElNS0_10empty_typeEbEEZZNS1_14partition_implILS5_8ELb0ES3_jPlPS6_PKS6_NS0_5tupleIJS9_S6_EEENSD_IJSA_SA_EEENS0_18inequality_wrapperIZN2at6native12_GLOBAL__N_124unique_dim_cuda_templateIN3c104HalfEEESt5tupleIJNSH_6TensorESO_SO_EERKSO_lbbbEUlllE0_EEPmJS6_EEE10hipError_tPvRmT3_T4_T5_T6_T7_T9_mT8_P12ihipStream_tbDpT10_ENKUlT_T0_E_clISt17integral_constantIbLb1EES1D_IbLb0EEEEDaS19_S1A_EUlS19_E_NS1_11comp_targetILNS1_3genE9ELNS1_11target_archE1100ELNS1_3gpuE3ELNS1_3repE0EEENS1_30default_config_static_selectorELNS0_4arch9wavefront6targetE1EEEvT1_.kd
    .uniform_work_group_size: 1
    .uses_dynamic_stack: false
    .vgpr_count:     0
    .vgpr_spill_count: 0
    .wavefront_size: 64
  - .agpr_count:     0
    .args:
      - .offset:         0
        .size:           120
        .value_kind:     by_value
    .group_segment_fixed_size: 0
    .kernarg_segment_align: 8
    .kernarg_segment_size: 120
    .language:       OpenCL C
    .language_version:
      - 2
      - 0
    .max_flat_workgroup_size: 512
    .name:           _ZN7rocprim17ROCPRIM_400000_NS6detail17trampoline_kernelINS0_14default_configENS1_25partition_config_selectorILNS1_17partition_subalgoE8ElNS0_10empty_typeEbEEZZNS1_14partition_implILS5_8ELb0ES3_jPlPS6_PKS6_NS0_5tupleIJS9_S6_EEENSD_IJSA_SA_EEENS0_18inequality_wrapperIZN2at6native12_GLOBAL__N_124unique_dim_cuda_templateIN3c104HalfEEESt5tupleIJNSH_6TensorESO_SO_EERKSO_lbbbEUlllE0_EEPmJS6_EEE10hipError_tPvRmT3_T4_T5_T6_T7_T9_mT8_P12ihipStream_tbDpT10_ENKUlT_T0_E_clISt17integral_constantIbLb1EES1D_IbLb0EEEEDaS19_S1A_EUlS19_E_NS1_11comp_targetILNS1_3genE8ELNS1_11target_archE1030ELNS1_3gpuE2ELNS1_3repE0EEENS1_30default_config_static_selectorELNS0_4arch9wavefront6targetE1EEEvT1_
    .private_segment_fixed_size: 0
    .sgpr_count:     4
    .sgpr_spill_count: 0
    .symbol:         _ZN7rocprim17ROCPRIM_400000_NS6detail17trampoline_kernelINS0_14default_configENS1_25partition_config_selectorILNS1_17partition_subalgoE8ElNS0_10empty_typeEbEEZZNS1_14partition_implILS5_8ELb0ES3_jPlPS6_PKS6_NS0_5tupleIJS9_S6_EEENSD_IJSA_SA_EEENS0_18inequality_wrapperIZN2at6native12_GLOBAL__N_124unique_dim_cuda_templateIN3c104HalfEEESt5tupleIJNSH_6TensorESO_SO_EERKSO_lbbbEUlllE0_EEPmJS6_EEE10hipError_tPvRmT3_T4_T5_T6_T7_T9_mT8_P12ihipStream_tbDpT10_ENKUlT_T0_E_clISt17integral_constantIbLb1EES1D_IbLb0EEEEDaS19_S1A_EUlS19_E_NS1_11comp_targetILNS1_3genE8ELNS1_11target_archE1030ELNS1_3gpuE2ELNS1_3repE0EEENS1_30default_config_static_selectorELNS0_4arch9wavefront6targetE1EEEvT1_.kd
    .uniform_work_group_size: 1
    .uses_dynamic_stack: false
    .vgpr_count:     0
    .vgpr_spill_count: 0
    .wavefront_size: 64
  - .agpr_count:     0
    .args:
      - .offset:         0
        .size:           136
        .value_kind:     by_value
    .group_segment_fixed_size: 0
    .kernarg_segment_align: 8
    .kernarg_segment_size: 136
    .language:       OpenCL C
    .language_version:
      - 2
      - 0
    .max_flat_workgroup_size: 512
    .name:           _ZN7rocprim17ROCPRIM_400000_NS6detail17trampoline_kernelINS0_14default_configENS1_25partition_config_selectorILNS1_17partition_subalgoE8ElNS0_10empty_typeEbEEZZNS1_14partition_implILS5_8ELb0ES3_jPlPS6_PKS6_NS0_5tupleIJS9_S6_EEENSD_IJSA_SA_EEENS0_18inequality_wrapperIZN2at6native12_GLOBAL__N_124unique_dim_cuda_templateIN3c104HalfEEESt5tupleIJNSH_6TensorESO_SO_EERKSO_lbbbEUlllE0_EEPmJS6_EEE10hipError_tPvRmT3_T4_T5_T6_T7_T9_mT8_P12ihipStream_tbDpT10_ENKUlT_T0_E_clISt17integral_constantIbLb0EES1D_IbLb1EEEEDaS19_S1A_EUlS19_E_NS1_11comp_targetILNS1_3genE0ELNS1_11target_archE4294967295ELNS1_3gpuE0ELNS1_3repE0EEENS1_30default_config_static_selectorELNS0_4arch9wavefront6targetE1EEEvT1_
    .private_segment_fixed_size: 0
    .sgpr_count:     4
    .sgpr_spill_count: 0
    .symbol:         _ZN7rocprim17ROCPRIM_400000_NS6detail17trampoline_kernelINS0_14default_configENS1_25partition_config_selectorILNS1_17partition_subalgoE8ElNS0_10empty_typeEbEEZZNS1_14partition_implILS5_8ELb0ES3_jPlPS6_PKS6_NS0_5tupleIJS9_S6_EEENSD_IJSA_SA_EEENS0_18inequality_wrapperIZN2at6native12_GLOBAL__N_124unique_dim_cuda_templateIN3c104HalfEEESt5tupleIJNSH_6TensorESO_SO_EERKSO_lbbbEUlllE0_EEPmJS6_EEE10hipError_tPvRmT3_T4_T5_T6_T7_T9_mT8_P12ihipStream_tbDpT10_ENKUlT_T0_E_clISt17integral_constantIbLb0EES1D_IbLb1EEEEDaS19_S1A_EUlS19_E_NS1_11comp_targetILNS1_3genE0ELNS1_11target_archE4294967295ELNS1_3gpuE0ELNS1_3repE0EEENS1_30default_config_static_selectorELNS0_4arch9wavefront6targetE1EEEvT1_.kd
    .uniform_work_group_size: 1
    .uses_dynamic_stack: false
    .vgpr_count:     0
    .vgpr_spill_count: 0
    .wavefront_size: 64
  - .agpr_count:     0
    .args:
      - .offset:         0
        .size:           136
        .value_kind:     by_value
    .group_segment_fixed_size: 0
    .kernarg_segment_align: 8
    .kernarg_segment_size: 136
    .language:       OpenCL C
    .language_version:
      - 2
      - 0
    .max_flat_workgroup_size: 512
    .name:           _ZN7rocprim17ROCPRIM_400000_NS6detail17trampoline_kernelINS0_14default_configENS1_25partition_config_selectorILNS1_17partition_subalgoE8ElNS0_10empty_typeEbEEZZNS1_14partition_implILS5_8ELb0ES3_jPlPS6_PKS6_NS0_5tupleIJS9_S6_EEENSD_IJSA_SA_EEENS0_18inequality_wrapperIZN2at6native12_GLOBAL__N_124unique_dim_cuda_templateIN3c104HalfEEESt5tupleIJNSH_6TensorESO_SO_EERKSO_lbbbEUlllE0_EEPmJS6_EEE10hipError_tPvRmT3_T4_T5_T6_T7_T9_mT8_P12ihipStream_tbDpT10_ENKUlT_T0_E_clISt17integral_constantIbLb0EES1D_IbLb1EEEEDaS19_S1A_EUlS19_E_NS1_11comp_targetILNS1_3genE5ELNS1_11target_archE942ELNS1_3gpuE9ELNS1_3repE0EEENS1_30default_config_static_selectorELNS0_4arch9wavefront6targetE1EEEvT1_
    .private_segment_fixed_size: 0
    .sgpr_count:     4
    .sgpr_spill_count: 0
    .symbol:         _ZN7rocprim17ROCPRIM_400000_NS6detail17trampoline_kernelINS0_14default_configENS1_25partition_config_selectorILNS1_17partition_subalgoE8ElNS0_10empty_typeEbEEZZNS1_14partition_implILS5_8ELb0ES3_jPlPS6_PKS6_NS0_5tupleIJS9_S6_EEENSD_IJSA_SA_EEENS0_18inequality_wrapperIZN2at6native12_GLOBAL__N_124unique_dim_cuda_templateIN3c104HalfEEESt5tupleIJNSH_6TensorESO_SO_EERKSO_lbbbEUlllE0_EEPmJS6_EEE10hipError_tPvRmT3_T4_T5_T6_T7_T9_mT8_P12ihipStream_tbDpT10_ENKUlT_T0_E_clISt17integral_constantIbLb0EES1D_IbLb1EEEEDaS19_S1A_EUlS19_E_NS1_11comp_targetILNS1_3genE5ELNS1_11target_archE942ELNS1_3gpuE9ELNS1_3repE0EEENS1_30default_config_static_selectorELNS0_4arch9wavefront6targetE1EEEvT1_.kd
    .uniform_work_group_size: 1
    .uses_dynamic_stack: false
    .vgpr_count:     0
    .vgpr_spill_count: 0
    .wavefront_size: 64
  - .agpr_count:     0
    .args:
      - .offset:         0
        .size:           136
        .value_kind:     by_value
    .group_segment_fixed_size: 10252
    .kernarg_segment_align: 8
    .kernarg_segment_size: 136
    .language:       OpenCL C
    .language_version:
      - 2
      - 0
    .max_flat_workgroup_size: 256
    .name:           _ZN7rocprim17ROCPRIM_400000_NS6detail17trampoline_kernelINS0_14default_configENS1_25partition_config_selectorILNS1_17partition_subalgoE8ElNS0_10empty_typeEbEEZZNS1_14partition_implILS5_8ELb0ES3_jPlPS6_PKS6_NS0_5tupleIJS9_S6_EEENSD_IJSA_SA_EEENS0_18inequality_wrapperIZN2at6native12_GLOBAL__N_124unique_dim_cuda_templateIN3c104HalfEEESt5tupleIJNSH_6TensorESO_SO_EERKSO_lbbbEUlllE0_EEPmJS6_EEE10hipError_tPvRmT3_T4_T5_T6_T7_T9_mT8_P12ihipStream_tbDpT10_ENKUlT_T0_E_clISt17integral_constantIbLb0EES1D_IbLb1EEEEDaS19_S1A_EUlS19_E_NS1_11comp_targetILNS1_3genE4ELNS1_11target_archE910ELNS1_3gpuE8ELNS1_3repE0EEENS1_30default_config_static_selectorELNS0_4arch9wavefront6targetE1EEEvT1_
    .private_segment_fixed_size: 0
    .sgpr_count:     56
    .sgpr_spill_count: 0
    .symbol:         _ZN7rocprim17ROCPRIM_400000_NS6detail17trampoline_kernelINS0_14default_configENS1_25partition_config_selectorILNS1_17partition_subalgoE8ElNS0_10empty_typeEbEEZZNS1_14partition_implILS5_8ELb0ES3_jPlPS6_PKS6_NS0_5tupleIJS9_S6_EEENSD_IJSA_SA_EEENS0_18inequality_wrapperIZN2at6native12_GLOBAL__N_124unique_dim_cuda_templateIN3c104HalfEEESt5tupleIJNSH_6TensorESO_SO_EERKSO_lbbbEUlllE0_EEPmJS6_EEE10hipError_tPvRmT3_T4_T5_T6_T7_T9_mT8_P12ihipStream_tbDpT10_ENKUlT_T0_E_clISt17integral_constantIbLb0EES1D_IbLb1EEEEDaS19_S1A_EUlS19_E_NS1_11comp_targetILNS1_3genE4ELNS1_11target_archE910ELNS1_3gpuE8ELNS1_3repE0EEENS1_30default_config_static_selectorELNS0_4arch9wavefront6targetE1EEEvT1_.kd
    .uniform_work_group_size: 1
    .uses_dynamic_stack: false
    .vgpr_count:     46
    .vgpr_spill_count: 0
    .wavefront_size: 64
  - .agpr_count:     0
    .args:
      - .offset:         0
        .size:           136
        .value_kind:     by_value
    .group_segment_fixed_size: 0
    .kernarg_segment_align: 8
    .kernarg_segment_size: 136
    .language:       OpenCL C
    .language_version:
      - 2
      - 0
    .max_flat_workgroup_size: 512
    .name:           _ZN7rocprim17ROCPRIM_400000_NS6detail17trampoline_kernelINS0_14default_configENS1_25partition_config_selectorILNS1_17partition_subalgoE8ElNS0_10empty_typeEbEEZZNS1_14partition_implILS5_8ELb0ES3_jPlPS6_PKS6_NS0_5tupleIJS9_S6_EEENSD_IJSA_SA_EEENS0_18inequality_wrapperIZN2at6native12_GLOBAL__N_124unique_dim_cuda_templateIN3c104HalfEEESt5tupleIJNSH_6TensorESO_SO_EERKSO_lbbbEUlllE0_EEPmJS6_EEE10hipError_tPvRmT3_T4_T5_T6_T7_T9_mT8_P12ihipStream_tbDpT10_ENKUlT_T0_E_clISt17integral_constantIbLb0EES1D_IbLb1EEEEDaS19_S1A_EUlS19_E_NS1_11comp_targetILNS1_3genE3ELNS1_11target_archE908ELNS1_3gpuE7ELNS1_3repE0EEENS1_30default_config_static_selectorELNS0_4arch9wavefront6targetE1EEEvT1_
    .private_segment_fixed_size: 0
    .sgpr_count:     4
    .sgpr_spill_count: 0
    .symbol:         _ZN7rocprim17ROCPRIM_400000_NS6detail17trampoline_kernelINS0_14default_configENS1_25partition_config_selectorILNS1_17partition_subalgoE8ElNS0_10empty_typeEbEEZZNS1_14partition_implILS5_8ELb0ES3_jPlPS6_PKS6_NS0_5tupleIJS9_S6_EEENSD_IJSA_SA_EEENS0_18inequality_wrapperIZN2at6native12_GLOBAL__N_124unique_dim_cuda_templateIN3c104HalfEEESt5tupleIJNSH_6TensorESO_SO_EERKSO_lbbbEUlllE0_EEPmJS6_EEE10hipError_tPvRmT3_T4_T5_T6_T7_T9_mT8_P12ihipStream_tbDpT10_ENKUlT_T0_E_clISt17integral_constantIbLb0EES1D_IbLb1EEEEDaS19_S1A_EUlS19_E_NS1_11comp_targetILNS1_3genE3ELNS1_11target_archE908ELNS1_3gpuE7ELNS1_3repE0EEENS1_30default_config_static_selectorELNS0_4arch9wavefront6targetE1EEEvT1_.kd
    .uniform_work_group_size: 1
    .uses_dynamic_stack: false
    .vgpr_count:     0
    .vgpr_spill_count: 0
    .wavefront_size: 64
  - .agpr_count:     0
    .args:
      - .offset:         0
        .size:           136
        .value_kind:     by_value
    .group_segment_fixed_size: 0
    .kernarg_segment_align: 8
    .kernarg_segment_size: 136
    .language:       OpenCL C
    .language_version:
      - 2
      - 0
    .max_flat_workgroup_size: 256
    .name:           _ZN7rocprim17ROCPRIM_400000_NS6detail17trampoline_kernelINS0_14default_configENS1_25partition_config_selectorILNS1_17partition_subalgoE8ElNS0_10empty_typeEbEEZZNS1_14partition_implILS5_8ELb0ES3_jPlPS6_PKS6_NS0_5tupleIJS9_S6_EEENSD_IJSA_SA_EEENS0_18inequality_wrapperIZN2at6native12_GLOBAL__N_124unique_dim_cuda_templateIN3c104HalfEEESt5tupleIJNSH_6TensorESO_SO_EERKSO_lbbbEUlllE0_EEPmJS6_EEE10hipError_tPvRmT3_T4_T5_T6_T7_T9_mT8_P12ihipStream_tbDpT10_ENKUlT_T0_E_clISt17integral_constantIbLb0EES1D_IbLb1EEEEDaS19_S1A_EUlS19_E_NS1_11comp_targetILNS1_3genE2ELNS1_11target_archE906ELNS1_3gpuE6ELNS1_3repE0EEENS1_30default_config_static_selectorELNS0_4arch9wavefront6targetE1EEEvT1_
    .private_segment_fixed_size: 0
    .sgpr_count:     4
    .sgpr_spill_count: 0
    .symbol:         _ZN7rocprim17ROCPRIM_400000_NS6detail17trampoline_kernelINS0_14default_configENS1_25partition_config_selectorILNS1_17partition_subalgoE8ElNS0_10empty_typeEbEEZZNS1_14partition_implILS5_8ELb0ES3_jPlPS6_PKS6_NS0_5tupleIJS9_S6_EEENSD_IJSA_SA_EEENS0_18inequality_wrapperIZN2at6native12_GLOBAL__N_124unique_dim_cuda_templateIN3c104HalfEEESt5tupleIJNSH_6TensorESO_SO_EERKSO_lbbbEUlllE0_EEPmJS6_EEE10hipError_tPvRmT3_T4_T5_T6_T7_T9_mT8_P12ihipStream_tbDpT10_ENKUlT_T0_E_clISt17integral_constantIbLb0EES1D_IbLb1EEEEDaS19_S1A_EUlS19_E_NS1_11comp_targetILNS1_3genE2ELNS1_11target_archE906ELNS1_3gpuE6ELNS1_3repE0EEENS1_30default_config_static_selectorELNS0_4arch9wavefront6targetE1EEEvT1_.kd
    .uniform_work_group_size: 1
    .uses_dynamic_stack: false
    .vgpr_count:     0
    .vgpr_spill_count: 0
    .wavefront_size: 64
  - .agpr_count:     0
    .args:
      - .offset:         0
        .size:           136
        .value_kind:     by_value
    .group_segment_fixed_size: 0
    .kernarg_segment_align: 8
    .kernarg_segment_size: 136
    .language:       OpenCL C
    .language_version:
      - 2
      - 0
    .max_flat_workgroup_size: 384
    .name:           _ZN7rocprim17ROCPRIM_400000_NS6detail17trampoline_kernelINS0_14default_configENS1_25partition_config_selectorILNS1_17partition_subalgoE8ElNS0_10empty_typeEbEEZZNS1_14partition_implILS5_8ELb0ES3_jPlPS6_PKS6_NS0_5tupleIJS9_S6_EEENSD_IJSA_SA_EEENS0_18inequality_wrapperIZN2at6native12_GLOBAL__N_124unique_dim_cuda_templateIN3c104HalfEEESt5tupleIJNSH_6TensorESO_SO_EERKSO_lbbbEUlllE0_EEPmJS6_EEE10hipError_tPvRmT3_T4_T5_T6_T7_T9_mT8_P12ihipStream_tbDpT10_ENKUlT_T0_E_clISt17integral_constantIbLb0EES1D_IbLb1EEEEDaS19_S1A_EUlS19_E_NS1_11comp_targetILNS1_3genE10ELNS1_11target_archE1200ELNS1_3gpuE4ELNS1_3repE0EEENS1_30default_config_static_selectorELNS0_4arch9wavefront6targetE1EEEvT1_
    .private_segment_fixed_size: 0
    .sgpr_count:     4
    .sgpr_spill_count: 0
    .symbol:         _ZN7rocprim17ROCPRIM_400000_NS6detail17trampoline_kernelINS0_14default_configENS1_25partition_config_selectorILNS1_17partition_subalgoE8ElNS0_10empty_typeEbEEZZNS1_14partition_implILS5_8ELb0ES3_jPlPS6_PKS6_NS0_5tupleIJS9_S6_EEENSD_IJSA_SA_EEENS0_18inequality_wrapperIZN2at6native12_GLOBAL__N_124unique_dim_cuda_templateIN3c104HalfEEESt5tupleIJNSH_6TensorESO_SO_EERKSO_lbbbEUlllE0_EEPmJS6_EEE10hipError_tPvRmT3_T4_T5_T6_T7_T9_mT8_P12ihipStream_tbDpT10_ENKUlT_T0_E_clISt17integral_constantIbLb0EES1D_IbLb1EEEEDaS19_S1A_EUlS19_E_NS1_11comp_targetILNS1_3genE10ELNS1_11target_archE1200ELNS1_3gpuE4ELNS1_3repE0EEENS1_30default_config_static_selectorELNS0_4arch9wavefront6targetE1EEEvT1_.kd
    .uniform_work_group_size: 1
    .uses_dynamic_stack: false
    .vgpr_count:     0
    .vgpr_spill_count: 0
    .wavefront_size: 64
  - .agpr_count:     0
    .args:
      - .offset:         0
        .size:           136
        .value_kind:     by_value
    .group_segment_fixed_size: 0
    .kernarg_segment_align: 8
    .kernarg_segment_size: 136
    .language:       OpenCL C
    .language_version:
      - 2
      - 0
    .max_flat_workgroup_size: 512
    .name:           _ZN7rocprim17ROCPRIM_400000_NS6detail17trampoline_kernelINS0_14default_configENS1_25partition_config_selectorILNS1_17partition_subalgoE8ElNS0_10empty_typeEbEEZZNS1_14partition_implILS5_8ELb0ES3_jPlPS6_PKS6_NS0_5tupleIJS9_S6_EEENSD_IJSA_SA_EEENS0_18inequality_wrapperIZN2at6native12_GLOBAL__N_124unique_dim_cuda_templateIN3c104HalfEEESt5tupleIJNSH_6TensorESO_SO_EERKSO_lbbbEUlllE0_EEPmJS6_EEE10hipError_tPvRmT3_T4_T5_T6_T7_T9_mT8_P12ihipStream_tbDpT10_ENKUlT_T0_E_clISt17integral_constantIbLb0EES1D_IbLb1EEEEDaS19_S1A_EUlS19_E_NS1_11comp_targetILNS1_3genE9ELNS1_11target_archE1100ELNS1_3gpuE3ELNS1_3repE0EEENS1_30default_config_static_selectorELNS0_4arch9wavefront6targetE1EEEvT1_
    .private_segment_fixed_size: 0
    .sgpr_count:     4
    .sgpr_spill_count: 0
    .symbol:         _ZN7rocprim17ROCPRIM_400000_NS6detail17trampoline_kernelINS0_14default_configENS1_25partition_config_selectorILNS1_17partition_subalgoE8ElNS0_10empty_typeEbEEZZNS1_14partition_implILS5_8ELb0ES3_jPlPS6_PKS6_NS0_5tupleIJS9_S6_EEENSD_IJSA_SA_EEENS0_18inequality_wrapperIZN2at6native12_GLOBAL__N_124unique_dim_cuda_templateIN3c104HalfEEESt5tupleIJNSH_6TensorESO_SO_EERKSO_lbbbEUlllE0_EEPmJS6_EEE10hipError_tPvRmT3_T4_T5_T6_T7_T9_mT8_P12ihipStream_tbDpT10_ENKUlT_T0_E_clISt17integral_constantIbLb0EES1D_IbLb1EEEEDaS19_S1A_EUlS19_E_NS1_11comp_targetILNS1_3genE9ELNS1_11target_archE1100ELNS1_3gpuE3ELNS1_3repE0EEENS1_30default_config_static_selectorELNS0_4arch9wavefront6targetE1EEEvT1_.kd
    .uniform_work_group_size: 1
    .uses_dynamic_stack: false
    .vgpr_count:     0
    .vgpr_spill_count: 0
    .wavefront_size: 64
  - .agpr_count:     0
    .args:
      - .offset:         0
        .size:           136
        .value_kind:     by_value
    .group_segment_fixed_size: 0
    .kernarg_segment_align: 8
    .kernarg_segment_size: 136
    .language:       OpenCL C
    .language_version:
      - 2
      - 0
    .max_flat_workgroup_size: 512
    .name:           _ZN7rocprim17ROCPRIM_400000_NS6detail17trampoline_kernelINS0_14default_configENS1_25partition_config_selectorILNS1_17partition_subalgoE8ElNS0_10empty_typeEbEEZZNS1_14partition_implILS5_8ELb0ES3_jPlPS6_PKS6_NS0_5tupleIJS9_S6_EEENSD_IJSA_SA_EEENS0_18inequality_wrapperIZN2at6native12_GLOBAL__N_124unique_dim_cuda_templateIN3c104HalfEEESt5tupleIJNSH_6TensorESO_SO_EERKSO_lbbbEUlllE0_EEPmJS6_EEE10hipError_tPvRmT3_T4_T5_T6_T7_T9_mT8_P12ihipStream_tbDpT10_ENKUlT_T0_E_clISt17integral_constantIbLb0EES1D_IbLb1EEEEDaS19_S1A_EUlS19_E_NS1_11comp_targetILNS1_3genE8ELNS1_11target_archE1030ELNS1_3gpuE2ELNS1_3repE0EEENS1_30default_config_static_selectorELNS0_4arch9wavefront6targetE1EEEvT1_
    .private_segment_fixed_size: 0
    .sgpr_count:     4
    .sgpr_spill_count: 0
    .symbol:         _ZN7rocprim17ROCPRIM_400000_NS6detail17trampoline_kernelINS0_14default_configENS1_25partition_config_selectorILNS1_17partition_subalgoE8ElNS0_10empty_typeEbEEZZNS1_14partition_implILS5_8ELb0ES3_jPlPS6_PKS6_NS0_5tupleIJS9_S6_EEENSD_IJSA_SA_EEENS0_18inequality_wrapperIZN2at6native12_GLOBAL__N_124unique_dim_cuda_templateIN3c104HalfEEESt5tupleIJNSH_6TensorESO_SO_EERKSO_lbbbEUlllE0_EEPmJS6_EEE10hipError_tPvRmT3_T4_T5_T6_T7_T9_mT8_P12ihipStream_tbDpT10_ENKUlT_T0_E_clISt17integral_constantIbLb0EES1D_IbLb1EEEEDaS19_S1A_EUlS19_E_NS1_11comp_targetILNS1_3genE8ELNS1_11target_archE1030ELNS1_3gpuE2ELNS1_3repE0EEENS1_30default_config_static_selectorELNS0_4arch9wavefront6targetE1EEEvT1_.kd
    .uniform_work_group_size: 1
    .uses_dynamic_stack: false
    .vgpr_count:     0
    .vgpr_spill_count: 0
    .wavefront_size: 64
  - .agpr_count:     0
    .args:
      - .offset:         0
        .size:           120
        .value_kind:     by_value
    .group_segment_fixed_size: 0
    .kernarg_segment_align: 8
    .kernarg_segment_size: 120
    .language:       OpenCL C
    .language_version:
      - 2
      - 0
    .max_flat_workgroup_size: 128
    .name:           _ZN7rocprim17ROCPRIM_400000_NS6detail17trampoline_kernelINS0_14default_configENS1_25partition_config_selectorILNS1_17partition_subalgoE9EllbEEZZNS1_14partition_implILS5_9ELb0ES3_jPlS8_PNS0_10empty_typeENS0_5tupleIJS8_S9_EEENSB_IJS8_SA_EEENS0_18inequality_wrapperIZN2at6native12_GLOBAL__N_124unique_dim_cuda_templateIN3c104HalfEEESt5tupleIJNSF_6TensorESM_SM_EERKSM_lbbbEUlllE0_EEPmJS9_EEE10hipError_tPvRmT3_T4_T5_T6_T7_T9_mT8_P12ihipStream_tbDpT10_ENKUlT_T0_E_clISt17integral_constantIbLb0EES1C_EEDaS17_S18_EUlS17_E_NS1_11comp_targetILNS1_3genE0ELNS1_11target_archE4294967295ELNS1_3gpuE0ELNS1_3repE0EEENS1_30default_config_static_selectorELNS0_4arch9wavefront6targetE1EEEvT1_
    .private_segment_fixed_size: 0
    .sgpr_count:     4
    .sgpr_spill_count: 0
    .symbol:         _ZN7rocprim17ROCPRIM_400000_NS6detail17trampoline_kernelINS0_14default_configENS1_25partition_config_selectorILNS1_17partition_subalgoE9EllbEEZZNS1_14partition_implILS5_9ELb0ES3_jPlS8_PNS0_10empty_typeENS0_5tupleIJS8_S9_EEENSB_IJS8_SA_EEENS0_18inequality_wrapperIZN2at6native12_GLOBAL__N_124unique_dim_cuda_templateIN3c104HalfEEESt5tupleIJNSF_6TensorESM_SM_EERKSM_lbbbEUlllE0_EEPmJS9_EEE10hipError_tPvRmT3_T4_T5_T6_T7_T9_mT8_P12ihipStream_tbDpT10_ENKUlT_T0_E_clISt17integral_constantIbLb0EES1C_EEDaS17_S18_EUlS17_E_NS1_11comp_targetILNS1_3genE0ELNS1_11target_archE4294967295ELNS1_3gpuE0ELNS1_3repE0EEENS1_30default_config_static_selectorELNS0_4arch9wavefront6targetE1EEEvT1_.kd
    .uniform_work_group_size: 1
    .uses_dynamic_stack: false
    .vgpr_count:     0
    .vgpr_spill_count: 0
    .wavefront_size: 64
  - .agpr_count:     0
    .args:
      - .offset:         0
        .size:           120
        .value_kind:     by_value
    .group_segment_fixed_size: 0
    .kernarg_segment_align: 8
    .kernarg_segment_size: 120
    .language:       OpenCL C
    .language_version:
      - 2
      - 0
    .max_flat_workgroup_size: 512
    .name:           _ZN7rocprim17ROCPRIM_400000_NS6detail17trampoline_kernelINS0_14default_configENS1_25partition_config_selectorILNS1_17partition_subalgoE9EllbEEZZNS1_14partition_implILS5_9ELb0ES3_jPlS8_PNS0_10empty_typeENS0_5tupleIJS8_S9_EEENSB_IJS8_SA_EEENS0_18inequality_wrapperIZN2at6native12_GLOBAL__N_124unique_dim_cuda_templateIN3c104HalfEEESt5tupleIJNSF_6TensorESM_SM_EERKSM_lbbbEUlllE0_EEPmJS9_EEE10hipError_tPvRmT3_T4_T5_T6_T7_T9_mT8_P12ihipStream_tbDpT10_ENKUlT_T0_E_clISt17integral_constantIbLb0EES1C_EEDaS17_S18_EUlS17_E_NS1_11comp_targetILNS1_3genE5ELNS1_11target_archE942ELNS1_3gpuE9ELNS1_3repE0EEENS1_30default_config_static_selectorELNS0_4arch9wavefront6targetE1EEEvT1_
    .private_segment_fixed_size: 0
    .sgpr_count:     4
    .sgpr_spill_count: 0
    .symbol:         _ZN7rocprim17ROCPRIM_400000_NS6detail17trampoline_kernelINS0_14default_configENS1_25partition_config_selectorILNS1_17partition_subalgoE9EllbEEZZNS1_14partition_implILS5_9ELb0ES3_jPlS8_PNS0_10empty_typeENS0_5tupleIJS8_S9_EEENSB_IJS8_SA_EEENS0_18inequality_wrapperIZN2at6native12_GLOBAL__N_124unique_dim_cuda_templateIN3c104HalfEEESt5tupleIJNSF_6TensorESM_SM_EERKSM_lbbbEUlllE0_EEPmJS9_EEE10hipError_tPvRmT3_T4_T5_T6_T7_T9_mT8_P12ihipStream_tbDpT10_ENKUlT_T0_E_clISt17integral_constantIbLb0EES1C_EEDaS17_S18_EUlS17_E_NS1_11comp_targetILNS1_3genE5ELNS1_11target_archE942ELNS1_3gpuE9ELNS1_3repE0EEENS1_30default_config_static_selectorELNS0_4arch9wavefront6targetE1EEEvT1_.kd
    .uniform_work_group_size: 1
    .uses_dynamic_stack: false
    .vgpr_count:     0
    .vgpr_spill_count: 0
    .wavefront_size: 64
  - .agpr_count:     0
    .args:
      - .offset:         0
        .size:           120
        .value_kind:     by_value
    .group_segment_fixed_size: 4236
    .kernarg_segment_align: 8
    .kernarg_segment_size: 120
    .language:       OpenCL C
    .language_version:
      - 2
      - 0
    .max_flat_workgroup_size: 128
    .name:           _ZN7rocprim17ROCPRIM_400000_NS6detail17trampoline_kernelINS0_14default_configENS1_25partition_config_selectorILNS1_17partition_subalgoE9EllbEEZZNS1_14partition_implILS5_9ELb0ES3_jPlS8_PNS0_10empty_typeENS0_5tupleIJS8_S9_EEENSB_IJS8_SA_EEENS0_18inequality_wrapperIZN2at6native12_GLOBAL__N_124unique_dim_cuda_templateIN3c104HalfEEESt5tupleIJNSF_6TensorESM_SM_EERKSM_lbbbEUlllE0_EEPmJS9_EEE10hipError_tPvRmT3_T4_T5_T6_T7_T9_mT8_P12ihipStream_tbDpT10_ENKUlT_T0_E_clISt17integral_constantIbLb0EES1C_EEDaS17_S18_EUlS17_E_NS1_11comp_targetILNS1_3genE4ELNS1_11target_archE910ELNS1_3gpuE8ELNS1_3repE0EEENS1_30default_config_static_selectorELNS0_4arch9wavefront6targetE1EEEvT1_
    .private_segment_fixed_size: 0
    .sgpr_count:     50
    .sgpr_spill_count: 0
    .symbol:         _ZN7rocprim17ROCPRIM_400000_NS6detail17trampoline_kernelINS0_14default_configENS1_25partition_config_selectorILNS1_17partition_subalgoE9EllbEEZZNS1_14partition_implILS5_9ELb0ES3_jPlS8_PNS0_10empty_typeENS0_5tupleIJS8_S9_EEENSB_IJS8_SA_EEENS0_18inequality_wrapperIZN2at6native12_GLOBAL__N_124unique_dim_cuda_templateIN3c104HalfEEESt5tupleIJNSF_6TensorESM_SM_EERKSM_lbbbEUlllE0_EEPmJS9_EEE10hipError_tPvRmT3_T4_T5_T6_T7_T9_mT8_P12ihipStream_tbDpT10_ENKUlT_T0_E_clISt17integral_constantIbLb0EES1C_EEDaS17_S18_EUlS17_E_NS1_11comp_targetILNS1_3genE4ELNS1_11target_archE910ELNS1_3gpuE8ELNS1_3repE0EEENS1_30default_config_static_selectorELNS0_4arch9wavefront6targetE1EEEvT1_.kd
    .uniform_work_group_size: 1
    .uses_dynamic_stack: false
    .vgpr_count:     50
    .vgpr_spill_count: 0
    .wavefront_size: 64
  - .agpr_count:     0
    .args:
      - .offset:         0
        .size:           120
        .value_kind:     by_value
    .group_segment_fixed_size: 0
    .kernarg_segment_align: 8
    .kernarg_segment_size: 120
    .language:       OpenCL C
    .language_version:
      - 2
      - 0
    .max_flat_workgroup_size: 128
    .name:           _ZN7rocprim17ROCPRIM_400000_NS6detail17trampoline_kernelINS0_14default_configENS1_25partition_config_selectorILNS1_17partition_subalgoE9EllbEEZZNS1_14partition_implILS5_9ELb0ES3_jPlS8_PNS0_10empty_typeENS0_5tupleIJS8_S9_EEENSB_IJS8_SA_EEENS0_18inequality_wrapperIZN2at6native12_GLOBAL__N_124unique_dim_cuda_templateIN3c104HalfEEESt5tupleIJNSF_6TensorESM_SM_EERKSM_lbbbEUlllE0_EEPmJS9_EEE10hipError_tPvRmT3_T4_T5_T6_T7_T9_mT8_P12ihipStream_tbDpT10_ENKUlT_T0_E_clISt17integral_constantIbLb0EES1C_EEDaS17_S18_EUlS17_E_NS1_11comp_targetILNS1_3genE3ELNS1_11target_archE908ELNS1_3gpuE7ELNS1_3repE0EEENS1_30default_config_static_selectorELNS0_4arch9wavefront6targetE1EEEvT1_
    .private_segment_fixed_size: 0
    .sgpr_count:     4
    .sgpr_spill_count: 0
    .symbol:         _ZN7rocprim17ROCPRIM_400000_NS6detail17trampoline_kernelINS0_14default_configENS1_25partition_config_selectorILNS1_17partition_subalgoE9EllbEEZZNS1_14partition_implILS5_9ELb0ES3_jPlS8_PNS0_10empty_typeENS0_5tupleIJS8_S9_EEENSB_IJS8_SA_EEENS0_18inequality_wrapperIZN2at6native12_GLOBAL__N_124unique_dim_cuda_templateIN3c104HalfEEESt5tupleIJNSF_6TensorESM_SM_EERKSM_lbbbEUlllE0_EEPmJS9_EEE10hipError_tPvRmT3_T4_T5_T6_T7_T9_mT8_P12ihipStream_tbDpT10_ENKUlT_T0_E_clISt17integral_constantIbLb0EES1C_EEDaS17_S18_EUlS17_E_NS1_11comp_targetILNS1_3genE3ELNS1_11target_archE908ELNS1_3gpuE7ELNS1_3repE0EEENS1_30default_config_static_selectorELNS0_4arch9wavefront6targetE1EEEvT1_.kd
    .uniform_work_group_size: 1
    .uses_dynamic_stack: false
    .vgpr_count:     0
    .vgpr_spill_count: 0
    .wavefront_size: 64
  - .agpr_count:     0
    .args:
      - .offset:         0
        .size:           120
        .value_kind:     by_value
    .group_segment_fixed_size: 0
    .kernarg_segment_align: 8
    .kernarg_segment_size: 120
    .language:       OpenCL C
    .language_version:
      - 2
      - 0
    .max_flat_workgroup_size: 192
    .name:           _ZN7rocprim17ROCPRIM_400000_NS6detail17trampoline_kernelINS0_14default_configENS1_25partition_config_selectorILNS1_17partition_subalgoE9EllbEEZZNS1_14partition_implILS5_9ELb0ES3_jPlS8_PNS0_10empty_typeENS0_5tupleIJS8_S9_EEENSB_IJS8_SA_EEENS0_18inequality_wrapperIZN2at6native12_GLOBAL__N_124unique_dim_cuda_templateIN3c104HalfEEESt5tupleIJNSF_6TensorESM_SM_EERKSM_lbbbEUlllE0_EEPmJS9_EEE10hipError_tPvRmT3_T4_T5_T6_T7_T9_mT8_P12ihipStream_tbDpT10_ENKUlT_T0_E_clISt17integral_constantIbLb0EES1C_EEDaS17_S18_EUlS17_E_NS1_11comp_targetILNS1_3genE2ELNS1_11target_archE906ELNS1_3gpuE6ELNS1_3repE0EEENS1_30default_config_static_selectorELNS0_4arch9wavefront6targetE1EEEvT1_
    .private_segment_fixed_size: 0
    .sgpr_count:     4
    .sgpr_spill_count: 0
    .symbol:         _ZN7rocprim17ROCPRIM_400000_NS6detail17trampoline_kernelINS0_14default_configENS1_25partition_config_selectorILNS1_17partition_subalgoE9EllbEEZZNS1_14partition_implILS5_9ELb0ES3_jPlS8_PNS0_10empty_typeENS0_5tupleIJS8_S9_EEENSB_IJS8_SA_EEENS0_18inequality_wrapperIZN2at6native12_GLOBAL__N_124unique_dim_cuda_templateIN3c104HalfEEESt5tupleIJNSF_6TensorESM_SM_EERKSM_lbbbEUlllE0_EEPmJS9_EEE10hipError_tPvRmT3_T4_T5_T6_T7_T9_mT8_P12ihipStream_tbDpT10_ENKUlT_T0_E_clISt17integral_constantIbLb0EES1C_EEDaS17_S18_EUlS17_E_NS1_11comp_targetILNS1_3genE2ELNS1_11target_archE906ELNS1_3gpuE6ELNS1_3repE0EEENS1_30default_config_static_selectorELNS0_4arch9wavefront6targetE1EEEvT1_.kd
    .uniform_work_group_size: 1
    .uses_dynamic_stack: false
    .vgpr_count:     0
    .vgpr_spill_count: 0
    .wavefront_size: 64
  - .agpr_count:     0
    .args:
      - .offset:         0
        .size:           120
        .value_kind:     by_value
    .group_segment_fixed_size: 0
    .kernarg_segment_align: 8
    .kernarg_segment_size: 120
    .language:       OpenCL C
    .language_version:
      - 2
      - 0
    .max_flat_workgroup_size: 384
    .name:           _ZN7rocprim17ROCPRIM_400000_NS6detail17trampoline_kernelINS0_14default_configENS1_25partition_config_selectorILNS1_17partition_subalgoE9EllbEEZZNS1_14partition_implILS5_9ELb0ES3_jPlS8_PNS0_10empty_typeENS0_5tupleIJS8_S9_EEENSB_IJS8_SA_EEENS0_18inequality_wrapperIZN2at6native12_GLOBAL__N_124unique_dim_cuda_templateIN3c104HalfEEESt5tupleIJNSF_6TensorESM_SM_EERKSM_lbbbEUlllE0_EEPmJS9_EEE10hipError_tPvRmT3_T4_T5_T6_T7_T9_mT8_P12ihipStream_tbDpT10_ENKUlT_T0_E_clISt17integral_constantIbLb0EES1C_EEDaS17_S18_EUlS17_E_NS1_11comp_targetILNS1_3genE10ELNS1_11target_archE1200ELNS1_3gpuE4ELNS1_3repE0EEENS1_30default_config_static_selectorELNS0_4arch9wavefront6targetE1EEEvT1_
    .private_segment_fixed_size: 0
    .sgpr_count:     4
    .sgpr_spill_count: 0
    .symbol:         _ZN7rocprim17ROCPRIM_400000_NS6detail17trampoline_kernelINS0_14default_configENS1_25partition_config_selectorILNS1_17partition_subalgoE9EllbEEZZNS1_14partition_implILS5_9ELb0ES3_jPlS8_PNS0_10empty_typeENS0_5tupleIJS8_S9_EEENSB_IJS8_SA_EEENS0_18inequality_wrapperIZN2at6native12_GLOBAL__N_124unique_dim_cuda_templateIN3c104HalfEEESt5tupleIJNSF_6TensorESM_SM_EERKSM_lbbbEUlllE0_EEPmJS9_EEE10hipError_tPvRmT3_T4_T5_T6_T7_T9_mT8_P12ihipStream_tbDpT10_ENKUlT_T0_E_clISt17integral_constantIbLb0EES1C_EEDaS17_S18_EUlS17_E_NS1_11comp_targetILNS1_3genE10ELNS1_11target_archE1200ELNS1_3gpuE4ELNS1_3repE0EEENS1_30default_config_static_selectorELNS0_4arch9wavefront6targetE1EEEvT1_.kd
    .uniform_work_group_size: 1
    .uses_dynamic_stack: false
    .vgpr_count:     0
    .vgpr_spill_count: 0
    .wavefront_size: 64
  - .agpr_count:     0
    .args:
      - .offset:         0
        .size:           120
        .value_kind:     by_value
    .group_segment_fixed_size: 0
    .kernarg_segment_align: 8
    .kernarg_segment_size: 120
    .language:       OpenCL C
    .language_version:
      - 2
      - 0
    .max_flat_workgroup_size: 512
    .name:           _ZN7rocprim17ROCPRIM_400000_NS6detail17trampoline_kernelINS0_14default_configENS1_25partition_config_selectorILNS1_17partition_subalgoE9EllbEEZZNS1_14partition_implILS5_9ELb0ES3_jPlS8_PNS0_10empty_typeENS0_5tupleIJS8_S9_EEENSB_IJS8_SA_EEENS0_18inequality_wrapperIZN2at6native12_GLOBAL__N_124unique_dim_cuda_templateIN3c104HalfEEESt5tupleIJNSF_6TensorESM_SM_EERKSM_lbbbEUlllE0_EEPmJS9_EEE10hipError_tPvRmT3_T4_T5_T6_T7_T9_mT8_P12ihipStream_tbDpT10_ENKUlT_T0_E_clISt17integral_constantIbLb0EES1C_EEDaS17_S18_EUlS17_E_NS1_11comp_targetILNS1_3genE9ELNS1_11target_archE1100ELNS1_3gpuE3ELNS1_3repE0EEENS1_30default_config_static_selectorELNS0_4arch9wavefront6targetE1EEEvT1_
    .private_segment_fixed_size: 0
    .sgpr_count:     4
    .sgpr_spill_count: 0
    .symbol:         _ZN7rocprim17ROCPRIM_400000_NS6detail17trampoline_kernelINS0_14default_configENS1_25partition_config_selectorILNS1_17partition_subalgoE9EllbEEZZNS1_14partition_implILS5_9ELb0ES3_jPlS8_PNS0_10empty_typeENS0_5tupleIJS8_S9_EEENSB_IJS8_SA_EEENS0_18inequality_wrapperIZN2at6native12_GLOBAL__N_124unique_dim_cuda_templateIN3c104HalfEEESt5tupleIJNSF_6TensorESM_SM_EERKSM_lbbbEUlllE0_EEPmJS9_EEE10hipError_tPvRmT3_T4_T5_T6_T7_T9_mT8_P12ihipStream_tbDpT10_ENKUlT_T0_E_clISt17integral_constantIbLb0EES1C_EEDaS17_S18_EUlS17_E_NS1_11comp_targetILNS1_3genE9ELNS1_11target_archE1100ELNS1_3gpuE3ELNS1_3repE0EEENS1_30default_config_static_selectorELNS0_4arch9wavefront6targetE1EEEvT1_.kd
    .uniform_work_group_size: 1
    .uses_dynamic_stack: false
    .vgpr_count:     0
    .vgpr_spill_count: 0
    .wavefront_size: 64
  - .agpr_count:     0
    .args:
      - .offset:         0
        .size:           120
        .value_kind:     by_value
    .group_segment_fixed_size: 0
    .kernarg_segment_align: 8
    .kernarg_segment_size: 120
    .language:       OpenCL C
    .language_version:
      - 2
      - 0
    .max_flat_workgroup_size: 512
    .name:           _ZN7rocprim17ROCPRIM_400000_NS6detail17trampoline_kernelINS0_14default_configENS1_25partition_config_selectorILNS1_17partition_subalgoE9EllbEEZZNS1_14partition_implILS5_9ELb0ES3_jPlS8_PNS0_10empty_typeENS0_5tupleIJS8_S9_EEENSB_IJS8_SA_EEENS0_18inequality_wrapperIZN2at6native12_GLOBAL__N_124unique_dim_cuda_templateIN3c104HalfEEESt5tupleIJNSF_6TensorESM_SM_EERKSM_lbbbEUlllE0_EEPmJS9_EEE10hipError_tPvRmT3_T4_T5_T6_T7_T9_mT8_P12ihipStream_tbDpT10_ENKUlT_T0_E_clISt17integral_constantIbLb0EES1C_EEDaS17_S18_EUlS17_E_NS1_11comp_targetILNS1_3genE8ELNS1_11target_archE1030ELNS1_3gpuE2ELNS1_3repE0EEENS1_30default_config_static_selectorELNS0_4arch9wavefront6targetE1EEEvT1_
    .private_segment_fixed_size: 0
    .sgpr_count:     4
    .sgpr_spill_count: 0
    .symbol:         _ZN7rocprim17ROCPRIM_400000_NS6detail17trampoline_kernelINS0_14default_configENS1_25partition_config_selectorILNS1_17partition_subalgoE9EllbEEZZNS1_14partition_implILS5_9ELb0ES3_jPlS8_PNS0_10empty_typeENS0_5tupleIJS8_S9_EEENSB_IJS8_SA_EEENS0_18inequality_wrapperIZN2at6native12_GLOBAL__N_124unique_dim_cuda_templateIN3c104HalfEEESt5tupleIJNSF_6TensorESM_SM_EERKSM_lbbbEUlllE0_EEPmJS9_EEE10hipError_tPvRmT3_T4_T5_T6_T7_T9_mT8_P12ihipStream_tbDpT10_ENKUlT_T0_E_clISt17integral_constantIbLb0EES1C_EEDaS17_S18_EUlS17_E_NS1_11comp_targetILNS1_3genE8ELNS1_11target_archE1030ELNS1_3gpuE2ELNS1_3repE0EEENS1_30default_config_static_selectorELNS0_4arch9wavefront6targetE1EEEvT1_.kd
    .uniform_work_group_size: 1
    .uses_dynamic_stack: false
    .vgpr_count:     0
    .vgpr_spill_count: 0
    .wavefront_size: 64
  - .agpr_count:     0
    .args:
      - .offset:         0
        .size:           136
        .value_kind:     by_value
    .group_segment_fixed_size: 0
    .kernarg_segment_align: 8
    .kernarg_segment_size: 136
    .language:       OpenCL C
    .language_version:
      - 2
      - 0
    .max_flat_workgroup_size: 128
    .name:           _ZN7rocprim17ROCPRIM_400000_NS6detail17trampoline_kernelINS0_14default_configENS1_25partition_config_selectorILNS1_17partition_subalgoE9EllbEEZZNS1_14partition_implILS5_9ELb0ES3_jPlS8_PNS0_10empty_typeENS0_5tupleIJS8_S9_EEENSB_IJS8_SA_EEENS0_18inequality_wrapperIZN2at6native12_GLOBAL__N_124unique_dim_cuda_templateIN3c104HalfEEESt5tupleIJNSF_6TensorESM_SM_EERKSM_lbbbEUlllE0_EEPmJS9_EEE10hipError_tPvRmT3_T4_T5_T6_T7_T9_mT8_P12ihipStream_tbDpT10_ENKUlT_T0_E_clISt17integral_constantIbLb1EES1C_EEDaS17_S18_EUlS17_E_NS1_11comp_targetILNS1_3genE0ELNS1_11target_archE4294967295ELNS1_3gpuE0ELNS1_3repE0EEENS1_30default_config_static_selectorELNS0_4arch9wavefront6targetE1EEEvT1_
    .private_segment_fixed_size: 0
    .sgpr_count:     4
    .sgpr_spill_count: 0
    .symbol:         _ZN7rocprim17ROCPRIM_400000_NS6detail17trampoline_kernelINS0_14default_configENS1_25partition_config_selectorILNS1_17partition_subalgoE9EllbEEZZNS1_14partition_implILS5_9ELb0ES3_jPlS8_PNS0_10empty_typeENS0_5tupleIJS8_S9_EEENSB_IJS8_SA_EEENS0_18inequality_wrapperIZN2at6native12_GLOBAL__N_124unique_dim_cuda_templateIN3c104HalfEEESt5tupleIJNSF_6TensorESM_SM_EERKSM_lbbbEUlllE0_EEPmJS9_EEE10hipError_tPvRmT3_T4_T5_T6_T7_T9_mT8_P12ihipStream_tbDpT10_ENKUlT_T0_E_clISt17integral_constantIbLb1EES1C_EEDaS17_S18_EUlS17_E_NS1_11comp_targetILNS1_3genE0ELNS1_11target_archE4294967295ELNS1_3gpuE0ELNS1_3repE0EEENS1_30default_config_static_selectorELNS0_4arch9wavefront6targetE1EEEvT1_.kd
    .uniform_work_group_size: 1
    .uses_dynamic_stack: false
    .vgpr_count:     0
    .vgpr_spill_count: 0
    .wavefront_size: 64
  - .agpr_count:     0
    .args:
      - .offset:         0
        .size:           136
        .value_kind:     by_value
    .group_segment_fixed_size: 0
    .kernarg_segment_align: 8
    .kernarg_segment_size: 136
    .language:       OpenCL C
    .language_version:
      - 2
      - 0
    .max_flat_workgroup_size: 512
    .name:           _ZN7rocprim17ROCPRIM_400000_NS6detail17trampoline_kernelINS0_14default_configENS1_25partition_config_selectorILNS1_17partition_subalgoE9EllbEEZZNS1_14partition_implILS5_9ELb0ES3_jPlS8_PNS0_10empty_typeENS0_5tupleIJS8_S9_EEENSB_IJS8_SA_EEENS0_18inequality_wrapperIZN2at6native12_GLOBAL__N_124unique_dim_cuda_templateIN3c104HalfEEESt5tupleIJNSF_6TensorESM_SM_EERKSM_lbbbEUlllE0_EEPmJS9_EEE10hipError_tPvRmT3_T4_T5_T6_T7_T9_mT8_P12ihipStream_tbDpT10_ENKUlT_T0_E_clISt17integral_constantIbLb1EES1C_EEDaS17_S18_EUlS17_E_NS1_11comp_targetILNS1_3genE5ELNS1_11target_archE942ELNS1_3gpuE9ELNS1_3repE0EEENS1_30default_config_static_selectorELNS0_4arch9wavefront6targetE1EEEvT1_
    .private_segment_fixed_size: 0
    .sgpr_count:     4
    .sgpr_spill_count: 0
    .symbol:         _ZN7rocprim17ROCPRIM_400000_NS6detail17trampoline_kernelINS0_14default_configENS1_25partition_config_selectorILNS1_17partition_subalgoE9EllbEEZZNS1_14partition_implILS5_9ELb0ES3_jPlS8_PNS0_10empty_typeENS0_5tupleIJS8_S9_EEENSB_IJS8_SA_EEENS0_18inequality_wrapperIZN2at6native12_GLOBAL__N_124unique_dim_cuda_templateIN3c104HalfEEESt5tupleIJNSF_6TensorESM_SM_EERKSM_lbbbEUlllE0_EEPmJS9_EEE10hipError_tPvRmT3_T4_T5_T6_T7_T9_mT8_P12ihipStream_tbDpT10_ENKUlT_T0_E_clISt17integral_constantIbLb1EES1C_EEDaS17_S18_EUlS17_E_NS1_11comp_targetILNS1_3genE5ELNS1_11target_archE942ELNS1_3gpuE9ELNS1_3repE0EEENS1_30default_config_static_selectorELNS0_4arch9wavefront6targetE1EEEvT1_.kd
    .uniform_work_group_size: 1
    .uses_dynamic_stack: false
    .vgpr_count:     0
    .vgpr_spill_count: 0
    .wavefront_size: 64
  - .agpr_count:     0
    .args:
      - .offset:         0
        .size:           136
        .value_kind:     by_value
    .group_segment_fixed_size: 4236
    .kernarg_segment_align: 8
    .kernarg_segment_size: 136
    .language:       OpenCL C
    .language_version:
      - 2
      - 0
    .max_flat_workgroup_size: 128
    .name:           _ZN7rocprim17ROCPRIM_400000_NS6detail17trampoline_kernelINS0_14default_configENS1_25partition_config_selectorILNS1_17partition_subalgoE9EllbEEZZNS1_14partition_implILS5_9ELb0ES3_jPlS8_PNS0_10empty_typeENS0_5tupleIJS8_S9_EEENSB_IJS8_SA_EEENS0_18inequality_wrapperIZN2at6native12_GLOBAL__N_124unique_dim_cuda_templateIN3c104HalfEEESt5tupleIJNSF_6TensorESM_SM_EERKSM_lbbbEUlllE0_EEPmJS9_EEE10hipError_tPvRmT3_T4_T5_T6_T7_T9_mT8_P12ihipStream_tbDpT10_ENKUlT_T0_E_clISt17integral_constantIbLb1EES1C_EEDaS17_S18_EUlS17_E_NS1_11comp_targetILNS1_3genE4ELNS1_11target_archE910ELNS1_3gpuE8ELNS1_3repE0EEENS1_30default_config_static_selectorELNS0_4arch9wavefront6targetE1EEEvT1_
    .private_segment_fixed_size: 0
    .sgpr_count:     56
    .sgpr_spill_count: 0
    .symbol:         _ZN7rocprim17ROCPRIM_400000_NS6detail17trampoline_kernelINS0_14default_configENS1_25partition_config_selectorILNS1_17partition_subalgoE9EllbEEZZNS1_14partition_implILS5_9ELb0ES3_jPlS8_PNS0_10empty_typeENS0_5tupleIJS8_S9_EEENSB_IJS8_SA_EEENS0_18inequality_wrapperIZN2at6native12_GLOBAL__N_124unique_dim_cuda_templateIN3c104HalfEEESt5tupleIJNSF_6TensorESM_SM_EERKSM_lbbbEUlllE0_EEPmJS9_EEE10hipError_tPvRmT3_T4_T5_T6_T7_T9_mT8_P12ihipStream_tbDpT10_ENKUlT_T0_E_clISt17integral_constantIbLb1EES1C_EEDaS17_S18_EUlS17_E_NS1_11comp_targetILNS1_3genE4ELNS1_11target_archE910ELNS1_3gpuE8ELNS1_3repE0EEENS1_30default_config_static_selectorELNS0_4arch9wavefront6targetE1EEEvT1_.kd
    .uniform_work_group_size: 1
    .uses_dynamic_stack: false
    .vgpr_count:     50
    .vgpr_spill_count: 0
    .wavefront_size: 64
  - .agpr_count:     0
    .args:
      - .offset:         0
        .size:           136
        .value_kind:     by_value
    .group_segment_fixed_size: 0
    .kernarg_segment_align: 8
    .kernarg_segment_size: 136
    .language:       OpenCL C
    .language_version:
      - 2
      - 0
    .max_flat_workgroup_size: 128
    .name:           _ZN7rocprim17ROCPRIM_400000_NS6detail17trampoline_kernelINS0_14default_configENS1_25partition_config_selectorILNS1_17partition_subalgoE9EllbEEZZNS1_14partition_implILS5_9ELb0ES3_jPlS8_PNS0_10empty_typeENS0_5tupleIJS8_S9_EEENSB_IJS8_SA_EEENS0_18inequality_wrapperIZN2at6native12_GLOBAL__N_124unique_dim_cuda_templateIN3c104HalfEEESt5tupleIJNSF_6TensorESM_SM_EERKSM_lbbbEUlllE0_EEPmJS9_EEE10hipError_tPvRmT3_T4_T5_T6_T7_T9_mT8_P12ihipStream_tbDpT10_ENKUlT_T0_E_clISt17integral_constantIbLb1EES1C_EEDaS17_S18_EUlS17_E_NS1_11comp_targetILNS1_3genE3ELNS1_11target_archE908ELNS1_3gpuE7ELNS1_3repE0EEENS1_30default_config_static_selectorELNS0_4arch9wavefront6targetE1EEEvT1_
    .private_segment_fixed_size: 0
    .sgpr_count:     4
    .sgpr_spill_count: 0
    .symbol:         _ZN7rocprim17ROCPRIM_400000_NS6detail17trampoline_kernelINS0_14default_configENS1_25partition_config_selectorILNS1_17partition_subalgoE9EllbEEZZNS1_14partition_implILS5_9ELb0ES3_jPlS8_PNS0_10empty_typeENS0_5tupleIJS8_S9_EEENSB_IJS8_SA_EEENS0_18inequality_wrapperIZN2at6native12_GLOBAL__N_124unique_dim_cuda_templateIN3c104HalfEEESt5tupleIJNSF_6TensorESM_SM_EERKSM_lbbbEUlllE0_EEPmJS9_EEE10hipError_tPvRmT3_T4_T5_T6_T7_T9_mT8_P12ihipStream_tbDpT10_ENKUlT_T0_E_clISt17integral_constantIbLb1EES1C_EEDaS17_S18_EUlS17_E_NS1_11comp_targetILNS1_3genE3ELNS1_11target_archE908ELNS1_3gpuE7ELNS1_3repE0EEENS1_30default_config_static_selectorELNS0_4arch9wavefront6targetE1EEEvT1_.kd
    .uniform_work_group_size: 1
    .uses_dynamic_stack: false
    .vgpr_count:     0
    .vgpr_spill_count: 0
    .wavefront_size: 64
  - .agpr_count:     0
    .args:
      - .offset:         0
        .size:           136
        .value_kind:     by_value
    .group_segment_fixed_size: 0
    .kernarg_segment_align: 8
    .kernarg_segment_size: 136
    .language:       OpenCL C
    .language_version:
      - 2
      - 0
    .max_flat_workgroup_size: 192
    .name:           _ZN7rocprim17ROCPRIM_400000_NS6detail17trampoline_kernelINS0_14default_configENS1_25partition_config_selectorILNS1_17partition_subalgoE9EllbEEZZNS1_14partition_implILS5_9ELb0ES3_jPlS8_PNS0_10empty_typeENS0_5tupleIJS8_S9_EEENSB_IJS8_SA_EEENS0_18inequality_wrapperIZN2at6native12_GLOBAL__N_124unique_dim_cuda_templateIN3c104HalfEEESt5tupleIJNSF_6TensorESM_SM_EERKSM_lbbbEUlllE0_EEPmJS9_EEE10hipError_tPvRmT3_T4_T5_T6_T7_T9_mT8_P12ihipStream_tbDpT10_ENKUlT_T0_E_clISt17integral_constantIbLb1EES1C_EEDaS17_S18_EUlS17_E_NS1_11comp_targetILNS1_3genE2ELNS1_11target_archE906ELNS1_3gpuE6ELNS1_3repE0EEENS1_30default_config_static_selectorELNS0_4arch9wavefront6targetE1EEEvT1_
    .private_segment_fixed_size: 0
    .sgpr_count:     4
    .sgpr_spill_count: 0
    .symbol:         _ZN7rocprim17ROCPRIM_400000_NS6detail17trampoline_kernelINS0_14default_configENS1_25partition_config_selectorILNS1_17partition_subalgoE9EllbEEZZNS1_14partition_implILS5_9ELb0ES3_jPlS8_PNS0_10empty_typeENS0_5tupleIJS8_S9_EEENSB_IJS8_SA_EEENS0_18inequality_wrapperIZN2at6native12_GLOBAL__N_124unique_dim_cuda_templateIN3c104HalfEEESt5tupleIJNSF_6TensorESM_SM_EERKSM_lbbbEUlllE0_EEPmJS9_EEE10hipError_tPvRmT3_T4_T5_T6_T7_T9_mT8_P12ihipStream_tbDpT10_ENKUlT_T0_E_clISt17integral_constantIbLb1EES1C_EEDaS17_S18_EUlS17_E_NS1_11comp_targetILNS1_3genE2ELNS1_11target_archE906ELNS1_3gpuE6ELNS1_3repE0EEENS1_30default_config_static_selectorELNS0_4arch9wavefront6targetE1EEEvT1_.kd
    .uniform_work_group_size: 1
    .uses_dynamic_stack: false
    .vgpr_count:     0
    .vgpr_spill_count: 0
    .wavefront_size: 64
  - .agpr_count:     0
    .args:
      - .offset:         0
        .size:           136
        .value_kind:     by_value
    .group_segment_fixed_size: 0
    .kernarg_segment_align: 8
    .kernarg_segment_size: 136
    .language:       OpenCL C
    .language_version:
      - 2
      - 0
    .max_flat_workgroup_size: 384
    .name:           _ZN7rocprim17ROCPRIM_400000_NS6detail17trampoline_kernelINS0_14default_configENS1_25partition_config_selectorILNS1_17partition_subalgoE9EllbEEZZNS1_14partition_implILS5_9ELb0ES3_jPlS8_PNS0_10empty_typeENS0_5tupleIJS8_S9_EEENSB_IJS8_SA_EEENS0_18inequality_wrapperIZN2at6native12_GLOBAL__N_124unique_dim_cuda_templateIN3c104HalfEEESt5tupleIJNSF_6TensorESM_SM_EERKSM_lbbbEUlllE0_EEPmJS9_EEE10hipError_tPvRmT3_T4_T5_T6_T7_T9_mT8_P12ihipStream_tbDpT10_ENKUlT_T0_E_clISt17integral_constantIbLb1EES1C_EEDaS17_S18_EUlS17_E_NS1_11comp_targetILNS1_3genE10ELNS1_11target_archE1200ELNS1_3gpuE4ELNS1_3repE0EEENS1_30default_config_static_selectorELNS0_4arch9wavefront6targetE1EEEvT1_
    .private_segment_fixed_size: 0
    .sgpr_count:     4
    .sgpr_spill_count: 0
    .symbol:         _ZN7rocprim17ROCPRIM_400000_NS6detail17trampoline_kernelINS0_14default_configENS1_25partition_config_selectorILNS1_17partition_subalgoE9EllbEEZZNS1_14partition_implILS5_9ELb0ES3_jPlS8_PNS0_10empty_typeENS0_5tupleIJS8_S9_EEENSB_IJS8_SA_EEENS0_18inequality_wrapperIZN2at6native12_GLOBAL__N_124unique_dim_cuda_templateIN3c104HalfEEESt5tupleIJNSF_6TensorESM_SM_EERKSM_lbbbEUlllE0_EEPmJS9_EEE10hipError_tPvRmT3_T4_T5_T6_T7_T9_mT8_P12ihipStream_tbDpT10_ENKUlT_T0_E_clISt17integral_constantIbLb1EES1C_EEDaS17_S18_EUlS17_E_NS1_11comp_targetILNS1_3genE10ELNS1_11target_archE1200ELNS1_3gpuE4ELNS1_3repE0EEENS1_30default_config_static_selectorELNS0_4arch9wavefront6targetE1EEEvT1_.kd
    .uniform_work_group_size: 1
    .uses_dynamic_stack: false
    .vgpr_count:     0
    .vgpr_spill_count: 0
    .wavefront_size: 64
  - .agpr_count:     0
    .args:
      - .offset:         0
        .size:           136
        .value_kind:     by_value
    .group_segment_fixed_size: 0
    .kernarg_segment_align: 8
    .kernarg_segment_size: 136
    .language:       OpenCL C
    .language_version:
      - 2
      - 0
    .max_flat_workgroup_size: 512
    .name:           _ZN7rocprim17ROCPRIM_400000_NS6detail17trampoline_kernelINS0_14default_configENS1_25partition_config_selectorILNS1_17partition_subalgoE9EllbEEZZNS1_14partition_implILS5_9ELb0ES3_jPlS8_PNS0_10empty_typeENS0_5tupleIJS8_S9_EEENSB_IJS8_SA_EEENS0_18inequality_wrapperIZN2at6native12_GLOBAL__N_124unique_dim_cuda_templateIN3c104HalfEEESt5tupleIJNSF_6TensorESM_SM_EERKSM_lbbbEUlllE0_EEPmJS9_EEE10hipError_tPvRmT3_T4_T5_T6_T7_T9_mT8_P12ihipStream_tbDpT10_ENKUlT_T0_E_clISt17integral_constantIbLb1EES1C_EEDaS17_S18_EUlS17_E_NS1_11comp_targetILNS1_3genE9ELNS1_11target_archE1100ELNS1_3gpuE3ELNS1_3repE0EEENS1_30default_config_static_selectorELNS0_4arch9wavefront6targetE1EEEvT1_
    .private_segment_fixed_size: 0
    .sgpr_count:     4
    .sgpr_spill_count: 0
    .symbol:         _ZN7rocprim17ROCPRIM_400000_NS6detail17trampoline_kernelINS0_14default_configENS1_25partition_config_selectorILNS1_17partition_subalgoE9EllbEEZZNS1_14partition_implILS5_9ELb0ES3_jPlS8_PNS0_10empty_typeENS0_5tupleIJS8_S9_EEENSB_IJS8_SA_EEENS0_18inequality_wrapperIZN2at6native12_GLOBAL__N_124unique_dim_cuda_templateIN3c104HalfEEESt5tupleIJNSF_6TensorESM_SM_EERKSM_lbbbEUlllE0_EEPmJS9_EEE10hipError_tPvRmT3_T4_T5_T6_T7_T9_mT8_P12ihipStream_tbDpT10_ENKUlT_T0_E_clISt17integral_constantIbLb1EES1C_EEDaS17_S18_EUlS17_E_NS1_11comp_targetILNS1_3genE9ELNS1_11target_archE1100ELNS1_3gpuE3ELNS1_3repE0EEENS1_30default_config_static_selectorELNS0_4arch9wavefront6targetE1EEEvT1_.kd
    .uniform_work_group_size: 1
    .uses_dynamic_stack: false
    .vgpr_count:     0
    .vgpr_spill_count: 0
    .wavefront_size: 64
  - .agpr_count:     0
    .args:
      - .offset:         0
        .size:           136
        .value_kind:     by_value
    .group_segment_fixed_size: 0
    .kernarg_segment_align: 8
    .kernarg_segment_size: 136
    .language:       OpenCL C
    .language_version:
      - 2
      - 0
    .max_flat_workgroup_size: 512
    .name:           _ZN7rocprim17ROCPRIM_400000_NS6detail17trampoline_kernelINS0_14default_configENS1_25partition_config_selectorILNS1_17partition_subalgoE9EllbEEZZNS1_14partition_implILS5_9ELb0ES3_jPlS8_PNS0_10empty_typeENS0_5tupleIJS8_S9_EEENSB_IJS8_SA_EEENS0_18inequality_wrapperIZN2at6native12_GLOBAL__N_124unique_dim_cuda_templateIN3c104HalfEEESt5tupleIJNSF_6TensorESM_SM_EERKSM_lbbbEUlllE0_EEPmJS9_EEE10hipError_tPvRmT3_T4_T5_T6_T7_T9_mT8_P12ihipStream_tbDpT10_ENKUlT_T0_E_clISt17integral_constantIbLb1EES1C_EEDaS17_S18_EUlS17_E_NS1_11comp_targetILNS1_3genE8ELNS1_11target_archE1030ELNS1_3gpuE2ELNS1_3repE0EEENS1_30default_config_static_selectorELNS0_4arch9wavefront6targetE1EEEvT1_
    .private_segment_fixed_size: 0
    .sgpr_count:     4
    .sgpr_spill_count: 0
    .symbol:         _ZN7rocprim17ROCPRIM_400000_NS6detail17trampoline_kernelINS0_14default_configENS1_25partition_config_selectorILNS1_17partition_subalgoE9EllbEEZZNS1_14partition_implILS5_9ELb0ES3_jPlS8_PNS0_10empty_typeENS0_5tupleIJS8_S9_EEENSB_IJS8_SA_EEENS0_18inequality_wrapperIZN2at6native12_GLOBAL__N_124unique_dim_cuda_templateIN3c104HalfEEESt5tupleIJNSF_6TensorESM_SM_EERKSM_lbbbEUlllE0_EEPmJS9_EEE10hipError_tPvRmT3_T4_T5_T6_T7_T9_mT8_P12ihipStream_tbDpT10_ENKUlT_T0_E_clISt17integral_constantIbLb1EES1C_EEDaS17_S18_EUlS17_E_NS1_11comp_targetILNS1_3genE8ELNS1_11target_archE1030ELNS1_3gpuE2ELNS1_3repE0EEENS1_30default_config_static_selectorELNS0_4arch9wavefront6targetE1EEEvT1_.kd
    .uniform_work_group_size: 1
    .uses_dynamic_stack: false
    .vgpr_count:     0
    .vgpr_spill_count: 0
    .wavefront_size: 64
  - .agpr_count:     0
    .args:
      - .offset:         0
        .size:           120
        .value_kind:     by_value
    .group_segment_fixed_size: 0
    .kernarg_segment_align: 8
    .kernarg_segment_size: 120
    .language:       OpenCL C
    .language_version:
      - 2
      - 0
    .max_flat_workgroup_size: 128
    .name:           _ZN7rocprim17ROCPRIM_400000_NS6detail17trampoline_kernelINS0_14default_configENS1_25partition_config_selectorILNS1_17partition_subalgoE9EllbEEZZNS1_14partition_implILS5_9ELb0ES3_jPlS8_PNS0_10empty_typeENS0_5tupleIJS8_S9_EEENSB_IJS8_SA_EEENS0_18inequality_wrapperIZN2at6native12_GLOBAL__N_124unique_dim_cuda_templateIN3c104HalfEEESt5tupleIJNSF_6TensorESM_SM_EERKSM_lbbbEUlllE0_EEPmJS9_EEE10hipError_tPvRmT3_T4_T5_T6_T7_T9_mT8_P12ihipStream_tbDpT10_ENKUlT_T0_E_clISt17integral_constantIbLb1EES1B_IbLb0EEEEDaS17_S18_EUlS17_E_NS1_11comp_targetILNS1_3genE0ELNS1_11target_archE4294967295ELNS1_3gpuE0ELNS1_3repE0EEENS1_30default_config_static_selectorELNS0_4arch9wavefront6targetE1EEEvT1_
    .private_segment_fixed_size: 0
    .sgpr_count:     4
    .sgpr_spill_count: 0
    .symbol:         _ZN7rocprim17ROCPRIM_400000_NS6detail17trampoline_kernelINS0_14default_configENS1_25partition_config_selectorILNS1_17partition_subalgoE9EllbEEZZNS1_14partition_implILS5_9ELb0ES3_jPlS8_PNS0_10empty_typeENS0_5tupleIJS8_S9_EEENSB_IJS8_SA_EEENS0_18inequality_wrapperIZN2at6native12_GLOBAL__N_124unique_dim_cuda_templateIN3c104HalfEEESt5tupleIJNSF_6TensorESM_SM_EERKSM_lbbbEUlllE0_EEPmJS9_EEE10hipError_tPvRmT3_T4_T5_T6_T7_T9_mT8_P12ihipStream_tbDpT10_ENKUlT_T0_E_clISt17integral_constantIbLb1EES1B_IbLb0EEEEDaS17_S18_EUlS17_E_NS1_11comp_targetILNS1_3genE0ELNS1_11target_archE4294967295ELNS1_3gpuE0ELNS1_3repE0EEENS1_30default_config_static_selectorELNS0_4arch9wavefront6targetE1EEEvT1_.kd
    .uniform_work_group_size: 1
    .uses_dynamic_stack: false
    .vgpr_count:     0
    .vgpr_spill_count: 0
    .wavefront_size: 64
  - .agpr_count:     0
    .args:
      - .offset:         0
        .size:           120
        .value_kind:     by_value
    .group_segment_fixed_size: 0
    .kernarg_segment_align: 8
    .kernarg_segment_size: 120
    .language:       OpenCL C
    .language_version:
      - 2
      - 0
    .max_flat_workgroup_size: 512
    .name:           _ZN7rocprim17ROCPRIM_400000_NS6detail17trampoline_kernelINS0_14default_configENS1_25partition_config_selectorILNS1_17partition_subalgoE9EllbEEZZNS1_14partition_implILS5_9ELb0ES3_jPlS8_PNS0_10empty_typeENS0_5tupleIJS8_S9_EEENSB_IJS8_SA_EEENS0_18inequality_wrapperIZN2at6native12_GLOBAL__N_124unique_dim_cuda_templateIN3c104HalfEEESt5tupleIJNSF_6TensorESM_SM_EERKSM_lbbbEUlllE0_EEPmJS9_EEE10hipError_tPvRmT3_T4_T5_T6_T7_T9_mT8_P12ihipStream_tbDpT10_ENKUlT_T0_E_clISt17integral_constantIbLb1EES1B_IbLb0EEEEDaS17_S18_EUlS17_E_NS1_11comp_targetILNS1_3genE5ELNS1_11target_archE942ELNS1_3gpuE9ELNS1_3repE0EEENS1_30default_config_static_selectorELNS0_4arch9wavefront6targetE1EEEvT1_
    .private_segment_fixed_size: 0
    .sgpr_count:     4
    .sgpr_spill_count: 0
    .symbol:         _ZN7rocprim17ROCPRIM_400000_NS6detail17trampoline_kernelINS0_14default_configENS1_25partition_config_selectorILNS1_17partition_subalgoE9EllbEEZZNS1_14partition_implILS5_9ELb0ES3_jPlS8_PNS0_10empty_typeENS0_5tupleIJS8_S9_EEENSB_IJS8_SA_EEENS0_18inequality_wrapperIZN2at6native12_GLOBAL__N_124unique_dim_cuda_templateIN3c104HalfEEESt5tupleIJNSF_6TensorESM_SM_EERKSM_lbbbEUlllE0_EEPmJS9_EEE10hipError_tPvRmT3_T4_T5_T6_T7_T9_mT8_P12ihipStream_tbDpT10_ENKUlT_T0_E_clISt17integral_constantIbLb1EES1B_IbLb0EEEEDaS17_S18_EUlS17_E_NS1_11comp_targetILNS1_3genE5ELNS1_11target_archE942ELNS1_3gpuE9ELNS1_3repE0EEENS1_30default_config_static_selectorELNS0_4arch9wavefront6targetE1EEEvT1_.kd
    .uniform_work_group_size: 1
    .uses_dynamic_stack: false
    .vgpr_count:     0
    .vgpr_spill_count: 0
    .wavefront_size: 64
  - .agpr_count:     0
    .args:
      - .offset:         0
        .size:           120
        .value_kind:     by_value
    .group_segment_fixed_size: 4236
    .kernarg_segment_align: 8
    .kernarg_segment_size: 120
    .language:       OpenCL C
    .language_version:
      - 2
      - 0
    .max_flat_workgroup_size: 128
    .name:           _ZN7rocprim17ROCPRIM_400000_NS6detail17trampoline_kernelINS0_14default_configENS1_25partition_config_selectorILNS1_17partition_subalgoE9EllbEEZZNS1_14partition_implILS5_9ELb0ES3_jPlS8_PNS0_10empty_typeENS0_5tupleIJS8_S9_EEENSB_IJS8_SA_EEENS0_18inequality_wrapperIZN2at6native12_GLOBAL__N_124unique_dim_cuda_templateIN3c104HalfEEESt5tupleIJNSF_6TensorESM_SM_EERKSM_lbbbEUlllE0_EEPmJS9_EEE10hipError_tPvRmT3_T4_T5_T6_T7_T9_mT8_P12ihipStream_tbDpT10_ENKUlT_T0_E_clISt17integral_constantIbLb1EES1B_IbLb0EEEEDaS17_S18_EUlS17_E_NS1_11comp_targetILNS1_3genE4ELNS1_11target_archE910ELNS1_3gpuE8ELNS1_3repE0EEENS1_30default_config_static_selectorELNS0_4arch9wavefront6targetE1EEEvT1_
    .private_segment_fixed_size: 0
    .sgpr_count:     50
    .sgpr_spill_count: 0
    .symbol:         _ZN7rocprim17ROCPRIM_400000_NS6detail17trampoline_kernelINS0_14default_configENS1_25partition_config_selectorILNS1_17partition_subalgoE9EllbEEZZNS1_14partition_implILS5_9ELb0ES3_jPlS8_PNS0_10empty_typeENS0_5tupleIJS8_S9_EEENSB_IJS8_SA_EEENS0_18inequality_wrapperIZN2at6native12_GLOBAL__N_124unique_dim_cuda_templateIN3c104HalfEEESt5tupleIJNSF_6TensorESM_SM_EERKSM_lbbbEUlllE0_EEPmJS9_EEE10hipError_tPvRmT3_T4_T5_T6_T7_T9_mT8_P12ihipStream_tbDpT10_ENKUlT_T0_E_clISt17integral_constantIbLb1EES1B_IbLb0EEEEDaS17_S18_EUlS17_E_NS1_11comp_targetILNS1_3genE4ELNS1_11target_archE910ELNS1_3gpuE8ELNS1_3repE0EEENS1_30default_config_static_selectorELNS0_4arch9wavefront6targetE1EEEvT1_.kd
    .uniform_work_group_size: 1
    .uses_dynamic_stack: false
    .vgpr_count:     50
    .vgpr_spill_count: 0
    .wavefront_size: 64
  - .agpr_count:     0
    .args:
      - .offset:         0
        .size:           120
        .value_kind:     by_value
    .group_segment_fixed_size: 0
    .kernarg_segment_align: 8
    .kernarg_segment_size: 120
    .language:       OpenCL C
    .language_version:
      - 2
      - 0
    .max_flat_workgroup_size: 128
    .name:           _ZN7rocprim17ROCPRIM_400000_NS6detail17trampoline_kernelINS0_14default_configENS1_25partition_config_selectorILNS1_17partition_subalgoE9EllbEEZZNS1_14partition_implILS5_9ELb0ES3_jPlS8_PNS0_10empty_typeENS0_5tupleIJS8_S9_EEENSB_IJS8_SA_EEENS0_18inequality_wrapperIZN2at6native12_GLOBAL__N_124unique_dim_cuda_templateIN3c104HalfEEESt5tupleIJNSF_6TensorESM_SM_EERKSM_lbbbEUlllE0_EEPmJS9_EEE10hipError_tPvRmT3_T4_T5_T6_T7_T9_mT8_P12ihipStream_tbDpT10_ENKUlT_T0_E_clISt17integral_constantIbLb1EES1B_IbLb0EEEEDaS17_S18_EUlS17_E_NS1_11comp_targetILNS1_3genE3ELNS1_11target_archE908ELNS1_3gpuE7ELNS1_3repE0EEENS1_30default_config_static_selectorELNS0_4arch9wavefront6targetE1EEEvT1_
    .private_segment_fixed_size: 0
    .sgpr_count:     4
    .sgpr_spill_count: 0
    .symbol:         _ZN7rocprim17ROCPRIM_400000_NS6detail17trampoline_kernelINS0_14default_configENS1_25partition_config_selectorILNS1_17partition_subalgoE9EllbEEZZNS1_14partition_implILS5_9ELb0ES3_jPlS8_PNS0_10empty_typeENS0_5tupleIJS8_S9_EEENSB_IJS8_SA_EEENS0_18inequality_wrapperIZN2at6native12_GLOBAL__N_124unique_dim_cuda_templateIN3c104HalfEEESt5tupleIJNSF_6TensorESM_SM_EERKSM_lbbbEUlllE0_EEPmJS9_EEE10hipError_tPvRmT3_T4_T5_T6_T7_T9_mT8_P12ihipStream_tbDpT10_ENKUlT_T0_E_clISt17integral_constantIbLb1EES1B_IbLb0EEEEDaS17_S18_EUlS17_E_NS1_11comp_targetILNS1_3genE3ELNS1_11target_archE908ELNS1_3gpuE7ELNS1_3repE0EEENS1_30default_config_static_selectorELNS0_4arch9wavefront6targetE1EEEvT1_.kd
    .uniform_work_group_size: 1
    .uses_dynamic_stack: false
    .vgpr_count:     0
    .vgpr_spill_count: 0
    .wavefront_size: 64
  - .agpr_count:     0
    .args:
      - .offset:         0
        .size:           120
        .value_kind:     by_value
    .group_segment_fixed_size: 0
    .kernarg_segment_align: 8
    .kernarg_segment_size: 120
    .language:       OpenCL C
    .language_version:
      - 2
      - 0
    .max_flat_workgroup_size: 192
    .name:           _ZN7rocprim17ROCPRIM_400000_NS6detail17trampoline_kernelINS0_14default_configENS1_25partition_config_selectorILNS1_17partition_subalgoE9EllbEEZZNS1_14partition_implILS5_9ELb0ES3_jPlS8_PNS0_10empty_typeENS0_5tupleIJS8_S9_EEENSB_IJS8_SA_EEENS0_18inequality_wrapperIZN2at6native12_GLOBAL__N_124unique_dim_cuda_templateIN3c104HalfEEESt5tupleIJNSF_6TensorESM_SM_EERKSM_lbbbEUlllE0_EEPmJS9_EEE10hipError_tPvRmT3_T4_T5_T6_T7_T9_mT8_P12ihipStream_tbDpT10_ENKUlT_T0_E_clISt17integral_constantIbLb1EES1B_IbLb0EEEEDaS17_S18_EUlS17_E_NS1_11comp_targetILNS1_3genE2ELNS1_11target_archE906ELNS1_3gpuE6ELNS1_3repE0EEENS1_30default_config_static_selectorELNS0_4arch9wavefront6targetE1EEEvT1_
    .private_segment_fixed_size: 0
    .sgpr_count:     4
    .sgpr_spill_count: 0
    .symbol:         _ZN7rocprim17ROCPRIM_400000_NS6detail17trampoline_kernelINS0_14default_configENS1_25partition_config_selectorILNS1_17partition_subalgoE9EllbEEZZNS1_14partition_implILS5_9ELb0ES3_jPlS8_PNS0_10empty_typeENS0_5tupleIJS8_S9_EEENSB_IJS8_SA_EEENS0_18inequality_wrapperIZN2at6native12_GLOBAL__N_124unique_dim_cuda_templateIN3c104HalfEEESt5tupleIJNSF_6TensorESM_SM_EERKSM_lbbbEUlllE0_EEPmJS9_EEE10hipError_tPvRmT3_T4_T5_T6_T7_T9_mT8_P12ihipStream_tbDpT10_ENKUlT_T0_E_clISt17integral_constantIbLb1EES1B_IbLb0EEEEDaS17_S18_EUlS17_E_NS1_11comp_targetILNS1_3genE2ELNS1_11target_archE906ELNS1_3gpuE6ELNS1_3repE0EEENS1_30default_config_static_selectorELNS0_4arch9wavefront6targetE1EEEvT1_.kd
    .uniform_work_group_size: 1
    .uses_dynamic_stack: false
    .vgpr_count:     0
    .vgpr_spill_count: 0
    .wavefront_size: 64
  - .agpr_count:     0
    .args:
      - .offset:         0
        .size:           120
        .value_kind:     by_value
    .group_segment_fixed_size: 0
    .kernarg_segment_align: 8
    .kernarg_segment_size: 120
    .language:       OpenCL C
    .language_version:
      - 2
      - 0
    .max_flat_workgroup_size: 384
    .name:           _ZN7rocprim17ROCPRIM_400000_NS6detail17trampoline_kernelINS0_14default_configENS1_25partition_config_selectorILNS1_17partition_subalgoE9EllbEEZZNS1_14partition_implILS5_9ELb0ES3_jPlS8_PNS0_10empty_typeENS0_5tupleIJS8_S9_EEENSB_IJS8_SA_EEENS0_18inequality_wrapperIZN2at6native12_GLOBAL__N_124unique_dim_cuda_templateIN3c104HalfEEESt5tupleIJNSF_6TensorESM_SM_EERKSM_lbbbEUlllE0_EEPmJS9_EEE10hipError_tPvRmT3_T4_T5_T6_T7_T9_mT8_P12ihipStream_tbDpT10_ENKUlT_T0_E_clISt17integral_constantIbLb1EES1B_IbLb0EEEEDaS17_S18_EUlS17_E_NS1_11comp_targetILNS1_3genE10ELNS1_11target_archE1200ELNS1_3gpuE4ELNS1_3repE0EEENS1_30default_config_static_selectorELNS0_4arch9wavefront6targetE1EEEvT1_
    .private_segment_fixed_size: 0
    .sgpr_count:     4
    .sgpr_spill_count: 0
    .symbol:         _ZN7rocprim17ROCPRIM_400000_NS6detail17trampoline_kernelINS0_14default_configENS1_25partition_config_selectorILNS1_17partition_subalgoE9EllbEEZZNS1_14partition_implILS5_9ELb0ES3_jPlS8_PNS0_10empty_typeENS0_5tupleIJS8_S9_EEENSB_IJS8_SA_EEENS0_18inequality_wrapperIZN2at6native12_GLOBAL__N_124unique_dim_cuda_templateIN3c104HalfEEESt5tupleIJNSF_6TensorESM_SM_EERKSM_lbbbEUlllE0_EEPmJS9_EEE10hipError_tPvRmT3_T4_T5_T6_T7_T9_mT8_P12ihipStream_tbDpT10_ENKUlT_T0_E_clISt17integral_constantIbLb1EES1B_IbLb0EEEEDaS17_S18_EUlS17_E_NS1_11comp_targetILNS1_3genE10ELNS1_11target_archE1200ELNS1_3gpuE4ELNS1_3repE0EEENS1_30default_config_static_selectorELNS0_4arch9wavefront6targetE1EEEvT1_.kd
    .uniform_work_group_size: 1
    .uses_dynamic_stack: false
    .vgpr_count:     0
    .vgpr_spill_count: 0
    .wavefront_size: 64
  - .agpr_count:     0
    .args:
      - .offset:         0
        .size:           120
        .value_kind:     by_value
    .group_segment_fixed_size: 0
    .kernarg_segment_align: 8
    .kernarg_segment_size: 120
    .language:       OpenCL C
    .language_version:
      - 2
      - 0
    .max_flat_workgroup_size: 512
    .name:           _ZN7rocprim17ROCPRIM_400000_NS6detail17trampoline_kernelINS0_14default_configENS1_25partition_config_selectorILNS1_17partition_subalgoE9EllbEEZZNS1_14partition_implILS5_9ELb0ES3_jPlS8_PNS0_10empty_typeENS0_5tupleIJS8_S9_EEENSB_IJS8_SA_EEENS0_18inequality_wrapperIZN2at6native12_GLOBAL__N_124unique_dim_cuda_templateIN3c104HalfEEESt5tupleIJNSF_6TensorESM_SM_EERKSM_lbbbEUlllE0_EEPmJS9_EEE10hipError_tPvRmT3_T4_T5_T6_T7_T9_mT8_P12ihipStream_tbDpT10_ENKUlT_T0_E_clISt17integral_constantIbLb1EES1B_IbLb0EEEEDaS17_S18_EUlS17_E_NS1_11comp_targetILNS1_3genE9ELNS1_11target_archE1100ELNS1_3gpuE3ELNS1_3repE0EEENS1_30default_config_static_selectorELNS0_4arch9wavefront6targetE1EEEvT1_
    .private_segment_fixed_size: 0
    .sgpr_count:     4
    .sgpr_spill_count: 0
    .symbol:         _ZN7rocprim17ROCPRIM_400000_NS6detail17trampoline_kernelINS0_14default_configENS1_25partition_config_selectorILNS1_17partition_subalgoE9EllbEEZZNS1_14partition_implILS5_9ELb0ES3_jPlS8_PNS0_10empty_typeENS0_5tupleIJS8_S9_EEENSB_IJS8_SA_EEENS0_18inequality_wrapperIZN2at6native12_GLOBAL__N_124unique_dim_cuda_templateIN3c104HalfEEESt5tupleIJNSF_6TensorESM_SM_EERKSM_lbbbEUlllE0_EEPmJS9_EEE10hipError_tPvRmT3_T4_T5_T6_T7_T9_mT8_P12ihipStream_tbDpT10_ENKUlT_T0_E_clISt17integral_constantIbLb1EES1B_IbLb0EEEEDaS17_S18_EUlS17_E_NS1_11comp_targetILNS1_3genE9ELNS1_11target_archE1100ELNS1_3gpuE3ELNS1_3repE0EEENS1_30default_config_static_selectorELNS0_4arch9wavefront6targetE1EEEvT1_.kd
    .uniform_work_group_size: 1
    .uses_dynamic_stack: false
    .vgpr_count:     0
    .vgpr_spill_count: 0
    .wavefront_size: 64
  - .agpr_count:     0
    .args:
      - .offset:         0
        .size:           120
        .value_kind:     by_value
    .group_segment_fixed_size: 0
    .kernarg_segment_align: 8
    .kernarg_segment_size: 120
    .language:       OpenCL C
    .language_version:
      - 2
      - 0
    .max_flat_workgroup_size: 512
    .name:           _ZN7rocprim17ROCPRIM_400000_NS6detail17trampoline_kernelINS0_14default_configENS1_25partition_config_selectorILNS1_17partition_subalgoE9EllbEEZZNS1_14partition_implILS5_9ELb0ES3_jPlS8_PNS0_10empty_typeENS0_5tupleIJS8_S9_EEENSB_IJS8_SA_EEENS0_18inequality_wrapperIZN2at6native12_GLOBAL__N_124unique_dim_cuda_templateIN3c104HalfEEESt5tupleIJNSF_6TensorESM_SM_EERKSM_lbbbEUlllE0_EEPmJS9_EEE10hipError_tPvRmT3_T4_T5_T6_T7_T9_mT8_P12ihipStream_tbDpT10_ENKUlT_T0_E_clISt17integral_constantIbLb1EES1B_IbLb0EEEEDaS17_S18_EUlS17_E_NS1_11comp_targetILNS1_3genE8ELNS1_11target_archE1030ELNS1_3gpuE2ELNS1_3repE0EEENS1_30default_config_static_selectorELNS0_4arch9wavefront6targetE1EEEvT1_
    .private_segment_fixed_size: 0
    .sgpr_count:     4
    .sgpr_spill_count: 0
    .symbol:         _ZN7rocprim17ROCPRIM_400000_NS6detail17trampoline_kernelINS0_14default_configENS1_25partition_config_selectorILNS1_17partition_subalgoE9EllbEEZZNS1_14partition_implILS5_9ELb0ES3_jPlS8_PNS0_10empty_typeENS0_5tupleIJS8_S9_EEENSB_IJS8_SA_EEENS0_18inequality_wrapperIZN2at6native12_GLOBAL__N_124unique_dim_cuda_templateIN3c104HalfEEESt5tupleIJNSF_6TensorESM_SM_EERKSM_lbbbEUlllE0_EEPmJS9_EEE10hipError_tPvRmT3_T4_T5_T6_T7_T9_mT8_P12ihipStream_tbDpT10_ENKUlT_T0_E_clISt17integral_constantIbLb1EES1B_IbLb0EEEEDaS17_S18_EUlS17_E_NS1_11comp_targetILNS1_3genE8ELNS1_11target_archE1030ELNS1_3gpuE2ELNS1_3repE0EEENS1_30default_config_static_selectorELNS0_4arch9wavefront6targetE1EEEvT1_.kd
    .uniform_work_group_size: 1
    .uses_dynamic_stack: false
    .vgpr_count:     0
    .vgpr_spill_count: 0
    .wavefront_size: 64
  - .agpr_count:     0
    .args:
      - .offset:         0
        .size:           136
        .value_kind:     by_value
    .group_segment_fixed_size: 0
    .kernarg_segment_align: 8
    .kernarg_segment_size: 136
    .language:       OpenCL C
    .language_version:
      - 2
      - 0
    .max_flat_workgroup_size: 128
    .name:           _ZN7rocprim17ROCPRIM_400000_NS6detail17trampoline_kernelINS0_14default_configENS1_25partition_config_selectorILNS1_17partition_subalgoE9EllbEEZZNS1_14partition_implILS5_9ELb0ES3_jPlS8_PNS0_10empty_typeENS0_5tupleIJS8_S9_EEENSB_IJS8_SA_EEENS0_18inequality_wrapperIZN2at6native12_GLOBAL__N_124unique_dim_cuda_templateIN3c104HalfEEESt5tupleIJNSF_6TensorESM_SM_EERKSM_lbbbEUlllE0_EEPmJS9_EEE10hipError_tPvRmT3_T4_T5_T6_T7_T9_mT8_P12ihipStream_tbDpT10_ENKUlT_T0_E_clISt17integral_constantIbLb0EES1B_IbLb1EEEEDaS17_S18_EUlS17_E_NS1_11comp_targetILNS1_3genE0ELNS1_11target_archE4294967295ELNS1_3gpuE0ELNS1_3repE0EEENS1_30default_config_static_selectorELNS0_4arch9wavefront6targetE1EEEvT1_
    .private_segment_fixed_size: 0
    .sgpr_count:     4
    .sgpr_spill_count: 0
    .symbol:         _ZN7rocprim17ROCPRIM_400000_NS6detail17trampoline_kernelINS0_14default_configENS1_25partition_config_selectorILNS1_17partition_subalgoE9EllbEEZZNS1_14partition_implILS5_9ELb0ES3_jPlS8_PNS0_10empty_typeENS0_5tupleIJS8_S9_EEENSB_IJS8_SA_EEENS0_18inequality_wrapperIZN2at6native12_GLOBAL__N_124unique_dim_cuda_templateIN3c104HalfEEESt5tupleIJNSF_6TensorESM_SM_EERKSM_lbbbEUlllE0_EEPmJS9_EEE10hipError_tPvRmT3_T4_T5_T6_T7_T9_mT8_P12ihipStream_tbDpT10_ENKUlT_T0_E_clISt17integral_constantIbLb0EES1B_IbLb1EEEEDaS17_S18_EUlS17_E_NS1_11comp_targetILNS1_3genE0ELNS1_11target_archE4294967295ELNS1_3gpuE0ELNS1_3repE0EEENS1_30default_config_static_selectorELNS0_4arch9wavefront6targetE1EEEvT1_.kd
    .uniform_work_group_size: 1
    .uses_dynamic_stack: false
    .vgpr_count:     0
    .vgpr_spill_count: 0
    .wavefront_size: 64
  - .agpr_count:     0
    .args:
      - .offset:         0
        .size:           136
        .value_kind:     by_value
    .group_segment_fixed_size: 0
    .kernarg_segment_align: 8
    .kernarg_segment_size: 136
    .language:       OpenCL C
    .language_version:
      - 2
      - 0
    .max_flat_workgroup_size: 512
    .name:           _ZN7rocprim17ROCPRIM_400000_NS6detail17trampoline_kernelINS0_14default_configENS1_25partition_config_selectorILNS1_17partition_subalgoE9EllbEEZZNS1_14partition_implILS5_9ELb0ES3_jPlS8_PNS0_10empty_typeENS0_5tupleIJS8_S9_EEENSB_IJS8_SA_EEENS0_18inequality_wrapperIZN2at6native12_GLOBAL__N_124unique_dim_cuda_templateIN3c104HalfEEESt5tupleIJNSF_6TensorESM_SM_EERKSM_lbbbEUlllE0_EEPmJS9_EEE10hipError_tPvRmT3_T4_T5_T6_T7_T9_mT8_P12ihipStream_tbDpT10_ENKUlT_T0_E_clISt17integral_constantIbLb0EES1B_IbLb1EEEEDaS17_S18_EUlS17_E_NS1_11comp_targetILNS1_3genE5ELNS1_11target_archE942ELNS1_3gpuE9ELNS1_3repE0EEENS1_30default_config_static_selectorELNS0_4arch9wavefront6targetE1EEEvT1_
    .private_segment_fixed_size: 0
    .sgpr_count:     4
    .sgpr_spill_count: 0
    .symbol:         _ZN7rocprim17ROCPRIM_400000_NS6detail17trampoline_kernelINS0_14default_configENS1_25partition_config_selectorILNS1_17partition_subalgoE9EllbEEZZNS1_14partition_implILS5_9ELb0ES3_jPlS8_PNS0_10empty_typeENS0_5tupleIJS8_S9_EEENSB_IJS8_SA_EEENS0_18inequality_wrapperIZN2at6native12_GLOBAL__N_124unique_dim_cuda_templateIN3c104HalfEEESt5tupleIJNSF_6TensorESM_SM_EERKSM_lbbbEUlllE0_EEPmJS9_EEE10hipError_tPvRmT3_T4_T5_T6_T7_T9_mT8_P12ihipStream_tbDpT10_ENKUlT_T0_E_clISt17integral_constantIbLb0EES1B_IbLb1EEEEDaS17_S18_EUlS17_E_NS1_11comp_targetILNS1_3genE5ELNS1_11target_archE942ELNS1_3gpuE9ELNS1_3repE0EEENS1_30default_config_static_selectorELNS0_4arch9wavefront6targetE1EEEvT1_.kd
    .uniform_work_group_size: 1
    .uses_dynamic_stack: false
    .vgpr_count:     0
    .vgpr_spill_count: 0
    .wavefront_size: 64
  - .agpr_count:     0
    .args:
      - .offset:         0
        .size:           136
        .value_kind:     by_value
    .group_segment_fixed_size: 4236
    .kernarg_segment_align: 8
    .kernarg_segment_size: 136
    .language:       OpenCL C
    .language_version:
      - 2
      - 0
    .max_flat_workgroup_size: 128
    .name:           _ZN7rocprim17ROCPRIM_400000_NS6detail17trampoline_kernelINS0_14default_configENS1_25partition_config_selectorILNS1_17partition_subalgoE9EllbEEZZNS1_14partition_implILS5_9ELb0ES3_jPlS8_PNS0_10empty_typeENS0_5tupleIJS8_S9_EEENSB_IJS8_SA_EEENS0_18inequality_wrapperIZN2at6native12_GLOBAL__N_124unique_dim_cuda_templateIN3c104HalfEEESt5tupleIJNSF_6TensorESM_SM_EERKSM_lbbbEUlllE0_EEPmJS9_EEE10hipError_tPvRmT3_T4_T5_T6_T7_T9_mT8_P12ihipStream_tbDpT10_ENKUlT_T0_E_clISt17integral_constantIbLb0EES1B_IbLb1EEEEDaS17_S18_EUlS17_E_NS1_11comp_targetILNS1_3genE4ELNS1_11target_archE910ELNS1_3gpuE8ELNS1_3repE0EEENS1_30default_config_static_selectorELNS0_4arch9wavefront6targetE1EEEvT1_
    .private_segment_fixed_size: 0
    .sgpr_count:     56
    .sgpr_spill_count: 0
    .symbol:         _ZN7rocprim17ROCPRIM_400000_NS6detail17trampoline_kernelINS0_14default_configENS1_25partition_config_selectorILNS1_17partition_subalgoE9EllbEEZZNS1_14partition_implILS5_9ELb0ES3_jPlS8_PNS0_10empty_typeENS0_5tupleIJS8_S9_EEENSB_IJS8_SA_EEENS0_18inequality_wrapperIZN2at6native12_GLOBAL__N_124unique_dim_cuda_templateIN3c104HalfEEESt5tupleIJNSF_6TensorESM_SM_EERKSM_lbbbEUlllE0_EEPmJS9_EEE10hipError_tPvRmT3_T4_T5_T6_T7_T9_mT8_P12ihipStream_tbDpT10_ENKUlT_T0_E_clISt17integral_constantIbLb0EES1B_IbLb1EEEEDaS17_S18_EUlS17_E_NS1_11comp_targetILNS1_3genE4ELNS1_11target_archE910ELNS1_3gpuE8ELNS1_3repE0EEENS1_30default_config_static_selectorELNS0_4arch9wavefront6targetE1EEEvT1_.kd
    .uniform_work_group_size: 1
    .uses_dynamic_stack: false
    .vgpr_count:     50
    .vgpr_spill_count: 0
    .wavefront_size: 64
  - .agpr_count:     0
    .args:
      - .offset:         0
        .size:           136
        .value_kind:     by_value
    .group_segment_fixed_size: 0
    .kernarg_segment_align: 8
    .kernarg_segment_size: 136
    .language:       OpenCL C
    .language_version:
      - 2
      - 0
    .max_flat_workgroup_size: 128
    .name:           _ZN7rocprim17ROCPRIM_400000_NS6detail17trampoline_kernelINS0_14default_configENS1_25partition_config_selectorILNS1_17partition_subalgoE9EllbEEZZNS1_14partition_implILS5_9ELb0ES3_jPlS8_PNS0_10empty_typeENS0_5tupleIJS8_S9_EEENSB_IJS8_SA_EEENS0_18inequality_wrapperIZN2at6native12_GLOBAL__N_124unique_dim_cuda_templateIN3c104HalfEEESt5tupleIJNSF_6TensorESM_SM_EERKSM_lbbbEUlllE0_EEPmJS9_EEE10hipError_tPvRmT3_T4_T5_T6_T7_T9_mT8_P12ihipStream_tbDpT10_ENKUlT_T0_E_clISt17integral_constantIbLb0EES1B_IbLb1EEEEDaS17_S18_EUlS17_E_NS1_11comp_targetILNS1_3genE3ELNS1_11target_archE908ELNS1_3gpuE7ELNS1_3repE0EEENS1_30default_config_static_selectorELNS0_4arch9wavefront6targetE1EEEvT1_
    .private_segment_fixed_size: 0
    .sgpr_count:     4
    .sgpr_spill_count: 0
    .symbol:         _ZN7rocprim17ROCPRIM_400000_NS6detail17trampoline_kernelINS0_14default_configENS1_25partition_config_selectorILNS1_17partition_subalgoE9EllbEEZZNS1_14partition_implILS5_9ELb0ES3_jPlS8_PNS0_10empty_typeENS0_5tupleIJS8_S9_EEENSB_IJS8_SA_EEENS0_18inequality_wrapperIZN2at6native12_GLOBAL__N_124unique_dim_cuda_templateIN3c104HalfEEESt5tupleIJNSF_6TensorESM_SM_EERKSM_lbbbEUlllE0_EEPmJS9_EEE10hipError_tPvRmT3_T4_T5_T6_T7_T9_mT8_P12ihipStream_tbDpT10_ENKUlT_T0_E_clISt17integral_constantIbLb0EES1B_IbLb1EEEEDaS17_S18_EUlS17_E_NS1_11comp_targetILNS1_3genE3ELNS1_11target_archE908ELNS1_3gpuE7ELNS1_3repE0EEENS1_30default_config_static_selectorELNS0_4arch9wavefront6targetE1EEEvT1_.kd
    .uniform_work_group_size: 1
    .uses_dynamic_stack: false
    .vgpr_count:     0
    .vgpr_spill_count: 0
    .wavefront_size: 64
  - .agpr_count:     0
    .args:
      - .offset:         0
        .size:           136
        .value_kind:     by_value
    .group_segment_fixed_size: 0
    .kernarg_segment_align: 8
    .kernarg_segment_size: 136
    .language:       OpenCL C
    .language_version:
      - 2
      - 0
    .max_flat_workgroup_size: 192
    .name:           _ZN7rocprim17ROCPRIM_400000_NS6detail17trampoline_kernelINS0_14default_configENS1_25partition_config_selectorILNS1_17partition_subalgoE9EllbEEZZNS1_14partition_implILS5_9ELb0ES3_jPlS8_PNS0_10empty_typeENS0_5tupleIJS8_S9_EEENSB_IJS8_SA_EEENS0_18inequality_wrapperIZN2at6native12_GLOBAL__N_124unique_dim_cuda_templateIN3c104HalfEEESt5tupleIJNSF_6TensorESM_SM_EERKSM_lbbbEUlllE0_EEPmJS9_EEE10hipError_tPvRmT3_T4_T5_T6_T7_T9_mT8_P12ihipStream_tbDpT10_ENKUlT_T0_E_clISt17integral_constantIbLb0EES1B_IbLb1EEEEDaS17_S18_EUlS17_E_NS1_11comp_targetILNS1_3genE2ELNS1_11target_archE906ELNS1_3gpuE6ELNS1_3repE0EEENS1_30default_config_static_selectorELNS0_4arch9wavefront6targetE1EEEvT1_
    .private_segment_fixed_size: 0
    .sgpr_count:     4
    .sgpr_spill_count: 0
    .symbol:         _ZN7rocprim17ROCPRIM_400000_NS6detail17trampoline_kernelINS0_14default_configENS1_25partition_config_selectorILNS1_17partition_subalgoE9EllbEEZZNS1_14partition_implILS5_9ELb0ES3_jPlS8_PNS0_10empty_typeENS0_5tupleIJS8_S9_EEENSB_IJS8_SA_EEENS0_18inequality_wrapperIZN2at6native12_GLOBAL__N_124unique_dim_cuda_templateIN3c104HalfEEESt5tupleIJNSF_6TensorESM_SM_EERKSM_lbbbEUlllE0_EEPmJS9_EEE10hipError_tPvRmT3_T4_T5_T6_T7_T9_mT8_P12ihipStream_tbDpT10_ENKUlT_T0_E_clISt17integral_constantIbLb0EES1B_IbLb1EEEEDaS17_S18_EUlS17_E_NS1_11comp_targetILNS1_3genE2ELNS1_11target_archE906ELNS1_3gpuE6ELNS1_3repE0EEENS1_30default_config_static_selectorELNS0_4arch9wavefront6targetE1EEEvT1_.kd
    .uniform_work_group_size: 1
    .uses_dynamic_stack: false
    .vgpr_count:     0
    .vgpr_spill_count: 0
    .wavefront_size: 64
  - .agpr_count:     0
    .args:
      - .offset:         0
        .size:           136
        .value_kind:     by_value
    .group_segment_fixed_size: 0
    .kernarg_segment_align: 8
    .kernarg_segment_size: 136
    .language:       OpenCL C
    .language_version:
      - 2
      - 0
    .max_flat_workgroup_size: 384
    .name:           _ZN7rocprim17ROCPRIM_400000_NS6detail17trampoline_kernelINS0_14default_configENS1_25partition_config_selectorILNS1_17partition_subalgoE9EllbEEZZNS1_14partition_implILS5_9ELb0ES3_jPlS8_PNS0_10empty_typeENS0_5tupleIJS8_S9_EEENSB_IJS8_SA_EEENS0_18inequality_wrapperIZN2at6native12_GLOBAL__N_124unique_dim_cuda_templateIN3c104HalfEEESt5tupleIJNSF_6TensorESM_SM_EERKSM_lbbbEUlllE0_EEPmJS9_EEE10hipError_tPvRmT3_T4_T5_T6_T7_T9_mT8_P12ihipStream_tbDpT10_ENKUlT_T0_E_clISt17integral_constantIbLb0EES1B_IbLb1EEEEDaS17_S18_EUlS17_E_NS1_11comp_targetILNS1_3genE10ELNS1_11target_archE1200ELNS1_3gpuE4ELNS1_3repE0EEENS1_30default_config_static_selectorELNS0_4arch9wavefront6targetE1EEEvT1_
    .private_segment_fixed_size: 0
    .sgpr_count:     4
    .sgpr_spill_count: 0
    .symbol:         _ZN7rocprim17ROCPRIM_400000_NS6detail17trampoline_kernelINS0_14default_configENS1_25partition_config_selectorILNS1_17partition_subalgoE9EllbEEZZNS1_14partition_implILS5_9ELb0ES3_jPlS8_PNS0_10empty_typeENS0_5tupleIJS8_S9_EEENSB_IJS8_SA_EEENS0_18inequality_wrapperIZN2at6native12_GLOBAL__N_124unique_dim_cuda_templateIN3c104HalfEEESt5tupleIJNSF_6TensorESM_SM_EERKSM_lbbbEUlllE0_EEPmJS9_EEE10hipError_tPvRmT3_T4_T5_T6_T7_T9_mT8_P12ihipStream_tbDpT10_ENKUlT_T0_E_clISt17integral_constantIbLb0EES1B_IbLb1EEEEDaS17_S18_EUlS17_E_NS1_11comp_targetILNS1_3genE10ELNS1_11target_archE1200ELNS1_3gpuE4ELNS1_3repE0EEENS1_30default_config_static_selectorELNS0_4arch9wavefront6targetE1EEEvT1_.kd
    .uniform_work_group_size: 1
    .uses_dynamic_stack: false
    .vgpr_count:     0
    .vgpr_spill_count: 0
    .wavefront_size: 64
  - .agpr_count:     0
    .args:
      - .offset:         0
        .size:           136
        .value_kind:     by_value
    .group_segment_fixed_size: 0
    .kernarg_segment_align: 8
    .kernarg_segment_size: 136
    .language:       OpenCL C
    .language_version:
      - 2
      - 0
    .max_flat_workgroup_size: 512
    .name:           _ZN7rocprim17ROCPRIM_400000_NS6detail17trampoline_kernelINS0_14default_configENS1_25partition_config_selectorILNS1_17partition_subalgoE9EllbEEZZNS1_14partition_implILS5_9ELb0ES3_jPlS8_PNS0_10empty_typeENS0_5tupleIJS8_S9_EEENSB_IJS8_SA_EEENS0_18inequality_wrapperIZN2at6native12_GLOBAL__N_124unique_dim_cuda_templateIN3c104HalfEEESt5tupleIJNSF_6TensorESM_SM_EERKSM_lbbbEUlllE0_EEPmJS9_EEE10hipError_tPvRmT3_T4_T5_T6_T7_T9_mT8_P12ihipStream_tbDpT10_ENKUlT_T0_E_clISt17integral_constantIbLb0EES1B_IbLb1EEEEDaS17_S18_EUlS17_E_NS1_11comp_targetILNS1_3genE9ELNS1_11target_archE1100ELNS1_3gpuE3ELNS1_3repE0EEENS1_30default_config_static_selectorELNS0_4arch9wavefront6targetE1EEEvT1_
    .private_segment_fixed_size: 0
    .sgpr_count:     4
    .sgpr_spill_count: 0
    .symbol:         _ZN7rocprim17ROCPRIM_400000_NS6detail17trampoline_kernelINS0_14default_configENS1_25partition_config_selectorILNS1_17partition_subalgoE9EllbEEZZNS1_14partition_implILS5_9ELb0ES3_jPlS8_PNS0_10empty_typeENS0_5tupleIJS8_S9_EEENSB_IJS8_SA_EEENS0_18inequality_wrapperIZN2at6native12_GLOBAL__N_124unique_dim_cuda_templateIN3c104HalfEEESt5tupleIJNSF_6TensorESM_SM_EERKSM_lbbbEUlllE0_EEPmJS9_EEE10hipError_tPvRmT3_T4_T5_T6_T7_T9_mT8_P12ihipStream_tbDpT10_ENKUlT_T0_E_clISt17integral_constantIbLb0EES1B_IbLb1EEEEDaS17_S18_EUlS17_E_NS1_11comp_targetILNS1_3genE9ELNS1_11target_archE1100ELNS1_3gpuE3ELNS1_3repE0EEENS1_30default_config_static_selectorELNS0_4arch9wavefront6targetE1EEEvT1_.kd
    .uniform_work_group_size: 1
    .uses_dynamic_stack: false
    .vgpr_count:     0
    .vgpr_spill_count: 0
    .wavefront_size: 64
  - .agpr_count:     0
    .args:
      - .offset:         0
        .size:           136
        .value_kind:     by_value
    .group_segment_fixed_size: 0
    .kernarg_segment_align: 8
    .kernarg_segment_size: 136
    .language:       OpenCL C
    .language_version:
      - 2
      - 0
    .max_flat_workgroup_size: 512
    .name:           _ZN7rocprim17ROCPRIM_400000_NS6detail17trampoline_kernelINS0_14default_configENS1_25partition_config_selectorILNS1_17partition_subalgoE9EllbEEZZNS1_14partition_implILS5_9ELb0ES3_jPlS8_PNS0_10empty_typeENS0_5tupleIJS8_S9_EEENSB_IJS8_SA_EEENS0_18inequality_wrapperIZN2at6native12_GLOBAL__N_124unique_dim_cuda_templateIN3c104HalfEEESt5tupleIJNSF_6TensorESM_SM_EERKSM_lbbbEUlllE0_EEPmJS9_EEE10hipError_tPvRmT3_T4_T5_T6_T7_T9_mT8_P12ihipStream_tbDpT10_ENKUlT_T0_E_clISt17integral_constantIbLb0EES1B_IbLb1EEEEDaS17_S18_EUlS17_E_NS1_11comp_targetILNS1_3genE8ELNS1_11target_archE1030ELNS1_3gpuE2ELNS1_3repE0EEENS1_30default_config_static_selectorELNS0_4arch9wavefront6targetE1EEEvT1_
    .private_segment_fixed_size: 0
    .sgpr_count:     4
    .sgpr_spill_count: 0
    .symbol:         _ZN7rocprim17ROCPRIM_400000_NS6detail17trampoline_kernelINS0_14default_configENS1_25partition_config_selectorILNS1_17partition_subalgoE9EllbEEZZNS1_14partition_implILS5_9ELb0ES3_jPlS8_PNS0_10empty_typeENS0_5tupleIJS8_S9_EEENSB_IJS8_SA_EEENS0_18inequality_wrapperIZN2at6native12_GLOBAL__N_124unique_dim_cuda_templateIN3c104HalfEEESt5tupleIJNSF_6TensorESM_SM_EERKSM_lbbbEUlllE0_EEPmJS9_EEE10hipError_tPvRmT3_T4_T5_T6_T7_T9_mT8_P12ihipStream_tbDpT10_ENKUlT_T0_E_clISt17integral_constantIbLb0EES1B_IbLb1EEEEDaS17_S18_EUlS17_E_NS1_11comp_targetILNS1_3genE8ELNS1_11target_archE1030ELNS1_3gpuE2ELNS1_3repE0EEENS1_30default_config_static_selectorELNS0_4arch9wavefront6targetE1EEEvT1_.kd
    .uniform_work_group_size: 1
    .uses_dynamic_stack: false
    .vgpr_count:     0
    .vgpr_spill_count: 0
    .wavefront_size: 64
  - .agpr_count:     0
    .args:
      - .offset:         0
        .size:           72
        .value_kind:     by_value
    .group_segment_fixed_size: 0
    .kernarg_segment_align: 8
    .kernarg_segment_size: 72
    .language:       OpenCL C
    .language_version:
      - 2
      - 0
    .max_flat_workgroup_size: 256
    .name:           _ZN7rocprim17ROCPRIM_400000_NS6detail17trampoline_kernelINS0_14default_configENS1_37merge_sort_block_sort_config_selectorIlNS0_10empty_typeEEEZNS1_21merge_sort_block_sortIS3_PlS8_PS5_S9_ZN2at6native12_GLOBAL__N_124unique_dim_cuda_templateItEESt5tupleIJNSA_6TensorESF_SF_EERKSF_lbbbEUlllE_EE10hipError_tT0_T1_T2_T3_mRjT4_P12ihipStream_tbNS1_7vsmem_tEEUlT_E_NS1_11comp_targetILNS1_3genE0ELNS1_11target_archE4294967295ELNS1_3gpuE0ELNS1_3repE0EEENS1_30default_config_static_selectorELNS0_4arch9wavefront6targetE1EEEvSM_
    .private_segment_fixed_size: 0
    .sgpr_count:     4
    .sgpr_spill_count: 0
    .symbol:         _ZN7rocprim17ROCPRIM_400000_NS6detail17trampoline_kernelINS0_14default_configENS1_37merge_sort_block_sort_config_selectorIlNS0_10empty_typeEEEZNS1_21merge_sort_block_sortIS3_PlS8_PS5_S9_ZN2at6native12_GLOBAL__N_124unique_dim_cuda_templateItEESt5tupleIJNSA_6TensorESF_SF_EERKSF_lbbbEUlllE_EE10hipError_tT0_T1_T2_T3_mRjT4_P12ihipStream_tbNS1_7vsmem_tEEUlT_E_NS1_11comp_targetILNS1_3genE0ELNS1_11target_archE4294967295ELNS1_3gpuE0ELNS1_3repE0EEENS1_30default_config_static_selectorELNS0_4arch9wavefront6targetE1EEEvSM_.kd
    .uniform_work_group_size: 1
    .uses_dynamic_stack: false
    .vgpr_count:     0
    .vgpr_spill_count: 0
    .wavefront_size: 64
  - .agpr_count:     0
    .args:
      - .offset:         0
        .size:           72
        .value_kind:     by_value
    .group_segment_fixed_size: 0
    .kernarg_segment_align: 8
    .kernarg_segment_size: 72
    .language:       OpenCL C
    .language_version:
      - 2
      - 0
    .max_flat_workgroup_size: 256
    .name:           _ZN7rocprim17ROCPRIM_400000_NS6detail17trampoline_kernelINS0_14default_configENS1_37merge_sort_block_sort_config_selectorIlNS0_10empty_typeEEEZNS1_21merge_sort_block_sortIS3_PlS8_PS5_S9_ZN2at6native12_GLOBAL__N_124unique_dim_cuda_templateItEESt5tupleIJNSA_6TensorESF_SF_EERKSF_lbbbEUlllE_EE10hipError_tT0_T1_T2_T3_mRjT4_P12ihipStream_tbNS1_7vsmem_tEEUlT_E_NS1_11comp_targetILNS1_3genE5ELNS1_11target_archE942ELNS1_3gpuE9ELNS1_3repE0EEENS1_30default_config_static_selectorELNS0_4arch9wavefront6targetE1EEEvSM_
    .private_segment_fixed_size: 0
    .sgpr_count:     4
    .sgpr_spill_count: 0
    .symbol:         _ZN7rocprim17ROCPRIM_400000_NS6detail17trampoline_kernelINS0_14default_configENS1_37merge_sort_block_sort_config_selectorIlNS0_10empty_typeEEEZNS1_21merge_sort_block_sortIS3_PlS8_PS5_S9_ZN2at6native12_GLOBAL__N_124unique_dim_cuda_templateItEESt5tupleIJNSA_6TensorESF_SF_EERKSF_lbbbEUlllE_EE10hipError_tT0_T1_T2_T3_mRjT4_P12ihipStream_tbNS1_7vsmem_tEEUlT_E_NS1_11comp_targetILNS1_3genE5ELNS1_11target_archE942ELNS1_3gpuE9ELNS1_3repE0EEENS1_30default_config_static_selectorELNS0_4arch9wavefront6targetE1EEEvSM_.kd
    .uniform_work_group_size: 1
    .uses_dynamic_stack: false
    .vgpr_count:     0
    .vgpr_spill_count: 0
    .wavefront_size: 64
  - .agpr_count:     0
    .args:
      - .offset:         0
        .size:           72
        .value_kind:     by_value
      - .offset:         72
        .size:           4
        .value_kind:     hidden_block_count_x
      - .offset:         76
        .size:           4
        .value_kind:     hidden_block_count_y
      - .offset:         80
        .size:           4
        .value_kind:     hidden_block_count_z
      - .offset:         84
        .size:           2
        .value_kind:     hidden_group_size_x
      - .offset:         86
        .size:           2
        .value_kind:     hidden_group_size_y
      - .offset:         88
        .size:           2
        .value_kind:     hidden_group_size_z
      - .offset:         90
        .size:           2
        .value_kind:     hidden_remainder_x
      - .offset:         92
        .size:           2
        .value_kind:     hidden_remainder_y
      - .offset:         94
        .size:           2
        .value_kind:     hidden_remainder_z
      - .offset:         112
        .size:           8
        .value_kind:     hidden_global_offset_x
      - .offset:         120
        .size:           8
        .value_kind:     hidden_global_offset_y
      - .offset:         128
        .size:           8
        .value_kind:     hidden_global_offset_z
      - .offset:         136
        .size:           2
        .value_kind:     hidden_grid_dims
    .group_segment_fixed_size: 8448
    .kernarg_segment_align: 8
    .kernarg_segment_size: 328
    .language:       OpenCL C
    .language_version:
      - 2
      - 0
    .max_flat_workgroup_size: 256
    .name:           _ZN7rocprim17ROCPRIM_400000_NS6detail17trampoline_kernelINS0_14default_configENS1_37merge_sort_block_sort_config_selectorIlNS0_10empty_typeEEEZNS1_21merge_sort_block_sortIS3_PlS8_PS5_S9_ZN2at6native12_GLOBAL__N_124unique_dim_cuda_templateItEESt5tupleIJNSA_6TensorESF_SF_EERKSF_lbbbEUlllE_EE10hipError_tT0_T1_T2_T3_mRjT4_P12ihipStream_tbNS1_7vsmem_tEEUlT_E_NS1_11comp_targetILNS1_3genE4ELNS1_11target_archE910ELNS1_3gpuE8ELNS1_3repE0EEENS1_30default_config_static_selectorELNS0_4arch9wavefront6targetE1EEEvSM_
    .private_segment_fixed_size: 0
    .sgpr_count:     58
    .sgpr_spill_count: 0
    .symbol:         _ZN7rocprim17ROCPRIM_400000_NS6detail17trampoline_kernelINS0_14default_configENS1_37merge_sort_block_sort_config_selectorIlNS0_10empty_typeEEEZNS1_21merge_sort_block_sortIS3_PlS8_PS5_S9_ZN2at6native12_GLOBAL__N_124unique_dim_cuda_templateItEESt5tupleIJNSA_6TensorESF_SF_EERKSF_lbbbEUlllE_EE10hipError_tT0_T1_T2_T3_mRjT4_P12ihipStream_tbNS1_7vsmem_tEEUlT_E_NS1_11comp_targetILNS1_3genE4ELNS1_11target_archE910ELNS1_3gpuE8ELNS1_3repE0EEENS1_30default_config_static_selectorELNS0_4arch9wavefront6targetE1EEEvSM_.kd
    .uniform_work_group_size: 1
    .uses_dynamic_stack: false
    .vgpr_count:     46
    .vgpr_spill_count: 0
    .wavefront_size: 64
  - .agpr_count:     0
    .args:
      - .offset:         0
        .size:           72
        .value_kind:     by_value
    .group_segment_fixed_size: 0
    .kernarg_segment_align: 8
    .kernarg_segment_size: 72
    .language:       OpenCL C
    .language_version:
      - 2
      - 0
    .max_flat_workgroup_size: 256
    .name:           _ZN7rocprim17ROCPRIM_400000_NS6detail17trampoline_kernelINS0_14default_configENS1_37merge_sort_block_sort_config_selectorIlNS0_10empty_typeEEEZNS1_21merge_sort_block_sortIS3_PlS8_PS5_S9_ZN2at6native12_GLOBAL__N_124unique_dim_cuda_templateItEESt5tupleIJNSA_6TensorESF_SF_EERKSF_lbbbEUlllE_EE10hipError_tT0_T1_T2_T3_mRjT4_P12ihipStream_tbNS1_7vsmem_tEEUlT_E_NS1_11comp_targetILNS1_3genE3ELNS1_11target_archE908ELNS1_3gpuE7ELNS1_3repE0EEENS1_30default_config_static_selectorELNS0_4arch9wavefront6targetE1EEEvSM_
    .private_segment_fixed_size: 0
    .sgpr_count:     4
    .sgpr_spill_count: 0
    .symbol:         _ZN7rocprim17ROCPRIM_400000_NS6detail17trampoline_kernelINS0_14default_configENS1_37merge_sort_block_sort_config_selectorIlNS0_10empty_typeEEEZNS1_21merge_sort_block_sortIS3_PlS8_PS5_S9_ZN2at6native12_GLOBAL__N_124unique_dim_cuda_templateItEESt5tupleIJNSA_6TensorESF_SF_EERKSF_lbbbEUlllE_EE10hipError_tT0_T1_T2_T3_mRjT4_P12ihipStream_tbNS1_7vsmem_tEEUlT_E_NS1_11comp_targetILNS1_3genE3ELNS1_11target_archE908ELNS1_3gpuE7ELNS1_3repE0EEENS1_30default_config_static_selectorELNS0_4arch9wavefront6targetE1EEEvSM_.kd
    .uniform_work_group_size: 1
    .uses_dynamic_stack: false
    .vgpr_count:     0
    .vgpr_spill_count: 0
    .wavefront_size: 64
  - .agpr_count:     0
    .args:
      - .offset:         0
        .size:           72
        .value_kind:     by_value
    .group_segment_fixed_size: 0
    .kernarg_segment_align: 8
    .kernarg_segment_size: 72
    .language:       OpenCL C
    .language_version:
      - 2
      - 0
    .max_flat_workgroup_size: 256
    .name:           _ZN7rocprim17ROCPRIM_400000_NS6detail17trampoline_kernelINS0_14default_configENS1_37merge_sort_block_sort_config_selectorIlNS0_10empty_typeEEEZNS1_21merge_sort_block_sortIS3_PlS8_PS5_S9_ZN2at6native12_GLOBAL__N_124unique_dim_cuda_templateItEESt5tupleIJNSA_6TensorESF_SF_EERKSF_lbbbEUlllE_EE10hipError_tT0_T1_T2_T3_mRjT4_P12ihipStream_tbNS1_7vsmem_tEEUlT_E_NS1_11comp_targetILNS1_3genE2ELNS1_11target_archE906ELNS1_3gpuE6ELNS1_3repE0EEENS1_30default_config_static_selectorELNS0_4arch9wavefront6targetE1EEEvSM_
    .private_segment_fixed_size: 0
    .sgpr_count:     4
    .sgpr_spill_count: 0
    .symbol:         _ZN7rocprim17ROCPRIM_400000_NS6detail17trampoline_kernelINS0_14default_configENS1_37merge_sort_block_sort_config_selectorIlNS0_10empty_typeEEEZNS1_21merge_sort_block_sortIS3_PlS8_PS5_S9_ZN2at6native12_GLOBAL__N_124unique_dim_cuda_templateItEESt5tupleIJNSA_6TensorESF_SF_EERKSF_lbbbEUlllE_EE10hipError_tT0_T1_T2_T3_mRjT4_P12ihipStream_tbNS1_7vsmem_tEEUlT_E_NS1_11comp_targetILNS1_3genE2ELNS1_11target_archE906ELNS1_3gpuE6ELNS1_3repE0EEENS1_30default_config_static_selectorELNS0_4arch9wavefront6targetE1EEEvSM_.kd
    .uniform_work_group_size: 1
    .uses_dynamic_stack: false
    .vgpr_count:     0
    .vgpr_spill_count: 0
    .wavefront_size: 64
  - .agpr_count:     0
    .args:
      - .offset:         0
        .size:           72
        .value_kind:     by_value
    .group_segment_fixed_size: 0
    .kernarg_segment_align: 8
    .kernarg_segment_size: 72
    .language:       OpenCL C
    .language_version:
      - 2
      - 0
    .max_flat_workgroup_size: 256
    .name:           _ZN7rocprim17ROCPRIM_400000_NS6detail17trampoline_kernelINS0_14default_configENS1_37merge_sort_block_sort_config_selectorIlNS0_10empty_typeEEEZNS1_21merge_sort_block_sortIS3_PlS8_PS5_S9_ZN2at6native12_GLOBAL__N_124unique_dim_cuda_templateItEESt5tupleIJNSA_6TensorESF_SF_EERKSF_lbbbEUlllE_EE10hipError_tT0_T1_T2_T3_mRjT4_P12ihipStream_tbNS1_7vsmem_tEEUlT_E_NS1_11comp_targetILNS1_3genE10ELNS1_11target_archE1201ELNS1_3gpuE5ELNS1_3repE0EEENS1_30default_config_static_selectorELNS0_4arch9wavefront6targetE1EEEvSM_
    .private_segment_fixed_size: 0
    .sgpr_count:     4
    .sgpr_spill_count: 0
    .symbol:         _ZN7rocprim17ROCPRIM_400000_NS6detail17trampoline_kernelINS0_14default_configENS1_37merge_sort_block_sort_config_selectorIlNS0_10empty_typeEEEZNS1_21merge_sort_block_sortIS3_PlS8_PS5_S9_ZN2at6native12_GLOBAL__N_124unique_dim_cuda_templateItEESt5tupleIJNSA_6TensorESF_SF_EERKSF_lbbbEUlllE_EE10hipError_tT0_T1_T2_T3_mRjT4_P12ihipStream_tbNS1_7vsmem_tEEUlT_E_NS1_11comp_targetILNS1_3genE10ELNS1_11target_archE1201ELNS1_3gpuE5ELNS1_3repE0EEENS1_30default_config_static_selectorELNS0_4arch9wavefront6targetE1EEEvSM_.kd
    .uniform_work_group_size: 1
    .uses_dynamic_stack: false
    .vgpr_count:     0
    .vgpr_spill_count: 0
    .wavefront_size: 64
  - .agpr_count:     0
    .args:
      - .offset:         0
        .size:           72
        .value_kind:     by_value
    .group_segment_fixed_size: 0
    .kernarg_segment_align: 8
    .kernarg_segment_size: 72
    .language:       OpenCL C
    .language_version:
      - 2
      - 0
    .max_flat_workgroup_size: 512
    .name:           _ZN7rocprim17ROCPRIM_400000_NS6detail17trampoline_kernelINS0_14default_configENS1_37merge_sort_block_sort_config_selectorIlNS0_10empty_typeEEEZNS1_21merge_sort_block_sortIS3_PlS8_PS5_S9_ZN2at6native12_GLOBAL__N_124unique_dim_cuda_templateItEESt5tupleIJNSA_6TensorESF_SF_EERKSF_lbbbEUlllE_EE10hipError_tT0_T1_T2_T3_mRjT4_P12ihipStream_tbNS1_7vsmem_tEEUlT_E_NS1_11comp_targetILNS1_3genE10ELNS1_11target_archE1200ELNS1_3gpuE4ELNS1_3repE0EEENS1_30default_config_static_selectorELNS0_4arch9wavefront6targetE1EEEvSM_
    .private_segment_fixed_size: 0
    .sgpr_count:     4
    .sgpr_spill_count: 0
    .symbol:         _ZN7rocprim17ROCPRIM_400000_NS6detail17trampoline_kernelINS0_14default_configENS1_37merge_sort_block_sort_config_selectorIlNS0_10empty_typeEEEZNS1_21merge_sort_block_sortIS3_PlS8_PS5_S9_ZN2at6native12_GLOBAL__N_124unique_dim_cuda_templateItEESt5tupleIJNSA_6TensorESF_SF_EERKSF_lbbbEUlllE_EE10hipError_tT0_T1_T2_T3_mRjT4_P12ihipStream_tbNS1_7vsmem_tEEUlT_E_NS1_11comp_targetILNS1_3genE10ELNS1_11target_archE1200ELNS1_3gpuE4ELNS1_3repE0EEENS1_30default_config_static_selectorELNS0_4arch9wavefront6targetE1EEEvSM_.kd
    .uniform_work_group_size: 1
    .uses_dynamic_stack: false
    .vgpr_count:     0
    .vgpr_spill_count: 0
    .wavefront_size: 64
  - .agpr_count:     0
    .args:
      - .offset:         0
        .size:           72
        .value_kind:     by_value
    .group_segment_fixed_size: 0
    .kernarg_segment_align: 8
    .kernarg_segment_size: 72
    .language:       OpenCL C
    .language_version:
      - 2
      - 0
    .max_flat_workgroup_size: 256
    .name:           _ZN7rocprim17ROCPRIM_400000_NS6detail17trampoline_kernelINS0_14default_configENS1_37merge_sort_block_sort_config_selectorIlNS0_10empty_typeEEEZNS1_21merge_sort_block_sortIS3_PlS8_PS5_S9_ZN2at6native12_GLOBAL__N_124unique_dim_cuda_templateItEESt5tupleIJNSA_6TensorESF_SF_EERKSF_lbbbEUlllE_EE10hipError_tT0_T1_T2_T3_mRjT4_P12ihipStream_tbNS1_7vsmem_tEEUlT_E_NS1_11comp_targetILNS1_3genE9ELNS1_11target_archE1100ELNS1_3gpuE3ELNS1_3repE0EEENS1_30default_config_static_selectorELNS0_4arch9wavefront6targetE1EEEvSM_
    .private_segment_fixed_size: 0
    .sgpr_count:     4
    .sgpr_spill_count: 0
    .symbol:         _ZN7rocprim17ROCPRIM_400000_NS6detail17trampoline_kernelINS0_14default_configENS1_37merge_sort_block_sort_config_selectorIlNS0_10empty_typeEEEZNS1_21merge_sort_block_sortIS3_PlS8_PS5_S9_ZN2at6native12_GLOBAL__N_124unique_dim_cuda_templateItEESt5tupleIJNSA_6TensorESF_SF_EERKSF_lbbbEUlllE_EE10hipError_tT0_T1_T2_T3_mRjT4_P12ihipStream_tbNS1_7vsmem_tEEUlT_E_NS1_11comp_targetILNS1_3genE9ELNS1_11target_archE1100ELNS1_3gpuE3ELNS1_3repE0EEENS1_30default_config_static_selectorELNS0_4arch9wavefront6targetE1EEEvSM_.kd
    .uniform_work_group_size: 1
    .uses_dynamic_stack: false
    .vgpr_count:     0
    .vgpr_spill_count: 0
    .wavefront_size: 64
  - .agpr_count:     0
    .args:
      - .offset:         0
        .size:           72
        .value_kind:     by_value
    .group_segment_fixed_size: 0
    .kernarg_segment_align: 8
    .kernarg_segment_size: 72
    .language:       OpenCL C
    .language_version:
      - 2
      - 0
    .max_flat_workgroup_size: 256
    .name:           _ZN7rocprim17ROCPRIM_400000_NS6detail17trampoline_kernelINS0_14default_configENS1_37merge_sort_block_sort_config_selectorIlNS0_10empty_typeEEEZNS1_21merge_sort_block_sortIS3_PlS8_PS5_S9_ZN2at6native12_GLOBAL__N_124unique_dim_cuda_templateItEESt5tupleIJNSA_6TensorESF_SF_EERKSF_lbbbEUlllE_EE10hipError_tT0_T1_T2_T3_mRjT4_P12ihipStream_tbNS1_7vsmem_tEEUlT_E_NS1_11comp_targetILNS1_3genE8ELNS1_11target_archE1030ELNS1_3gpuE2ELNS1_3repE0EEENS1_30default_config_static_selectorELNS0_4arch9wavefront6targetE1EEEvSM_
    .private_segment_fixed_size: 0
    .sgpr_count:     4
    .sgpr_spill_count: 0
    .symbol:         _ZN7rocprim17ROCPRIM_400000_NS6detail17trampoline_kernelINS0_14default_configENS1_37merge_sort_block_sort_config_selectorIlNS0_10empty_typeEEEZNS1_21merge_sort_block_sortIS3_PlS8_PS5_S9_ZN2at6native12_GLOBAL__N_124unique_dim_cuda_templateItEESt5tupleIJNSA_6TensorESF_SF_EERKSF_lbbbEUlllE_EE10hipError_tT0_T1_T2_T3_mRjT4_P12ihipStream_tbNS1_7vsmem_tEEUlT_E_NS1_11comp_targetILNS1_3genE8ELNS1_11target_archE1030ELNS1_3gpuE2ELNS1_3repE0EEENS1_30default_config_static_selectorELNS0_4arch9wavefront6targetE1EEEvSM_.kd
    .uniform_work_group_size: 1
    .uses_dynamic_stack: false
    .vgpr_count:     0
    .vgpr_spill_count: 0
    .wavefront_size: 64
  - .agpr_count:     0
    .args:
      - .offset:         0
        .size:           56
        .value_kind:     by_value
    .group_segment_fixed_size: 0
    .kernarg_segment_align: 8
    .kernarg_segment_size: 56
    .language:       OpenCL C
    .language_version:
      - 2
      - 0
    .max_flat_workgroup_size: 128
    .name:           _ZN7rocprim17ROCPRIM_400000_NS6detail17trampoline_kernelINS0_14default_configENS1_38merge_sort_block_merge_config_selectorIlNS0_10empty_typeEEEZZNS1_27merge_sort_block_merge_implIS3_PlPS5_mZN2at6native12_GLOBAL__N_124unique_dim_cuda_templateItEESt5tupleIJNSA_6TensorESF_SF_EERKSF_lbbbEUlllE_EE10hipError_tT0_T1_T2_jT3_P12ihipStream_tbPNSt15iterator_traitsISL_E10value_typeEPNSR_ISM_E10value_typeEPSN_NS1_7vsmem_tEENKUlT_SL_SM_SN_E_clIS8_S8_S9_S9_EESK_S10_SL_SM_SN_EUlS10_E_NS1_11comp_targetILNS1_3genE0ELNS1_11target_archE4294967295ELNS1_3gpuE0ELNS1_3repE0EEENS1_48merge_mergepath_partition_config_static_selectorELNS0_4arch9wavefront6targetE1EEEvSM_
    .private_segment_fixed_size: 0
    .sgpr_count:     4
    .sgpr_spill_count: 0
    .symbol:         _ZN7rocprim17ROCPRIM_400000_NS6detail17trampoline_kernelINS0_14default_configENS1_38merge_sort_block_merge_config_selectorIlNS0_10empty_typeEEEZZNS1_27merge_sort_block_merge_implIS3_PlPS5_mZN2at6native12_GLOBAL__N_124unique_dim_cuda_templateItEESt5tupleIJNSA_6TensorESF_SF_EERKSF_lbbbEUlllE_EE10hipError_tT0_T1_T2_jT3_P12ihipStream_tbPNSt15iterator_traitsISL_E10value_typeEPNSR_ISM_E10value_typeEPSN_NS1_7vsmem_tEENKUlT_SL_SM_SN_E_clIS8_S8_S9_S9_EESK_S10_SL_SM_SN_EUlS10_E_NS1_11comp_targetILNS1_3genE0ELNS1_11target_archE4294967295ELNS1_3gpuE0ELNS1_3repE0EEENS1_48merge_mergepath_partition_config_static_selectorELNS0_4arch9wavefront6targetE1EEEvSM_.kd
    .uniform_work_group_size: 1
    .uses_dynamic_stack: false
    .vgpr_count:     0
    .vgpr_spill_count: 0
    .wavefront_size: 64
  - .agpr_count:     0
    .args:
      - .offset:         0
        .size:           56
        .value_kind:     by_value
    .group_segment_fixed_size: 0
    .kernarg_segment_align: 8
    .kernarg_segment_size: 56
    .language:       OpenCL C
    .language_version:
      - 2
      - 0
    .max_flat_workgroup_size: 128
    .name:           _ZN7rocprim17ROCPRIM_400000_NS6detail17trampoline_kernelINS0_14default_configENS1_38merge_sort_block_merge_config_selectorIlNS0_10empty_typeEEEZZNS1_27merge_sort_block_merge_implIS3_PlPS5_mZN2at6native12_GLOBAL__N_124unique_dim_cuda_templateItEESt5tupleIJNSA_6TensorESF_SF_EERKSF_lbbbEUlllE_EE10hipError_tT0_T1_T2_jT3_P12ihipStream_tbPNSt15iterator_traitsISL_E10value_typeEPNSR_ISM_E10value_typeEPSN_NS1_7vsmem_tEENKUlT_SL_SM_SN_E_clIS8_S8_S9_S9_EESK_S10_SL_SM_SN_EUlS10_E_NS1_11comp_targetILNS1_3genE10ELNS1_11target_archE1201ELNS1_3gpuE5ELNS1_3repE0EEENS1_48merge_mergepath_partition_config_static_selectorELNS0_4arch9wavefront6targetE1EEEvSM_
    .private_segment_fixed_size: 0
    .sgpr_count:     4
    .sgpr_spill_count: 0
    .symbol:         _ZN7rocprim17ROCPRIM_400000_NS6detail17trampoline_kernelINS0_14default_configENS1_38merge_sort_block_merge_config_selectorIlNS0_10empty_typeEEEZZNS1_27merge_sort_block_merge_implIS3_PlPS5_mZN2at6native12_GLOBAL__N_124unique_dim_cuda_templateItEESt5tupleIJNSA_6TensorESF_SF_EERKSF_lbbbEUlllE_EE10hipError_tT0_T1_T2_jT3_P12ihipStream_tbPNSt15iterator_traitsISL_E10value_typeEPNSR_ISM_E10value_typeEPSN_NS1_7vsmem_tEENKUlT_SL_SM_SN_E_clIS8_S8_S9_S9_EESK_S10_SL_SM_SN_EUlS10_E_NS1_11comp_targetILNS1_3genE10ELNS1_11target_archE1201ELNS1_3gpuE5ELNS1_3repE0EEENS1_48merge_mergepath_partition_config_static_selectorELNS0_4arch9wavefront6targetE1EEEvSM_.kd
    .uniform_work_group_size: 1
    .uses_dynamic_stack: false
    .vgpr_count:     0
    .vgpr_spill_count: 0
    .wavefront_size: 64
  - .agpr_count:     0
    .args:
      - .offset:         0
        .size:           56
        .value_kind:     by_value
    .group_segment_fixed_size: 0
    .kernarg_segment_align: 8
    .kernarg_segment_size: 56
    .language:       OpenCL C
    .language_version:
      - 2
      - 0
    .max_flat_workgroup_size: 128
    .name:           _ZN7rocprim17ROCPRIM_400000_NS6detail17trampoline_kernelINS0_14default_configENS1_38merge_sort_block_merge_config_selectorIlNS0_10empty_typeEEEZZNS1_27merge_sort_block_merge_implIS3_PlPS5_mZN2at6native12_GLOBAL__N_124unique_dim_cuda_templateItEESt5tupleIJNSA_6TensorESF_SF_EERKSF_lbbbEUlllE_EE10hipError_tT0_T1_T2_jT3_P12ihipStream_tbPNSt15iterator_traitsISL_E10value_typeEPNSR_ISM_E10value_typeEPSN_NS1_7vsmem_tEENKUlT_SL_SM_SN_E_clIS8_S8_S9_S9_EESK_S10_SL_SM_SN_EUlS10_E_NS1_11comp_targetILNS1_3genE5ELNS1_11target_archE942ELNS1_3gpuE9ELNS1_3repE0EEENS1_48merge_mergepath_partition_config_static_selectorELNS0_4arch9wavefront6targetE1EEEvSM_
    .private_segment_fixed_size: 0
    .sgpr_count:     4
    .sgpr_spill_count: 0
    .symbol:         _ZN7rocprim17ROCPRIM_400000_NS6detail17trampoline_kernelINS0_14default_configENS1_38merge_sort_block_merge_config_selectorIlNS0_10empty_typeEEEZZNS1_27merge_sort_block_merge_implIS3_PlPS5_mZN2at6native12_GLOBAL__N_124unique_dim_cuda_templateItEESt5tupleIJNSA_6TensorESF_SF_EERKSF_lbbbEUlllE_EE10hipError_tT0_T1_T2_jT3_P12ihipStream_tbPNSt15iterator_traitsISL_E10value_typeEPNSR_ISM_E10value_typeEPSN_NS1_7vsmem_tEENKUlT_SL_SM_SN_E_clIS8_S8_S9_S9_EESK_S10_SL_SM_SN_EUlS10_E_NS1_11comp_targetILNS1_3genE5ELNS1_11target_archE942ELNS1_3gpuE9ELNS1_3repE0EEENS1_48merge_mergepath_partition_config_static_selectorELNS0_4arch9wavefront6targetE1EEEvSM_.kd
    .uniform_work_group_size: 1
    .uses_dynamic_stack: false
    .vgpr_count:     0
    .vgpr_spill_count: 0
    .wavefront_size: 64
  - .agpr_count:     0
    .args:
      - .offset:         0
        .size:           56
        .value_kind:     by_value
    .group_segment_fixed_size: 0
    .kernarg_segment_align: 8
    .kernarg_segment_size: 56
    .language:       OpenCL C
    .language_version:
      - 2
      - 0
    .max_flat_workgroup_size: 128
    .name:           _ZN7rocprim17ROCPRIM_400000_NS6detail17trampoline_kernelINS0_14default_configENS1_38merge_sort_block_merge_config_selectorIlNS0_10empty_typeEEEZZNS1_27merge_sort_block_merge_implIS3_PlPS5_mZN2at6native12_GLOBAL__N_124unique_dim_cuda_templateItEESt5tupleIJNSA_6TensorESF_SF_EERKSF_lbbbEUlllE_EE10hipError_tT0_T1_T2_jT3_P12ihipStream_tbPNSt15iterator_traitsISL_E10value_typeEPNSR_ISM_E10value_typeEPSN_NS1_7vsmem_tEENKUlT_SL_SM_SN_E_clIS8_S8_S9_S9_EESK_S10_SL_SM_SN_EUlS10_E_NS1_11comp_targetILNS1_3genE4ELNS1_11target_archE910ELNS1_3gpuE8ELNS1_3repE0EEENS1_48merge_mergepath_partition_config_static_selectorELNS0_4arch9wavefront6targetE1EEEvSM_
    .private_segment_fixed_size: 0
    .sgpr_count:     40
    .sgpr_spill_count: 0
    .symbol:         _ZN7rocprim17ROCPRIM_400000_NS6detail17trampoline_kernelINS0_14default_configENS1_38merge_sort_block_merge_config_selectorIlNS0_10empty_typeEEEZZNS1_27merge_sort_block_merge_implIS3_PlPS5_mZN2at6native12_GLOBAL__N_124unique_dim_cuda_templateItEESt5tupleIJNSA_6TensorESF_SF_EERKSF_lbbbEUlllE_EE10hipError_tT0_T1_T2_jT3_P12ihipStream_tbPNSt15iterator_traitsISL_E10value_typeEPNSR_ISM_E10value_typeEPSN_NS1_7vsmem_tEENKUlT_SL_SM_SN_E_clIS8_S8_S9_S9_EESK_S10_SL_SM_SN_EUlS10_E_NS1_11comp_targetILNS1_3genE4ELNS1_11target_archE910ELNS1_3gpuE8ELNS1_3repE0EEENS1_48merge_mergepath_partition_config_static_selectorELNS0_4arch9wavefront6targetE1EEEvSM_.kd
    .uniform_work_group_size: 1
    .uses_dynamic_stack: false
    .vgpr_count:     23
    .vgpr_spill_count: 0
    .wavefront_size: 64
  - .agpr_count:     0
    .args:
      - .offset:         0
        .size:           56
        .value_kind:     by_value
    .group_segment_fixed_size: 0
    .kernarg_segment_align: 8
    .kernarg_segment_size: 56
    .language:       OpenCL C
    .language_version:
      - 2
      - 0
    .max_flat_workgroup_size: 128
    .name:           _ZN7rocprim17ROCPRIM_400000_NS6detail17trampoline_kernelINS0_14default_configENS1_38merge_sort_block_merge_config_selectorIlNS0_10empty_typeEEEZZNS1_27merge_sort_block_merge_implIS3_PlPS5_mZN2at6native12_GLOBAL__N_124unique_dim_cuda_templateItEESt5tupleIJNSA_6TensorESF_SF_EERKSF_lbbbEUlllE_EE10hipError_tT0_T1_T2_jT3_P12ihipStream_tbPNSt15iterator_traitsISL_E10value_typeEPNSR_ISM_E10value_typeEPSN_NS1_7vsmem_tEENKUlT_SL_SM_SN_E_clIS8_S8_S9_S9_EESK_S10_SL_SM_SN_EUlS10_E_NS1_11comp_targetILNS1_3genE3ELNS1_11target_archE908ELNS1_3gpuE7ELNS1_3repE0EEENS1_48merge_mergepath_partition_config_static_selectorELNS0_4arch9wavefront6targetE1EEEvSM_
    .private_segment_fixed_size: 0
    .sgpr_count:     4
    .sgpr_spill_count: 0
    .symbol:         _ZN7rocprim17ROCPRIM_400000_NS6detail17trampoline_kernelINS0_14default_configENS1_38merge_sort_block_merge_config_selectorIlNS0_10empty_typeEEEZZNS1_27merge_sort_block_merge_implIS3_PlPS5_mZN2at6native12_GLOBAL__N_124unique_dim_cuda_templateItEESt5tupleIJNSA_6TensorESF_SF_EERKSF_lbbbEUlllE_EE10hipError_tT0_T1_T2_jT3_P12ihipStream_tbPNSt15iterator_traitsISL_E10value_typeEPNSR_ISM_E10value_typeEPSN_NS1_7vsmem_tEENKUlT_SL_SM_SN_E_clIS8_S8_S9_S9_EESK_S10_SL_SM_SN_EUlS10_E_NS1_11comp_targetILNS1_3genE3ELNS1_11target_archE908ELNS1_3gpuE7ELNS1_3repE0EEENS1_48merge_mergepath_partition_config_static_selectorELNS0_4arch9wavefront6targetE1EEEvSM_.kd
    .uniform_work_group_size: 1
    .uses_dynamic_stack: false
    .vgpr_count:     0
    .vgpr_spill_count: 0
    .wavefront_size: 64
  - .agpr_count:     0
    .args:
      - .offset:         0
        .size:           56
        .value_kind:     by_value
    .group_segment_fixed_size: 0
    .kernarg_segment_align: 8
    .kernarg_segment_size: 56
    .language:       OpenCL C
    .language_version:
      - 2
      - 0
    .max_flat_workgroup_size: 128
    .name:           _ZN7rocprim17ROCPRIM_400000_NS6detail17trampoline_kernelINS0_14default_configENS1_38merge_sort_block_merge_config_selectorIlNS0_10empty_typeEEEZZNS1_27merge_sort_block_merge_implIS3_PlPS5_mZN2at6native12_GLOBAL__N_124unique_dim_cuda_templateItEESt5tupleIJNSA_6TensorESF_SF_EERKSF_lbbbEUlllE_EE10hipError_tT0_T1_T2_jT3_P12ihipStream_tbPNSt15iterator_traitsISL_E10value_typeEPNSR_ISM_E10value_typeEPSN_NS1_7vsmem_tEENKUlT_SL_SM_SN_E_clIS8_S8_S9_S9_EESK_S10_SL_SM_SN_EUlS10_E_NS1_11comp_targetILNS1_3genE2ELNS1_11target_archE906ELNS1_3gpuE6ELNS1_3repE0EEENS1_48merge_mergepath_partition_config_static_selectorELNS0_4arch9wavefront6targetE1EEEvSM_
    .private_segment_fixed_size: 0
    .sgpr_count:     4
    .sgpr_spill_count: 0
    .symbol:         _ZN7rocprim17ROCPRIM_400000_NS6detail17trampoline_kernelINS0_14default_configENS1_38merge_sort_block_merge_config_selectorIlNS0_10empty_typeEEEZZNS1_27merge_sort_block_merge_implIS3_PlPS5_mZN2at6native12_GLOBAL__N_124unique_dim_cuda_templateItEESt5tupleIJNSA_6TensorESF_SF_EERKSF_lbbbEUlllE_EE10hipError_tT0_T1_T2_jT3_P12ihipStream_tbPNSt15iterator_traitsISL_E10value_typeEPNSR_ISM_E10value_typeEPSN_NS1_7vsmem_tEENKUlT_SL_SM_SN_E_clIS8_S8_S9_S9_EESK_S10_SL_SM_SN_EUlS10_E_NS1_11comp_targetILNS1_3genE2ELNS1_11target_archE906ELNS1_3gpuE6ELNS1_3repE0EEENS1_48merge_mergepath_partition_config_static_selectorELNS0_4arch9wavefront6targetE1EEEvSM_.kd
    .uniform_work_group_size: 1
    .uses_dynamic_stack: false
    .vgpr_count:     0
    .vgpr_spill_count: 0
    .wavefront_size: 64
  - .agpr_count:     0
    .args:
      - .offset:         0
        .size:           56
        .value_kind:     by_value
    .group_segment_fixed_size: 0
    .kernarg_segment_align: 8
    .kernarg_segment_size: 56
    .language:       OpenCL C
    .language_version:
      - 2
      - 0
    .max_flat_workgroup_size: 128
    .name:           _ZN7rocprim17ROCPRIM_400000_NS6detail17trampoline_kernelINS0_14default_configENS1_38merge_sort_block_merge_config_selectorIlNS0_10empty_typeEEEZZNS1_27merge_sort_block_merge_implIS3_PlPS5_mZN2at6native12_GLOBAL__N_124unique_dim_cuda_templateItEESt5tupleIJNSA_6TensorESF_SF_EERKSF_lbbbEUlllE_EE10hipError_tT0_T1_T2_jT3_P12ihipStream_tbPNSt15iterator_traitsISL_E10value_typeEPNSR_ISM_E10value_typeEPSN_NS1_7vsmem_tEENKUlT_SL_SM_SN_E_clIS8_S8_S9_S9_EESK_S10_SL_SM_SN_EUlS10_E_NS1_11comp_targetILNS1_3genE9ELNS1_11target_archE1100ELNS1_3gpuE3ELNS1_3repE0EEENS1_48merge_mergepath_partition_config_static_selectorELNS0_4arch9wavefront6targetE1EEEvSM_
    .private_segment_fixed_size: 0
    .sgpr_count:     4
    .sgpr_spill_count: 0
    .symbol:         _ZN7rocprim17ROCPRIM_400000_NS6detail17trampoline_kernelINS0_14default_configENS1_38merge_sort_block_merge_config_selectorIlNS0_10empty_typeEEEZZNS1_27merge_sort_block_merge_implIS3_PlPS5_mZN2at6native12_GLOBAL__N_124unique_dim_cuda_templateItEESt5tupleIJNSA_6TensorESF_SF_EERKSF_lbbbEUlllE_EE10hipError_tT0_T1_T2_jT3_P12ihipStream_tbPNSt15iterator_traitsISL_E10value_typeEPNSR_ISM_E10value_typeEPSN_NS1_7vsmem_tEENKUlT_SL_SM_SN_E_clIS8_S8_S9_S9_EESK_S10_SL_SM_SN_EUlS10_E_NS1_11comp_targetILNS1_3genE9ELNS1_11target_archE1100ELNS1_3gpuE3ELNS1_3repE0EEENS1_48merge_mergepath_partition_config_static_selectorELNS0_4arch9wavefront6targetE1EEEvSM_.kd
    .uniform_work_group_size: 1
    .uses_dynamic_stack: false
    .vgpr_count:     0
    .vgpr_spill_count: 0
    .wavefront_size: 64
  - .agpr_count:     0
    .args:
      - .offset:         0
        .size:           56
        .value_kind:     by_value
    .group_segment_fixed_size: 0
    .kernarg_segment_align: 8
    .kernarg_segment_size: 56
    .language:       OpenCL C
    .language_version:
      - 2
      - 0
    .max_flat_workgroup_size: 128
    .name:           _ZN7rocprim17ROCPRIM_400000_NS6detail17trampoline_kernelINS0_14default_configENS1_38merge_sort_block_merge_config_selectorIlNS0_10empty_typeEEEZZNS1_27merge_sort_block_merge_implIS3_PlPS5_mZN2at6native12_GLOBAL__N_124unique_dim_cuda_templateItEESt5tupleIJNSA_6TensorESF_SF_EERKSF_lbbbEUlllE_EE10hipError_tT0_T1_T2_jT3_P12ihipStream_tbPNSt15iterator_traitsISL_E10value_typeEPNSR_ISM_E10value_typeEPSN_NS1_7vsmem_tEENKUlT_SL_SM_SN_E_clIS8_S8_S9_S9_EESK_S10_SL_SM_SN_EUlS10_E_NS1_11comp_targetILNS1_3genE8ELNS1_11target_archE1030ELNS1_3gpuE2ELNS1_3repE0EEENS1_48merge_mergepath_partition_config_static_selectorELNS0_4arch9wavefront6targetE1EEEvSM_
    .private_segment_fixed_size: 0
    .sgpr_count:     4
    .sgpr_spill_count: 0
    .symbol:         _ZN7rocprim17ROCPRIM_400000_NS6detail17trampoline_kernelINS0_14default_configENS1_38merge_sort_block_merge_config_selectorIlNS0_10empty_typeEEEZZNS1_27merge_sort_block_merge_implIS3_PlPS5_mZN2at6native12_GLOBAL__N_124unique_dim_cuda_templateItEESt5tupleIJNSA_6TensorESF_SF_EERKSF_lbbbEUlllE_EE10hipError_tT0_T1_T2_jT3_P12ihipStream_tbPNSt15iterator_traitsISL_E10value_typeEPNSR_ISM_E10value_typeEPSN_NS1_7vsmem_tEENKUlT_SL_SM_SN_E_clIS8_S8_S9_S9_EESK_S10_SL_SM_SN_EUlS10_E_NS1_11comp_targetILNS1_3genE8ELNS1_11target_archE1030ELNS1_3gpuE2ELNS1_3repE0EEENS1_48merge_mergepath_partition_config_static_selectorELNS0_4arch9wavefront6targetE1EEEvSM_.kd
    .uniform_work_group_size: 1
    .uses_dynamic_stack: false
    .vgpr_count:     0
    .vgpr_spill_count: 0
    .wavefront_size: 64
  - .agpr_count:     0
    .args:
      - .offset:         0
        .size:           88
        .value_kind:     by_value
    .group_segment_fixed_size: 0
    .kernarg_segment_align: 8
    .kernarg_segment_size: 88
    .language:       OpenCL C
    .language_version:
      - 2
      - 0
    .max_flat_workgroup_size: 128
    .name:           _ZN7rocprim17ROCPRIM_400000_NS6detail17trampoline_kernelINS0_14default_configENS1_38merge_sort_block_merge_config_selectorIlNS0_10empty_typeEEEZZNS1_27merge_sort_block_merge_implIS3_PlPS5_mZN2at6native12_GLOBAL__N_124unique_dim_cuda_templateItEESt5tupleIJNSA_6TensorESF_SF_EERKSF_lbbbEUlllE_EE10hipError_tT0_T1_T2_jT3_P12ihipStream_tbPNSt15iterator_traitsISL_E10value_typeEPNSR_ISM_E10value_typeEPSN_NS1_7vsmem_tEENKUlT_SL_SM_SN_E_clIS8_S8_S9_S9_EESK_S10_SL_SM_SN_EUlS10_E0_NS1_11comp_targetILNS1_3genE0ELNS1_11target_archE4294967295ELNS1_3gpuE0ELNS1_3repE0EEENS1_38merge_mergepath_config_static_selectorELNS0_4arch9wavefront6targetE1EEEvSM_
    .private_segment_fixed_size: 0
    .sgpr_count:     4
    .sgpr_spill_count: 0
    .symbol:         _ZN7rocprim17ROCPRIM_400000_NS6detail17trampoline_kernelINS0_14default_configENS1_38merge_sort_block_merge_config_selectorIlNS0_10empty_typeEEEZZNS1_27merge_sort_block_merge_implIS3_PlPS5_mZN2at6native12_GLOBAL__N_124unique_dim_cuda_templateItEESt5tupleIJNSA_6TensorESF_SF_EERKSF_lbbbEUlllE_EE10hipError_tT0_T1_T2_jT3_P12ihipStream_tbPNSt15iterator_traitsISL_E10value_typeEPNSR_ISM_E10value_typeEPSN_NS1_7vsmem_tEENKUlT_SL_SM_SN_E_clIS8_S8_S9_S9_EESK_S10_SL_SM_SN_EUlS10_E0_NS1_11comp_targetILNS1_3genE0ELNS1_11target_archE4294967295ELNS1_3gpuE0ELNS1_3repE0EEENS1_38merge_mergepath_config_static_selectorELNS0_4arch9wavefront6targetE1EEEvSM_.kd
    .uniform_work_group_size: 1
    .uses_dynamic_stack: false
    .vgpr_count:     0
    .vgpr_spill_count: 0
    .wavefront_size: 64
  - .agpr_count:     0
    .args:
      - .offset:         0
        .size:           88
        .value_kind:     by_value
    .group_segment_fixed_size: 0
    .kernarg_segment_align: 8
    .kernarg_segment_size: 88
    .language:       OpenCL C
    .language_version:
      - 2
      - 0
    .max_flat_workgroup_size: 512
    .name:           _ZN7rocprim17ROCPRIM_400000_NS6detail17trampoline_kernelINS0_14default_configENS1_38merge_sort_block_merge_config_selectorIlNS0_10empty_typeEEEZZNS1_27merge_sort_block_merge_implIS3_PlPS5_mZN2at6native12_GLOBAL__N_124unique_dim_cuda_templateItEESt5tupleIJNSA_6TensorESF_SF_EERKSF_lbbbEUlllE_EE10hipError_tT0_T1_T2_jT3_P12ihipStream_tbPNSt15iterator_traitsISL_E10value_typeEPNSR_ISM_E10value_typeEPSN_NS1_7vsmem_tEENKUlT_SL_SM_SN_E_clIS8_S8_S9_S9_EESK_S10_SL_SM_SN_EUlS10_E0_NS1_11comp_targetILNS1_3genE10ELNS1_11target_archE1201ELNS1_3gpuE5ELNS1_3repE0EEENS1_38merge_mergepath_config_static_selectorELNS0_4arch9wavefront6targetE1EEEvSM_
    .private_segment_fixed_size: 0
    .sgpr_count:     4
    .sgpr_spill_count: 0
    .symbol:         _ZN7rocprim17ROCPRIM_400000_NS6detail17trampoline_kernelINS0_14default_configENS1_38merge_sort_block_merge_config_selectorIlNS0_10empty_typeEEEZZNS1_27merge_sort_block_merge_implIS3_PlPS5_mZN2at6native12_GLOBAL__N_124unique_dim_cuda_templateItEESt5tupleIJNSA_6TensorESF_SF_EERKSF_lbbbEUlllE_EE10hipError_tT0_T1_T2_jT3_P12ihipStream_tbPNSt15iterator_traitsISL_E10value_typeEPNSR_ISM_E10value_typeEPSN_NS1_7vsmem_tEENKUlT_SL_SM_SN_E_clIS8_S8_S9_S9_EESK_S10_SL_SM_SN_EUlS10_E0_NS1_11comp_targetILNS1_3genE10ELNS1_11target_archE1201ELNS1_3gpuE5ELNS1_3repE0EEENS1_38merge_mergepath_config_static_selectorELNS0_4arch9wavefront6targetE1EEEvSM_.kd
    .uniform_work_group_size: 1
    .uses_dynamic_stack: false
    .vgpr_count:     0
    .vgpr_spill_count: 0
    .wavefront_size: 64
  - .agpr_count:     0
    .args:
      - .offset:         0
        .size:           88
        .value_kind:     by_value
    .group_segment_fixed_size: 0
    .kernarg_segment_align: 8
    .kernarg_segment_size: 88
    .language:       OpenCL C
    .language_version:
      - 2
      - 0
    .max_flat_workgroup_size: 128
    .name:           _ZN7rocprim17ROCPRIM_400000_NS6detail17trampoline_kernelINS0_14default_configENS1_38merge_sort_block_merge_config_selectorIlNS0_10empty_typeEEEZZNS1_27merge_sort_block_merge_implIS3_PlPS5_mZN2at6native12_GLOBAL__N_124unique_dim_cuda_templateItEESt5tupleIJNSA_6TensorESF_SF_EERKSF_lbbbEUlllE_EE10hipError_tT0_T1_T2_jT3_P12ihipStream_tbPNSt15iterator_traitsISL_E10value_typeEPNSR_ISM_E10value_typeEPSN_NS1_7vsmem_tEENKUlT_SL_SM_SN_E_clIS8_S8_S9_S9_EESK_S10_SL_SM_SN_EUlS10_E0_NS1_11comp_targetILNS1_3genE5ELNS1_11target_archE942ELNS1_3gpuE9ELNS1_3repE0EEENS1_38merge_mergepath_config_static_selectorELNS0_4arch9wavefront6targetE1EEEvSM_
    .private_segment_fixed_size: 0
    .sgpr_count:     4
    .sgpr_spill_count: 0
    .symbol:         _ZN7rocprim17ROCPRIM_400000_NS6detail17trampoline_kernelINS0_14default_configENS1_38merge_sort_block_merge_config_selectorIlNS0_10empty_typeEEEZZNS1_27merge_sort_block_merge_implIS3_PlPS5_mZN2at6native12_GLOBAL__N_124unique_dim_cuda_templateItEESt5tupleIJNSA_6TensorESF_SF_EERKSF_lbbbEUlllE_EE10hipError_tT0_T1_T2_jT3_P12ihipStream_tbPNSt15iterator_traitsISL_E10value_typeEPNSR_ISM_E10value_typeEPSN_NS1_7vsmem_tEENKUlT_SL_SM_SN_E_clIS8_S8_S9_S9_EESK_S10_SL_SM_SN_EUlS10_E0_NS1_11comp_targetILNS1_3genE5ELNS1_11target_archE942ELNS1_3gpuE9ELNS1_3repE0EEENS1_38merge_mergepath_config_static_selectorELNS0_4arch9wavefront6targetE1EEEvSM_.kd
    .uniform_work_group_size: 1
    .uses_dynamic_stack: false
    .vgpr_count:     0
    .vgpr_spill_count: 0
    .wavefront_size: 64
  - .agpr_count:     0
    .args:
      - .offset:         0
        .size:           88
        .value_kind:     by_value
      - .offset:         88
        .size:           4
        .value_kind:     hidden_block_count_x
      - .offset:         92
        .size:           4
        .value_kind:     hidden_block_count_y
      - .offset:         96
        .size:           4
        .value_kind:     hidden_block_count_z
      - .offset:         100
        .size:           2
        .value_kind:     hidden_group_size_x
      - .offset:         102
        .size:           2
        .value_kind:     hidden_group_size_y
      - .offset:         104
        .size:           2
        .value_kind:     hidden_group_size_z
      - .offset:         106
        .size:           2
        .value_kind:     hidden_remainder_x
      - .offset:         108
        .size:           2
        .value_kind:     hidden_remainder_y
      - .offset:         110
        .size:           2
        .value_kind:     hidden_remainder_z
      - .offset:         128
        .size:           8
        .value_kind:     hidden_global_offset_x
      - .offset:         136
        .size:           8
        .value_kind:     hidden_global_offset_y
      - .offset:         144
        .size:           8
        .value_kind:     hidden_global_offset_z
      - .offset:         152
        .size:           2
        .value_kind:     hidden_grid_dims
    .group_segment_fixed_size: 8448
    .kernarg_segment_align: 8
    .kernarg_segment_size: 344
    .language:       OpenCL C
    .language_version:
      - 2
      - 0
    .max_flat_workgroup_size: 256
    .name:           _ZN7rocprim17ROCPRIM_400000_NS6detail17trampoline_kernelINS0_14default_configENS1_38merge_sort_block_merge_config_selectorIlNS0_10empty_typeEEEZZNS1_27merge_sort_block_merge_implIS3_PlPS5_mZN2at6native12_GLOBAL__N_124unique_dim_cuda_templateItEESt5tupleIJNSA_6TensorESF_SF_EERKSF_lbbbEUlllE_EE10hipError_tT0_T1_T2_jT3_P12ihipStream_tbPNSt15iterator_traitsISL_E10value_typeEPNSR_ISM_E10value_typeEPSN_NS1_7vsmem_tEENKUlT_SL_SM_SN_E_clIS8_S8_S9_S9_EESK_S10_SL_SM_SN_EUlS10_E0_NS1_11comp_targetILNS1_3genE4ELNS1_11target_archE910ELNS1_3gpuE8ELNS1_3repE0EEENS1_38merge_mergepath_config_static_selectorELNS0_4arch9wavefront6targetE1EEEvSM_
    .private_segment_fixed_size: 0
    .sgpr_count:     50
    .sgpr_spill_count: 0
    .symbol:         _ZN7rocprim17ROCPRIM_400000_NS6detail17trampoline_kernelINS0_14default_configENS1_38merge_sort_block_merge_config_selectorIlNS0_10empty_typeEEEZZNS1_27merge_sort_block_merge_implIS3_PlPS5_mZN2at6native12_GLOBAL__N_124unique_dim_cuda_templateItEESt5tupleIJNSA_6TensorESF_SF_EERKSF_lbbbEUlllE_EE10hipError_tT0_T1_T2_jT3_P12ihipStream_tbPNSt15iterator_traitsISL_E10value_typeEPNSR_ISM_E10value_typeEPSN_NS1_7vsmem_tEENKUlT_SL_SM_SN_E_clIS8_S8_S9_S9_EESK_S10_SL_SM_SN_EUlS10_E0_NS1_11comp_targetILNS1_3genE4ELNS1_11target_archE910ELNS1_3gpuE8ELNS1_3repE0EEENS1_38merge_mergepath_config_static_selectorELNS0_4arch9wavefront6targetE1EEEvSM_.kd
    .uniform_work_group_size: 1
    .uses_dynamic_stack: false
    .vgpr_count:     24
    .vgpr_spill_count: 0
    .wavefront_size: 64
  - .agpr_count:     0
    .args:
      - .offset:         0
        .size:           88
        .value_kind:     by_value
    .group_segment_fixed_size: 0
    .kernarg_segment_align: 8
    .kernarg_segment_size: 88
    .language:       OpenCL C
    .language_version:
      - 2
      - 0
    .max_flat_workgroup_size: 128
    .name:           _ZN7rocprim17ROCPRIM_400000_NS6detail17trampoline_kernelINS0_14default_configENS1_38merge_sort_block_merge_config_selectorIlNS0_10empty_typeEEEZZNS1_27merge_sort_block_merge_implIS3_PlPS5_mZN2at6native12_GLOBAL__N_124unique_dim_cuda_templateItEESt5tupleIJNSA_6TensorESF_SF_EERKSF_lbbbEUlllE_EE10hipError_tT0_T1_T2_jT3_P12ihipStream_tbPNSt15iterator_traitsISL_E10value_typeEPNSR_ISM_E10value_typeEPSN_NS1_7vsmem_tEENKUlT_SL_SM_SN_E_clIS8_S8_S9_S9_EESK_S10_SL_SM_SN_EUlS10_E0_NS1_11comp_targetILNS1_3genE3ELNS1_11target_archE908ELNS1_3gpuE7ELNS1_3repE0EEENS1_38merge_mergepath_config_static_selectorELNS0_4arch9wavefront6targetE1EEEvSM_
    .private_segment_fixed_size: 0
    .sgpr_count:     4
    .sgpr_spill_count: 0
    .symbol:         _ZN7rocprim17ROCPRIM_400000_NS6detail17trampoline_kernelINS0_14default_configENS1_38merge_sort_block_merge_config_selectorIlNS0_10empty_typeEEEZZNS1_27merge_sort_block_merge_implIS3_PlPS5_mZN2at6native12_GLOBAL__N_124unique_dim_cuda_templateItEESt5tupleIJNSA_6TensorESF_SF_EERKSF_lbbbEUlllE_EE10hipError_tT0_T1_T2_jT3_P12ihipStream_tbPNSt15iterator_traitsISL_E10value_typeEPNSR_ISM_E10value_typeEPSN_NS1_7vsmem_tEENKUlT_SL_SM_SN_E_clIS8_S8_S9_S9_EESK_S10_SL_SM_SN_EUlS10_E0_NS1_11comp_targetILNS1_3genE3ELNS1_11target_archE908ELNS1_3gpuE7ELNS1_3repE0EEENS1_38merge_mergepath_config_static_selectorELNS0_4arch9wavefront6targetE1EEEvSM_.kd
    .uniform_work_group_size: 1
    .uses_dynamic_stack: false
    .vgpr_count:     0
    .vgpr_spill_count: 0
    .wavefront_size: 64
  - .agpr_count:     0
    .args:
      - .offset:         0
        .size:           88
        .value_kind:     by_value
    .group_segment_fixed_size: 0
    .kernarg_segment_align: 8
    .kernarg_segment_size: 88
    .language:       OpenCL C
    .language_version:
      - 2
      - 0
    .max_flat_workgroup_size: 256
    .name:           _ZN7rocprim17ROCPRIM_400000_NS6detail17trampoline_kernelINS0_14default_configENS1_38merge_sort_block_merge_config_selectorIlNS0_10empty_typeEEEZZNS1_27merge_sort_block_merge_implIS3_PlPS5_mZN2at6native12_GLOBAL__N_124unique_dim_cuda_templateItEESt5tupleIJNSA_6TensorESF_SF_EERKSF_lbbbEUlllE_EE10hipError_tT0_T1_T2_jT3_P12ihipStream_tbPNSt15iterator_traitsISL_E10value_typeEPNSR_ISM_E10value_typeEPSN_NS1_7vsmem_tEENKUlT_SL_SM_SN_E_clIS8_S8_S9_S9_EESK_S10_SL_SM_SN_EUlS10_E0_NS1_11comp_targetILNS1_3genE2ELNS1_11target_archE906ELNS1_3gpuE6ELNS1_3repE0EEENS1_38merge_mergepath_config_static_selectorELNS0_4arch9wavefront6targetE1EEEvSM_
    .private_segment_fixed_size: 0
    .sgpr_count:     4
    .sgpr_spill_count: 0
    .symbol:         _ZN7rocprim17ROCPRIM_400000_NS6detail17trampoline_kernelINS0_14default_configENS1_38merge_sort_block_merge_config_selectorIlNS0_10empty_typeEEEZZNS1_27merge_sort_block_merge_implIS3_PlPS5_mZN2at6native12_GLOBAL__N_124unique_dim_cuda_templateItEESt5tupleIJNSA_6TensorESF_SF_EERKSF_lbbbEUlllE_EE10hipError_tT0_T1_T2_jT3_P12ihipStream_tbPNSt15iterator_traitsISL_E10value_typeEPNSR_ISM_E10value_typeEPSN_NS1_7vsmem_tEENKUlT_SL_SM_SN_E_clIS8_S8_S9_S9_EESK_S10_SL_SM_SN_EUlS10_E0_NS1_11comp_targetILNS1_3genE2ELNS1_11target_archE906ELNS1_3gpuE6ELNS1_3repE0EEENS1_38merge_mergepath_config_static_selectorELNS0_4arch9wavefront6targetE1EEEvSM_.kd
    .uniform_work_group_size: 1
    .uses_dynamic_stack: false
    .vgpr_count:     0
    .vgpr_spill_count: 0
    .wavefront_size: 64
  - .agpr_count:     0
    .args:
      - .offset:         0
        .size:           88
        .value_kind:     by_value
    .group_segment_fixed_size: 0
    .kernarg_segment_align: 8
    .kernarg_segment_size: 88
    .language:       OpenCL C
    .language_version:
      - 2
      - 0
    .max_flat_workgroup_size: 512
    .name:           _ZN7rocprim17ROCPRIM_400000_NS6detail17trampoline_kernelINS0_14default_configENS1_38merge_sort_block_merge_config_selectorIlNS0_10empty_typeEEEZZNS1_27merge_sort_block_merge_implIS3_PlPS5_mZN2at6native12_GLOBAL__N_124unique_dim_cuda_templateItEESt5tupleIJNSA_6TensorESF_SF_EERKSF_lbbbEUlllE_EE10hipError_tT0_T1_T2_jT3_P12ihipStream_tbPNSt15iterator_traitsISL_E10value_typeEPNSR_ISM_E10value_typeEPSN_NS1_7vsmem_tEENKUlT_SL_SM_SN_E_clIS8_S8_S9_S9_EESK_S10_SL_SM_SN_EUlS10_E0_NS1_11comp_targetILNS1_3genE9ELNS1_11target_archE1100ELNS1_3gpuE3ELNS1_3repE0EEENS1_38merge_mergepath_config_static_selectorELNS0_4arch9wavefront6targetE1EEEvSM_
    .private_segment_fixed_size: 0
    .sgpr_count:     4
    .sgpr_spill_count: 0
    .symbol:         _ZN7rocprim17ROCPRIM_400000_NS6detail17trampoline_kernelINS0_14default_configENS1_38merge_sort_block_merge_config_selectorIlNS0_10empty_typeEEEZZNS1_27merge_sort_block_merge_implIS3_PlPS5_mZN2at6native12_GLOBAL__N_124unique_dim_cuda_templateItEESt5tupleIJNSA_6TensorESF_SF_EERKSF_lbbbEUlllE_EE10hipError_tT0_T1_T2_jT3_P12ihipStream_tbPNSt15iterator_traitsISL_E10value_typeEPNSR_ISM_E10value_typeEPSN_NS1_7vsmem_tEENKUlT_SL_SM_SN_E_clIS8_S8_S9_S9_EESK_S10_SL_SM_SN_EUlS10_E0_NS1_11comp_targetILNS1_3genE9ELNS1_11target_archE1100ELNS1_3gpuE3ELNS1_3repE0EEENS1_38merge_mergepath_config_static_selectorELNS0_4arch9wavefront6targetE1EEEvSM_.kd
    .uniform_work_group_size: 1
    .uses_dynamic_stack: false
    .vgpr_count:     0
    .vgpr_spill_count: 0
    .wavefront_size: 64
  - .agpr_count:     0
    .args:
      - .offset:         0
        .size:           88
        .value_kind:     by_value
    .group_segment_fixed_size: 0
    .kernarg_segment_align: 8
    .kernarg_segment_size: 88
    .language:       OpenCL C
    .language_version:
      - 2
      - 0
    .max_flat_workgroup_size: 1024
    .name:           _ZN7rocprim17ROCPRIM_400000_NS6detail17trampoline_kernelINS0_14default_configENS1_38merge_sort_block_merge_config_selectorIlNS0_10empty_typeEEEZZNS1_27merge_sort_block_merge_implIS3_PlPS5_mZN2at6native12_GLOBAL__N_124unique_dim_cuda_templateItEESt5tupleIJNSA_6TensorESF_SF_EERKSF_lbbbEUlllE_EE10hipError_tT0_T1_T2_jT3_P12ihipStream_tbPNSt15iterator_traitsISL_E10value_typeEPNSR_ISM_E10value_typeEPSN_NS1_7vsmem_tEENKUlT_SL_SM_SN_E_clIS8_S8_S9_S9_EESK_S10_SL_SM_SN_EUlS10_E0_NS1_11comp_targetILNS1_3genE8ELNS1_11target_archE1030ELNS1_3gpuE2ELNS1_3repE0EEENS1_38merge_mergepath_config_static_selectorELNS0_4arch9wavefront6targetE1EEEvSM_
    .private_segment_fixed_size: 0
    .sgpr_count:     4
    .sgpr_spill_count: 0
    .symbol:         _ZN7rocprim17ROCPRIM_400000_NS6detail17trampoline_kernelINS0_14default_configENS1_38merge_sort_block_merge_config_selectorIlNS0_10empty_typeEEEZZNS1_27merge_sort_block_merge_implIS3_PlPS5_mZN2at6native12_GLOBAL__N_124unique_dim_cuda_templateItEESt5tupleIJNSA_6TensorESF_SF_EERKSF_lbbbEUlllE_EE10hipError_tT0_T1_T2_jT3_P12ihipStream_tbPNSt15iterator_traitsISL_E10value_typeEPNSR_ISM_E10value_typeEPSN_NS1_7vsmem_tEENKUlT_SL_SM_SN_E_clIS8_S8_S9_S9_EESK_S10_SL_SM_SN_EUlS10_E0_NS1_11comp_targetILNS1_3genE8ELNS1_11target_archE1030ELNS1_3gpuE2ELNS1_3repE0EEENS1_38merge_mergepath_config_static_selectorELNS0_4arch9wavefront6targetE1EEEvSM_.kd
    .uniform_work_group_size: 1
    .uses_dynamic_stack: false
    .vgpr_count:     0
    .vgpr_spill_count: 0
    .wavefront_size: 64
  - .agpr_count:     0
    .args:
      - .offset:         0
        .size:           64
        .value_kind:     by_value
    .group_segment_fixed_size: 0
    .kernarg_segment_align: 8
    .kernarg_segment_size: 64
    .language:       OpenCL C
    .language_version:
      - 2
      - 0
    .max_flat_workgroup_size: 256
    .name:           _ZN7rocprim17ROCPRIM_400000_NS6detail17trampoline_kernelINS0_14default_configENS1_38merge_sort_block_merge_config_selectorIlNS0_10empty_typeEEEZZNS1_27merge_sort_block_merge_implIS3_PlPS5_mZN2at6native12_GLOBAL__N_124unique_dim_cuda_templateItEESt5tupleIJNSA_6TensorESF_SF_EERKSF_lbbbEUlllE_EE10hipError_tT0_T1_T2_jT3_P12ihipStream_tbPNSt15iterator_traitsISL_E10value_typeEPNSR_ISM_E10value_typeEPSN_NS1_7vsmem_tEENKUlT_SL_SM_SN_E_clIS8_S8_S9_S9_EESK_S10_SL_SM_SN_EUlS10_E1_NS1_11comp_targetILNS1_3genE0ELNS1_11target_archE4294967295ELNS1_3gpuE0ELNS1_3repE0EEENS1_36merge_oddeven_config_static_selectorELNS0_4arch9wavefront6targetE1EEEvSM_
    .private_segment_fixed_size: 0
    .sgpr_count:     4
    .sgpr_spill_count: 0
    .symbol:         _ZN7rocprim17ROCPRIM_400000_NS6detail17trampoline_kernelINS0_14default_configENS1_38merge_sort_block_merge_config_selectorIlNS0_10empty_typeEEEZZNS1_27merge_sort_block_merge_implIS3_PlPS5_mZN2at6native12_GLOBAL__N_124unique_dim_cuda_templateItEESt5tupleIJNSA_6TensorESF_SF_EERKSF_lbbbEUlllE_EE10hipError_tT0_T1_T2_jT3_P12ihipStream_tbPNSt15iterator_traitsISL_E10value_typeEPNSR_ISM_E10value_typeEPSN_NS1_7vsmem_tEENKUlT_SL_SM_SN_E_clIS8_S8_S9_S9_EESK_S10_SL_SM_SN_EUlS10_E1_NS1_11comp_targetILNS1_3genE0ELNS1_11target_archE4294967295ELNS1_3gpuE0ELNS1_3repE0EEENS1_36merge_oddeven_config_static_selectorELNS0_4arch9wavefront6targetE1EEEvSM_.kd
    .uniform_work_group_size: 1
    .uses_dynamic_stack: false
    .vgpr_count:     0
    .vgpr_spill_count: 0
    .wavefront_size: 64
  - .agpr_count:     0
    .args:
      - .offset:         0
        .size:           64
        .value_kind:     by_value
    .group_segment_fixed_size: 0
    .kernarg_segment_align: 8
    .kernarg_segment_size: 64
    .language:       OpenCL C
    .language_version:
      - 2
      - 0
    .max_flat_workgroup_size: 256
    .name:           _ZN7rocprim17ROCPRIM_400000_NS6detail17trampoline_kernelINS0_14default_configENS1_38merge_sort_block_merge_config_selectorIlNS0_10empty_typeEEEZZNS1_27merge_sort_block_merge_implIS3_PlPS5_mZN2at6native12_GLOBAL__N_124unique_dim_cuda_templateItEESt5tupleIJNSA_6TensorESF_SF_EERKSF_lbbbEUlllE_EE10hipError_tT0_T1_T2_jT3_P12ihipStream_tbPNSt15iterator_traitsISL_E10value_typeEPNSR_ISM_E10value_typeEPSN_NS1_7vsmem_tEENKUlT_SL_SM_SN_E_clIS8_S8_S9_S9_EESK_S10_SL_SM_SN_EUlS10_E1_NS1_11comp_targetILNS1_3genE10ELNS1_11target_archE1201ELNS1_3gpuE5ELNS1_3repE0EEENS1_36merge_oddeven_config_static_selectorELNS0_4arch9wavefront6targetE1EEEvSM_
    .private_segment_fixed_size: 0
    .sgpr_count:     4
    .sgpr_spill_count: 0
    .symbol:         _ZN7rocprim17ROCPRIM_400000_NS6detail17trampoline_kernelINS0_14default_configENS1_38merge_sort_block_merge_config_selectorIlNS0_10empty_typeEEEZZNS1_27merge_sort_block_merge_implIS3_PlPS5_mZN2at6native12_GLOBAL__N_124unique_dim_cuda_templateItEESt5tupleIJNSA_6TensorESF_SF_EERKSF_lbbbEUlllE_EE10hipError_tT0_T1_T2_jT3_P12ihipStream_tbPNSt15iterator_traitsISL_E10value_typeEPNSR_ISM_E10value_typeEPSN_NS1_7vsmem_tEENKUlT_SL_SM_SN_E_clIS8_S8_S9_S9_EESK_S10_SL_SM_SN_EUlS10_E1_NS1_11comp_targetILNS1_3genE10ELNS1_11target_archE1201ELNS1_3gpuE5ELNS1_3repE0EEENS1_36merge_oddeven_config_static_selectorELNS0_4arch9wavefront6targetE1EEEvSM_.kd
    .uniform_work_group_size: 1
    .uses_dynamic_stack: false
    .vgpr_count:     0
    .vgpr_spill_count: 0
    .wavefront_size: 64
  - .agpr_count:     0
    .args:
      - .offset:         0
        .size:           64
        .value_kind:     by_value
    .group_segment_fixed_size: 0
    .kernarg_segment_align: 8
    .kernarg_segment_size: 64
    .language:       OpenCL C
    .language_version:
      - 2
      - 0
    .max_flat_workgroup_size: 256
    .name:           _ZN7rocprim17ROCPRIM_400000_NS6detail17trampoline_kernelINS0_14default_configENS1_38merge_sort_block_merge_config_selectorIlNS0_10empty_typeEEEZZNS1_27merge_sort_block_merge_implIS3_PlPS5_mZN2at6native12_GLOBAL__N_124unique_dim_cuda_templateItEESt5tupleIJNSA_6TensorESF_SF_EERKSF_lbbbEUlllE_EE10hipError_tT0_T1_T2_jT3_P12ihipStream_tbPNSt15iterator_traitsISL_E10value_typeEPNSR_ISM_E10value_typeEPSN_NS1_7vsmem_tEENKUlT_SL_SM_SN_E_clIS8_S8_S9_S9_EESK_S10_SL_SM_SN_EUlS10_E1_NS1_11comp_targetILNS1_3genE5ELNS1_11target_archE942ELNS1_3gpuE9ELNS1_3repE0EEENS1_36merge_oddeven_config_static_selectorELNS0_4arch9wavefront6targetE1EEEvSM_
    .private_segment_fixed_size: 0
    .sgpr_count:     4
    .sgpr_spill_count: 0
    .symbol:         _ZN7rocprim17ROCPRIM_400000_NS6detail17trampoline_kernelINS0_14default_configENS1_38merge_sort_block_merge_config_selectorIlNS0_10empty_typeEEEZZNS1_27merge_sort_block_merge_implIS3_PlPS5_mZN2at6native12_GLOBAL__N_124unique_dim_cuda_templateItEESt5tupleIJNSA_6TensorESF_SF_EERKSF_lbbbEUlllE_EE10hipError_tT0_T1_T2_jT3_P12ihipStream_tbPNSt15iterator_traitsISL_E10value_typeEPNSR_ISM_E10value_typeEPSN_NS1_7vsmem_tEENKUlT_SL_SM_SN_E_clIS8_S8_S9_S9_EESK_S10_SL_SM_SN_EUlS10_E1_NS1_11comp_targetILNS1_3genE5ELNS1_11target_archE942ELNS1_3gpuE9ELNS1_3repE0EEENS1_36merge_oddeven_config_static_selectorELNS0_4arch9wavefront6targetE1EEEvSM_.kd
    .uniform_work_group_size: 1
    .uses_dynamic_stack: false
    .vgpr_count:     0
    .vgpr_spill_count: 0
    .wavefront_size: 64
  - .agpr_count:     0
    .args:
      - .offset:         0
        .size:           64
        .value_kind:     by_value
    .group_segment_fixed_size: 0
    .kernarg_segment_align: 8
    .kernarg_segment_size: 64
    .language:       OpenCL C
    .language_version:
      - 2
      - 0
    .max_flat_workgroup_size: 256
    .name:           _ZN7rocprim17ROCPRIM_400000_NS6detail17trampoline_kernelINS0_14default_configENS1_38merge_sort_block_merge_config_selectorIlNS0_10empty_typeEEEZZNS1_27merge_sort_block_merge_implIS3_PlPS5_mZN2at6native12_GLOBAL__N_124unique_dim_cuda_templateItEESt5tupleIJNSA_6TensorESF_SF_EERKSF_lbbbEUlllE_EE10hipError_tT0_T1_T2_jT3_P12ihipStream_tbPNSt15iterator_traitsISL_E10value_typeEPNSR_ISM_E10value_typeEPSN_NS1_7vsmem_tEENKUlT_SL_SM_SN_E_clIS8_S8_S9_S9_EESK_S10_SL_SM_SN_EUlS10_E1_NS1_11comp_targetILNS1_3genE4ELNS1_11target_archE910ELNS1_3gpuE8ELNS1_3repE0EEENS1_36merge_oddeven_config_static_selectorELNS0_4arch9wavefront6targetE1EEEvSM_
    .private_segment_fixed_size: 0
    .sgpr_count:     50
    .sgpr_spill_count: 0
    .symbol:         _ZN7rocprim17ROCPRIM_400000_NS6detail17trampoline_kernelINS0_14default_configENS1_38merge_sort_block_merge_config_selectorIlNS0_10empty_typeEEEZZNS1_27merge_sort_block_merge_implIS3_PlPS5_mZN2at6native12_GLOBAL__N_124unique_dim_cuda_templateItEESt5tupleIJNSA_6TensorESF_SF_EERKSF_lbbbEUlllE_EE10hipError_tT0_T1_T2_jT3_P12ihipStream_tbPNSt15iterator_traitsISL_E10value_typeEPNSR_ISM_E10value_typeEPSN_NS1_7vsmem_tEENKUlT_SL_SM_SN_E_clIS8_S8_S9_S9_EESK_S10_SL_SM_SN_EUlS10_E1_NS1_11comp_targetILNS1_3genE4ELNS1_11target_archE910ELNS1_3gpuE8ELNS1_3repE0EEENS1_36merge_oddeven_config_static_selectorELNS0_4arch9wavefront6targetE1EEEvSM_.kd
    .uniform_work_group_size: 1
    .uses_dynamic_stack: false
    .vgpr_count:     18
    .vgpr_spill_count: 0
    .wavefront_size: 64
  - .agpr_count:     0
    .args:
      - .offset:         0
        .size:           64
        .value_kind:     by_value
    .group_segment_fixed_size: 0
    .kernarg_segment_align: 8
    .kernarg_segment_size: 64
    .language:       OpenCL C
    .language_version:
      - 2
      - 0
    .max_flat_workgroup_size: 256
    .name:           _ZN7rocprim17ROCPRIM_400000_NS6detail17trampoline_kernelINS0_14default_configENS1_38merge_sort_block_merge_config_selectorIlNS0_10empty_typeEEEZZNS1_27merge_sort_block_merge_implIS3_PlPS5_mZN2at6native12_GLOBAL__N_124unique_dim_cuda_templateItEESt5tupleIJNSA_6TensorESF_SF_EERKSF_lbbbEUlllE_EE10hipError_tT0_T1_T2_jT3_P12ihipStream_tbPNSt15iterator_traitsISL_E10value_typeEPNSR_ISM_E10value_typeEPSN_NS1_7vsmem_tEENKUlT_SL_SM_SN_E_clIS8_S8_S9_S9_EESK_S10_SL_SM_SN_EUlS10_E1_NS1_11comp_targetILNS1_3genE3ELNS1_11target_archE908ELNS1_3gpuE7ELNS1_3repE0EEENS1_36merge_oddeven_config_static_selectorELNS0_4arch9wavefront6targetE1EEEvSM_
    .private_segment_fixed_size: 0
    .sgpr_count:     4
    .sgpr_spill_count: 0
    .symbol:         _ZN7rocprim17ROCPRIM_400000_NS6detail17trampoline_kernelINS0_14default_configENS1_38merge_sort_block_merge_config_selectorIlNS0_10empty_typeEEEZZNS1_27merge_sort_block_merge_implIS3_PlPS5_mZN2at6native12_GLOBAL__N_124unique_dim_cuda_templateItEESt5tupleIJNSA_6TensorESF_SF_EERKSF_lbbbEUlllE_EE10hipError_tT0_T1_T2_jT3_P12ihipStream_tbPNSt15iterator_traitsISL_E10value_typeEPNSR_ISM_E10value_typeEPSN_NS1_7vsmem_tEENKUlT_SL_SM_SN_E_clIS8_S8_S9_S9_EESK_S10_SL_SM_SN_EUlS10_E1_NS1_11comp_targetILNS1_3genE3ELNS1_11target_archE908ELNS1_3gpuE7ELNS1_3repE0EEENS1_36merge_oddeven_config_static_selectorELNS0_4arch9wavefront6targetE1EEEvSM_.kd
    .uniform_work_group_size: 1
    .uses_dynamic_stack: false
    .vgpr_count:     0
    .vgpr_spill_count: 0
    .wavefront_size: 64
  - .agpr_count:     0
    .args:
      - .offset:         0
        .size:           64
        .value_kind:     by_value
    .group_segment_fixed_size: 0
    .kernarg_segment_align: 8
    .kernarg_segment_size: 64
    .language:       OpenCL C
    .language_version:
      - 2
      - 0
    .max_flat_workgroup_size: 256
    .name:           _ZN7rocprim17ROCPRIM_400000_NS6detail17trampoline_kernelINS0_14default_configENS1_38merge_sort_block_merge_config_selectorIlNS0_10empty_typeEEEZZNS1_27merge_sort_block_merge_implIS3_PlPS5_mZN2at6native12_GLOBAL__N_124unique_dim_cuda_templateItEESt5tupleIJNSA_6TensorESF_SF_EERKSF_lbbbEUlllE_EE10hipError_tT0_T1_T2_jT3_P12ihipStream_tbPNSt15iterator_traitsISL_E10value_typeEPNSR_ISM_E10value_typeEPSN_NS1_7vsmem_tEENKUlT_SL_SM_SN_E_clIS8_S8_S9_S9_EESK_S10_SL_SM_SN_EUlS10_E1_NS1_11comp_targetILNS1_3genE2ELNS1_11target_archE906ELNS1_3gpuE6ELNS1_3repE0EEENS1_36merge_oddeven_config_static_selectorELNS0_4arch9wavefront6targetE1EEEvSM_
    .private_segment_fixed_size: 0
    .sgpr_count:     4
    .sgpr_spill_count: 0
    .symbol:         _ZN7rocprim17ROCPRIM_400000_NS6detail17trampoline_kernelINS0_14default_configENS1_38merge_sort_block_merge_config_selectorIlNS0_10empty_typeEEEZZNS1_27merge_sort_block_merge_implIS3_PlPS5_mZN2at6native12_GLOBAL__N_124unique_dim_cuda_templateItEESt5tupleIJNSA_6TensorESF_SF_EERKSF_lbbbEUlllE_EE10hipError_tT0_T1_T2_jT3_P12ihipStream_tbPNSt15iterator_traitsISL_E10value_typeEPNSR_ISM_E10value_typeEPSN_NS1_7vsmem_tEENKUlT_SL_SM_SN_E_clIS8_S8_S9_S9_EESK_S10_SL_SM_SN_EUlS10_E1_NS1_11comp_targetILNS1_3genE2ELNS1_11target_archE906ELNS1_3gpuE6ELNS1_3repE0EEENS1_36merge_oddeven_config_static_selectorELNS0_4arch9wavefront6targetE1EEEvSM_.kd
    .uniform_work_group_size: 1
    .uses_dynamic_stack: false
    .vgpr_count:     0
    .vgpr_spill_count: 0
    .wavefront_size: 64
  - .agpr_count:     0
    .args:
      - .offset:         0
        .size:           64
        .value_kind:     by_value
    .group_segment_fixed_size: 0
    .kernarg_segment_align: 8
    .kernarg_segment_size: 64
    .language:       OpenCL C
    .language_version:
      - 2
      - 0
    .max_flat_workgroup_size: 256
    .name:           _ZN7rocprim17ROCPRIM_400000_NS6detail17trampoline_kernelINS0_14default_configENS1_38merge_sort_block_merge_config_selectorIlNS0_10empty_typeEEEZZNS1_27merge_sort_block_merge_implIS3_PlPS5_mZN2at6native12_GLOBAL__N_124unique_dim_cuda_templateItEESt5tupleIJNSA_6TensorESF_SF_EERKSF_lbbbEUlllE_EE10hipError_tT0_T1_T2_jT3_P12ihipStream_tbPNSt15iterator_traitsISL_E10value_typeEPNSR_ISM_E10value_typeEPSN_NS1_7vsmem_tEENKUlT_SL_SM_SN_E_clIS8_S8_S9_S9_EESK_S10_SL_SM_SN_EUlS10_E1_NS1_11comp_targetILNS1_3genE9ELNS1_11target_archE1100ELNS1_3gpuE3ELNS1_3repE0EEENS1_36merge_oddeven_config_static_selectorELNS0_4arch9wavefront6targetE1EEEvSM_
    .private_segment_fixed_size: 0
    .sgpr_count:     4
    .sgpr_spill_count: 0
    .symbol:         _ZN7rocprim17ROCPRIM_400000_NS6detail17trampoline_kernelINS0_14default_configENS1_38merge_sort_block_merge_config_selectorIlNS0_10empty_typeEEEZZNS1_27merge_sort_block_merge_implIS3_PlPS5_mZN2at6native12_GLOBAL__N_124unique_dim_cuda_templateItEESt5tupleIJNSA_6TensorESF_SF_EERKSF_lbbbEUlllE_EE10hipError_tT0_T1_T2_jT3_P12ihipStream_tbPNSt15iterator_traitsISL_E10value_typeEPNSR_ISM_E10value_typeEPSN_NS1_7vsmem_tEENKUlT_SL_SM_SN_E_clIS8_S8_S9_S9_EESK_S10_SL_SM_SN_EUlS10_E1_NS1_11comp_targetILNS1_3genE9ELNS1_11target_archE1100ELNS1_3gpuE3ELNS1_3repE0EEENS1_36merge_oddeven_config_static_selectorELNS0_4arch9wavefront6targetE1EEEvSM_.kd
    .uniform_work_group_size: 1
    .uses_dynamic_stack: false
    .vgpr_count:     0
    .vgpr_spill_count: 0
    .wavefront_size: 64
  - .agpr_count:     0
    .args:
      - .offset:         0
        .size:           64
        .value_kind:     by_value
    .group_segment_fixed_size: 0
    .kernarg_segment_align: 8
    .kernarg_segment_size: 64
    .language:       OpenCL C
    .language_version:
      - 2
      - 0
    .max_flat_workgroup_size: 256
    .name:           _ZN7rocprim17ROCPRIM_400000_NS6detail17trampoline_kernelINS0_14default_configENS1_38merge_sort_block_merge_config_selectorIlNS0_10empty_typeEEEZZNS1_27merge_sort_block_merge_implIS3_PlPS5_mZN2at6native12_GLOBAL__N_124unique_dim_cuda_templateItEESt5tupleIJNSA_6TensorESF_SF_EERKSF_lbbbEUlllE_EE10hipError_tT0_T1_T2_jT3_P12ihipStream_tbPNSt15iterator_traitsISL_E10value_typeEPNSR_ISM_E10value_typeEPSN_NS1_7vsmem_tEENKUlT_SL_SM_SN_E_clIS8_S8_S9_S9_EESK_S10_SL_SM_SN_EUlS10_E1_NS1_11comp_targetILNS1_3genE8ELNS1_11target_archE1030ELNS1_3gpuE2ELNS1_3repE0EEENS1_36merge_oddeven_config_static_selectorELNS0_4arch9wavefront6targetE1EEEvSM_
    .private_segment_fixed_size: 0
    .sgpr_count:     4
    .sgpr_spill_count: 0
    .symbol:         _ZN7rocprim17ROCPRIM_400000_NS6detail17trampoline_kernelINS0_14default_configENS1_38merge_sort_block_merge_config_selectorIlNS0_10empty_typeEEEZZNS1_27merge_sort_block_merge_implIS3_PlPS5_mZN2at6native12_GLOBAL__N_124unique_dim_cuda_templateItEESt5tupleIJNSA_6TensorESF_SF_EERKSF_lbbbEUlllE_EE10hipError_tT0_T1_T2_jT3_P12ihipStream_tbPNSt15iterator_traitsISL_E10value_typeEPNSR_ISM_E10value_typeEPSN_NS1_7vsmem_tEENKUlT_SL_SM_SN_E_clIS8_S8_S9_S9_EESK_S10_SL_SM_SN_EUlS10_E1_NS1_11comp_targetILNS1_3genE8ELNS1_11target_archE1030ELNS1_3gpuE2ELNS1_3repE0EEENS1_36merge_oddeven_config_static_selectorELNS0_4arch9wavefront6targetE1EEEvSM_.kd
    .uniform_work_group_size: 1
    .uses_dynamic_stack: false
    .vgpr_count:     0
    .vgpr_spill_count: 0
    .wavefront_size: 64
  - .agpr_count:     0
    .args:
      - .offset:         0
        .size:           64
        .value_kind:     by_value
    .group_segment_fixed_size: 0
    .kernarg_segment_align: 8
    .kernarg_segment_size: 64
    .language:       OpenCL C
    .language_version:
      - 2
      - 0
    .max_flat_workgroup_size: 128
    .name:           _ZN7rocprim17ROCPRIM_400000_NS6detail17trampoline_kernelINS0_14default_configENS1_35adjacent_difference_config_selectorILb0ElEEZNS1_24adjacent_difference_implIS3_Lb0ELb0EPlS7_ZN2at6native12_GLOBAL__N_124unique_dim_cuda_templateItEESt5tupleIJNS8_6TensorESD_SD_EERKSD_lbbbEUlllE1_EE10hipError_tPvRmT2_T3_mT4_P12ihipStream_tbEUlT_E_NS1_11comp_targetILNS1_3genE0ELNS1_11target_archE4294967295ELNS1_3gpuE0ELNS1_3repE0EEENS1_30default_config_static_selectorELNS0_4arch9wavefront6targetE1EEEvT1_
    .private_segment_fixed_size: 0
    .sgpr_count:     4
    .sgpr_spill_count: 0
    .symbol:         _ZN7rocprim17ROCPRIM_400000_NS6detail17trampoline_kernelINS0_14default_configENS1_35adjacent_difference_config_selectorILb0ElEEZNS1_24adjacent_difference_implIS3_Lb0ELb0EPlS7_ZN2at6native12_GLOBAL__N_124unique_dim_cuda_templateItEESt5tupleIJNS8_6TensorESD_SD_EERKSD_lbbbEUlllE1_EE10hipError_tPvRmT2_T3_mT4_P12ihipStream_tbEUlT_E_NS1_11comp_targetILNS1_3genE0ELNS1_11target_archE4294967295ELNS1_3gpuE0ELNS1_3repE0EEENS1_30default_config_static_selectorELNS0_4arch9wavefront6targetE1EEEvT1_.kd
    .uniform_work_group_size: 1
    .uses_dynamic_stack: false
    .vgpr_count:     0
    .vgpr_spill_count: 0
    .wavefront_size: 64
  - .agpr_count:     0
    .args:
      - .offset:         0
        .size:           64
        .value_kind:     by_value
    .group_segment_fixed_size: 0
    .kernarg_segment_align: 8
    .kernarg_segment_size: 64
    .language:       OpenCL C
    .language_version:
      - 2
      - 0
    .max_flat_workgroup_size: 128
    .name:           _ZN7rocprim17ROCPRIM_400000_NS6detail17trampoline_kernelINS0_14default_configENS1_35adjacent_difference_config_selectorILb0ElEEZNS1_24adjacent_difference_implIS3_Lb0ELb0EPlS7_ZN2at6native12_GLOBAL__N_124unique_dim_cuda_templateItEESt5tupleIJNS8_6TensorESD_SD_EERKSD_lbbbEUlllE1_EE10hipError_tPvRmT2_T3_mT4_P12ihipStream_tbEUlT_E_NS1_11comp_targetILNS1_3genE10ELNS1_11target_archE1201ELNS1_3gpuE5ELNS1_3repE0EEENS1_30default_config_static_selectorELNS0_4arch9wavefront6targetE1EEEvT1_
    .private_segment_fixed_size: 0
    .sgpr_count:     4
    .sgpr_spill_count: 0
    .symbol:         _ZN7rocprim17ROCPRIM_400000_NS6detail17trampoline_kernelINS0_14default_configENS1_35adjacent_difference_config_selectorILb0ElEEZNS1_24adjacent_difference_implIS3_Lb0ELb0EPlS7_ZN2at6native12_GLOBAL__N_124unique_dim_cuda_templateItEESt5tupleIJNS8_6TensorESD_SD_EERKSD_lbbbEUlllE1_EE10hipError_tPvRmT2_T3_mT4_P12ihipStream_tbEUlT_E_NS1_11comp_targetILNS1_3genE10ELNS1_11target_archE1201ELNS1_3gpuE5ELNS1_3repE0EEENS1_30default_config_static_selectorELNS0_4arch9wavefront6targetE1EEEvT1_.kd
    .uniform_work_group_size: 1
    .uses_dynamic_stack: false
    .vgpr_count:     0
    .vgpr_spill_count: 0
    .wavefront_size: 64
  - .agpr_count:     0
    .args:
      - .offset:         0
        .size:           64
        .value_kind:     by_value
    .group_segment_fixed_size: 0
    .kernarg_segment_align: 8
    .kernarg_segment_size: 64
    .language:       OpenCL C
    .language_version:
      - 2
      - 0
    .max_flat_workgroup_size: 64
    .name:           _ZN7rocprim17ROCPRIM_400000_NS6detail17trampoline_kernelINS0_14default_configENS1_35adjacent_difference_config_selectorILb0ElEEZNS1_24adjacent_difference_implIS3_Lb0ELb0EPlS7_ZN2at6native12_GLOBAL__N_124unique_dim_cuda_templateItEESt5tupleIJNS8_6TensorESD_SD_EERKSD_lbbbEUlllE1_EE10hipError_tPvRmT2_T3_mT4_P12ihipStream_tbEUlT_E_NS1_11comp_targetILNS1_3genE5ELNS1_11target_archE942ELNS1_3gpuE9ELNS1_3repE0EEENS1_30default_config_static_selectorELNS0_4arch9wavefront6targetE1EEEvT1_
    .private_segment_fixed_size: 0
    .sgpr_count:     4
    .sgpr_spill_count: 0
    .symbol:         _ZN7rocprim17ROCPRIM_400000_NS6detail17trampoline_kernelINS0_14default_configENS1_35adjacent_difference_config_selectorILb0ElEEZNS1_24adjacent_difference_implIS3_Lb0ELb0EPlS7_ZN2at6native12_GLOBAL__N_124unique_dim_cuda_templateItEESt5tupleIJNS8_6TensorESD_SD_EERKSD_lbbbEUlllE1_EE10hipError_tPvRmT2_T3_mT4_P12ihipStream_tbEUlT_E_NS1_11comp_targetILNS1_3genE5ELNS1_11target_archE942ELNS1_3gpuE9ELNS1_3repE0EEENS1_30default_config_static_selectorELNS0_4arch9wavefront6targetE1EEEvT1_.kd
    .uniform_work_group_size: 1
    .uses_dynamic_stack: false
    .vgpr_count:     0
    .vgpr_spill_count: 0
    .wavefront_size: 64
  - .agpr_count:     0
    .args:
      - .offset:         0
        .size:           64
        .value_kind:     by_value
    .group_segment_fixed_size: 4224
    .kernarg_segment_align: 8
    .kernarg_segment_size: 64
    .language:       OpenCL C
    .language_version:
      - 2
      - 0
    .max_flat_workgroup_size: 256
    .name:           _ZN7rocprim17ROCPRIM_400000_NS6detail17trampoline_kernelINS0_14default_configENS1_35adjacent_difference_config_selectorILb0ElEEZNS1_24adjacent_difference_implIS3_Lb0ELb0EPlS7_ZN2at6native12_GLOBAL__N_124unique_dim_cuda_templateItEESt5tupleIJNS8_6TensorESD_SD_EERKSD_lbbbEUlllE1_EE10hipError_tPvRmT2_T3_mT4_P12ihipStream_tbEUlT_E_NS1_11comp_targetILNS1_3genE4ELNS1_11target_archE910ELNS1_3gpuE8ELNS1_3repE0EEENS1_30default_config_static_selectorELNS0_4arch9wavefront6targetE1EEEvT1_
    .private_segment_fixed_size: 0
    .sgpr_count:     42
    .sgpr_spill_count: 0
    .symbol:         _ZN7rocprim17ROCPRIM_400000_NS6detail17trampoline_kernelINS0_14default_configENS1_35adjacent_difference_config_selectorILb0ElEEZNS1_24adjacent_difference_implIS3_Lb0ELb0EPlS7_ZN2at6native12_GLOBAL__N_124unique_dim_cuda_templateItEESt5tupleIJNS8_6TensorESD_SD_EERKSD_lbbbEUlllE1_EE10hipError_tPvRmT2_T3_mT4_P12ihipStream_tbEUlT_E_NS1_11comp_targetILNS1_3genE4ELNS1_11target_archE910ELNS1_3gpuE8ELNS1_3repE0EEENS1_30default_config_static_selectorELNS0_4arch9wavefront6targetE1EEEvT1_.kd
    .uniform_work_group_size: 1
    .uses_dynamic_stack: false
    .vgpr_count:     17
    .vgpr_spill_count: 0
    .wavefront_size: 64
  - .agpr_count:     0
    .args:
      - .offset:         0
        .size:           64
        .value_kind:     by_value
    .group_segment_fixed_size: 0
    .kernarg_segment_align: 8
    .kernarg_segment_size: 64
    .language:       OpenCL C
    .language_version:
      - 2
      - 0
    .max_flat_workgroup_size: 128
    .name:           _ZN7rocprim17ROCPRIM_400000_NS6detail17trampoline_kernelINS0_14default_configENS1_35adjacent_difference_config_selectorILb0ElEEZNS1_24adjacent_difference_implIS3_Lb0ELb0EPlS7_ZN2at6native12_GLOBAL__N_124unique_dim_cuda_templateItEESt5tupleIJNS8_6TensorESD_SD_EERKSD_lbbbEUlllE1_EE10hipError_tPvRmT2_T3_mT4_P12ihipStream_tbEUlT_E_NS1_11comp_targetILNS1_3genE3ELNS1_11target_archE908ELNS1_3gpuE7ELNS1_3repE0EEENS1_30default_config_static_selectorELNS0_4arch9wavefront6targetE1EEEvT1_
    .private_segment_fixed_size: 0
    .sgpr_count:     4
    .sgpr_spill_count: 0
    .symbol:         _ZN7rocprim17ROCPRIM_400000_NS6detail17trampoline_kernelINS0_14default_configENS1_35adjacent_difference_config_selectorILb0ElEEZNS1_24adjacent_difference_implIS3_Lb0ELb0EPlS7_ZN2at6native12_GLOBAL__N_124unique_dim_cuda_templateItEESt5tupleIJNS8_6TensorESD_SD_EERKSD_lbbbEUlllE1_EE10hipError_tPvRmT2_T3_mT4_P12ihipStream_tbEUlT_E_NS1_11comp_targetILNS1_3genE3ELNS1_11target_archE908ELNS1_3gpuE7ELNS1_3repE0EEENS1_30default_config_static_selectorELNS0_4arch9wavefront6targetE1EEEvT1_.kd
    .uniform_work_group_size: 1
    .uses_dynamic_stack: false
    .vgpr_count:     0
    .vgpr_spill_count: 0
    .wavefront_size: 64
  - .agpr_count:     0
    .args:
      - .offset:         0
        .size:           64
        .value_kind:     by_value
    .group_segment_fixed_size: 0
    .kernarg_segment_align: 8
    .kernarg_segment_size: 64
    .language:       OpenCL C
    .language_version:
      - 2
      - 0
    .max_flat_workgroup_size: 128
    .name:           _ZN7rocprim17ROCPRIM_400000_NS6detail17trampoline_kernelINS0_14default_configENS1_35adjacent_difference_config_selectorILb0ElEEZNS1_24adjacent_difference_implIS3_Lb0ELb0EPlS7_ZN2at6native12_GLOBAL__N_124unique_dim_cuda_templateItEESt5tupleIJNS8_6TensorESD_SD_EERKSD_lbbbEUlllE1_EE10hipError_tPvRmT2_T3_mT4_P12ihipStream_tbEUlT_E_NS1_11comp_targetILNS1_3genE2ELNS1_11target_archE906ELNS1_3gpuE6ELNS1_3repE0EEENS1_30default_config_static_selectorELNS0_4arch9wavefront6targetE1EEEvT1_
    .private_segment_fixed_size: 0
    .sgpr_count:     4
    .sgpr_spill_count: 0
    .symbol:         _ZN7rocprim17ROCPRIM_400000_NS6detail17trampoline_kernelINS0_14default_configENS1_35adjacent_difference_config_selectorILb0ElEEZNS1_24adjacent_difference_implIS3_Lb0ELb0EPlS7_ZN2at6native12_GLOBAL__N_124unique_dim_cuda_templateItEESt5tupleIJNS8_6TensorESD_SD_EERKSD_lbbbEUlllE1_EE10hipError_tPvRmT2_T3_mT4_P12ihipStream_tbEUlT_E_NS1_11comp_targetILNS1_3genE2ELNS1_11target_archE906ELNS1_3gpuE6ELNS1_3repE0EEENS1_30default_config_static_selectorELNS0_4arch9wavefront6targetE1EEEvT1_.kd
    .uniform_work_group_size: 1
    .uses_dynamic_stack: false
    .vgpr_count:     0
    .vgpr_spill_count: 0
    .wavefront_size: 64
  - .agpr_count:     0
    .args:
      - .offset:         0
        .size:           64
        .value_kind:     by_value
    .group_segment_fixed_size: 0
    .kernarg_segment_align: 8
    .kernarg_segment_size: 64
    .language:       OpenCL C
    .language_version:
      - 2
      - 0
    .max_flat_workgroup_size: 512
    .name:           _ZN7rocprim17ROCPRIM_400000_NS6detail17trampoline_kernelINS0_14default_configENS1_35adjacent_difference_config_selectorILb0ElEEZNS1_24adjacent_difference_implIS3_Lb0ELb0EPlS7_ZN2at6native12_GLOBAL__N_124unique_dim_cuda_templateItEESt5tupleIJNS8_6TensorESD_SD_EERKSD_lbbbEUlllE1_EE10hipError_tPvRmT2_T3_mT4_P12ihipStream_tbEUlT_E_NS1_11comp_targetILNS1_3genE9ELNS1_11target_archE1100ELNS1_3gpuE3ELNS1_3repE0EEENS1_30default_config_static_selectorELNS0_4arch9wavefront6targetE1EEEvT1_
    .private_segment_fixed_size: 0
    .sgpr_count:     4
    .sgpr_spill_count: 0
    .symbol:         _ZN7rocprim17ROCPRIM_400000_NS6detail17trampoline_kernelINS0_14default_configENS1_35adjacent_difference_config_selectorILb0ElEEZNS1_24adjacent_difference_implIS3_Lb0ELb0EPlS7_ZN2at6native12_GLOBAL__N_124unique_dim_cuda_templateItEESt5tupleIJNS8_6TensorESD_SD_EERKSD_lbbbEUlllE1_EE10hipError_tPvRmT2_T3_mT4_P12ihipStream_tbEUlT_E_NS1_11comp_targetILNS1_3genE9ELNS1_11target_archE1100ELNS1_3gpuE3ELNS1_3repE0EEENS1_30default_config_static_selectorELNS0_4arch9wavefront6targetE1EEEvT1_.kd
    .uniform_work_group_size: 1
    .uses_dynamic_stack: false
    .vgpr_count:     0
    .vgpr_spill_count: 0
    .wavefront_size: 64
  - .agpr_count:     0
    .args:
      - .offset:         0
        .size:           64
        .value_kind:     by_value
    .group_segment_fixed_size: 0
    .kernarg_segment_align: 8
    .kernarg_segment_size: 64
    .language:       OpenCL C
    .language_version:
      - 2
      - 0
    .max_flat_workgroup_size: 1024
    .name:           _ZN7rocprim17ROCPRIM_400000_NS6detail17trampoline_kernelINS0_14default_configENS1_35adjacent_difference_config_selectorILb0ElEEZNS1_24adjacent_difference_implIS3_Lb0ELb0EPlS7_ZN2at6native12_GLOBAL__N_124unique_dim_cuda_templateItEESt5tupleIJNS8_6TensorESD_SD_EERKSD_lbbbEUlllE1_EE10hipError_tPvRmT2_T3_mT4_P12ihipStream_tbEUlT_E_NS1_11comp_targetILNS1_3genE8ELNS1_11target_archE1030ELNS1_3gpuE2ELNS1_3repE0EEENS1_30default_config_static_selectorELNS0_4arch9wavefront6targetE1EEEvT1_
    .private_segment_fixed_size: 0
    .sgpr_count:     4
    .sgpr_spill_count: 0
    .symbol:         _ZN7rocprim17ROCPRIM_400000_NS6detail17trampoline_kernelINS0_14default_configENS1_35adjacent_difference_config_selectorILb0ElEEZNS1_24adjacent_difference_implIS3_Lb0ELb0EPlS7_ZN2at6native12_GLOBAL__N_124unique_dim_cuda_templateItEESt5tupleIJNS8_6TensorESD_SD_EERKSD_lbbbEUlllE1_EE10hipError_tPvRmT2_T3_mT4_P12ihipStream_tbEUlT_E_NS1_11comp_targetILNS1_3genE8ELNS1_11target_archE1030ELNS1_3gpuE2ELNS1_3repE0EEENS1_30default_config_static_selectorELNS0_4arch9wavefront6targetE1EEEvT1_.kd
    .uniform_work_group_size: 1
    .uses_dynamic_stack: false
    .vgpr_count:     0
    .vgpr_spill_count: 0
    .wavefront_size: 64
  - .agpr_count:     0
    .args:
      - .offset:         0
        .size:           56
        .value_kind:     by_value
    .group_segment_fixed_size: 0
    .kernarg_segment_align: 8
    .kernarg_segment_size: 56
    .language:       OpenCL C
    .language_version:
      - 2
      - 0
    .max_flat_workgroup_size: 128
    .name:           _ZN7rocprim17ROCPRIM_400000_NS6detail17trampoline_kernelINS0_14default_configENS1_25transform_config_selectorIlLb0EEEZNS1_14transform_implILb0ES3_S5_NS0_18transform_iteratorINS0_17counting_iteratorImlEEZNS1_24adjacent_difference_implIS3_Lb1ELb0EPlSB_ZN2at6native12_GLOBAL__N_124unique_dim_cuda_templateItEESt5tupleIJNSC_6TensorESH_SH_EERKSH_lbbbEUlllE1_EE10hipError_tPvRmT2_T3_mT4_P12ihipStream_tbEUlmE_lEESB_NS0_8identityIvEEEESM_SP_SQ_mSR_ST_bEUlT_E_NS1_11comp_targetILNS1_3genE0ELNS1_11target_archE4294967295ELNS1_3gpuE0ELNS1_3repE0EEENS1_30default_config_static_selectorELNS0_4arch9wavefront6targetE1EEEvT1_
    .private_segment_fixed_size: 0
    .sgpr_count:     4
    .sgpr_spill_count: 0
    .symbol:         _ZN7rocprim17ROCPRIM_400000_NS6detail17trampoline_kernelINS0_14default_configENS1_25transform_config_selectorIlLb0EEEZNS1_14transform_implILb0ES3_S5_NS0_18transform_iteratorINS0_17counting_iteratorImlEEZNS1_24adjacent_difference_implIS3_Lb1ELb0EPlSB_ZN2at6native12_GLOBAL__N_124unique_dim_cuda_templateItEESt5tupleIJNSC_6TensorESH_SH_EERKSH_lbbbEUlllE1_EE10hipError_tPvRmT2_T3_mT4_P12ihipStream_tbEUlmE_lEESB_NS0_8identityIvEEEESM_SP_SQ_mSR_ST_bEUlT_E_NS1_11comp_targetILNS1_3genE0ELNS1_11target_archE4294967295ELNS1_3gpuE0ELNS1_3repE0EEENS1_30default_config_static_selectorELNS0_4arch9wavefront6targetE1EEEvT1_.kd
    .uniform_work_group_size: 1
    .uses_dynamic_stack: false
    .vgpr_count:     0
    .vgpr_spill_count: 0
    .wavefront_size: 64
  - .agpr_count:     0
    .args:
      - .offset:         0
        .size:           56
        .value_kind:     by_value
    .group_segment_fixed_size: 0
    .kernarg_segment_align: 8
    .kernarg_segment_size: 56
    .language:       OpenCL C
    .language_version:
      - 2
      - 0
    .max_flat_workgroup_size: 512
    .name:           _ZN7rocprim17ROCPRIM_400000_NS6detail17trampoline_kernelINS0_14default_configENS1_25transform_config_selectorIlLb0EEEZNS1_14transform_implILb0ES3_S5_NS0_18transform_iteratorINS0_17counting_iteratorImlEEZNS1_24adjacent_difference_implIS3_Lb1ELb0EPlSB_ZN2at6native12_GLOBAL__N_124unique_dim_cuda_templateItEESt5tupleIJNSC_6TensorESH_SH_EERKSH_lbbbEUlllE1_EE10hipError_tPvRmT2_T3_mT4_P12ihipStream_tbEUlmE_lEESB_NS0_8identityIvEEEESM_SP_SQ_mSR_ST_bEUlT_E_NS1_11comp_targetILNS1_3genE5ELNS1_11target_archE942ELNS1_3gpuE9ELNS1_3repE0EEENS1_30default_config_static_selectorELNS0_4arch9wavefront6targetE1EEEvT1_
    .private_segment_fixed_size: 0
    .sgpr_count:     4
    .sgpr_spill_count: 0
    .symbol:         _ZN7rocprim17ROCPRIM_400000_NS6detail17trampoline_kernelINS0_14default_configENS1_25transform_config_selectorIlLb0EEEZNS1_14transform_implILb0ES3_S5_NS0_18transform_iteratorINS0_17counting_iteratorImlEEZNS1_24adjacent_difference_implIS3_Lb1ELb0EPlSB_ZN2at6native12_GLOBAL__N_124unique_dim_cuda_templateItEESt5tupleIJNSC_6TensorESH_SH_EERKSH_lbbbEUlllE1_EE10hipError_tPvRmT2_T3_mT4_P12ihipStream_tbEUlmE_lEESB_NS0_8identityIvEEEESM_SP_SQ_mSR_ST_bEUlT_E_NS1_11comp_targetILNS1_3genE5ELNS1_11target_archE942ELNS1_3gpuE9ELNS1_3repE0EEENS1_30default_config_static_selectorELNS0_4arch9wavefront6targetE1EEEvT1_.kd
    .uniform_work_group_size: 1
    .uses_dynamic_stack: false
    .vgpr_count:     0
    .vgpr_spill_count: 0
    .wavefront_size: 64
  - .agpr_count:     0
    .args:
      - .offset:         0
        .size:           56
        .value_kind:     by_value
      - .offset:         56
        .size:           4
        .value_kind:     hidden_block_count_x
      - .offset:         60
        .size:           4
        .value_kind:     hidden_block_count_y
      - .offset:         64
        .size:           4
        .value_kind:     hidden_block_count_z
      - .offset:         68
        .size:           2
        .value_kind:     hidden_group_size_x
      - .offset:         70
        .size:           2
        .value_kind:     hidden_group_size_y
      - .offset:         72
        .size:           2
        .value_kind:     hidden_group_size_z
      - .offset:         74
        .size:           2
        .value_kind:     hidden_remainder_x
      - .offset:         76
        .size:           2
        .value_kind:     hidden_remainder_y
      - .offset:         78
        .size:           2
        .value_kind:     hidden_remainder_z
      - .offset:         96
        .size:           8
        .value_kind:     hidden_global_offset_x
      - .offset:         104
        .size:           8
        .value_kind:     hidden_global_offset_y
      - .offset:         112
        .size:           8
        .value_kind:     hidden_global_offset_z
      - .offset:         120
        .size:           2
        .value_kind:     hidden_grid_dims
    .group_segment_fixed_size: 0
    .kernarg_segment_align: 8
    .kernarg_segment_size: 312
    .language:       OpenCL C
    .language_version:
      - 2
      - 0
    .max_flat_workgroup_size: 256
    .name:           _ZN7rocprim17ROCPRIM_400000_NS6detail17trampoline_kernelINS0_14default_configENS1_25transform_config_selectorIlLb0EEEZNS1_14transform_implILb0ES3_S5_NS0_18transform_iteratorINS0_17counting_iteratorImlEEZNS1_24adjacent_difference_implIS3_Lb1ELb0EPlSB_ZN2at6native12_GLOBAL__N_124unique_dim_cuda_templateItEESt5tupleIJNSC_6TensorESH_SH_EERKSH_lbbbEUlllE1_EE10hipError_tPvRmT2_T3_mT4_P12ihipStream_tbEUlmE_lEESB_NS0_8identityIvEEEESM_SP_SQ_mSR_ST_bEUlT_E_NS1_11comp_targetILNS1_3genE4ELNS1_11target_archE910ELNS1_3gpuE8ELNS1_3repE0EEENS1_30default_config_static_selectorELNS0_4arch9wavefront6targetE1EEEvT1_
    .private_segment_fixed_size: 0
    .sgpr_count:     22
    .sgpr_spill_count: 0
    .symbol:         _ZN7rocprim17ROCPRIM_400000_NS6detail17trampoline_kernelINS0_14default_configENS1_25transform_config_selectorIlLb0EEEZNS1_14transform_implILb0ES3_S5_NS0_18transform_iteratorINS0_17counting_iteratorImlEEZNS1_24adjacent_difference_implIS3_Lb1ELb0EPlSB_ZN2at6native12_GLOBAL__N_124unique_dim_cuda_templateItEESt5tupleIJNSC_6TensorESH_SH_EERKSH_lbbbEUlllE1_EE10hipError_tPvRmT2_T3_mT4_P12ihipStream_tbEUlmE_lEESB_NS0_8identityIvEEEESM_SP_SQ_mSR_ST_bEUlT_E_NS1_11comp_targetILNS1_3genE4ELNS1_11target_archE910ELNS1_3gpuE8ELNS1_3repE0EEENS1_30default_config_static_selectorELNS0_4arch9wavefront6targetE1EEEvT1_.kd
    .uniform_work_group_size: 1
    .uses_dynamic_stack: false
    .vgpr_count:     10
    .vgpr_spill_count: 0
    .wavefront_size: 64
  - .agpr_count:     0
    .args:
      - .offset:         0
        .size:           56
        .value_kind:     by_value
    .group_segment_fixed_size: 0
    .kernarg_segment_align: 8
    .kernarg_segment_size: 56
    .language:       OpenCL C
    .language_version:
      - 2
      - 0
    .max_flat_workgroup_size: 128
    .name:           _ZN7rocprim17ROCPRIM_400000_NS6detail17trampoline_kernelINS0_14default_configENS1_25transform_config_selectorIlLb0EEEZNS1_14transform_implILb0ES3_S5_NS0_18transform_iteratorINS0_17counting_iteratorImlEEZNS1_24adjacent_difference_implIS3_Lb1ELb0EPlSB_ZN2at6native12_GLOBAL__N_124unique_dim_cuda_templateItEESt5tupleIJNSC_6TensorESH_SH_EERKSH_lbbbEUlllE1_EE10hipError_tPvRmT2_T3_mT4_P12ihipStream_tbEUlmE_lEESB_NS0_8identityIvEEEESM_SP_SQ_mSR_ST_bEUlT_E_NS1_11comp_targetILNS1_3genE3ELNS1_11target_archE908ELNS1_3gpuE7ELNS1_3repE0EEENS1_30default_config_static_selectorELNS0_4arch9wavefront6targetE1EEEvT1_
    .private_segment_fixed_size: 0
    .sgpr_count:     4
    .sgpr_spill_count: 0
    .symbol:         _ZN7rocprim17ROCPRIM_400000_NS6detail17trampoline_kernelINS0_14default_configENS1_25transform_config_selectorIlLb0EEEZNS1_14transform_implILb0ES3_S5_NS0_18transform_iteratorINS0_17counting_iteratorImlEEZNS1_24adjacent_difference_implIS3_Lb1ELb0EPlSB_ZN2at6native12_GLOBAL__N_124unique_dim_cuda_templateItEESt5tupleIJNSC_6TensorESH_SH_EERKSH_lbbbEUlllE1_EE10hipError_tPvRmT2_T3_mT4_P12ihipStream_tbEUlmE_lEESB_NS0_8identityIvEEEESM_SP_SQ_mSR_ST_bEUlT_E_NS1_11comp_targetILNS1_3genE3ELNS1_11target_archE908ELNS1_3gpuE7ELNS1_3repE0EEENS1_30default_config_static_selectorELNS0_4arch9wavefront6targetE1EEEvT1_.kd
    .uniform_work_group_size: 1
    .uses_dynamic_stack: false
    .vgpr_count:     0
    .vgpr_spill_count: 0
    .wavefront_size: 64
  - .agpr_count:     0
    .args:
      - .offset:         0
        .size:           56
        .value_kind:     by_value
    .group_segment_fixed_size: 0
    .kernarg_segment_align: 8
    .kernarg_segment_size: 56
    .language:       OpenCL C
    .language_version:
      - 2
      - 0
    .max_flat_workgroup_size: 512
    .name:           _ZN7rocprim17ROCPRIM_400000_NS6detail17trampoline_kernelINS0_14default_configENS1_25transform_config_selectorIlLb0EEEZNS1_14transform_implILb0ES3_S5_NS0_18transform_iteratorINS0_17counting_iteratorImlEEZNS1_24adjacent_difference_implIS3_Lb1ELb0EPlSB_ZN2at6native12_GLOBAL__N_124unique_dim_cuda_templateItEESt5tupleIJNSC_6TensorESH_SH_EERKSH_lbbbEUlllE1_EE10hipError_tPvRmT2_T3_mT4_P12ihipStream_tbEUlmE_lEESB_NS0_8identityIvEEEESM_SP_SQ_mSR_ST_bEUlT_E_NS1_11comp_targetILNS1_3genE2ELNS1_11target_archE906ELNS1_3gpuE6ELNS1_3repE0EEENS1_30default_config_static_selectorELNS0_4arch9wavefront6targetE1EEEvT1_
    .private_segment_fixed_size: 0
    .sgpr_count:     4
    .sgpr_spill_count: 0
    .symbol:         _ZN7rocprim17ROCPRIM_400000_NS6detail17trampoline_kernelINS0_14default_configENS1_25transform_config_selectorIlLb0EEEZNS1_14transform_implILb0ES3_S5_NS0_18transform_iteratorINS0_17counting_iteratorImlEEZNS1_24adjacent_difference_implIS3_Lb1ELb0EPlSB_ZN2at6native12_GLOBAL__N_124unique_dim_cuda_templateItEESt5tupleIJNSC_6TensorESH_SH_EERKSH_lbbbEUlllE1_EE10hipError_tPvRmT2_T3_mT4_P12ihipStream_tbEUlmE_lEESB_NS0_8identityIvEEEESM_SP_SQ_mSR_ST_bEUlT_E_NS1_11comp_targetILNS1_3genE2ELNS1_11target_archE906ELNS1_3gpuE6ELNS1_3repE0EEENS1_30default_config_static_selectorELNS0_4arch9wavefront6targetE1EEEvT1_.kd
    .uniform_work_group_size: 1
    .uses_dynamic_stack: false
    .vgpr_count:     0
    .vgpr_spill_count: 0
    .wavefront_size: 64
  - .agpr_count:     0
    .args:
      - .offset:         0
        .size:           56
        .value_kind:     by_value
    .group_segment_fixed_size: 0
    .kernarg_segment_align: 8
    .kernarg_segment_size: 56
    .language:       OpenCL C
    .language_version:
      - 2
      - 0
    .max_flat_workgroup_size: 1024
    .name:           _ZN7rocprim17ROCPRIM_400000_NS6detail17trampoline_kernelINS0_14default_configENS1_25transform_config_selectorIlLb0EEEZNS1_14transform_implILb0ES3_S5_NS0_18transform_iteratorINS0_17counting_iteratorImlEEZNS1_24adjacent_difference_implIS3_Lb1ELb0EPlSB_ZN2at6native12_GLOBAL__N_124unique_dim_cuda_templateItEESt5tupleIJNSC_6TensorESH_SH_EERKSH_lbbbEUlllE1_EE10hipError_tPvRmT2_T3_mT4_P12ihipStream_tbEUlmE_lEESB_NS0_8identityIvEEEESM_SP_SQ_mSR_ST_bEUlT_E_NS1_11comp_targetILNS1_3genE10ELNS1_11target_archE1201ELNS1_3gpuE5ELNS1_3repE0EEENS1_30default_config_static_selectorELNS0_4arch9wavefront6targetE1EEEvT1_
    .private_segment_fixed_size: 0
    .sgpr_count:     4
    .sgpr_spill_count: 0
    .symbol:         _ZN7rocprim17ROCPRIM_400000_NS6detail17trampoline_kernelINS0_14default_configENS1_25transform_config_selectorIlLb0EEEZNS1_14transform_implILb0ES3_S5_NS0_18transform_iteratorINS0_17counting_iteratorImlEEZNS1_24adjacent_difference_implIS3_Lb1ELb0EPlSB_ZN2at6native12_GLOBAL__N_124unique_dim_cuda_templateItEESt5tupleIJNSC_6TensorESH_SH_EERKSH_lbbbEUlllE1_EE10hipError_tPvRmT2_T3_mT4_P12ihipStream_tbEUlmE_lEESB_NS0_8identityIvEEEESM_SP_SQ_mSR_ST_bEUlT_E_NS1_11comp_targetILNS1_3genE10ELNS1_11target_archE1201ELNS1_3gpuE5ELNS1_3repE0EEENS1_30default_config_static_selectorELNS0_4arch9wavefront6targetE1EEEvT1_.kd
    .uniform_work_group_size: 1
    .uses_dynamic_stack: false
    .vgpr_count:     0
    .vgpr_spill_count: 0
    .wavefront_size: 64
  - .agpr_count:     0
    .args:
      - .offset:         0
        .size:           56
        .value_kind:     by_value
    .group_segment_fixed_size: 0
    .kernarg_segment_align: 8
    .kernarg_segment_size: 56
    .language:       OpenCL C
    .language_version:
      - 2
      - 0
    .max_flat_workgroup_size: 512
    .name:           _ZN7rocprim17ROCPRIM_400000_NS6detail17trampoline_kernelINS0_14default_configENS1_25transform_config_selectorIlLb0EEEZNS1_14transform_implILb0ES3_S5_NS0_18transform_iteratorINS0_17counting_iteratorImlEEZNS1_24adjacent_difference_implIS3_Lb1ELb0EPlSB_ZN2at6native12_GLOBAL__N_124unique_dim_cuda_templateItEESt5tupleIJNSC_6TensorESH_SH_EERKSH_lbbbEUlllE1_EE10hipError_tPvRmT2_T3_mT4_P12ihipStream_tbEUlmE_lEESB_NS0_8identityIvEEEESM_SP_SQ_mSR_ST_bEUlT_E_NS1_11comp_targetILNS1_3genE10ELNS1_11target_archE1200ELNS1_3gpuE4ELNS1_3repE0EEENS1_30default_config_static_selectorELNS0_4arch9wavefront6targetE1EEEvT1_
    .private_segment_fixed_size: 0
    .sgpr_count:     4
    .sgpr_spill_count: 0
    .symbol:         _ZN7rocprim17ROCPRIM_400000_NS6detail17trampoline_kernelINS0_14default_configENS1_25transform_config_selectorIlLb0EEEZNS1_14transform_implILb0ES3_S5_NS0_18transform_iteratorINS0_17counting_iteratorImlEEZNS1_24adjacent_difference_implIS3_Lb1ELb0EPlSB_ZN2at6native12_GLOBAL__N_124unique_dim_cuda_templateItEESt5tupleIJNSC_6TensorESH_SH_EERKSH_lbbbEUlllE1_EE10hipError_tPvRmT2_T3_mT4_P12ihipStream_tbEUlmE_lEESB_NS0_8identityIvEEEESM_SP_SQ_mSR_ST_bEUlT_E_NS1_11comp_targetILNS1_3genE10ELNS1_11target_archE1200ELNS1_3gpuE4ELNS1_3repE0EEENS1_30default_config_static_selectorELNS0_4arch9wavefront6targetE1EEEvT1_.kd
    .uniform_work_group_size: 1
    .uses_dynamic_stack: false
    .vgpr_count:     0
    .vgpr_spill_count: 0
    .wavefront_size: 64
  - .agpr_count:     0
    .args:
      - .offset:         0
        .size:           56
        .value_kind:     by_value
    .group_segment_fixed_size: 0
    .kernarg_segment_align: 8
    .kernarg_segment_size: 56
    .language:       OpenCL C
    .language_version:
      - 2
      - 0
    .max_flat_workgroup_size: 512
    .name:           _ZN7rocprim17ROCPRIM_400000_NS6detail17trampoline_kernelINS0_14default_configENS1_25transform_config_selectorIlLb0EEEZNS1_14transform_implILb0ES3_S5_NS0_18transform_iteratorINS0_17counting_iteratorImlEEZNS1_24adjacent_difference_implIS3_Lb1ELb0EPlSB_ZN2at6native12_GLOBAL__N_124unique_dim_cuda_templateItEESt5tupleIJNSC_6TensorESH_SH_EERKSH_lbbbEUlllE1_EE10hipError_tPvRmT2_T3_mT4_P12ihipStream_tbEUlmE_lEESB_NS0_8identityIvEEEESM_SP_SQ_mSR_ST_bEUlT_E_NS1_11comp_targetILNS1_3genE9ELNS1_11target_archE1100ELNS1_3gpuE3ELNS1_3repE0EEENS1_30default_config_static_selectorELNS0_4arch9wavefront6targetE1EEEvT1_
    .private_segment_fixed_size: 0
    .sgpr_count:     4
    .sgpr_spill_count: 0
    .symbol:         _ZN7rocprim17ROCPRIM_400000_NS6detail17trampoline_kernelINS0_14default_configENS1_25transform_config_selectorIlLb0EEEZNS1_14transform_implILb0ES3_S5_NS0_18transform_iteratorINS0_17counting_iteratorImlEEZNS1_24adjacent_difference_implIS3_Lb1ELb0EPlSB_ZN2at6native12_GLOBAL__N_124unique_dim_cuda_templateItEESt5tupleIJNSC_6TensorESH_SH_EERKSH_lbbbEUlllE1_EE10hipError_tPvRmT2_T3_mT4_P12ihipStream_tbEUlmE_lEESB_NS0_8identityIvEEEESM_SP_SQ_mSR_ST_bEUlT_E_NS1_11comp_targetILNS1_3genE9ELNS1_11target_archE1100ELNS1_3gpuE3ELNS1_3repE0EEENS1_30default_config_static_selectorELNS0_4arch9wavefront6targetE1EEEvT1_.kd
    .uniform_work_group_size: 1
    .uses_dynamic_stack: false
    .vgpr_count:     0
    .vgpr_spill_count: 0
    .wavefront_size: 64
  - .agpr_count:     0
    .args:
      - .offset:         0
        .size:           56
        .value_kind:     by_value
    .group_segment_fixed_size: 0
    .kernarg_segment_align: 8
    .kernarg_segment_size: 56
    .language:       OpenCL C
    .language_version:
      - 2
      - 0
    .max_flat_workgroup_size: 512
    .name:           _ZN7rocprim17ROCPRIM_400000_NS6detail17trampoline_kernelINS0_14default_configENS1_25transform_config_selectorIlLb0EEEZNS1_14transform_implILb0ES3_S5_NS0_18transform_iteratorINS0_17counting_iteratorImlEEZNS1_24adjacent_difference_implIS3_Lb1ELb0EPlSB_ZN2at6native12_GLOBAL__N_124unique_dim_cuda_templateItEESt5tupleIJNSC_6TensorESH_SH_EERKSH_lbbbEUlllE1_EE10hipError_tPvRmT2_T3_mT4_P12ihipStream_tbEUlmE_lEESB_NS0_8identityIvEEEESM_SP_SQ_mSR_ST_bEUlT_E_NS1_11comp_targetILNS1_3genE8ELNS1_11target_archE1030ELNS1_3gpuE2ELNS1_3repE0EEENS1_30default_config_static_selectorELNS0_4arch9wavefront6targetE1EEEvT1_
    .private_segment_fixed_size: 0
    .sgpr_count:     4
    .sgpr_spill_count: 0
    .symbol:         _ZN7rocprim17ROCPRIM_400000_NS6detail17trampoline_kernelINS0_14default_configENS1_25transform_config_selectorIlLb0EEEZNS1_14transform_implILb0ES3_S5_NS0_18transform_iteratorINS0_17counting_iteratorImlEEZNS1_24adjacent_difference_implIS3_Lb1ELb0EPlSB_ZN2at6native12_GLOBAL__N_124unique_dim_cuda_templateItEESt5tupleIJNSC_6TensorESH_SH_EERKSH_lbbbEUlllE1_EE10hipError_tPvRmT2_T3_mT4_P12ihipStream_tbEUlmE_lEESB_NS0_8identityIvEEEESM_SP_SQ_mSR_ST_bEUlT_E_NS1_11comp_targetILNS1_3genE8ELNS1_11target_archE1030ELNS1_3gpuE2ELNS1_3repE0EEENS1_30default_config_static_selectorELNS0_4arch9wavefront6targetE1EEEvT1_.kd
    .uniform_work_group_size: 1
    .uses_dynamic_stack: false
    .vgpr_count:     0
    .vgpr_spill_count: 0
    .wavefront_size: 64
  - .agpr_count:     0
    .args:
      - .offset:         0
        .size:           64
        .value_kind:     by_value
    .group_segment_fixed_size: 0
    .kernarg_segment_align: 8
    .kernarg_segment_size: 64
    .language:       OpenCL C
    .language_version:
      - 2
      - 0
    .max_flat_workgroup_size: 512
    .name:           _ZN7rocprim17ROCPRIM_400000_NS6detail17trampoline_kernelINS0_14default_configENS1_35adjacent_difference_config_selectorILb1ElEEZNS1_24adjacent_difference_implIS3_Lb1ELb0EPlS7_ZN2at6native12_GLOBAL__N_124unique_dim_cuda_templateItEESt5tupleIJNS8_6TensorESD_SD_EERKSD_lbbbEUlllE1_EE10hipError_tPvRmT2_T3_mT4_P12ihipStream_tbEUlT_E_NS1_11comp_targetILNS1_3genE0ELNS1_11target_archE4294967295ELNS1_3gpuE0ELNS1_3repE0EEENS1_30default_config_static_selectorELNS0_4arch9wavefront6targetE1EEEvT1_
    .private_segment_fixed_size: 0
    .sgpr_count:     4
    .sgpr_spill_count: 0
    .symbol:         _ZN7rocprim17ROCPRIM_400000_NS6detail17trampoline_kernelINS0_14default_configENS1_35adjacent_difference_config_selectorILb1ElEEZNS1_24adjacent_difference_implIS3_Lb1ELb0EPlS7_ZN2at6native12_GLOBAL__N_124unique_dim_cuda_templateItEESt5tupleIJNS8_6TensorESD_SD_EERKSD_lbbbEUlllE1_EE10hipError_tPvRmT2_T3_mT4_P12ihipStream_tbEUlT_E_NS1_11comp_targetILNS1_3genE0ELNS1_11target_archE4294967295ELNS1_3gpuE0ELNS1_3repE0EEENS1_30default_config_static_selectorELNS0_4arch9wavefront6targetE1EEEvT1_.kd
    .uniform_work_group_size: 1
    .uses_dynamic_stack: false
    .vgpr_count:     0
    .vgpr_spill_count: 0
    .wavefront_size: 64
  - .agpr_count:     0
    .args:
      - .offset:         0
        .size:           64
        .value_kind:     by_value
    .group_segment_fixed_size: 0
    .kernarg_segment_align: 8
    .kernarg_segment_size: 64
    .language:       OpenCL C
    .language_version:
      - 2
      - 0
    .max_flat_workgroup_size: 32
    .name:           _ZN7rocprim17ROCPRIM_400000_NS6detail17trampoline_kernelINS0_14default_configENS1_35adjacent_difference_config_selectorILb1ElEEZNS1_24adjacent_difference_implIS3_Lb1ELb0EPlS7_ZN2at6native12_GLOBAL__N_124unique_dim_cuda_templateItEESt5tupleIJNS8_6TensorESD_SD_EERKSD_lbbbEUlllE1_EE10hipError_tPvRmT2_T3_mT4_P12ihipStream_tbEUlT_E_NS1_11comp_targetILNS1_3genE10ELNS1_11target_archE1201ELNS1_3gpuE5ELNS1_3repE0EEENS1_30default_config_static_selectorELNS0_4arch9wavefront6targetE1EEEvT1_
    .private_segment_fixed_size: 0
    .sgpr_count:     4
    .sgpr_spill_count: 0
    .symbol:         _ZN7rocprim17ROCPRIM_400000_NS6detail17trampoline_kernelINS0_14default_configENS1_35adjacent_difference_config_selectorILb1ElEEZNS1_24adjacent_difference_implIS3_Lb1ELb0EPlS7_ZN2at6native12_GLOBAL__N_124unique_dim_cuda_templateItEESt5tupleIJNS8_6TensorESD_SD_EERKSD_lbbbEUlllE1_EE10hipError_tPvRmT2_T3_mT4_P12ihipStream_tbEUlT_E_NS1_11comp_targetILNS1_3genE10ELNS1_11target_archE1201ELNS1_3gpuE5ELNS1_3repE0EEENS1_30default_config_static_selectorELNS0_4arch9wavefront6targetE1EEEvT1_.kd
    .uniform_work_group_size: 1
    .uses_dynamic_stack: false
    .vgpr_count:     0
    .vgpr_spill_count: 0
    .wavefront_size: 64
  - .agpr_count:     0
    .args:
      - .offset:         0
        .size:           64
        .value_kind:     by_value
    .group_segment_fixed_size: 0
    .kernarg_segment_align: 8
    .kernarg_segment_size: 64
    .language:       OpenCL C
    .language_version:
      - 2
      - 0
    .max_flat_workgroup_size: 256
    .name:           _ZN7rocprim17ROCPRIM_400000_NS6detail17trampoline_kernelINS0_14default_configENS1_35adjacent_difference_config_selectorILb1ElEEZNS1_24adjacent_difference_implIS3_Lb1ELb0EPlS7_ZN2at6native12_GLOBAL__N_124unique_dim_cuda_templateItEESt5tupleIJNS8_6TensorESD_SD_EERKSD_lbbbEUlllE1_EE10hipError_tPvRmT2_T3_mT4_P12ihipStream_tbEUlT_E_NS1_11comp_targetILNS1_3genE5ELNS1_11target_archE942ELNS1_3gpuE9ELNS1_3repE0EEENS1_30default_config_static_selectorELNS0_4arch9wavefront6targetE1EEEvT1_
    .private_segment_fixed_size: 0
    .sgpr_count:     4
    .sgpr_spill_count: 0
    .symbol:         _ZN7rocprim17ROCPRIM_400000_NS6detail17trampoline_kernelINS0_14default_configENS1_35adjacent_difference_config_selectorILb1ElEEZNS1_24adjacent_difference_implIS3_Lb1ELb0EPlS7_ZN2at6native12_GLOBAL__N_124unique_dim_cuda_templateItEESt5tupleIJNS8_6TensorESD_SD_EERKSD_lbbbEUlllE1_EE10hipError_tPvRmT2_T3_mT4_P12ihipStream_tbEUlT_E_NS1_11comp_targetILNS1_3genE5ELNS1_11target_archE942ELNS1_3gpuE9ELNS1_3repE0EEENS1_30default_config_static_selectorELNS0_4arch9wavefront6targetE1EEEvT1_.kd
    .uniform_work_group_size: 1
    .uses_dynamic_stack: false
    .vgpr_count:     0
    .vgpr_spill_count: 0
    .wavefront_size: 64
  - .agpr_count:     0
    .args:
      - .offset:         0
        .size:           64
        .value_kind:     by_value
    .group_segment_fixed_size: 8448
    .kernarg_segment_align: 8
    .kernarg_segment_size: 64
    .language:       OpenCL C
    .language_version:
      - 2
      - 0
    .max_flat_workgroup_size: 512
    .name:           _ZN7rocprim17ROCPRIM_400000_NS6detail17trampoline_kernelINS0_14default_configENS1_35adjacent_difference_config_selectorILb1ElEEZNS1_24adjacent_difference_implIS3_Lb1ELb0EPlS7_ZN2at6native12_GLOBAL__N_124unique_dim_cuda_templateItEESt5tupleIJNS8_6TensorESD_SD_EERKSD_lbbbEUlllE1_EE10hipError_tPvRmT2_T3_mT4_P12ihipStream_tbEUlT_E_NS1_11comp_targetILNS1_3genE4ELNS1_11target_archE910ELNS1_3gpuE8ELNS1_3repE0EEENS1_30default_config_static_selectorELNS0_4arch9wavefront6targetE1EEEvT1_
    .private_segment_fixed_size: 0
    .sgpr_count:     42
    .sgpr_spill_count: 0
    .symbol:         _ZN7rocprim17ROCPRIM_400000_NS6detail17trampoline_kernelINS0_14default_configENS1_35adjacent_difference_config_selectorILb1ElEEZNS1_24adjacent_difference_implIS3_Lb1ELb0EPlS7_ZN2at6native12_GLOBAL__N_124unique_dim_cuda_templateItEESt5tupleIJNS8_6TensorESD_SD_EERKSD_lbbbEUlllE1_EE10hipError_tPvRmT2_T3_mT4_P12ihipStream_tbEUlT_E_NS1_11comp_targetILNS1_3genE4ELNS1_11target_archE910ELNS1_3gpuE8ELNS1_3repE0EEENS1_30default_config_static_selectorELNS0_4arch9wavefront6targetE1EEEvT1_.kd
    .uniform_work_group_size: 1
    .uses_dynamic_stack: false
    .vgpr_count:     17
    .vgpr_spill_count: 0
    .wavefront_size: 64
  - .agpr_count:     0
    .args:
      - .offset:         0
        .size:           64
        .value_kind:     by_value
    .group_segment_fixed_size: 0
    .kernarg_segment_align: 8
    .kernarg_segment_size: 64
    .language:       OpenCL C
    .language_version:
      - 2
      - 0
    .max_flat_workgroup_size: 512
    .name:           _ZN7rocprim17ROCPRIM_400000_NS6detail17trampoline_kernelINS0_14default_configENS1_35adjacent_difference_config_selectorILb1ElEEZNS1_24adjacent_difference_implIS3_Lb1ELb0EPlS7_ZN2at6native12_GLOBAL__N_124unique_dim_cuda_templateItEESt5tupleIJNS8_6TensorESD_SD_EERKSD_lbbbEUlllE1_EE10hipError_tPvRmT2_T3_mT4_P12ihipStream_tbEUlT_E_NS1_11comp_targetILNS1_3genE3ELNS1_11target_archE908ELNS1_3gpuE7ELNS1_3repE0EEENS1_30default_config_static_selectorELNS0_4arch9wavefront6targetE1EEEvT1_
    .private_segment_fixed_size: 0
    .sgpr_count:     4
    .sgpr_spill_count: 0
    .symbol:         _ZN7rocprim17ROCPRIM_400000_NS6detail17trampoline_kernelINS0_14default_configENS1_35adjacent_difference_config_selectorILb1ElEEZNS1_24adjacent_difference_implIS3_Lb1ELb0EPlS7_ZN2at6native12_GLOBAL__N_124unique_dim_cuda_templateItEESt5tupleIJNS8_6TensorESD_SD_EERKSD_lbbbEUlllE1_EE10hipError_tPvRmT2_T3_mT4_P12ihipStream_tbEUlT_E_NS1_11comp_targetILNS1_3genE3ELNS1_11target_archE908ELNS1_3gpuE7ELNS1_3repE0EEENS1_30default_config_static_selectorELNS0_4arch9wavefront6targetE1EEEvT1_.kd
    .uniform_work_group_size: 1
    .uses_dynamic_stack: false
    .vgpr_count:     0
    .vgpr_spill_count: 0
    .wavefront_size: 64
  - .agpr_count:     0
    .args:
      - .offset:         0
        .size:           64
        .value_kind:     by_value
    .group_segment_fixed_size: 0
    .kernarg_segment_align: 8
    .kernarg_segment_size: 64
    .language:       OpenCL C
    .language_version:
      - 2
      - 0
    .max_flat_workgroup_size: 128
    .name:           _ZN7rocprim17ROCPRIM_400000_NS6detail17trampoline_kernelINS0_14default_configENS1_35adjacent_difference_config_selectorILb1ElEEZNS1_24adjacent_difference_implIS3_Lb1ELb0EPlS7_ZN2at6native12_GLOBAL__N_124unique_dim_cuda_templateItEESt5tupleIJNS8_6TensorESD_SD_EERKSD_lbbbEUlllE1_EE10hipError_tPvRmT2_T3_mT4_P12ihipStream_tbEUlT_E_NS1_11comp_targetILNS1_3genE2ELNS1_11target_archE906ELNS1_3gpuE6ELNS1_3repE0EEENS1_30default_config_static_selectorELNS0_4arch9wavefront6targetE1EEEvT1_
    .private_segment_fixed_size: 0
    .sgpr_count:     4
    .sgpr_spill_count: 0
    .symbol:         _ZN7rocprim17ROCPRIM_400000_NS6detail17trampoline_kernelINS0_14default_configENS1_35adjacent_difference_config_selectorILb1ElEEZNS1_24adjacent_difference_implIS3_Lb1ELb0EPlS7_ZN2at6native12_GLOBAL__N_124unique_dim_cuda_templateItEESt5tupleIJNS8_6TensorESD_SD_EERKSD_lbbbEUlllE1_EE10hipError_tPvRmT2_T3_mT4_P12ihipStream_tbEUlT_E_NS1_11comp_targetILNS1_3genE2ELNS1_11target_archE906ELNS1_3gpuE6ELNS1_3repE0EEENS1_30default_config_static_selectorELNS0_4arch9wavefront6targetE1EEEvT1_.kd
    .uniform_work_group_size: 1
    .uses_dynamic_stack: false
    .vgpr_count:     0
    .vgpr_spill_count: 0
    .wavefront_size: 64
  - .agpr_count:     0
    .args:
      - .offset:         0
        .size:           64
        .value_kind:     by_value
    .group_segment_fixed_size: 0
    .kernarg_segment_align: 8
    .kernarg_segment_size: 64
    .language:       OpenCL C
    .language_version:
      - 2
      - 0
    .max_flat_workgroup_size: 128
    .name:           _ZN7rocprim17ROCPRIM_400000_NS6detail17trampoline_kernelINS0_14default_configENS1_35adjacent_difference_config_selectorILb1ElEEZNS1_24adjacent_difference_implIS3_Lb1ELb0EPlS7_ZN2at6native12_GLOBAL__N_124unique_dim_cuda_templateItEESt5tupleIJNS8_6TensorESD_SD_EERKSD_lbbbEUlllE1_EE10hipError_tPvRmT2_T3_mT4_P12ihipStream_tbEUlT_E_NS1_11comp_targetILNS1_3genE9ELNS1_11target_archE1100ELNS1_3gpuE3ELNS1_3repE0EEENS1_30default_config_static_selectorELNS0_4arch9wavefront6targetE1EEEvT1_
    .private_segment_fixed_size: 0
    .sgpr_count:     4
    .sgpr_spill_count: 0
    .symbol:         _ZN7rocprim17ROCPRIM_400000_NS6detail17trampoline_kernelINS0_14default_configENS1_35adjacent_difference_config_selectorILb1ElEEZNS1_24adjacent_difference_implIS3_Lb1ELb0EPlS7_ZN2at6native12_GLOBAL__N_124unique_dim_cuda_templateItEESt5tupleIJNS8_6TensorESD_SD_EERKSD_lbbbEUlllE1_EE10hipError_tPvRmT2_T3_mT4_P12ihipStream_tbEUlT_E_NS1_11comp_targetILNS1_3genE9ELNS1_11target_archE1100ELNS1_3gpuE3ELNS1_3repE0EEENS1_30default_config_static_selectorELNS0_4arch9wavefront6targetE1EEEvT1_.kd
    .uniform_work_group_size: 1
    .uses_dynamic_stack: false
    .vgpr_count:     0
    .vgpr_spill_count: 0
    .wavefront_size: 64
  - .agpr_count:     0
    .args:
      - .offset:         0
        .size:           64
        .value_kind:     by_value
    .group_segment_fixed_size: 0
    .kernarg_segment_align: 8
    .kernarg_segment_size: 64
    .language:       OpenCL C
    .language_version:
      - 2
      - 0
    .max_flat_workgroup_size: 32
    .name:           _ZN7rocprim17ROCPRIM_400000_NS6detail17trampoline_kernelINS0_14default_configENS1_35adjacent_difference_config_selectorILb1ElEEZNS1_24adjacent_difference_implIS3_Lb1ELb0EPlS7_ZN2at6native12_GLOBAL__N_124unique_dim_cuda_templateItEESt5tupleIJNS8_6TensorESD_SD_EERKSD_lbbbEUlllE1_EE10hipError_tPvRmT2_T3_mT4_P12ihipStream_tbEUlT_E_NS1_11comp_targetILNS1_3genE8ELNS1_11target_archE1030ELNS1_3gpuE2ELNS1_3repE0EEENS1_30default_config_static_selectorELNS0_4arch9wavefront6targetE1EEEvT1_
    .private_segment_fixed_size: 0
    .sgpr_count:     4
    .sgpr_spill_count: 0
    .symbol:         _ZN7rocprim17ROCPRIM_400000_NS6detail17trampoline_kernelINS0_14default_configENS1_35adjacent_difference_config_selectorILb1ElEEZNS1_24adjacent_difference_implIS3_Lb1ELb0EPlS7_ZN2at6native12_GLOBAL__N_124unique_dim_cuda_templateItEESt5tupleIJNS8_6TensorESD_SD_EERKSD_lbbbEUlllE1_EE10hipError_tPvRmT2_T3_mT4_P12ihipStream_tbEUlT_E_NS1_11comp_targetILNS1_3genE8ELNS1_11target_archE1030ELNS1_3gpuE2ELNS1_3repE0EEENS1_30default_config_static_selectorELNS0_4arch9wavefront6targetE1EEEvT1_.kd
    .uniform_work_group_size: 1
    .uses_dynamic_stack: false
    .vgpr_count:     0
    .vgpr_spill_count: 0
    .wavefront_size: 64
  - .agpr_count:     0
    .args:
      - .offset:         0
        .size:           120
        .value_kind:     by_value
    .group_segment_fixed_size: 0
    .kernarg_segment_align: 8
    .kernarg_segment_size: 120
    .language:       OpenCL C
    .language_version:
      - 2
      - 0
    .max_flat_workgroup_size: 512
    .name:           _ZN7rocprim17ROCPRIM_400000_NS6detail17trampoline_kernelINS0_14default_configENS1_25partition_config_selectorILNS1_17partition_subalgoE8ElNS0_10empty_typeEbEEZZNS1_14partition_implILS5_8ELb0ES3_jPlPS6_PKS6_NS0_5tupleIJS9_S6_EEENSD_IJSA_SA_EEENS0_18inequality_wrapperIZN2at6native12_GLOBAL__N_124unique_dim_cuda_templateItEESt5tupleIJNSH_6TensorESM_SM_EERKSM_lbbbEUlllE0_EEPmJS6_EEE10hipError_tPvRmT3_T4_T5_T6_T7_T9_mT8_P12ihipStream_tbDpT10_ENKUlT_T0_E_clISt17integral_constantIbLb0EES1C_EEDaS17_S18_EUlS17_E_NS1_11comp_targetILNS1_3genE0ELNS1_11target_archE4294967295ELNS1_3gpuE0ELNS1_3repE0EEENS1_30default_config_static_selectorELNS0_4arch9wavefront6targetE1EEEvT1_
    .private_segment_fixed_size: 0
    .sgpr_count:     4
    .sgpr_spill_count: 0
    .symbol:         _ZN7rocprim17ROCPRIM_400000_NS6detail17trampoline_kernelINS0_14default_configENS1_25partition_config_selectorILNS1_17partition_subalgoE8ElNS0_10empty_typeEbEEZZNS1_14partition_implILS5_8ELb0ES3_jPlPS6_PKS6_NS0_5tupleIJS9_S6_EEENSD_IJSA_SA_EEENS0_18inequality_wrapperIZN2at6native12_GLOBAL__N_124unique_dim_cuda_templateItEESt5tupleIJNSH_6TensorESM_SM_EERKSM_lbbbEUlllE0_EEPmJS6_EEE10hipError_tPvRmT3_T4_T5_T6_T7_T9_mT8_P12ihipStream_tbDpT10_ENKUlT_T0_E_clISt17integral_constantIbLb0EES1C_EEDaS17_S18_EUlS17_E_NS1_11comp_targetILNS1_3genE0ELNS1_11target_archE4294967295ELNS1_3gpuE0ELNS1_3repE0EEENS1_30default_config_static_selectorELNS0_4arch9wavefront6targetE1EEEvT1_.kd
    .uniform_work_group_size: 1
    .uses_dynamic_stack: false
    .vgpr_count:     0
    .vgpr_spill_count: 0
    .wavefront_size: 64
  - .agpr_count:     0
    .args:
      - .offset:         0
        .size:           120
        .value_kind:     by_value
    .group_segment_fixed_size: 0
    .kernarg_segment_align: 8
    .kernarg_segment_size: 120
    .language:       OpenCL C
    .language_version:
      - 2
      - 0
    .max_flat_workgroup_size: 512
    .name:           _ZN7rocprim17ROCPRIM_400000_NS6detail17trampoline_kernelINS0_14default_configENS1_25partition_config_selectorILNS1_17partition_subalgoE8ElNS0_10empty_typeEbEEZZNS1_14partition_implILS5_8ELb0ES3_jPlPS6_PKS6_NS0_5tupleIJS9_S6_EEENSD_IJSA_SA_EEENS0_18inequality_wrapperIZN2at6native12_GLOBAL__N_124unique_dim_cuda_templateItEESt5tupleIJNSH_6TensorESM_SM_EERKSM_lbbbEUlllE0_EEPmJS6_EEE10hipError_tPvRmT3_T4_T5_T6_T7_T9_mT8_P12ihipStream_tbDpT10_ENKUlT_T0_E_clISt17integral_constantIbLb0EES1C_EEDaS17_S18_EUlS17_E_NS1_11comp_targetILNS1_3genE5ELNS1_11target_archE942ELNS1_3gpuE9ELNS1_3repE0EEENS1_30default_config_static_selectorELNS0_4arch9wavefront6targetE1EEEvT1_
    .private_segment_fixed_size: 0
    .sgpr_count:     4
    .sgpr_spill_count: 0
    .symbol:         _ZN7rocprim17ROCPRIM_400000_NS6detail17trampoline_kernelINS0_14default_configENS1_25partition_config_selectorILNS1_17partition_subalgoE8ElNS0_10empty_typeEbEEZZNS1_14partition_implILS5_8ELb0ES3_jPlPS6_PKS6_NS0_5tupleIJS9_S6_EEENSD_IJSA_SA_EEENS0_18inequality_wrapperIZN2at6native12_GLOBAL__N_124unique_dim_cuda_templateItEESt5tupleIJNSH_6TensorESM_SM_EERKSM_lbbbEUlllE0_EEPmJS6_EEE10hipError_tPvRmT3_T4_T5_T6_T7_T9_mT8_P12ihipStream_tbDpT10_ENKUlT_T0_E_clISt17integral_constantIbLb0EES1C_EEDaS17_S18_EUlS17_E_NS1_11comp_targetILNS1_3genE5ELNS1_11target_archE942ELNS1_3gpuE9ELNS1_3repE0EEENS1_30default_config_static_selectorELNS0_4arch9wavefront6targetE1EEEvT1_.kd
    .uniform_work_group_size: 1
    .uses_dynamic_stack: false
    .vgpr_count:     0
    .vgpr_spill_count: 0
    .wavefront_size: 64
  - .agpr_count:     0
    .args:
      - .offset:         0
        .size:           120
        .value_kind:     by_value
    .group_segment_fixed_size: 10252
    .kernarg_segment_align: 8
    .kernarg_segment_size: 120
    .language:       OpenCL C
    .language_version:
      - 2
      - 0
    .max_flat_workgroup_size: 256
    .name:           _ZN7rocprim17ROCPRIM_400000_NS6detail17trampoline_kernelINS0_14default_configENS1_25partition_config_selectorILNS1_17partition_subalgoE8ElNS0_10empty_typeEbEEZZNS1_14partition_implILS5_8ELb0ES3_jPlPS6_PKS6_NS0_5tupleIJS9_S6_EEENSD_IJSA_SA_EEENS0_18inequality_wrapperIZN2at6native12_GLOBAL__N_124unique_dim_cuda_templateItEESt5tupleIJNSH_6TensorESM_SM_EERKSM_lbbbEUlllE0_EEPmJS6_EEE10hipError_tPvRmT3_T4_T5_T6_T7_T9_mT8_P12ihipStream_tbDpT10_ENKUlT_T0_E_clISt17integral_constantIbLb0EES1C_EEDaS17_S18_EUlS17_E_NS1_11comp_targetILNS1_3genE4ELNS1_11target_archE910ELNS1_3gpuE8ELNS1_3repE0EEENS1_30default_config_static_selectorELNS0_4arch9wavefront6targetE1EEEvT1_
    .private_segment_fixed_size: 0
    .sgpr_count:     52
    .sgpr_spill_count: 0
    .symbol:         _ZN7rocprim17ROCPRIM_400000_NS6detail17trampoline_kernelINS0_14default_configENS1_25partition_config_selectorILNS1_17partition_subalgoE8ElNS0_10empty_typeEbEEZZNS1_14partition_implILS5_8ELb0ES3_jPlPS6_PKS6_NS0_5tupleIJS9_S6_EEENSD_IJSA_SA_EEENS0_18inequality_wrapperIZN2at6native12_GLOBAL__N_124unique_dim_cuda_templateItEESt5tupleIJNSH_6TensorESM_SM_EERKSM_lbbbEUlllE0_EEPmJS6_EEE10hipError_tPvRmT3_T4_T5_T6_T7_T9_mT8_P12ihipStream_tbDpT10_ENKUlT_T0_E_clISt17integral_constantIbLb0EES1C_EEDaS17_S18_EUlS17_E_NS1_11comp_targetILNS1_3genE4ELNS1_11target_archE910ELNS1_3gpuE8ELNS1_3repE0EEENS1_30default_config_static_selectorELNS0_4arch9wavefront6targetE1EEEvT1_.kd
    .uniform_work_group_size: 1
    .uses_dynamic_stack: false
    .vgpr_count:     46
    .vgpr_spill_count: 0
    .wavefront_size: 64
  - .agpr_count:     0
    .args:
      - .offset:         0
        .size:           120
        .value_kind:     by_value
    .group_segment_fixed_size: 0
    .kernarg_segment_align: 8
    .kernarg_segment_size: 120
    .language:       OpenCL C
    .language_version:
      - 2
      - 0
    .max_flat_workgroup_size: 512
    .name:           _ZN7rocprim17ROCPRIM_400000_NS6detail17trampoline_kernelINS0_14default_configENS1_25partition_config_selectorILNS1_17partition_subalgoE8ElNS0_10empty_typeEbEEZZNS1_14partition_implILS5_8ELb0ES3_jPlPS6_PKS6_NS0_5tupleIJS9_S6_EEENSD_IJSA_SA_EEENS0_18inequality_wrapperIZN2at6native12_GLOBAL__N_124unique_dim_cuda_templateItEESt5tupleIJNSH_6TensorESM_SM_EERKSM_lbbbEUlllE0_EEPmJS6_EEE10hipError_tPvRmT3_T4_T5_T6_T7_T9_mT8_P12ihipStream_tbDpT10_ENKUlT_T0_E_clISt17integral_constantIbLb0EES1C_EEDaS17_S18_EUlS17_E_NS1_11comp_targetILNS1_3genE3ELNS1_11target_archE908ELNS1_3gpuE7ELNS1_3repE0EEENS1_30default_config_static_selectorELNS0_4arch9wavefront6targetE1EEEvT1_
    .private_segment_fixed_size: 0
    .sgpr_count:     4
    .sgpr_spill_count: 0
    .symbol:         _ZN7rocprim17ROCPRIM_400000_NS6detail17trampoline_kernelINS0_14default_configENS1_25partition_config_selectorILNS1_17partition_subalgoE8ElNS0_10empty_typeEbEEZZNS1_14partition_implILS5_8ELb0ES3_jPlPS6_PKS6_NS0_5tupleIJS9_S6_EEENSD_IJSA_SA_EEENS0_18inequality_wrapperIZN2at6native12_GLOBAL__N_124unique_dim_cuda_templateItEESt5tupleIJNSH_6TensorESM_SM_EERKSM_lbbbEUlllE0_EEPmJS6_EEE10hipError_tPvRmT3_T4_T5_T6_T7_T9_mT8_P12ihipStream_tbDpT10_ENKUlT_T0_E_clISt17integral_constantIbLb0EES1C_EEDaS17_S18_EUlS17_E_NS1_11comp_targetILNS1_3genE3ELNS1_11target_archE908ELNS1_3gpuE7ELNS1_3repE0EEENS1_30default_config_static_selectorELNS0_4arch9wavefront6targetE1EEEvT1_.kd
    .uniform_work_group_size: 1
    .uses_dynamic_stack: false
    .vgpr_count:     0
    .vgpr_spill_count: 0
    .wavefront_size: 64
  - .agpr_count:     0
    .args:
      - .offset:         0
        .size:           120
        .value_kind:     by_value
    .group_segment_fixed_size: 0
    .kernarg_segment_align: 8
    .kernarg_segment_size: 120
    .language:       OpenCL C
    .language_version:
      - 2
      - 0
    .max_flat_workgroup_size: 256
    .name:           _ZN7rocprim17ROCPRIM_400000_NS6detail17trampoline_kernelINS0_14default_configENS1_25partition_config_selectorILNS1_17partition_subalgoE8ElNS0_10empty_typeEbEEZZNS1_14partition_implILS5_8ELb0ES3_jPlPS6_PKS6_NS0_5tupleIJS9_S6_EEENSD_IJSA_SA_EEENS0_18inequality_wrapperIZN2at6native12_GLOBAL__N_124unique_dim_cuda_templateItEESt5tupleIJNSH_6TensorESM_SM_EERKSM_lbbbEUlllE0_EEPmJS6_EEE10hipError_tPvRmT3_T4_T5_T6_T7_T9_mT8_P12ihipStream_tbDpT10_ENKUlT_T0_E_clISt17integral_constantIbLb0EES1C_EEDaS17_S18_EUlS17_E_NS1_11comp_targetILNS1_3genE2ELNS1_11target_archE906ELNS1_3gpuE6ELNS1_3repE0EEENS1_30default_config_static_selectorELNS0_4arch9wavefront6targetE1EEEvT1_
    .private_segment_fixed_size: 0
    .sgpr_count:     4
    .sgpr_spill_count: 0
    .symbol:         _ZN7rocprim17ROCPRIM_400000_NS6detail17trampoline_kernelINS0_14default_configENS1_25partition_config_selectorILNS1_17partition_subalgoE8ElNS0_10empty_typeEbEEZZNS1_14partition_implILS5_8ELb0ES3_jPlPS6_PKS6_NS0_5tupleIJS9_S6_EEENSD_IJSA_SA_EEENS0_18inequality_wrapperIZN2at6native12_GLOBAL__N_124unique_dim_cuda_templateItEESt5tupleIJNSH_6TensorESM_SM_EERKSM_lbbbEUlllE0_EEPmJS6_EEE10hipError_tPvRmT3_T4_T5_T6_T7_T9_mT8_P12ihipStream_tbDpT10_ENKUlT_T0_E_clISt17integral_constantIbLb0EES1C_EEDaS17_S18_EUlS17_E_NS1_11comp_targetILNS1_3genE2ELNS1_11target_archE906ELNS1_3gpuE6ELNS1_3repE0EEENS1_30default_config_static_selectorELNS0_4arch9wavefront6targetE1EEEvT1_.kd
    .uniform_work_group_size: 1
    .uses_dynamic_stack: false
    .vgpr_count:     0
    .vgpr_spill_count: 0
    .wavefront_size: 64
  - .agpr_count:     0
    .args:
      - .offset:         0
        .size:           120
        .value_kind:     by_value
    .group_segment_fixed_size: 0
    .kernarg_segment_align: 8
    .kernarg_segment_size: 120
    .language:       OpenCL C
    .language_version:
      - 2
      - 0
    .max_flat_workgroup_size: 384
    .name:           _ZN7rocprim17ROCPRIM_400000_NS6detail17trampoline_kernelINS0_14default_configENS1_25partition_config_selectorILNS1_17partition_subalgoE8ElNS0_10empty_typeEbEEZZNS1_14partition_implILS5_8ELb0ES3_jPlPS6_PKS6_NS0_5tupleIJS9_S6_EEENSD_IJSA_SA_EEENS0_18inequality_wrapperIZN2at6native12_GLOBAL__N_124unique_dim_cuda_templateItEESt5tupleIJNSH_6TensorESM_SM_EERKSM_lbbbEUlllE0_EEPmJS6_EEE10hipError_tPvRmT3_T4_T5_T6_T7_T9_mT8_P12ihipStream_tbDpT10_ENKUlT_T0_E_clISt17integral_constantIbLb0EES1C_EEDaS17_S18_EUlS17_E_NS1_11comp_targetILNS1_3genE10ELNS1_11target_archE1200ELNS1_3gpuE4ELNS1_3repE0EEENS1_30default_config_static_selectorELNS0_4arch9wavefront6targetE1EEEvT1_
    .private_segment_fixed_size: 0
    .sgpr_count:     4
    .sgpr_spill_count: 0
    .symbol:         _ZN7rocprim17ROCPRIM_400000_NS6detail17trampoline_kernelINS0_14default_configENS1_25partition_config_selectorILNS1_17partition_subalgoE8ElNS0_10empty_typeEbEEZZNS1_14partition_implILS5_8ELb0ES3_jPlPS6_PKS6_NS0_5tupleIJS9_S6_EEENSD_IJSA_SA_EEENS0_18inequality_wrapperIZN2at6native12_GLOBAL__N_124unique_dim_cuda_templateItEESt5tupleIJNSH_6TensorESM_SM_EERKSM_lbbbEUlllE0_EEPmJS6_EEE10hipError_tPvRmT3_T4_T5_T6_T7_T9_mT8_P12ihipStream_tbDpT10_ENKUlT_T0_E_clISt17integral_constantIbLb0EES1C_EEDaS17_S18_EUlS17_E_NS1_11comp_targetILNS1_3genE10ELNS1_11target_archE1200ELNS1_3gpuE4ELNS1_3repE0EEENS1_30default_config_static_selectorELNS0_4arch9wavefront6targetE1EEEvT1_.kd
    .uniform_work_group_size: 1
    .uses_dynamic_stack: false
    .vgpr_count:     0
    .vgpr_spill_count: 0
    .wavefront_size: 64
  - .agpr_count:     0
    .args:
      - .offset:         0
        .size:           120
        .value_kind:     by_value
    .group_segment_fixed_size: 0
    .kernarg_segment_align: 8
    .kernarg_segment_size: 120
    .language:       OpenCL C
    .language_version:
      - 2
      - 0
    .max_flat_workgroup_size: 512
    .name:           _ZN7rocprim17ROCPRIM_400000_NS6detail17trampoline_kernelINS0_14default_configENS1_25partition_config_selectorILNS1_17partition_subalgoE8ElNS0_10empty_typeEbEEZZNS1_14partition_implILS5_8ELb0ES3_jPlPS6_PKS6_NS0_5tupleIJS9_S6_EEENSD_IJSA_SA_EEENS0_18inequality_wrapperIZN2at6native12_GLOBAL__N_124unique_dim_cuda_templateItEESt5tupleIJNSH_6TensorESM_SM_EERKSM_lbbbEUlllE0_EEPmJS6_EEE10hipError_tPvRmT3_T4_T5_T6_T7_T9_mT8_P12ihipStream_tbDpT10_ENKUlT_T0_E_clISt17integral_constantIbLb0EES1C_EEDaS17_S18_EUlS17_E_NS1_11comp_targetILNS1_3genE9ELNS1_11target_archE1100ELNS1_3gpuE3ELNS1_3repE0EEENS1_30default_config_static_selectorELNS0_4arch9wavefront6targetE1EEEvT1_
    .private_segment_fixed_size: 0
    .sgpr_count:     4
    .sgpr_spill_count: 0
    .symbol:         _ZN7rocprim17ROCPRIM_400000_NS6detail17trampoline_kernelINS0_14default_configENS1_25partition_config_selectorILNS1_17partition_subalgoE8ElNS0_10empty_typeEbEEZZNS1_14partition_implILS5_8ELb0ES3_jPlPS6_PKS6_NS0_5tupleIJS9_S6_EEENSD_IJSA_SA_EEENS0_18inequality_wrapperIZN2at6native12_GLOBAL__N_124unique_dim_cuda_templateItEESt5tupleIJNSH_6TensorESM_SM_EERKSM_lbbbEUlllE0_EEPmJS6_EEE10hipError_tPvRmT3_T4_T5_T6_T7_T9_mT8_P12ihipStream_tbDpT10_ENKUlT_T0_E_clISt17integral_constantIbLb0EES1C_EEDaS17_S18_EUlS17_E_NS1_11comp_targetILNS1_3genE9ELNS1_11target_archE1100ELNS1_3gpuE3ELNS1_3repE0EEENS1_30default_config_static_selectorELNS0_4arch9wavefront6targetE1EEEvT1_.kd
    .uniform_work_group_size: 1
    .uses_dynamic_stack: false
    .vgpr_count:     0
    .vgpr_spill_count: 0
    .wavefront_size: 64
  - .agpr_count:     0
    .args:
      - .offset:         0
        .size:           120
        .value_kind:     by_value
    .group_segment_fixed_size: 0
    .kernarg_segment_align: 8
    .kernarg_segment_size: 120
    .language:       OpenCL C
    .language_version:
      - 2
      - 0
    .max_flat_workgroup_size: 512
    .name:           _ZN7rocprim17ROCPRIM_400000_NS6detail17trampoline_kernelINS0_14default_configENS1_25partition_config_selectorILNS1_17partition_subalgoE8ElNS0_10empty_typeEbEEZZNS1_14partition_implILS5_8ELb0ES3_jPlPS6_PKS6_NS0_5tupleIJS9_S6_EEENSD_IJSA_SA_EEENS0_18inequality_wrapperIZN2at6native12_GLOBAL__N_124unique_dim_cuda_templateItEESt5tupleIJNSH_6TensorESM_SM_EERKSM_lbbbEUlllE0_EEPmJS6_EEE10hipError_tPvRmT3_T4_T5_T6_T7_T9_mT8_P12ihipStream_tbDpT10_ENKUlT_T0_E_clISt17integral_constantIbLb0EES1C_EEDaS17_S18_EUlS17_E_NS1_11comp_targetILNS1_3genE8ELNS1_11target_archE1030ELNS1_3gpuE2ELNS1_3repE0EEENS1_30default_config_static_selectorELNS0_4arch9wavefront6targetE1EEEvT1_
    .private_segment_fixed_size: 0
    .sgpr_count:     4
    .sgpr_spill_count: 0
    .symbol:         _ZN7rocprim17ROCPRIM_400000_NS6detail17trampoline_kernelINS0_14default_configENS1_25partition_config_selectorILNS1_17partition_subalgoE8ElNS0_10empty_typeEbEEZZNS1_14partition_implILS5_8ELb0ES3_jPlPS6_PKS6_NS0_5tupleIJS9_S6_EEENSD_IJSA_SA_EEENS0_18inequality_wrapperIZN2at6native12_GLOBAL__N_124unique_dim_cuda_templateItEESt5tupleIJNSH_6TensorESM_SM_EERKSM_lbbbEUlllE0_EEPmJS6_EEE10hipError_tPvRmT3_T4_T5_T6_T7_T9_mT8_P12ihipStream_tbDpT10_ENKUlT_T0_E_clISt17integral_constantIbLb0EES1C_EEDaS17_S18_EUlS17_E_NS1_11comp_targetILNS1_3genE8ELNS1_11target_archE1030ELNS1_3gpuE2ELNS1_3repE0EEENS1_30default_config_static_selectorELNS0_4arch9wavefront6targetE1EEEvT1_.kd
    .uniform_work_group_size: 1
    .uses_dynamic_stack: false
    .vgpr_count:     0
    .vgpr_spill_count: 0
    .wavefront_size: 64
  - .agpr_count:     0
    .args:
      - .offset:         0
        .size:           136
        .value_kind:     by_value
    .group_segment_fixed_size: 0
    .kernarg_segment_align: 8
    .kernarg_segment_size: 136
    .language:       OpenCL C
    .language_version:
      - 2
      - 0
    .max_flat_workgroup_size: 512
    .name:           _ZN7rocprim17ROCPRIM_400000_NS6detail17trampoline_kernelINS0_14default_configENS1_25partition_config_selectorILNS1_17partition_subalgoE8ElNS0_10empty_typeEbEEZZNS1_14partition_implILS5_8ELb0ES3_jPlPS6_PKS6_NS0_5tupleIJS9_S6_EEENSD_IJSA_SA_EEENS0_18inequality_wrapperIZN2at6native12_GLOBAL__N_124unique_dim_cuda_templateItEESt5tupleIJNSH_6TensorESM_SM_EERKSM_lbbbEUlllE0_EEPmJS6_EEE10hipError_tPvRmT3_T4_T5_T6_T7_T9_mT8_P12ihipStream_tbDpT10_ENKUlT_T0_E_clISt17integral_constantIbLb1EES1C_EEDaS17_S18_EUlS17_E_NS1_11comp_targetILNS1_3genE0ELNS1_11target_archE4294967295ELNS1_3gpuE0ELNS1_3repE0EEENS1_30default_config_static_selectorELNS0_4arch9wavefront6targetE1EEEvT1_
    .private_segment_fixed_size: 0
    .sgpr_count:     4
    .sgpr_spill_count: 0
    .symbol:         _ZN7rocprim17ROCPRIM_400000_NS6detail17trampoline_kernelINS0_14default_configENS1_25partition_config_selectorILNS1_17partition_subalgoE8ElNS0_10empty_typeEbEEZZNS1_14partition_implILS5_8ELb0ES3_jPlPS6_PKS6_NS0_5tupleIJS9_S6_EEENSD_IJSA_SA_EEENS0_18inequality_wrapperIZN2at6native12_GLOBAL__N_124unique_dim_cuda_templateItEESt5tupleIJNSH_6TensorESM_SM_EERKSM_lbbbEUlllE0_EEPmJS6_EEE10hipError_tPvRmT3_T4_T5_T6_T7_T9_mT8_P12ihipStream_tbDpT10_ENKUlT_T0_E_clISt17integral_constantIbLb1EES1C_EEDaS17_S18_EUlS17_E_NS1_11comp_targetILNS1_3genE0ELNS1_11target_archE4294967295ELNS1_3gpuE0ELNS1_3repE0EEENS1_30default_config_static_selectorELNS0_4arch9wavefront6targetE1EEEvT1_.kd
    .uniform_work_group_size: 1
    .uses_dynamic_stack: false
    .vgpr_count:     0
    .vgpr_spill_count: 0
    .wavefront_size: 64
  - .agpr_count:     0
    .args:
      - .offset:         0
        .size:           136
        .value_kind:     by_value
    .group_segment_fixed_size: 0
    .kernarg_segment_align: 8
    .kernarg_segment_size: 136
    .language:       OpenCL C
    .language_version:
      - 2
      - 0
    .max_flat_workgroup_size: 512
    .name:           _ZN7rocprim17ROCPRIM_400000_NS6detail17trampoline_kernelINS0_14default_configENS1_25partition_config_selectorILNS1_17partition_subalgoE8ElNS0_10empty_typeEbEEZZNS1_14partition_implILS5_8ELb0ES3_jPlPS6_PKS6_NS0_5tupleIJS9_S6_EEENSD_IJSA_SA_EEENS0_18inequality_wrapperIZN2at6native12_GLOBAL__N_124unique_dim_cuda_templateItEESt5tupleIJNSH_6TensorESM_SM_EERKSM_lbbbEUlllE0_EEPmJS6_EEE10hipError_tPvRmT3_T4_T5_T6_T7_T9_mT8_P12ihipStream_tbDpT10_ENKUlT_T0_E_clISt17integral_constantIbLb1EES1C_EEDaS17_S18_EUlS17_E_NS1_11comp_targetILNS1_3genE5ELNS1_11target_archE942ELNS1_3gpuE9ELNS1_3repE0EEENS1_30default_config_static_selectorELNS0_4arch9wavefront6targetE1EEEvT1_
    .private_segment_fixed_size: 0
    .sgpr_count:     4
    .sgpr_spill_count: 0
    .symbol:         _ZN7rocprim17ROCPRIM_400000_NS6detail17trampoline_kernelINS0_14default_configENS1_25partition_config_selectorILNS1_17partition_subalgoE8ElNS0_10empty_typeEbEEZZNS1_14partition_implILS5_8ELb0ES3_jPlPS6_PKS6_NS0_5tupleIJS9_S6_EEENSD_IJSA_SA_EEENS0_18inequality_wrapperIZN2at6native12_GLOBAL__N_124unique_dim_cuda_templateItEESt5tupleIJNSH_6TensorESM_SM_EERKSM_lbbbEUlllE0_EEPmJS6_EEE10hipError_tPvRmT3_T4_T5_T6_T7_T9_mT8_P12ihipStream_tbDpT10_ENKUlT_T0_E_clISt17integral_constantIbLb1EES1C_EEDaS17_S18_EUlS17_E_NS1_11comp_targetILNS1_3genE5ELNS1_11target_archE942ELNS1_3gpuE9ELNS1_3repE0EEENS1_30default_config_static_selectorELNS0_4arch9wavefront6targetE1EEEvT1_.kd
    .uniform_work_group_size: 1
    .uses_dynamic_stack: false
    .vgpr_count:     0
    .vgpr_spill_count: 0
    .wavefront_size: 64
  - .agpr_count:     0
    .args:
      - .offset:         0
        .size:           136
        .value_kind:     by_value
    .group_segment_fixed_size: 10252
    .kernarg_segment_align: 8
    .kernarg_segment_size: 136
    .language:       OpenCL C
    .language_version:
      - 2
      - 0
    .max_flat_workgroup_size: 256
    .name:           _ZN7rocprim17ROCPRIM_400000_NS6detail17trampoline_kernelINS0_14default_configENS1_25partition_config_selectorILNS1_17partition_subalgoE8ElNS0_10empty_typeEbEEZZNS1_14partition_implILS5_8ELb0ES3_jPlPS6_PKS6_NS0_5tupleIJS9_S6_EEENSD_IJSA_SA_EEENS0_18inequality_wrapperIZN2at6native12_GLOBAL__N_124unique_dim_cuda_templateItEESt5tupleIJNSH_6TensorESM_SM_EERKSM_lbbbEUlllE0_EEPmJS6_EEE10hipError_tPvRmT3_T4_T5_T6_T7_T9_mT8_P12ihipStream_tbDpT10_ENKUlT_T0_E_clISt17integral_constantIbLb1EES1C_EEDaS17_S18_EUlS17_E_NS1_11comp_targetILNS1_3genE4ELNS1_11target_archE910ELNS1_3gpuE8ELNS1_3repE0EEENS1_30default_config_static_selectorELNS0_4arch9wavefront6targetE1EEEvT1_
    .private_segment_fixed_size: 0
    .sgpr_count:     56
    .sgpr_spill_count: 0
    .symbol:         _ZN7rocprim17ROCPRIM_400000_NS6detail17trampoline_kernelINS0_14default_configENS1_25partition_config_selectorILNS1_17partition_subalgoE8ElNS0_10empty_typeEbEEZZNS1_14partition_implILS5_8ELb0ES3_jPlPS6_PKS6_NS0_5tupleIJS9_S6_EEENSD_IJSA_SA_EEENS0_18inequality_wrapperIZN2at6native12_GLOBAL__N_124unique_dim_cuda_templateItEESt5tupleIJNSH_6TensorESM_SM_EERKSM_lbbbEUlllE0_EEPmJS6_EEE10hipError_tPvRmT3_T4_T5_T6_T7_T9_mT8_P12ihipStream_tbDpT10_ENKUlT_T0_E_clISt17integral_constantIbLb1EES1C_EEDaS17_S18_EUlS17_E_NS1_11comp_targetILNS1_3genE4ELNS1_11target_archE910ELNS1_3gpuE8ELNS1_3repE0EEENS1_30default_config_static_selectorELNS0_4arch9wavefront6targetE1EEEvT1_.kd
    .uniform_work_group_size: 1
    .uses_dynamic_stack: false
    .vgpr_count:     46
    .vgpr_spill_count: 0
    .wavefront_size: 64
  - .agpr_count:     0
    .args:
      - .offset:         0
        .size:           136
        .value_kind:     by_value
    .group_segment_fixed_size: 0
    .kernarg_segment_align: 8
    .kernarg_segment_size: 136
    .language:       OpenCL C
    .language_version:
      - 2
      - 0
    .max_flat_workgroup_size: 512
    .name:           _ZN7rocprim17ROCPRIM_400000_NS6detail17trampoline_kernelINS0_14default_configENS1_25partition_config_selectorILNS1_17partition_subalgoE8ElNS0_10empty_typeEbEEZZNS1_14partition_implILS5_8ELb0ES3_jPlPS6_PKS6_NS0_5tupleIJS9_S6_EEENSD_IJSA_SA_EEENS0_18inequality_wrapperIZN2at6native12_GLOBAL__N_124unique_dim_cuda_templateItEESt5tupleIJNSH_6TensorESM_SM_EERKSM_lbbbEUlllE0_EEPmJS6_EEE10hipError_tPvRmT3_T4_T5_T6_T7_T9_mT8_P12ihipStream_tbDpT10_ENKUlT_T0_E_clISt17integral_constantIbLb1EES1C_EEDaS17_S18_EUlS17_E_NS1_11comp_targetILNS1_3genE3ELNS1_11target_archE908ELNS1_3gpuE7ELNS1_3repE0EEENS1_30default_config_static_selectorELNS0_4arch9wavefront6targetE1EEEvT1_
    .private_segment_fixed_size: 0
    .sgpr_count:     4
    .sgpr_spill_count: 0
    .symbol:         _ZN7rocprim17ROCPRIM_400000_NS6detail17trampoline_kernelINS0_14default_configENS1_25partition_config_selectorILNS1_17partition_subalgoE8ElNS0_10empty_typeEbEEZZNS1_14partition_implILS5_8ELb0ES3_jPlPS6_PKS6_NS0_5tupleIJS9_S6_EEENSD_IJSA_SA_EEENS0_18inequality_wrapperIZN2at6native12_GLOBAL__N_124unique_dim_cuda_templateItEESt5tupleIJNSH_6TensorESM_SM_EERKSM_lbbbEUlllE0_EEPmJS6_EEE10hipError_tPvRmT3_T4_T5_T6_T7_T9_mT8_P12ihipStream_tbDpT10_ENKUlT_T0_E_clISt17integral_constantIbLb1EES1C_EEDaS17_S18_EUlS17_E_NS1_11comp_targetILNS1_3genE3ELNS1_11target_archE908ELNS1_3gpuE7ELNS1_3repE0EEENS1_30default_config_static_selectorELNS0_4arch9wavefront6targetE1EEEvT1_.kd
    .uniform_work_group_size: 1
    .uses_dynamic_stack: false
    .vgpr_count:     0
    .vgpr_spill_count: 0
    .wavefront_size: 64
  - .agpr_count:     0
    .args:
      - .offset:         0
        .size:           136
        .value_kind:     by_value
    .group_segment_fixed_size: 0
    .kernarg_segment_align: 8
    .kernarg_segment_size: 136
    .language:       OpenCL C
    .language_version:
      - 2
      - 0
    .max_flat_workgroup_size: 256
    .name:           _ZN7rocprim17ROCPRIM_400000_NS6detail17trampoline_kernelINS0_14default_configENS1_25partition_config_selectorILNS1_17partition_subalgoE8ElNS0_10empty_typeEbEEZZNS1_14partition_implILS5_8ELb0ES3_jPlPS6_PKS6_NS0_5tupleIJS9_S6_EEENSD_IJSA_SA_EEENS0_18inequality_wrapperIZN2at6native12_GLOBAL__N_124unique_dim_cuda_templateItEESt5tupleIJNSH_6TensorESM_SM_EERKSM_lbbbEUlllE0_EEPmJS6_EEE10hipError_tPvRmT3_T4_T5_T6_T7_T9_mT8_P12ihipStream_tbDpT10_ENKUlT_T0_E_clISt17integral_constantIbLb1EES1C_EEDaS17_S18_EUlS17_E_NS1_11comp_targetILNS1_3genE2ELNS1_11target_archE906ELNS1_3gpuE6ELNS1_3repE0EEENS1_30default_config_static_selectorELNS0_4arch9wavefront6targetE1EEEvT1_
    .private_segment_fixed_size: 0
    .sgpr_count:     4
    .sgpr_spill_count: 0
    .symbol:         _ZN7rocprim17ROCPRIM_400000_NS6detail17trampoline_kernelINS0_14default_configENS1_25partition_config_selectorILNS1_17partition_subalgoE8ElNS0_10empty_typeEbEEZZNS1_14partition_implILS5_8ELb0ES3_jPlPS6_PKS6_NS0_5tupleIJS9_S6_EEENSD_IJSA_SA_EEENS0_18inequality_wrapperIZN2at6native12_GLOBAL__N_124unique_dim_cuda_templateItEESt5tupleIJNSH_6TensorESM_SM_EERKSM_lbbbEUlllE0_EEPmJS6_EEE10hipError_tPvRmT3_T4_T5_T6_T7_T9_mT8_P12ihipStream_tbDpT10_ENKUlT_T0_E_clISt17integral_constantIbLb1EES1C_EEDaS17_S18_EUlS17_E_NS1_11comp_targetILNS1_3genE2ELNS1_11target_archE906ELNS1_3gpuE6ELNS1_3repE0EEENS1_30default_config_static_selectorELNS0_4arch9wavefront6targetE1EEEvT1_.kd
    .uniform_work_group_size: 1
    .uses_dynamic_stack: false
    .vgpr_count:     0
    .vgpr_spill_count: 0
    .wavefront_size: 64
  - .agpr_count:     0
    .args:
      - .offset:         0
        .size:           136
        .value_kind:     by_value
    .group_segment_fixed_size: 0
    .kernarg_segment_align: 8
    .kernarg_segment_size: 136
    .language:       OpenCL C
    .language_version:
      - 2
      - 0
    .max_flat_workgroup_size: 384
    .name:           _ZN7rocprim17ROCPRIM_400000_NS6detail17trampoline_kernelINS0_14default_configENS1_25partition_config_selectorILNS1_17partition_subalgoE8ElNS0_10empty_typeEbEEZZNS1_14partition_implILS5_8ELb0ES3_jPlPS6_PKS6_NS0_5tupleIJS9_S6_EEENSD_IJSA_SA_EEENS0_18inequality_wrapperIZN2at6native12_GLOBAL__N_124unique_dim_cuda_templateItEESt5tupleIJNSH_6TensorESM_SM_EERKSM_lbbbEUlllE0_EEPmJS6_EEE10hipError_tPvRmT3_T4_T5_T6_T7_T9_mT8_P12ihipStream_tbDpT10_ENKUlT_T0_E_clISt17integral_constantIbLb1EES1C_EEDaS17_S18_EUlS17_E_NS1_11comp_targetILNS1_3genE10ELNS1_11target_archE1200ELNS1_3gpuE4ELNS1_3repE0EEENS1_30default_config_static_selectorELNS0_4arch9wavefront6targetE1EEEvT1_
    .private_segment_fixed_size: 0
    .sgpr_count:     4
    .sgpr_spill_count: 0
    .symbol:         _ZN7rocprim17ROCPRIM_400000_NS6detail17trampoline_kernelINS0_14default_configENS1_25partition_config_selectorILNS1_17partition_subalgoE8ElNS0_10empty_typeEbEEZZNS1_14partition_implILS5_8ELb0ES3_jPlPS6_PKS6_NS0_5tupleIJS9_S6_EEENSD_IJSA_SA_EEENS0_18inequality_wrapperIZN2at6native12_GLOBAL__N_124unique_dim_cuda_templateItEESt5tupleIJNSH_6TensorESM_SM_EERKSM_lbbbEUlllE0_EEPmJS6_EEE10hipError_tPvRmT3_T4_T5_T6_T7_T9_mT8_P12ihipStream_tbDpT10_ENKUlT_T0_E_clISt17integral_constantIbLb1EES1C_EEDaS17_S18_EUlS17_E_NS1_11comp_targetILNS1_3genE10ELNS1_11target_archE1200ELNS1_3gpuE4ELNS1_3repE0EEENS1_30default_config_static_selectorELNS0_4arch9wavefront6targetE1EEEvT1_.kd
    .uniform_work_group_size: 1
    .uses_dynamic_stack: false
    .vgpr_count:     0
    .vgpr_spill_count: 0
    .wavefront_size: 64
  - .agpr_count:     0
    .args:
      - .offset:         0
        .size:           136
        .value_kind:     by_value
    .group_segment_fixed_size: 0
    .kernarg_segment_align: 8
    .kernarg_segment_size: 136
    .language:       OpenCL C
    .language_version:
      - 2
      - 0
    .max_flat_workgroup_size: 512
    .name:           _ZN7rocprim17ROCPRIM_400000_NS6detail17trampoline_kernelINS0_14default_configENS1_25partition_config_selectorILNS1_17partition_subalgoE8ElNS0_10empty_typeEbEEZZNS1_14partition_implILS5_8ELb0ES3_jPlPS6_PKS6_NS0_5tupleIJS9_S6_EEENSD_IJSA_SA_EEENS0_18inequality_wrapperIZN2at6native12_GLOBAL__N_124unique_dim_cuda_templateItEESt5tupleIJNSH_6TensorESM_SM_EERKSM_lbbbEUlllE0_EEPmJS6_EEE10hipError_tPvRmT3_T4_T5_T6_T7_T9_mT8_P12ihipStream_tbDpT10_ENKUlT_T0_E_clISt17integral_constantIbLb1EES1C_EEDaS17_S18_EUlS17_E_NS1_11comp_targetILNS1_3genE9ELNS1_11target_archE1100ELNS1_3gpuE3ELNS1_3repE0EEENS1_30default_config_static_selectorELNS0_4arch9wavefront6targetE1EEEvT1_
    .private_segment_fixed_size: 0
    .sgpr_count:     4
    .sgpr_spill_count: 0
    .symbol:         _ZN7rocprim17ROCPRIM_400000_NS6detail17trampoline_kernelINS0_14default_configENS1_25partition_config_selectorILNS1_17partition_subalgoE8ElNS0_10empty_typeEbEEZZNS1_14partition_implILS5_8ELb0ES3_jPlPS6_PKS6_NS0_5tupleIJS9_S6_EEENSD_IJSA_SA_EEENS0_18inequality_wrapperIZN2at6native12_GLOBAL__N_124unique_dim_cuda_templateItEESt5tupleIJNSH_6TensorESM_SM_EERKSM_lbbbEUlllE0_EEPmJS6_EEE10hipError_tPvRmT3_T4_T5_T6_T7_T9_mT8_P12ihipStream_tbDpT10_ENKUlT_T0_E_clISt17integral_constantIbLb1EES1C_EEDaS17_S18_EUlS17_E_NS1_11comp_targetILNS1_3genE9ELNS1_11target_archE1100ELNS1_3gpuE3ELNS1_3repE0EEENS1_30default_config_static_selectorELNS0_4arch9wavefront6targetE1EEEvT1_.kd
    .uniform_work_group_size: 1
    .uses_dynamic_stack: false
    .vgpr_count:     0
    .vgpr_spill_count: 0
    .wavefront_size: 64
  - .agpr_count:     0
    .args:
      - .offset:         0
        .size:           136
        .value_kind:     by_value
    .group_segment_fixed_size: 0
    .kernarg_segment_align: 8
    .kernarg_segment_size: 136
    .language:       OpenCL C
    .language_version:
      - 2
      - 0
    .max_flat_workgroup_size: 512
    .name:           _ZN7rocprim17ROCPRIM_400000_NS6detail17trampoline_kernelINS0_14default_configENS1_25partition_config_selectorILNS1_17partition_subalgoE8ElNS0_10empty_typeEbEEZZNS1_14partition_implILS5_8ELb0ES3_jPlPS6_PKS6_NS0_5tupleIJS9_S6_EEENSD_IJSA_SA_EEENS0_18inequality_wrapperIZN2at6native12_GLOBAL__N_124unique_dim_cuda_templateItEESt5tupleIJNSH_6TensorESM_SM_EERKSM_lbbbEUlllE0_EEPmJS6_EEE10hipError_tPvRmT3_T4_T5_T6_T7_T9_mT8_P12ihipStream_tbDpT10_ENKUlT_T0_E_clISt17integral_constantIbLb1EES1C_EEDaS17_S18_EUlS17_E_NS1_11comp_targetILNS1_3genE8ELNS1_11target_archE1030ELNS1_3gpuE2ELNS1_3repE0EEENS1_30default_config_static_selectorELNS0_4arch9wavefront6targetE1EEEvT1_
    .private_segment_fixed_size: 0
    .sgpr_count:     4
    .sgpr_spill_count: 0
    .symbol:         _ZN7rocprim17ROCPRIM_400000_NS6detail17trampoline_kernelINS0_14default_configENS1_25partition_config_selectorILNS1_17partition_subalgoE8ElNS0_10empty_typeEbEEZZNS1_14partition_implILS5_8ELb0ES3_jPlPS6_PKS6_NS0_5tupleIJS9_S6_EEENSD_IJSA_SA_EEENS0_18inequality_wrapperIZN2at6native12_GLOBAL__N_124unique_dim_cuda_templateItEESt5tupleIJNSH_6TensorESM_SM_EERKSM_lbbbEUlllE0_EEPmJS6_EEE10hipError_tPvRmT3_T4_T5_T6_T7_T9_mT8_P12ihipStream_tbDpT10_ENKUlT_T0_E_clISt17integral_constantIbLb1EES1C_EEDaS17_S18_EUlS17_E_NS1_11comp_targetILNS1_3genE8ELNS1_11target_archE1030ELNS1_3gpuE2ELNS1_3repE0EEENS1_30default_config_static_selectorELNS0_4arch9wavefront6targetE1EEEvT1_.kd
    .uniform_work_group_size: 1
    .uses_dynamic_stack: false
    .vgpr_count:     0
    .vgpr_spill_count: 0
    .wavefront_size: 64
  - .agpr_count:     0
    .args:
      - .offset:         0
        .size:           120
        .value_kind:     by_value
    .group_segment_fixed_size: 0
    .kernarg_segment_align: 8
    .kernarg_segment_size: 120
    .language:       OpenCL C
    .language_version:
      - 2
      - 0
    .max_flat_workgroup_size: 512
    .name:           _ZN7rocprim17ROCPRIM_400000_NS6detail17trampoline_kernelINS0_14default_configENS1_25partition_config_selectorILNS1_17partition_subalgoE8ElNS0_10empty_typeEbEEZZNS1_14partition_implILS5_8ELb0ES3_jPlPS6_PKS6_NS0_5tupleIJS9_S6_EEENSD_IJSA_SA_EEENS0_18inequality_wrapperIZN2at6native12_GLOBAL__N_124unique_dim_cuda_templateItEESt5tupleIJNSH_6TensorESM_SM_EERKSM_lbbbEUlllE0_EEPmJS6_EEE10hipError_tPvRmT3_T4_T5_T6_T7_T9_mT8_P12ihipStream_tbDpT10_ENKUlT_T0_E_clISt17integral_constantIbLb1EES1B_IbLb0EEEEDaS17_S18_EUlS17_E_NS1_11comp_targetILNS1_3genE0ELNS1_11target_archE4294967295ELNS1_3gpuE0ELNS1_3repE0EEENS1_30default_config_static_selectorELNS0_4arch9wavefront6targetE1EEEvT1_
    .private_segment_fixed_size: 0
    .sgpr_count:     4
    .sgpr_spill_count: 0
    .symbol:         _ZN7rocprim17ROCPRIM_400000_NS6detail17trampoline_kernelINS0_14default_configENS1_25partition_config_selectorILNS1_17partition_subalgoE8ElNS0_10empty_typeEbEEZZNS1_14partition_implILS5_8ELb0ES3_jPlPS6_PKS6_NS0_5tupleIJS9_S6_EEENSD_IJSA_SA_EEENS0_18inequality_wrapperIZN2at6native12_GLOBAL__N_124unique_dim_cuda_templateItEESt5tupleIJNSH_6TensorESM_SM_EERKSM_lbbbEUlllE0_EEPmJS6_EEE10hipError_tPvRmT3_T4_T5_T6_T7_T9_mT8_P12ihipStream_tbDpT10_ENKUlT_T0_E_clISt17integral_constantIbLb1EES1B_IbLb0EEEEDaS17_S18_EUlS17_E_NS1_11comp_targetILNS1_3genE0ELNS1_11target_archE4294967295ELNS1_3gpuE0ELNS1_3repE0EEENS1_30default_config_static_selectorELNS0_4arch9wavefront6targetE1EEEvT1_.kd
    .uniform_work_group_size: 1
    .uses_dynamic_stack: false
    .vgpr_count:     0
    .vgpr_spill_count: 0
    .wavefront_size: 64
  - .agpr_count:     0
    .args:
      - .offset:         0
        .size:           120
        .value_kind:     by_value
    .group_segment_fixed_size: 0
    .kernarg_segment_align: 8
    .kernarg_segment_size: 120
    .language:       OpenCL C
    .language_version:
      - 2
      - 0
    .max_flat_workgroup_size: 512
    .name:           _ZN7rocprim17ROCPRIM_400000_NS6detail17trampoline_kernelINS0_14default_configENS1_25partition_config_selectorILNS1_17partition_subalgoE8ElNS0_10empty_typeEbEEZZNS1_14partition_implILS5_8ELb0ES3_jPlPS6_PKS6_NS0_5tupleIJS9_S6_EEENSD_IJSA_SA_EEENS0_18inequality_wrapperIZN2at6native12_GLOBAL__N_124unique_dim_cuda_templateItEESt5tupleIJNSH_6TensorESM_SM_EERKSM_lbbbEUlllE0_EEPmJS6_EEE10hipError_tPvRmT3_T4_T5_T6_T7_T9_mT8_P12ihipStream_tbDpT10_ENKUlT_T0_E_clISt17integral_constantIbLb1EES1B_IbLb0EEEEDaS17_S18_EUlS17_E_NS1_11comp_targetILNS1_3genE5ELNS1_11target_archE942ELNS1_3gpuE9ELNS1_3repE0EEENS1_30default_config_static_selectorELNS0_4arch9wavefront6targetE1EEEvT1_
    .private_segment_fixed_size: 0
    .sgpr_count:     4
    .sgpr_spill_count: 0
    .symbol:         _ZN7rocprim17ROCPRIM_400000_NS6detail17trampoline_kernelINS0_14default_configENS1_25partition_config_selectorILNS1_17partition_subalgoE8ElNS0_10empty_typeEbEEZZNS1_14partition_implILS5_8ELb0ES3_jPlPS6_PKS6_NS0_5tupleIJS9_S6_EEENSD_IJSA_SA_EEENS0_18inequality_wrapperIZN2at6native12_GLOBAL__N_124unique_dim_cuda_templateItEESt5tupleIJNSH_6TensorESM_SM_EERKSM_lbbbEUlllE0_EEPmJS6_EEE10hipError_tPvRmT3_T4_T5_T6_T7_T9_mT8_P12ihipStream_tbDpT10_ENKUlT_T0_E_clISt17integral_constantIbLb1EES1B_IbLb0EEEEDaS17_S18_EUlS17_E_NS1_11comp_targetILNS1_3genE5ELNS1_11target_archE942ELNS1_3gpuE9ELNS1_3repE0EEENS1_30default_config_static_selectorELNS0_4arch9wavefront6targetE1EEEvT1_.kd
    .uniform_work_group_size: 1
    .uses_dynamic_stack: false
    .vgpr_count:     0
    .vgpr_spill_count: 0
    .wavefront_size: 64
  - .agpr_count:     0
    .args:
      - .offset:         0
        .size:           120
        .value_kind:     by_value
    .group_segment_fixed_size: 10252
    .kernarg_segment_align: 8
    .kernarg_segment_size: 120
    .language:       OpenCL C
    .language_version:
      - 2
      - 0
    .max_flat_workgroup_size: 256
    .name:           _ZN7rocprim17ROCPRIM_400000_NS6detail17trampoline_kernelINS0_14default_configENS1_25partition_config_selectorILNS1_17partition_subalgoE8ElNS0_10empty_typeEbEEZZNS1_14partition_implILS5_8ELb0ES3_jPlPS6_PKS6_NS0_5tupleIJS9_S6_EEENSD_IJSA_SA_EEENS0_18inequality_wrapperIZN2at6native12_GLOBAL__N_124unique_dim_cuda_templateItEESt5tupleIJNSH_6TensorESM_SM_EERKSM_lbbbEUlllE0_EEPmJS6_EEE10hipError_tPvRmT3_T4_T5_T6_T7_T9_mT8_P12ihipStream_tbDpT10_ENKUlT_T0_E_clISt17integral_constantIbLb1EES1B_IbLb0EEEEDaS17_S18_EUlS17_E_NS1_11comp_targetILNS1_3genE4ELNS1_11target_archE910ELNS1_3gpuE8ELNS1_3repE0EEENS1_30default_config_static_selectorELNS0_4arch9wavefront6targetE1EEEvT1_
    .private_segment_fixed_size: 0
    .sgpr_count:     52
    .sgpr_spill_count: 0
    .symbol:         _ZN7rocprim17ROCPRIM_400000_NS6detail17trampoline_kernelINS0_14default_configENS1_25partition_config_selectorILNS1_17partition_subalgoE8ElNS0_10empty_typeEbEEZZNS1_14partition_implILS5_8ELb0ES3_jPlPS6_PKS6_NS0_5tupleIJS9_S6_EEENSD_IJSA_SA_EEENS0_18inequality_wrapperIZN2at6native12_GLOBAL__N_124unique_dim_cuda_templateItEESt5tupleIJNSH_6TensorESM_SM_EERKSM_lbbbEUlllE0_EEPmJS6_EEE10hipError_tPvRmT3_T4_T5_T6_T7_T9_mT8_P12ihipStream_tbDpT10_ENKUlT_T0_E_clISt17integral_constantIbLb1EES1B_IbLb0EEEEDaS17_S18_EUlS17_E_NS1_11comp_targetILNS1_3genE4ELNS1_11target_archE910ELNS1_3gpuE8ELNS1_3repE0EEENS1_30default_config_static_selectorELNS0_4arch9wavefront6targetE1EEEvT1_.kd
    .uniform_work_group_size: 1
    .uses_dynamic_stack: false
    .vgpr_count:     46
    .vgpr_spill_count: 0
    .wavefront_size: 64
  - .agpr_count:     0
    .args:
      - .offset:         0
        .size:           120
        .value_kind:     by_value
    .group_segment_fixed_size: 0
    .kernarg_segment_align: 8
    .kernarg_segment_size: 120
    .language:       OpenCL C
    .language_version:
      - 2
      - 0
    .max_flat_workgroup_size: 512
    .name:           _ZN7rocprim17ROCPRIM_400000_NS6detail17trampoline_kernelINS0_14default_configENS1_25partition_config_selectorILNS1_17partition_subalgoE8ElNS0_10empty_typeEbEEZZNS1_14partition_implILS5_8ELb0ES3_jPlPS6_PKS6_NS0_5tupleIJS9_S6_EEENSD_IJSA_SA_EEENS0_18inequality_wrapperIZN2at6native12_GLOBAL__N_124unique_dim_cuda_templateItEESt5tupleIJNSH_6TensorESM_SM_EERKSM_lbbbEUlllE0_EEPmJS6_EEE10hipError_tPvRmT3_T4_T5_T6_T7_T9_mT8_P12ihipStream_tbDpT10_ENKUlT_T0_E_clISt17integral_constantIbLb1EES1B_IbLb0EEEEDaS17_S18_EUlS17_E_NS1_11comp_targetILNS1_3genE3ELNS1_11target_archE908ELNS1_3gpuE7ELNS1_3repE0EEENS1_30default_config_static_selectorELNS0_4arch9wavefront6targetE1EEEvT1_
    .private_segment_fixed_size: 0
    .sgpr_count:     4
    .sgpr_spill_count: 0
    .symbol:         _ZN7rocprim17ROCPRIM_400000_NS6detail17trampoline_kernelINS0_14default_configENS1_25partition_config_selectorILNS1_17partition_subalgoE8ElNS0_10empty_typeEbEEZZNS1_14partition_implILS5_8ELb0ES3_jPlPS6_PKS6_NS0_5tupleIJS9_S6_EEENSD_IJSA_SA_EEENS0_18inequality_wrapperIZN2at6native12_GLOBAL__N_124unique_dim_cuda_templateItEESt5tupleIJNSH_6TensorESM_SM_EERKSM_lbbbEUlllE0_EEPmJS6_EEE10hipError_tPvRmT3_T4_T5_T6_T7_T9_mT8_P12ihipStream_tbDpT10_ENKUlT_T0_E_clISt17integral_constantIbLb1EES1B_IbLb0EEEEDaS17_S18_EUlS17_E_NS1_11comp_targetILNS1_3genE3ELNS1_11target_archE908ELNS1_3gpuE7ELNS1_3repE0EEENS1_30default_config_static_selectorELNS0_4arch9wavefront6targetE1EEEvT1_.kd
    .uniform_work_group_size: 1
    .uses_dynamic_stack: false
    .vgpr_count:     0
    .vgpr_spill_count: 0
    .wavefront_size: 64
  - .agpr_count:     0
    .args:
      - .offset:         0
        .size:           120
        .value_kind:     by_value
    .group_segment_fixed_size: 0
    .kernarg_segment_align: 8
    .kernarg_segment_size: 120
    .language:       OpenCL C
    .language_version:
      - 2
      - 0
    .max_flat_workgroup_size: 256
    .name:           _ZN7rocprim17ROCPRIM_400000_NS6detail17trampoline_kernelINS0_14default_configENS1_25partition_config_selectorILNS1_17partition_subalgoE8ElNS0_10empty_typeEbEEZZNS1_14partition_implILS5_8ELb0ES3_jPlPS6_PKS6_NS0_5tupleIJS9_S6_EEENSD_IJSA_SA_EEENS0_18inequality_wrapperIZN2at6native12_GLOBAL__N_124unique_dim_cuda_templateItEESt5tupleIJNSH_6TensorESM_SM_EERKSM_lbbbEUlllE0_EEPmJS6_EEE10hipError_tPvRmT3_T4_T5_T6_T7_T9_mT8_P12ihipStream_tbDpT10_ENKUlT_T0_E_clISt17integral_constantIbLb1EES1B_IbLb0EEEEDaS17_S18_EUlS17_E_NS1_11comp_targetILNS1_3genE2ELNS1_11target_archE906ELNS1_3gpuE6ELNS1_3repE0EEENS1_30default_config_static_selectorELNS0_4arch9wavefront6targetE1EEEvT1_
    .private_segment_fixed_size: 0
    .sgpr_count:     4
    .sgpr_spill_count: 0
    .symbol:         _ZN7rocprim17ROCPRIM_400000_NS6detail17trampoline_kernelINS0_14default_configENS1_25partition_config_selectorILNS1_17partition_subalgoE8ElNS0_10empty_typeEbEEZZNS1_14partition_implILS5_8ELb0ES3_jPlPS6_PKS6_NS0_5tupleIJS9_S6_EEENSD_IJSA_SA_EEENS0_18inequality_wrapperIZN2at6native12_GLOBAL__N_124unique_dim_cuda_templateItEESt5tupleIJNSH_6TensorESM_SM_EERKSM_lbbbEUlllE0_EEPmJS6_EEE10hipError_tPvRmT3_T4_T5_T6_T7_T9_mT8_P12ihipStream_tbDpT10_ENKUlT_T0_E_clISt17integral_constantIbLb1EES1B_IbLb0EEEEDaS17_S18_EUlS17_E_NS1_11comp_targetILNS1_3genE2ELNS1_11target_archE906ELNS1_3gpuE6ELNS1_3repE0EEENS1_30default_config_static_selectorELNS0_4arch9wavefront6targetE1EEEvT1_.kd
    .uniform_work_group_size: 1
    .uses_dynamic_stack: false
    .vgpr_count:     0
    .vgpr_spill_count: 0
    .wavefront_size: 64
  - .agpr_count:     0
    .args:
      - .offset:         0
        .size:           120
        .value_kind:     by_value
    .group_segment_fixed_size: 0
    .kernarg_segment_align: 8
    .kernarg_segment_size: 120
    .language:       OpenCL C
    .language_version:
      - 2
      - 0
    .max_flat_workgroup_size: 384
    .name:           _ZN7rocprim17ROCPRIM_400000_NS6detail17trampoline_kernelINS0_14default_configENS1_25partition_config_selectorILNS1_17partition_subalgoE8ElNS0_10empty_typeEbEEZZNS1_14partition_implILS5_8ELb0ES3_jPlPS6_PKS6_NS0_5tupleIJS9_S6_EEENSD_IJSA_SA_EEENS0_18inequality_wrapperIZN2at6native12_GLOBAL__N_124unique_dim_cuda_templateItEESt5tupleIJNSH_6TensorESM_SM_EERKSM_lbbbEUlllE0_EEPmJS6_EEE10hipError_tPvRmT3_T4_T5_T6_T7_T9_mT8_P12ihipStream_tbDpT10_ENKUlT_T0_E_clISt17integral_constantIbLb1EES1B_IbLb0EEEEDaS17_S18_EUlS17_E_NS1_11comp_targetILNS1_3genE10ELNS1_11target_archE1200ELNS1_3gpuE4ELNS1_3repE0EEENS1_30default_config_static_selectorELNS0_4arch9wavefront6targetE1EEEvT1_
    .private_segment_fixed_size: 0
    .sgpr_count:     4
    .sgpr_spill_count: 0
    .symbol:         _ZN7rocprim17ROCPRIM_400000_NS6detail17trampoline_kernelINS0_14default_configENS1_25partition_config_selectorILNS1_17partition_subalgoE8ElNS0_10empty_typeEbEEZZNS1_14partition_implILS5_8ELb0ES3_jPlPS6_PKS6_NS0_5tupleIJS9_S6_EEENSD_IJSA_SA_EEENS0_18inequality_wrapperIZN2at6native12_GLOBAL__N_124unique_dim_cuda_templateItEESt5tupleIJNSH_6TensorESM_SM_EERKSM_lbbbEUlllE0_EEPmJS6_EEE10hipError_tPvRmT3_T4_T5_T6_T7_T9_mT8_P12ihipStream_tbDpT10_ENKUlT_T0_E_clISt17integral_constantIbLb1EES1B_IbLb0EEEEDaS17_S18_EUlS17_E_NS1_11comp_targetILNS1_3genE10ELNS1_11target_archE1200ELNS1_3gpuE4ELNS1_3repE0EEENS1_30default_config_static_selectorELNS0_4arch9wavefront6targetE1EEEvT1_.kd
    .uniform_work_group_size: 1
    .uses_dynamic_stack: false
    .vgpr_count:     0
    .vgpr_spill_count: 0
    .wavefront_size: 64
  - .agpr_count:     0
    .args:
      - .offset:         0
        .size:           120
        .value_kind:     by_value
    .group_segment_fixed_size: 0
    .kernarg_segment_align: 8
    .kernarg_segment_size: 120
    .language:       OpenCL C
    .language_version:
      - 2
      - 0
    .max_flat_workgroup_size: 512
    .name:           _ZN7rocprim17ROCPRIM_400000_NS6detail17trampoline_kernelINS0_14default_configENS1_25partition_config_selectorILNS1_17partition_subalgoE8ElNS0_10empty_typeEbEEZZNS1_14partition_implILS5_8ELb0ES3_jPlPS6_PKS6_NS0_5tupleIJS9_S6_EEENSD_IJSA_SA_EEENS0_18inequality_wrapperIZN2at6native12_GLOBAL__N_124unique_dim_cuda_templateItEESt5tupleIJNSH_6TensorESM_SM_EERKSM_lbbbEUlllE0_EEPmJS6_EEE10hipError_tPvRmT3_T4_T5_T6_T7_T9_mT8_P12ihipStream_tbDpT10_ENKUlT_T0_E_clISt17integral_constantIbLb1EES1B_IbLb0EEEEDaS17_S18_EUlS17_E_NS1_11comp_targetILNS1_3genE9ELNS1_11target_archE1100ELNS1_3gpuE3ELNS1_3repE0EEENS1_30default_config_static_selectorELNS0_4arch9wavefront6targetE1EEEvT1_
    .private_segment_fixed_size: 0
    .sgpr_count:     4
    .sgpr_spill_count: 0
    .symbol:         _ZN7rocprim17ROCPRIM_400000_NS6detail17trampoline_kernelINS0_14default_configENS1_25partition_config_selectorILNS1_17partition_subalgoE8ElNS0_10empty_typeEbEEZZNS1_14partition_implILS5_8ELb0ES3_jPlPS6_PKS6_NS0_5tupleIJS9_S6_EEENSD_IJSA_SA_EEENS0_18inequality_wrapperIZN2at6native12_GLOBAL__N_124unique_dim_cuda_templateItEESt5tupleIJNSH_6TensorESM_SM_EERKSM_lbbbEUlllE0_EEPmJS6_EEE10hipError_tPvRmT3_T4_T5_T6_T7_T9_mT8_P12ihipStream_tbDpT10_ENKUlT_T0_E_clISt17integral_constantIbLb1EES1B_IbLb0EEEEDaS17_S18_EUlS17_E_NS1_11comp_targetILNS1_3genE9ELNS1_11target_archE1100ELNS1_3gpuE3ELNS1_3repE0EEENS1_30default_config_static_selectorELNS0_4arch9wavefront6targetE1EEEvT1_.kd
    .uniform_work_group_size: 1
    .uses_dynamic_stack: false
    .vgpr_count:     0
    .vgpr_spill_count: 0
    .wavefront_size: 64
  - .agpr_count:     0
    .args:
      - .offset:         0
        .size:           120
        .value_kind:     by_value
    .group_segment_fixed_size: 0
    .kernarg_segment_align: 8
    .kernarg_segment_size: 120
    .language:       OpenCL C
    .language_version:
      - 2
      - 0
    .max_flat_workgroup_size: 512
    .name:           _ZN7rocprim17ROCPRIM_400000_NS6detail17trampoline_kernelINS0_14default_configENS1_25partition_config_selectorILNS1_17partition_subalgoE8ElNS0_10empty_typeEbEEZZNS1_14partition_implILS5_8ELb0ES3_jPlPS6_PKS6_NS0_5tupleIJS9_S6_EEENSD_IJSA_SA_EEENS0_18inequality_wrapperIZN2at6native12_GLOBAL__N_124unique_dim_cuda_templateItEESt5tupleIJNSH_6TensorESM_SM_EERKSM_lbbbEUlllE0_EEPmJS6_EEE10hipError_tPvRmT3_T4_T5_T6_T7_T9_mT8_P12ihipStream_tbDpT10_ENKUlT_T0_E_clISt17integral_constantIbLb1EES1B_IbLb0EEEEDaS17_S18_EUlS17_E_NS1_11comp_targetILNS1_3genE8ELNS1_11target_archE1030ELNS1_3gpuE2ELNS1_3repE0EEENS1_30default_config_static_selectorELNS0_4arch9wavefront6targetE1EEEvT1_
    .private_segment_fixed_size: 0
    .sgpr_count:     4
    .sgpr_spill_count: 0
    .symbol:         _ZN7rocprim17ROCPRIM_400000_NS6detail17trampoline_kernelINS0_14default_configENS1_25partition_config_selectorILNS1_17partition_subalgoE8ElNS0_10empty_typeEbEEZZNS1_14partition_implILS5_8ELb0ES3_jPlPS6_PKS6_NS0_5tupleIJS9_S6_EEENSD_IJSA_SA_EEENS0_18inequality_wrapperIZN2at6native12_GLOBAL__N_124unique_dim_cuda_templateItEESt5tupleIJNSH_6TensorESM_SM_EERKSM_lbbbEUlllE0_EEPmJS6_EEE10hipError_tPvRmT3_T4_T5_T6_T7_T9_mT8_P12ihipStream_tbDpT10_ENKUlT_T0_E_clISt17integral_constantIbLb1EES1B_IbLb0EEEEDaS17_S18_EUlS17_E_NS1_11comp_targetILNS1_3genE8ELNS1_11target_archE1030ELNS1_3gpuE2ELNS1_3repE0EEENS1_30default_config_static_selectorELNS0_4arch9wavefront6targetE1EEEvT1_.kd
    .uniform_work_group_size: 1
    .uses_dynamic_stack: false
    .vgpr_count:     0
    .vgpr_spill_count: 0
    .wavefront_size: 64
  - .agpr_count:     0
    .args:
      - .offset:         0
        .size:           136
        .value_kind:     by_value
    .group_segment_fixed_size: 0
    .kernarg_segment_align: 8
    .kernarg_segment_size: 136
    .language:       OpenCL C
    .language_version:
      - 2
      - 0
    .max_flat_workgroup_size: 512
    .name:           _ZN7rocprim17ROCPRIM_400000_NS6detail17trampoline_kernelINS0_14default_configENS1_25partition_config_selectorILNS1_17partition_subalgoE8ElNS0_10empty_typeEbEEZZNS1_14partition_implILS5_8ELb0ES3_jPlPS6_PKS6_NS0_5tupleIJS9_S6_EEENSD_IJSA_SA_EEENS0_18inequality_wrapperIZN2at6native12_GLOBAL__N_124unique_dim_cuda_templateItEESt5tupleIJNSH_6TensorESM_SM_EERKSM_lbbbEUlllE0_EEPmJS6_EEE10hipError_tPvRmT3_T4_T5_T6_T7_T9_mT8_P12ihipStream_tbDpT10_ENKUlT_T0_E_clISt17integral_constantIbLb0EES1B_IbLb1EEEEDaS17_S18_EUlS17_E_NS1_11comp_targetILNS1_3genE0ELNS1_11target_archE4294967295ELNS1_3gpuE0ELNS1_3repE0EEENS1_30default_config_static_selectorELNS0_4arch9wavefront6targetE1EEEvT1_
    .private_segment_fixed_size: 0
    .sgpr_count:     4
    .sgpr_spill_count: 0
    .symbol:         _ZN7rocprim17ROCPRIM_400000_NS6detail17trampoline_kernelINS0_14default_configENS1_25partition_config_selectorILNS1_17partition_subalgoE8ElNS0_10empty_typeEbEEZZNS1_14partition_implILS5_8ELb0ES3_jPlPS6_PKS6_NS0_5tupleIJS9_S6_EEENSD_IJSA_SA_EEENS0_18inequality_wrapperIZN2at6native12_GLOBAL__N_124unique_dim_cuda_templateItEESt5tupleIJNSH_6TensorESM_SM_EERKSM_lbbbEUlllE0_EEPmJS6_EEE10hipError_tPvRmT3_T4_T5_T6_T7_T9_mT8_P12ihipStream_tbDpT10_ENKUlT_T0_E_clISt17integral_constantIbLb0EES1B_IbLb1EEEEDaS17_S18_EUlS17_E_NS1_11comp_targetILNS1_3genE0ELNS1_11target_archE4294967295ELNS1_3gpuE0ELNS1_3repE0EEENS1_30default_config_static_selectorELNS0_4arch9wavefront6targetE1EEEvT1_.kd
    .uniform_work_group_size: 1
    .uses_dynamic_stack: false
    .vgpr_count:     0
    .vgpr_spill_count: 0
    .wavefront_size: 64
  - .agpr_count:     0
    .args:
      - .offset:         0
        .size:           136
        .value_kind:     by_value
    .group_segment_fixed_size: 0
    .kernarg_segment_align: 8
    .kernarg_segment_size: 136
    .language:       OpenCL C
    .language_version:
      - 2
      - 0
    .max_flat_workgroup_size: 512
    .name:           _ZN7rocprim17ROCPRIM_400000_NS6detail17trampoline_kernelINS0_14default_configENS1_25partition_config_selectorILNS1_17partition_subalgoE8ElNS0_10empty_typeEbEEZZNS1_14partition_implILS5_8ELb0ES3_jPlPS6_PKS6_NS0_5tupleIJS9_S6_EEENSD_IJSA_SA_EEENS0_18inequality_wrapperIZN2at6native12_GLOBAL__N_124unique_dim_cuda_templateItEESt5tupleIJNSH_6TensorESM_SM_EERKSM_lbbbEUlllE0_EEPmJS6_EEE10hipError_tPvRmT3_T4_T5_T6_T7_T9_mT8_P12ihipStream_tbDpT10_ENKUlT_T0_E_clISt17integral_constantIbLb0EES1B_IbLb1EEEEDaS17_S18_EUlS17_E_NS1_11comp_targetILNS1_3genE5ELNS1_11target_archE942ELNS1_3gpuE9ELNS1_3repE0EEENS1_30default_config_static_selectorELNS0_4arch9wavefront6targetE1EEEvT1_
    .private_segment_fixed_size: 0
    .sgpr_count:     4
    .sgpr_spill_count: 0
    .symbol:         _ZN7rocprim17ROCPRIM_400000_NS6detail17trampoline_kernelINS0_14default_configENS1_25partition_config_selectorILNS1_17partition_subalgoE8ElNS0_10empty_typeEbEEZZNS1_14partition_implILS5_8ELb0ES3_jPlPS6_PKS6_NS0_5tupleIJS9_S6_EEENSD_IJSA_SA_EEENS0_18inequality_wrapperIZN2at6native12_GLOBAL__N_124unique_dim_cuda_templateItEESt5tupleIJNSH_6TensorESM_SM_EERKSM_lbbbEUlllE0_EEPmJS6_EEE10hipError_tPvRmT3_T4_T5_T6_T7_T9_mT8_P12ihipStream_tbDpT10_ENKUlT_T0_E_clISt17integral_constantIbLb0EES1B_IbLb1EEEEDaS17_S18_EUlS17_E_NS1_11comp_targetILNS1_3genE5ELNS1_11target_archE942ELNS1_3gpuE9ELNS1_3repE0EEENS1_30default_config_static_selectorELNS0_4arch9wavefront6targetE1EEEvT1_.kd
    .uniform_work_group_size: 1
    .uses_dynamic_stack: false
    .vgpr_count:     0
    .vgpr_spill_count: 0
    .wavefront_size: 64
  - .agpr_count:     0
    .args:
      - .offset:         0
        .size:           136
        .value_kind:     by_value
    .group_segment_fixed_size: 10252
    .kernarg_segment_align: 8
    .kernarg_segment_size: 136
    .language:       OpenCL C
    .language_version:
      - 2
      - 0
    .max_flat_workgroup_size: 256
    .name:           _ZN7rocprim17ROCPRIM_400000_NS6detail17trampoline_kernelINS0_14default_configENS1_25partition_config_selectorILNS1_17partition_subalgoE8ElNS0_10empty_typeEbEEZZNS1_14partition_implILS5_8ELb0ES3_jPlPS6_PKS6_NS0_5tupleIJS9_S6_EEENSD_IJSA_SA_EEENS0_18inequality_wrapperIZN2at6native12_GLOBAL__N_124unique_dim_cuda_templateItEESt5tupleIJNSH_6TensorESM_SM_EERKSM_lbbbEUlllE0_EEPmJS6_EEE10hipError_tPvRmT3_T4_T5_T6_T7_T9_mT8_P12ihipStream_tbDpT10_ENKUlT_T0_E_clISt17integral_constantIbLb0EES1B_IbLb1EEEEDaS17_S18_EUlS17_E_NS1_11comp_targetILNS1_3genE4ELNS1_11target_archE910ELNS1_3gpuE8ELNS1_3repE0EEENS1_30default_config_static_selectorELNS0_4arch9wavefront6targetE1EEEvT1_
    .private_segment_fixed_size: 0
    .sgpr_count:     56
    .sgpr_spill_count: 0
    .symbol:         _ZN7rocprim17ROCPRIM_400000_NS6detail17trampoline_kernelINS0_14default_configENS1_25partition_config_selectorILNS1_17partition_subalgoE8ElNS0_10empty_typeEbEEZZNS1_14partition_implILS5_8ELb0ES3_jPlPS6_PKS6_NS0_5tupleIJS9_S6_EEENSD_IJSA_SA_EEENS0_18inequality_wrapperIZN2at6native12_GLOBAL__N_124unique_dim_cuda_templateItEESt5tupleIJNSH_6TensorESM_SM_EERKSM_lbbbEUlllE0_EEPmJS6_EEE10hipError_tPvRmT3_T4_T5_T6_T7_T9_mT8_P12ihipStream_tbDpT10_ENKUlT_T0_E_clISt17integral_constantIbLb0EES1B_IbLb1EEEEDaS17_S18_EUlS17_E_NS1_11comp_targetILNS1_3genE4ELNS1_11target_archE910ELNS1_3gpuE8ELNS1_3repE0EEENS1_30default_config_static_selectorELNS0_4arch9wavefront6targetE1EEEvT1_.kd
    .uniform_work_group_size: 1
    .uses_dynamic_stack: false
    .vgpr_count:     46
    .vgpr_spill_count: 0
    .wavefront_size: 64
  - .agpr_count:     0
    .args:
      - .offset:         0
        .size:           136
        .value_kind:     by_value
    .group_segment_fixed_size: 0
    .kernarg_segment_align: 8
    .kernarg_segment_size: 136
    .language:       OpenCL C
    .language_version:
      - 2
      - 0
    .max_flat_workgroup_size: 512
    .name:           _ZN7rocprim17ROCPRIM_400000_NS6detail17trampoline_kernelINS0_14default_configENS1_25partition_config_selectorILNS1_17partition_subalgoE8ElNS0_10empty_typeEbEEZZNS1_14partition_implILS5_8ELb0ES3_jPlPS6_PKS6_NS0_5tupleIJS9_S6_EEENSD_IJSA_SA_EEENS0_18inequality_wrapperIZN2at6native12_GLOBAL__N_124unique_dim_cuda_templateItEESt5tupleIJNSH_6TensorESM_SM_EERKSM_lbbbEUlllE0_EEPmJS6_EEE10hipError_tPvRmT3_T4_T5_T6_T7_T9_mT8_P12ihipStream_tbDpT10_ENKUlT_T0_E_clISt17integral_constantIbLb0EES1B_IbLb1EEEEDaS17_S18_EUlS17_E_NS1_11comp_targetILNS1_3genE3ELNS1_11target_archE908ELNS1_3gpuE7ELNS1_3repE0EEENS1_30default_config_static_selectorELNS0_4arch9wavefront6targetE1EEEvT1_
    .private_segment_fixed_size: 0
    .sgpr_count:     4
    .sgpr_spill_count: 0
    .symbol:         _ZN7rocprim17ROCPRIM_400000_NS6detail17trampoline_kernelINS0_14default_configENS1_25partition_config_selectorILNS1_17partition_subalgoE8ElNS0_10empty_typeEbEEZZNS1_14partition_implILS5_8ELb0ES3_jPlPS6_PKS6_NS0_5tupleIJS9_S6_EEENSD_IJSA_SA_EEENS0_18inequality_wrapperIZN2at6native12_GLOBAL__N_124unique_dim_cuda_templateItEESt5tupleIJNSH_6TensorESM_SM_EERKSM_lbbbEUlllE0_EEPmJS6_EEE10hipError_tPvRmT3_T4_T5_T6_T7_T9_mT8_P12ihipStream_tbDpT10_ENKUlT_T0_E_clISt17integral_constantIbLb0EES1B_IbLb1EEEEDaS17_S18_EUlS17_E_NS1_11comp_targetILNS1_3genE3ELNS1_11target_archE908ELNS1_3gpuE7ELNS1_3repE0EEENS1_30default_config_static_selectorELNS0_4arch9wavefront6targetE1EEEvT1_.kd
    .uniform_work_group_size: 1
    .uses_dynamic_stack: false
    .vgpr_count:     0
    .vgpr_spill_count: 0
    .wavefront_size: 64
  - .agpr_count:     0
    .args:
      - .offset:         0
        .size:           136
        .value_kind:     by_value
    .group_segment_fixed_size: 0
    .kernarg_segment_align: 8
    .kernarg_segment_size: 136
    .language:       OpenCL C
    .language_version:
      - 2
      - 0
    .max_flat_workgroup_size: 256
    .name:           _ZN7rocprim17ROCPRIM_400000_NS6detail17trampoline_kernelINS0_14default_configENS1_25partition_config_selectorILNS1_17partition_subalgoE8ElNS0_10empty_typeEbEEZZNS1_14partition_implILS5_8ELb0ES3_jPlPS6_PKS6_NS0_5tupleIJS9_S6_EEENSD_IJSA_SA_EEENS0_18inequality_wrapperIZN2at6native12_GLOBAL__N_124unique_dim_cuda_templateItEESt5tupleIJNSH_6TensorESM_SM_EERKSM_lbbbEUlllE0_EEPmJS6_EEE10hipError_tPvRmT3_T4_T5_T6_T7_T9_mT8_P12ihipStream_tbDpT10_ENKUlT_T0_E_clISt17integral_constantIbLb0EES1B_IbLb1EEEEDaS17_S18_EUlS17_E_NS1_11comp_targetILNS1_3genE2ELNS1_11target_archE906ELNS1_3gpuE6ELNS1_3repE0EEENS1_30default_config_static_selectorELNS0_4arch9wavefront6targetE1EEEvT1_
    .private_segment_fixed_size: 0
    .sgpr_count:     4
    .sgpr_spill_count: 0
    .symbol:         _ZN7rocprim17ROCPRIM_400000_NS6detail17trampoline_kernelINS0_14default_configENS1_25partition_config_selectorILNS1_17partition_subalgoE8ElNS0_10empty_typeEbEEZZNS1_14partition_implILS5_8ELb0ES3_jPlPS6_PKS6_NS0_5tupleIJS9_S6_EEENSD_IJSA_SA_EEENS0_18inequality_wrapperIZN2at6native12_GLOBAL__N_124unique_dim_cuda_templateItEESt5tupleIJNSH_6TensorESM_SM_EERKSM_lbbbEUlllE0_EEPmJS6_EEE10hipError_tPvRmT3_T4_T5_T6_T7_T9_mT8_P12ihipStream_tbDpT10_ENKUlT_T0_E_clISt17integral_constantIbLb0EES1B_IbLb1EEEEDaS17_S18_EUlS17_E_NS1_11comp_targetILNS1_3genE2ELNS1_11target_archE906ELNS1_3gpuE6ELNS1_3repE0EEENS1_30default_config_static_selectorELNS0_4arch9wavefront6targetE1EEEvT1_.kd
    .uniform_work_group_size: 1
    .uses_dynamic_stack: false
    .vgpr_count:     0
    .vgpr_spill_count: 0
    .wavefront_size: 64
  - .agpr_count:     0
    .args:
      - .offset:         0
        .size:           136
        .value_kind:     by_value
    .group_segment_fixed_size: 0
    .kernarg_segment_align: 8
    .kernarg_segment_size: 136
    .language:       OpenCL C
    .language_version:
      - 2
      - 0
    .max_flat_workgroup_size: 384
    .name:           _ZN7rocprim17ROCPRIM_400000_NS6detail17trampoline_kernelINS0_14default_configENS1_25partition_config_selectorILNS1_17partition_subalgoE8ElNS0_10empty_typeEbEEZZNS1_14partition_implILS5_8ELb0ES3_jPlPS6_PKS6_NS0_5tupleIJS9_S6_EEENSD_IJSA_SA_EEENS0_18inequality_wrapperIZN2at6native12_GLOBAL__N_124unique_dim_cuda_templateItEESt5tupleIJNSH_6TensorESM_SM_EERKSM_lbbbEUlllE0_EEPmJS6_EEE10hipError_tPvRmT3_T4_T5_T6_T7_T9_mT8_P12ihipStream_tbDpT10_ENKUlT_T0_E_clISt17integral_constantIbLb0EES1B_IbLb1EEEEDaS17_S18_EUlS17_E_NS1_11comp_targetILNS1_3genE10ELNS1_11target_archE1200ELNS1_3gpuE4ELNS1_3repE0EEENS1_30default_config_static_selectorELNS0_4arch9wavefront6targetE1EEEvT1_
    .private_segment_fixed_size: 0
    .sgpr_count:     4
    .sgpr_spill_count: 0
    .symbol:         _ZN7rocprim17ROCPRIM_400000_NS6detail17trampoline_kernelINS0_14default_configENS1_25partition_config_selectorILNS1_17partition_subalgoE8ElNS0_10empty_typeEbEEZZNS1_14partition_implILS5_8ELb0ES3_jPlPS6_PKS6_NS0_5tupleIJS9_S6_EEENSD_IJSA_SA_EEENS0_18inequality_wrapperIZN2at6native12_GLOBAL__N_124unique_dim_cuda_templateItEESt5tupleIJNSH_6TensorESM_SM_EERKSM_lbbbEUlllE0_EEPmJS6_EEE10hipError_tPvRmT3_T4_T5_T6_T7_T9_mT8_P12ihipStream_tbDpT10_ENKUlT_T0_E_clISt17integral_constantIbLb0EES1B_IbLb1EEEEDaS17_S18_EUlS17_E_NS1_11comp_targetILNS1_3genE10ELNS1_11target_archE1200ELNS1_3gpuE4ELNS1_3repE0EEENS1_30default_config_static_selectorELNS0_4arch9wavefront6targetE1EEEvT1_.kd
    .uniform_work_group_size: 1
    .uses_dynamic_stack: false
    .vgpr_count:     0
    .vgpr_spill_count: 0
    .wavefront_size: 64
  - .agpr_count:     0
    .args:
      - .offset:         0
        .size:           136
        .value_kind:     by_value
    .group_segment_fixed_size: 0
    .kernarg_segment_align: 8
    .kernarg_segment_size: 136
    .language:       OpenCL C
    .language_version:
      - 2
      - 0
    .max_flat_workgroup_size: 512
    .name:           _ZN7rocprim17ROCPRIM_400000_NS6detail17trampoline_kernelINS0_14default_configENS1_25partition_config_selectorILNS1_17partition_subalgoE8ElNS0_10empty_typeEbEEZZNS1_14partition_implILS5_8ELb0ES3_jPlPS6_PKS6_NS0_5tupleIJS9_S6_EEENSD_IJSA_SA_EEENS0_18inequality_wrapperIZN2at6native12_GLOBAL__N_124unique_dim_cuda_templateItEESt5tupleIJNSH_6TensorESM_SM_EERKSM_lbbbEUlllE0_EEPmJS6_EEE10hipError_tPvRmT3_T4_T5_T6_T7_T9_mT8_P12ihipStream_tbDpT10_ENKUlT_T0_E_clISt17integral_constantIbLb0EES1B_IbLb1EEEEDaS17_S18_EUlS17_E_NS1_11comp_targetILNS1_3genE9ELNS1_11target_archE1100ELNS1_3gpuE3ELNS1_3repE0EEENS1_30default_config_static_selectorELNS0_4arch9wavefront6targetE1EEEvT1_
    .private_segment_fixed_size: 0
    .sgpr_count:     4
    .sgpr_spill_count: 0
    .symbol:         _ZN7rocprim17ROCPRIM_400000_NS6detail17trampoline_kernelINS0_14default_configENS1_25partition_config_selectorILNS1_17partition_subalgoE8ElNS0_10empty_typeEbEEZZNS1_14partition_implILS5_8ELb0ES3_jPlPS6_PKS6_NS0_5tupleIJS9_S6_EEENSD_IJSA_SA_EEENS0_18inequality_wrapperIZN2at6native12_GLOBAL__N_124unique_dim_cuda_templateItEESt5tupleIJNSH_6TensorESM_SM_EERKSM_lbbbEUlllE0_EEPmJS6_EEE10hipError_tPvRmT3_T4_T5_T6_T7_T9_mT8_P12ihipStream_tbDpT10_ENKUlT_T0_E_clISt17integral_constantIbLb0EES1B_IbLb1EEEEDaS17_S18_EUlS17_E_NS1_11comp_targetILNS1_3genE9ELNS1_11target_archE1100ELNS1_3gpuE3ELNS1_3repE0EEENS1_30default_config_static_selectorELNS0_4arch9wavefront6targetE1EEEvT1_.kd
    .uniform_work_group_size: 1
    .uses_dynamic_stack: false
    .vgpr_count:     0
    .vgpr_spill_count: 0
    .wavefront_size: 64
  - .agpr_count:     0
    .args:
      - .offset:         0
        .size:           136
        .value_kind:     by_value
    .group_segment_fixed_size: 0
    .kernarg_segment_align: 8
    .kernarg_segment_size: 136
    .language:       OpenCL C
    .language_version:
      - 2
      - 0
    .max_flat_workgroup_size: 512
    .name:           _ZN7rocprim17ROCPRIM_400000_NS6detail17trampoline_kernelINS0_14default_configENS1_25partition_config_selectorILNS1_17partition_subalgoE8ElNS0_10empty_typeEbEEZZNS1_14partition_implILS5_8ELb0ES3_jPlPS6_PKS6_NS0_5tupleIJS9_S6_EEENSD_IJSA_SA_EEENS0_18inequality_wrapperIZN2at6native12_GLOBAL__N_124unique_dim_cuda_templateItEESt5tupleIJNSH_6TensorESM_SM_EERKSM_lbbbEUlllE0_EEPmJS6_EEE10hipError_tPvRmT3_T4_T5_T6_T7_T9_mT8_P12ihipStream_tbDpT10_ENKUlT_T0_E_clISt17integral_constantIbLb0EES1B_IbLb1EEEEDaS17_S18_EUlS17_E_NS1_11comp_targetILNS1_3genE8ELNS1_11target_archE1030ELNS1_3gpuE2ELNS1_3repE0EEENS1_30default_config_static_selectorELNS0_4arch9wavefront6targetE1EEEvT1_
    .private_segment_fixed_size: 0
    .sgpr_count:     4
    .sgpr_spill_count: 0
    .symbol:         _ZN7rocprim17ROCPRIM_400000_NS6detail17trampoline_kernelINS0_14default_configENS1_25partition_config_selectorILNS1_17partition_subalgoE8ElNS0_10empty_typeEbEEZZNS1_14partition_implILS5_8ELb0ES3_jPlPS6_PKS6_NS0_5tupleIJS9_S6_EEENSD_IJSA_SA_EEENS0_18inequality_wrapperIZN2at6native12_GLOBAL__N_124unique_dim_cuda_templateItEESt5tupleIJNSH_6TensorESM_SM_EERKSM_lbbbEUlllE0_EEPmJS6_EEE10hipError_tPvRmT3_T4_T5_T6_T7_T9_mT8_P12ihipStream_tbDpT10_ENKUlT_T0_E_clISt17integral_constantIbLb0EES1B_IbLb1EEEEDaS17_S18_EUlS17_E_NS1_11comp_targetILNS1_3genE8ELNS1_11target_archE1030ELNS1_3gpuE2ELNS1_3repE0EEENS1_30default_config_static_selectorELNS0_4arch9wavefront6targetE1EEEvT1_.kd
    .uniform_work_group_size: 1
    .uses_dynamic_stack: false
    .vgpr_count:     0
    .vgpr_spill_count: 0
    .wavefront_size: 64
  - .agpr_count:     0
    .args:
      - .offset:         0
        .size:           120
        .value_kind:     by_value
    .group_segment_fixed_size: 0
    .kernarg_segment_align: 8
    .kernarg_segment_size: 120
    .language:       OpenCL C
    .language_version:
      - 2
      - 0
    .max_flat_workgroup_size: 128
    .name:           _ZN7rocprim17ROCPRIM_400000_NS6detail17trampoline_kernelINS0_14default_configENS1_25partition_config_selectorILNS1_17partition_subalgoE9EllbEEZZNS1_14partition_implILS5_9ELb0ES3_jPlS8_PNS0_10empty_typeENS0_5tupleIJS8_S9_EEENSB_IJS8_SA_EEENS0_18inequality_wrapperIZN2at6native12_GLOBAL__N_124unique_dim_cuda_templateItEESt5tupleIJNSF_6TensorESK_SK_EERKSK_lbbbEUlllE0_EEPmJS9_EEE10hipError_tPvRmT3_T4_T5_T6_T7_T9_mT8_P12ihipStream_tbDpT10_ENKUlT_T0_E_clISt17integral_constantIbLb0EES1A_EEDaS15_S16_EUlS15_E_NS1_11comp_targetILNS1_3genE0ELNS1_11target_archE4294967295ELNS1_3gpuE0ELNS1_3repE0EEENS1_30default_config_static_selectorELNS0_4arch9wavefront6targetE1EEEvT1_
    .private_segment_fixed_size: 0
    .sgpr_count:     4
    .sgpr_spill_count: 0
    .symbol:         _ZN7rocprim17ROCPRIM_400000_NS6detail17trampoline_kernelINS0_14default_configENS1_25partition_config_selectorILNS1_17partition_subalgoE9EllbEEZZNS1_14partition_implILS5_9ELb0ES3_jPlS8_PNS0_10empty_typeENS0_5tupleIJS8_S9_EEENSB_IJS8_SA_EEENS0_18inequality_wrapperIZN2at6native12_GLOBAL__N_124unique_dim_cuda_templateItEESt5tupleIJNSF_6TensorESK_SK_EERKSK_lbbbEUlllE0_EEPmJS9_EEE10hipError_tPvRmT3_T4_T5_T6_T7_T9_mT8_P12ihipStream_tbDpT10_ENKUlT_T0_E_clISt17integral_constantIbLb0EES1A_EEDaS15_S16_EUlS15_E_NS1_11comp_targetILNS1_3genE0ELNS1_11target_archE4294967295ELNS1_3gpuE0ELNS1_3repE0EEENS1_30default_config_static_selectorELNS0_4arch9wavefront6targetE1EEEvT1_.kd
    .uniform_work_group_size: 1
    .uses_dynamic_stack: false
    .vgpr_count:     0
    .vgpr_spill_count: 0
    .wavefront_size: 64
  - .agpr_count:     0
    .args:
      - .offset:         0
        .size:           120
        .value_kind:     by_value
    .group_segment_fixed_size: 0
    .kernarg_segment_align: 8
    .kernarg_segment_size: 120
    .language:       OpenCL C
    .language_version:
      - 2
      - 0
    .max_flat_workgroup_size: 512
    .name:           _ZN7rocprim17ROCPRIM_400000_NS6detail17trampoline_kernelINS0_14default_configENS1_25partition_config_selectorILNS1_17partition_subalgoE9EllbEEZZNS1_14partition_implILS5_9ELb0ES3_jPlS8_PNS0_10empty_typeENS0_5tupleIJS8_S9_EEENSB_IJS8_SA_EEENS0_18inequality_wrapperIZN2at6native12_GLOBAL__N_124unique_dim_cuda_templateItEESt5tupleIJNSF_6TensorESK_SK_EERKSK_lbbbEUlllE0_EEPmJS9_EEE10hipError_tPvRmT3_T4_T5_T6_T7_T9_mT8_P12ihipStream_tbDpT10_ENKUlT_T0_E_clISt17integral_constantIbLb0EES1A_EEDaS15_S16_EUlS15_E_NS1_11comp_targetILNS1_3genE5ELNS1_11target_archE942ELNS1_3gpuE9ELNS1_3repE0EEENS1_30default_config_static_selectorELNS0_4arch9wavefront6targetE1EEEvT1_
    .private_segment_fixed_size: 0
    .sgpr_count:     4
    .sgpr_spill_count: 0
    .symbol:         _ZN7rocprim17ROCPRIM_400000_NS6detail17trampoline_kernelINS0_14default_configENS1_25partition_config_selectorILNS1_17partition_subalgoE9EllbEEZZNS1_14partition_implILS5_9ELb0ES3_jPlS8_PNS0_10empty_typeENS0_5tupleIJS8_S9_EEENSB_IJS8_SA_EEENS0_18inequality_wrapperIZN2at6native12_GLOBAL__N_124unique_dim_cuda_templateItEESt5tupleIJNSF_6TensorESK_SK_EERKSK_lbbbEUlllE0_EEPmJS9_EEE10hipError_tPvRmT3_T4_T5_T6_T7_T9_mT8_P12ihipStream_tbDpT10_ENKUlT_T0_E_clISt17integral_constantIbLb0EES1A_EEDaS15_S16_EUlS15_E_NS1_11comp_targetILNS1_3genE5ELNS1_11target_archE942ELNS1_3gpuE9ELNS1_3repE0EEENS1_30default_config_static_selectorELNS0_4arch9wavefront6targetE1EEEvT1_.kd
    .uniform_work_group_size: 1
    .uses_dynamic_stack: false
    .vgpr_count:     0
    .vgpr_spill_count: 0
    .wavefront_size: 64
  - .agpr_count:     0
    .args:
      - .offset:         0
        .size:           120
        .value_kind:     by_value
    .group_segment_fixed_size: 4236
    .kernarg_segment_align: 8
    .kernarg_segment_size: 120
    .language:       OpenCL C
    .language_version:
      - 2
      - 0
    .max_flat_workgroup_size: 128
    .name:           _ZN7rocprim17ROCPRIM_400000_NS6detail17trampoline_kernelINS0_14default_configENS1_25partition_config_selectorILNS1_17partition_subalgoE9EllbEEZZNS1_14partition_implILS5_9ELb0ES3_jPlS8_PNS0_10empty_typeENS0_5tupleIJS8_S9_EEENSB_IJS8_SA_EEENS0_18inequality_wrapperIZN2at6native12_GLOBAL__N_124unique_dim_cuda_templateItEESt5tupleIJNSF_6TensorESK_SK_EERKSK_lbbbEUlllE0_EEPmJS9_EEE10hipError_tPvRmT3_T4_T5_T6_T7_T9_mT8_P12ihipStream_tbDpT10_ENKUlT_T0_E_clISt17integral_constantIbLb0EES1A_EEDaS15_S16_EUlS15_E_NS1_11comp_targetILNS1_3genE4ELNS1_11target_archE910ELNS1_3gpuE8ELNS1_3repE0EEENS1_30default_config_static_selectorELNS0_4arch9wavefront6targetE1EEEvT1_
    .private_segment_fixed_size: 0
    .sgpr_count:     50
    .sgpr_spill_count: 0
    .symbol:         _ZN7rocprim17ROCPRIM_400000_NS6detail17trampoline_kernelINS0_14default_configENS1_25partition_config_selectorILNS1_17partition_subalgoE9EllbEEZZNS1_14partition_implILS5_9ELb0ES3_jPlS8_PNS0_10empty_typeENS0_5tupleIJS8_S9_EEENSB_IJS8_SA_EEENS0_18inequality_wrapperIZN2at6native12_GLOBAL__N_124unique_dim_cuda_templateItEESt5tupleIJNSF_6TensorESK_SK_EERKSK_lbbbEUlllE0_EEPmJS9_EEE10hipError_tPvRmT3_T4_T5_T6_T7_T9_mT8_P12ihipStream_tbDpT10_ENKUlT_T0_E_clISt17integral_constantIbLb0EES1A_EEDaS15_S16_EUlS15_E_NS1_11comp_targetILNS1_3genE4ELNS1_11target_archE910ELNS1_3gpuE8ELNS1_3repE0EEENS1_30default_config_static_selectorELNS0_4arch9wavefront6targetE1EEEvT1_.kd
    .uniform_work_group_size: 1
    .uses_dynamic_stack: false
    .vgpr_count:     50
    .vgpr_spill_count: 0
    .wavefront_size: 64
  - .agpr_count:     0
    .args:
      - .offset:         0
        .size:           120
        .value_kind:     by_value
    .group_segment_fixed_size: 0
    .kernarg_segment_align: 8
    .kernarg_segment_size: 120
    .language:       OpenCL C
    .language_version:
      - 2
      - 0
    .max_flat_workgroup_size: 128
    .name:           _ZN7rocprim17ROCPRIM_400000_NS6detail17trampoline_kernelINS0_14default_configENS1_25partition_config_selectorILNS1_17partition_subalgoE9EllbEEZZNS1_14partition_implILS5_9ELb0ES3_jPlS8_PNS0_10empty_typeENS0_5tupleIJS8_S9_EEENSB_IJS8_SA_EEENS0_18inequality_wrapperIZN2at6native12_GLOBAL__N_124unique_dim_cuda_templateItEESt5tupleIJNSF_6TensorESK_SK_EERKSK_lbbbEUlllE0_EEPmJS9_EEE10hipError_tPvRmT3_T4_T5_T6_T7_T9_mT8_P12ihipStream_tbDpT10_ENKUlT_T0_E_clISt17integral_constantIbLb0EES1A_EEDaS15_S16_EUlS15_E_NS1_11comp_targetILNS1_3genE3ELNS1_11target_archE908ELNS1_3gpuE7ELNS1_3repE0EEENS1_30default_config_static_selectorELNS0_4arch9wavefront6targetE1EEEvT1_
    .private_segment_fixed_size: 0
    .sgpr_count:     4
    .sgpr_spill_count: 0
    .symbol:         _ZN7rocprim17ROCPRIM_400000_NS6detail17trampoline_kernelINS0_14default_configENS1_25partition_config_selectorILNS1_17partition_subalgoE9EllbEEZZNS1_14partition_implILS5_9ELb0ES3_jPlS8_PNS0_10empty_typeENS0_5tupleIJS8_S9_EEENSB_IJS8_SA_EEENS0_18inequality_wrapperIZN2at6native12_GLOBAL__N_124unique_dim_cuda_templateItEESt5tupleIJNSF_6TensorESK_SK_EERKSK_lbbbEUlllE0_EEPmJS9_EEE10hipError_tPvRmT3_T4_T5_T6_T7_T9_mT8_P12ihipStream_tbDpT10_ENKUlT_T0_E_clISt17integral_constantIbLb0EES1A_EEDaS15_S16_EUlS15_E_NS1_11comp_targetILNS1_3genE3ELNS1_11target_archE908ELNS1_3gpuE7ELNS1_3repE0EEENS1_30default_config_static_selectorELNS0_4arch9wavefront6targetE1EEEvT1_.kd
    .uniform_work_group_size: 1
    .uses_dynamic_stack: false
    .vgpr_count:     0
    .vgpr_spill_count: 0
    .wavefront_size: 64
  - .agpr_count:     0
    .args:
      - .offset:         0
        .size:           120
        .value_kind:     by_value
    .group_segment_fixed_size: 0
    .kernarg_segment_align: 8
    .kernarg_segment_size: 120
    .language:       OpenCL C
    .language_version:
      - 2
      - 0
    .max_flat_workgroup_size: 192
    .name:           _ZN7rocprim17ROCPRIM_400000_NS6detail17trampoline_kernelINS0_14default_configENS1_25partition_config_selectorILNS1_17partition_subalgoE9EllbEEZZNS1_14partition_implILS5_9ELb0ES3_jPlS8_PNS0_10empty_typeENS0_5tupleIJS8_S9_EEENSB_IJS8_SA_EEENS0_18inequality_wrapperIZN2at6native12_GLOBAL__N_124unique_dim_cuda_templateItEESt5tupleIJNSF_6TensorESK_SK_EERKSK_lbbbEUlllE0_EEPmJS9_EEE10hipError_tPvRmT3_T4_T5_T6_T7_T9_mT8_P12ihipStream_tbDpT10_ENKUlT_T0_E_clISt17integral_constantIbLb0EES1A_EEDaS15_S16_EUlS15_E_NS1_11comp_targetILNS1_3genE2ELNS1_11target_archE906ELNS1_3gpuE6ELNS1_3repE0EEENS1_30default_config_static_selectorELNS0_4arch9wavefront6targetE1EEEvT1_
    .private_segment_fixed_size: 0
    .sgpr_count:     4
    .sgpr_spill_count: 0
    .symbol:         _ZN7rocprim17ROCPRIM_400000_NS6detail17trampoline_kernelINS0_14default_configENS1_25partition_config_selectorILNS1_17partition_subalgoE9EllbEEZZNS1_14partition_implILS5_9ELb0ES3_jPlS8_PNS0_10empty_typeENS0_5tupleIJS8_S9_EEENSB_IJS8_SA_EEENS0_18inequality_wrapperIZN2at6native12_GLOBAL__N_124unique_dim_cuda_templateItEESt5tupleIJNSF_6TensorESK_SK_EERKSK_lbbbEUlllE0_EEPmJS9_EEE10hipError_tPvRmT3_T4_T5_T6_T7_T9_mT8_P12ihipStream_tbDpT10_ENKUlT_T0_E_clISt17integral_constantIbLb0EES1A_EEDaS15_S16_EUlS15_E_NS1_11comp_targetILNS1_3genE2ELNS1_11target_archE906ELNS1_3gpuE6ELNS1_3repE0EEENS1_30default_config_static_selectorELNS0_4arch9wavefront6targetE1EEEvT1_.kd
    .uniform_work_group_size: 1
    .uses_dynamic_stack: false
    .vgpr_count:     0
    .vgpr_spill_count: 0
    .wavefront_size: 64
  - .agpr_count:     0
    .args:
      - .offset:         0
        .size:           120
        .value_kind:     by_value
    .group_segment_fixed_size: 0
    .kernarg_segment_align: 8
    .kernarg_segment_size: 120
    .language:       OpenCL C
    .language_version:
      - 2
      - 0
    .max_flat_workgroup_size: 384
    .name:           _ZN7rocprim17ROCPRIM_400000_NS6detail17trampoline_kernelINS0_14default_configENS1_25partition_config_selectorILNS1_17partition_subalgoE9EllbEEZZNS1_14partition_implILS5_9ELb0ES3_jPlS8_PNS0_10empty_typeENS0_5tupleIJS8_S9_EEENSB_IJS8_SA_EEENS0_18inequality_wrapperIZN2at6native12_GLOBAL__N_124unique_dim_cuda_templateItEESt5tupleIJNSF_6TensorESK_SK_EERKSK_lbbbEUlllE0_EEPmJS9_EEE10hipError_tPvRmT3_T4_T5_T6_T7_T9_mT8_P12ihipStream_tbDpT10_ENKUlT_T0_E_clISt17integral_constantIbLb0EES1A_EEDaS15_S16_EUlS15_E_NS1_11comp_targetILNS1_3genE10ELNS1_11target_archE1200ELNS1_3gpuE4ELNS1_3repE0EEENS1_30default_config_static_selectorELNS0_4arch9wavefront6targetE1EEEvT1_
    .private_segment_fixed_size: 0
    .sgpr_count:     4
    .sgpr_spill_count: 0
    .symbol:         _ZN7rocprim17ROCPRIM_400000_NS6detail17trampoline_kernelINS0_14default_configENS1_25partition_config_selectorILNS1_17partition_subalgoE9EllbEEZZNS1_14partition_implILS5_9ELb0ES3_jPlS8_PNS0_10empty_typeENS0_5tupleIJS8_S9_EEENSB_IJS8_SA_EEENS0_18inequality_wrapperIZN2at6native12_GLOBAL__N_124unique_dim_cuda_templateItEESt5tupleIJNSF_6TensorESK_SK_EERKSK_lbbbEUlllE0_EEPmJS9_EEE10hipError_tPvRmT3_T4_T5_T6_T7_T9_mT8_P12ihipStream_tbDpT10_ENKUlT_T0_E_clISt17integral_constantIbLb0EES1A_EEDaS15_S16_EUlS15_E_NS1_11comp_targetILNS1_3genE10ELNS1_11target_archE1200ELNS1_3gpuE4ELNS1_3repE0EEENS1_30default_config_static_selectorELNS0_4arch9wavefront6targetE1EEEvT1_.kd
    .uniform_work_group_size: 1
    .uses_dynamic_stack: false
    .vgpr_count:     0
    .vgpr_spill_count: 0
    .wavefront_size: 64
  - .agpr_count:     0
    .args:
      - .offset:         0
        .size:           120
        .value_kind:     by_value
    .group_segment_fixed_size: 0
    .kernarg_segment_align: 8
    .kernarg_segment_size: 120
    .language:       OpenCL C
    .language_version:
      - 2
      - 0
    .max_flat_workgroup_size: 512
    .name:           _ZN7rocprim17ROCPRIM_400000_NS6detail17trampoline_kernelINS0_14default_configENS1_25partition_config_selectorILNS1_17partition_subalgoE9EllbEEZZNS1_14partition_implILS5_9ELb0ES3_jPlS8_PNS0_10empty_typeENS0_5tupleIJS8_S9_EEENSB_IJS8_SA_EEENS0_18inequality_wrapperIZN2at6native12_GLOBAL__N_124unique_dim_cuda_templateItEESt5tupleIJNSF_6TensorESK_SK_EERKSK_lbbbEUlllE0_EEPmJS9_EEE10hipError_tPvRmT3_T4_T5_T6_T7_T9_mT8_P12ihipStream_tbDpT10_ENKUlT_T0_E_clISt17integral_constantIbLb0EES1A_EEDaS15_S16_EUlS15_E_NS1_11comp_targetILNS1_3genE9ELNS1_11target_archE1100ELNS1_3gpuE3ELNS1_3repE0EEENS1_30default_config_static_selectorELNS0_4arch9wavefront6targetE1EEEvT1_
    .private_segment_fixed_size: 0
    .sgpr_count:     4
    .sgpr_spill_count: 0
    .symbol:         _ZN7rocprim17ROCPRIM_400000_NS6detail17trampoline_kernelINS0_14default_configENS1_25partition_config_selectorILNS1_17partition_subalgoE9EllbEEZZNS1_14partition_implILS5_9ELb0ES3_jPlS8_PNS0_10empty_typeENS0_5tupleIJS8_S9_EEENSB_IJS8_SA_EEENS0_18inequality_wrapperIZN2at6native12_GLOBAL__N_124unique_dim_cuda_templateItEESt5tupleIJNSF_6TensorESK_SK_EERKSK_lbbbEUlllE0_EEPmJS9_EEE10hipError_tPvRmT3_T4_T5_T6_T7_T9_mT8_P12ihipStream_tbDpT10_ENKUlT_T0_E_clISt17integral_constantIbLb0EES1A_EEDaS15_S16_EUlS15_E_NS1_11comp_targetILNS1_3genE9ELNS1_11target_archE1100ELNS1_3gpuE3ELNS1_3repE0EEENS1_30default_config_static_selectorELNS0_4arch9wavefront6targetE1EEEvT1_.kd
    .uniform_work_group_size: 1
    .uses_dynamic_stack: false
    .vgpr_count:     0
    .vgpr_spill_count: 0
    .wavefront_size: 64
  - .agpr_count:     0
    .args:
      - .offset:         0
        .size:           120
        .value_kind:     by_value
    .group_segment_fixed_size: 0
    .kernarg_segment_align: 8
    .kernarg_segment_size: 120
    .language:       OpenCL C
    .language_version:
      - 2
      - 0
    .max_flat_workgroup_size: 512
    .name:           _ZN7rocprim17ROCPRIM_400000_NS6detail17trampoline_kernelINS0_14default_configENS1_25partition_config_selectorILNS1_17partition_subalgoE9EllbEEZZNS1_14partition_implILS5_9ELb0ES3_jPlS8_PNS0_10empty_typeENS0_5tupleIJS8_S9_EEENSB_IJS8_SA_EEENS0_18inequality_wrapperIZN2at6native12_GLOBAL__N_124unique_dim_cuda_templateItEESt5tupleIJNSF_6TensorESK_SK_EERKSK_lbbbEUlllE0_EEPmJS9_EEE10hipError_tPvRmT3_T4_T5_T6_T7_T9_mT8_P12ihipStream_tbDpT10_ENKUlT_T0_E_clISt17integral_constantIbLb0EES1A_EEDaS15_S16_EUlS15_E_NS1_11comp_targetILNS1_3genE8ELNS1_11target_archE1030ELNS1_3gpuE2ELNS1_3repE0EEENS1_30default_config_static_selectorELNS0_4arch9wavefront6targetE1EEEvT1_
    .private_segment_fixed_size: 0
    .sgpr_count:     4
    .sgpr_spill_count: 0
    .symbol:         _ZN7rocprim17ROCPRIM_400000_NS6detail17trampoline_kernelINS0_14default_configENS1_25partition_config_selectorILNS1_17partition_subalgoE9EllbEEZZNS1_14partition_implILS5_9ELb0ES3_jPlS8_PNS0_10empty_typeENS0_5tupleIJS8_S9_EEENSB_IJS8_SA_EEENS0_18inequality_wrapperIZN2at6native12_GLOBAL__N_124unique_dim_cuda_templateItEESt5tupleIJNSF_6TensorESK_SK_EERKSK_lbbbEUlllE0_EEPmJS9_EEE10hipError_tPvRmT3_T4_T5_T6_T7_T9_mT8_P12ihipStream_tbDpT10_ENKUlT_T0_E_clISt17integral_constantIbLb0EES1A_EEDaS15_S16_EUlS15_E_NS1_11comp_targetILNS1_3genE8ELNS1_11target_archE1030ELNS1_3gpuE2ELNS1_3repE0EEENS1_30default_config_static_selectorELNS0_4arch9wavefront6targetE1EEEvT1_.kd
    .uniform_work_group_size: 1
    .uses_dynamic_stack: false
    .vgpr_count:     0
    .vgpr_spill_count: 0
    .wavefront_size: 64
  - .agpr_count:     0
    .args:
      - .offset:         0
        .size:           136
        .value_kind:     by_value
    .group_segment_fixed_size: 0
    .kernarg_segment_align: 8
    .kernarg_segment_size: 136
    .language:       OpenCL C
    .language_version:
      - 2
      - 0
    .max_flat_workgroup_size: 128
    .name:           _ZN7rocprim17ROCPRIM_400000_NS6detail17trampoline_kernelINS0_14default_configENS1_25partition_config_selectorILNS1_17partition_subalgoE9EllbEEZZNS1_14partition_implILS5_9ELb0ES3_jPlS8_PNS0_10empty_typeENS0_5tupleIJS8_S9_EEENSB_IJS8_SA_EEENS0_18inequality_wrapperIZN2at6native12_GLOBAL__N_124unique_dim_cuda_templateItEESt5tupleIJNSF_6TensorESK_SK_EERKSK_lbbbEUlllE0_EEPmJS9_EEE10hipError_tPvRmT3_T4_T5_T6_T7_T9_mT8_P12ihipStream_tbDpT10_ENKUlT_T0_E_clISt17integral_constantIbLb1EES1A_EEDaS15_S16_EUlS15_E_NS1_11comp_targetILNS1_3genE0ELNS1_11target_archE4294967295ELNS1_3gpuE0ELNS1_3repE0EEENS1_30default_config_static_selectorELNS0_4arch9wavefront6targetE1EEEvT1_
    .private_segment_fixed_size: 0
    .sgpr_count:     4
    .sgpr_spill_count: 0
    .symbol:         _ZN7rocprim17ROCPRIM_400000_NS6detail17trampoline_kernelINS0_14default_configENS1_25partition_config_selectorILNS1_17partition_subalgoE9EllbEEZZNS1_14partition_implILS5_9ELb0ES3_jPlS8_PNS0_10empty_typeENS0_5tupleIJS8_S9_EEENSB_IJS8_SA_EEENS0_18inequality_wrapperIZN2at6native12_GLOBAL__N_124unique_dim_cuda_templateItEESt5tupleIJNSF_6TensorESK_SK_EERKSK_lbbbEUlllE0_EEPmJS9_EEE10hipError_tPvRmT3_T4_T5_T6_T7_T9_mT8_P12ihipStream_tbDpT10_ENKUlT_T0_E_clISt17integral_constantIbLb1EES1A_EEDaS15_S16_EUlS15_E_NS1_11comp_targetILNS1_3genE0ELNS1_11target_archE4294967295ELNS1_3gpuE0ELNS1_3repE0EEENS1_30default_config_static_selectorELNS0_4arch9wavefront6targetE1EEEvT1_.kd
    .uniform_work_group_size: 1
    .uses_dynamic_stack: false
    .vgpr_count:     0
    .vgpr_spill_count: 0
    .wavefront_size: 64
  - .agpr_count:     0
    .args:
      - .offset:         0
        .size:           136
        .value_kind:     by_value
    .group_segment_fixed_size: 0
    .kernarg_segment_align: 8
    .kernarg_segment_size: 136
    .language:       OpenCL C
    .language_version:
      - 2
      - 0
    .max_flat_workgroup_size: 512
    .name:           _ZN7rocprim17ROCPRIM_400000_NS6detail17trampoline_kernelINS0_14default_configENS1_25partition_config_selectorILNS1_17partition_subalgoE9EllbEEZZNS1_14partition_implILS5_9ELb0ES3_jPlS8_PNS0_10empty_typeENS0_5tupleIJS8_S9_EEENSB_IJS8_SA_EEENS0_18inequality_wrapperIZN2at6native12_GLOBAL__N_124unique_dim_cuda_templateItEESt5tupleIJNSF_6TensorESK_SK_EERKSK_lbbbEUlllE0_EEPmJS9_EEE10hipError_tPvRmT3_T4_T5_T6_T7_T9_mT8_P12ihipStream_tbDpT10_ENKUlT_T0_E_clISt17integral_constantIbLb1EES1A_EEDaS15_S16_EUlS15_E_NS1_11comp_targetILNS1_3genE5ELNS1_11target_archE942ELNS1_3gpuE9ELNS1_3repE0EEENS1_30default_config_static_selectorELNS0_4arch9wavefront6targetE1EEEvT1_
    .private_segment_fixed_size: 0
    .sgpr_count:     4
    .sgpr_spill_count: 0
    .symbol:         _ZN7rocprim17ROCPRIM_400000_NS6detail17trampoline_kernelINS0_14default_configENS1_25partition_config_selectorILNS1_17partition_subalgoE9EllbEEZZNS1_14partition_implILS5_9ELb0ES3_jPlS8_PNS0_10empty_typeENS0_5tupleIJS8_S9_EEENSB_IJS8_SA_EEENS0_18inequality_wrapperIZN2at6native12_GLOBAL__N_124unique_dim_cuda_templateItEESt5tupleIJNSF_6TensorESK_SK_EERKSK_lbbbEUlllE0_EEPmJS9_EEE10hipError_tPvRmT3_T4_T5_T6_T7_T9_mT8_P12ihipStream_tbDpT10_ENKUlT_T0_E_clISt17integral_constantIbLb1EES1A_EEDaS15_S16_EUlS15_E_NS1_11comp_targetILNS1_3genE5ELNS1_11target_archE942ELNS1_3gpuE9ELNS1_3repE0EEENS1_30default_config_static_selectorELNS0_4arch9wavefront6targetE1EEEvT1_.kd
    .uniform_work_group_size: 1
    .uses_dynamic_stack: false
    .vgpr_count:     0
    .vgpr_spill_count: 0
    .wavefront_size: 64
  - .agpr_count:     0
    .args:
      - .offset:         0
        .size:           136
        .value_kind:     by_value
    .group_segment_fixed_size: 4236
    .kernarg_segment_align: 8
    .kernarg_segment_size: 136
    .language:       OpenCL C
    .language_version:
      - 2
      - 0
    .max_flat_workgroup_size: 128
    .name:           _ZN7rocprim17ROCPRIM_400000_NS6detail17trampoline_kernelINS0_14default_configENS1_25partition_config_selectorILNS1_17partition_subalgoE9EllbEEZZNS1_14partition_implILS5_9ELb0ES3_jPlS8_PNS0_10empty_typeENS0_5tupleIJS8_S9_EEENSB_IJS8_SA_EEENS0_18inequality_wrapperIZN2at6native12_GLOBAL__N_124unique_dim_cuda_templateItEESt5tupleIJNSF_6TensorESK_SK_EERKSK_lbbbEUlllE0_EEPmJS9_EEE10hipError_tPvRmT3_T4_T5_T6_T7_T9_mT8_P12ihipStream_tbDpT10_ENKUlT_T0_E_clISt17integral_constantIbLb1EES1A_EEDaS15_S16_EUlS15_E_NS1_11comp_targetILNS1_3genE4ELNS1_11target_archE910ELNS1_3gpuE8ELNS1_3repE0EEENS1_30default_config_static_selectorELNS0_4arch9wavefront6targetE1EEEvT1_
    .private_segment_fixed_size: 0
    .sgpr_count:     56
    .sgpr_spill_count: 0
    .symbol:         _ZN7rocprim17ROCPRIM_400000_NS6detail17trampoline_kernelINS0_14default_configENS1_25partition_config_selectorILNS1_17partition_subalgoE9EllbEEZZNS1_14partition_implILS5_9ELb0ES3_jPlS8_PNS0_10empty_typeENS0_5tupleIJS8_S9_EEENSB_IJS8_SA_EEENS0_18inequality_wrapperIZN2at6native12_GLOBAL__N_124unique_dim_cuda_templateItEESt5tupleIJNSF_6TensorESK_SK_EERKSK_lbbbEUlllE0_EEPmJS9_EEE10hipError_tPvRmT3_T4_T5_T6_T7_T9_mT8_P12ihipStream_tbDpT10_ENKUlT_T0_E_clISt17integral_constantIbLb1EES1A_EEDaS15_S16_EUlS15_E_NS1_11comp_targetILNS1_3genE4ELNS1_11target_archE910ELNS1_3gpuE8ELNS1_3repE0EEENS1_30default_config_static_selectorELNS0_4arch9wavefront6targetE1EEEvT1_.kd
    .uniform_work_group_size: 1
    .uses_dynamic_stack: false
    .vgpr_count:     50
    .vgpr_spill_count: 0
    .wavefront_size: 64
  - .agpr_count:     0
    .args:
      - .offset:         0
        .size:           136
        .value_kind:     by_value
    .group_segment_fixed_size: 0
    .kernarg_segment_align: 8
    .kernarg_segment_size: 136
    .language:       OpenCL C
    .language_version:
      - 2
      - 0
    .max_flat_workgroup_size: 128
    .name:           _ZN7rocprim17ROCPRIM_400000_NS6detail17trampoline_kernelINS0_14default_configENS1_25partition_config_selectorILNS1_17partition_subalgoE9EllbEEZZNS1_14partition_implILS5_9ELb0ES3_jPlS8_PNS0_10empty_typeENS0_5tupleIJS8_S9_EEENSB_IJS8_SA_EEENS0_18inequality_wrapperIZN2at6native12_GLOBAL__N_124unique_dim_cuda_templateItEESt5tupleIJNSF_6TensorESK_SK_EERKSK_lbbbEUlllE0_EEPmJS9_EEE10hipError_tPvRmT3_T4_T5_T6_T7_T9_mT8_P12ihipStream_tbDpT10_ENKUlT_T0_E_clISt17integral_constantIbLb1EES1A_EEDaS15_S16_EUlS15_E_NS1_11comp_targetILNS1_3genE3ELNS1_11target_archE908ELNS1_3gpuE7ELNS1_3repE0EEENS1_30default_config_static_selectorELNS0_4arch9wavefront6targetE1EEEvT1_
    .private_segment_fixed_size: 0
    .sgpr_count:     4
    .sgpr_spill_count: 0
    .symbol:         _ZN7rocprim17ROCPRIM_400000_NS6detail17trampoline_kernelINS0_14default_configENS1_25partition_config_selectorILNS1_17partition_subalgoE9EllbEEZZNS1_14partition_implILS5_9ELb0ES3_jPlS8_PNS0_10empty_typeENS0_5tupleIJS8_S9_EEENSB_IJS8_SA_EEENS0_18inequality_wrapperIZN2at6native12_GLOBAL__N_124unique_dim_cuda_templateItEESt5tupleIJNSF_6TensorESK_SK_EERKSK_lbbbEUlllE0_EEPmJS9_EEE10hipError_tPvRmT3_T4_T5_T6_T7_T9_mT8_P12ihipStream_tbDpT10_ENKUlT_T0_E_clISt17integral_constantIbLb1EES1A_EEDaS15_S16_EUlS15_E_NS1_11comp_targetILNS1_3genE3ELNS1_11target_archE908ELNS1_3gpuE7ELNS1_3repE0EEENS1_30default_config_static_selectorELNS0_4arch9wavefront6targetE1EEEvT1_.kd
    .uniform_work_group_size: 1
    .uses_dynamic_stack: false
    .vgpr_count:     0
    .vgpr_spill_count: 0
    .wavefront_size: 64
  - .agpr_count:     0
    .args:
      - .offset:         0
        .size:           136
        .value_kind:     by_value
    .group_segment_fixed_size: 0
    .kernarg_segment_align: 8
    .kernarg_segment_size: 136
    .language:       OpenCL C
    .language_version:
      - 2
      - 0
    .max_flat_workgroup_size: 192
    .name:           _ZN7rocprim17ROCPRIM_400000_NS6detail17trampoline_kernelINS0_14default_configENS1_25partition_config_selectorILNS1_17partition_subalgoE9EllbEEZZNS1_14partition_implILS5_9ELb0ES3_jPlS8_PNS0_10empty_typeENS0_5tupleIJS8_S9_EEENSB_IJS8_SA_EEENS0_18inequality_wrapperIZN2at6native12_GLOBAL__N_124unique_dim_cuda_templateItEESt5tupleIJNSF_6TensorESK_SK_EERKSK_lbbbEUlllE0_EEPmJS9_EEE10hipError_tPvRmT3_T4_T5_T6_T7_T9_mT8_P12ihipStream_tbDpT10_ENKUlT_T0_E_clISt17integral_constantIbLb1EES1A_EEDaS15_S16_EUlS15_E_NS1_11comp_targetILNS1_3genE2ELNS1_11target_archE906ELNS1_3gpuE6ELNS1_3repE0EEENS1_30default_config_static_selectorELNS0_4arch9wavefront6targetE1EEEvT1_
    .private_segment_fixed_size: 0
    .sgpr_count:     4
    .sgpr_spill_count: 0
    .symbol:         _ZN7rocprim17ROCPRIM_400000_NS6detail17trampoline_kernelINS0_14default_configENS1_25partition_config_selectorILNS1_17partition_subalgoE9EllbEEZZNS1_14partition_implILS5_9ELb0ES3_jPlS8_PNS0_10empty_typeENS0_5tupleIJS8_S9_EEENSB_IJS8_SA_EEENS0_18inequality_wrapperIZN2at6native12_GLOBAL__N_124unique_dim_cuda_templateItEESt5tupleIJNSF_6TensorESK_SK_EERKSK_lbbbEUlllE0_EEPmJS9_EEE10hipError_tPvRmT3_T4_T5_T6_T7_T9_mT8_P12ihipStream_tbDpT10_ENKUlT_T0_E_clISt17integral_constantIbLb1EES1A_EEDaS15_S16_EUlS15_E_NS1_11comp_targetILNS1_3genE2ELNS1_11target_archE906ELNS1_3gpuE6ELNS1_3repE0EEENS1_30default_config_static_selectorELNS0_4arch9wavefront6targetE1EEEvT1_.kd
    .uniform_work_group_size: 1
    .uses_dynamic_stack: false
    .vgpr_count:     0
    .vgpr_spill_count: 0
    .wavefront_size: 64
  - .agpr_count:     0
    .args:
      - .offset:         0
        .size:           136
        .value_kind:     by_value
    .group_segment_fixed_size: 0
    .kernarg_segment_align: 8
    .kernarg_segment_size: 136
    .language:       OpenCL C
    .language_version:
      - 2
      - 0
    .max_flat_workgroup_size: 384
    .name:           _ZN7rocprim17ROCPRIM_400000_NS6detail17trampoline_kernelINS0_14default_configENS1_25partition_config_selectorILNS1_17partition_subalgoE9EllbEEZZNS1_14partition_implILS5_9ELb0ES3_jPlS8_PNS0_10empty_typeENS0_5tupleIJS8_S9_EEENSB_IJS8_SA_EEENS0_18inequality_wrapperIZN2at6native12_GLOBAL__N_124unique_dim_cuda_templateItEESt5tupleIJNSF_6TensorESK_SK_EERKSK_lbbbEUlllE0_EEPmJS9_EEE10hipError_tPvRmT3_T4_T5_T6_T7_T9_mT8_P12ihipStream_tbDpT10_ENKUlT_T0_E_clISt17integral_constantIbLb1EES1A_EEDaS15_S16_EUlS15_E_NS1_11comp_targetILNS1_3genE10ELNS1_11target_archE1200ELNS1_3gpuE4ELNS1_3repE0EEENS1_30default_config_static_selectorELNS0_4arch9wavefront6targetE1EEEvT1_
    .private_segment_fixed_size: 0
    .sgpr_count:     4
    .sgpr_spill_count: 0
    .symbol:         _ZN7rocprim17ROCPRIM_400000_NS6detail17trampoline_kernelINS0_14default_configENS1_25partition_config_selectorILNS1_17partition_subalgoE9EllbEEZZNS1_14partition_implILS5_9ELb0ES3_jPlS8_PNS0_10empty_typeENS0_5tupleIJS8_S9_EEENSB_IJS8_SA_EEENS0_18inequality_wrapperIZN2at6native12_GLOBAL__N_124unique_dim_cuda_templateItEESt5tupleIJNSF_6TensorESK_SK_EERKSK_lbbbEUlllE0_EEPmJS9_EEE10hipError_tPvRmT3_T4_T5_T6_T7_T9_mT8_P12ihipStream_tbDpT10_ENKUlT_T0_E_clISt17integral_constantIbLb1EES1A_EEDaS15_S16_EUlS15_E_NS1_11comp_targetILNS1_3genE10ELNS1_11target_archE1200ELNS1_3gpuE4ELNS1_3repE0EEENS1_30default_config_static_selectorELNS0_4arch9wavefront6targetE1EEEvT1_.kd
    .uniform_work_group_size: 1
    .uses_dynamic_stack: false
    .vgpr_count:     0
    .vgpr_spill_count: 0
    .wavefront_size: 64
  - .agpr_count:     0
    .args:
      - .offset:         0
        .size:           136
        .value_kind:     by_value
    .group_segment_fixed_size: 0
    .kernarg_segment_align: 8
    .kernarg_segment_size: 136
    .language:       OpenCL C
    .language_version:
      - 2
      - 0
    .max_flat_workgroup_size: 512
    .name:           _ZN7rocprim17ROCPRIM_400000_NS6detail17trampoline_kernelINS0_14default_configENS1_25partition_config_selectorILNS1_17partition_subalgoE9EllbEEZZNS1_14partition_implILS5_9ELb0ES3_jPlS8_PNS0_10empty_typeENS0_5tupleIJS8_S9_EEENSB_IJS8_SA_EEENS0_18inequality_wrapperIZN2at6native12_GLOBAL__N_124unique_dim_cuda_templateItEESt5tupleIJNSF_6TensorESK_SK_EERKSK_lbbbEUlllE0_EEPmJS9_EEE10hipError_tPvRmT3_T4_T5_T6_T7_T9_mT8_P12ihipStream_tbDpT10_ENKUlT_T0_E_clISt17integral_constantIbLb1EES1A_EEDaS15_S16_EUlS15_E_NS1_11comp_targetILNS1_3genE9ELNS1_11target_archE1100ELNS1_3gpuE3ELNS1_3repE0EEENS1_30default_config_static_selectorELNS0_4arch9wavefront6targetE1EEEvT1_
    .private_segment_fixed_size: 0
    .sgpr_count:     4
    .sgpr_spill_count: 0
    .symbol:         _ZN7rocprim17ROCPRIM_400000_NS6detail17trampoline_kernelINS0_14default_configENS1_25partition_config_selectorILNS1_17partition_subalgoE9EllbEEZZNS1_14partition_implILS5_9ELb0ES3_jPlS8_PNS0_10empty_typeENS0_5tupleIJS8_S9_EEENSB_IJS8_SA_EEENS0_18inequality_wrapperIZN2at6native12_GLOBAL__N_124unique_dim_cuda_templateItEESt5tupleIJNSF_6TensorESK_SK_EERKSK_lbbbEUlllE0_EEPmJS9_EEE10hipError_tPvRmT3_T4_T5_T6_T7_T9_mT8_P12ihipStream_tbDpT10_ENKUlT_T0_E_clISt17integral_constantIbLb1EES1A_EEDaS15_S16_EUlS15_E_NS1_11comp_targetILNS1_3genE9ELNS1_11target_archE1100ELNS1_3gpuE3ELNS1_3repE0EEENS1_30default_config_static_selectorELNS0_4arch9wavefront6targetE1EEEvT1_.kd
    .uniform_work_group_size: 1
    .uses_dynamic_stack: false
    .vgpr_count:     0
    .vgpr_spill_count: 0
    .wavefront_size: 64
  - .agpr_count:     0
    .args:
      - .offset:         0
        .size:           136
        .value_kind:     by_value
    .group_segment_fixed_size: 0
    .kernarg_segment_align: 8
    .kernarg_segment_size: 136
    .language:       OpenCL C
    .language_version:
      - 2
      - 0
    .max_flat_workgroup_size: 512
    .name:           _ZN7rocprim17ROCPRIM_400000_NS6detail17trampoline_kernelINS0_14default_configENS1_25partition_config_selectorILNS1_17partition_subalgoE9EllbEEZZNS1_14partition_implILS5_9ELb0ES3_jPlS8_PNS0_10empty_typeENS0_5tupleIJS8_S9_EEENSB_IJS8_SA_EEENS0_18inequality_wrapperIZN2at6native12_GLOBAL__N_124unique_dim_cuda_templateItEESt5tupleIJNSF_6TensorESK_SK_EERKSK_lbbbEUlllE0_EEPmJS9_EEE10hipError_tPvRmT3_T4_T5_T6_T7_T9_mT8_P12ihipStream_tbDpT10_ENKUlT_T0_E_clISt17integral_constantIbLb1EES1A_EEDaS15_S16_EUlS15_E_NS1_11comp_targetILNS1_3genE8ELNS1_11target_archE1030ELNS1_3gpuE2ELNS1_3repE0EEENS1_30default_config_static_selectorELNS0_4arch9wavefront6targetE1EEEvT1_
    .private_segment_fixed_size: 0
    .sgpr_count:     4
    .sgpr_spill_count: 0
    .symbol:         _ZN7rocprim17ROCPRIM_400000_NS6detail17trampoline_kernelINS0_14default_configENS1_25partition_config_selectorILNS1_17partition_subalgoE9EllbEEZZNS1_14partition_implILS5_9ELb0ES3_jPlS8_PNS0_10empty_typeENS0_5tupleIJS8_S9_EEENSB_IJS8_SA_EEENS0_18inequality_wrapperIZN2at6native12_GLOBAL__N_124unique_dim_cuda_templateItEESt5tupleIJNSF_6TensorESK_SK_EERKSK_lbbbEUlllE0_EEPmJS9_EEE10hipError_tPvRmT3_T4_T5_T6_T7_T9_mT8_P12ihipStream_tbDpT10_ENKUlT_T0_E_clISt17integral_constantIbLb1EES1A_EEDaS15_S16_EUlS15_E_NS1_11comp_targetILNS1_3genE8ELNS1_11target_archE1030ELNS1_3gpuE2ELNS1_3repE0EEENS1_30default_config_static_selectorELNS0_4arch9wavefront6targetE1EEEvT1_.kd
    .uniform_work_group_size: 1
    .uses_dynamic_stack: false
    .vgpr_count:     0
    .vgpr_spill_count: 0
    .wavefront_size: 64
  - .agpr_count:     0
    .args:
      - .offset:         0
        .size:           120
        .value_kind:     by_value
    .group_segment_fixed_size: 0
    .kernarg_segment_align: 8
    .kernarg_segment_size: 120
    .language:       OpenCL C
    .language_version:
      - 2
      - 0
    .max_flat_workgroup_size: 128
    .name:           _ZN7rocprim17ROCPRIM_400000_NS6detail17trampoline_kernelINS0_14default_configENS1_25partition_config_selectorILNS1_17partition_subalgoE9EllbEEZZNS1_14partition_implILS5_9ELb0ES3_jPlS8_PNS0_10empty_typeENS0_5tupleIJS8_S9_EEENSB_IJS8_SA_EEENS0_18inequality_wrapperIZN2at6native12_GLOBAL__N_124unique_dim_cuda_templateItEESt5tupleIJNSF_6TensorESK_SK_EERKSK_lbbbEUlllE0_EEPmJS9_EEE10hipError_tPvRmT3_T4_T5_T6_T7_T9_mT8_P12ihipStream_tbDpT10_ENKUlT_T0_E_clISt17integral_constantIbLb1EES19_IbLb0EEEEDaS15_S16_EUlS15_E_NS1_11comp_targetILNS1_3genE0ELNS1_11target_archE4294967295ELNS1_3gpuE0ELNS1_3repE0EEENS1_30default_config_static_selectorELNS0_4arch9wavefront6targetE1EEEvT1_
    .private_segment_fixed_size: 0
    .sgpr_count:     4
    .sgpr_spill_count: 0
    .symbol:         _ZN7rocprim17ROCPRIM_400000_NS6detail17trampoline_kernelINS0_14default_configENS1_25partition_config_selectorILNS1_17partition_subalgoE9EllbEEZZNS1_14partition_implILS5_9ELb0ES3_jPlS8_PNS0_10empty_typeENS0_5tupleIJS8_S9_EEENSB_IJS8_SA_EEENS0_18inequality_wrapperIZN2at6native12_GLOBAL__N_124unique_dim_cuda_templateItEESt5tupleIJNSF_6TensorESK_SK_EERKSK_lbbbEUlllE0_EEPmJS9_EEE10hipError_tPvRmT3_T4_T5_T6_T7_T9_mT8_P12ihipStream_tbDpT10_ENKUlT_T0_E_clISt17integral_constantIbLb1EES19_IbLb0EEEEDaS15_S16_EUlS15_E_NS1_11comp_targetILNS1_3genE0ELNS1_11target_archE4294967295ELNS1_3gpuE0ELNS1_3repE0EEENS1_30default_config_static_selectorELNS0_4arch9wavefront6targetE1EEEvT1_.kd
    .uniform_work_group_size: 1
    .uses_dynamic_stack: false
    .vgpr_count:     0
    .vgpr_spill_count: 0
    .wavefront_size: 64
  - .agpr_count:     0
    .args:
      - .offset:         0
        .size:           120
        .value_kind:     by_value
    .group_segment_fixed_size: 0
    .kernarg_segment_align: 8
    .kernarg_segment_size: 120
    .language:       OpenCL C
    .language_version:
      - 2
      - 0
    .max_flat_workgroup_size: 512
    .name:           _ZN7rocprim17ROCPRIM_400000_NS6detail17trampoline_kernelINS0_14default_configENS1_25partition_config_selectorILNS1_17partition_subalgoE9EllbEEZZNS1_14partition_implILS5_9ELb0ES3_jPlS8_PNS0_10empty_typeENS0_5tupleIJS8_S9_EEENSB_IJS8_SA_EEENS0_18inequality_wrapperIZN2at6native12_GLOBAL__N_124unique_dim_cuda_templateItEESt5tupleIJNSF_6TensorESK_SK_EERKSK_lbbbEUlllE0_EEPmJS9_EEE10hipError_tPvRmT3_T4_T5_T6_T7_T9_mT8_P12ihipStream_tbDpT10_ENKUlT_T0_E_clISt17integral_constantIbLb1EES19_IbLb0EEEEDaS15_S16_EUlS15_E_NS1_11comp_targetILNS1_3genE5ELNS1_11target_archE942ELNS1_3gpuE9ELNS1_3repE0EEENS1_30default_config_static_selectorELNS0_4arch9wavefront6targetE1EEEvT1_
    .private_segment_fixed_size: 0
    .sgpr_count:     4
    .sgpr_spill_count: 0
    .symbol:         _ZN7rocprim17ROCPRIM_400000_NS6detail17trampoline_kernelINS0_14default_configENS1_25partition_config_selectorILNS1_17partition_subalgoE9EllbEEZZNS1_14partition_implILS5_9ELb0ES3_jPlS8_PNS0_10empty_typeENS0_5tupleIJS8_S9_EEENSB_IJS8_SA_EEENS0_18inequality_wrapperIZN2at6native12_GLOBAL__N_124unique_dim_cuda_templateItEESt5tupleIJNSF_6TensorESK_SK_EERKSK_lbbbEUlllE0_EEPmJS9_EEE10hipError_tPvRmT3_T4_T5_T6_T7_T9_mT8_P12ihipStream_tbDpT10_ENKUlT_T0_E_clISt17integral_constantIbLb1EES19_IbLb0EEEEDaS15_S16_EUlS15_E_NS1_11comp_targetILNS1_3genE5ELNS1_11target_archE942ELNS1_3gpuE9ELNS1_3repE0EEENS1_30default_config_static_selectorELNS0_4arch9wavefront6targetE1EEEvT1_.kd
    .uniform_work_group_size: 1
    .uses_dynamic_stack: false
    .vgpr_count:     0
    .vgpr_spill_count: 0
    .wavefront_size: 64
  - .agpr_count:     0
    .args:
      - .offset:         0
        .size:           120
        .value_kind:     by_value
    .group_segment_fixed_size: 4236
    .kernarg_segment_align: 8
    .kernarg_segment_size: 120
    .language:       OpenCL C
    .language_version:
      - 2
      - 0
    .max_flat_workgroup_size: 128
    .name:           _ZN7rocprim17ROCPRIM_400000_NS6detail17trampoline_kernelINS0_14default_configENS1_25partition_config_selectorILNS1_17partition_subalgoE9EllbEEZZNS1_14partition_implILS5_9ELb0ES3_jPlS8_PNS0_10empty_typeENS0_5tupleIJS8_S9_EEENSB_IJS8_SA_EEENS0_18inequality_wrapperIZN2at6native12_GLOBAL__N_124unique_dim_cuda_templateItEESt5tupleIJNSF_6TensorESK_SK_EERKSK_lbbbEUlllE0_EEPmJS9_EEE10hipError_tPvRmT3_T4_T5_T6_T7_T9_mT8_P12ihipStream_tbDpT10_ENKUlT_T0_E_clISt17integral_constantIbLb1EES19_IbLb0EEEEDaS15_S16_EUlS15_E_NS1_11comp_targetILNS1_3genE4ELNS1_11target_archE910ELNS1_3gpuE8ELNS1_3repE0EEENS1_30default_config_static_selectorELNS0_4arch9wavefront6targetE1EEEvT1_
    .private_segment_fixed_size: 0
    .sgpr_count:     50
    .sgpr_spill_count: 0
    .symbol:         _ZN7rocprim17ROCPRIM_400000_NS6detail17trampoline_kernelINS0_14default_configENS1_25partition_config_selectorILNS1_17partition_subalgoE9EllbEEZZNS1_14partition_implILS5_9ELb0ES3_jPlS8_PNS0_10empty_typeENS0_5tupleIJS8_S9_EEENSB_IJS8_SA_EEENS0_18inequality_wrapperIZN2at6native12_GLOBAL__N_124unique_dim_cuda_templateItEESt5tupleIJNSF_6TensorESK_SK_EERKSK_lbbbEUlllE0_EEPmJS9_EEE10hipError_tPvRmT3_T4_T5_T6_T7_T9_mT8_P12ihipStream_tbDpT10_ENKUlT_T0_E_clISt17integral_constantIbLb1EES19_IbLb0EEEEDaS15_S16_EUlS15_E_NS1_11comp_targetILNS1_3genE4ELNS1_11target_archE910ELNS1_3gpuE8ELNS1_3repE0EEENS1_30default_config_static_selectorELNS0_4arch9wavefront6targetE1EEEvT1_.kd
    .uniform_work_group_size: 1
    .uses_dynamic_stack: false
    .vgpr_count:     50
    .vgpr_spill_count: 0
    .wavefront_size: 64
  - .agpr_count:     0
    .args:
      - .offset:         0
        .size:           120
        .value_kind:     by_value
    .group_segment_fixed_size: 0
    .kernarg_segment_align: 8
    .kernarg_segment_size: 120
    .language:       OpenCL C
    .language_version:
      - 2
      - 0
    .max_flat_workgroup_size: 128
    .name:           _ZN7rocprim17ROCPRIM_400000_NS6detail17trampoline_kernelINS0_14default_configENS1_25partition_config_selectorILNS1_17partition_subalgoE9EllbEEZZNS1_14partition_implILS5_9ELb0ES3_jPlS8_PNS0_10empty_typeENS0_5tupleIJS8_S9_EEENSB_IJS8_SA_EEENS0_18inequality_wrapperIZN2at6native12_GLOBAL__N_124unique_dim_cuda_templateItEESt5tupleIJNSF_6TensorESK_SK_EERKSK_lbbbEUlllE0_EEPmJS9_EEE10hipError_tPvRmT3_T4_T5_T6_T7_T9_mT8_P12ihipStream_tbDpT10_ENKUlT_T0_E_clISt17integral_constantIbLb1EES19_IbLb0EEEEDaS15_S16_EUlS15_E_NS1_11comp_targetILNS1_3genE3ELNS1_11target_archE908ELNS1_3gpuE7ELNS1_3repE0EEENS1_30default_config_static_selectorELNS0_4arch9wavefront6targetE1EEEvT1_
    .private_segment_fixed_size: 0
    .sgpr_count:     4
    .sgpr_spill_count: 0
    .symbol:         _ZN7rocprim17ROCPRIM_400000_NS6detail17trampoline_kernelINS0_14default_configENS1_25partition_config_selectorILNS1_17partition_subalgoE9EllbEEZZNS1_14partition_implILS5_9ELb0ES3_jPlS8_PNS0_10empty_typeENS0_5tupleIJS8_S9_EEENSB_IJS8_SA_EEENS0_18inequality_wrapperIZN2at6native12_GLOBAL__N_124unique_dim_cuda_templateItEESt5tupleIJNSF_6TensorESK_SK_EERKSK_lbbbEUlllE0_EEPmJS9_EEE10hipError_tPvRmT3_T4_T5_T6_T7_T9_mT8_P12ihipStream_tbDpT10_ENKUlT_T0_E_clISt17integral_constantIbLb1EES19_IbLb0EEEEDaS15_S16_EUlS15_E_NS1_11comp_targetILNS1_3genE3ELNS1_11target_archE908ELNS1_3gpuE7ELNS1_3repE0EEENS1_30default_config_static_selectorELNS0_4arch9wavefront6targetE1EEEvT1_.kd
    .uniform_work_group_size: 1
    .uses_dynamic_stack: false
    .vgpr_count:     0
    .vgpr_spill_count: 0
    .wavefront_size: 64
  - .agpr_count:     0
    .args:
      - .offset:         0
        .size:           120
        .value_kind:     by_value
    .group_segment_fixed_size: 0
    .kernarg_segment_align: 8
    .kernarg_segment_size: 120
    .language:       OpenCL C
    .language_version:
      - 2
      - 0
    .max_flat_workgroup_size: 192
    .name:           _ZN7rocprim17ROCPRIM_400000_NS6detail17trampoline_kernelINS0_14default_configENS1_25partition_config_selectorILNS1_17partition_subalgoE9EllbEEZZNS1_14partition_implILS5_9ELb0ES3_jPlS8_PNS0_10empty_typeENS0_5tupleIJS8_S9_EEENSB_IJS8_SA_EEENS0_18inequality_wrapperIZN2at6native12_GLOBAL__N_124unique_dim_cuda_templateItEESt5tupleIJNSF_6TensorESK_SK_EERKSK_lbbbEUlllE0_EEPmJS9_EEE10hipError_tPvRmT3_T4_T5_T6_T7_T9_mT8_P12ihipStream_tbDpT10_ENKUlT_T0_E_clISt17integral_constantIbLb1EES19_IbLb0EEEEDaS15_S16_EUlS15_E_NS1_11comp_targetILNS1_3genE2ELNS1_11target_archE906ELNS1_3gpuE6ELNS1_3repE0EEENS1_30default_config_static_selectorELNS0_4arch9wavefront6targetE1EEEvT1_
    .private_segment_fixed_size: 0
    .sgpr_count:     4
    .sgpr_spill_count: 0
    .symbol:         _ZN7rocprim17ROCPRIM_400000_NS6detail17trampoline_kernelINS0_14default_configENS1_25partition_config_selectorILNS1_17partition_subalgoE9EllbEEZZNS1_14partition_implILS5_9ELb0ES3_jPlS8_PNS0_10empty_typeENS0_5tupleIJS8_S9_EEENSB_IJS8_SA_EEENS0_18inequality_wrapperIZN2at6native12_GLOBAL__N_124unique_dim_cuda_templateItEESt5tupleIJNSF_6TensorESK_SK_EERKSK_lbbbEUlllE0_EEPmJS9_EEE10hipError_tPvRmT3_T4_T5_T6_T7_T9_mT8_P12ihipStream_tbDpT10_ENKUlT_T0_E_clISt17integral_constantIbLb1EES19_IbLb0EEEEDaS15_S16_EUlS15_E_NS1_11comp_targetILNS1_3genE2ELNS1_11target_archE906ELNS1_3gpuE6ELNS1_3repE0EEENS1_30default_config_static_selectorELNS0_4arch9wavefront6targetE1EEEvT1_.kd
    .uniform_work_group_size: 1
    .uses_dynamic_stack: false
    .vgpr_count:     0
    .vgpr_spill_count: 0
    .wavefront_size: 64
  - .agpr_count:     0
    .args:
      - .offset:         0
        .size:           120
        .value_kind:     by_value
    .group_segment_fixed_size: 0
    .kernarg_segment_align: 8
    .kernarg_segment_size: 120
    .language:       OpenCL C
    .language_version:
      - 2
      - 0
    .max_flat_workgroup_size: 384
    .name:           _ZN7rocprim17ROCPRIM_400000_NS6detail17trampoline_kernelINS0_14default_configENS1_25partition_config_selectorILNS1_17partition_subalgoE9EllbEEZZNS1_14partition_implILS5_9ELb0ES3_jPlS8_PNS0_10empty_typeENS0_5tupleIJS8_S9_EEENSB_IJS8_SA_EEENS0_18inequality_wrapperIZN2at6native12_GLOBAL__N_124unique_dim_cuda_templateItEESt5tupleIJNSF_6TensorESK_SK_EERKSK_lbbbEUlllE0_EEPmJS9_EEE10hipError_tPvRmT3_T4_T5_T6_T7_T9_mT8_P12ihipStream_tbDpT10_ENKUlT_T0_E_clISt17integral_constantIbLb1EES19_IbLb0EEEEDaS15_S16_EUlS15_E_NS1_11comp_targetILNS1_3genE10ELNS1_11target_archE1200ELNS1_3gpuE4ELNS1_3repE0EEENS1_30default_config_static_selectorELNS0_4arch9wavefront6targetE1EEEvT1_
    .private_segment_fixed_size: 0
    .sgpr_count:     4
    .sgpr_spill_count: 0
    .symbol:         _ZN7rocprim17ROCPRIM_400000_NS6detail17trampoline_kernelINS0_14default_configENS1_25partition_config_selectorILNS1_17partition_subalgoE9EllbEEZZNS1_14partition_implILS5_9ELb0ES3_jPlS8_PNS0_10empty_typeENS0_5tupleIJS8_S9_EEENSB_IJS8_SA_EEENS0_18inequality_wrapperIZN2at6native12_GLOBAL__N_124unique_dim_cuda_templateItEESt5tupleIJNSF_6TensorESK_SK_EERKSK_lbbbEUlllE0_EEPmJS9_EEE10hipError_tPvRmT3_T4_T5_T6_T7_T9_mT8_P12ihipStream_tbDpT10_ENKUlT_T0_E_clISt17integral_constantIbLb1EES19_IbLb0EEEEDaS15_S16_EUlS15_E_NS1_11comp_targetILNS1_3genE10ELNS1_11target_archE1200ELNS1_3gpuE4ELNS1_3repE0EEENS1_30default_config_static_selectorELNS0_4arch9wavefront6targetE1EEEvT1_.kd
    .uniform_work_group_size: 1
    .uses_dynamic_stack: false
    .vgpr_count:     0
    .vgpr_spill_count: 0
    .wavefront_size: 64
  - .agpr_count:     0
    .args:
      - .offset:         0
        .size:           120
        .value_kind:     by_value
    .group_segment_fixed_size: 0
    .kernarg_segment_align: 8
    .kernarg_segment_size: 120
    .language:       OpenCL C
    .language_version:
      - 2
      - 0
    .max_flat_workgroup_size: 512
    .name:           _ZN7rocprim17ROCPRIM_400000_NS6detail17trampoline_kernelINS0_14default_configENS1_25partition_config_selectorILNS1_17partition_subalgoE9EllbEEZZNS1_14partition_implILS5_9ELb0ES3_jPlS8_PNS0_10empty_typeENS0_5tupleIJS8_S9_EEENSB_IJS8_SA_EEENS0_18inequality_wrapperIZN2at6native12_GLOBAL__N_124unique_dim_cuda_templateItEESt5tupleIJNSF_6TensorESK_SK_EERKSK_lbbbEUlllE0_EEPmJS9_EEE10hipError_tPvRmT3_T4_T5_T6_T7_T9_mT8_P12ihipStream_tbDpT10_ENKUlT_T0_E_clISt17integral_constantIbLb1EES19_IbLb0EEEEDaS15_S16_EUlS15_E_NS1_11comp_targetILNS1_3genE9ELNS1_11target_archE1100ELNS1_3gpuE3ELNS1_3repE0EEENS1_30default_config_static_selectorELNS0_4arch9wavefront6targetE1EEEvT1_
    .private_segment_fixed_size: 0
    .sgpr_count:     4
    .sgpr_spill_count: 0
    .symbol:         _ZN7rocprim17ROCPRIM_400000_NS6detail17trampoline_kernelINS0_14default_configENS1_25partition_config_selectorILNS1_17partition_subalgoE9EllbEEZZNS1_14partition_implILS5_9ELb0ES3_jPlS8_PNS0_10empty_typeENS0_5tupleIJS8_S9_EEENSB_IJS8_SA_EEENS0_18inequality_wrapperIZN2at6native12_GLOBAL__N_124unique_dim_cuda_templateItEESt5tupleIJNSF_6TensorESK_SK_EERKSK_lbbbEUlllE0_EEPmJS9_EEE10hipError_tPvRmT3_T4_T5_T6_T7_T9_mT8_P12ihipStream_tbDpT10_ENKUlT_T0_E_clISt17integral_constantIbLb1EES19_IbLb0EEEEDaS15_S16_EUlS15_E_NS1_11comp_targetILNS1_3genE9ELNS1_11target_archE1100ELNS1_3gpuE3ELNS1_3repE0EEENS1_30default_config_static_selectorELNS0_4arch9wavefront6targetE1EEEvT1_.kd
    .uniform_work_group_size: 1
    .uses_dynamic_stack: false
    .vgpr_count:     0
    .vgpr_spill_count: 0
    .wavefront_size: 64
  - .agpr_count:     0
    .args:
      - .offset:         0
        .size:           120
        .value_kind:     by_value
    .group_segment_fixed_size: 0
    .kernarg_segment_align: 8
    .kernarg_segment_size: 120
    .language:       OpenCL C
    .language_version:
      - 2
      - 0
    .max_flat_workgroup_size: 512
    .name:           _ZN7rocprim17ROCPRIM_400000_NS6detail17trampoline_kernelINS0_14default_configENS1_25partition_config_selectorILNS1_17partition_subalgoE9EllbEEZZNS1_14partition_implILS5_9ELb0ES3_jPlS8_PNS0_10empty_typeENS0_5tupleIJS8_S9_EEENSB_IJS8_SA_EEENS0_18inequality_wrapperIZN2at6native12_GLOBAL__N_124unique_dim_cuda_templateItEESt5tupleIJNSF_6TensorESK_SK_EERKSK_lbbbEUlllE0_EEPmJS9_EEE10hipError_tPvRmT3_T4_T5_T6_T7_T9_mT8_P12ihipStream_tbDpT10_ENKUlT_T0_E_clISt17integral_constantIbLb1EES19_IbLb0EEEEDaS15_S16_EUlS15_E_NS1_11comp_targetILNS1_3genE8ELNS1_11target_archE1030ELNS1_3gpuE2ELNS1_3repE0EEENS1_30default_config_static_selectorELNS0_4arch9wavefront6targetE1EEEvT1_
    .private_segment_fixed_size: 0
    .sgpr_count:     4
    .sgpr_spill_count: 0
    .symbol:         _ZN7rocprim17ROCPRIM_400000_NS6detail17trampoline_kernelINS0_14default_configENS1_25partition_config_selectorILNS1_17partition_subalgoE9EllbEEZZNS1_14partition_implILS5_9ELb0ES3_jPlS8_PNS0_10empty_typeENS0_5tupleIJS8_S9_EEENSB_IJS8_SA_EEENS0_18inequality_wrapperIZN2at6native12_GLOBAL__N_124unique_dim_cuda_templateItEESt5tupleIJNSF_6TensorESK_SK_EERKSK_lbbbEUlllE0_EEPmJS9_EEE10hipError_tPvRmT3_T4_T5_T6_T7_T9_mT8_P12ihipStream_tbDpT10_ENKUlT_T0_E_clISt17integral_constantIbLb1EES19_IbLb0EEEEDaS15_S16_EUlS15_E_NS1_11comp_targetILNS1_3genE8ELNS1_11target_archE1030ELNS1_3gpuE2ELNS1_3repE0EEENS1_30default_config_static_selectorELNS0_4arch9wavefront6targetE1EEEvT1_.kd
    .uniform_work_group_size: 1
    .uses_dynamic_stack: false
    .vgpr_count:     0
    .vgpr_spill_count: 0
    .wavefront_size: 64
  - .agpr_count:     0
    .args:
      - .offset:         0
        .size:           136
        .value_kind:     by_value
    .group_segment_fixed_size: 0
    .kernarg_segment_align: 8
    .kernarg_segment_size: 136
    .language:       OpenCL C
    .language_version:
      - 2
      - 0
    .max_flat_workgroup_size: 128
    .name:           _ZN7rocprim17ROCPRIM_400000_NS6detail17trampoline_kernelINS0_14default_configENS1_25partition_config_selectorILNS1_17partition_subalgoE9EllbEEZZNS1_14partition_implILS5_9ELb0ES3_jPlS8_PNS0_10empty_typeENS0_5tupleIJS8_S9_EEENSB_IJS8_SA_EEENS0_18inequality_wrapperIZN2at6native12_GLOBAL__N_124unique_dim_cuda_templateItEESt5tupleIJNSF_6TensorESK_SK_EERKSK_lbbbEUlllE0_EEPmJS9_EEE10hipError_tPvRmT3_T4_T5_T6_T7_T9_mT8_P12ihipStream_tbDpT10_ENKUlT_T0_E_clISt17integral_constantIbLb0EES19_IbLb1EEEEDaS15_S16_EUlS15_E_NS1_11comp_targetILNS1_3genE0ELNS1_11target_archE4294967295ELNS1_3gpuE0ELNS1_3repE0EEENS1_30default_config_static_selectorELNS0_4arch9wavefront6targetE1EEEvT1_
    .private_segment_fixed_size: 0
    .sgpr_count:     4
    .sgpr_spill_count: 0
    .symbol:         _ZN7rocprim17ROCPRIM_400000_NS6detail17trampoline_kernelINS0_14default_configENS1_25partition_config_selectorILNS1_17partition_subalgoE9EllbEEZZNS1_14partition_implILS5_9ELb0ES3_jPlS8_PNS0_10empty_typeENS0_5tupleIJS8_S9_EEENSB_IJS8_SA_EEENS0_18inequality_wrapperIZN2at6native12_GLOBAL__N_124unique_dim_cuda_templateItEESt5tupleIJNSF_6TensorESK_SK_EERKSK_lbbbEUlllE0_EEPmJS9_EEE10hipError_tPvRmT3_T4_T5_T6_T7_T9_mT8_P12ihipStream_tbDpT10_ENKUlT_T0_E_clISt17integral_constantIbLb0EES19_IbLb1EEEEDaS15_S16_EUlS15_E_NS1_11comp_targetILNS1_3genE0ELNS1_11target_archE4294967295ELNS1_3gpuE0ELNS1_3repE0EEENS1_30default_config_static_selectorELNS0_4arch9wavefront6targetE1EEEvT1_.kd
    .uniform_work_group_size: 1
    .uses_dynamic_stack: false
    .vgpr_count:     0
    .vgpr_spill_count: 0
    .wavefront_size: 64
  - .agpr_count:     0
    .args:
      - .offset:         0
        .size:           136
        .value_kind:     by_value
    .group_segment_fixed_size: 0
    .kernarg_segment_align: 8
    .kernarg_segment_size: 136
    .language:       OpenCL C
    .language_version:
      - 2
      - 0
    .max_flat_workgroup_size: 512
    .name:           _ZN7rocprim17ROCPRIM_400000_NS6detail17trampoline_kernelINS0_14default_configENS1_25partition_config_selectorILNS1_17partition_subalgoE9EllbEEZZNS1_14partition_implILS5_9ELb0ES3_jPlS8_PNS0_10empty_typeENS0_5tupleIJS8_S9_EEENSB_IJS8_SA_EEENS0_18inequality_wrapperIZN2at6native12_GLOBAL__N_124unique_dim_cuda_templateItEESt5tupleIJNSF_6TensorESK_SK_EERKSK_lbbbEUlllE0_EEPmJS9_EEE10hipError_tPvRmT3_T4_T5_T6_T7_T9_mT8_P12ihipStream_tbDpT10_ENKUlT_T0_E_clISt17integral_constantIbLb0EES19_IbLb1EEEEDaS15_S16_EUlS15_E_NS1_11comp_targetILNS1_3genE5ELNS1_11target_archE942ELNS1_3gpuE9ELNS1_3repE0EEENS1_30default_config_static_selectorELNS0_4arch9wavefront6targetE1EEEvT1_
    .private_segment_fixed_size: 0
    .sgpr_count:     4
    .sgpr_spill_count: 0
    .symbol:         _ZN7rocprim17ROCPRIM_400000_NS6detail17trampoline_kernelINS0_14default_configENS1_25partition_config_selectorILNS1_17partition_subalgoE9EllbEEZZNS1_14partition_implILS5_9ELb0ES3_jPlS8_PNS0_10empty_typeENS0_5tupleIJS8_S9_EEENSB_IJS8_SA_EEENS0_18inequality_wrapperIZN2at6native12_GLOBAL__N_124unique_dim_cuda_templateItEESt5tupleIJNSF_6TensorESK_SK_EERKSK_lbbbEUlllE0_EEPmJS9_EEE10hipError_tPvRmT3_T4_T5_T6_T7_T9_mT8_P12ihipStream_tbDpT10_ENKUlT_T0_E_clISt17integral_constantIbLb0EES19_IbLb1EEEEDaS15_S16_EUlS15_E_NS1_11comp_targetILNS1_3genE5ELNS1_11target_archE942ELNS1_3gpuE9ELNS1_3repE0EEENS1_30default_config_static_selectorELNS0_4arch9wavefront6targetE1EEEvT1_.kd
    .uniform_work_group_size: 1
    .uses_dynamic_stack: false
    .vgpr_count:     0
    .vgpr_spill_count: 0
    .wavefront_size: 64
  - .agpr_count:     0
    .args:
      - .offset:         0
        .size:           136
        .value_kind:     by_value
    .group_segment_fixed_size: 4236
    .kernarg_segment_align: 8
    .kernarg_segment_size: 136
    .language:       OpenCL C
    .language_version:
      - 2
      - 0
    .max_flat_workgroup_size: 128
    .name:           _ZN7rocprim17ROCPRIM_400000_NS6detail17trampoline_kernelINS0_14default_configENS1_25partition_config_selectorILNS1_17partition_subalgoE9EllbEEZZNS1_14partition_implILS5_9ELb0ES3_jPlS8_PNS0_10empty_typeENS0_5tupleIJS8_S9_EEENSB_IJS8_SA_EEENS0_18inequality_wrapperIZN2at6native12_GLOBAL__N_124unique_dim_cuda_templateItEESt5tupleIJNSF_6TensorESK_SK_EERKSK_lbbbEUlllE0_EEPmJS9_EEE10hipError_tPvRmT3_T4_T5_T6_T7_T9_mT8_P12ihipStream_tbDpT10_ENKUlT_T0_E_clISt17integral_constantIbLb0EES19_IbLb1EEEEDaS15_S16_EUlS15_E_NS1_11comp_targetILNS1_3genE4ELNS1_11target_archE910ELNS1_3gpuE8ELNS1_3repE0EEENS1_30default_config_static_selectorELNS0_4arch9wavefront6targetE1EEEvT1_
    .private_segment_fixed_size: 0
    .sgpr_count:     56
    .sgpr_spill_count: 0
    .symbol:         _ZN7rocprim17ROCPRIM_400000_NS6detail17trampoline_kernelINS0_14default_configENS1_25partition_config_selectorILNS1_17partition_subalgoE9EllbEEZZNS1_14partition_implILS5_9ELb0ES3_jPlS8_PNS0_10empty_typeENS0_5tupleIJS8_S9_EEENSB_IJS8_SA_EEENS0_18inequality_wrapperIZN2at6native12_GLOBAL__N_124unique_dim_cuda_templateItEESt5tupleIJNSF_6TensorESK_SK_EERKSK_lbbbEUlllE0_EEPmJS9_EEE10hipError_tPvRmT3_T4_T5_T6_T7_T9_mT8_P12ihipStream_tbDpT10_ENKUlT_T0_E_clISt17integral_constantIbLb0EES19_IbLb1EEEEDaS15_S16_EUlS15_E_NS1_11comp_targetILNS1_3genE4ELNS1_11target_archE910ELNS1_3gpuE8ELNS1_3repE0EEENS1_30default_config_static_selectorELNS0_4arch9wavefront6targetE1EEEvT1_.kd
    .uniform_work_group_size: 1
    .uses_dynamic_stack: false
    .vgpr_count:     50
    .vgpr_spill_count: 0
    .wavefront_size: 64
  - .agpr_count:     0
    .args:
      - .offset:         0
        .size:           136
        .value_kind:     by_value
    .group_segment_fixed_size: 0
    .kernarg_segment_align: 8
    .kernarg_segment_size: 136
    .language:       OpenCL C
    .language_version:
      - 2
      - 0
    .max_flat_workgroup_size: 128
    .name:           _ZN7rocprim17ROCPRIM_400000_NS6detail17trampoline_kernelINS0_14default_configENS1_25partition_config_selectorILNS1_17partition_subalgoE9EllbEEZZNS1_14partition_implILS5_9ELb0ES3_jPlS8_PNS0_10empty_typeENS0_5tupleIJS8_S9_EEENSB_IJS8_SA_EEENS0_18inequality_wrapperIZN2at6native12_GLOBAL__N_124unique_dim_cuda_templateItEESt5tupleIJNSF_6TensorESK_SK_EERKSK_lbbbEUlllE0_EEPmJS9_EEE10hipError_tPvRmT3_T4_T5_T6_T7_T9_mT8_P12ihipStream_tbDpT10_ENKUlT_T0_E_clISt17integral_constantIbLb0EES19_IbLb1EEEEDaS15_S16_EUlS15_E_NS1_11comp_targetILNS1_3genE3ELNS1_11target_archE908ELNS1_3gpuE7ELNS1_3repE0EEENS1_30default_config_static_selectorELNS0_4arch9wavefront6targetE1EEEvT1_
    .private_segment_fixed_size: 0
    .sgpr_count:     4
    .sgpr_spill_count: 0
    .symbol:         _ZN7rocprim17ROCPRIM_400000_NS6detail17trampoline_kernelINS0_14default_configENS1_25partition_config_selectorILNS1_17partition_subalgoE9EllbEEZZNS1_14partition_implILS5_9ELb0ES3_jPlS8_PNS0_10empty_typeENS0_5tupleIJS8_S9_EEENSB_IJS8_SA_EEENS0_18inequality_wrapperIZN2at6native12_GLOBAL__N_124unique_dim_cuda_templateItEESt5tupleIJNSF_6TensorESK_SK_EERKSK_lbbbEUlllE0_EEPmJS9_EEE10hipError_tPvRmT3_T4_T5_T6_T7_T9_mT8_P12ihipStream_tbDpT10_ENKUlT_T0_E_clISt17integral_constantIbLb0EES19_IbLb1EEEEDaS15_S16_EUlS15_E_NS1_11comp_targetILNS1_3genE3ELNS1_11target_archE908ELNS1_3gpuE7ELNS1_3repE0EEENS1_30default_config_static_selectorELNS0_4arch9wavefront6targetE1EEEvT1_.kd
    .uniform_work_group_size: 1
    .uses_dynamic_stack: false
    .vgpr_count:     0
    .vgpr_spill_count: 0
    .wavefront_size: 64
  - .agpr_count:     0
    .args:
      - .offset:         0
        .size:           136
        .value_kind:     by_value
    .group_segment_fixed_size: 0
    .kernarg_segment_align: 8
    .kernarg_segment_size: 136
    .language:       OpenCL C
    .language_version:
      - 2
      - 0
    .max_flat_workgroup_size: 192
    .name:           _ZN7rocprim17ROCPRIM_400000_NS6detail17trampoline_kernelINS0_14default_configENS1_25partition_config_selectorILNS1_17partition_subalgoE9EllbEEZZNS1_14partition_implILS5_9ELb0ES3_jPlS8_PNS0_10empty_typeENS0_5tupleIJS8_S9_EEENSB_IJS8_SA_EEENS0_18inequality_wrapperIZN2at6native12_GLOBAL__N_124unique_dim_cuda_templateItEESt5tupleIJNSF_6TensorESK_SK_EERKSK_lbbbEUlllE0_EEPmJS9_EEE10hipError_tPvRmT3_T4_T5_T6_T7_T9_mT8_P12ihipStream_tbDpT10_ENKUlT_T0_E_clISt17integral_constantIbLb0EES19_IbLb1EEEEDaS15_S16_EUlS15_E_NS1_11comp_targetILNS1_3genE2ELNS1_11target_archE906ELNS1_3gpuE6ELNS1_3repE0EEENS1_30default_config_static_selectorELNS0_4arch9wavefront6targetE1EEEvT1_
    .private_segment_fixed_size: 0
    .sgpr_count:     4
    .sgpr_spill_count: 0
    .symbol:         _ZN7rocprim17ROCPRIM_400000_NS6detail17trampoline_kernelINS0_14default_configENS1_25partition_config_selectorILNS1_17partition_subalgoE9EllbEEZZNS1_14partition_implILS5_9ELb0ES3_jPlS8_PNS0_10empty_typeENS0_5tupleIJS8_S9_EEENSB_IJS8_SA_EEENS0_18inequality_wrapperIZN2at6native12_GLOBAL__N_124unique_dim_cuda_templateItEESt5tupleIJNSF_6TensorESK_SK_EERKSK_lbbbEUlllE0_EEPmJS9_EEE10hipError_tPvRmT3_T4_T5_T6_T7_T9_mT8_P12ihipStream_tbDpT10_ENKUlT_T0_E_clISt17integral_constantIbLb0EES19_IbLb1EEEEDaS15_S16_EUlS15_E_NS1_11comp_targetILNS1_3genE2ELNS1_11target_archE906ELNS1_3gpuE6ELNS1_3repE0EEENS1_30default_config_static_selectorELNS0_4arch9wavefront6targetE1EEEvT1_.kd
    .uniform_work_group_size: 1
    .uses_dynamic_stack: false
    .vgpr_count:     0
    .vgpr_spill_count: 0
    .wavefront_size: 64
  - .agpr_count:     0
    .args:
      - .offset:         0
        .size:           136
        .value_kind:     by_value
    .group_segment_fixed_size: 0
    .kernarg_segment_align: 8
    .kernarg_segment_size: 136
    .language:       OpenCL C
    .language_version:
      - 2
      - 0
    .max_flat_workgroup_size: 384
    .name:           _ZN7rocprim17ROCPRIM_400000_NS6detail17trampoline_kernelINS0_14default_configENS1_25partition_config_selectorILNS1_17partition_subalgoE9EllbEEZZNS1_14partition_implILS5_9ELb0ES3_jPlS8_PNS0_10empty_typeENS0_5tupleIJS8_S9_EEENSB_IJS8_SA_EEENS0_18inequality_wrapperIZN2at6native12_GLOBAL__N_124unique_dim_cuda_templateItEESt5tupleIJNSF_6TensorESK_SK_EERKSK_lbbbEUlllE0_EEPmJS9_EEE10hipError_tPvRmT3_T4_T5_T6_T7_T9_mT8_P12ihipStream_tbDpT10_ENKUlT_T0_E_clISt17integral_constantIbLb0EES19_IbLb1EEEEDaS15_S16_EUlS15_E_NS1_11comp_targetILNS1_3genE10ELNS1_11target_archE1200ELNS1_3gpuE4ELNS1_3repE0EEENS1_30default_config_static_selectorELNS0_4arch9wavefront6targetE1EEEvT1_
    .private_segment_fixed_size: 0
    .sgpr_count:     4
    .sgpr_spill_count: 0
    .symbol:         _ZN7rocprim17ROCPRIM_400000_NS6detail17trampoline_kernelINS0_14default_configENS1_25partition_config_selectorILNS1_17partition_subalgoE9EllbEEZZNS1_14partition_implILS5_9ELb0ES3_jPlS8_PNS0_10empty_typeENS0_5tupleIJS8_S9_EEENSB_IJS8_SA_EEENS0_18inequality_wrapperIZN2at6native12_GLOBAL__N_124unique_dim_cuda_templateItEESt5tupleIJNSF_6TensorESK_SK_EERKSK_lbbbEUlllE0_EEPmJS9_EEE10hipError_tPvRmT3_T4_T5_T6_T7_T9_mT8_P12ihipStream_tbDpT10_ENKUlT_T0_E_clISt17integral_constantIbLb0EES19_IbLb1EEEEDaS15_S16_EUlS15_E_NS1_11comp_targetILNS1_3genE10ELNS1_11target_archE1200ELNS1_3gpuE4ELNS1_3repE0EEENS1_30default_config_static_selectorELNS0_4arch9wavefront6targetE1EEEvT1_.kd
    .uniform_work_group_size: 1
    .uses_dynamic_stack: false
    .vgpr_count:     0
    .vgpr_spill_count: 0
    .wavefront_size: 64
  - .agpr_count:     0
    .args:
      - .offset:         0
        .size:           136
        .value_kind:     by_value
    .group_segment_fixed_size: 0
    .kernarg_segment_align: 8
    .kernarg_segment_size: 136
    .language:       OpenCL C
    .language_version:
      - 2
      - 0
    .max_flat_workgroup_size: 512
    .name:           _ZN7rocprim17ROCPRIM_400000_NS6detail17trampoline_kernelINS0_14default_configENS1_25partition_config_selectorILNS1_17partition_subalgoE9EllbEEZZNS1_14partition_implILS5_9ELb0ES3_jPlS8_PNS0_10empty_typeENS0_5tupleIJS8_S9_EEENSB_IJS8_SA_EEENS0_18inequality_wrapperIZN2at6native12_GLOBAL__N_124unique_dim_cuda_templateItEESt5tupleIJNSF_6TensorESK_SK_EERKSK_lbbbEUlllE0_EEPmJS9_EEE10hipError_tPvRmT3_T4_T5_T6_T7_T9_mT8_P12ihipStream_tbDpT10_ENKUlT_T0_E_clISt17integral_constantIbLb0EES19_IbLb1EEEEDaS15_S16_EUlS15_E_NS1_11comp_targetILNS1_3genE9ELNS1_11target_archE1100ELNS1_3gpuE3ELNS1_3repE0EEENS1_30default_config_static_selectorELNS0_4arch9wavefront6targetE1EEEvT1_
    .private_segment_fixed_size: 0
    .sgpr_count:     4
    .sgpr_spill_count: 0
    .symbol:         _ZN7rocprim17ROCPRIM_400000_NS6detail17trampoline_kernelINS0_14default_configENS1_25partition_config_selectorILNS1_17partition_subalgoE9EllbEEZZNS1_14partition_implILS5_9ELb0ES3_jPlS8_PNS0_10empty_typeENS0_5tupleIJS8_S9_EEENSB_IJS8_SA_EEENS0_18inequality_wrapperIZN2at6native12_GLOBAL__N_124unique_dim_cuda_templateItEESt5tupleIJNSF_6TensorESK_SK_EERKSK_lbbbEUlllE0_EEPmJS9_EEE10hipError_tPvRmT3_T4_T5_T6_T7_T9_mT8_P12ihipStream_tbDpT10_ENKUlT_T0_E_clISt17integral_constantIbLb0EES19_IbLb1EEEEDaS15_S16_EUlS15_E_NS1_11comp_targetILNS1_3genE9ELNS1_11target_archE1100ELNS1_3gpuE3ELNS1_3repE0EEENS1_30default_config_static_selectorELNS0_4arch9wavefront6targetE1EEEvT1_.kd
    .uniform_work_group_size: 1
    .uses_dynamic_stack: false
    .vgpr_count:     0
    .vgpr_spill_count: 0
    .wavefront_size: 64
  - .agpr_count:     0
    .args:
      - .offset:         0
        .size:           136
        .value_kind:     by_value
    .group_segment_fixed_size: 0
    .kernarg_segment_align: 8
    .kernarg_segment_size: 136
    .language:       OpenCL C
    .language_version:
      - 2
      - 0
    .max_flat_workgroup_size: 512
    .name:           _ZN7rocprim17ROCPRIM_400000_NS6detail17trampoline_kernelINS0_14default_configENS1_25partition_config_selectorILNS1_17partition_subalgoE9EllbEEZZNS1_14partition_implILS5_9ELb0ES3_jPlS8_PNS0_10empty_typeENS0_5tupleIJS8_S9_EEENSB_IJS8_SA_EEENS0_18inequality_wrapperIZN2at6native12_GLOBAL__N_124unique_dim_cuda_templateItEESt5tupleIJNSF_6TensorESK_SK_EERKSK_lbbbEUlllE0_EEPmJS9_EEE10hipError_tPvRmT3_T4_T5_T6_T7_T9_mT8_P12ihipStream_tbDpT10_ENKUlT_T0_E_clISt17integral_constantIbLb0EES19_IbLb1EEEEDaS15_S16_EUlS15_E_NS1_11comp_targetILNS1_3genE8ELNS1_11target_archE1030ELNS1_3gpuE2ELNS1_3repE0EEENS1_30default_config_static_selectorELNS0_4arch9wavefront6targetE1EEEvT1_
    .private_segment_fixed_size: 0
    .sgpr_count:     4
    .sgpr_spill_count: 0
    .symbol:         _ZN7rocprim17ROCPRIM_400000_NS6detail17trampoline_kernelINS0_14default_configENS1_25partition_config_selectorILNS1_17partition_subalgoE9EllbEEZZNS1_14partition_implILS5_9ELb0ES3_jPlS8_PNS0_10empty_typeENS0_5tupleIJS8_S9_EEENSB_IJS8_SA_EEENS0_18inequality_wrapperIZN2at6native12_GLOBAL__N_124unique_dim_cuda_templateItEESt5tupleIJNSF_6TensorESK_SK_EERKSK_lbbbEUlllE0_EEPmJS9_EEE10hipError_tPvRmT3_T4_T5_T6_T7_T9_mT8_P12ihipStream_tbDpT10_ENKUlT_T0_E_clISt17integral_constantIbLb0EES19_IbLb1EEEEDaS15_S16_EUlS15_E_NS1_11comp_targetILNS1_3genE8ELNS1_11target_archE1030ELNS1_3gpuE2ELNS1_3repE0EEENS1_30default_config_static_selectorELNS0_4arch9wavefront6targetE1EEEvT1_.kd
    .uniform_work_group_size: 1
    .uses_dynamic_stack: false
    .vgpr_count:     0
    .vgpr_spill_count: 0
    .wavefront_size: 64
  - .agpr_count:     0
    .args:
      - .offset:         0
        .size:           72
        .value_kind:     by_value
    .group_segment_fixed_size: 0
    .kernarg_segment_align: 8
    .kernarg_segment_size: 72
    .language:       OpenCL C
    .language_version:
      - 2
      - 0
    .max_flat_workgroup_size: 256
    .name:           _ZN7rocprim17ROCPRIM_400000_NS6detail17trampoline_kernelINS0_14default_configENS1_37merge_sort_block_sort_config_selectorIlNS0_10empty_typeEEEZNS1_21merge_sort_block_sortIS3_PlS8_PS5_S9_ZN2at6native12_GLOBAL__N_124unique_dim_cuda_templateIjEESt5tupleIJNSA_6TensorESF_SF_EERKSF_lbbbEUlllE_EE10hipError_tT0_T1_T2_T3_mRjT4_P12ihipStream_tbNS1_7vsmem_tEEUlT_E_NS1_11comp_targetILNS1_3genE0ELNS1_11target_archE4294967295ELNS1_3gpuE0ELNS1_3repE0EEENS1_30default_config_static_selectorELNS0_4arch9wavefront6targetE1EEEvSM_
    .private_segment_fixed_size: 0
    .sgpr_count:     4
    .sgpr_spill_count: 0
    .symbol:         _ZN7rocprim17ROCPRIM_400000_NS6detail17trampoline_kernelINS0_14default_configENS1_37merge_sort_block_sort_config_selectorIlNS0_10empty_typeEEEZNS1_21merge_sort_block_sortIS3_PlS8_PS5_S9_ZN2at6native12_GLOBAL__N_124unique_dim_cuda_templateIjEESt5tupleIJNSA_6TensorESF_SF_EERKSF_lbbbEUlllE_EE10hipError_tT0_T1_T2_T3_mRjT4_P12ihipStream_tbNS1_7vsmem_tEEUlT_E_NS1_11comp_targetILNS1_3genE0ELNS1_11target_archE4294967295ELNS1_3gpuE0ELNS1_3repE0EEENS1_30default_config_static_selectorELNS0_4arch9wavefront6targetE1EEEvSM_.kd
    .uniform_work_group_size: 1
    .uses_dynamic_stack: false
    .vgpr_count:     0
    .vgpr_spill_count: 0
    .wavefront_size: 64
  - .agpr_count:     0
    .args:
      - .offset:         0
        .size:           72
        .value_kind:     by_value
    .group_segment_fixed_size: 0
    .kernarg_segment_align: 8
    .kernarg_segment_size: 72
    .language:       OpenCL C
    .language_version:
      - 2
      - 0
    .max_flat_workgroup_size: 256
    .name:           _ZN7rocprim17ROCPRIM_400000_NS6detail17trampoline_kernelINS0_14default_configENS1_37merge_sort_block_sort_config_selectorIlNS0_10empty_typeEEEZNS1_21merge_sort_block_sortIS3_PlS8_PS5_S9_ZN2at6native12_GLOBAL__N_124unique_dim_cuda_templateIjEESt5tupleIJNSA_6TensorESF_SF_EERKSF_lbbbEUlllE_EE10hipError_tT0_T1_T2_T3_mRjT4_P12ihipStream_tbNS1_7vsmem_tEEUlT_E_NS1_11comp_targetILNS1_3genE5ELNS1_11target_archE942ELNS1_3gpuE9ELNS1_3repE0EEENS1_30default_config_static_selectorELNS0_4arch9wavefront6targetE1EEEvSM_
    .private_segment_fixed_size: 0
    .sgpr_count:     4
    .sgpr_spill_count: 0
    .symbol:         _ZN7rocprim17ROCPRIM_400000_NS6detail17trampoline_kernelINS0_14default_configENS1_37merge_sort_block_sort_config_selectorIlNS0_10empty_typeEEEZNS1_21merge_sort_block_sortIS3_PlS8_PS5_S9_ZN2at6native12_GLOBAL__N_124unique_dim_cuda_templateIjEESt5tupleIJNSA_6TensorESF_SF_EERKSF_lbbbEUlllE_EE10hipError_tT0_T1_T2_T3_mRjT4_P12ihipStream_tbNS1_7vsmem_tEEUlT_E_NS1_11comp_targetILNS1_3genE5ELNS1_11target_archE942ELNS1_3gpuE9ELNS1_3repE0EEENS1_30default_config_static_selectorELNS0_4arch9wavefront6targetE1EEEvSM_.kd
    .uniform_work_group_size: 1
    .uses_dynamic_stack: false
    .vgpr_count:     0
    .vgpr_spill_count: 0
    .wavefront_size: 64
  - .agpr_count:     0
    .args:
      - .offset:         0
        .size:           72
        .value_kind:     by_value
      - .offset:         72
        .size:           4
        .value_kind:     hidden_block_count_x
      - .offset:         76
        .size:           4
        .value_kind:     hidden_block_count_y
      - .offset:         80
        .size:           4
        .value_kind:     hidden_block_count_z
      - .offset:         84
        .size:           2
        .value_kind:     hidden_group_size_x
      - .offset:         86
        .size:           2
        .value_kind:     hidden_group_size_y
      - .offset:         88
        .size:           2
        .value_kind:     hidden_group_size_z
      - .offset:         90
        .size:           2
        .value_kind:     hidden_remainder_x
      - .offset:         92
        .size:           2
        .value_kind:     hidden_remainder_y
      - .offset:         94
        .size:           2
        .value_kind:     hidden_remainder_z
      - .offset:         112
        .size:           8
        .value_kind:     hidden_global_offset_x
      - .offset:         120
        .size:           8
        .value_kind:     hidden_global_offset_y
      - .offset:         128
        .size:           8
        .value_kind:     hidden_global_offset_z
      - .offset:         136
        .size:           2
        .value_kind:     hidden_grid_dims
    .group_segment_fixed_size: 8448
    .kernarg_segment_align: 8
    .kernarg_segment_size: 328
    .language:       OpenCL C
    .language_version:
      - 2
      - 0
    .max_flat_workgroup_size: 256
    .name:           _ZN7rocprim17ROCPRIM_400000_NS6detail17trampoline_kernelINS0_14default_configENS1_37merge_sort_block_sort_config_selectorIlNS0_10empty_typeEEEZNS1_21merge_sort_block_sortIS3_PlS8_PS5_S9_ZN2at6native12_GLOBAL__N_124unique_dim_cuda_templateIjEESt5tupleIJNSA_6TensorESF_SF_EERKSF_lbbbEUlllE_EE10hipError_tT0_T1_T2_T3_mRjT4_P12ihipStream_tbNS1_7vsmem_tEEUlT_E_NS1_11comp_targetILNS1_3genE4ELNS1_11target_archE910ELNS1_3gpuE8ELNS1_3repE0EEENS1_30default_config_static_selectorELNS0_4arch9wavefront6targetE1EEEvSM_
    .private_segment_fixed_size: 0
    .sgpr_count:     58
    .sgpr_spill_count: 0
    .symbol:         _ZN7rocprim17ROCPRIM_400000_NS6detail17trampoline_kernelINS0_14default_configENS1_37merge_sort_block_sort_config_selectorIlNS0_10empty_typeEEEZNS1_21merge_sort_block_sortIS3_PlS8_PS5_S9_ZN2at6native12_GLOBAL__N_124unique_dim_cuda_templateIjEESt5tupleIJNSA_6TensorESF_SF_EERKSF_lbbbEUlllE_EE10hipError_tT0_T1_T2_T3_mRjT4_P12ihipStream_tbNS1_7vsmem_tEEUlT_E_NS1_11comp_targetILNS1_3genE4ELNS1_11target_archE910ELNS1_3gpuE8ELNS1_3repE0EEENS1_30default_config_static_selectorELNS0_4arch9wavefront6targetE1EEEvSM_.kd
    .uniform_work_group_size: 1
    .uses_dynamic_stack: false
    .vgpr_count:     46
    .vgpr_spill_count: 0
    .wavefront_size: 64
  - .agpr_count:     0
    .args:
      - .offset:         0
        .size:           72
        .value_kind:     by_value
    .group_segment_fixed_size: 0
    .kernarg_segment_align: 8
    .kernarg_segment_size: 72
    .language:       OpenCL C
    .language_version:
      - 2
      - 0
    .max_flat_workgroup_size: 256
    .name:           _ZN7rocprim17ROCPRIM_400000_NS6detail17trampoline_kernelINS0_14default_configENS1_37merge_sort_block_sort_config_selectorIlNS0_10empty_typeEEEZNS1_21merge_sort_block_sortIS3_PlS8_PS5_S9_ZN2at6native12_GLOBAL__N_124unique_dim_cuda_templateIjEESt5tupleIJNSA_6TensorESF_SF_EERKSF_lbbbEUlllE_EE10hipError_tT0_T1_T2_T3_mRjT4_P12ihipStream_tbNS1_7vsmem_tEEUlT_E_NS1_11comp_targetILNS1_3genE3ELNS1_11target_archE908ELNS1_3gpuE7ELNS1_3repE0EEENS1_30default_config_static_selectorELNS0_4arch9wavefront6targetE1EEEvSM_
    .private_segment_fixed_size: 0
    .sgpr_count:     4
    .sgpr_spill_count: 0
    .symbol:         _ZN7rocprim17ROCPRIM_400000_NS6detail17trampoline_kernelINS0_14default_configENS1_37merge_sort_block_sort_config_selectorIlNS0_10empty_typeEEEZNS1_21merge_sort_block_sortIS3_PlS8_PS5_S9_ZN2at6native12_GLOBAL__N_124unique_dim_cuda_templateIjEESt5tupleIJNSA_6TensorESF_SF_EERKSF_lbbbEUlllE_EE10hipError_tT0_T1_T2_T3_mRjT4_P12ihipStream_tbNS1_7vsmem_tEEUlT_E_NS1_11comp_targetILNS1_3genE3ELNS1_11target_archE908ELNS1_3gpuE7ELNS1_3repE0EEENS1_30default_config_static_selectorELNS0_4arch9wavefront6targetE1EEEvSM_.kd
    .uniform_work_group_size: 1
    .uses_dynamic_stack: false
    .vgpr_count:     0
    .vgpr_spill_count: 0
    .wavefront_size: 64
  - .agpr_count:     0
    .args:
      - .offset:         0
        .size:           72
        .value_kind:     by_value
    .group_segment_fixed_size: 0
    .kernarg_segment_align: 8
    .kernarg_segment_size: 72
    .language:       OpenCL C
    .language_version:
      - 2
      - 0
    .max_flat_workgroup_size: 256
    .name:           _ZN7rocprim17ROCPRIM_400000_NS6detail17trampoline_kernelINS0_14default_configENS1_37merge_sort_block_sort_config_selectorIlNS0_10empty_typeEEEZNS1_21merge_sort_block_sortIS3_PlS8_PS5_S9_ZN2at6native12_GLOBAL__N_124unique_dim_cuda_templateIjEESt5tupleIJNSA_6TensorESF_SF_EERKSF_lbbbEUlllE_EE10hipError_tT0_T1_T2_T3_mRjT4_P12ihipStream_tbNS1_7vsmem_tEEUlT_E_NS1_11comp_targetILNS1_3genE2ELNS1_11target_archE906ELNS1_3gpuE6ELNS1_3repE0EEENS1_30default_config_static_selectorELNS0_4arch9wavefront6targetE1EEEvSM_
    .private_segment_fixed_size: 0
    .sgpr_count:     4
    .sgpr_spill_count: 0
    .symbol:         _ZN7rocprim17ROCPRIM_400000_NS6detail17trampoline_kernelINS0_14default_configENS1_37merge_sort_block_sort_config_selectorIlNS0_10empty_typeEEEZNS1_21merge_sort_block_sortIS3_PlS8_PS5_S9_ZN2at6native12_GLOBAL__N_124unique_dim_cuda_templateIjEESt5tupleIJNSA_6TensorESF_SF_EERKSF_lbbbEUlllE_EE10hipError_tT0_T1_T2_T3_mRjT4_P12ihipStream_tbNS1_7vsmem_tEEUlT_E_NS1_11comp_targetILNS1_3genE2ELNS1_11target_archE906ELNS1_3gpuE6ELNS1_3repE0EEENS1_30default_config_static_selectorELNS0_4arch9wavefront6targetE1EEEvSM_.kd
    .uniform_work_group_size: 1
    .uses_dynamic_stack: false
    .vgpr_count:     0
    .vgpr_spill_count: 0
    .wavefront_size: 64
  - .agpr_count:     0
    .args:
      - .offset:         0
        .size:           72
        .value_kind:     by_value
    .group_segment_fixed_size: 0
    .kernarg_segment_align: 8
    .kernarg_segment_size: 72
    .language:       OpenCL C
    .language_version:
      - 2
      - 0
    .max_flat_workgroup_size: 256
    .name:           _ZN7rocprim17ROCPRIM_400000_NS6detail17trampoline_kernelINS0_14default_configENS1_37merge_sort_block_sort_config_selectorIlNS0_10empty_typeEEEZNS1_21merge_sort_block_sortIS3_PlS8_PS5_S9_ZN2at6native12_GLOBAL__N_124unique_dim_cuda_templateIjEESt5tupleIJNSA_6TensorESF_SF_EERKSF_lbbbEUlllE_EE10hipError_tT0_T1_T2_T3_mRjT4_P12ihipStream_tbNS1_7vsmem_tEEUlT_E_NS1_11comp_targetILNS1_3genE10ELNS1_11target_archE1201ELNS1_3gpuE5ELNS1_3repE0EEENS1_30default_config_static_selectorELNS0_4arch9wavefront6targetE1EEEvSM_
    .private_segment_fixed_size: 0
    .sgpr_count:     4
    .sgpr_spill_count: 0
    .symbol:         _ZN7rocprim17ROCPRIM_400000_NS6detail17trampoline_kernelINS0_14default_configENS1_37merge_sort_block_sort_config_selectorIlNS0_10empty_typeEEEZNS1_21merge_sort_block_sortIS3_PlS8_PS5_S9_ZN2at6native12_GLOBAL__N_124unique_dim_cuda_templateIjEESt5tupleIJNSA_6TensorESF_SF_EERKSF_lbbbEUlllE_EE10hipError_tT0_T1_T2_T3_mRjT4_P12ihipStream_tbNS1_7vsmem_tEEUlT_E_NS1_11comp_targetILNS1_3genE10ELNS1_11target_archE1201ELNS1_3gpuE5ELNS1_3repE0EEENS1_30default_config_static_selectorELNS0_4arch9wavefront6targetE1EEEvSM_.kd
    .uniform_work_group_size: 1
    .uses_dynamic_stack: false
    .vgpr_count:     0
    .vgpr_spill_count: 0
    .wavefront_size: 64
  - .agpr_count:     0
    .args:
      - .offset:         0
        .size:           72
        .value_kind:     by_value
    .group_segment_fixed_size: 0
    .kernarg_segment_align: 8
    .kernarg_segment_size: 72
    .language:       OpenCL C
    .language_version:
      - 2
      - 0
    .max_flat_workgroup_size: 512
    .name:           _ZN7rocprim17ROCPRIM_400000_NS6detail17trampoline_kernelINS0_14default_configENS1_37merge_sort_block_sort_config_selectorIlNS0_10empty_typeEEEZNS1_21merge_sort_block_sortIS3_PlS8_PS5_S9_ZN2at6native12_GLOBAL__N_124unique_dim_cuda_templateIjEESt5tupleIJNSA_6TensorESF_SF_EERKSF_lbbbEUlllE_EE10hipError_tT0_T1_T2_T3_mRjT4_P12ihipStream_tbNS1_7vsmem_tEEUlT_E_NS1_11comp_targetILNS1_3genE10ELNS1_11target_archE1200ELNS1_3gpuE4ELNS1_3repE0EEENS1_30default_config_static_selectorELNS0_4arch9wavefront6targetE1EEEvSM_
    .private_segment_fixed_size: 0
    .sgpr_count:     4
    .sgpr_spill_count: 0
    .symbol:         _ZN7rocprim17ROCPRIM_400000_NS6detail17trampoline_kernelINS0_14default_configENS1_37merge_sort_block_sort_config_selectorIlNS0_10empty_typeEEEZNS1_21merge_sort_block_sortIS3_PlS8_PS5_S9_ZN2at6native12_GLOBAL__N_124unique_dim_cuda_templateIjEESt5tupleIJNSA_6TensorESF_SF_EERKSF_lbbbEUlllE_EE10hipError_tT0_T1_T2_T3_mRjT4_P12ihipStream_tbNS1_7vsmem_tEEUlT_E_NS1_11comp_targetILNS1_3genE10ELNS1_11target_archE1200ELNS1_3gpuE4ELNS1_3repE0EEENS1_30default_config_static_selectorELNS0_4arch9wavefront6targetE1EEEvSM_.kd
    .uniform_work_group_size: 1
    .uses_dynamic_stack: false
    .vgpr_count:     0
    .vgpr_spill_count: 0
    .wavefront_size: 64
  - .agpr_count:     0
    .args:
      - .offset:         0
        .size:           72
        .value_kind:     by_value
    .group_segment_fixed_size: 0
    .kernarg_segment_align: 8
    .kernarg_segment_size: 72
    .language:       OpenCL C
    .language_version:
      - 2
      - 0
    .max_flat_workgroup_size: 256
    .name:           _ZN7rocprim17ROCPRIM_400000_NS6detail17trampoline_kernelINS0_14default_configENS1_37merge_sort_block_sort_config_selectorIlNS0_10empty_typeEEEZNS1_21merge_sort_block_sortIS3_PlS8_PS5_S9_ZN2at6native12_GLOBAL__N_124unique_dim_cuda_templateIjEESt5tupleIJNSA_6TensorESF_SF_EERKSF_lbbbEUlllE_EE10hipError_tT0_T1_T2_T3_mRjT4_P12ihipStream_tbNS1_7vsmem_tEEUlT_E_NS1_11comp_targetILNS1_3genE9ELNS1_11target_archE1100ELNS1_3gpuE3ELNS1_3repE0EEENS1_30default_config_static_selectorELNS0_4arch9wavefront6targetE1EEEvSM_
    .private_segment_fixed_size: 0
    .sgpr_count:     4
    .sgpr_spill_count: 0
    .symbol:         _ZN7rocprim17ROCPRIM_400000_NS6detail17trampoline_kernelINS0_14default_configENS1_37merge_sort_block_sort_config_selectorIlNS0_10empty_typeEEEZNS1_21merge_sort_block_sortIS3_PlS8_PS5_S9_ZN2at6native12_GLOBAL__N_124unique_dim_cuda_templateIjEESt5tupleIJNSA_6TensorESF_SF_EERKSF_lbbbEUlllE_EE10hipError_tT0_T1_T2_T3_mRjT4_P12ihipStream_tbNS1_7vsmem_tEEUlT_E_NS1_11comp_targetILNS1_3genE9ELNS1_11target_archE1100ELNS1_3gpuE3ELNS1_3repE0EEENS1_30default_config_static_selectorELNS0_4arch9wavefront6targetE1EEEvSM_.kd
    .uniform_work_group_size: 1
    .uses_dynamic_stack: false
    .vgpr_count:     0
    .vgpr_spill_count: 0
    .wavefront_size: 64
  - .agpr_count:     0
    .args:
      - .offset:         0
        .size:           72
        .value_kind:     by_value
    .group_segment_fixed_size: 0
    .kernarg_segment_align: 8
    .kernarg_segment_size: 72
    .language:       OpenCL C
    .language_version:
      - 2
      - 0
    .max_flat_workgroup_size: 256
    .name:           _ZN7rocprim17ROCPRIM_400000_NS6detail17trampoline_kernelINS0_14default_configENS1_37merge_sort_block_sort_config_selectorIlNS0_10empty_typeEEEZNS1_21merge_sort_block_sortIS3_PlS8_PS5_S9_ZN2at6native12_GLOBAL__N_124unique_dim_cuda_templateIjEESt5tupleIJNSA_6TensorESF_SF_EERKSF_lbbbEUlllE_EE10hipError_tT0_T1_T2_T3_mRjT4_P12ihipStream_tbNS1_7vsmem_tEEUlT_E_NS1_11comp_targetILNS1_3genE8ELNS1_11target_archE1030ELNS1_3gpuE2ELNS1_3repE0EEENS1_30default_config_static_selectorELNS0_4arch9wavefront6targetE1EEEvSM_
    .private_segment_fixed_size: 0
    .sgpr_count:     4
    .sgpr_spill_count: 0
    .symbol:         _ZN7rocprim17ROCPRIM_400000_NS6detail17trampoline_kernelINS0_14default_configENS1_37merge_sort_block_sort_config_selectorIlNS0_10empty_typeEEEZNS1_21merge_sort_block_sortIS3_PlS8_PS5_S9_ZN2at6native12_GLOBAL__N_124unique_dim_cuda_templateIjEESt5tupleIJNSA_6TensorESF_SF_EERKSF_lbbbEUlllE_EE10hipError_tT0_T1_T2_T3_mRjT4_P12ihipStream_tbNS1_7vsmem_tEEUlT_E_NS1_11comp_targetILNS1_3genE8ELNS1_11target_archE1030ELNS1_3gpuE2ELNS1_3repE0EEENS1_30default_config_static_selectorELNS0_4arch9wavefront6targetE1EEEvSM_.kd
    .uniform_work_group_size: 1
    .uses_dynamic_stack: false
    .vgpr_count:     0
    .vgpr_spill_count: 0
    .wavefront_size: 64
  - .agpr_count:     0
    .args:
      - .offset:         0
        .size:           56
        .value_kind:     by_value
    .group_segment_fixed_size: 0
    .kernarg_segment_align: 8
    .kernarg_segment_size: 56
    .language:       OpenCL C
    .language_version:
      - 2
      - 0
    .max_flat_workgroup_size: 128
    .name:           _ZN7rocprim17ROCPRIM_400000_NS6detail17trampoline_kernelINS0_14default_configENS1_38merge_sort_block_merge_config_selectorIlNS0_10empty_typeEEEZZNS1_27merge_sort_block_merge_implIS3_PlPS5_mZN2at6native12_GLOBAL__N_124unique_dim_cuda_templateIjEESt5tupleIJNSA_6TensorESF_SF_EERKSF_lbbbEUlllE_EE10hipError_tT0_T1_T2_jT3_P12ihipStream_tbPNSt15iterator_traitsISL_E10value_typeEPNSR_ISM_E10value_typeEPSN_NS1_7vsmem_tEENKUlT_SL_SM_SN_E_clIS8_S8_S9_S9_EESK_S10_SL_SM_SN_EUlS10_E_NS1_11comp_targetILNS1_3genE0ELNS1_11target_archE4294967295ELNS1_3gpuE0ELNS1_3repE0EEENS1_48merge_mergepath_partition_config_static_selectorELNS0_4arch9wavefront6targetE1EEEvSM_
    .private_segment_fixed_size: 0
    .sgpr_count:     4
    .sgpr_spill_count: 0
    .symbol:         _ZN7rocprim17ROCPRIM_400000_NS6detail17trampoline_kernelINS0_14default_configENS1_38merge_sort_block_merge_config_selectorIlNS0_10empty_typeEEEZZNS1_27merge_sort_block_merge_implIS3_PlPS5_mZN2at6native12_GLOBAL__N_124unique_dim_cuda_templateIjEESt5tupleIJNSA_6TensorESF_SF_EERKSF_lbbbEUlllE_EE10hipError_tT0_T1_T2_jT3_P12ihipStream_tbPNSt15iterator_traitsISL_E10value_typeEPNSR_ISM_E10value_typeEPSN_NS1_7vsmem_tEENKUlT_SL_SM_SN_E_clIS8_S8_S9_S9_EESK_S10_SL_SM_SN_EUlS10_E_NS1_11comp_targetILNS1_3genE0ELNS1_11target_archE4294967295ELNS1_3gpuE0ELNS1_3repE0EEENS1_48merge_mergepath_partition_config_static_selectorELNS0_4arch9wavefront6targetE1EEEvSM_.kd
    .uniform_work_group_size: 1
    .uses_dynamic_stack: false
    .vgpr_count:     0
    .vgpr_spill_count: 0
    .wavefront_size: 64
  - .agpr_count:     0
    .args:
      - .offset:         0
        .size:           56
        .value_kind:     by_value
    .group_segment_fixed_size: 0
    .kernarg_segment_align: 8
    .kernarg_segment_size: 56
    .language:       OpenCL C
    .language_version:
      - 2
      - 0
    .max_flat_workgroup_size: 128
    .name:           _ZN7rocprim17ROCPRIM_400000_NS6detail17trampoline_kernelINS0_14default_configENS1_38merge_sort_block_merge_config_selectorIlNS0_10empty_typeEEEZZNS1_27merge_sort_block_merge_implIS3_PlPS5_mZN2at6native12_GLOBAL__N_124unique_dim_cuda_templateIjEESt5tupleIJNSA_6TensorESF_SF_EERKSF_lbbbEUlllE_EE10hipError_tT0_T1_T2_jT3_P12ihipStream_tbPNSt15iterator_traitsISL_E10value_typeEPNSR_ISM_E10value_typeEPSN_NS1_7vsmem_tEENKUlT_SL_SM_SN_E_clIS8_S8_S9_S9_EESK_S10_SL_SM_SN_EUlS10_E_NS1_11comp_targetILNS1_3genE10ELNS1_11target_archE1201ELNS1_3gpuE5ELNS1_3repE0EEENS1_48merge_mergepath_partition_config_static_selectorELNS0_4arch9wavefront6targetE1EEEvSM_
    .private_segment_fixed_size: 0
    .sgpr_count:     4
    .sgpr_spill_count: 0
    .symbol:         _ZN7rocprim17ROCPRIM_400000_NS6detail17trampoline_kernelINS0_14default_configENS1_38merge_sort_block_merge_config_selectorIlNS0_10empty_typeEEEZZNS1_27merge_sort_block_merge_implIS3_PlPS5_mZN2at6native12_GLOBAL__N_124unique_dim_cuda_templateIjEESt5tupleIJNSA_6TensorESF_SF_EERKSF_lbbbEUlllE_EE10hipError_tT0_T1_T2_jT3_P12ihipStream_tbPNSt15iterator_traitsISL_E10value_typeEPNSR_ISM_E10value_typeEPSN_NS1_7vsmem_tEENKUlT_SL_SM_SN_E_clIS8_S8_S9_S9_EESK_S10_SL_SM_SN_EUlS10_E_NS1_11comp_targetILNS1_3genE10ELNS1_11target_archE1201ELNS1_3gpuE5ELNS1_3repE0EEENS1_48merge_mergepath_partition_config_static_selectorELNS0_4arch9wavefront6targetE1EEEvSM_.kd
    .uniform_work_group_size: 1
    .uses_dynamic_stack: false
    .vgpr_count:     0
    .vgpr_spill_count: 0
    .wavefront_size: 64
  - .agpr_count:     0
    .args:
      - .offset:         0
        .size:           56
        .value_kind:     by_value
    .group_segment_fixed_size: 0
    .kernarg_segment_align: 8
    .kernarg_segment_size: 56
    .language:       OpenCL C
    .language_version:
      - 2
      - 0
    .max_flat_workgroup_size: 128
    .name:           _ZN7rocprim17ROCPRIM_400000_NS6detail17trampoline_kernelINS0_14default_configENS1_38merge_sort_block_merge_config_selectorIlNS0_10empty_typeEEEZZNS1_27merge_sort_block_merge_implIS3_PlPS5_mZN2at6native12_GLOBAL__N_124unique_dim_cuda_templateIjEESt5tupleIJNSA_6TensorESF_SF_EERKSF_lbbbEUlllE_EE10hipError_tT0_T1_T2_jT3_P12ihipStream_tbPNSt15iterator_traitsISL_E10value_typeEPNSR_ISM_E10value_typeEPSN_NS1_7vsmem_tEENKUlT_SL_SM_SN_E_clIS8_S8_S9_S9_EESK_S10_SL_SM_SN_EUlS10_E_NS1_11comp_targetILNS1_3genE5ELNS1_11target_archE942ELNS1_3gpuE9ELNS1_3repE0EEENS1_48merge_mergepath_partition_config_static_selectorELNS0_4arch9wavefront6targetE1EEEvSM_
    .private_segment_fixed_size: 0
    .sgpr_count:     4
    .sgpr_spill_count: 0
    .symbol:         _ZN7rocprim17ROCPRIM_400000_NS6detail17trampoline_kernelINS0_14default_configENS1_38merge_sort_block_merge_config_selectorIlNS0_10empty_typeEEEZZNS1_27merge_sort_block_merge_implIS3_PlPS5_mZN2at6native12_GLOBAL__N_124unique_dim_cuda_templateIjEESt5tupleIJNSA_6TensorESF_SF_EERKSF_lbbbEUlllE_EE10hipError_tT0_T1_T2_jT3_P12ihipStream_tbPNSt15iterator_traitsISL_E10value_typeEPNSR_ISM_E10value_typeEPSN_NS1_7vsmem_tEENKUlT_SL_SM_SN_E_clIS8_S8_S9_S9_EESK_S10_SL_SM_SN_EUlS10_E_NS1_11comp_targetILNS1_3genE5ELNS1_11target_archE942ELNS1_3gpuE9ELNS1_3repE0EEENS1_48merge_mergepath_partition_config_static_selectorELNS0_4arch9wavefront6targetE1EEEvSM_.kd
    .uniform_work_group_size: 1
    .uses_dynamic_stack: false
    .vgpr_count:     0
    .vgpr_spill_count: 0
    .wavefront_size: 64
  - .agpr_count:     0
    .args:
      - .offset:         0
        .size:           56
        .value_kind:     by_value
    .group_segment_fixed_size: 0
    .kernarg_segment_align: 8
    .kernarg_segment_size: 56
    .language:       OpenCL C
    .language_version:
      - 2
      - 0
    .max_flat_workgroup_size: 128
    .name:           _ZN7rocprim17ROCPRIM_400000_NS6detail17trampoline_kernelINS0_14default_configENS1_38merge_sort_block_merge_config_selectorIlNS0_10empty_typeEEEZZNS1_27merge_sort_block_merge_implIS3_PlPS5_mZN2at6native12_GLOBAL__N_124unique_dim_cuda_templateIjEESt5tupleIJNSA_6TensorESF_SF_EERKSF_lbbbEUlllE_EE10hipError_tT0_T1_T2_jT3_P12ihipStream_tbPNSt15iterator_traitsISL_E10value_typeEPNSR_ISM_E10value_typeEPSN_NS1_7vsmem_tEENKUlT_SL_SM_SN_E_clIS8_S8_S9_S9_EESK_S10_SL_SM_SN_EUlS10_E_NS1_11comp_targetILNS1_3genE4ELNS1_11target_archE910ELNS1_3gpuE8ELNS1_3repE0EEENS1_48merge_mergepath_partition_config_static_selectorELNS0_4arch9wavefront6targetE1EEEvSM_
    .private_segment_fixed_size: 0
    .sgpr_count:     40
    .sgpr_spill_count: 0
    .symbol:         _ZN7rocprim17ROCPRIM_400000_NS6detail17trampoline_kernelINS0_14default_configENS1_38merge_sort_block_merge_config_selectorIlNS0_10empty_typeEEEZZNS1_27merge_sort_block_merge_implIS3_PlPS5_mZN2at6native12_GLOBAL__N_124unique_dim_cuda_templateIjEESt5tupleIJNSA_6TensorESF_SF_EERKSF_lbbbEUlllE_EE10hipError_tT0_T1_T2_jT3_P12ihipStream_tbPNSt15iterator_traitsISL_E10value_typeEPNSR_ISM_E10value_typeEPSN_NS1_7vsmem_tEENKUlT_SL_SM_SN_E_clIS8_S8_S9_S9_EESK_S10_SL_SM_SN_EUlS10_E_NS1_11comp_targetILNS1_3genE4ELNS1_11target_archE910ELNS1_3gpuE8ELNS1_3repE0EEENS1_48merge_mergepath_partition_config_static_selectorELNS0_4arch9wavefront6targetE1EEEvSM_.kd
    .uniform_work_group_size: 1
    .uses_dynamic_stack: false
    .vgpr_count:     23
    .vgpr_spill_count: 0
    .wavefront_size: 64
  - .agpr_count:     0
    .args:
      - .offset:         0
        .size:           56
        .value_kind:     by_value
    .group_segment_fixed_size: 0
    .kernarg_segment_align: 8
    .kernarg_segment_size: 56
    .language:       OpenCL C
    .language_version:
      - 2
      - 0
    .max_flat_workgroup_size: 128
    .name:           _ZN7rocprim17ROCPRIM_400000_NS6detail17trampoline_kernelINS0_14default_configENS1_38merge_sort_block_merge_config_selectorIlNS0_10empty_typeEEEZZNS1_27merge_sort_block_merge_implIS3_PlPS5_mZN2at6native12_GLOBAL__N_124unique_dim_cuda_templateIjEESt5tupleIJNSA_6TensorESF_SF_EERKSF_lbbbEUlllE_EE10hipError_tT0_T1_T2_jT3_P12ihipStream_tbPNSt15iterator_traitsISL_E10value_typeEPNSR_ISM_E10value_typeEPSN_NS1_7vsmem_tEENKUlT_SL_SM_SN_E_clIS8_S8_S9_S9_EESK_S10_SL_SM_SN_EUlS10_E_NS1_11comp_targetILNS1_3genE3ELNS1_11target_archE908ELNS1_3gpuE7ELNS1_3repE0EEENS1_48merge_mergepath_partition_config_static_selectorELNS0_4arch9wavefront6targetE1EEEvSM_
    .private_segment_fixed_size: 0
    .sgpr_count:     4
    .sgpr_spill_count: 0
    .symbol:         _ZN7rocprim17ROCPRIM_400000_NS6detail17trampoline_kernelINS0_14default_configENS1_38merge_sort_block_merge_config_selectorIlNS0_10empty_typeEEEZZNS1_27merge_sort_block_merge_implIS3_PlPS5_mZN2at6native12_GLOBAL__N_124unique_dim_cuda_templateIjEESt5tupleIJNSA_6TensorESF_SF_EERKSF_lbbbEUlllE_EE10hipError_tT0_T1_T2_jT3_P12ihipStream_tbPNSt15iterator_traitsISL_E10value_typeEPNSR_ISM_E10value_typeEPSN_NS1_7vsmem_tEENKUlT_SL_SM_SN_E_clIS8_S8_S9_S9_EESK_S10_SL_SM_SN_EUlS10_E_NS1_11comp_targetILNS1_3genE3ELNS1_11target_archE908ELNS1_3gpuE7ELNS1_3repE0EEENS1_48merge_mergepath_partition_config_static_selectorELNS0_4arch9wavefront6targetE1EEEvSM_.kd
    .uniform_work_group_size: 1
    .uses_dynamic_stack: false
    .vgpr_count:     0
    .vgpr_spill_count: 0
    .wavefront_size: 64
  - .agpr_count:     0
    .args:
      - .offset:         0
        .size:           56
        .value_kind:     by_value
    .group_segment_fixed_size: 0
    .kernarg_segment_align: 8
    .kernarg_segment_size: 56
    .language:       OpenCL C
    .language_version:
      - 2
      - 0
    .max_flat_workgroup_size: 128
    .name:           _ZN7rocprim17ROCPRIM_400000_NS6detail17trampoline_kernelINS0_14default_configENS1_38merge_sort_block_merge_config_selectorIlNS0_10empty_typeEEEZZNS1_27merge_sort_block_merge_implIS3_PlPS5_mZN2at6native12_GLOBAL__N_124unique_dim_cuda_templateIjEESt5tupleIJNSA_6TensorESF_SF_EERKSF_lbbbEUlllE_EE10hipError_tT0_T1_T2_jT3_P12ihipStream_tbPNSt15iterator_traitsISL_E10value_typeEPNSR_ISM_E10value_typeEPSN_NS1_7vsmem_tEENKUlT_SL_SM_SN_E_clIS8_S8_S9_S9_EESK_S10_SL_SM_SN_EUlS10_E_NS1_11comp_targetILNS1_3genE2ELNS1_11target_archE906ELNS1_3gpuE6ELNS1_3repE0EEENS1_48merge_mergepath_partition_config_static_selectorELNS0_4arch9wavefront6targetE1EEEvSM_
    .private_segment_fixed_size: 0
    .sgpr_count:     4
    .sgpr_spill_count: 0
    .symbol:         _ZN7rocprim17ROCPRIM_400000_NS6detail17trampoline_kernelINS0_14default_configENS1_38merge_sort_block_merge_config_selectorIlNS0_10empty_typeEEEZZNS1_27merge_sort_block_merge_implIS3_PlPS5_mZN2at6native12_GLOBAL__N_124unique_dim_cuda_templateIjEESt5tupleIJNSA_6TensorESF_SF_EERKSF_lbbbEUlllE_EE10hipError_tT0_T1_T2_jT3_P12ihipStream_tbPNSt15iterator_traitsISL_E10value_typeEPNSR_ISM_E10value_typeEPSN_NS1_7vsmem_tEENKUlT_SL_SM_SN_E_clIS8_S8_S9_S9_EESK_S10_SL_SM_SN_EUlS10_E_NS1_11comp_targetILNS1_3genE2ELNS1_11target_archE906ELNS1_3gpuE6ELNS1_3repE0EEENS1_48merge_mergepath_partition_config_static_selectorELNS0_4arch9wavefront6targetE1EEEvSM_.kd
    .uniform_work_group_size: 1
    .uses_dynamic_stack: false
    .vgpr_count:     0
    .vgpr_spill_count: 0
    .wavefront_size: 64
  - .agpr_count:     0
    .args:
      - .offset:         0
        .size:           56
        .value_kind:     by_value
    .group_segment_fixed_size: 0
    .kernarg_segment_align: 8
    .kernarg_segment_size: 56
    .language:       OpenCL C
    .language_version:
      - 2
      - 0
    .max_flat_workgroup_size: 128
    .name:           _ZN7rocprim17ROCPRIM_400000_NS6detail17trampoline_kernelINS0_14default_configENS1_38merge_sort_block_merge_config_selectorIlNS0_10empty_typeEEEZZNS1_27merge_sort_block_merge_implIS3_PlPS5_mZN2at6native12_GLOBAL__N_124unique_dim_cuda_templateIjEESt5tupleIJNSA_6TensorESF_SF_EERKSF_lbbbEUlllE_EE10hipError_tT0_T1_T2_jT3_P12ihipStream_tbPNSt15iterator_traitsISL_E10value_typeEPNSR_ISM_E10value_typeEPSN_NS1_7vsmem_tEENKUlT_SL_SM_SN_E_clIS8_S8_S9_S9_EESK_S10_SL_SM_SN_EUlS10_E_NS1_11comp_targetILNS1_3genE9ELNS1_11target_archE1100ELNS1_3gpuE3ELNS1_3repE0EEENS1_48merge_mergepath_partition_config_static_selectorELNS0_4arch9wavefront6targetE1EEEvSM_
    .private_segment_fixed_size: 0
    .sgpr_count:     4
    .sgpr_spill_count: 0
    .symbol:         _ZN7rocprim17ROCPRIM_400000_NS6detail17trampoline_kernelINS0_14default_configENS1_38merge_sort_block_merge_config_selectorIlNS0_10empty_typeEEEZZNS1_27merge_sort_block_merge_implIS3_PlPS5_mZN2at6native12_GLOBAL__N_124unique_dim_cuda_templateIjEESt5tupleIJNSA_6TensorESF_SF_EERKSF_lbbbEUlllE_EE10hipError_tT0_T1_T2_jT3_P12ihipStream_tbPNSt15iterator_traitsISL_E10value_typeEPNSR_ISM_E10value_typeEPSN_NS1_7vsmem_tEENKUlT_SL_SM_SN_E_clIS8_S8_S9_S9_EESK_S10_SL_SM_SN_EUlS10_E_NS1_11comp_targetILNS1_3genE9ELNS1_11target_archE1100ELNS1_3gpuE3ELNS1_3repE0EEENS1_48merge_mergepath_partition_config_static_selectorELNS0_4arch9wavefront6targetE1EEEvSM_.kd
    .uniform_work_group_size: 1
    .uses_dynamic_stack: false
    .vgpr_count:     0
    .vgpr_spill_count: 0
    .wavefront_size: 64
  - .agpr_count:     0
    .args:
      - .offset:         0
        .size:           56
        .value_kind:     by_value
    .group_segment_fixed_size: 0
    .kernarg_segment_align: 8
    .kernarg_segment_size: 56
    .language:       OpenCL C
    .language_version:
      - 2
      - 0
    .max_flat_workgroup_size: 128
    .name:           _ZN7rocprim17ROCPRIM_400000_NS6detail17trampoline_kernelINS0_14default_configENS1_38merge_sort_block_merge_config_selectorIlNS0_10empty_typeEEEZZNS1_27merge_sort_block_merge_implIS3_PlPS5_mZN2at6native12_GLOBAL__N_124unique_dim_cuda_templateIjEESt5tupleIJNSA_6TensorESF_SF_EERKSF_lbbbEUlllE_EE10hipError_tT0_T1_T2_jT3_P12ihipStream_tbPNSt15iterator_traitsISL_E10value_typeEPNSR_ISM_E10value_typeEPSN_NS1_7vsmem_tEENKUlT_SL_SM_SN_E_clIS8_S8_S9_S9_EESK_S10_SL_SM_SN_EUlS10_E_NS1_11comp_targetILNS1_3genE8ELNS1_11target_archE1030ELNS1_3gpuE2ELNS1_3repE0EEENS1_48merge_mergepath_partition_config_static_selectorELNS0_4arch9wavefront6targetE1EEEvSM_
    .private_segment_fixed_size: 0
    .sgpr_count:     4
    .sgpr_spill_count: 0
    .symbol:         _ZN7rocprim17ROCPRIM_400000_NS6detail17trampoline_kernelINS0_14default_configENS1_38merge_sort_block_merge_config_selectorIlNS0_10empty_typeEEEZZNS1_27merge_sort_block_merge_implIS3_PlPS5_mZN2at6native12_GLOBAL__N_124unique_dim_cuda_templateIjEESt5tupleIJNSA_6TensorESF_SF_EERKSF_lbbbEUlllE_EE10hipError_tT0_T1_T2_jT3_P12ihipStream_tbPNSt15iterator_traitsISL_E10value_typeEPNSR_ISM_E10value_typeEPSN_NS1_7vsmem_tEENKUlT_SL_SM_SN_E_clIS8_S8_S9_S9_EESK_S10_SL_SM_SN_EUlS10_E_NS1_11comp_targetILNS1_3genE8ELNS1_11target_archE1030ELNS1_3gpuE2ELNS1_3repE0EEENS1_48merge_mergepath_partition_config_static_selectorELNS0_4arch9wavefront6targetE1EEEvSM_.kd
    .uniform_work_group_size: 1
    .uses_dynamic_stack: false
    .vgpr_count:     0
    .vgpr_spill_count: 0
    .wavefront_size: 64
  - .agpr_count:     0
    .args:
      - .offset:         0
        .size:           88
        .value_kind:     by_value
    .group_segment_fixed_size: 0
    .kernarg_segment_align: 8
    .kernarg_segment_size: 88
    .language:       OpenCL C
    .language_version:
      - 2
      - 0
    .max_flat_workgroup_size: 128
    .name:           _ZN7rocprim17ROCPRIM_400000_NS6detail17trampoline_kernelINS0_14default_configENS1_38merge_sort_block_merge_config_selectorIlNS0_10empty_typeEEEZZNS1_27merge_sort_block_merge_implIS3_PlPS5_mZN2at6native12_GLOBAL__N_124unique_dim_cuda_templateIjEESt5tupleIJNSA_6TensorESF_SF_EERKSF_lbbbEUlllE_EE10hipError_tT0_T1_T2_jT3_P12ihipStream_tbPNSt15iterator_traitsISL_E10value_typeEPNSR_ISM_E10value_typeEPSN_NS1_7vsmem_tEENKUlT_SL_SM_SN_E_clIS8_S8_S9_S9_EESK_S10_SL_SM_SN_EUlS10_E0_NS1_11comp_targetILNS1_3genE0ELNS1_11target_archE4294967295ELNS1_3gpuE0ELNS1_3repE0EEENS1_38merge_mergepath_config_static_selectorELNS0_4arch9wavefront6targetE1EEEvSM_
    .private_segment_fixed_size: 0
    .sgpr_count:     4
    .sgpr_spill_count: 0
    .symbol:         _ZN7rocprim17ROCPRIM_400000_NS6detail17trampoline_kernelINS0_14default_configENS1_38merge_sort_block_merge_config_selectorIlNS0_10empty_typeEEEZZNS1_27merge_sort_block_merge_implIS3_PlPS5_mZN2at6native12_GLOBAL__N_124unique_dim_cuda_templateIjEESt5tupleIJNSA_6TensorESF_SF_EERKSF_lbbbEUlllE_EE10hipError_tT0_T1_T2_jT3_P12ihipStream_tbPNSt15iterator_traitsISL_E10value_typeEPNSR_ISM_E10value_typeEPSN_NS1_7vsmem_tEENKUlT_SL_SM_SN_E_clIS8_S8_S9_S9_EESK_S10_SL_SM_SN_EUlS10_E0_NS1_11comp_targetILNS1_3genE0ELNS1_11target_archE4294967295ELNS1_3gpuE0ELNS1_3repE0EEENS1_38merge_mergepath_config_static_selectorELNS0_4arch9wavefront6targetE1EEEvSM_.kd
    .uniform_work_group_size: 1
    .uses_dynamic_stack: false
    .vgpr_count:     0
    .vgpr_spill_count: 0
    .wavefront_size: 64
  - .agpr_count:     0
    .args:
      - .offset:         0
        .size:           88
        .value_kind:     by_value
    .group_segment_fixed_size: 0
    .kernarg_segment_align: 8
    .kernarg_segment_size: 88
    .language:       OpenCL C
    .language_version:
      - 2
      - 0
    .max_flat_workgroup_size: 512
    .name:           _ZN7rocprim17ROCPRIM_400000_NS6detail17trampoline_kernelINS0_14default_configENS1_38merge_sort_block_merge_config_selectorIlNS0_10empty_typeEEEZZNS1_27merge_sort_block_merge_implIS3_PlPS5_mZN2at6native12_GLOBAL__N_124unique_dim_cuda_templateIjEESt5tupleIJNSA_6TensorESF_SF_EERKSF_lbbbEUlllE_EE10hipError_tT0_T1_T2_jT3_P12ihipStream_tbPNSt15iterator_traitsISL_E10value_typeEPNSR_ISM_E10value_typeEPSN_NS1_7vsmem_tEENKUlT_SL_SM_SN_E_clIS8_S8_S9_S9_EESK_S10_SL_SM_SN_EUlS10_E0_NS1_11comp_targetILNS1_3genE10ELNS1_11target_archE1201ELNS1_3gpuE5ELNS1_3repE0EEENS1_38merge_mergepath_config_static_selectorELNS0_4arch9wavefront6targetE1EEEvSM_
    .private_segment_fixed_size: 0
    .sgpr_count:     4
    .sgpr_spill_count: 0
    .symbol:         _ZN7rocprim17ROCPRIM_400000_NS6detail17trampoline_kernelINS0_14default_configENS1_38merge_sort_block_merge_config_selectorIlNS0_10empty_typeEEEZZNS1_27merge_sort_block_merge_implIS3_PlPS5_mZN2at6native12_GLOBAL__N_124unique_dim_cuda_templateIjEESt5tupleIJNSA_6TensorESF_SF_EERKSF_lbbbEUlllE_EE10hipError_tT0_T1_T2_jT3_P12ihipStream_tbPNSt15iterator_traitsISL_E10value_typeEPNSR_ISM_E10value_typeEPSN_NS1_7vsmem_tEENKUlT_SL_SM_SN_E_clIS8_S8_S9_S9_EESK_S10_SL_SM_SN_EUlS10_E0_NS1_11comp_targetILNS1_3genE10ELNS1_11target_archE1201ELNS1_3gpuE5ELNS1_3repE0EEENS1_38merge_mergepath_config_static_selectorELNS0_4arch9wavefront6targetE1EEEvSM_.kd
    .uniform_work_group_size: 1
    .uses_dynamic_stack: false
    .vgpr_count:     0
    .vgpr_spill_count: 0
    .wavefront_size: 64
  - .agpr_count:     0
    .args:
      - .offset:         0
        .size:           88
        .value_kind:     by_value
    .group_segment_fixed_size: 0
    .kernarg_segment_align: 8
    .kernarg_segment_size: 88
    .language:       OpenCL C
    .language_version:
      - 2
      - 0
    .max_flat_workgroup_size: 128
    .name:           _ZN7rocprim17ROCPRIM_400000_NS6detail17trampoline_kernelINS0_14default_configENS1_38merge_sort_block_merge_config_selectorIlNS0_10empty_typeEEEZZNS1_27merge_sort_block_merge_implIS3_PlPS5_mZN2at6native12_GLOBAL__N_124unique_dim_cuda_templateIjEESt5tupleIJNSA_6TensorESF_SF_EERKSF_lbbbEUlllE_EE10hipError_tT0_T1_T2_jT3_P12ihipStream_tbPNSt15iterator_traitsISL_E10value_typeEPNSR_ISM_E10value_typeEPSN_NS1_7vsmem_tEENKUlT_SL_SM_SN_E_clIS8_S8_S9_S9_EESK_S10_SL_SM_SN_EUlS10_E0_NS1_11comp_targetILNS1_3genE5ELNS1_11target_archE942ELNS1_3gpuE9ELNS1_3repE0EEENS1_38merge_mergepath_config_static_selectorELNS0_4arch9wavefront6targetE1EEEvSM_
    .private_segment_fixed_size: 0
    .sgpr_count:     4
    .sgpr_spill_count: 0
    .symbol:         _ZN7rocprim17ROCPRIM_400000_NS6detail17trampoline_kernelINS0_14default_configENS1_38merge_sort_block_merge_config_selectorIlNS0_10empty_typeEEEZZNS1_27merge_sort_block_merge_implIS3_PlPS5_mZN2at6native12_GLOBAL__N_124unique_dim_cuda_templateIjEESt5tupleIJNSA_6TensorESF_SF_EERKSF_lbbbEUlllE_EE10hipError_tT0_T1_T2_jT3_P12ihipStream_tbPNSt15iterator_traitsISL_E10value_typeEPNSR_ISM_E10value_typeEPSN_NS1_7vsmem_tEENKUlT_SL_SM_SN_E_clIS8_S8_S9_S9_EESK_S10_SL_SM_SN_EUlS10_E0_NS1_11comp_targetILNS1_3genE5ELNS1_11target_archE942ELNS1_3gpuE9ELNS1_3repE0EEENS1_38merge_mergepath_config_static_selectorELNS0_4arch9wavefront6targetE1EEEvSM_.kd
    .uniform_work_group_size: 1
    .uses_dynamic_stack: false
    .vgpr_count:     0
    .vgpr_spill_count: 0
    .wavefront_size: 64
  - .agpr_count:     0
    .args:
      - .offset:         0
        .size:           88
        .value_kind:     by_value
      - .offset:         88
        .size:           4
        .value_kind:     hidden_block_count_x
      - .offset:         92
        .size:           4
        .value_kind:     hidden_block_count_y
      - .offset:         96
        .size:           4
        .value_kind:     hidden_block_count_z
      - .offset:         100
        .size:           2
        .value_kind:     hidden_group_size_x
      - .offset:         102
        .size:           2
        .value_kind:     hidden_group_size_y
      - .offset:         104
        .size:           2
        .value_kind:     hidden_group_size_z
      - .offset:         106
        .size:           2
        .value_kind:     hidden_remainder_x
      - .offset:         108
        .size:           2
        .value_kind:     hidden_remainder_y
      - .offset:         110
        .size:           2
        .value_kind:     hidden_remainder_z
      - .offset:         128
        .size:           8
        .value_kind:     hidden_global_offset_x
      - .offset:         136
        .size:           8
        .value_kind:     hidden_global_offset_y
      - .offset:         144
        .size:           8
        .value_kind:     hidden_global_offset_z
      - .offset:         152
        .size:           2
        .value_kind:     hidden_grid_dims
    .group_segment_fixed_size: 8448
    .kernarg_segment_align: 8
    .kernarg_segment_size: 344
    .language:       OpenCL C
    .language_version:
      - 2
      - 0
    .max_flat_workgroup_size: 256
    .name:           _ZN7rocprim17ROCPRIM_400000_NS6detail17trampoline_kernelINS0_14default_configENS1_38merge_sort_block_merge_config_selectorIlNS0_10empty_typeEEEZZNS1_27merge_sort_block_merge_implIS3_PlPS5_mZN2at6native12_GLOBAL__N_124unique_dim_cuda_templateIjEESt5tupleIJNSA_6TensorESF_SF_EERKSF_lbbbEUlllE_EE10hipError_tT0_T1_T2_jT3_P12ihipStream_tbPNSt15iterator_traitsISL_E10value_typeEPNSR_ISM_E10value_typeEPSN_NS1_7vsmem_tEENKUlT_SL_SM_SN_E_clIS8_S8_S9_S9_EESK_S10_SL_SM_SN_EUlS10_E0_NS1_11comp_targetILNS1_3genE4ELNS1_11target_archE910ELNS1_3gpuE8ELNS1_3repE0EEENS1_38merge_mergepath_config_static_selectorELNS0_4arch9wavefront6targetE1EEEvSM_
    .private_segment_fixed_size: 0
    .sgpr_count:     50
    .sgpr_spill_count: 0
    .symbol:         _ZN7rocprim17ROCPRIM_400000_NS6detail17trampoline_kernelINS0_14default_configENS1_38merge_sort_block_merge_config_selectorIlNS0_10empty_typeEEEZZNS1_27merge_sort_block_merge_implIS3_PlPS5_mZN2at6native12_GLOBAL__N_124unique_dim_cuda_templateIjEESt5tupleIJNSA_6TensorESF_SF_EERKSF_lbbbEUlllE_EE10hipError_tT0_T1_T2_jT3_P12ihipStream_tbPNSt15iterator_traitsISL_E10value_typeEPNSR_ISM_E10value_typeEPSN_NS1_7vsmem_tEENKUlT_SL_SM_SN_E_clIS8_S8_S9_S9_EESK_S10_SL_SM_SN_EUlS10_E0_NS1_11comp_targetILNS1_3genE4ELNS1_11target_archE910ELNS1_3gpuE8ELNS1_3repE0EEENS1_38merge_mergepath_config_static_selectorELNS0_4arch9wavefront6targetE1EEEvSM_.kd
    .uniform_work_group_size: 1
    .uses_dynamic_stack: false
    .vgpr_count:     24
    .vgpr_spill_count: 0
    .wavefront_size: 64
  - .agpr_count:     0
    .args:
      - .offset:         0
        .size:           88
        .value_kind:     by_value
    .group_segment_fixed_size: 0
    .kernarg_segment_align: 8
    .kernarg_segment_size: 88
    .language:       OpenCL C
    .language_version:
      - 2
      - 0
    .max_flat_workgroup_size: 128
    .name:           _ZN7rocprim17ROCPRIM_400000_NS6detail17trampoline_kernelINS0_14default_configENS1_38merge_sort_block_merge_config_selectorIlNS0_10empty_typeEEEZZNS1_27merge_sort_block_merge_implIS3_PlPS5_mZN2at6native12_GLOBAL__N_124unique_dim_cuda_templateIjEESt5tupleIJNSA_6TensorESF_SF_EERKSF_lbbbEUlllE_EE10hipError_tT0_T1_T2_jT3_P12ihipStream_tbPNSt15iterator_traitsISL_E10value_typeEPNSR_ISM_E10value_typeEPSN_NS1_7vsmem_tEENKUlT_SL_SM_SN_E_clIS8_S8_S9_S9_EESK_S10_SL_SM_SN_EUlS10_E0_NS1_11comp_targetILNS1_3genE3ELNS1_11target_archE908ELNS1_3gpuE7ELNS1_3repE0EEENS1_38merge_mergepath_config_static_selectorELNS0_4arch9wavefront6targetE1EEEvSM_
    .private_segment_fixed_size: 0
    .sgpr_count:     4
    .sgpr_spill_count: 0
    .symbol:         _ZN7rocprim17ROCPRIM_400000_NS6detail17trampoline_kernelINS0_14default_configENS1_38merge_sort_block_merge_config_selectorIlNS0_10empty_typeEEEZZNS1_27merge_sort_block_merge_implIS3_PlPS5_mZN2at6native12_GLOBAL__N_124unique_dim_cuda_templateIjEESt5tupleIJNSA_6TensorESF_SF_EERKSF_lbbbEUlllE_EE10hipError_tT0_T1_T2_jT3_P12ihipStream_tbPNSt15iterator_traitsISL_E10value_typeEPNSR_ISM_E10value_typeEPSN_NS1_7vsmem_tEENKUlT_SL_SM_SN_E_clIS8_S8_S9_S9_EESK_S10_SL_SM_SN_EUlS10_E0_NS1_11comp_targetILNS1_3genE3ELNS1_11target_archE908ELNS1_3gpuE7ELNS1_3repE0EEENS1_38merge_mergepath_config_static_selectorELNS0_4arch9wavefront6targetE1EEEvSM_.kd
    .uniform_work_group_size: 1
    .uses_dynamic_stack: false
    .vgpr_count:     0
    .vgpr_spill_count: 0
    .wavefront_size: 64
  - .agpr_count:     0
    .args:
      - .offset:         0
        .size:           88
        .value_kind:     by_value
    .group_segment_fixed_size: 0
    .kernarg_segment_align: 8
    .kernarg_segment_size: 88
    .language:       OpenCL C
    .language_version:
      - 2
      - 0
    .max_flat_workgroup_size: 256
    .name:           _ZN7rocprim17ROCPRIM_400000_NS6detail17trampoline_kernelINS0_14default_configENS1_38merge_sort_block_merge_config_selectorIlNS0_10empty_typeEEEZZNS1_27merge_sort_block_merge_implIS3_PlPS5_mZN2at6native12_GLOBAL__N_124unique_dim_cuda_templateIjEESt5tupleIJNSA_6TensorESF_SF_EERKSF_lbbbEUlllE_EE10hipError_tT0_T1_T2_jT3_P12ihipStream_tbPNSt15iterator_traitsISL_E10value_typeEPNSR_ISM_E10value_typeEPSN_NS1_7vsmem_tEENKUlT_SL_SM_SN_E_clIS8_S8_S9_S9_EESK_S10_SL_SM_SN_EUlS10_E0_NS1_11comp_targetILNS1_3genE2ELNS1_11target_archE906ELNS1_3gpuE6ELNS1_3repE0EEENS1_38merge_mergepath_config_static_selectorELNS0_4arch9wavefront6targetE1EEEvSM_
    .private_segment_fixed_size: 0
    .sgpr_count:     4
    .sgpr_spill_count: 0
    .symbol:         _ZN7rocprim17ROCPRIM_400000_NS6detail17trampoline_kernelINS0_14default_configENS1_38merge_sort_block_merge_config_selectorIlNS0_10empty_typeEEEZZNS1_27merge_sort_block_merge_implIS3_PlPS5_mZN2at6native12_GLOBAL__N_124unique_dim_cuda_templateIjEESt5tupleIJNSA_6TensorESF_SF_EERKSF_lbbbEUlllE_EE10hipError_tT0_T1_T2_jT3_P12ihipStream_tbPNSt15iterator_traitsISL_E10value_typeEPNSR_ISM_E10value_typeEPSN_NS1_7vsmem_tEENKUlT_SL_SM_SN_E_clIS8_S8_S9_S9_EESK_S10_SL_SM_SN_EUlS10_E0_NS1_11comp_targetILNS1_3genE2ELNS1_11target_archE906ELNS1_3gpuE6ELNS1_3repE0EEENS1_38merge_mergepath_config_static_selectorELNS0_4arch9wavefront6targetE1EEEvSM_.kd
    .uniform_work_group_size: 1
    .uses_dynamic_stack: false
    .vgpr_count:     0
    .vgpr_spill_count: 0
    .wavefront_size: 64
  - .agpr_count:     0
    .args:
      - .offset:         0
        .size:           88
        .value_kind:     by_value
    .group_segment_fixed_size: 0
    .kernarg_segment_align: 8
    .kernarg_segment_size: 88
    .language:       OpenCL C
    .language_version:
      - 2
      - 0
    .max_flat_workgroup_size: 512
    .name:           _ZN7rocprim17ROCPRIM_400000_NS6detail17trampoline_kernelINS0_14default_configENS1_38merge_sort_block_merge_config_selectorIlNS0_10empty_typeEEEZZNS1_27merge_sort_block_merge_implIS3_PlPS5_mZN2at6native12_GLOBAL__N_124unique_dim_cuda_templateIjEESt5tupleIJNSA_6TensorESF_SF_EERKSF_lbbbEUlllE_EE10hipError_tT0_T1_T2_jT3_P12ihipStream_tbPNSt15iterator_traitsISL_E10value_typeEPNSR_ISM_E10value_typeEPSN_NS1_7vsmem_tEENKUlT_SL_SM_SN_E_clIS8_S8_S9_S9_EESK_S10_SL_SM_SN_EUlS10_E0_NS1_11comp_targetILNS1_3genE9ELNS1_11target_archE1100ELNS1_3gpuE3ELNS1_3repE0EEENS1_38merge_mergepath_config_static_selectorELNS0_4arch9wavefront6targetE1EEEvSM_
    .private_segment_fixed_size: 0
    .sgpr_count:     4
    .sgpr_spill_count: 0
    .symbol:         _ZN7rocprim17ROCPRIM_400000_NS6detail17trampoline_kernelINS0_14default_configENS1_38merge_sort_block_merge_config_selectorIlNS0_10empty_typeEEEZZNS1_27merge_sort_block_merge_implIS3_PlPS5_mZN2at6native12_GLOBAL__N_124unique_dim_cuda_templateIjEESt5tupleIJNSA_6TensorESF_SF_EERKSF_lbbbEUlllE_EE10hipError_tT0_T1_T2_jT3_P12ihipStream_tbPNSt15iterator_traitsISL_E10value_typeEPNSR_ISM_E10value_typeEPSN_NS1_7vsmem_tEENKUlT_SL_SM_SN_E_clIS8_S8_S9_S9_EESK_S10_SL_SM_SN_EUlS10_E0_NS1_11comp_targetILNS1_3genE9ELNS1_11target_archE1100ELNS1_3gpuE3ELNS1_3repE0EEENS1_38merge_mergepath_config_static_selectorELNS0_4arch9wavefront6targetE1EEEvSM_.kd
    .uniform_work_group_size: 1
    .uses_dynamic_stack: false
    .vgpr_count:     0
    .vgpr_spill_count: 0
    .wavefront_size: 64
  - .agpr_count:     0
    .args:
      - .offset:         0
        .size:           88
        .value_kind:     by_value
    .group_segment_fixed_size: 0
    .kernarg_segment_align: 8
    .kernarg_segment_size: 88
    .language:       OpenCL C
    .language_version:
      - 2
      - 0
    .max_flat_workgroup_size: 1024
    .name:           _ZN7rocprim17ROCPRIM_400000_NS6detail17trampoline_kernelINS0_14default_configENS1_38merge_sort_block_merge_config_selectorIlNS0_10empty_typeEEEZZNS1_27merge_sort_block_merge_implIS3_PlPS5_mZN2at6native12_GLOBAL__N_124unique_dim_cuda_templateIjEESt5tupleIJNSA_6TensorESF_SF_EERKSF_lbbbEUlllE_EE10hipError_tT0_T1_T2_jT3_P12ihipStream_tbPNSt15iterator_traitsISL_E10value_typeEPNSR_ISM_E10value_typeEPSN_NS1_7vsmem_tEENKUlT_SL_SM_SN_E_clIS8_S8_S9_S9_EESK_S10_SL_SM_SN_EUlS10_E0_NS1_11comp_targetILNS1_3genE8ELNS1_11target_archE1030ELNS1_3gpuE2ELNS1_3repE0EEENS1_38merge_mergepath_config_static_selectorELNS0_4arch9wavefront6targetE1EEEvSM_
    .private_segment_fixed_size: 0
    .sgpr_count:     4
    .sgpr_spill_count: 0
    .symbol:         _ZN7rocprim17ROCPRIM_400000_NS6detail17trampoline_kernelINS0_14default_configENS1_38merge_sort_block_merge_config_selectorIlNS0_10empty_typeEEEZZNS1_27merge_sort_block_merge_implIS3_PlPS5_mZN2at6native12_GLOBAL__N_124unique_dim_cuda_templateIjEESt5tupleIJNSA_6TensorESF_SF_EERKSF_lbbbEUlllE_EE10hipError_tT0_T1_T2_jT3_P12ihipStream_tbPNSt15iterator_traitsISL_E10value_typeEPNSR_ISM_E10value_typeEPSN_NS1_7vsmem_tEENKUlT_SL_SM_SN_E_clIS8_S8_S9_S9_EESK_S10_SL_SM_SN_EUlS10_E0_NS1_11comp_targetILNS1_3genE8ELNS1_11target_archE1030ELNS1_3gpuE2ELNS1_3repE0EEENS1_38merge_mergepath_config_static_selectorELNS0_4arch9wavefront6targetE1EEEvSM_.kd
    .uniform_work_group_size: 1
    .uses_dynamic_stack: false
    .vgpr_count:     0
    .vgpr_spill_count: 0
    .wavefront_size: 64
  - .agpr_count:     0
    .args:
      - .offset:         0
        .size:           64
        .value_kind:     by_value
    .group_segment_fixed_size: 0
    .kernarg_segment_align: 8
    .kernarg_segment_size: 64
    .language:       OpenCL C
    .language_version:
      - 2
      - 0
    .max_flat_workgroup_size: 256
    .name:           _ZN7rocprim17ROCPRIM_400000_NS6detail17trampoline_kernelINS0_14default_configENS1_38merge_sort_block_merge_config_selectorIlNS0_10empty_typeEEEZZNS1_27merge_sort_block_merge_implIS3_PlPS5_mZN2at6native12_GLOBAL__N_124unique_dim_cuda_templateIjEESt5tupleIJNSA_6TensorESF_SF_EERKSF_lbbbEUlllE_EE10hipError_tT0_T1_T2_jT3_P12ihipStream_tbPNSt15iterator_traitsISL_E10value_typeEPNSR_ISM_E10value_typeEPSN_NS1_7vsmem_tEENKUlT_SL_SM_SN_E_clIS8_S8_S9_S9_EESK_S10_SL_SM_SN_EUlS10_E1_NS1_11comp_targetILNS1_3genE0ELNS1_11target_archE4294967295ELNS1_3gpuE0ELNS1_3repE0EEENS1_36merge_oddeven_config_static_selectorELNS0_4arch9wavefront6targetE1EEEvSM_
    .private_segment_fixed_size: 0
    .sgpr_count:     4
    .sgpr_spill_count: 0
    .symbol:         _ZN7rocprim17ROCPRIM_400000_NS6detail17trampoline_kernelINS0_14default_configENS1_38merge_sort_block_merge_config_selectorIlNS0_10empty_typeEEEZZNS1_27merge_sort_block_merge_implIS3_PlPS5_mZN2at6native12_GLOBAL__N_124unique_dim_cuda_templateIjEESt5tupleIJNSA_6TensorESF_SF_EERKSF_lbbbEUlllE_EE10hipError_tT0_T1_T2_jT3_P12ihipStream_tbPNSt15iterator_traitsISL_E10value_typeEPNSR_ISM_E10value_typeEPSN_NS1_7vsmem_tEENKUlT_SL_SM_SN_E_clIS8_S8_S9_S9_EESK_S10_SL_SM_SN_EUlS10_E1_NS1_11comp_targetILNS1_3genE0ELNS1_11target_archE4294967295ELNS1_3gpuE0ELNS1_3repE0EEENS1_36merge_oddeven_config_static_selectorELNS0_4arch9wavefront6targetE1EEEvSM_.kd
    .uniform_work_group_size: 1
    .uses_dynamic_stack: false
    .vgpr_count:     0
    .vgpr_spill_count: 0
    .wavefront_size: 64
  - .agpr_count:     0
    .args:
      - .offset:         0
        .size:           64
        .value_kind:     by_value
    .group_segment_fixed_size: 0
    .kernarg_segment_align: 8
    .kernarg_segment_size: 64
    .language:       OpenCL C
    .language_version:
      - 2
      - 0
    .max_flat_workgroup_size: 256
    .name:           _ZN7rocprim17ROCPRIM_400000_NS6detail17trampoline_kernelINS0_14default_configENS1_38merge_sort_block_merge_config_selectorIlNS0_10empty_typeEEEZZNS1_27merge_sort_block_merge_implIS3_PlPS5_mZN2at6native12_GLOBAL__N_124unique_dim_cuda_templateIjEESt5tupleIJNSA_6TensorESF_SF_EERKSF_lbbbEUlllE_EE10hipError_tT0_T1_T2_jT3_P12ihipStream_tbPNSt15iterator_traitsISL_E10value_typeEPNSR_ISM_E10value_typeEPSN_NS1_7vsmem_tEENKUlT_SL_SM_SN_E_clIS8_S8_S9_S9_EESK_S10_SL_SM_SN_EUlS10_E1_NS1_11comp_targetILNS1_3genE10ELNS1_11target_archE1201ELNS1_3gpuE5ELNS1_3repE0EEENS1_36merge_oddeven_config_static_selectorELNS0_4arch9wavefront6targetE1EEEvSM_
    .private_segment_fixed_size: 0
    .sgpr_count:     4
    .sgpr_spill_count: 0
    .symbol:         _ZN7rocprim17ROCPRIM_400000_NS6detail17trampoline_kernelINS0_14default_configENS1_38merge_sort_block_merge_config_selectorIlNS0_10empty_typeEEEZZNS1_27merge_sort_block_merge_implIS3_PlPS5_mZN2at6native12_GLOBAL__N_124unique_dim_cuda_templateIjEESt5tupleIJNSA_6TensorESF_SF_EERKSF_lbbbEUlllE_EE10hipError_tT0_T1_T2_jT3_P12ihipStream_tbPNSt15iterator_traitsISL_E10value_typeEPNSR_ISM_E10value_typeEPSN_NS1_7vsmem_tEENKUlT_SL_SM_SN_E_clIS8_S8_S9_S9_EESK_S10_SL_SM_SN_EUlS10_E1_NS1_11comp_targetILNS1_3genE10ELNS1_11target_archE1201ELNS1_3gpuE5ELNS1_3repE0EEENS1_36merge_oddeven_config_static_selectorELNS0_4arch9wavefront6targetE1EEEvSM_.kd
    .uniform_work_group_size: 1
    .uses_dynamic_stack: false
    .vgpr_count:     0
    .vgpr_spill_count: 0
    .wavefront_size: 64
  - .agpr_count:     0
    .args:
      - .offset:         0
        .size:           64
        .value_kind:     by_value
    .group_segment_fixed_size: 0
    .kernarg_segment_align: 8
    .kernarg_segment_size: 64
    .language:       OpenCL C
    .language_version:
      - 2
      - 0
    .max_flat_workgroup_size: 256
    .name:           _ZN7rocprim17ROCPRIM_400000_NS6detail17trampoline_kernelINS0_14default_configENS1_38merge_sort_block_merge_config_selectorIlNS0_10empty_typeEEEZZNS1_27merge_sort_block_merge_implIS3_PlPS5_mZN2at6native12_GLOBAL__N_124unique_dim_cuda_templateIjEESt5tupleIJNSA_6TensorESF_SF_EERKSF_lbbbEUlllE_EE10hipError_tT0_T1_T2_jT3_P12ihipStream_tbPNSt15iterator_traitsISL_E10value_typeEPNSR_ISM_E10value_typeEPSN_NS1_7vsmem_tEENKUlT_SL_SM_SN_E_clIS8_S8_S9_S9_EESK_S10_SL_SM_SN_EUlS10_E1_NS1_11comp_targetILNS1_3genE5ELNS1_11target_archE942ELNS1_3gpuE9ELNS1_3repE0EEENS1_36merge_oddeven_config_static_selectorELNS0_4arch9wavefront6targetE1EEEvSM_
    .private_segment_fixed_size: 0
    .sgpr_count:     4
    .sgpr_spill_count: 0
    .symbol:         _ZN7rocprim17ROCPRIM_400000_NS6detail17trampoline_kernelINS0_14default_configENS1_38merge_sort_block_merge_config_selectorIlNS0_10empty_typeEEEZZNS1_27merge_sort_block_merge_implIS3_PlPS5_mZN2at6native12_GLOBAL__N_124unique_dim_cuda_templateIjEESt5tupleIJNSA_6TensorESF_SF_EERKSF_lbbbEUlllE_EE10hipError_tT0_T1_T2_jT3_P12ihipStream_tbPNSt15iterator_traitsISL_E10value_typeEPNSR_ISM_E10value_typeEPSN_NS1_7vsmem_tEENKUlT_SL_SM_SN_E_clIS8_S8_S9_S9_EESK_S10_SL_SM_SN_EUlS10_E1_NS1_11comp_targetILNS1_3genE5ELNS1_11target_archE942ELNS1_3gpuE9ELNS1_3repE0EEENS1_36merge_oddeven_config_static_selectorELNS0_4arch9wavefront6targetE1EEEvSM_.kd
    .uniform_work_group_size: 1
    .uses_dynamic_stack: false
    .vgpr_count:     0
    .vgpr_spill_count: 0
    .wavefront_size: 64
  - .agpr_count:     0
    .args:
      - .offset:         0
        .size:           64
        .value_kind:     by_value
    .group_segment_fixed_size: 0
    .kernarg_segment_align: 8
    .kernarg_segment_size: 64
    .language:       OpenCL C
    .language_version:
      - 2
      - 0
    .max_flat_workgroup_size: 256
    .name:           _ZN7rocprim17ROCPRIM_400000_NS6detail17trampoline_kernelINS0_14default_configENS1_38merge_sort_block_merge_config_selectorIlNS0_10empty_typeEEEZZNS1_27merge_sort_block_merge_implIS3_PlPS5_mZN2at6native12_GLOBAL__N_124unique_dim_cuda_templateIjEESt5tupleIJNSA_6TensorESF_SF_EERKSF_lbbbEUlllE_EE10hipError_tT0_T1_T2_jT3_P12ihipStream_tbPNSt15iterator_traitsISL_E10value_typeEPNSR_ISM_E10value_typeEPSN_NS1_7vsmem_tEENKUlT_SL_SM_SN_E_clIS8_S8_S9_S9_EESK_S10_SL_SM_SN_EUlS10_E1_NS1_11comp_targetILNS1_3genE4ELNS1_11target_archE910ELNS1_3gpuE8ELNS1_3repE0EEENS1_36merge_oddeven_config_static_selectorELNS0_4arch9wavefront6targetE1EEEvSM_
    .private_segment_fixed_size: 0
    .sgpr_count:     50
    .sgpr_spill_count: 0
    .symbol:         _ZN7rocprim17ROCPRIM_400000_NS6detail17trampoline_kernelINS0_14default_configENS1_38merge_sort_block_merge_config_selectorIlNS0_10empty_typeEEEZZNS1_27merge_sort_block_merge_implIS3_PlPS5_mZN2at6native12_GLOBAL__N_124unique_dim_cuda_templateIjEESt5tupleIJNSA_6TensorESF_SF_EERKSF_lbbbEUlllE_EE10hipError_tT0_T1_T2_jT3_P12ihipStream_tbPNSt15iterator_traitsISL_E10value_typeEPNSR_ISM_E10value_typeEPSN_NS1_7vsmem_tEENKUlT_SL_SM_SN_E_clIS8_S8_S9_S9_EESK_S10_SL_SM_SN_EUlS10_E1_NS1_11comp_targetILNS1_3genE4ELNS1_11target_archE910ELNS1_3gpuE8ELNS1_3repE0EEENS1_36merge_oddeven_config_static_selectorELNS0_4arch9wavefront6targetE1EEEvSM_.kd
    .uniform_work_group_size: 1
    .uses_dynamic_stack: false
    .vgpr_count:     18
    .vgpr_spill_count: 0
    .wavefront_size: 64
  - .agpr_count:     0
    .args:
      - .offset:         0
        .size:           64
        .value_kind:     by_value
    .group_segment_fixed_size: 0
    .kernarg_segment_align: 8
    .kernarg_segment_size: 64
    .language:       OpenCL C
    .language_version:
      - 2
      - 0
    .max_flat_workgroup_size: 256
    .name:           _ZN7rocprim17ROCPRIM_400000_NS6detail17trampoline_kernelINS0_14default_configENS1_38merge_sort_block_merge_config_selectorIlNS0_10empty_typeEEEZZNS1_27merge_sort_block_merge_implIS3_PlPS5_mZN2at6native12_GLOBAL__N_124unique_dim_cuda_templateIjEESt5tupleIJNSA_6TensorESF_SF_EERKSF_lbbbEUlllE_EE10hipError_tT0_T1_T2_jT3_P12ihipStream_tbPNSt15iterator_traitsISL_E10value_typeEPNSR_ISM_E10value_typeEPSN_NS1_7vsmem_tEENKUlT_SL_SM_SN_E_clIS8_S8_S9_S9_EESK_S10_SL_SM_SN_EUlS10_E1_NS1_11comp_targetILNS1_3genE3ELNS1_11target_archE908ELNS1_3gpuE7ELNS1_3repE0EEENS1_36merge_oddeven_config_static_selectorELNS0_4arch9wavefront6targetE1EEEvSM_
    .private_segment_fixed_size: 0
    .sgpr_count:     4
    .sgpr_spill_count: 0
    .symbol:         _ZN7rocprim17ROCPRIM_400000_NS6detail17trampoline_kernelINS0_14default_configENS1_38merge_sort_block_merge_config_selectorIlNS0_10empty_typeEEEZZNS1_27merge_sort_block_merge_implIS3_PlPS5_mZN2at6native12_GLOBAL__N_124unique_dim_cuda_templateIjEESt5tupleIJNSA_6TensorESF_SF_EERKSF_lbbbEUlllE_EE10hipError_tT0_T1_T2_jT3_P12ihipStream_tbPNSt15iterator_traitsISL_E10value_typeEPNSR_ISM_E10value_typeEPSN_NS1_7vsmem_tEENKUlT_SL_SM_SN_E_clIS8_S8_S9_S9_EESK_S10_SL_SM_SN_EUlS10_E1_NS1_11comp_targetILNS1_3genE3ELNS1_11target_archE908ELNS1_3gpuE7ELNS1_3repE0EEENS1_36merge_oddeven_config_static_selectorELNS0_4arch9wavefront6targetE1EEEvSM_.kd
    .uniform_work_group_size: 1
    .uses_dynamic_stack: false
    .vgpr_count:     0
    .vgpr_spill_count: 0
    .wavefront_size: 64
  - .agpr_count:     0
    .args:
      - .offset:         0
        .size:           64
        .value_kind:     by_value
    .group_segment_fixed_size: 0
    .kernarg_segment_align: 8
    .kernarg_segment_size: 64
    .language:       OpenCL C
    .language_version:
      - 2
      - 0
    .max_flat_workgroup_size: 256
    .name:           _ZN7rocprim17ROCPRIM_400000_NS6detail17trampoline_kernelINS0_14default_configENS1_38merge_sort_block_merge_config_selectorIlNS0_10empty_typeEEEZZNS1_27merge_sort_block_merge_implIS3_PlPS5_mZN2at6native12_GLOBAL__N_124unique_dim_cuda_templateIjEESt5tupleIJNSA_6TensorESF_SF_EERKSF_lbbbEUlllE_EE10hipError_tT0_T1_T2_jT3_P12ihipStream_tbPNSt15iterator_traitsISL_E10value_typeEPNSR_ISM_E10value_typeEPSN_NS1_7vsmem_tEENKUlT_SL_SM_SN_E_clIS8_S8_S9_S9_EESK_S10_SL_SM_SN_EUlS10_E1_NS1_11comp_targetILNS1_3genE2ELNS1_11target_archE906ELNS1_3gpuE6ELNS1_3repE0EEENS1_36merge_oddeven_config_static_selectorELNS0_4arch9wavefront6targetE1EEEvSM_
    .private_segment_fixed_size: 0
    .sgpr_count:     4
    .sgpr_spill_count: 0
    .symbol:         _ZN7rocprim17ROCPRIM_400000_NS6detail17trampoline_kernelINS0_14default_configENS1_38merge_sort_block_merge_config_selectorIlNS0_10empty_typeEEEZZNS1_27merge_sort_block_merge_implIS3_PlPS5_mZN2at6native12_GLOBAL__N_124unique_dim_cuda_templateIjEESt5tupleIJNSA_6TensorESF_SF_EERKSF_lbbbEUlllE_EE10hipError_tT0_T1_T2_jT3_P12ihipStream_tbPNSt15iterator_traitsISL_E10value_typeEPNSR_ISM_E10value_typeEPSN_NS1_7vsmem_tEENKUlT_SL_SM_SN_E_clIS8_S8_S9_S9_EESK_S10_SL_SM_SN_EUlS10_E1_NS1_11comp_targetILNS1_3genE2ELNS1_11target_archE906ELNS1_3gpuE6ELNS1_3repE0EEENS1_36merge_oddeven_config_static_selectorELNS0_4arch9wavefront6targetE1EEEvSM_.kd
    .uniform_work_group_size: 1
    .uses_dynamic_stack: false
    .vgpr_count:     0
    .vgpr_spill_count: 0
    .wavefront_size: 64
  - .agpr_count:     0
    .args:
      - .offset:         0
        .size:           64
        .value_kind:     by_value
    .group_segment_fixed_size: 0
    .kernarg_segment_align: 8
    .kernarg_segment_size: 64
    .language:       OpenCL C
    .language_version:
      - 2
      - 0
    .max_flat_workgroup_size: 256
    .name:           _ZN7rocprim17ROCPRIM_400000_NS6detail17trampoline_kernelINS0_14default_configENS1_38merge_sort_block_merge_config_selectorIlNS0_10empty_typeEEEZZNS1_27merge_sort_block_merge_implIS3_PlPS5_mZN2at6native12_GLOBAL__N_124unique_dim_cuda_templateIjEESt5tupleIJNSA_6TensorESF_SF_EERKSF_lbbbEUlllE_EE10hipError_tT0_T1_T2_jT3_P12ihipStream_tbPNSt15iterator_traitsISL_E10value_typeEPNSR_ISM_E10value_typeEPSN_NS1_7vsmem_tEENKUlT_SL_SM_SN_E_clIS8_S8_S9_S9_EESK_S10_SL_SM_SN_EUlS10_E1_NS1_11comp_targetILNS1_3genE9ELNS1_11target_archE1100ELNS1_3gpuE3ELNS1_3repE0EEENS1_36merge_oddeven_config_static_selectorELNS0_4arch9wavefront6targetE1EEEvSM_
    .private_segment_fixed_size: 0
    .sgpr_count:     4
    .sgpr_spill_count: 0
    .symbol:         _ZN7rocprim17ROCPRIM_400000_NS6detail17trampoline_kernelINS0_14default_configENS1_38merge_sort_block_merge_config_selectorIlNS0_10empty_typeEEEZZNS1_27merge_sort_block_merge_implIS3_PlPS5_mZN2at6native12_GLOBAL__N_124unique_dim_cuda_templateIjEESt5tupleIJNSA_6TensorESF_SF_EERKSF_lbbbEUlllE_EE10hipError_tT0_T1_T2_jT3_P12ihipStream_tbPNSt15iterator_traitsISL_E10value_typeEPNSR_ISM_E10value_typeEPSN_NS1_7vsmem_tEENKUlT_SL_SM_SN_E_clIS8_S8_S9_S9_EESK_S10_SL_SM_SN_EUlS10_E1_NS1_11comp_targetILNS1_3genE9ELNS1_11target_archE1100ELNS1_3gpuE3ELNS1_3repE0EEENS1_36merge_oddeven_config_static_selectorELNS0_4arch9wavefront6targetE1EEEvSM_.kd
    .uniform_work_group_size: 1
    .uses_dynamic_stack: false
    .vgpr_count:     0
    .vgpr_spill_count: 0
    .wavefront_size: 64
  - .agpr_count:     0
    .args:
      - .offset:         0
        .size:           64
        .value_kind:     by_value
    .group_segment_fixed_size: 0
    .kernarg_segment_align: 8
    .kernarg_segment_size: 64
    .language:       OpenCL C
    .language_version:
      - 2
      - 0
    .max_flat_workgroup_size: 256
    .name:           _ZN7rocprim17ROCPRIM_400000_NS6detail17trampoline_kernelINS0_14default_configENS1_38merge_sort_block_merge_config_selectorIlNS0_10empty_typeEEEZZNS1_27merge_sort_block_merge_implIS3_PlPS5_mZN2at6native12_GLOBAL__N_124unique_dim_cuda_templateIjEESt5tupleIJNSA_6TensorESF_SF_EERKSF_lbbbEUlllE_EE10hipError_tT0_T1_T2_jT3_P12ihipStream_tbPNSt15iterator_traitsISL_E10value_typeEPNSR_ISM_E10value_typeEPSN_NS1_7vsmem_tEENKUlT_SL_SM_SN_E_clIS8_S8_S9_S9_EESK_S10_SL_SM_SN_EUlS10_E1_NS1_11comp_targetILNS1_3genE8ELNS1_11target_archE1030ELNS1_3gpuE2ELNS1_3repE0EEENS1_36merge_oddeven_config_static_selectorELNS0_4arch9wavefront6targetE1EEEvSM_
    .private_segment_fixed_size: 0
    .sgpr_count:     4
    .sgpr_spill_count: 0
    .symbol:         _ZN7rocprim17ROCPRIM_400000_NS6detail17trampoline_kernelINS0_14default_configENS1_38merge_sort_block_merge_config_selectorIlNS0_10empty_typeEEEZZNS1_27merge_sort_block_merge_implIS3_PlPS5_mZN2at6native12_GLOBAL__N_124unique_dim_cuda_templateIjEESt5tupleIJNSA_6TensorESF_SF_EERKSF_lbbbEUlllE_EE10hipError_tT0_T1_T2_jT3_P12ihipStream_tbPNSt15iterator_traitsISL_E10value_typeEPNSR_ISM_E10value_typeEPSN_NS1_7vsmem_tEENKUlT_SL_SM_SN_E_clIS8_S8_S9_S9_EESK_S10_SL_SM_SN_EUlS10_E1_NS1_11comp_targetILNS1_3genE8ELNS1_11target_archE1030ELNS1_3gpuE2ELNS1_3repE0EEENS1_36merge_oddeven_config_static_selectorELNS0_4arch9wavefront6targetE1EEEvSM_.kd
    .uniform_work_group_size: 1
    .uses_dynamic_stack: false
    .vgpr_count:     0
    .vgpr_spill_count: 0
    .wavefront_size: 64
  - .agpr_count:     0
    .args:
      - .offset:         0
        .size:           64
        .value_kind:     by_value
    .group_segment_fixed_size: 0
    .kernarg_segment_align: 8
    .kernarg_segment_size: 64
    .language:       OpenCL C
    .language_version:
      - 2
      - 0
    .max_flat_workgroup_size: 128
    .name:           _ZN7rocprim17ROCPRIM_400000_NS6detail17trampoline_kernelINS0_14default_configENS1_35adjacent_difference_config_selectorILb0ElEEZNS1_24adjacent_difference_implIS3_Lb0ELb0EPlS7_ZN2at6native12_GLOBAL__N_124unique_dim_cuda_templateIjEESt5tupleIJNS8_6TensorESD_SD_EERKSD_lbbbEUlllE1_EE10hipError_tPvRmT2_T3_mT4_P12ihipStream_tbEUlT_E_NS1_11comp_targetILNS1_3genE0ELNS1_11target_archE4294967295ELNS1_3gpuE0ELNS1_3repE0EEENS1_30default_config_static_selectorELNS0_4arch9wavefront6targetE1EEEvT1_
    .private_segment_fixed_size: 0
    .sgpr_count:     4
    .sgpr_spill_count: 0
    .symbol:         _ZN7rocprim17ROCPRIM_400000_NS6detail17trampoline_kernelINS0_14default_configENS1_35adjacent_difference_config_selectorILb0ElEEZNS1_24adjacent_difference_implIS3_Lb0ELb0EPlS7_ZN2at6native12_GLOBAL__N_124unique_dim_cuda_templateIjEESt5tupleIJNS8_6TensorESD_SD_EERKSD_lbbbEUlllE1_EE10hipError_tPvRmT2_T3_mT4_P12ihipStream_tbEUlT_E_NS1_11comp_targetILNS1_3genE0ELNS1_11target_archE4294967295ELNS1_3gpuE0ELNS1_3repE0EEENS1_30default_config_static_selectorELNS0_4arch9wavefront6targetE1EEEvT1_.kd
    .uniform_work_group_size: 1
    .uses_dynamic_stack: false
    .vgpr_count:     0
    .vgpr_spill_count: 0
    .wavefront_size: 64
  - .agpr_count:     0
    .args:
      - .offset:         0
        .size:           64
        .value_kind:     by_value
    .group_segment_fixed_size: 0
    .kernarg_segment_align: 8
    .kernarg_segment_size: 64
    .language:       OpenCL C
    .language_version:
      - 2
      - 0
    .max_flat_workgroup_size: 128
    .name:           _ZN7rocprim17ROCPRIM_400000_NS6detail17trampoline_kernelINS0_14default_configENS1_35adjacent_difference_config_selectorILb0ElEEZNS1_24adjacent_difference_implIS3_Lb0ELb0EPlS7_ZN2at6native12_GLOBAL__N_124unique_dim_cuda_templateIjEESt5tupleIJNS8_6TensorESD_SD_EERKSD_lbbbEUlllE1_EE10hipError_tPvRmT2_T3_mT4_P12ihipStream_tbEUlT_E_NS1_11comp_targetILNS1_3genE10ELNS1_11target_archE1201ELNS1_3gpuE5ELNS1_3repE0EEENS1_30default_config_static_selectorELNS0_4arch9wavefront6targetE1EEEvT1_
    .private_segment_fixed_size: 0
    .sgpr_count:     4
    .sgpr_spill_count: 0
    .symbol:         _ZN7rocprim17ROCPRIM_400000_NS6detail17trampoline_kernelINS0_14default_configENS1_35adjacent_difference_config_selectorILb0ElEEZNS1_24adjacent_difference_implIS3_Lb0ELb0EPlS7_ZN2at6native12_GLOBAL__N_124unique_dim_cuda_templateIjEESt5tupleIJNS8_6TensorESD_SD_EERKSD_lbbbEUlllE1_EE10hipError_tPvRmT2_T3_mT4_P12ihipStream_tbEUlT_E_NS1_11comp_targetILNS1_3genE10ELNS1_11target_archE1201ELNS1_3gpuE5ELNS1_3repE0EEENS1_30default_config_static_selectorELNS0_4arch9wavefront6targetE1EEEvT1_.kd
    .uniform_work_group_size: 1
    .uses_dynamic_stack: false
    .vgpr_count:     0
    .vgpr_spill_count: 0
    .wavefront_size: 64
  - .agpr_count:     0
    .args:
      - .offset:         0
        .size:           64
        .value_kind:     by_value
    .group_segment_fixed_size: 0
    .kernarg_segment_align: 8
    .kernarg_segment_size: 64
    .language:       OpenCL C
    .language_version:
      - 2
      - 0
    .max_flat_workgroup_size: 64
    .name:           _ZN7rocprim17ROCPRIM_400000_NS6detail17trampoline_kernelINS0_14default_configENS1_35adjacent_difference_config_selectorILb0ElEEZNS1_24adjacent_difference_implIS3_Lb0ELb0EPlS7_ZN2at6native12_GLOBAL__N_124unique_dim_cuda_templateIjEESt5tupleIJNS8_6TensorESD_SD_EERKSD_lbbbEUlllE1_EE10hipError_tPvRmT2_T3_mT4_P12ihipStream_tbEUlT_E_NS1_11comp_targetILNS1_3genE5ELNS1_11target_archE942ELNS1_3gpuE9ELNS1_3repE0EEENS1_30default_config_static_selectorELNS0_4arch9wavefront6targetE1EEEvT1_
    .private_segment_fixed_size: 0
    .sgpr_count:     4
    .sgpr_spill_count: 0
    .symbol:         _ZN7rocprim17ROCPRIM_400000_NS6detail17trampoline_kernelINS0_14default_configENS1_35adjacent_difference_config_selectorILb0ElEEZNS1_24adjacent_difference_implIS3_Lb0ELb0EPlS7_ZN2at6native12_GLOBAL__N_124unique_dim_cuda_templateIjEESt5tupleIJNS8_6TensorESD_SD_EERKSD_lbbbEUlllE1_EE10hipError_tPvRmT2_T3_mT4_P12ihipStream_tbEUlT_E_NS1_11comp_targetILNS1_3genE5ELNS1_11target_archE942ELNS1_3gpuE9ELNS1_3repE0EEENS1_30default_config_static_selectorELNS0_4arch9wavefront6targetE1EEEvT1_.kd
    .uniform_work_group_size: 1
    .uses_dynamic_stack: false
    .vgpr_count:     0
    .vgpr_spill_count: 0
    .wavefront_size: 64
  - .agpr_count:     0
    .args:
      - .offset:         0
        .size:           64
        .value_kind:     by_value
    .group_segment_fixed_size: 4224
    .kernarg_segment_align: 8
    .kernarg_segment_size: 64
    .language:       OpenCL C
    .language_version:
      - 2
      - 0
    .max_flat_workgroup_size: 256
    .name:           _ZN7rocprim17ROCPRIM_400000_NS6detail17trampoline_kernelINS0_14default_configENS1_35adjacent_difference_config_selectorILb0ElEEZNS1_24adjacent_difference_implIS3_Lb0ELb0EPlS7_ZN2at6native12_GLOBAL__N_124unique_dim_cuda_templateIjEESt5tupleIJNS8_6TensorESD_SD_EERKSD_lbbbEUlllE1_EE10hipError_tPvRmT2_T3_mT4_P12ihipStream_tbEUlT_E_NS1_11comp_targetILNS1_3genE4ELNS1_11target_archE910ELNS1_3gpuE8ELNS1_3repE0EEENS1_30default_config_static_selectorELNS0_4arch9wavefront6targetE1EEEvT1_
    .private_segment_fixed_size: 0
    .sgpr_count:     42
    .sgpr_spill_count: 0
    .symbol:         _ZN7rocprim17ROCPRIM_400000_NS6detail17trampoline_kernelINS0_14default_configENS1_35adjacent_difference_config_selectorILb0ElEEZNS1_24adjacent_difference_implIS3_Lb0ELb0EPlS7_ZN2at6native12_GLOBAL__N_124unique_dim_cuda_templateIjEESt5tupleIJNS8_6TensorESD_SD_EERKSD_lbbbEUlllE1_EE10hipError_tPvRmT2_T3_mT4_P12ihipStream_tbEUlT_E_NS1_11comp_targetILNS1_3genE4ELNS1_11target_archE910ELNS1_3gpuE8ELNS1_3repE0EEENS1_30default_config_static_selectorELNS0_4arch9wavefront6targetE1EEEvT1_.kd
    .uniform_work_group_size: 1
    .uses_dynamic_stack: false
    .vgpr_count:     17
    .vgpr_spill_count: 0
    .wavefront_size: 64
  - .agpr_count:     0
    .args:
      - .offset:         0
        .size:           64
        .value_kind:     by_value
    .group_segment_fixed_size: 0
    .kernarg_segment_align: 8
    .kernarg_segment_size: 64
    .language:       OpenCL C
    .language_version:
      - 2
      - 0
    .max_flat_workgroup_size: 128
    .name:           _ZN7rocprim17ROCPRIM_400000_NS6detail17trampoline_kernelINS0_14default_configENS1_35adjacent_difference_config_selectorILb0ElEEZNS1_24adjacent_difference_implIS3_Lb0ELb0EPlS7_ZN2at6native12_GLOBAL__N_124unique_dim_cuda_templateIjEESt5tupleIJNS8_6TensorESD_SD_EERKSD_lbbbEUlllE1_EE10hipError_tPvRmT2_T3_mT4_P12ihipStream_tbEUlT_E_NS1_11comp_targetILNS1_3genE3ELNS1_11target_archE908ELNS1_3gpuE7ELNS1_3repE0EEENS1_30default_config_static_selectorELNS0_4arch9wavefront6targetE1EEEvT1_
    .private_segment_fixed_size: 0
    .sgpr_count:     4
    .sgpr_spill_count: 0
    .symbol:         _ZN7rocprim17ROCPRIM_400000_NS6detail17trampoline_kernelINS0_14default_configENS1_35adjacent_difference_config_selectorILb0ElEEZNS1_24adjacent_difference_implIS3_Lb0ELb0EPlS7_ZN2at6native12_GLOBAL__N_124unique_dim_cuda_templateIjEESt5tupleIJNS8_6TensorESD_SD_EERKSD_lbbbEUlllE1_EE10hipError_tPvRmT2_T3_mT4_P12ihipStream_tbEUlT_E_NS1_11comp_targetILNS1_3genE3ELNS1_11target_archE908ELNS1_3gpuE7ELNS1_3repE0EEENS1_30default_config_static_selectorELNS0_4arch9wavefront6targetE1EEEvT1_.kd
    .uniform_work_group_size: 1
    .uses_dynamic_stack: false
    .vgpr_count:     0
    .vgpr_spill_count: 0
    .wavefront_size: 64
  - .agpr_count:     0
    .args:
      - .offset:         0
        .size:           64
        .value_kind:     by_value
    .group_segment_fixed_size: 0
    .kernarg_segment_align: 8
    .kernarg_segment_size: 64
    .language:       OpenCL C
    .language_version:
      - 2
      - 0
    .max_flat_workgroup_size: 128
    .name:           _ZN7rocprim17ROCPRIM_400000_NS6detail17trampoline_kernelINS0_14default_configENS1_35adjacent_difference_config_selectorILb0ElEEZNS1_24adjacent_difference_implIS3_Lb0ELb0EPlS7_ZN2at6native12_GLOBAL__N_124unique_dim_cuda_templateIjEESt5tupleIJNS8_6TensorESD_SD_EERKSD_lbbbEUlllE1_EE10hipError_tPvRmT2_T3_mT4_P12ihipStream_tbEUlT_E_NS1_11comp_targetILNS1_3genE2ELNS1_11target_archE906ELNS1_3gpuE6ELNS1_3repE0EEENS1_30default_config_static_selectorELNS0_4arch9wavefront6targetE1EEEvT1_
    .private_segment_fixed_size: 0
    .sgpr_count:     4
    .sgpr_spill_count: 0
    .symbol:         _ZN7rocprim17ROCPRIM_400000_NS6detail17trampoline_kernelINS0_14default_configENS1_35adjacent_difference_config_selectorILb0ElEEZNS1_24adjacent_difference_implIS3_Lb0ELb0EPlS7_ZN2at6native12_GLOBAL__N_124unique_dim_cuda_templateIjEESt5tupleIJNS8_6TensorESD_SD_EERKSD_lbbbEUlllE1_EE10hipError_tPvRmT2_T3_mT4_P12ihipStream_tbEUlT_E_NS1_11comp_targetILNS1_3genE2ELNS1_11target_archE906ELNS1_3gpuE6ELNS1_3repE0EEENS1_30default_config_static_selectorELNS0_4arch9wavefront6targetE1EEEvT1_.kd
    .uniform_work_group_size: 1
    .uses_dynamic_stack: false
    .vgpr_count:     0
    .vgpr_spill_count: 0
    .wavefront_size: 64
  - .agpr_count:     0
    .args:
      - .offset:         0
        .size:           64
        .value_kind:     by_value
    .group_segment_fixed_size: 0
    .kernarg_segment_align: 8
    .kernarg_segment_size: 64
    .language:       OpenCL C
    .language_version:
      - 2
      - 0
    .max_flat_workgroup_size: 512
    .name:           _ZN7rocprim17ROCPRIM_400000_NS6detail17trampoline_kernelINS0_14default_configENS1_35adjacent_difference_config_selectorILb0ElEEZNS1_24adjacent_difference_implIS3_Lb0ELb0EPlS7_ZN2at6native12_GLOBAL__N_124unique_dim_cuda_templateIjEESt5tupleIJNS8_6TensorESD_SD_EERKSD_lbbbEUlllE1_EE10hipError_tPvRmT2_T3_mT4_P12ihipStream_tbEUlT_E_NS1_11comp_targetILNS1_3genE9ELNS1_11target_archE1100ELNS1_3gpuE3ELNS1_3repE0EEENS1_30default_config_static_selectorELNS0_4arch9wavefront6targetE1EEEvT1_
    .private_segment_fixed_size: 0
    .sgpr_count:     4
    .sgpr_spill_count: 0
    .symbol:         _ZN7rocprim17ROCPRIM_400000_NS6detail17trampoline_kernelINS0_14default_configENS1_35adjacent_difference_config_selectorILb0ElEEZNS1_24adjacent_difference_implIS3_Lb0ELb0EPlS7_ZN2at6native12_GLOBAL__N_124unique_dim_cuda_templateIjEESt5tupleIJNS8_6TensorESD_SD_EERKSD_lbbbEUlllE1_EE10hipError_tPvRmT2_T3_mT4_P12ihipStream_tbEUlT_E_NS1_11comp_targetILNS1_3genE9ELNS1_11target_archE1100ELNS1_3gpuE3ELNS1_3repE0EEENS1_30default_config_static_selectorELNS0_4arch9wavefront6targetE1EEEvT1_.kd
    .uniform_work_group_size: 1
    .uses_dynamic_stack: false
    .vgpr_count:     0
    .vgpr_spill_count: 0
    .wavefront_size: 64
  - .agpr_count:     0
    .args:
      - .offset:         0
        .size:           64
        .value_kind:     by_value
    .group_segment_fixed_size: 0
    .kernarg_segment_align: 8
    .kernarg_segment_size: 64
    .language:       OpenCL C
    .language_version:
      - 2
      - 0
    .max_flat_workgroup_size: 1024
    .name:           _ZN7rocprim17ROCPRIM_400000_NS6detail17trampoline_kernelINS0_14default_configENS1_35adjacent_difference_config_selectorILb0ElEEZNS1_24adjacent_difference_implIS3_Lb0ELb0EPlS7_ZN2at6native12_GLOBAL__N_124unique_dim_cuda_templateIjEESt5tupleIJNS8_6TensorESD_SD_EERKSD_lbbbEUlllE1_EE10hipError_tPvRmT2_T3_mT4_P12ihipStream_tbEUlT_E_NS1_11comp_targetILNS1_3genE8ELNS1_11target_archE1030ELNS1_3gpuE2ELNS1_3repE0EEENS1_30default_config_static_selectorELNS0_4arch9wavefront6targetE1EEEvT1_
    .private_segment_fixed_size: 0
    .sgpr_count:     4
    .sgpr_spill_count: 0
    .symbol:         _ZN7rocprim17ROCPRIM_400000_NS6detail17trampoline_kernelINS0_14default_configENS1_35adjacent_difference_config_selectorILb0ElEEZNS1_24adjacent_difference_implIS3_Lb0ELb0EPlS7_ZN2at6native12_GLOBAL__N_124unique_dim_cuda_templateIjEESt5tupleIJNS8_6TensorESD_SD_EERKSD_lbbbEUlllE1_EE10hipError_tPvRmT2_T3_mT4_P12ihipStream_tbEUlT_E_NS1_11comp_targetILNS1_3genE8ELNS1_11target_archE1030ELNS1_3gpuE2ELNS1_3repE0EEENS1_30default_config_static_selectorELNS0_4arch9wavefront6targetE1EEEvT1_.kd
    .uniform_work_group_size: 1
    .uses_dynamic_stack: false
    .vgpr_count:     0
    .vgpr_spill_count: 0
    .wavefront_size: 64
  - .agpr_count:     0
    .args:
      - .offset:         0
        .size:           56
        .value_kind:     by_value
    .group_segment_fixed_size: 0
    .kernarg_segment_align: 8
    .kernarg_segment_size: 56
    .language:       OpenCL C
    .language_version:
      - 2
      - 0
    .max_flat_workgroup_size: 128
    .name:           _ZN7rocprim17ROCPRIM_400000_NS6detail17trampoline_kernelINS0_14default_configENS1_25transform_config_selectorIlLb0EEEZNS1_14transform_implILb0ES3_S5_NS0_18transform_iteratorINS0_17counting_iteratorImlEEZNS1_24adjacent_difference_implIS3_Lb1ELb0EPlSB_ZN2at6native12_GLOBAL__N_124unique_dim_cuda_templateIjEESt5tupleIJNSC_6TensorESH_SH_EERKSH_lbbbEUlllE1_EE10hipError_tPvRmT2_T3_mT4_P12ihipStream_tbEUlmE_lEESB_NS0_8identityIvEEEESM_SP_SQ_mSR_ST_bEUlT_E_NS1_11comp_targetILNS1_3genE0ELNS1_11target_archE4294967295ELNS1_3gpuE0ELNS1_3repE0EEENS1_30default_config_static_selectorELNS0_4arch9wavefront6targetE1EEEvT1_
    .private_segment_fixed_size: 0
    .sgpr_count:     4
    .sgpr_spill_count: 0
    .symbol:         _ZN7rocprim17ROCPRIM_400000_NS6detail17trampoline_kernelINS0_14default_configENS1_25transform_config_selectorIlLb0EEEZNS1_14transform_implILb0ES3_S5_NS0_18transform_iteratorINS0_17counting_iteratorImlEEZNS1_24adjacent_difference_implIS3_Lb1ELb0EPlSB_ZN2at6native12_GLOBAL__N_124unique_dim_cuda_templateIjEESt5tupleIJNSC_6TensorESH_SH_EERKSH_lbbbEUlllE1_EE10hipError_tPvRmT2_T3_mT4_P12ihipStream_tbEUlmE_lEESB_NS0_8identityIvEEEESM_SP_SQ_mSR_ST_bEUlT_E_NS1_11comp_targetILNS1_3genE0ELNS1_11target_archE4294967295ELNS1_3gpuE0ELNS1_3repE0EEENS1_30default_config_static_selectorELNS0_4arch9wavefront6targetE1EEEvT1_.kd
    .uniform_work_group_size: 1
    .uses_dynamic_stack: false
    .vgpr_count:     0
    .vgpr_spill_count: 0
    .wavefront_size: 64
  - .agpr_count:     0
    .args:
      - .offset:         0
        .size:           56
        .value_kind:     by_value
    .group_segment_fixed_size: 0
    .kernarg_segment_align: 8
    .kernarg_segment_size: 56
    .language:       OpenCL C
    .language_version:
      - 2
      - 0
    .max_flat_workgroup_size: 512
    .name:           _ZN7rocprim17ROCPRIM_400000_NS6detail17trampoline_kernelINS0_14default_configENS1_25transform_config_selectorIlLb0EEEZNS1_14transform_implILb0ES3_S5_NS0_18transform_iteratorINS0_17counting_iteratorImlEEZNS1_24adjacent_difference_implIS3_Lb1ELb0EPlSB_ZN2at6native12_GLOBAL__N_124unique_dim_cuda_templateIjEESt5tupleIJNSC_6TensorESH_SH_EERKSH_lbbbEUlllE1_EE10hipError_tPvRmT2_T3_mT4_P12ihipStream_tbEUlmE_lEESB_NS0_8identityIvEEEESM_SP_SQ_mSR_ST_bEUlT_E_NS1_11comp_targetILNS1_3genE5ELNS1_11target_archE942ELNS1_3gpuE9ELNS1_3repE0EEENS1_30default_config_static_selectorELNS0_4arch9wavefront6targetE1EEEvT1_
    .private_segment_fixed_size: 0
    .sgpr_count:     4
    .sgpr_spill_count: 0
    .symbol:         _ZN7rocprim17ROCPRIM_400000_NS6detail17trampoline_kernelINS0_14default_configENS1_25transform_config_selectorIlLb0EEEZNS1_14transform_implILb0ES3_S5_NS0_18transform_iteratorINS0_17counting_iteratorImlEEZNS1_24adjacent_difference_implIS3_Lb1ELb0EPlSB_ZN2at6native12_GLOBAL__N_124unique_dim_cuda_templateIjEESt5tupleIJNSC_6TensorESH_SH_EERKSH_lbbbEUlllE1_EE10hipError_tPvRmT2_T3_mT4_P12ihipStream_tbEUlmE_lEESB_NS0_8identityIvEEEESM_SP_SQ_mSR_ST_bEUlT_E_NS1_11comp_targetILNS1_3genE5ELNS1_11target_archE942ELNS1_3gpuE9ELNS1_3repE0EEENS1_30default_config_static_selectorELNS0_4arch9wavefront6targetE1EEEvT1_.kd
    .uniform_work_group_size: 1
    .uses_dynamic_stack: false
    .vgpr_count:     0
    .vgpr_spill_count: 0
    .wavefront_size: 64
  - .agpr_count:     0
    .args:
      - .offset:         0
        .size:           56
        .value_kind:     by_value
      - .offset:         56
        .size:           4
        .value_kind:     hidden_block_count_x
      - .offset:         60
        .size:           4
        .value_kind:     hidden_block_count_y
      - .offset:         64
        .size:           4
        .value_kind:     hidden_block_count_z
      - .offset:         68
        .size:           2
        .value_kind:     hidden_group_size_x
      - .offset:         70
        .size:           2
        .value_kind:     hidden_group_size_y
      - .offset:         72
        .size:           2
        .value_kind:     hidden_group_size_z
      - .offset:         74
        .size:           2
        .value_kind:     hidden_remainder_x
      - .offset:         76
        .size:           2
        .value_kind:     hidden_remainder_y
      - .offset:         78
        .size:           2
        .value_kind:     hidden_remainder_z
      - .offset:         96
        .size:           8
        .value_kind:     hidden_global_offset_x
      - .offset:         104
        .size:           8
        .value_kind:     hidden_global_offset_y
      - .offset:         112
        .size:           8
        .value_kind:     hidden_global_offset_z
      - .offset:         120
        .size:           2
        .value_kind:     hidden_grid_dims
    .group_segment_fixed_size: 0
    .kernarg_segment_align: 8
    .kernarg_segment_size: 312
    .language:       OpenCL C
    .language_version:
      - 2
      - 0
    .max_flat_workgroup_size: 256
    .name:           _ZN7rocprim17ROCPRIM_400000_NS6detail17trampoline_kernelINS0_14default_configENS1_25transform_config_selectorIlLb0EEEZNS1_14transform_implILb0ES3_S5_NS0_18transform_iteratorINS0_17counting_iteratorImlEEZNS1_24adjacent_difference_implIS3_Lb1ELb0EPlSB_ZN2at6native12_GLOBAL__N_124unique_dim_cuda_templateIjEESt5tupleIJNSC_6TensorESH_SH_EERKSH_lbbbEUlllE1_EE10hipError_tPvRmT2_T3_mT4_P12ihipStream_tbEUlmE_lEESB_NS0_8identityIvEEEESM_SP_SQ_mSR_ST_bEUlT_E_NS1_11comp_targetILNS1_3genE4ELNS1_11target_archE910ELNS1_3gpuE8ELNS1_3repE0EEENS1_30default_config_static_selectorELNS0_4arch9wavefront6targetE1EEEvT1_
    .private_segment_fixed_size: 0
    .sgpr_count:     22
    .sgpr_spill_count: 0
    .symbol:         _ZN7rocprim17ROCPRIM_400000_NS6detail17trampoline_kernelINS0_14default_configENS1_25transform_config_selectorIlLb0EEEZNS1_14transform_implILb0ES3_S5_NS0_18transform_iteratorINS0_17counting_iteratorImlEEZNS1_24adjacent_difference_implIS3_Lb1ELb0EPlSB_ZN2at6native12_GLOBAL__N_124unique_dim_cuda_templateIjEESt5tupleIJNSC_6TensorESH_SH_EERKSH_lbbbEUlllE1_EE10hipError_tPvRmT2_T3_mT4_P12ihipStream_tbEUlmE_lEESB_NS0_8identityIvEEEESM_SP_SQ_mSR_ST_bEUlT_E_NS1_11comp_targetILNS1_3genE4ELNS1_11target_archE910ELNS1_3gpuE8ELNS1_3repE0EEENS1_30default_config_static_selectorELNS0_4arch9wavefront6targetE1EEEvT1_.kd
    .uniform_work_group_size: 1
    .uses_dynamic_stack: false
    .vgpr_count:     10
    .vgpr_spill_count: 0
    .wavefront_size: 64
  - .agpr_count:     0
    .args:
      - .offset:         0
        .size:           56
        .value_kind:     by_value
    .group_segment_fixed_size: 0
    .kernarg_segment_align: 8
    .kernarg_segment_size: 56
    .language:       OpenCL C
    .language_version:
      - 2
      - 0
    .max_flat_workgroup_size: 128
    .name:           _ZN7rocprim17ROCPRIM_400000_NS6detail17trampoline_kernelINS0_14default_configENS1_25transform_config_selectorIlLb0EEEZNS1_14transform_implILb0ES3_S5_NS0_18transform_iteratorINS0_17counting_iteratorImlEEZNS1_24adjacent_difference_implIS3_Lb1ELb0EPlSB_ZN2at6native12_GLOBAL__N_124unique_dim_cuda_templateIjEESt5tupleIJNSC_6TensorESH_SH_EERKSH_lbbbEUlllE1_EE10hipError_tPvRmT2_T3_mT4_P12ihipStream_tbEUlmE_lEESB_NS0_8identityIvEEEESM_SP_SQ_mSR_ST_bEUlT_E_NS1_11comp_targetILNS1_3genE3ELNS1_11target_archE908ELNS1_3gpuE7ELNS1_3repE0EEENS1_30default_config_static_selectorELNS0_4arch9wavefront6targetE1EEEvT1_
    .private_segment_fixed_size: 0
    .sgpr_count:     4
    .sgpr_spill_count: 0
    .symbol:         _ZN7rocprim17ROCPRIM_400000_NS6detail17trampoline_kernelINS0_14default_configENS1_25transform_config_selectorIlLb0EEEZNS1_14transform_implILb0ES3_S5_NS0_18transform_iteratorINS0_17counting_iteratorImlEEZNS1_24adjacent_difference_implIS3_Lb1ELb0EPlSB_ZN2at6native12_GLOBAL__N_124unique_dim_cuda_templateIjEESt5tupleIJNSC_6TensorESH_SH_EERKSH_lbbbEUlllE1_EE10hipError_tPvRmT2_T3_mT4_P12ihipStream_tbEUlmE_lEESB_NS0_8identityIvEEEESM_SP_SQ_mSR_ST_bEUlT_E_NS1_11comp_targetILNS1_3genE3ELNS1_11target_archE908ELNS1_3gpuE7ELNS1_3repE0EEENS1_30default_config_static_selectorELNS0_4arch9wavefront6targetE1EEEvT1_.kd
    .uniform_work_group_size: 1
    .uses_dynamic_stack: false
    .vgpr_count:     0
    .vgpr_spill_count: 0
    .wavefront_size: 64
  - .agpr_count:     0
    .args:
      - .offset:         0
        .size:           56
        .value_kind:     by_value
    .group_segment_fixed_size: 0
    .kernarg_segment_align: 8
    .kernarg_segment_size: 56
    .language:       OpenCL C
    .language_version:
      - 2
      - 0
    .max_flat_workgroup_size: 512
    .name:           _ZN7rocprim17ROCPRIM_400000_NS6detail17trampoline_kernelINS0_14default_configENS1_25transform_config_selectorIlLb0EEEZNS1_14transform_implILb0ES3_S5_NS0_18transform_iteratorINS0_17counting_iteratorImlEEZNS1_24adjacent_difference_implIS3_Lb1ELb0EPlSB_ZN2at6native12_GLOBAL__N_124unique_dim_cuda_templateIjEESt5tupleIJNSC_6TensorESH_SH_EERKSH_lbbbEUlllE1_EE10hipError_tPvRmT2_T3_mT4_P12ihipStream_tbEUlmE_lEESB_NS0_8identityIvEEEESM_SP_SQ_mSR_ST_bEUlT_E_NS1_11comp_targetILNS1_3genE2ELNS1_11target_archE906ELNS1_3gpuE6ELNS1_3repE0EEENS1_30default_config_static_selectorELNS0_4arch9wavefront6targetE1EEEvT1_
    .private_segment_fixed_size: 0
    .sgpr_count:     4
    .sgpr_spill_count: 0
    .symbol:         _ZN7rocprim17ROCPRIM_400000_NS6detail17trampoline_kernelINS0_14default_configENS1_25transform_config_selectorIlLb0EEEZNS1_14transform_implILb0ES3_S5_NS0_18transform_iteratorINS0_17counting_iteratorImlEEZNS1_24adjacent_difference_implIS3_Lb1ELb0EPlSB_ZN2at6native12_GLOBAL__N_124unique_dim_cuda_templateIjEESt5tupleIJNSC_6TensorESH_SH_EERKSH_lbbbEUlllE1_EE10hipError_tPvRmT2_T3_mT4_P12ihipStream_tbEUlmE_lEESB_NS0_8identityIvEEEESM_SP_SQ_mSR_ST_bEUlT_E_NS1_11comp_targetILNS1_3genE2ELNS1_11target_archE906ELNS1_3gpuE6ELNS1_3repE0EEENS1_30default_config_static_selectorELNS0_4arch9wavefront6targetE1EEEvT1_.kd
    .uniform_work_group_size: 1
    .uses_dynamic_stack: false
    .vgpr_count:     0
    .vgpr_spill_count: 0
    .wavefront_size: 64
  - .agpr_count:     0
    .args:
      - .offset:         0
        .size:           56
        .value_kind:     by_value
    .group_segment_fixed_size: 0
    .kernarg_segment_align: 8
    .kernarg_segment_size: 56
    .language:       OpenCL C
    .language_version:
      - 2
      - 0
    .max_flat_workgroup_size: 1024
    .name:           _ZN7rocprim17ROCPRIM_400000_NS6detail17trampoline_kernelINS0_14default_configENS1_25transform_config_selectorIlLb0EEEZNS1_14transform_implILb0ES3_S5_NS0_18transform_iteratorINS0_17counting_iteratorImlEEZNS1_24adjacent_difference_implIS3_Lb1ELb0EPlSB_ZN2at6native12_GLOBAL__N_124unique_dim_cuda_templateIjEESt5tupleIJNSC_6TensorESH_SH_EERKSH_lbbbEUlllE1_EE10hipError_tPvRmT2_T3_mT4_P12ihipStream_tbEUlmE_lEESB_NS0_8identityIvEEEESM_SP_SQ_mSR_ST_bEUlT_E_NS1_11comp_targetILNS1_3genE10ELNS1_11target_archE1201ELNS1_3gpuE5ELNS1_3repE0EEENS1_30default_config_static_selectorELNS0_4arch9wavefront6targetE1EEEvT1_
    .private_segment_fixed_size: 0
    .sgpr_count:     4
    .sgpr_spill_count: 0
    .symbol:         _ZN7rocprim17ROCPRIM_400000_NS6detail17trampoline_kernelINS0_14default_configENS1_25transform_config_selectorIlLb0EEEZNS1_14transform_implILb0ES3_S5_NS0_18transform_iteratorINS0_17counting_iteratorImlEEZNS1_24adjacent_difference_implIS3_Lb1ELb0EPlSB_ZN2at6native12_GLOBAL__N_124unique_dim_cuda_templateIjEESt5tupleIJNSC_6TensorESH_SH_EERKSH_lbbbEUlllE1_EE10hipError_tPvRmT2_T3_mT4_P12ihipStream_tbEUlmE_lEESB_NS0_8identityIvEEEESM_SP_SQ_mSR_ST_bEUlT_E_NS1_11comp_targetILNS1_3genE10ELNS1_11target_archE1201ELNS1_3gpuE5ELNS1_3repE0EEENS1_30default_config_static_selectorELNS0_4arch9wavefront6targetE1EEEvT1_.kd
    .uniform_work_group_size: 1
    .uses_dynamic_stack: false
    .vgpr_count:     0
    .vgpr_spill_count: 0
    .wavefront_size: 64
  - .agpr_count:     0
    .args:
      - .offset:         0
        .size:           56
        .value_kind:     by_value
    .group_segment_fixed_size: 0
    .kernarg_segment_align: 8
    .kernarg_segment_size: 56
    .language:       OpenCL C
    .language_version:
      - 2
      - 0
    .max_flat_workgroup_size: 512
    .name:           _ZN7rocprim17ROCPRIM_400000_NS6detail17trampoline_kernelINS0_14default_configENS1_25transform_config_selectorIlLb0EEEZNS1_14transform_implILb0ES3_S5_NS0_18transform_iteratorINS0_17counting_iteratorImlEEZNS1_24adjacent_difference_implIS3_Lb1ELb0EPlSB_ZN2at6native12_GLOBAL__N_124unique_dim_cuda_templateIjEESt5tupleIJNSC_6TensorESH_SH_EERKSH_lbbbEUlllE1_EE10hipError_tPvRmT2_T3_mT4_P12ihipStream_tbEUlmE_lEESB_NS0_8identityIvEEEESM_SP_SQ_mSR_ST_bEUlT_E_NS1_11comp_targetILNS1_3genE10ELNS1_11target_archE1200ELNS1_3gpuE4ELNS1_3repE0EEENS1_30default_config_static_selectorELNS0_4arch9wavefront6targetE1EEEvT1_
    .private_segment_fixed_size: 0
    .sgpr_count:     4
    .sgpr_spill_count: 0
    .symbol:         _ZN7rocprim17ROCPRIM_400000_NS6detail17trampoline_kernelINS0_14default_configENS1_25transform_config_selectorIlLb0EEEZNS1_14transform_implILb0ES3_S5_NS0_18transform_iteratorINS0_17counting_iteratorImlEEZNS1_24adjacent_difference_implIS3_Lb1ELb0EPlSB_ZN2at6native12_GLOBAL__N_124unique_dim_cuda_templateIjEESt5tupleIJNSC_6TensorESH_SH_EERKSH_lbbbEUlllE1_EE10hipError_tPvRmT2_T3_mT4_P12ihipStream_tbEUlmE_lEESB_NS0_8identityIvEEEESM_SP_SQ_mSR_ST_bEUlT_E_NS1_11comp_targetILNS1_3genE10ELNS1_11target_archE1200ELNS1_3gpuE4ELNS1_3repE0EEENS1_30default_config_static_selectorELNS0_4arch9wavefront6targetE1EEEvT1_.kd
    .uniform_work_group_size: 1
    .uses_dynamic_stack: false
    .vgpr_count:     0
    .vgpr_spill_count: 0
    .wavefront_size: 64
  - .agpr_count:     0
    .args:
      - .offset:         0
        .size:           56
        .value_kind:     by_value
    .group_segment_fixed_size: 0
    .kernarg_segment_align: 8
    .kernarg_segment_size: 56
    .language:       OpenCL C
    .language_version:
      - 2
      - 0
    .max_flat_workgroup_size: 512
    .name:           _ZN7rocprim17ROCPRIM_400000_NS6detail17trampoline_kernelINS0_14default_configENS1_25transform_config_selectorIlLb0EEEZNS1_14transform_implILb0ES3_S5_NS0_18transform_iteratorINS0_17counting_iteratorImlEEZNS1_24adjacent_difference_implIS3_Lb1ELb0EPlSB_ZN2at6native12_GLOBAL__N_124unique_dim_cuda_templateIjEESt5tupleIJNSC_6TensorESH_SH_EERKSH_lbbbEUlllE1_EE10hipError_tPvRmT2_T3_mT4_P12ihipStream_tbEUlmE_lEESB_NS0_8identityIvEEEESM_SP_SQ_mSR_ST_bEUlT_E_NS1_11comp_targetILNS1_3genE9ELNS1_11target_archE1100ELNS1_3gpuE3ELNS1_3repE0EEENS1_30default_config_static_selectorELNS0_4arch9wavefront6targetE1EEEvT1_
    .private_segment_fixed_size: 0
    .sgpr_count:     4
    .sgpr_spill_count: 0
    .symbol:         _ZN7rocprim17ROCPRIM_400000_NS6detail17trampoline_kernelINS0_14default_configENS1_25transform_config_selectorIlLb0EEEZNS1_14transform_implILb0ES3_S5_NS0_18transform_iteratorINS0_17counting_iteratorImlEEZNS1_24adjacent_difference_implIS3_Lb1ELb0EPlSB_ZN2at6native12_GLOBAL__N_124unique_dim_cuda_templateIjEESt5tupleIJNSC_6TensorESH_SH_EERKSH_lbbbEUlllE1_EE10hipError_tPvRmT2_T3_mT4_P12ihipStream_tbEUlmE_lEESB_NS0_8identityIvEEEESM_SP_SQ_mSR_ST_bEUlT_E_NS1_11comp_targetILNS1_3genE9ELNS1_11target_archE1100ELNS1_3gpuE3ELNS1_3repE0EEENS1_30default_config_static_selectorELNS0_4arch9wavefront6targetE1EEEvT1_.kd
    .uniform_work_group_size: 1
    .uses_dynamic_stack: false
    .vgpr_count:     0
    .vgpr_spill_count: 0
    .wavefront_size: 64
  - .agpr_count:     0
    .args:
      - .offset:         0
        .size:           56
        .value_kind:     by_value
    .group_segment_fixed_size: 0
    .kernarg_segment_align: 8
    .kernarg_segment_size: 56
    .language:       OpenCL C
    .language_version:
      - 2
      - 0
    .max_flat_workgroup_size: 512
    .name:           _ZN7rocprim17ROCPRIM_400000_NS6detail17trampoline_kernelINS0_14default_configENS1_25transform_config_selectorIlLb0EEEZNS1_14transform_implILb0ES3_S5_NS0_18transform_iteratorINS0_17counting_iteratorImlEEZNS1_24adjacent_difference_implIS3_Lb1ELb0EPlSB_ZN2at6native12_GLOBAL__N_124unique_dim_cuda_templateIjEESt5tupleIJNSC_6TensorESH_SH_EERKSH_lbbbEUlllE1_EE10hipError_tPvRmT2_T3_mT4_P12ihipStream_tbEUlmE_lEESB_NS0_8identityIvEEEESM_SP_SQ_mSR_ST_bEUlT_E_NS1_11comp_targetILNS1_3genE8ELNS1_11target_archE1030ELNS1_3gpuE2ELNS1_3repE0EEENS1_30default_config_static_selectorELNS0_4arch9wavefront6targetE1EEEvT1_
    .private_segment_fixed_size: 0
    .sgpr_count:     4
    .sgpr_spill_count: 0
    .symbol:         _ZN7rocprim17ROCPRIM_400000_NS6detail17trampoline_kernelINS0_14default_configENS1_25transform_config_selectorIlLb0EEEZNS1_14transform_implILb0ES3_S5_NS0_18transform_iteratorINS0_17counting_iteratorImlEEZNS1_24adjacent_difference_implIS3_Lb1ELb0EPlSB_ZN2at6native12_GLOBAL__N_124unique_dim_cuda_templateIjEESt5tupleIJNSC_6TensorESH_SH_EERKSH_lbbbEUlllE1_EE10hipError_tPvRmT2_T3_mT4_P12ihipStream_tbEUlmE_lEESB_NS0_8identityIvEEEESM_SP_SQ_mSR_ST_bEUlT_E_NS1_11comp_targetILNS1_3genE8ELNS1_11target_archE1030ELNS1_3gpuE2ELNS1_3repE0EEENS1_30default_config_static_selectorELNS0_4arch9wavefront6targetE1EEEvT1_.kd
    .uniform_work_group_size: 1
    .uses_dynamic_stack: false
    .vgpr_count:     0
    .vgpr_spill_count: 0
    .wavefront_size: 64
  - .agpr_count:     0
    .args:
      - .offset:         0
        .size:           64
        .value_kind:     by_value
    .group_segment_fixed_size: 0
    .kernarg_segment_align: 8
    .kernarg_segment_size: 64
    .language:       OpenCL C
    .language_version:
      - 2
      - 0
    .max_flat_workgroup_size: 512
    .name:           _ZN7rocprim17ROCPRIM_400000_NS6detail17trampoline_kernelINS0_14default_configENS1_35adjacent_difference_config_selectorILb1ElEEZNS1_24adjacent_difference_implIS3_Lb1ELb0EPlS7_ZN2at6native12_GLOBAL__N_124unique_dim_cuda_templateIjEESt5tupleIJNS8_6TensorESD_SD_EERKSD_lbbbEUlllE1_EE10hipError_tPvRmT2_T3_mT4_P12ihipStream_tbEUlT_E_NS1_11comp_targetILNS1_3genE0ELNS1_11target_archE4294967295ELNS1_3gpuE0ELNS1_3repE0EEENS1_30default_config_static_selectorELNS0_4arch9wavefront6targetE1EEEvT1_
    .private_segment_fixed_size: 0
    .sgpr_count:     4
    .sgpr_spill_count: 0
    .symbol:         _ZN7rocprim17ROCPRIM_400000_NS6detail17trampoline_kernelINS0_14default_configENS1_35adjacent_difference_config_selectorILb1ElEEZNS1_24adjacent_difference_implIS3_Lb1ELb0EPlS7_ZN2at6native12_GLOBAL__N_124unique_dim_cuda_templateIjEESt5tupleIJNS8_6TensorESD_SD_EERKSD_lbbbEUlllE1_EE10hipError_tPvRmT2_T3_mT4_P12ihipStream_tbEUlT_E_NS1_11comp_targetILNS1_3genE0ELNS1_11target_archE4294967295ELNS1_3gpuE0ELNS1_3repE0EEENS1_30default_config_static_selectorELNS0_4arch9wavefront6targetE1EEEvT1_.kd
    .uniform_work_group_size: 1
    .uses_dynamic_stack: false
    .vgpr_count:     0
    .vgpr_spill_count: 0
    .wavefront_size: 64
  - .agpr_count:     0
    .args:
      - .offset:         0
        .size:           64
        .value_kind:     by_value
    .group_segment_fixed_size: 0
    .kernarg_segment_align: 8
    .kernarg_segment_size: 64
    .language:       OpenCL C
    .language_version:
      - 2
      - 0
    .max_flat_workgroup_size: 32
    .name:           _ZN7rocprim17ROCPRIM_400000_NS6detail17trampoline_kernelINS0_14default_configENS1_35adjacent_difference_config_selectorILb1ElEEZNS1_24adjacent_difference_implIS3_Lb1ELb0EPlS7_ZN2at6native12_GLOBAL__N_124unique_dim_cuda_templateIjEESt5tupleIJNS8_6TensorESD_SD_EERKSD_lbbbEUlllE1_EE10hipError_tPvRmT2_T3_mT4_P12ihipStream_tbEUlT_E_NS1_11comp_targetILNS1_3genE10ELNS1_11target_archE1201ELNS1_3gpuE5ELNS1_3repE0EEENS1_30default_config_static_selectorELNS0_4arch9wavefront6targetE1EEEvT1_
    .private_segment_fixed_size: 0
    .sgpr_count:     4
    .sgpr_spill_count: 0
    .symbol:         _ZN7rocprim17ROCPRIM_400000_NS6detail17trampoline_kernelINS0_14default_configENS1_35adjacent_difference_config_selectorILb1ElEEZNS1_24adjacent_difference_implIS3_Lb1ELb0EPlS7_ZN2at6native12_GLOBAL__N_124unique_dim_cuda_templateIjEESt5tupleIJNS8_6TensorESD_SD_EERKSD_lbbbEUlllE1_EE10hipError_tPvRmT2_T3_mT4_P12ihipStream_tbEUlT_E_NS1_11comp_targetILNS1_3genE10ELNS1_11target_archE1201ELNS1_3gpuE5ELNS1_3repE0EEENS1_30default_config_static_selectorELNS0_4arch9wavefront6targetE1EEEvT1_.kd
    .uniform_work_group_size: 1
    .uses_dynamic_stack: false
    .vgpr_count:     0
    .vgpr_spill_count: 0
    .wavefront_size: 64
  - .agpr_count:     0
    .args:
      - .offset:         0
        .size:           64
        .value_kind:     by_value
    .group_segment_fixed_size: 0
    .kernarg_segment_align: 8
    .kernarg_segment_size: 64
    .language:       OpenCL C
    .language_version:
      - 2
      - 0
    .max_flat_workgroup_size: 256
    .name:           _ZN7rocprim17ROCPRIM_400000_NS6detail17trampoline_kernelINS0_14default_configENS1_35adjacent_difference_config_selectorILb1ElEEZNS1_24adjacent_difference_implIS3_Lb1ELb0EPlS7_ZN2at6native12_GLOBAL__N_124unique_dim_cuda_templateIjEESt5tupleIJNS8_6TensorESD_SD_EERKSD_lbbbEUlllE1_EE10hipError_tPvRmT2_T3_mT4_P12ihipStream_tbEUlT_E_NS1_11comp_targetILNS1_3genE5ELNS1_11target_archE942ELNS1_3gpuE9ELNS1_3repE0EEENS1_30default_config_static_selectorELNS0_4arch9wavefront6targetE1EEEvT1_
    .private_segment_fixed_size: 0
    .sgpr_count:     4
    .sgpr_spill_count: 0
    .symbol:         _ZN7rocprim17ROCPRIM_400000_NS6detail17trampoline_kernelINS0_14default_configENS1_35adjacent_difference_config_selectorILb1ElEEZNS1_24adjacent_difference_implIS3_Lb1ELb0EPlS7_ZN2at6native12_GLOBAL__N_124unique_dim_cuda_templateIjEESt5tupleIJNS8_6TensorESD_SD_EERKSD_lbbbEUlllE1_EE10hipError_tPvRmT2_T3_mT4_P12ihipStream_tbEUlT_E_NS1_11comp_targetILNS1_3genE5ELNS1_11target_archE942ELNS1_3gpuE9ELNS1_3repE0EEENS1_30default_config_static_selectorELNS0_4arch9wavefront6targetE1EEEvT1_.kd
    .uniform_work_group_size: 1
    .uses_dynamic_stack: false
    .vgpr_count:     0
    .vgpr_spill_count: 0
    .wavefront_size: 64
  - .agpr_count:     0
    .args:
      - .offset:         0
        .size:           64
        .value_kind:     by_value
    .group_segment_fixed_size: 8448
    .kernarg_segment_align: 8
    .kernarg_segment_size: 64
    .language:       OpenCL C
    .language_version:
      - 2
      - 0
    .max_flat_workgroup_size: 512
    .name:           _ZN7rocprim17ROCPRIM_400000_NS6detail17trampoline_kernelINS0_14default_configENS1_35adjacent_difference_config_selectorILb1ElEEZNS1_24adjacent_difference_implIS3_Lb1ELb0EPlS7_ZN2at6native12_GLOBAL__N_124unique_dim_cuda_templateIjEESt5tupleIJNS8_6TensorESD_SD_EERKSD_lbbbEUlllE1_EE10hipError_tPvRmT2_T3_mT4_P12ihipStream_tbEUlT_E_NS1_11comp_targetILNS1_3genE4ELNS1_11target_archE910ELNS1_3gpuE8ELNS1_3repE0EEENS1_30default_config_static_selectorELNS0_4arch9wavefront6targetE1EEEvT1_
    .private_segment_fixed_size: 0
    .sgpr_count:     42
    .sgpr_spill_count: 0
    .symbol:         _ZN7rocprim17ROCPRIM_400000_NS6detail17trampoline_kernelINS0_14default_configENS1_35adjacent_difference_config_selectorILb1ElEEZNS1_24adjacent_difference_implIS3_Lb1ELb0EPlS7_ZN2at6native12_GLOBAL__N_124unique_dim_cuda_templateIjEESt5tupleIJNS8_6TensorESD_SD_EERKSD_lbbbEUlllE1_EE10hipError_tPvRmT2_T3_mT4_P12ihipStream_tbEUlT_E_NS1_11comp_targetILNS1_3genE4ELNS1_11target_archE910ELNS1_3gpuE8ELNS1_3repE0EEENS1_30default_config_static_selectorELNS0_4arch9wavefront6targetE1EEEvT1_.kd
    .uniform_work_group_size: 1
    .uses_dynamic_stack: false
    .vgpr_count:     17
    .vgpr_spill_count: 0
    .wavefront_size: 64
  - .agpr_count:     0
    .args:
      - .offset:         0
        .size:           64
        .value_kind:     by_value
    .group_segment_fixed_size: 0
    .kernarg_segment_align: 8
    .kernarg_segment_size: 64
    .language:       OpenCL C
    .language_version:
      - 2
      - 0
    .max_flat_workgroup_size: 512
    .name:           _ZN7rocprim17ROCPRIM_400000_NS6detail17trampoline_kernelINS0_14default_configENS1_35adjacent_difference_config_selectorILb1ElEEZNS1_24adjacent_difference_implIS3_Lb1ELb0EPlS7_ZN2at6native12_GLOBAL__N_124unique_dim_cuda_templateIjEESt5tupleIJNS8_6TensorESD_SD_EERKSD_lbbbEUlllE1_EE10hipError_tPvRmT2_T3_mT4_P12ihipStream_tbEUlT_E_NS1_11comp_targetILNS1_3genE3ELNS1_11target_archE908ELNS1_3gpuE7ELNS1_3repE0EEENS1_30default_config_static_selectorELNS0_4arch9wavefront6targetE1EEEvT1_
    .private_segment_fixed_size: 0
    .sgpr_count:     4
    .sgpr_spill_count: 0
    .symbol:         _ZN7rocprim17ROCPRIM_400000_NS6detail17trampoline_kernelINS0_14default_configENS1_35adjacent_difference_config_selectorILb1ElEEZNS1_24adjacent_difference_implIS3_Lb1ELb0EPlS7_ZN2at6native12_GLOBAL__N_124unique_dim_cuda_templateIjEESt5tupleIJNS8_6TensorESD_SD_EERKSD_lbbbEUlllE1_EE10hipError_tPvRmT2_T3_mT4_P12ihipStream_tbEUlT_E_NS1_11comp_targetILNS1_3genE3ELNS1_11target_archE908ELNS1_3gpuE7ELNS1_3repE0EEENS1_30default_config_static_selectorELNS0_4arch9wavefront6targetE1EEEvT1_.kd
    .uniform_work_group_size: 1
    .uses_dynamic_stack: false
    .vgpr_count:     0
    .vgpr_spill_count: 0
    .wavefront_size: 64
  - .agpr_count:     0
    .args:
      - .offset:         0
        .size:           64
        .value_kind:     by_value
    .group_segment_fixed_size: 0
    .kernarg_segment_align: 8
    .kernarg_segment_size: 64
    .language:       OpenCL C
    .language_version:
      - 2
      - 0
    .max_flat_workgroup_size: 128
    .name:           _ZN7rocprim17ROCPRIM_400000_NS6detail17trampoline_kernelINS0_14default_configENS1_35adjacent_difference_config_selectorILb1ElEEZNS1_24adjacent_difference_implIS3_Lb1ELb0EPlS7_ZN2at6native12_GLOBAL__N_124unique_dim_cuda_templateIjEESt5tupleIJNS8_6TensorESD_SD_EERKSD_lbbbEUlllE1_EE10hipError_tPvRmT2_T3_mT4_P12ihipStream_tbEUlT_E_NS1_11comp_targetILNS1_3genE2ELNS1_11target_archE906ELNS1_3gpuE6ELNS1_3repE0EEENS1_30default_config_static_selectorELNS0_4arch9wavefront6targetE1EEEvT1_
    .private_segment_fixed_size: 0
    .sgpr_count:     4
    .sgpr_spill_count: 0
    .symbol:         _ZN7rocprim17ROCPRIM_400000_NS6detail17trampoline_kernelINS0_14default_configENS1_35adjacent_difference_config_selectorILb1ElEEZNS1_24adjacent_difference_implIS3_Lb1ELb0EPlS7_ZN2at6native12_GLOBAL__N_124unique_dim_cuda_templateIjEESt5tupleIJNS8_6TensorESD_SD_EERKSD_lbbbEUlllE1_EE10hipError_tPvRmT2_T3_mT4_P12ihipStream_tbEUlT_E_NS1_11comp_targetILNS1_3genE2ELNS1_11target_archE906ELNS1_3gpuE6ELNS1_3repE0EEENS1_30default_config_static_selectorELNS0_4arch9wavefront6targetE1EEEvT1_.kd
    .uniform_work_group_size: 1
    .uses_dynamic_stack: false
    .vgpr_count:     0
    .vgpr_spill_count: 0
    .wavefront_size: 64
  - .agpr_count:     0
    .args:
      - .offset:         0
        .size:           64
        .value_kind:     by_value
    .group_segment_fixed_size: 0
    .kernarg_segment_align: 8
    .kernarg_segment_size: 64
    .language:       OpenCL C
    .language_version:
      - 2
      - 0
    .max_flat_workgroup_size: 128
    .name:           _ZN7rocprim17ROCPRIM_400000_NS6detail17trampoline_kernelINS0_14default_configENS1_35adjacent_difference_config_selectorILb1ElEEZNS1_24adjacent_difference_implIS3_Lb1ELb0EPlS7_ZN2at6native12_GLOBAL__N_124unique_dim_cuda_templateIjEESt5tupleIJNS8_6TensorESD_SD_EERKSD_lbbbEUlllE1_EE10hipError_tPvRmT2_T3_mT4_P12ihipStream_tbEUlT_E_NS1_11comp_targetILNS1_3genE9ELNS1_11target_archE1100ELNS1_3gpuE3ELNS1_3repE0EEENS1_30default_config_static_selectorELNS0_4arch9wavefront6targetE1EEEvT1_
    .private_segment_fixed_size: 0
    .sgpr_count:     4
    .sgpr_spill_count: 0
    .symbol:         _ZN7rocprim17ROCPRIM_400000_NS6detail17trampoline_kernelINS0_14default_configENS1_35adjacent_difference_config_selectorILb1ElEEZNS1_24adjacent_difference_implIS3_Lb1ELb0EPlS7_ZN2at6native12_GLOBAL__N_124unique_dim_cuda_templateIjEESt5tupleIJNS8_6TensorESD_SD_EERKSD_lbbbEUlllE1_EE10hipError_tPvRmT2_T3_mT4_P12ihipStream_tbEUlT_E_NS1_11comp_targetILNS1_3genE9ELNS1_11target_archE1100ELNS1_3gpuE3ELNS1_3repE0EEENS1_30default_config_static_selectorELNS0_4arch9wavefront6targetE1EEEvT1_.kd
    .uniform_work_group_size: 1
    .uses_dynamic_stack: false
    .vgpr_count:     0
    .vgpr_spill_count: 0
    .wavefront_size: 64
  - .agpr_count:     0
    .args:
      - .offset:         0
        .size:           64
        .value_kind:     by_value
    .group_segment_fixed_size: 0
    .kernarg_segment_align: 8
    .kernarg_segment_size: 64
    .language:       OpenCL C
    .language_version:
      - 2
      - 0
    .max_flat_workgroup_size: 32
    .name:           _ZN7rocprim17ROCPRIM_400000_NS6detail17trampoline_kernelINS0_14default_configENS1_35adjacent_difference_config_selectorILb1ElEEZNS1_24adjacent_difference_implIS3_Lb1ELb0EPlS7_ZN2at6native12_GLOBAL__N_124unique_dim_cuda_templateIjEESt5tupleIJNS8_6TensorESD_SD_EERKSD_lbbbEUlllE1_EE10hipError_tPvRmT2_T3_mT4_P12ihipStream_tbEUlT_E_NS1_11comp_targetILNS1_3genE8ELNS1_11target_archE1030ELNS1_3gpuE2ELNS1_3repE0EEENS1_30default_config_static_selectorELNS0_4arch9wavefront6targetE1EEEvT1_
    .private_segment_fixed_size: 0
    .sgpr_count:     4
    .sgpr_spill_count: 0
    .symbol:         _ZN7rocprim17ROCPRIM_400000_NS6detail17trampoline_kernelINS0_14default_configENS1_35adjacent_difference_config_selectorILb1ElEEZNS1_24adjacent_difference_implIS3_Lb1ELb0EPlS7_ZN2at6native12_GLOBAL__N_124unique_dim_cuda_templateIjEESt5tupleIJNS8_6TensorESD_SD_EERKSD_lbbbEUlllE1_EE10hipError_tPvRmT2_T3_mT4_P12ihipStream_tbEUlT_E_NS1_11comp_targetILNS1_3genE8ELNS1_11target_archE1030ELNS1_3gpuE2ELNS1_3repE0EEENS1_30default_config_static_selectorELNS0_4arch9wavefront6targetE1EEEvT1_.kd
    .uniform_work_group_size: 1
    .uses_dynamic_stack: false
    .vgpr_count:     0
    .vgpr_spill_count: 0
    .wavefront_size: 64
  - .agpr_count:     0
    .args:
      - .offset:         0
        .size:           120
        .value_kind:     by_value
    .group_segment_fixed_size: 0
    .kernarg_segment_align: 8
    .kernarg_segment_size: 120
    .language:       OpenCL C
    .language_version:
      - 2
      - 0
    .max_flat_workgroup_size: 512
    .name:           _ZN7rocprim17ROCPRIM_400000_NS6detail17trampoline_kernelINS0_14default_configENS1_25partition_config_selectorILNS1_17partition_subalgoE8ElNS0_10empty_typeEbEEZZNS1_14partition_implILS5_8ELb0ES3_jPlPS6_PKS6_NS0_5tupleIJS9_S6_EEENSD_IJSA_SA_EEENS0_18inequality_wrapperIZN2at6native12_GLOBAL__N_124unique_dim_cuda_templateIjEESt5tupleIJNSH_6TensorESM_SM_EERKSM_lbbbEUlllE0_EEPmJS6_EEE10hipError_tPvRmT3_T4_T5_T6_T7_T9_mT8_P12ihipStream_tbDpT10_ENKUlT_T0_E_clISt17integral_constantIbLb0EES1C_EEDaS17_S18_EUlS17_E_NS1_11comp_targetILNS1_3genE0ELNS1_11target_archE4294967295ELNS1_3gpuE0ELNS1_3repE0EEENS1_30default_config_static_selectorELNS0_4arch9wavefront6targetE1EEEvT1_
    .private_segment_fixed_size: 0
    .sgpr_count:     4
    .sgpr_spill_count: 0
    .symbol:         _ZN7rocprim17ROCPRIM_400000_NS6detail17trampoline_kernelINS0_14default_configENS1_25partition_config_selectorILNS1_17partition_subalgoE8ElNS0_10empty_typeEbEEZZNS1_14partition_implILS5_8ELb0ES3_jPlPS6_PKS6_NS0_5tupleIJS9_S6_EEENSD_IJSA_SA_EEENS0_18inequality_wrapperIZN2at6native12_GLOBAL__N_124unique_dim_cuda_templateIjEESt5tupleIJNSH_6TensorESM_SM_EERKSM_lbbbEUlllE0_EEPmJS6_EEE10hipError_tPvRmT3_T4_T5_T6_T7_T9_mT8_P12ihipStream_tbDpT10_ENKUlT_T0_E_clISt17integral_constantIbLb0EES1C_EEDaS17_S18_EUlS17_E_NS1_11comp_targetILNS1_3genE0ELNS1_11target_archE4294967295ELNS1_3gpuE0ELNS1_3repE0EEENS1_30default_config_static_selectorELNS0_4arch9wavefront6targetE1EEEvT1_.kd
    .uniform_work_group_size: 1
    .uses_dynamic_stack: false
    .vgpr_count:     0
    .vgpr_spill_count: 0
    .wavefront_size: 64
  - .agpr_count:     0
    .args:
      - .offset:         0
        .size:           120
        .value_kind:     by_value
    .group_segment_fixed_size: 0
    .kernarg_segment_align: 8
    .kernarg_segment_size: 120
    .language:       OpenCL C
    .language_version:
      - 2
      - 0
    .max_flat_workgroup_size: 512
    .name:           _ZN7rocprim17ROCPRIM_400000_NS6detail17trampoline_kernelINS0_14default_configENS1_25partition_config_selectorILNS1_17partition_subalgoE8ElNS0_10empty_typeEbEEZZNS1_14partition_implILS5_8ELb0ES3_jPlPS6_PKS6_NS0_5tupleIJS9_S6_EEENSD_IJSA_SA_EEENS0_18inequality_wrapperIZN2at6native12_GLOBAL__N_124unique_dim_cuda_templateIjEESt5tupleIJNSH_6TensorESM_SM_EERKSM_lbbbEUlllE0_EEPmJS6_EEE10hipError_tPvRmT3_T4_T5_T6_T7_T9_mT8_P12ihipStream_tbDpT10_ENKUlT_T0_E_clISt17integral_constantIbLb0EES1C_EEDaS17_S18_EUlS17_E_NS1_11comp_targetILNS1_3genE5ELNS1_11target_archE942ELNS1_3gpuE9ELNS1_3repE0EEENS1_30default_config_static_selectorELNS0_4arch9wavefront6targetE1EEEvT1_
    .private_segment_fixed_size: 0
    .sgpr_count:     4
    .sgpr_spill_count: 0
    .symbol:         _ZN7rocprim17ROCPRIM_400000_NS6detail17trampoline_kernelINS0_14default_configENS1_25partition_config_selectorILNS1_17partition_subalgoE8ElNS0_10empty_typeEbEEZZNS1_14partition_implILS5_8ELb0ES3_jPlPS6_PKS6_NS0_5tupleIJS9_S6_EEENSD_IJSA_SA_EEENS0_18inequality_wrapperIZN2at6native12_GLOBAL__N_124unique_dim_cuda_templateIjEESt5tupleIJNSH_6TensorESM_SM_EERKSM_lbbbEUlllE0_EEPmJS6_EEE10hipError_tPvRmT3_T4_T5_T6_T7_T9_mT8_P12ihipStream_tbDpT10_ENKUlT_T0_E_clISt17integral_constantIbLb0EES1C_EEDaS17_S18_EUlS17_E_NS1_11comp_targetILNS1_3genE5ELNS1_11target_archE942ELNS1_3gpuE9ELNS1_3repE0EEENS1_30default_config_static_selectorELNS0_4arch9wavefront6targetE1EEEvT1_.kd
    .uniform_work_group_size: 1
    .uses_dynamic_stack: false
    .vgpr_count:     0
    .vgpr_spill_count: 0
    .wavefront_size: 64
  - .agpr_count:     0
    .args:
      - .offset:         0
        .size:           120
        .value_kind:     by_value
    .group_segment_fixed_size: 10252
    .kernarg_segment_align: 8
    .kernarg_segment_size: 120
    .language:       OpenCL C
    .language_version:
      - 2
      - 0
    .max_flat_workgroup_size: 256
    .name:           _ZN7rocprim17ROCPRIM_400000_NS6detail17trampoline_kernelINS0_14default_configENS1_25partition_config_selectorILNS1_17partition_subalgoE8ElNS0_10empty_typeEbEEZZNS1_14partition_implILS5_8ELb0ES3_jPlPS6_PKS6_NS0_5tupleIJS9_S6_EEENSD_IJSA_SA_EEENS0_18inequality_wrapperIZN2at6native12_GLOBAL__N_124unique_dim_cuda_templateIjEESt5tupleIJNSH_6TensorESM_SM_EERKSM_lbbbEUlllE0_EEPmJS6_EEE10hipError_tPvRmT3_T4_T5_T6_T7_T9_mT8_P12ihipStream_tbDpT10_ENKUlT_T0_E_clISt17integral_constantIbLb0EES1C_EEDaS17_S18_EUlS17_E_NS1_11comp_targetILNS1_3genE4ELNS1_11target_archE910ELNS1_3gpuE8ELNS1_3repE0EEENS1_30default_config_static_selectorELNS0_4arch9wavefront6targetE1EEEvT1_
    .private_segment_fixed_size: 0
    .sgpr_count:     52
    .sgpr_spill_count: 0
    .symbol:         _ZN7rocprim17ROCPRIM_400000_NS6detail17trampoline_kernelINS0_14default_configENS1_25partition_config_selectorILNS1_17partition_subalgoE8ElNS0_10empty_typeEbEEZZNS1_14partition_implILS5_8ELb0ES3_jPlPS6_PKS6_NS0_5tupleIJS9_S6_EEENSD_IJSA_SA_EEENS0_18inequality_wrapperIZN2at6native12_GLOBAL__N_124unique_dim_cuda_templateIjEESt5tupleIJNSH_6TensorESM_SM_EERKSM_lbbbEUlllE0_EEPmJS6_EEE10hipError_tPvRmT3_T4_T5_T6_T7_T9_mT8_P12ihipStream_tbDpT10_ENKUlT_T0_E_clISt17integral_constantIbLb0EES1C_EEDaS17_S18_EUlS17_E_NS1_11comp_targetILNS1_3genE4ELNS1_11target_archE910ELNS1_3gpuE8ELNS1_3repE0EEENS1_30default_config_static_selectorELNS0_4arch9wavefront6targetE1EEEvT1_.kd
    .uniform_work_group_size: 1
    .uses_dynamic_stack: false
    .vgpr_count:     46
    .vgpr_spill_count: 0
    .wavefront_size: 64
  - .agpr_count:     0
    .args:
      - .offset:         0
        .size:           120
        .value_kind:     by_value
    .group_segment_fixed_size: 0
    .kernarg_segment_align: 8
    .kernarg_segment_size: 120
    .language:       OpenCL C
    .language_version:
      - 2
      - 0
    .max_flat_workgroup_size: 512
    .name:           _ZN7rocprim17ROCPRIM_400000_NS6detail17trampoline_kernelINS0_14default_configENS1_25partition_config_selectorILNS1_17partition_subalgoE8ElNS0_10empty_typeEbEEZZNS1_14partition_implILS5_8ELb0ES3_jPlPS6_PKS6_NS0_5tupleIJS9_S6_EEENSD_IJSA_SA_EEENS0_18inequality_wrapperIZN2at6native12_GLOBAL__N_124unique_dim_cuda_templateIjEESt5tupleIJNSH_6TensorESM_SM_EERKSM_lbbbEUlllE0_EEPmJS6_EEE10hipError_tPvRmT3_T4_T5_T6_T7_T9_mT8_P12ihipStream_tbDpT10_ENKUlT_T0_E_clISt17integral_constantIbLb0EES1C_EEDaS17_S18_EUlS17_E_NS1_11comp_targetILNS1_3genE3ELNS1_11target_archE908ELNS1_3gpuE7ELNS1_3repE0EEENS1_30default_config_static_selectorELNS0_4arch9wavefront6targetE1EEEvT1_
    .private_segment_fixed_size: 0
    .sgpr_count:     4
    .sgpr_spill_count: 0
    .symbol:         _ZN7rocprim17ROCPRIM_400000_NS6detail17trampoline_kernelINS0_14default_configENS1_25partition_config_selectorILNS1_17partition_subalgoE8ElNS0_10empty_typeEbEEZZNS1_14partition_implILS5_8ELb0ES3_jPlPS6_PKS6_NS0_5tupleIJS9_S6_EEENSD_IJSA_SA_EEENS0_18inequality_wrapperIZN2at6native12_GLOBAL__N_124unique_dim_cuda_templateIjEESt5tupleIJNSH_6TensorESM_SM_EERKSM_lbbbEUlllE0_EEPmJS6_EEE10hipError_tPvRmT3_T4_T5_T6_T7_T9_mT8_P12ihipStream_tbDpT10_ENKUlT_T0_E_clISt17integral_constantIbLb0EES1C_EEDaS17_S18_EUlS17_E_NS1_11comp_targetILNS1_3genE3ELNS1_11target_archE908ELNS1_3gpuE7ELNS1_3repE0EEENS1_30default_config_static_selectorELNS0_4arch9wavefront6targetE1EEEvT1_.kd
    .uniform_work_group_size: 1
    .uses_dynamic_stack: false
    .vgpr_count:     0
    .vgpr_spill_count: 0
    .wavefront_size: 64
  - .agpr_count:     0
    .args:
      - .offset:         0
        .size:           120
        .value_kind:     by_value
    .group_segment_fixed_size: 0
    .kernarg_segment_align: 8
    .kernarg_segment_size: 120
    .language:       OpenCL C
    .language_version:
      - 2
      - 0
    .max_flat_workgroup_size: 256
    .name:           _ZN7rocprim17ROCPRIM_400000_NS6detail17trampoline_kernelINS0_14default_configENS1_25partition_config_selectorILNS1_17partition_subalgoE8ElNS0_10empty_typeEbEEZZNS1_14partition_implILS5_8ELb0ES3_jPlPS6_PKS6_NS0_5tupleIJS9_S6_EEENSD_IJSA_SA_EEENS0_18inequality_wrapperIZN2at6native12_GLOBAL__N_124unique_dim_cuda_templateIjEESt5tupleIJNSH_6TensorESM_SM_EERKSM_lbbbEUlllE0_EEPmJS6_EEE10hipError_tPvRmT3_T4_T5_T6_T7_T9_mT8_P12ihipStream_tbDpT10_ENKUlT_T0_E_clISt17integral_constantIbLb0EES1C_EEDaS17_S18_EUlS17_E_NS1_11comp_targetILNS1_3genE2ELNS1_11target_archE906ELNS1_3gpuE6ELNS1_3repE0EEENS1_30default_config_static_selectorELNS0_4arch9wavefront6targetE1EEEvT1_
    .private_segment_fixed_size: 0
    .sgpr_count:     4
    .sgpr_spill_count: 0
    .symbol:         _ZN7rocprim17ROCPRIM_400000_NS6detail17trampoline_kernelINS0_14default_configENS1_25partition_config_selectorILNS1_17partition_subalgoE8ElNS0_10empty_typeEbEEZZNS1_14partition_implILS5_8ELb0ES3_jPlPS6_PKS6_NS0_5tupleIJS9_S6_EEENSD_IJSA_SA_EEENS0_18inequality_wrapperIZN2at6native12_GLOBAL__N_124unique_dim_cuda_templateIjEESt5tupleIJNSH_6TensorESM_SM_EERKSM_lbbbEUlllE0_EEPmJS6_EEE10hipError_tPvRmT3_T4_T5_T6_T7_T9_mT8_P12ihipStream_tbDpT10_ENKUlT_T0_E_clISt17integral_constantIbLb0EES1C_EEDaS17_S18_EUlS17_E_NS1_11comp_targetILNS1_3genE2ELNS1_11target_archE906ELNS1_3gpuE6ELNS1_3repE0EEENS1_30default_config_static_selectorELNS0_4arch9wavefront6targetE1EEEvT1_.kd
    .uniform_work_group_size: 1
    .uses_dynamic_stack: false
    .vgpr_count:     0
    .vgpr_spill_count: 0
    .wavefront_size: 64
  - .agpr_count:     0
    .args:
      - .offset:         0
        .size:           120
        .value_kind:     by_value
    .group_segment_fixed_size: 0
    .kernarg_segment_align: 8
    .kernarg_segment_size: 120
    .language:       OpenCL C
    .language_version:
      - 2
      - 0
    .max_flat_workgroup_size: 384
    .name:           _ZN7rocprim17ROCPRIM_400000_NS6detail17trampoline_kernelINS0_14default_configENS1_25partition_config_selectorILNS1_17partition_subalgoE8ElNS0_10empty_typeEbEEZZNS1_14partition_implILS5_8ELb0ES3_jPlPS6_PKS6_NS0_5tupleIJS9_S6_EEENSD_IJSA_SA_EEENS0_18inequality_wrapperIZN2at6native12_GLOBAL__N_124unique_dim_cuda_templateIjEESt5tupleIJNSH_6TensorESM_SM_EERKSM_lbbbEUlllE0_EEPmJS6_EEE10hipError_tPvRmT3_T4_T5_T6_T7_T9_mT8_P12ihipStream_tbDpT10_ENKUlT_T0_E_clISt17integral_constantIbLb0EES1C_EEDaS17_S18_EUlS17_E_NS1_11comp_targetILNS1_3genE10ELNS1_11target_archE1200ELNS1_3gpuE4ELNS1_3repE0EEENS1_30default_config_static_selectorELNS0_4arch9wavefront6targetE1EEEvT1_
    .private_segment_fixed_size: 0
    .sgpr_count:     4
    .sgpr_spill_count: 0
    .symbol:         _ZN7rocprim17ROCPRIM_400000_NS6detail17trampoline_kernelINS0_14default_configENS1_25partition_config_selectorILNS1_17partition_subalgoE8ElNS0_10empty_typeEbEEZZNS1_14partition_implILS5_8ELb0ES3_jPlPS6_PKS6_NS0_5tupleIJS9_S6_EEENSD_IJSA_SA_EEENS0_18inequality_wrapperIZN2at6native12_GLOBAL__N_124unique_dim_cuda_templateIjEESt5tupleIJNSH_6TensorESM_SM_EERKSM_lbbbEUlllE0_EEPmJS6_EEE10hipError_tPvRmT3_T4_T5_T6_T7_T9_mT8_P12ihipStream_tbDpT10_ENKUlT_T0_E_clISt17integral_constantIbLb0EES1C_EEDaS17_S18_EUlS17_E_NS1_11comp_targetILNS1_3genE10ELNS1_11target_archE1200ELNS1_3gpuE4ELNS1_3repE0EEENS1_30default_config_static_selectorELNS0_4arch9wavefront6targetE1EEEvT1_.kd
    .uniform_work_group_size: 1
    .uses_dynamic_stack: false
    .vgpr_count:     0
    .vgpr_spill_count: 0
    .wavefront_size: 64
  - .agpr_count:     0
    .args:
      - .offset:         0
        .size:           120
        .value_kind:     by_value
    .group_segment_fixed_size: 0
    .kernarg_segment_align: 8
    .kernarg_segment_size: 120
    .language:       OpenCL C
    .language_version:
      - 2
      - 0
    .max_flat_workgroup_size: 512
    .name:           _ZN7rocprim17ROCPRIM_400000_NS6detail17trampoline_kernelINS0_14default_configENS1_25partition_config_selectorILNS1_17partition_subalgoE8ElNS0_10empty_typeEbEEZZNS1_14partition_implILS5_8ELb0ES3_jPlPS6_PKS6_NS0_5tupleIJS9_S6_EEENSD_IJSA_SA_EEENS0_18inequality_wrapperIZN2at6native12_GLOBAL__N_124unique_dim_cuda_templateIjEESt5tupleIJNSH_6TensorESM_SM_EERKSM_lbbbEUlllE0_EEPmJS6_EEE10hipError_tPvRmT3_T4_T5_T6_T7_T9_mT8_P12ihipStream_tbDpT10_ENKUlT_T0_E_clISt17integral_constantIbLb0EES1C_EEDaS17_S18_EUlS17_E_NS1_11comp_targetILNS1_3genE9ELNS1_11target_archE1100ELNS1_3gpuE3ELNS1_3repE0EEENS1_30default_config_static_selectorELNS0_4arch9wavefront6targetE1EEEvT1_
    .private_segment_fixed_size: 0
    .sgpr_count:     4
    .sgpr_spill_count: 0
    .symbol:         _ZN7rocprim17ROCPRIM_400000_NS6detail17trampoline_kernelINS0_14default_configENS1_25partition_config_selectorILNS1_17partition_subalgoE8ElNS0_10empty_typeEbEEZZNS1_14partition_implILS5_8ELb0ES3_jPlPS6_PKS6_NS0_5tupleIJS9_S6_EEENSD_IJSA_SA_EEENS0_18inequality_wrapperIZN2at6native12_GLOBAL__N_124unique_dim_cuda_templateIjEESt5tupleIJNSH_6TensorESM_SM_EERKSM_lbbbEUlllE0_EEPmJS6_EEE10hipError_tPvRmT3_T4_T5_T6_T7_T9_mT8_P12ihipStream_tbDpT10_ENKUlT_T0_E_clISt17integral_constantIbLb0EES1C_EEDaS17_S18_EUlS17_E_NS1_11comp_targetILNS1_3genE9ELNS1_11target_archE1100ELNS1_3gpuE3ELNS1_3repE0EEENS1_30default_config_static_selectorELNS0_4arch9wavefront6targetE1EEEvT1_.kd
    .uniform_work_group_size: 1
    .uses_dynamic_stack: false
    .vgpr_count:     0
    .vgpr_spill_count: 0
    .wavefront_size: 64
  - .agpr_count:     0
    .args:
      - .offset:         0
        .size:           120
        .value_kind:     by_value
    .group_segment_fixed_size: 0
    .kernarg_segment_align: 8
    .kernarg_segment_size: 120
    .language:       OpenCL C
    .language_version:
      - 2
      - 0
    .max_flat_workgroup_size: 512
    .name:           _ZN7rocprim17ROCPRIM_400000_NS6detail17trampoline_kernelINS0_14default_configENS1_25partition_config_selectorILNS1_17partition_subalgoE8ElNS0_10empty_typeEbEEZZNS1_14partition_implILS5_8ELb0ES3_jPlPS6_PKS6_NS0_5tupleIJS9_S6_EEENSD_IJSA_SA_EEENS0_18inequality_wrapperIZN2at6native12_GLOBAL__N_124unique_dim_cuda_templateIjEESt5tupleIJNSH_6TensorESM_SM_EERKSM_lbbbEUlllE0_EEPmJS6_EEE10hipError_tPvRmT3_T4_T5_T6_T7_T9_mT8_P12ihipStream_tbDpT10_ENKUlT_T0_E_clISt17integral_constantIbLb0EES1C_EEDaS17_S18_EUlS17_E_NS1_11comp_targetILNS1_3genE8ELNS1_11target_archE1030ELNS1_3gpuE2ELNS1_3repE0EEENS1_30default_config_static_selectorELNS0_4arch9wavefront6targetE1EEEvT1_
    .private_segment_fixed_size: 0
    .sgpr_count:     4
    .sgpr_spill_count: 0
    .symbol:         _ZN7rocprim17ROCPRIM_400000_NS6detail17trampoline_kernelINS0_14default_configENS1_25partition_config_selectorILNS1_17partition_subalgoE8ElNS0_10empty_typeEbEEZZNS1_14partition_implILS5_8ELb0ES3_jPlPS6_PKS6_NS0_5tupleIJS9_S6_EEENSD_IJSA_SA_EEENS0_18inequality_wrapperIZN2at6native12_GLOBAL__N_124unique_dim_cuda_templateIjEESt5tupleIJNSH_6TensorESM_SM_EERKSM_lbbbEUlllE0_EEPmJS6_EEE10hipError_tPvRmT3_T4_T5_T6_T7_T9_mT8_P12ihipStream_tbDpT10_ENKUlT_T0_E_clISt17integral_constantIbLb0EES1C_EEDaS17_S18_EUlS17_E_NS1_11comp_targetILNS1_3genE8ELNS1_11target_archE1030ELNS1_3gpuE2ELNS1_3repE0EEENS1_30default_config_static_selectorELNS0_4arch9wavefront6targetE1EEEvT1_.kd
    .uniform_work_group_size: 1
    .uses_dynamic_stack: false
    .vgpr_count:     0
    .vgpr_spill_count: 0
    .wavefront_size: 64
  - .agpr_count:     0
    .args:
      - .offset:         0
        .size:           136
        .value_kind:     by_value
    .group_segment_fixed_size: 0
    .kernarg_segment_align: 8
    .kernarg_segment_size: 136
    .language:       OpenCL C
    .language_version:
      - 2
      - 0
    .max_flat_workgroup_size: 512
    .name:           _ZN7rocprim17ROCPRIM_400000_NS6detail17trampoline_kernelINS0_14default_configENS1_25partition_config_selectorILNS1_17partition_subalgoE8ElNS0_10empty_typeEbEEZZNS1_14partition_implILS5_8ELb0ES3_jPlPS6_PKS6_NS0_5tupleIJS9_S6_EEENSD_IJSA_SA_EEENS0_18inequality_wrapperIZN2at6native12_GLOBAL__N_124unique_dim_cuda_templateIjEESt5tupleIJNSH_6TensorESM_SM_EERKSM_lbbbEUlllE0_EEPmJS6_EEE10hipError_tPvRmT3_T4_T5_T6_T7_T9_mT8_P12ihipStream_tbDpT10_ENKUlT_T0_E_clISt17integral_constantIbLb1EES1C_EEDaS17_S18_EUlS17_E_NS1_11comp_targetILNS1_3genE0ELNS1_11target_archE4294967295ELNS1_3gpuE0ELNS1_3repE0EEENS1_30default_config_static_selectorELNS0_4arch9wavefront6targetE1EEEvT1_
    .private_segment_fixed_size: 0
    .sgpr_count:     4
    .sgpr_spill_count: 0
    .symbol:         _ZN7rocprim17ROCPRIM_400000_NS6detail17trampoline_kernelINS0_14default_configENS1_25partition_config_selectorILNS1_17partition_subalgoE8ElNS0_10empty_typeEbEEZZNS1_14partition_implILS5_8ELb0ES3_jPlPS6_PKS6_NS0_5tupleIJS9_S6_EEENSD_IJSA_SA_EEENS0_18inequality_wrapperIZN2at6native12_GLOBAL__N_124unique_dim_cuda_templateIjEESt5tupleIJNSH_6TensorESM_SM_EERKSM_lbbbEUlllE0_EEPmJS6_EEE10hipError_tPvRmT3_T4_T5_T6_T7_T9_mT8_P12ihipStream_tbDpT10_ENKUlT_T0_E_clISt17integral_constantIbLb1EES1C_EEDaS17_S18_EUlS17_E_NS1_11comp_targetILNS1_3genE0ELNS1_11target_archE4294967295ELNS1_3gpuE0ELNS1_3repE0EEENS1_30default_config_static_selectorELNS0_4arch9wavefront6targetE1EEEvT1_.kd
    .uniform_work_group_size: 1
    .uses_dynamic_stack: false
    .vgpr_count:     0
    .vgpr_spill_count: 0
    .wavefront_size: 64
  - .agpr_count:     0
    .args:
      - .offset:         0
        .size:           136
        .value_kind:     by_value
    .group_segment_fixed_size: 0
    .kernarg_segment_align: 8
    .kernarg_segment_size: 136
    .language:       OpenCL C
    .language_version:
      - 2
      - 0
    .max_flat_workgroup_size: 512
    .name:           _ZN7rocprim17ROCPRIM_400000_NS6detail17trampoline_kernelINS0_14default_configENS1_25partition_config_selectorILNS1_17partition_subalgoE8ElNS0_10empty_typeEbEEZZNS1_14partition_implILS5_8ELb0ES3_jPlPS6_PKS6_NS0_5tupleIJS9_S6_EEENSD_IJSA_SA_EEENS0_18inequality_wrapperIZN2at6native12_GLOBAL__N_124unique_dim_cuda_templateIjEESt5tupleIJNSH_6TensorESM_SM_EERKSM_lbbbEUlllE0_EEPmJS6_EEE10hipError_tPvRmT3_T4_T5_T6_T7_T9_mT8_P12ihipStream_tbDpT10_ENKUlT_T0_E_clISt17integral_constantIbLb1EES1C_EEDaS17_S18_EUlS17_E_NS1_11comp_targetILNS1_3genE5ELNS1_11target_archE942ELNS1_3gpuE9ELNS1_3repE0EEENS1_30default_config_static_selectorELNS0_4arch9wavefront6targetE1EEEvT1_
    .private_segment_fixed_size: 0
    .sgpr_count:     4
    .sgpr_spill_count: 0
    .symbol:         _ZN7rocprim17ROCPRIM_400000_NS6detail17trampoline_kernelINS0_14default_configENS1_25partition_config_selectorILNS1_17partition_subalgoE8ElNS0_10empty_typeEbEEZZNS1_14partition_implILS5_8ELb0ES3_jPlPS6_PKS6_NS0_5tupleIJS9_S6_EEENSD_IJSA_SA_EEENS0_18inequality_wrapperIZN2at6native12_GLOBAL__N_124unique_dim_cuda_templateIjEESt5tupleIJNSH_6TensorESM_SM_EERKSM_lbbbEUlllE0_EEPmJS6_EEE10hipError_tPvRmT3_T4_T5_T6_T7_T9_mT8_P12ihipStream_tbDpT10_ENKUlT_T0_E_clISt17integral_constantIbLb1EES1C_EEDaS17_S18_EUlS17_E_NS1_11comp_targetILNS1_3genE5ELNS1_11target_archE942ELNS1_3gpuE9ELNS1_3repE0EEENS1_30default_config_static_selectorELNS0_4arch9wavefront6targetE1EEEvT1_.kd
    .uniform_work_group_size: 1
    .uses_dynamic_stack: false
    .vgpr_count:     0
    .vgpr_spill_count: 0
    .wavefront_size: 64
  - .agpr_count:     0
    .args:
      - .offset:         0
        .size:           136
        .value_kind:     by_value
    .group_segment_fixed_size: 10252
    .kernarg_segment_align: 8
    .kernarg_segment_size: 136
    .language:       OpenCL C
    .language_version:
      - 2
      - 0
    .max_flat_workgroup_size: 256
    .name:           _ZN7rocprim17ROCPRIM_400000_NS6detail17trampoline_kernelINS0_14default_configENS1_25partition_config_selectorILNS1_17partition_subalgoE8ElNS0_10empty_typeEbEEZZNS1_14partition_implILS5_8ELb0ES3_jPlPS6_PKS6_NS0_5tupleIJS9_S6_EEENSD_IJSA_SA_EEENS0_18inequality_wrapperIZN2at6native12_GLOBAL__N_124unique_dim_cuda_templateIjEESt5tupleIJNSH_6TensorESM_SM_EERKSM_lbbbEUlllE0_EEPmJS6_EEE10hipError_tPvRmT3_T4_T5_T6_T7_T9_mT8_P12ihipStream_tbDpT10_ENKUlT_T0_E_clISt17integral_constantIbLb1EES1C_EEDaS17_S18_EUlS17_E_NS1_11comp_targetILNS1_3genE4ELNS1_11target_archE910ELNS1_3gpuE8ELNS1_3repE0EEENS1_30default_config_static_selectorELNS0_4arch9wavefront6targetE1EEEvT1_
    .private_segment_fixed_size: 0
    .sgpr_count:     56
    .sgpr_spill_count: 0
    .symbol:         _ZN7rocprim17ROCPRIM_400000_NS6detail17trampoline_kernelINS0_14default_configENS1_25partition_config_selectorILNS1_17partition_subalgoE8ElNS0_10empty_typeEbEEZZNS1_14partition_implILS5_8ELb0ES3_jPlPS6_PKS6_NS0_5tupleIJS9_S6_EEENSD_IJSA_SA_EEENS0_18inequality_wrapperIZN2at6native12_GLOBAL__N_124unique_dim_cuda_templateIjEESt5tupleIJNSH_6TensorESM_SM_EERKSM_lbbbEUlllE0_EEPmJS6_EEE10hipError_tPvRmT3_T4_T5_T6_T7_T9_mT8_P12ihipStream_tbDpT10_ENKUlT_T0_E_clISt17integral_constantIbLb1EES1C_EEDaS17_S18_EUlS17_E_NS1_11comp_targetILNS1_3genE4ELNS1_11target_archE910ELNS1_3gpuE8ELNS1_3repE0EEENS1_30default_config_static_selectorELNS0_4arch9wavefront6targetE1EEEvT1_.kd
    .uniform_work_group_size: 1
    .uses_dynamic_stack: false
    .vgpr_count:     46
    .vgpr_spill_count: 0
    .wavefront_size: 64
  - .agpr_count:     0
    .args:
      - .offset:         0
        .size:           136
        .value_kind:     by_value
    .group_segment_fixed_size: 0
    .kernarg_segment_align: 8
    .kernarg_segment_size: 136
    .language:       OpenCL C
    .language_version:
      - 2
      - 0
    .max_flat_workgroup_size: 512
    .name:           _ZN7rocprim17ROCPRIM_400000_NS6detail17trampoline_kernelINS0_14default_configENS1_25partition_config_selectorILNS1_17partition_subalgoE8ElNS0_10empty_typeEbEEZZNS1_14partition_implILS5_8ELb0ES3_jPlPS6_PKS6_NS0_5tupleIJS9_S6_EEENSD_IJSA_SA_EEENS0_18inequality_wrapperIZN2at6native12_GLOBAL__N_124unique_dim_cuda_templateIjEESt5tupleIJNSH_6TensorESM_SM_EERKSM_lbbbEUlllE0_EEPmJS6_EEE10hipError_tPvRmT3_T4_T5_T6_T7_T9_mT8_P12ihipStream_tbDpT10_ENKUlT_T0_E_clISt17integral_constantIbLb1EES1C_EEDaS17_S18_EUlS17_E_NS1_11comp_targetILNS1_3genE3ELNS1_11target_archE908ELNS1_3gpuE7ELNS1_3repE0EEENS1_30default_config_static_selectorELNS0_4arch9wavefront6targetE1EEEvT1_
    .private_segment_fixed_size: 0
    .sgpr_count:     4
    .sgpr_spill_count: 0
    .symbol:         _ZN7rocprim17ROCPRIM_400000_NS6detail17trampoline_kernelINS0_14default_configENS1_25partition_config_selectorILNS1_17partition_subalgoE8ElNS0_10empty_typeEbEEZZNS1_14partition_implILS5_8ELb0ES3_jPlPS6_PKS6_NS0_5tupleIJS9_S6_EEENSD_IJSA_SA_EEENS0_18inequality_wrapperIZN2at6native12_GLOBAL__N_124unique_dim_cuda_templateIjEESt5tupleIJNSH_6TensorESM_SM_EERKSM_lbbbEUlllE0_EEPmJS6_EEE10hipError_tPvRmT3_T4_T5_T6_T7_T9_mT8_P12ihipStream_tbDpT10_ENKUlT_T0_E_clISt17integral_constantIbLb1EES1C_EEDaS17_S18_EUlS17_E_NS1_11comp_targetILNS1_3genE3ELNS1_11target_archE908ELNS1_3gpuE7ELNS1_3repE0EEENS1_30default_config_static_selectorELNS0_4arch9wavefront6targetE1EEEvT1_.kd
    .uniform_work_group_size: 1
    .uses_dynamic_stack: false
    .vgpr_count:     0
    .vgpr_spill_count: 0
    .wavefront_size: 64
  - .agpr_count:     0
    .args:
      - .offset:         0
        .size:           136
        .value_kind:     by_value
    .group_segment_fixed_size: 0
    .kernarg_segment_align: 8
    .kernarg_segment_size: 136
    .language:       OpenCL C
    .language_version:
      - 2
      - 0
    .max_flat_workgroup_size: 256
    .name:           _ZN7rocprim17ROCPRIM_400000_NS6detail17trampoline_kernelINS0_14default_configENS1_25partition_config_selectorILNS1_17partition_subalgoE8ElNS0_10empty_typeEbEEZZNS1_14partition_implILS5_8ELb0ES3_jPlPS6_PKS6_NS0_5tupleIJS9_S6_EEENSD_IJSA_SA_EEENS0_18inequality_wrapperIZN2at6native12_GLOBAL__N_124unique_dim_cuda_templateIjEESt5tupleIJNSH_6TensorESM_SM_EERKSM_lbbbEUlllE0_EEPmJS6_EEE10hipError_tPvRmT3_T4_T5_T6_T7_T9_mT8_P12ihipStream_tbDpT10_ENKUlT_T0_E_clISt17integral_constantIbLb1EES1C_EEDaS17_S18_EUlS17_E_NS1_11comp_targetILNS1_3genE2ELNS1_11target_archE906ELNS1_3gpuE6ELNS1_3repE0EEENS1_30default_config_static_selectorELNS0_4arch9wavefront6targetE1EEEvT1_
    .private_segment_fixed_size: 0
    .sgpr_count:     4
    .sgpr_spill_count: 0
    .symbol:         _ZN7rocprim17ROCPRIM_400000_NS6detail17trampoline_kernelINS0_14default_configENS1_25partition_config_selectorILNS1_17partition_subalgoE8ElNS0_10empty_typeEbEEZZNS1_14partition_implILS5_8ELb0ES3_jPlPS6_PKS6_NS0_5tupleIJS9_S6_EEENSD_IJSA_SA_EEENS0_18inequality_wrapperIZN2at6native12_GLOBAL__N_124unique_dim_cuda_templateIjEESt5tupleIJNSH_6TensorESM_SM_EERKSM_lbbbEUlllE0_EEPmJS6_EEE10hipError_tPvRmT3_T4_T5_T6_T7_T9_mT8_P12ihipStream_tbDpT10_ENKUlT_T0_E_clISt17integral_constantIbLb1EES1C_EEDaS17_S18_EUlS17_E_NS1_11comp_targetILNS1_3genE2ELNS1_11target_archE906ELNS1_3gpuE6ELNS1_3repE0EEENS1_30default_config_static_selectorELNS0_4arch9wavefront6targetE1EEEvT1_.kd
    .uniform_work_group_size: 1
    .uses_dynamic_stack: false
    .vgpr_count:     0
    .vgpr_spill_count: 0
    .wavefront_size: 64
  - .agpr_count:     0
    .args:
      - .offset:         0
        .size:           136
        .value_kind:     by_value
    .group_segment_fixed_size: 0
    .kernarg_segment_align: 8
    .kernarg_segment_size: 136
    .language:       OpenCL C
    .language_version:
      - 2
      - 0
    .max_flat_workgroup_size: 384
    .name:           _ZN7rocprim17ROCPRIM_400000_NS6detail17trampoline_kernelINS0_14default_configENS1_25partition_config_selectorILNS1_17partition_subalgoE8ElNS0_10empty_typeEbEEZZNS1_14partition_implILS5_8ELb0ES3_jPlPS6_PKS6_NS0_5tupleIJS9_S6_EEENSD_IJSA_SA_EEENS0_18inequality_wrapperIZN2at6native12_GLOBAL__N_124unique_dim_cuda_templateIjEESt5tupleIJNSH_6TensorESM_SM_EERKSM_lbbbEUlllE0_EEPmJS6_EEE10hipError_tPvRmT3_T4_T5_T6_T7_T9_mT8_P12ihipStream_tbDpT10_ENKUlT_T0_E_clISt17integral_constantIbLb1EES1C_EEDaS17_S18_EUlS17_E_NS1_11comp_targetILNS1_3genE10ELNS1_11target_archE1200ELNS1_3gpuE4ELNS1_3repE0EEENS1_30default_config_static_selectorELNS0_4arch9wavefront6targetE1EEEvT1_
    .private_segment_fixed_size: 0
    .sgpr_count:     4
    .sgpr_spill_count: 0
    .symbol:         _ZN7rocprim17ROCPRIM_400000_NS6detail17trampoline_kernelINS0_14default_configENS1_25partition_config_selectorILNS1_17partition_subalgoE8ElNS0_10empty_typeEbEEZZNS1_14partition_implILS5_8ELb0ES3_jPlPS6_PKS6_NS0_5tupleIJS9_S6_EEENSD_IJSA_SA_EEENS0_18inequality_wrapperIZN2at6native12_GLOBAL__N_124unique_dim_cuda_templateIjEESt5tupleIJNSH_6TensorESM_SM_EERKSM_lbbbEUlllE0_EEPmJS6_EEE10hipError_tPvRmT3_T4_T5_T6_T7_T9_mT8_P12ihipStream_tbDpT10_ENKUlT_T0_E_clISt17integral_constantIbLb1EES1C_EEDaS17_S18_EUlS17_E_NS1_11comp_targetILNS1_3genE10ELNS1_11target_archE1200ELNS1_3gpuE4ELNS1_3repE0EEENS1_30default_config_static_selectorELNS0_4arch9wavefront6targetE1EEEvT1_.kd
    .uniform_work_group_size: 1
    .uses_dynamic_stack: false
    .vgpr_count:     0
    .vgpr_spill_count: 0
    .wavefront_size: 64
  - .agpr_count:     0
    .args:
      - .offset:         0
        .size:           136
        .value_kind:     by_value
    .group_segment_fixed_size: 0
    .kernarg_segment_align: 8
    .kernarg_segment_size: 136
    .language:       OpenCL C
    .language_version:
      - 2
      - 0
    .max_flat_workgroup_size: 512
    .name:           _ZN7rocprim17ROCPRIM_400000_NS6detail17trampoline_kernelINS0_14default_configENS1_25partition_config_selectorILNS1_17partition_subalgoE8ElNS0_10empty_typeEbEEZZNS1_14partition_implILS5_8ELb0ES3_jPlPS6_PKS6_NS0_5tupleIJS9_S6_EEENSD_IJSA_SA_EEENS0_18inequality_wrapperIZN2at6native12_GLOBAL__N_124unique_dim_cuda_templateIjEESt5tupleIJNSH_6TensorESM_SM_EERKSM_lbbbEUlllE0_EEPmJS6_EEE10hipError_tPvRmT3_T4_T5_T6_T7_T9_mT8_P12ihipStream_tbDpT10_ENKUlT_T0_E_clISt17integral_constantIbLb1EES1C_EEDaS17_S18_EUlS17_E_NS1_11comp_targetILNS1_3genE9ELNS1_11target_archE1100ELNS1_3gpuE3ELNS1_3repE0EEENS1_30default_config_static_selectorELNS0_4arch9wavefront6targetE1EEEvT1_
    .private_segment_fixed_size: 0
    .sgpr_count:     4
    .sgpr_spill_count: 0
    .symbol:         _ZN7rocprim17ROCPRIM_400000_NS6detail17trampoline_kernelINS0_14default_configENS1_25partition_config_selectorILNS1_17partition_subalgoE8ElNS0_10empty_typeEbEEZZNS1_14partition_implILS5_8ELb0ES3_jPlPS6_PKS6_NS0_5tupleIJS9_S6_EEENSD_IJSA_SA_EEENS0_18inequality_wrapperIZN2at6native12_GLOBAL__N_124unique_dim_cuda_templateIjEESt5tupleIJNSH_6TensorESM_SM_EERKSM_lbbbEUlllE0_EEPmJS6_EEE10hipError_tPvRmT3_T4_T5_T6_T7_T9_mT8_P12ihipStream_tbDpT10_ENKUlT_T0_E_clISt17integral_constantIbLb1EES1C_EEDaS17_S18_EUlS17_E_NS1_11comp_targetILNS1_3genE9ELNS1_11target_archE1100ELNS1_3gpuE3ELNS1_3repE0EEENS1_30default_config_static_selectorELNS0_4arch9wavefront6targetE1EEEvT1_.kd
    .uniform_work_group_size: 1
    .uses_dynamic_stack: false
    .vgpr_count:     0
    .vgpr_spill_count: 0
    .wavefront_size: 64
  - .agpr_count:     0
    .args:
      - .offset:         0
        .size:           136
        .value_kind:     by_value
    .group_segment_fixed_size: 0
    .kernarg_segment_align: 8
    .kernarg_segment_size: 136
    .language:       OpenCL C
    .language_version:
      - 2
      - 0
    .max_flat_workgroup_size: 512
    .name:           _ZN7rocprim17ROCPRIM_400000_NS6detail17trampoline_kernelINS0_14default_configENS1_25partition_config_selectorILNS1_17partition_subalgoE8ElNS0_10empty_typeEbEEZZNS1_14partition_implILS5_8ELb0ES3_jPlPS6_PKS6_NS0_5tupleIJS9_S6_EEENSD_IJSA_SA_EEENS0_18inequality_wrapperIZN2at6native12_GLOBAL__N_124unique_dim_cuda_templateIjEESt5tupleIJNSH_6TensorESM_SM_EERKSM_lbbbEUlllE0_EEPmJS6_EEE10hipError_tPvRmT3_T4_T5_T6_T7_T9_mT8_P12ihipStream_tbDpT10_ENKUlT_T0_E_clISt17integral_constantIbLb1EES1C_EEDaS17_S18_EUlS17_E_NS1_11comp_targetILNS1_3genE8ELNS1_11target_archE1030ELNS1_3gpuE2ELNS1_3repE0EEENS1_30default_config_static_selectorELNS0_4arch9wavefront6targetE1EEEvT1_
    .private_segment_fixed_size: 0
    .sgpr_count:     4
    .sgpr_spill_count: 0
    .symbol:         _ZN7rocprim17ROCPRIM_400000_NS6detail17trampoline_kernelINS0_14default_configENS1_25partition_config_selectorILNS1_17partition_subalgoE8ElNS0_10empty_typeEbEEZZNS1_14partition_implILS5_8ELb0ES3_jPlPS6_PKS6_NS0_5tupleIJS9_S6_EEENSD_IJSA_SA_EEENS0_18inequality_wrapperIZN2at6native12_GLOBAL__N_124unique_dim_cuda_templateIjEESt5tupleIJNSH_6TensorESM_SM_EERKSM_lbbbEUlllE0_EEPmJS6_EEE10hipError_tPvRmT3_T4_T5_T6_T7_T9_mT8_P12ihipStream_tbDpT10_ENKUlT_T0_E_clISt17integral_constantIbLb1EES1C_EEDaS17_S18_EUlS17_E_NS1_11comp_targetILNS1_3genE8ELNS1_11target_archE1030ELNS1_3gpuE2ELNS1_3repE0EEENS1_30default_config_static_selectorELNS0_4arch9wavefront6targetE1EEEvT1_.kd
    .uniform_work_group_size: 1
    .uses_dynamic_stack: false
    .vgpr_count:     0
    .vgpr_spill_count: 0
    .wavefront_size: 64
  - .agpr_count:     0
    .args:
      - .offset:         0
        .size:           120
        .value_kind:     by_value
    .group_segment_fixed_size: 0
    .kernarg_segment_align: 8
    .kernarg_segment_size: 120
    .language:       OpenCL C
    .language_version:
      - 2
      - 0
    .max_flat_workgroup_size: 512
    .name:           _ZN7rocprim17ROCPRIM_400000_NS6detail17trampoline_kernelINS0_14default_configENS1_25partition_config_selectorILNS1_17partition_subalgoE8ElNS0_10empty_typeEbEEZZNS1_14partition_implILS5_8ELb0ES3_jPlPS6_PKS6_NS0_5tupleIJS9_S6_EEENSD_IJSA_SA_EEENS0_18inequality_wrapperIZN2at6native12_GLOBAL__N_124unique_dim_cuda_templateIjEESt5tupleIJNSH_6TensorESM_SM_EERKSM_lbbbEUlllE0_EEPmJS6_EEE10hipError_tPvRmT3_T4_T5_T6_T7_T9_mT8_P12ihipStream_tbDpT10_ENKUlT_T0_E_clISt17integral_constantIbLb1EES1B_IbLb0EEEEDaS17_S18_EUlS17_E_NS1_11comp_targetILNS1_3genE0ELNS1_11target_archE4294967295ELNS1_3gpuE0ELNS1_3repE0EEENS1_30default_config_static_selectorELNS0_4arch9wavefront6targetE1EEEvT1_
    .private_segment_fixed_size: 0
    .sgpr_count:     4
    .sgpr_spill_count: 0
    .symbol:         _ZN7rocprim17ROCPRIM_400000_NS6detail17trampoline_kernelINS0_14default_configENS1_25partition_config_selectorILNS1_17partition_subalgoE8ElNS0_10empty_typeEbEEZZNS1_14partition_implILS5_8ELb0ES3_jPlPS6_PKS6_NS0_5tupleIJS9_S6_EEENSD_IJSA_SA_EEENS0_18inequality_wrapperIZN2at6native12_GLOBAL__N_124unique_dim_cuda_templateIjEESt5tupleIJNSH_6TensorESM_SM_EERKSM_lbbbEUlllE0_EEPmJS6_EEE10hipError_tPvRmT3_T4_T5_T6_T7_T9_mT8_P12ihipStream_tbDpT10_ENKUlT_T0_E_clISt17integral_constantIbLb1EES1B_IbLb0EEEEDaS17_S18_EUlS17_E_NS1_11comp_targetILNS1_3genE0ELNS1_11target_archE4294967295ELNS1_3gpuE0ELNS1_3repE0EEENS1_30default_config_static_selectorELNS0_4arch9wavefront6targetE1EEEvT1_.kd
    .uniform_work_group_size: 1
    .uses_dynamic_stack: false
    .vgpr_count:     0
    .vgpr_spill_count: 0
    .wavefront_size: 64
  - .agpr_count:     0
    .args:
      - .offset:         0
        .size:           120
        .value_kind:     by_value
    .group_segment_fixed_size: 0
    .kernarg_segment_align: 8
    .kernarg_segment_size: 120
    .language:       OpenCL C
    .language_version:
      - 2
      - 0
    .max_flat_workgroup_size: 512
    .name:           _ZN7rocprim17ROCPRIM_400000_NS6detail17trampoline_kernelINS0_14default_configENS1_25partition_config_selectorILNS1_17partition_subalgoE8ElNS0_10empty_typeEbEEZZNS1_14partition_implILS5_8ELb0ES3_jPlPS6_PKS6_NS0_5tupleIJS9_S6_EEENSD_IJSA_SA_EEENS0_18inequality_wrapperIZN2at6native12_GLOBAL__N_124unique_dim_cuda_templateIjEESt5tupleIJNSH_6TensorESM_SM_EERKSM_lbbbEUlllE0_EEPmJS6_EEE10hipError_tPvRmT3_T4_T5_T6_T7_T9_mT8_P12ihipStream_tbDpT10_ENKUlT_T0_E_clISt17integral_constantIbLb1EES1B_IbLb0EEEEDaS17_S18_EUlS17_E_NS1_11comp_targetILNS1_3genE5ELNS1_11target_archE942ELNS1_3gpuE9ELNS1_3repE0EEENS1_30default_config_static_selectorELNS0_4arch9wavefront6targetE1EEEvT1_
    .private_segment_fixed_size: 0
    .sgpr_count:     4
    .sgpr_spill_count: 0
    .symbol:         _ZN7rocprim17ROCPRIM_400000_NS6detail17trampoline_kernelINS0_14default_configENS1_25partition_config_selectorILNS1_17partition_subalgoE8ElNS0_10empty_typeEbEEZZNS1_14partition_implILS5_8ELb0ES3_jPlPS6_PKS6_NS0_5tupleIJS9_S6_EEENSD_IJSA_SA_EEENS0_18inequality_wrapperIZN2at6native12_GLOBAL__N_124unique_dim_cuda_templateIjEESt5tupleIJNSH_6TensorESM_SM_EERKSM_lbbbEUlllE0_EEPmJS6_EEE10hipError_tPvRmT3_T4_T5_T6_T7_T9_mT8_P12ihipStream_tbDpT10_ENKUlT_T0_E_clISt17integral_constantIbLb1EES1B_IbLb0EEEEDaS17_S18_EUlS17_E_NS1_11comp_targetILNS1_3genE5ELNS1_11target_archE942ELNS1_3gpuE9ELNS1_3repE0EEENS1_30default_config_static_selectorELNS0_4arch9wavefront6targetE1EEEvT1_.kd
    .uniform_work_group_size: 1
    .uses_dynamic_stack: false
    .vgpr_count:     0
    .vgpr_spill_count: 0
    .wavefront_size: 64
  - .agpr_count:     0
    .args:
      - .offset:         0
        .size:           120
        .value_kind:     by_value
    .group_segment_fixed_size: 10252
    .kernarg_segment_align: 8
    .kernarg_segment_size: 120
    .language:       OpenCL C
    .language_version:
      - 2
      - 0
    .max_flat_workgroup_size: 256
    .name:           _ZN7rocprim17ROCPRIM_400000_NS6detail17trampoline_kernelINS0_14default_configENS1_25partition_config_selectorILNS1_17partition_subalgoE8ElNS0_10empty_typeEbEEZZNS1_14partition_implILS5_8ELb0ES3_jPlPS6_PKS6_NS0_5tupleIJS9_S6_EEENSD_IJSA_SA_EEENS0_18inequality_wrapperIZN2at6native12_GLOBAL__N_124unique_dim_cuda_templateIjEESt5tupleIJNSH_6TensorESM_SM_EERKSM_lbbbEUlllE0_EEPmJS6_EEE10hipError_tPvRmT3_T4_T5_T6_T7_T9_mT8_P12ihipStream_tbDpT10_ENKUlT_T0_E_clISt17integral_constantIbLb1EES1B_IbLb0EEEEDaS17_S18_EUlS17_E_NS1_11comp_targetILNS1_3genE4ELNS1_11target_archE910ELNS1_3gpuE8ELNS1_3repE0EEENS1_30default_config_static_selectorELNS0_4arch9wavefront6targetE1EEEvT1_
    .private_segment_fixed_size: 0
    .sgpr_count:     52
    .sgpr_spill_count: 0
    .symbol:         _ZN7rocprim17ROCPRIM_400000_NS6detail17trampoline_kernelINS0_14default_configENS1_25partition_config_selectorILNS1_17partition_subalgoE8ElNS0_10empty_typeEbEEZZNS1_14partition_implILS5_8ELb0ES3_jPlPS6_PKS6_NS0_5tupleIJS9_S6_EEENSD_IJSA_SA_EEENS0_18inequality_wrapperIZN2at6native12_GLOBAL__N_124unique_dim_cuda_templateIjEESt5tupleIJNSH_6TensorESM_SM_EERKSM_lbbbEUlllE0_EEPmJS6_EEE10hipError_tPvRmT3_T4_T5_T6_T7_T9_mT8_P12ihipStream_tbDpT10_ENKUlT_T0_E_clISt17integral_constantIbLb1EES1B_IbLb0EEEEDaS17_S18_EUlS17_E_NS1_11comp_targetILNS1_3genE4ELNS1_11target_archE910ELNS1_3gpuE8ELNS1_3repE0EEENS1_30default_config_static_selectorELNS0_4arch9wavefront6targetE1EEEvT1_.kd
    .uniform_work_group_size: 1
    .uses_dynamic_stack: false
    .vgpr_count:     46
    .vgpr_spill_count: 0
    .wavefront_size: 64
  - .agpr_count:     0
    .args:
      - .offset:         0
        .size:           120
        .value_kind:     by_value
    .group_segment_fixed_size: 0
    .kernarg_segment_align: 8
    .kernarg_segment_size: 120
    .language:       OpenCL C
    .language_version:
      - 2
      - 0
    .max_flat_workgroup_size: 512
    .name:           _ZN7rocprim17ROCPRIM_400000_NS6detail17trampoline_kernelINS0_14default_configENS1_25partition_config_selectorILNS1_17partition_subalgoE8ElNS0_10empty_typeEbEEZZNS1_14partition_implILS5_8ELb0ES3_jPlPS6_PKS6_NS0_5tupleIJS9_S6_EEENSD_IJSA_SA_EEENS0_18inequality_wrapperIZN2at6native12_GLOBAL__N_124unique_dim_cuda_templateIjEESt5tupleIJNSH_6TensorESM_SM_EERKSM_lbbbEUlllE0_EEPmJS6_EEE10hipError_tPvRmT3_T4_T5_T6_T7_T9_mT8_P12ihipStream_tbDpT10_ENKUlT_T0_E_clISt17integral_constantIbLb1EES1B_IbLb0EEEEDaS17_S18_EUlS17_E_NS1_11comp_targetILNS1_3genE3ELNS1_11target_archE908ELNS1_3gpuE7ELNS1_3repE0EEENS1_30default_config_static_selectorELNS0_4arch9wavefront6targetE1EEEvT1_
    .private_segment_fixed_size: 0
    .sgpr_count:     4
    .sgpr_spill_count: 0
    .symbol:         _ZN7rocprim17ROCPRIM_400000_NS6detail17trampoline_kernelINS0_14default_configENS1_25partition_config_selectorILNS1_17partition_subalgoE8ElNS0_10empty_typeEbEEZZNS1_14partition_implILS5_8ELb0ES3_jPlPS6_PKS6_NS0_5tupleIJS9_S6_EEENSD_IJSA_SA_EEENS0_18inequality_wrapperIZN2at6native12_GLOBAL__N_124unique_dim_cuda_templateIjEESt5tupleIJNSH_6TensorESM_SM_EERKSM_lbbbEUlllE0_EEPmJS6_EEE10hipError_tPvRmT3_T4_T5_T6_T7_T9_mT8_P12ihipStream_tbDpT10_ENKUlT_T0_E_clISt17integral_constantIbLb1EES1B_IbLb0EEEEDaS17_S18_EUlS17_E_NS1_11comp_targetILNS1_3genE3ELNS1_11target_archE908ELNS1_3gpuE7ELNS1_3repE0EEENS1_30default_config_static_selectorELNS0_4arch9wavefront6targetE1EEEvT1_.kd
    .uniform_work_group_size: 1
    .uses_dynamic_stack: false
    .vgpr_count:     0
    .vgpr_spill_count: 0
    .wavefront_size: 64
  - .agpr_count:     0
    .args:
      - .offset:         0
        .size:           120
        .value_kind:     by_value
    .group_segment_fixed_size: 0
    .kernarg_segment_align: 8
    .kernarg_segment_size: 120
    .language:       OpenCL C
    .language_version:
      - 2
      - 0
    .max_flat_workgroup_size: 256
    .name:           _ZN7rocprim17ROCPRIM_400000_NS6detail17trampoline_kernelINS0_14default_configENS1_25partition_config_selectorILNS1_17partition_subalgoE8ElNS0_10empty_typeEbEEZZNS1_14partition_implILS5_8ELb0ES3_jPlPS6_PKS6_NS0_5tupleIJS9_S6_EEENSD_IJSA_SA_EEENS0_18inequality_wrapperIZN2at6native12_GLOBAL__N_124unique_dim_cuda_templateIjEESt5tupleIJNSH_6TensorESM_SM_EERKSM_lbbbEUlllE0_EEPmJS6_EEE10hipError_tPvRmT3_T4_T5_T6_T7_T9_mT8_P12ihipStream_tbDpT10_ENKUlT_T0_E_clISt17integral_constantIbLb1EES1B_IbLb0EEEEDaS17_S18_EUlS17_E_NS1_11comp_targetILNS1_3genE2ELNS1_11target_archE906ELNS1_3gpuE6ELNS1_3repE0EEENS1_30default_config_static_selectorELNS0_4arch9wavefront6targetE1EEEvT1_
    .private_segment_fixed_size: 0
    .sgpr_count:     4
    .sgpr_spill_count: 0
    .symbol:         _ZN7rocprim17ROCPRIM_400000_NS6detail17trampoline_kernelINS0_14default_configENS1_25partition_config_selectorILNS1_17partition_subalgoE8ElNS0_10empty_typeEbEEZZNS1_14partition_implILS5_8ELb0ES3_jPlPS6_PKS6_NS0_5tupleIJS9_S6_EEENSD_IJSA_SA_EEENS0_18inequality_wrapperIZN2at6native12_GLOBAL__N_124unique_dim_cuda_templateIjEESt5tupleIJNSH_6TensorESM_SM_EERKSM_lbbbEUlllE0_EEPmJS6_EEE10hipError_tPvRmT3_T4_T5_T6_T7_T9_mT8_P12ihipStream_tbDpT10_ENKUlT_T0_E_clISt17integral_constantIbLb1EES1B_IbLb0EEEEDaS17_S18_EUlS17_E_NS1_11comp_targetILNS1_3genE2ELNS1_11target_archE906ELNS1_3gpuE6ELNS1_3repE0EEENS1_30default_config_static_selectorELNS0_4arch9wavefront6targetE1EEEvT1_.kd
    .uniform_work_group_size: 1
    .uses_dynamic_stack: false
    .vgpr_count:     0
    .vgpr_spill_count: 0
    .wavefront_size: 64
  - .agpr_count:     0
    .args:
      - .offset:         0
        .size:           120
        .value_kind:     by_value
    .group_segment_fixed_size: 0
    .kernarg_segment_align: 8
    .kernarg_segment_size: 120
    .language:       OpenCL C
    .language_version:
      - 2
      - 0
    .max_flat_workgroup_size: 384
    .name:           _ZN7rocprim17ROCPRIM_400000_NS6detail17trampoline_kernelINS0_14default_configENS1_25partition_config_selectorILNS1_17partition_subalgoE8ElNS0_10empty_typeEbEEZZNS1_14partition_implILS5_8ELb0ES3_jPlPS6_PKS6_NS0_5tupleIJS9_S6_EEENSD_IJSA_SA_EEENS0_18inequality_wrapperIZN2at6native12_GLOBAL__N_124unique_dim_cuda_templateIjEESt5tupleIJNSH_6TensorESM_SM_EERKSM_lbbbEUlllE0_EEPmJS6_EEE10hipError_tPvRmT3_T4_T5_T6_T7_T9_mT8_P12ihipStream_tbDpT10_ENKUlT_T0_E_clISt17integral_constantIbLb1EES1B_IbLb0EEEEDaS17_S18_EUlS17_E_NS1_11comp_targetILNS1_3genE10ELNS1_11target_archE1200ELNS1_3gpuE4ELNS1_3repE0EEENS1_30default_config_static_selectorELNS0_4arch9wavefront6targetE1EEEvT1_
    .private_segment_fixed_size: 0
    .sgpr_count:     4
    .sgpr_spill_count: 0
    .symbol:         _ZN7rocprim17ROCPRIM_400000_NS6detail17trampoline_kernelINS0_14default_configENS1_25partition_config_selectorILNS1_17partition_subalgoE8ElNS0_10empty_typeEbEEZZNS1_14partition_implILS5_8ELb0ES3_jPlPS6_PKS6_NS0_5tupleIJS9_S6_EEENSD_IJSA_SA_EEENS0_18inequality_wrapperIZN2at6native12_GLOBAL__N_124unique_dim_cuda_templateIjEESt5tupleIJNSH_6TensorESM_SM_EERKSM_lbbbEUlllE0_EEPmJS6_EEE10hipError_tPvRmT3_T4_T5_T6_T7_T9_mT8_P12ihipStream_tbDpT10_ENKUlT_T0_E_clISt17integral_constantIbLb1EES1B_IbLb0EEEEDaS17_S18_EUlS17_E_NS1_11comp_targetILNS1_3genE10ELNS1_11target_archE1200ELNS1_3gpuE4ELNS1_3repE0EEENS1_30default_config_static_selectorELNS0_4arch9wavefront6targetE1EEEvT1_.kd
    .uniform_work_group_size: 1
    .uses_dynamic_stack: false
    .vgpr_count:     0
    .vgpr_spill_count: 0
    .wavefront_size: 64
  - .agpr_count:     0
    .args:
      - .offset:         0
        .size:           120
        .value_kind:     by_value
    .group_segment_fixed_size: 0
    .kernarg_segment_align: 8
    .kernarg_segment_size: 120
    .language:       OpenCL C
    .language_version:
      - 2
      - 0
    .max_flat_workgroup_size: 512
    .name:           _ZN7rocprim17ROCPRIM_400000_NS6detail17trampoline_kernelINS0_14default_configENS1_25partition_config_selectorILNS1_17partition_subalgoE8ElNS0_10empty_typeEbEEZZNS1_14partition_implILS5_8ELb0ES3_jPlPS6_PKS6_NS0_5tupleIJS9_S6_EEENSD_IJSA_SA_EEENS0_18inequality_wrapperIZN2at6native12_GLOBAL__N_124unique_dim_cuda_templateIjEESt5tupleIJNSH_6TensorESM_SM_EERKSM_lbbbEUlllE0_EEPmJS6_EEE10hipError_tPvRmT3_T4_T5_T6_T7_T9_mT8_P12ihipStream_tbDpT10_ENKUlT_T0_E_clISt17integral_constantIbLb1EES1B_IbLb0EEEEDaS17_S18_EUlS17_E_NS1_11comp_targetILNS1_3genE9ELNS1_11target_archE1100ELNS1_3gpuE3ELNS1_3repE0EEENS1_30default_config_static_selectorELNS0_4arch9wavefront6targetE1EEEvT1_
    .private_segment_fixed_size: 0
    .sgpr_count:     4
    .sgpr_spill_count: 0
    .symbol:         _ZN7rocprim17ROCPRIM_400000_NS6detail17trampoline_kernelINS0_14default_configENS1_25partition_config_selectorILNS1_17partition_subalgoE8ElNS0_10empty_typeEbEEZZNS1_14partition_implILS5_8ELb0ES3_jPlPS6_PKS6_NS0_5tupleIJS9_S6_EEENSD_IJSA_SA_EEENS0_18inequality_wrapperIZN2at6native12_GLOBAL__N_124unique_dim_cuda_templateIjEESt5tupleIJNSH_6TensorESM_SM_EERKSM_lbbbEUlllE0_EEPmJS6_EEE10hipError_tPvRmT3_T4_T5_T6_T7_T9_mT8_P12ihipStream_tbDpT10_ENKUlT_T0_E_clISt17integral_constantIbLb1EES1B_IbLb0EEEEDaS17_S18_EUlS17_E_NS1_11comp_targetILNS1_3genE9ELNS1_11target_archE1100ELNS1_3gpuE3ELNS1_3repE0EEENS1_30default_config_static_selectorELNS0_4arch9wavefront6targetE1EEEvT1_.kd
    .uniform_work_group_size: 1
    .uses_dynamic_stack: false
    .vgpr_count:     0
    .vgpr_spill_count: 0
    .wavefront_size: 64
  - .agpr_count:     0
    .args:
      - .offset:         0
        .size:           120
        .value_kind:     by_value
    .group_segment_fixed_size: 0
    .kernarg_segment_align: 8
    .kernarg_segment_size: 120
    .language:       OpenCL C
    .language_version:
      - 2
      - 0
    .max_flat_workgroup_size: 512
    .name:           _ZN7rocprim17ROCPRIM_400000_NS6detail17trampoline_kernelINS0_14default_configENS1_25partition_config_selectorILNS1_17partition_subalgoE8ElNS0_10empty_typeEbEEZZNS1_14partition_implILS5_8ELb0ES3_jPlPS6_PKS6_NS0_5tupleIJS9_S6_EEENSD_IJSA_SA_EEENS0_18inequality_wrapperIZN2at6native12_GLOBAL__N_124unique_dim_cuda_templateIjEESt5tupleIJNSH_6TensorESM_SM_EERKSM_lbbbEUlllE0_EEPmJS6_EEE10hipError_tPvRmT3_T4_T5_T6_T7_T9_mT8_P12ihipStream_tbDpT10_ENKUlT_T0_E_clISt17integral_constantIbLb1EES1B_IbLb0EEEEDaS17_S18_EUlS17_E_NS1_11comp_targetILNS1_3genE8ELNS1_11target_archE1030ELNS1_3gpuE2ELNS1_3repE0EEENS1_30default_config_static_selectorELNS0_4arch9wavefront6targetE1EEEvT1_
    .private_segment_fixed_size: 0
    .sgpr_count:     4
    .sgpr_spill_count: 0
    .symbol:         _ZN7rocprim17ROCPRIM_400000_NS6detail17trampoline_kernelINS0_14default_configENS1_25partition_config_selectorILNS1_17partition_subalgoE8ElNS0_10empty_typeEbEEZZNS1_14partition_implILS5_8ELb0ES3_jPlPS6_PKS6_NS0_5tupleIJS9_S6_EEENSD_IJSA_SA_EEENS0_18inequality_wrapperIZN2at6native12_GLOBAL__N_124unique_dim_cuda_templateIjEESt5tupleIJNSH_6TensorESM_SM_EERKSM_lbbbEUlllE0_EEPmJS6_EEE10hipError_tPvRmT3_T4_T5_T6_T7_T9_mT8_P12ihipStream_tbDpT10_ENKUlT_T0_E_clISt17integral_constantIbLb1EES1B_IbLb0EEEEDaS17_S18_EUlS17_E_NS1_11comp_targetILNS1_3genE8ELNS1_11target_archE1030ELNS1_3gpuE2ELNS1_3repE0EEENS1_30default_config_static_selectorELNS0_4arch9wavefront6targetE1EEEvT1_.kd
    .uniform_work_group_size: 1
    .uses_dynamic_stack: false
    .vgpr_count:     0
    .vgpr_spill_count: 0
    .wavefront_size: 64
  - .agpr_count:     0
    .args:
      - .offset:         0
        .size:           136
        .value_kind:     by_value
    .group_segment_fixed_size: 0
    .kernarg_segment_align: 8
    .kernarg_segment_size: 136
    .language:       OpenCL C
    .language_version:
      - 2
      - 0
    .max_flat_workgroup_size: 512
    .name:           _ZN7rocprim17ROCPRIM_400000_NS6detail17trampoline_kernelINS0_14default_configENS1_25partition_config_selectorILNS1_17partition_subalgoE8ElNS0_10empty_typeEbEEZZNS1_14partition_implILS5_8ELb0ES3_jPlPS6_PKS6_NS0_5tupleIJS9_S6_EEENSD_IJSA_SA_EEENS0_18inequality_wrapperIZN2at6native12_GLOBAL__N_124unique_dim_cuda_templateIjEESt5tupleIJNSH_6TensorESM_SM_EERKSM_lbbbEUlllE0_EEPmJS6_EEE10hipError_tPvRmT3_T4_T5_T6_T7_T9_mT8_P12ihipStream_tbDpT10_ENKUlT_T0_E_clISt17integral_constantIbLb0EES1B_IbLb1EEEEDaS17_S18_EUlS17_E_NS1_11comp_targetILNS1_3genE0ELNS1_11target_archE4294967295ELNS1_3gpuE0ELNS1_3repE0EEENS1_30default_config_static_selectorELNS0_4arch9wavefront6targetE1EEEvT1_
    .private_segment_fixed_size: 0
    .sgpr_count:     4
    .sgpr_spill_count: 0
    .symbol:         _ZN7rocprim17ROCPRIM_400000_NS6detail17trampoline_kernelINS0_14default_configENS1_25partition_config_selectorILNS1_17partition_subalgoE8ElNS0_10empty_typeEbEEZZNS1_14partition_implILS5_8ELb0ES3_jPlPS6_PKS6_NS0_5tupleIJS9_S6_EEENSD_IJSA_SA_EEENS0_18inequality_wrapperIZN2at6native12_GLOBAL__N_124unique_dim_cuda_templateIjEESt5tupleIJNSH_6TensorESM_SM_EERKSM_lbbbEUlllE0_EEPmJS6_EEE10hipError_tPvRmT3_T4_T5_T6_T7_T9_mT8_P12ihipStream_tbDpT10_ENKUlT_T0_E_clISt17integral_constantIbLb0EES1B_IbLb1EEEEDaS17_S18_EUlS17_E_NS1_11comp_targetILNS1_3genE0ELNS1_11target_archE4294967295ELNS1_3gpuE0ELNS1_3repE0EEENS1_30default_config_static_selectorELNS0_4arch9wavefront6targetE1EEEvT1_.kd
    .uniform_work_group_size: 1
    .uses_dynamic_stack: false
    .vgpr_count:     0
    .vgpr_spill_count: 0
    .wavefront_size: 64
  - .agpr_count:     0
    .args:
      - .offset:         0
        .size:           136
        .value_kind:     by_value
    .group_segment_fixed_size: 0
    .kernarg_segment_align: 8
    .kernarg_segment_size: 136
    .language:       OpenCL C
    .language_version:
      - 2
      - 0
    .max_flat_workgroup_size: 512
    .name:           _ZN7rocprim17ROCPRIM_400000_NS6detail17trampoline_kernelINS0_14default_configENS1_25partition_config_selectorILNS1_17partition_subalgoE8ElNS0_10empty_typeEbEEZZNS1_14partition_implILS5_8ELb0ES3_jPlPS6_PKS6_NS0_5tupleIJS9_S6_EEENSD_IJSA_SA_EEENS0_18inequality_wrapperIZN2at6native12_GLOBAL__N_124unique_dim_cuda_templateIjEESt5tupleIJNSH_6TensorESM_SM_EERKSM_lbbbEUlllE0_EEPmJS6_EEE10hipError_tPvRmT3_T4_T5_T6_T7_T9_mT8_P12ihipStream_tbDpT10_ENKUlT_T0_E_clISt17integral_constantIbLb0EES1B_IbLb1EEEEDaS17_S18_EUlS17_E_NS1_11comp_targetILNS1_3genE5ELNS1_11target_archE942ELNS1_3gpuE9ELNS1_3repE0EEENS1_30default_config_static_selectorELNS0_4arch9wavefront6targetE1EEEvT1_
    .private_segment_fixed_size: 0
    .sgpr_count:     4
    .sgpr_spill_count: 0
    .symbol:         _ZN7rocprim17ROCPRIM_400000_NS6detail17trampoline_kernelINS0_14default_configENS1_25partition_config_selectorILNS1_17partition_subalgoE8ElNS0_10empty_typeEbEEZZNS1_14partition_implILS5_8ELb0ES3_jPlPS6_PKS6_NS0_5tupleIJS9_S6_EEENSD_IJSA_SA_EEENS0_18inequality_wrapperIZN2at6native12_GLOBAL__N_124unique_dim_cuda_templateIjEESt5tupleIJNSH_6TensorESM_SM_EERKSM_lbbbEUlllE0_EEPmJS6_EEE10hipError_tPvRmT3_T4_T5_T6_T7_T9_mT8_P12ihipStream_tbDpT10_ENKUlT_T0_E_clISt17integral_constantIbLb0EES1B_IbLb1EEEEDaS17_S18_EUlS17_E_NS1_11comp_targetILNS1_3genE5ELNS1_11target_archE942ELNS1_3gpuE9ELNS1_3repE0EEENS1_30default_config_static_selectorELNS0_4arch9wavefront6targetE1EEEvT1_.kd
    .uniform_work_group_size: 1
    .uses_dynamic_stack: false
    .vgpr_count:     0
    .vgpr_spill_count: 0
    .wavefront_size: 64
  - .agpr_count:     0
    .args:
      - .offset:         0
        .size:           136
        .value_kind:     by_value
    .group_segment_fixed_size: 10252
    .kernarg_segment_align: 8
    .kernarg_segment_size: 136
    .language:       OpenCL C
    .language_version:
      - 2
      - 0
    .max_flat_workgroup_size: 256
    .name:           _ZN7rocprim17ROCPRIM_400000_NS6detail17trampoline_kernelINS0_14default_configENS1_25partition_config_selectorILNS1_17partition_subalgoE8ElNS0_10empty_typeEbEEZZNS1_14partition_implILS5_8ELb0ES3_jPlPS6_PKS6_NS0_5tupleIJS9_S6_EEENSD_IJSA_SA_EEENS0_18inequality_wrapperIZN2at6native12_GLOBAL__N_124unique_dim_cuda_templateIjEESt5tupleIJNSH_6TensorESM_SM_EERKSM_lbbbEUlllE0_EEPmJS6_EEE10hipError_tPvRmT3_T4_T5_T6_T7_T9_mT8_P12ihipStream_tbDpT10_ENKUlT_T0_E_clISt17integral_constantIbLb0EES1B_IbLb1EEEEDaS17_S18_EUlS17_E_NS1_11comp_targetILNS1_3genE4ELNS1_11target_archE910ELNS1_3gpuE8ELNS1_3repE0EEENS1_30default_config_static_selectorELNS0_4arch9wavefront6targetE1EEEvT1_
    .private_segment_fixed_size: 0
    .sgpr_count:     56
    .sgpr_spill_count: 0
    .symbol:         _ZN7rocprim17ROCPRIM_400000_NS6detail17trampoline_kernelINS0_14default_configENS1_25partition_config_selectorILNS1_17partition_subalgoE8ElNS0_10empty_typeEbEEZZNS1_14partition_implILS5_8ELb0ES3_jPlPS6_PKS6_NS0_5tupleIJS9_S6_EEENSD_IJSA_SA_EEENS0_18inequality_wrapperIZN2at6native12_GLOBAL__N_124unique_dim_cuda_templateIjEESt5tupleIJNSH_6TensorESM_SM_EERKSM_lbbbEUlllE0_EEPmJS6_EEE10hipError_tPvRmT3_T4_T5_T6_T7_T9_mT8_P12ihipStream_tbDpT10_ENKUlT_T0_E_clISt17integral_constantIbLb0EES1B_IbLb1EEEEDaS17_S18_EUlS17_E_NS1_11comp_targetILNS1_3genE4ELNS1_11target_archE910ELNS1_3gpuE8ELNS1_3repE0EEENS1_30default_config_static_selectorELNS0_4arch9wavefront6targetE1EEEvT1_.kd
    .uniform_work_group_size: 1
    .uses_dynamic_stack: false
    .vgpr_count:     46
    .vgpr_spill_count: 0
    .wavefront_size: 64
  - .agpr_count:     0
    .args:
      - .offset:         0
        .size:           136
        .value_kind:     by_value
    .group_segment_fixed_size: 0
    .kernarg_segment_align: 8
    .kernarg_segment_size: 136
    .language:       OpenCL C
    .language_version:
      - 2
      - 0
    .max_flat_workgroup_size: 512
    .name:           _ZN7rocprim17ROCPRIM_400000_NS6detail17trampoline_kernelINS0_14default_configENS1_25partition_config_selectorILNS1_17partition_subalgoE8ElNS0_10empty_typeEbEEZZNS1_14partition_implILS5_8ELb0ES3_jPlPS6_PKS6_NS0_5tupleIJS9_S6_EEENSD_IJSA_SA_EEENS0_18inequality_wrapperIZN2at6native12_GLOBAL__N_124unique_dim_cuda_templateIjEESt5tupleIJNSH_6TensorESM_SM_EERKSM_lbbbEUlllE0_EEPmJS6_EEE10hipError_tPvRmT3_T4_T5_T6_T7_T9_mT8_P12ihipStream_tbDpT10_ENKUlT_T0_E_clISt17integral_constantIbLb0EES1B_IbLb1EEEEDaS17_S18_EUlS17_E_NS1_11comp_targetILNS1_3genE3ELNS1_11target_archE908ELNS1_3gpuE7ELNS1_3repE0EEENS1_30default_config_static_selectorELNS0_4arch9wavefront6targetE1EEEvT1_
    .private_segment_fixed_size: 0
    .sgpr_count:     4
    .sgpr_spill_count: 0
    .symbol:         _ZN7rocprim17ROCPRIM_400000_NS6detail17trampoline_kernelINS0_14default_configENS1_25partition_config_selectorILNS1_17partition_subalgoE8ElNS0_10empty_typeEbEEZZNS1_14partition_implILS5_8ELb0ES3_jPlPS6_PKS6_NS0_5tupleIJS9_S6_EEENSD_IJSA_SA_EEENS0_18inequality_wrapperIZN2at6native12_GLOBAL__N_124unique_dim_cuda_templateIjEESt5tupleIJNSH_6TensorESM_SM_EERKSM_lbbbEUlllE0_EEPmJS6_EEE10hipError_tPvRmT3_T4_T5_T6_T7_T9_mT8_P12ihipStream_tbDpT10_ENKUlT_T0_E_clISt17integral_constantIbLb0EES1B_IbLb1EEEEDaS17_S18_EUlS17_E_NS1_11comp_targetILNS1_3genE3ELNS1_11target_archE908ELNS1_3gpuE7ELNS1_3repE0EEENS1_30default_config_static_selectorELNS0_4arch9wavefront6targetE1EEEvT1_.kd
    .uniform_work_group_size: 1
    .uses_dynamic_stack: false
    .vgpr_count:     0
    .vgpr_spill_count: 0
    .wavefront_size: 64
  - .agpr_count:     0
    .args:
      - .offset:         0
        .size:           136
        .value_kind:     by_value
    .group_segment_fixed_size: 0
    .kernarg_segment_align: 8
    .kernarg_segment_size: 136
    .language:       OpenCL C
    .language_version:
      - 2
      - 0
    .max_flat_workgroup_size: 256
    .name:           _ZN7rocprim17ROCPRIM_400000_NS6detail17trampoline_kernelINS0_14default_configENS1_25partition_config_selectorILNS1_17partition_subalgoE8ElNS0_10empty_typeEbEEZZNS1_14partition_implILS5_8ELb0ES3_jPlPS6_PKS6_NS0_5tupleIJS9_S6_EEENSD_IJSA_SA_EEENS0_18inequality_wrapperIZN2at6native12_GLOBAL__N_124unique_dim_cuda_templateIjEESt5tupleIJNSH_6TensorESM_SM_EERKSM_lbbbEUlllE0_EEPmJS6_EEE10hipError_tPvRmT3_T4_T5_T6_T7_T9_mT8_P12ihipStream_tbDpT10_ENKUlT_T0_E_clISt17integral_constantIbLb0EES1B_IbLb1EEEEDaS17_S18_EUlS17_E_NS1_11comp_targetILNS1_3genE2ELNS1_11target_archE906ELNS1_3gpuE6ELNS1_3repE0EEENS1_30default_config_static_selectorELNS0_4arch9wavefront6targetE1EEEvT1_
    .private_segment_fixed_size: 0
    .sgpr_count:     4
    .sgpr_spill_count: 0
    .symbol:         _ZN7rocprim17ROCPRIM_400000_NS6detail17trampoline_kernelINS0_14default_configENS1_25partition_config_selectorILNS1_17partition_subalgoE8ElNS0_10empty_typeEbEEZZNS1_14partition_implILS5_8ELb0ES3_jPlPS6_PKS6_NS0_5tupleIJS9_S6_EEENSD_IJSA_SA_EEENS0_18inequality_wrapperIZN2at6native12_GLOBAL__N_124unique_dim_cuda_templateIjEESt5tupleIJNSH_6TensorESM_SM_EERKSM_lbbbEUlllE0_EEPmJS6_EEE10hipError_tPvRmT3_T4_T5_T6_T7_T9_mT8_P12ihipStream_tbDpT10_ENKUlT_T0_E_clISt17integral_constantIbLb0EES1B_IbLb1EEEEDaS17_S18_EUlS17_E_NS1_11comp_targetILNS1_3genE2ELNS1_11target_archE906ELNS1_3gpuE6ELNS1_3repE0EEENS1_30default_config_static_selectorELNS0_4arch9wavefront6targetE1EEEvT1_.kd
    .uniform_work_group_size: 1
    .uses_dynamic_stack: false
    .vgpr_count:     0
    .vgpr_spill_count: 0
    .wavefront_size: 64
  - .agpr_count:     0
    .args:
      - .offset:         0
        .size:           136
        .value_kind:     by_value
    .group_segment_fixed_size: 0
    .kernarg_segment_align: 8
    .kernarg_segment_size: 136
    .language:       OpenCL C
    .language_version:
      - 2
      - 0
    .max_flat_workgroup_size: 384
    .name:           _ZN7rocprim17ROCPRIM_400000_NS6detail17trampoline_kernelINS0_14default_configENS1_25partition_config_selectorILNS1_17partition_subalgoE8ElNS0_10empty_typeEbEEZZNS1_14partition_implILS5_8ELb0ES3_jPlPS6_PKS6_NS0_5tupleIJS9_S6_EEENSD_IJSA_SA_EEENS0_18inequality_wrapperIZN2at6native12_GLOBAL__N_124unique_dim_cuda_templateIjEESt5tupleIJNSH_6TensorESM_SM_EERKSM_lbbbEUlllE0_EEPmJS6_EEE10hipError_tPvRmT3_T4_T5_T6_T7_T9_mT8_P12ihipStream_tbDpT10_ENKUlT_T0_E_clISt17integral_constantIbLb0EES1B_IbLb1EEEEDaS17_S18_EUlS17_E_NS1_11comp_targetILNS1_3genE10ELNS1_11target_archE1200ELNS1_3gpuE4ELNS1_3repE0EEENS1_30default_config_static_selectorELNS0_4arch9wavefront6targetE1EEEvT1_
    .private_segment_fixed_size: 0
    .sgpr_count:     4
    .sgpr_spill_count: 0
    .symbol:         _ZN7rocprim17ROCPRIM_400000_NS6detail17trampoline_kernelINS0_14default_configENS1_25partition_config_selectorILNS1_17partition_subalgoE8ElNS0_10empty_typeEbEEZZNS1_14partition_implILS5_8ELb0ES3_jPlPS6_PKS6_NS0_5tupleIJS9_S6_EEENSD_IJSA_SA_EEENS0_18inequality_wrapperIZN2at6native12_GLOBAL__N_124unique_dim_cuda_templateIjEESt5tupleIJNSH_6TensorESM_SM_EERKSM_lbbbEUlllE0_EEPmJS6_EEE10hipError_tPvRmT3_T4_T5_T6_T7_T9_mT8_P12ihipStream_tbDpT10_ENKUlT_T0_E_clISt17integral_constantIbLb0EES1B_IbLb1EEEEDaS17_S18_EUlS17_E_NS1_11comp_targetILNS1_3genE10ELNS1_11target_archE1200ELNS1_3gpuE4ELNS1_3repE0EEENS1_30default_config_static_selectorELNS0_4arch9wavefront6targetE1EEEvT1_.kd
    .uniform_work_group_size: 1
    .uses_dynamic_stack: false
    .vgpr_count:     0
    .vgpr_spill_count: 0
    .wavefront_size: 64
  - .agpr_count:     0
    .args:
      - .offset:         0
        .size:           136
        .value_kind:     by_value
    .group_segment_fixed_size: 0
    .kernarg_segment_align: 8
    .kernarg_segment_size: 136
    .language:       OpenCL C
    .language_version:
      - 2
      - 0
    .max_flat_workgroup_size: 512
    .name:           _ZN7rocprim17ROCPRIM_400000_NS6detail17trampoline_kernelINS0_14default_configENS1_25partition_config_selectorILNS1_17partition_subalgoE8ElNS0_10empty_typeEbEEZZNS1_14partition_implILS5_8ELb0ES3_jPlPS6_PKS6_NS0_5tupleIJS9_S6_EEENSD_IJSA_SA_EEENS0_18inequality_wrapperIZN2at6native12_GLOBAL__N_124unique_dim_cuda_templateIjEESt5tupleIJNSH_6TensorESM_SM_EERKSM_lbbbEUlllE0_EEPmJS6_EEE10hipError_tPvRmT3_T4_T5_T6_T7_T9_mT8_P12ihipStream_tbDpT10_ENKUlT_T0_E_clISt17integral_constantIbLb0EES1B_IbLb1EEEEDaS17_S18_EUlS17_E_NS1_11comp_targetILNS1_3genE9ELNS1_11target_archE1100ELNS1_3gpuE3ELNS1_3repE0EEENS1_30default_config_static_selectorELNS0_4arch9wavefront6targetE1EEEvT1_
    .private_segment_fixed_size: 0
    .sgpr_count:     4
    .sgpr_spill_count: 0
    .symbol:         _ZN7rocprim17ROCPRIM_400000_NS6detail17trampoline_kernelINS0_14default_configENS1_25partition_config_selectorILNS1_17partition_subalgoE8ElNS0_10empty_typeEbEEZZNS1_14partition_implILS5_8ELb0ES3_jPlPS6_PKS6_NS0_5tupleIJS9_S6_EEENSD_IJSA_SA_EEENS0_18inequality_wrapperIZN2at6native12_GLOBAL__N_124unique_dim_cuda_templateIjEESt5tupleIJNSH_6TensorESM_SM_EERKSM_lbbbEUlllE0_EEPmJS6_EEE10hipError_tPvRmT3_T4_T5_T6_T7_T9_mT8_P12ihipStream_tbDpT10_ENKUlT_T0_E_clISt17integral_constantIbLb0EES1B_IbLb1EEEEDaS17_S18_EUlS17_E_NS1_11comp_targetILNS1_3genE9ELNS1_11target_archE1100ELNS1_3gpuE3ELNS1_3repE0EEENS1_30default_config_static_selectorELNS0_4arch9wavefront6targetE1EEEvT1_.kd
    .uniform_work_group_size: 1
    .uses_dynamic_stack: false
    .vgpr_count:     0
    .vgpr_spill_count: 0
    .wavefront_size: 64
  - .agpr_count:     0
    .args:
      - .offset:         0
        .size:           136
        .value_kind:     by_value
    .group_segment_fixed_size: 0
    .kernarg_segment_align: 8
    .kernarg_segment_size: 136
    .language:       OpenCL C
    .language_version:
      - 2
      - 0
    .max_flat_workgroup_size: 512
    .name:           _ZN7rocprim17ROCPRIM_400000_NS6detail17trampoline_kernelINS0_14default_configENS1_25partition_config_selectorILNS1_17partition_subalgoE8ElNS0_10empty_typeEbEEZZNS1_14partition_implILS5_8ELb0ES3_jPlPS6_PKS6_NS0_5tupleIJS9_S6_EEENSD_IJSA_SA_EEENS0_18inequality_wrapperIZN2at6native12_GLOBAL__N_124unique_dim_cuda_templateIjEESt5tupleIJNSH_6TensorESM_SM_EERKSM_lbbbEUlllE0_EEPmJS6_EEE10hipError_tPvRmT3_T4_T5_T6_T7_T9_mT8_P12ihipStream_tbDpT10_ENKUlT_T0_E_clISt17integral_constantIbLb0EES1B_IbLb1EEEEDaS17_S18_EUlS17_E_NS1_11comp_targetILNS1_3genE8ELNS1_11target_archE1030ELNS1_3gpuE2ELNS1_3repE0EEENS1_30default_config_static_selectorELNS0_4arch9wavefront6targetE1EEEvT1_
    .private_segment_fixed_size: 0
    .sgpr_count:     4
    .sgpr_spill_count: 0
    .symbol:         _ZN7rocprim17ROCPRIM_400000_NS6detail17trampoline_kernelINS0_14default_configENS1_25partition_config_selectorILNS1_17partition_subalgoE8ElNS0_10empty_typeEbEEZZNS1_14partition_implILS5_8ELb0ES3_jPlPS6_PKS6_NS0_5tupleIJS9_S6_EEENSD_IJSA_SA_EEENS0_18inequality_wrapperIZN2at6native12_GLOBAL__N_124unique_dim_cuda_templateIjEESt5tupleIJNSH_6TensorESM_SM_EERKSM_lbbbEUlllE0_EEPmJS6_EEE10hipError_tPvRmT3_T4_T5_T6_T7_T9_mT8_P12ihipStream_tbDpT10_ENKUlT_T0_E_clISt17integral_constantIbLb0EES1B_IbLb1EEEEDaS17_S18_EUlS17_E_NS1_11comp_targetILNS1_3genE8ELNS1_11target_archE1030ELNS1_3gpuE2ELNS1_3repE0EEENS1_30default_config_static_selectorELNS0_4arch9wavefront6targetE1EEEvT1_.kd
    .uniform_work_group_size: 1
    .uses_dynamic_stack: false
    .vgpr_count:     0
    .vgpr_spill_count: 0
    .wavefront_size: 64
  - .agpr_count:     0
    .args:
      - .offset:         0
        .size:           120
        .value_kind:     by_value
    .group_segment_fixed_size: 0
    .kernarg_segment_align: 8
    .kernarg_segment_size: 120
    .language:       OpenCL C
    .language_version:
      - 2
      - 0
    .max_flat_workgroup_size: 128
    .name:           _ZN7rocprim17ROCPRIM_400000_NS6detail17trampoline_kernelINS0_14default_configENS1_25partition_config_selectorILNS1_17partition_subalgoE9EllbEEZZNS1_14partition_implILS5_9ELb0ES3_jPlS8_PNS0_10empty_typeENS0_5tupleIJS8_S9_EEENSB_IJS8_SA_EEENS0_18inequality_wrapperIZN2at6native12_GLOBAL__N_124unique_dim_cuda_templateIjEESt5tupleIJNSF_6TensorESK_SK_EERKSK_lbbbEUlllE0_EEPmJS9_EEE10hipError_tPvRmT3_T4_T5_T6_T7_T9_mT8_P12ihipStream_tbDpT10_ENKUlT_T0_E_clISt17integral_constantIbLb0EES1A_EEDaS15_S16_EUlS15_E_NS1_11comp_targetILNS1_3genE0ELNS1_11target_archE4294967295ELNS1_3gpuE0ELNS1_3repE0EEENS1_30default_config_static_selectorELNS0_4arch9wavefront6targetE1EEEvT1_
    .private_segment_fixed_size: 0
    .sgpr_count:     4
    .sgpr_spill_count: 0
    .symbol:         _ZN7rocprim17ROCPRIM_400000_NS6detail17trampoline_kernelINS0_14default_configENS1_25partition_config_selectorILNS1_17partition_subalgoE9EllbEEZZNS1_14partition_implILS5_9ELb0ES3_jPlS8_PNS0_10empty_typeENS0_5tupleIJS8_S9_EEENSB_IJS8_SA_EEENS0_18inequality_wrapperIZN2at6native12_GLOBAL__N_124unique_dim_cuda_templateIjEESt5tupleIJNSF_6TensorESK_SK_EERKSK_lbbbEUlllE0_EEPmJS9_EEE10hipError_tPvRmT3_T4_T5_T6_T7_T9_mT8_P12ihipStream_tbDpT10_ENKUlT_T0_E_clISt17integral_constantIbLb0EES1A_EEDaS15_S16_EUlS15_E_NS1_11comp_targetILNS1_3genE0ELNS1_11target_archE4294967295ELNS1_3gpuE0ELNS1_3repE0EEENS1_30default_config_static_selectorELNS0_4arch9wavefront6targetE1EEEvT1_.kd
    .uniform_work_group_size: 1
    .uses_dynamic_stack: false
    .vgpr_count:     0
    .vgpr_spill_count: 0
    .wavefront_size: 64
  - .agpr_count:     0
    .args:
      - .offset:         0
        .size:           120
        .value_kind:     by_value
    .group_segment_fixed_size: 0
    .kernarg_segment_align: 8
    .kernarg_segment_size: 120
    .language:       OpenCL C
    .language_version:
      - 2
      - 0
    .max_flat_workgroup_size: 512
    .name:           _ZN7rocprim17ROCPRIM_400000_NS6detail17trampoline_kernelINS0_14default_configENS1_25partition_config_selectorILNS1_17partition_subalgoE9EllbEEZZNS1_14partition_implILS5_9ELb0ES3_jPlS8_PNS0_10empty_typeENS0_5tupleIJS8_S9_EEENSB_IJS8_SA_EEENS0_18inequality_wrapperIZN2at6native12_GLOBAL__N_124unique_dim_cuda_templateIjEESt5tupleIJNSF_6TensorESK_SK_EERKSK_lbbbEUlllE0_EEPmJS9_EEE10hipError_tPvRmT3_T4_T5_T6_T7_T9_mT8_P12ihipStream_tbDpT10_ENKUlT_T0_E_clISt17integral_constantIbLb0EES1A_EEDaS15_S16_EUlS15_E_NS1_11comp_targetILNS1_3genE5ELNS1_11target_archE942ELNS1_3gpuE9ELNS1_3repE0EEENS1_30default_config_static_selectorELNS0_4arch9wavefront6targetE1EEEvT1_
    .private_segment_fixed_size: 0
    .sgpr_count:     4
    .sgpr_spill_count: 0
    .symbol:         _ZN7rocprim17ROCPRIM_400000_NS6detail17trampoline_kernelINS0_14default_configENS1_25partition_config_selectorILNS1_17partition_subalgoE9EllbEEZZNS1_14partition_implILS5_9ELb0ES3_jPlS8_PNS0_10empty_typeENS0_5tupleIJS8_S9_EEENSB_IJS8_SA_EEENS0_18inequality_wrapperIZN2at6native12_GLOBAL__N_124unique_dim_cuda_templateIjEESt5tupleIJNSF_6TensorESK_SK_EERKSK_lbbbEUlllE0_EEPmJS9_EEE10hipError_tPvRmT3_T4_T5_T6_T7_T9_mT8_P12ihipStream_tbDpT10_ENKUlT_T0_E_clISt17integral_constantIbLb0EES1A_EEDaS15_S16_EUlS15_E_NS1_11comp_targetILNS1_3genE5ELNS1_11target_archE942ELNS1_3gpuE9ELNS1_3repE0EEENS1_30default_config_static_selectorELNS0_4arch9wavefront6targetE1EEEvT1_.kd
    .uniform_work_group_size: 1
    .uses_dynamic_stack: false
    .vgpr_count:     0
    .vgpr_spill_count: 0
    .wavefront_size: 64
  - .agpr_count:     0
    .args:
      - .offset:         0
        .size:           120
        .value_kind:     by_value
    .group_segment_fixed_size: 4236
    .kernarg_segment_align: 8
    .kernarg_segment_size: 120
    .language:       OpenCL C
    .language_version:
      - 2
      - 0
    .max_flat_workgroup_size: 128
    .name:           _ZN7rocprim17ROCPRIM_400000_NS6detail17trampoline_kernelINS0_14default_configENS1_25partition_config_selectorILNS1_17partition_subalgoE9EllbEEZZNS1_14partition_implILS5_9ELb0ES3_jPlS8_PNS0_10empty_typeENS0_5tupleIJS8_S9_EEENSB_IJS8_SA_EEENS0_18inequality_wrapperIZN2at6native12_GLOBAL__N_124unique_dim_cuda_templateIjEESt5tupleIJNSF_6TensorESK_SK_EERKSK_lbbbEUlllE0_EEPmJS9_EEE10hipError_tPvRmT3_T4_T5_T6_T7_T9_mT8_P12ihipStream_tbDpT10_ENKUlT_T0_E_clISt17integral_constantIbLb0EES1A_EEDaS15_S16_EUlS15_E_NS1_11comp_targetILNS1_3genE4ELNS1_11target_archE910ELNS1_3gpuE8ELNS1_3repE0EEENS1_30default_config_static_selectorELNS0_4arch9wavefront6targetE1EEEvT1_
    .private_segment_fixed_size: 0
    .sgpr_count:     50
    .sgpr_spill_count: 0
    .symbol:         _ZN7rocprim17ROCPRIM_400000_NS6detail17trampoline_kernelINS0_14default_configENS1_25partition_config_selectorILNS1_17partition_subalgoE9EllbEEZZNS1_14partition_implILS5_9ELb0ES3_jPlS8_PNS0_10empty_typeENS0_5tupleIJS8_S9_EEENSB_IJS8_SA_EEENS0_18inequality_wrapperIZN2at6native12_GLOBAL__N_124unique_dim_cuda_templateIjEESt5tupleIJNSF_6TensorESK_SK_EERKSK_lbbbEUlllE0_EEPmJS9_EEE10hipError_tPvRmT3_T4_T5_T6_T7_T9_mT8_P12ihipStream_tbDpT10_ENKUlT_T0_E_clISt17integral_constantIbLb0EES1A_EEDaS15_S16_EUlS15_E_NS1_11comp_targetILNS1_3genE4ELNS1_11target_archE910ELNS1_3gpuE8ELNS1_3repE0EEENS1_30default_config_static_selectorELNS0_4arch9wavefront6targetE1EEEvT1_.kd
    .uniform_work_group_size: 1
    .uses_dynamic_stack: false
    .vgpr_count:     50
    .vgpr_spill_count: 0
    .wavefront_size: 64
  - .agpr_count:     0
    .args:
      - .offset:         0
        .size:           120
        .value_kind:     by_value
    .group_segment_fixed_size: 0
    .kernarg_segment_align: 8
    .kernarg_segment_size: 120
    .language:       OpenCL C
    .language_version:
      - 2
      - 0
    .max_flat_workgroup_size: 128
    .name:           _ZN7rocprim17ROCPRIM_400000_NS6detail17trampoline_kernelINS0_14default_configENS1_25partition_config_selectorILNS1_17partition_subalgoE9EllbEEZZNS1_14partition_implILS5_9ELb0ES3_jPlS8_PNS0_10empty_typeENS0_5tupleIJS8_S9_EEENSB_IJS8_SA_EEENS0_18inequality_wrapperIZN2at6native12_GLOBAL__N_124unique_dim_cuda_templateIjEESt5tupleIJNSF_6TensorESK_SK_EERKSK_lbbbEUlllE0_EEPmJS9_EEE10hipError_tPvRmT3_T4_T5_T6_T7_T9_mT8_P12ihipStream_tbDpT10_ENKUlT_T0_E_clISt17integral_constantIbLb0EES1A_EEDaS15_S16_EUlS15_E_NS1_11comp_targetILNS1_3genE3ELNS1_11target_archE908ELNS1_3gpuE7ELNS1_3repE0EEENS1_30default_config_static_selectorELNS0_4arch9wavefront6targetE1EEEvT1_
    .private_segment_fixed_size: 0
    .sgpr_count:     4
    .sgpr_spill_count: 0
    .symbol:         _ZN7rocprim17ROCPRIM_400000_NS6detail17trampoline_kernelINS0_14default_configENS1_25partition_config_selectorILNS1_17partition_subalgoE9EllbEEZZNS1_14partition_implILS5_9ELb0ES3_jPlS8_PNS0_10empty_typeENS0_5tupleIJS8_S9_EEENSB_IJS8_SA_EEENS0_18inequality_wrapperIZN2at6native12_GLOBAL__N_124unique_dim_cuda_templateIjEESt5tupleIJNSF_6TensorESK_SK_EERKSK_lbbbEUlllE0_EEPmJS9_EEE10hipError_tPvRmT3_T4_T5_T6_T7_T9_mT8_P12ihipStream_tbDpT10_ENKUlT_T0_E_clISt17integral_constantIbLb0EES1A_EEDaS15_S16_EUlS15_E_NS1_11comp_targetILNS1_3genE3ELNS1_11target_archE908ELNS1_3gpuE7ELNS1_3repE0EEENS1_30default_config_static_selectorELNS0_4arch9wavefront6targetE1EEEvT1_.kd
    .uniform_work_group_size: 1
    .uses_dynamic_stack: false
    .vgpr_count:     0
    .vgpr_spill_count: 0
    .wavefront_size: 64
  - .agpr_count:     0
    .args:
      - .offset:         0
        .size:           120
        .value_kind:     by_value
    .group_segment_fixed_size: 0
    .kernarg_segment_align: 8
    .kernarg_segment_size: 120
    .language:       OpenCL C
    .language_version:
      - 2
      - 0
    .max_flat_workgroup_size: 192
    .name:           _ZN7rocprim17ROCPRIM_400000_NS6detail17trampoline_kernelINS0_14default_configENS1_25partition_config_selectorILNS1_17partition_subalgoE9EllbEEZZNS1_14partition_implILS5_9ELb0ES3_jPlS8_PNS0_10empty_typeENS0_5tupleIJS8_S9_EEENSB_IJS8_SA_EEENS0_18inequality_wrapperIZN2at6native12_GLOBAL__N_124unique_dim_cuda_templateIjEESt5tupleIJNSF_6TensorESK_SK_EERKSK_lbbbEUlllE0_EEPmJS9_EEE10hipError_tPvRmT3_T4_T5_T6_T7_T9_mT8_P12ihipStream_tbDpT10_ENKUlT_T0_E_clISt17integral_constantIbLb0EES1A_EEDaS15_S16_EUlS15_E_NS1_11comp_targetILNS1_3genE2ELNS1_11target_archE906ELNS1_3gpuE6ELNS1_3repE0EEENS1_30default_config_static_selectorELNS0_4arch9wavefront6targetE1EEEvT1_
    .private_segment_fixed_size: 0
    .sgpr_count:     4
    .sgpr_spill_count: 0
    .symbol:         _ZN7rocprim17ROCPRIM_400000_NS6detail17trampoline_kernelINS0_14default_configENS1_25partition_config_selectorILNS1_17partition_subalgoE9EllbEEZZNS1_14partition_implILS5_9ELb0ES3_jPlS8_PNS0_10empty_typeENS0_5tupleIJS8_S9_EEENSB_IJS8_SA_EEENS0_18inequality_wrapperIZN2at6native12_GLOBAL__N_124unique_dim_cuda_templateIjEESt5tupleIJNSF_6TensorESK_SK_EERKSK_lbbbEUlllE0_EEPmJS9_EEE10hipError_tPvRmT3_T4_T5_T6_T7_T9_mT8_P12ihipStream_tbDpT10_ENKUlT_T0_E_clISt17integral_constantIbLb0EES1A_EEDaS15_S16_EUlS15_E_NS1_11comp_targetILNS1_3genE2ELNS1_11target_archE906ELNS1_3gpuE6ELNS1_3repE0EEENS1_30default_config_static_selectorELNS0_4arch9wavefront6targetE1EEEvT1_.kd
    .uniform_work_group_size: 1
    .uses_dynamic_stack: false
    .vgpr_count:     0
    .vgpr_spill_count: 0
    .wavefront_size: 64
  - .agpr_count:     0
    .args:
      - .offset:         0
        .size:           120
        .value_kind:     by_value
    .group_segment_fixed_size: 0
    .kernarg_segment_align: 8
    .kernarg_segment_size: 120
    .language:       OpenCL C
    .language_version:
      - 2
      - 0
    .max_flat_workgroup_size: 384
    .name:           _ZN7rocprim17ROCPRIM_400000_NS6detail17trampoline_kernelINS0_14default_configENS1_25partition_config_selectorILNS1_17partition_subalgoE9EllbEEZZNS1_14partition_implILS5_9ELb0ES3_jPlS8_PNS0_10empty_typeENS0_5tupleIJS8_S9_EEENSB_IJS8_SA_EEENS0_18inequality_wrapperIZN2at6native12_GLOBAL__N_124unique_dim_cuda_templateIjEESt5tupleIJNSF_6TensorESK_SK_EERKSK_lbbbEUlllE0_EEPmJS9_EEE10hipError_tPvRmT3_T4_T5_T6_T7_T9_mT8_P12ihipStream_tbDpT10_ENKUlT_T0_E_clISt17integral_constantIbLb0EES1A_EEDaS15_S16_EUlS15_E_NS1_11comp_targetILNS1_3genE10ELNS1_11target_archE1200ELNS1_3gpuE4ELNS1_3repE0EEENS1_30default_config_static_selectorELNS0_4arch9wavefront6targetE1EEEvT1_
    .private_segment_fixed_size: 0
    .sgpr_count:     4
    .sgpr_spill_count: 0
    .symbol:         _ZN7rocprim17ROCPRIM_400000_NS6detail17trampoline_kernelINS0_14default_configENS1_25partition_config_selectorILNS1_17partition_subalgoE9EllbEEZZNS1_14partition_implILS5_9ELb0ES3_jPlS8_PNS0_10empty_typeENS0_5tupleIJS8_S9_EEENSB_IJS8_SA_EEENS0_18inequality_wrapperIZN2at6native12_GLOBAL__N_124unique_dim_cuda_templateIjEESt5tupleIJNSF_6TensorESK_SK_EERKSK_lbbbEUlllE0_EEPmJS9_EEE10hipError_tPvRmT3_T4_T5_T6_T7_T9_mT8_P12ihipStream_tbDpT10_ENKUlT_T0_E_clISt17integral_constantIbLb0EES1A_EEDaS15_S16_EUlS15_E_NS1_11comp_targetILNS1_3genE10ELNS1_11target_archE1200ELNS1_3gpuE4ELNS1_3repE0EEENS1_30default_config_static_selectorELNS0_4arch9wavefront6targetE1EEEvT1_.kd
    .uniform_work_group_size: 1
    .uses_dynamic_stack: false
    .vgpr_count:     0
    .vgpr_spill_count: 0
    .wavefront_size: 64
  - .agpr_count:     0
    .args:
      - .offset:         0
        .size:           120
        .value_kind:     by_value
    .group_segment_fixed_size: 0
    .kernarg_segment_align: 8
    .kernarg_segment_size: 120
    .language:       OpenCL C
    .language_version:
      - 2
      - 0
    .max_flat_workgroup_size: 512
    .name:           _ZN7rocprim17ROCPRIM_400000_NS6detail17trampoline_kernelINS0_14default_configENS1_25partition_config_selectorILNS1_17partition_subalgoE9EllbEEZZNS1_14partition_implILS5_9ELb0ES3_jPlS8_PNS0_10empty_typeENS0_5tupleIJS8_S9_EEENSB_IJS8_SA_EEENS0_18inequality_wrapperIZN2at6native12_GLOBAL__N_124unique_dim_cuda_templateIjEESt5tupleIJNSF_6TensorESK_SK_EERKSK_lbbbEUlllE0_EEPmJS9_EEE10hipError_tPvRmT3_T4_T5_T6_T7_T9_mT8_P12ihipStream_tbDpT10_ENKUlT_T0_E_clISt17integral_constantIbLb0EES1A_EEDaS15_S16_EUlS15_E_NS1_11comp_targetILNS1_3genE9ELNS1_11target_archE1100ELNS1_3gpuE3ELNS1_3repE0EEENS1_30default_config_static_selectorELNS0_4arch9wavefront6targetE1EEEvT1_
    .private_segment_fixed_size: 0
    .sgpr_count:     4
    .sgpr_spill_count: 0
    .symbol:         _ZN7rocprim17ROCPRIM_400000_NS6detail17trampoline_kernelINS0_14default_configENS1_25partition_config_selectorILNS1_17partition_subalgoE9EllbEEZZNS1_14partition_implILS5_9ELb0ES3_jPlS8_PNS0_10empty_typeENS0_5tupleIJS8_S9_EEENSB_IJS8_SA_EEENS0_18inequality_wrapperIZN2at6native12_GLOBAL__N_124unique_dim_cuda_templateIjEESt5tupleIJNSF_6TensorESK_SK_EERKSK_lbbbEUlllE0_EEPmJS9_EEE10hipError_tPvRmT3_T4_T5_T6_T7_T9_mT8_P12ihipStream_tbDpT10_ENKUlT_T0_E_clISt17integral_constantIbLb0EES1A_EEDaS15_S16_EUlS15_E_NS1_11comp_targetILNS1_3genE9ELNS1_11target_archE1100ELNS1_3gpuE3ELNS1_3repE0EEENS1_30default_config_static_selectorELNS0_4arch9wavefront6targetE1EEEvT1_.kd
    .uniform_work_group_size: 1
    .uses_dynamic_stack: false
    .vgpr_count:     0
    .vgpr_spill_count: 0
    .wavefront_size: 64
  - .agpr_count:     0
    .args:
      - .offset:         0
        .size:           120
        .value_kind:     by_value
    .group_segment_fixed_size: 0
    .kernarg_segment_align: 8
    .kernarg_segment_size: 120
    .language:       OpenCL C
    .language_version:
      - 2
      - 0
    .max_flat_workgroup_size: 512
    .name:           _ZN7rocprim17ROCPRIM_400000_NS6detail17trampoline_kernelINS0_14default_configENS1_25partition_config_selectorILNS1_17partition_subalgoE9EllbEEZZNS1_14partition_implILS5_9ELb0ES3_jPlS8_PNS0_10empty_typeENS0_5tupleIJS8_S9_EEENSB_IJS8_SA_EEENS0_18inequality_wrapperIZN2at6native12_GLOBAL__N_124unique_dim_cuda_templateIjEESt5tupleIJNSF_6TensorESK_SK_EERKSK_lbbbEUlllE0_EEPmJS9_EEE10hipError_tPvRmT3_T4_T5_T6_T7_T9_mT8_P12ihipStream_tbDpT10_ENKUlT_T0_E_clISt17integral_constantIbLb0EES1A_EEDaS15_S16_EUlS15_E_NS1_11comp_targetILNS1_3genE8ELNS1_11target_archE1030ELNS1_3gpuE2ELNS1_3repE0EEENS1_30default_config_static_selectorELNS0_4arch9wavefront6targetE1EEEvT1_
    .private_segment_fixed_size: 0
    .sgpr_count:     4
    .sgpr_spill_count: 0
    .symbol:         _ZN7rocprim17ROCPRIM_400000_NS6detail17trampoline_kernelINS0_14default_configENS1_25partition_config_selectorILNS1_17partition_subalgoE9EllbEEZZNS1_14partition_implILS5_9ELb0ES3_jPlS8_PNS0_10empty_typeENS0_5tupleIJS8_S9_EEENSB_IJS8_SA_EEENS0_18inequality_wrapperIZN2at6native12_GLOBAL__N_124unique_dim_cuda_templateIjEESt5tupleIJNSF_6TensorESK_SK_EERKSK_lbbbEUlllE0_EEPmJS9_EEE10hipError_tPvRmT3_T4_T5_T6_T7_T9_mT8_P12ihipStream_tbDpT10_ENKUlT_T0_E_clISt17integral_constantIbLb0EES1A_EEDaS15_S16_EUlS15_E_NS1_11comp_targetILNS1_3genE8ELNS1_11target_archE1030ELNS1_3gpuE2ELNS1_3repE0EEENS1_30default_config_static_selectorELNS0_4arch9wavefront6targetE1EEEvT1_.kd
    .uniform_work_group_size: 1
    .uses_dynamic_stack: false
    .vgpr_count:     0
    .vgpr_spill_count: 0
    .wavefront_size: 64
  - .agpr_count:     0
    .args:
      - .offset:         0
        .size:           136
        .value_kind:     by_value
    .group_segment_fixed_size: 0
    .kernarg_segment_align: 8
    .kernarg_segment_size: 136
    .language:       OpenCL C
    .language_version:
      - 2
      - 0
    .max_flat_workgroup_size: 128
    .name:           _ZN7rocprim17ROCPRIM_400000_NS6detail17trampoline_kernelINS0_14default_configENS1_25partition_config_selectorILNS1_17partition_subalgoE9EllbEEZZNS1_14partition_implILS5_9ELb0ES3_jPlS8_PNS0_10empty_typeENS0_5tupleIJS8_S9_EEENSB_IJS8_SA_EEENS0_18inequality_wrapperIZN2at6native12_GLOBAL__N_124unique_dim_cuda_templateIjEESt5tupleIJNSF_6TensorESK_SK_EERKSK_lbbbEUlllE0_EEPmJS9_EEE10hipError_tPvRmT3_T4_T5_T6_T7_T9_mT8_P12ihipStream_tbDpT10_ENKUlT_T0_E_clISt17integral_constantIbLb1EES1A_EEDaS15_S16_EUlS15_E_NS1_11comp_targetILNS1_3genE0ELNS1_11target_archE4294967295ELNS1_3gpuE0ELNS1_3repE0EEENS1_30default_config_static_selectorELNS0_4arch9wavefront6targetE1EEEvT1_
    .private_segment_fixed_size: 0
    .sgpr_count:     4
    .sgpr_spill_count: 0
    .symbol:         _ZN7rocprim17ROCPRIM_400000_NS6detail17trampoline_kernelINS0_14default_configENS1_25partition_config_selectorILNS1_17partition_subalgoE9EllbEEZZNS1_14partition_implILS5_9ELb0ES3_jPlS8_PNS0_10empty_typeENS0_5tupleIJS8_S9_EEENSB_IJS8_SA_EEENS0_18inequality_wrapperIZN2at6native12_GLOBAL__N_124unique_dim_cuda_templateIjEESt5tupleIJNSF_6TensorESK_SK_EERKSK_lbbbEUlllE0_EEPmJS9_EEE10hipError_tPvRmT3_T4_T5_T6_T7_T9_mT8_P12ihipStream_tbDpT10_ENKUlT_T0_E_clISt17integral_constantIbLb1EES1A_EEDaS15_S16_EUlS15_E_NS1_11comp_targetILNS1_3genE0ELNS1_11target_archE4294967295ELNS1_3gpuE0ELNS1_3repE0EEENS1_30default_config_static_selectorELNS0_4arch9wavefront6targetE1EEEvT1_.kd
    .uniform_work_group_size: 1
    .uses_dynamic_stack: false
    .vgpr_count:     0
    .vgpr_spill_count: 0
    .wavefront_size: 64
  - .agpr_count:     0
    .args:
      - .offset:         0
        .size:           136
        .value_kind:     by_value
    .group_segment_fixed_size: 0
    .kernarg_segment_align: 8
    .kernarg_segment_size: 136
    .language:       OpenCL C
    .language_version:
      - 2
      - 0
    .max_flat_workgroup_size: 512
    .name:           _ZN7rocprim17ROCPRIM_400000_NS6detail17trampoline_kernelINS0_14default_configENS1_25partition_config_selectorILNS1_17partition_subalgoE9EllbEEZZNS1_14partition_implILS5_9ELb0ES3_jPlS8_PNS0_10empty_typeENS0_5tupleIJS8_S9_EEENSB_IJS8_SA_EEENS0_18inequality_wrapperIZN2at6native12_GLOBAL__N_124unique_dim_cuda_templateIjEESt5tupleIJNSF_6TensorESK_SK_EERKSK_lbbbEUlllE0_EEPmJS9_EEE10hipError_tPvRmT3_T4_T5_T6_T7_T9_mT8_P12ihipStream_tbDpT10_ENKUlT_T0_E_clISt17integral_constantIbLb1EES1A_EEDaS15_S16_EUlS15_E_NS1_11comp_targetILNS1_3genE5ELNS1_11target_archE942ELNS1_3gpuE9ELNS1_3repE0EEENS1_30default_config_static_selectorELNS0_4arch9wavefront6targetE1EEEvT1_
    .private_segment_fixed_size: 0
    .sgpr_count:     4
    .sgpr_spill_count: 0
    .symbol:         _ZN7rocprim17ROCPRIM_400000_NS6detail17trampoline_kernelINS0_14default_configENS1_25partition_config_selectorILNS1_17partition_subalgoE9EllbEEZZNS1_14partition_implILS5_9ELb0ES3_jPlS8_PNS0_10empty_typeENS0_5tupleIJS8_S9_EEENSB_IJS8_SA_EEENS0_18inequality_wrapperIZN2at6native12_GLOBAL__N_124unique_dim_cuda_templateIjEESt5tupleIJNSF_6TensorESK_SK_EERKSK_lbbbEUlllE0_EEPmJS9_EEE10hipError_tPvRmT3_T4_T5_T6_T7_T9_mT8_P12ihipStream_tbDpT10_ENKUlT_T0_E_clISt17integral_constantIbLb1EES1A_EEDaS15_S16_EUlS15_E_NS1_11comp_targetILNS1_3genE5ELNS1_11target_archE942ELNS1_3gpuE9ELNS1_3repE0EEENS1_30default_config_static_selectorELNS0_4arch9wavefront6targetE1EEEvT1_.kd
    .uniform_work_group_size: 1
    .uses_dynamic_stack: false
    .vgpr_count:     0
    .vgpr_spill_count: 0
    .wavefront_size: 64
  - .agpr_count:     0
    .args:
      - .offset:         0
        .size:           136
        .value_kind:     by_value
    .group_segment_fixed_size: 4236
    .kernarg_segment_align: 8
    .kernarg_segment_size: 136
    .language:       OpenCL C
    .language_version:
      - 2
      - 0
    .max_flat_workgroup_size: 128
    .name:           _ZN7rocprim17ROCPRIM_400000_NS6detail17trampoline_kernelINS0_14default_configENS1_25partition_config_selectorILNS1_17partition_subalgoE9EllbEEZZNS1_14partition_implILS5_9ELb0ES3_jPlS8_PNS0_10empty_typeENS0_5tupleIJS8_S9_EEENSB_IJS8_SA_EEENS0_18inequality_wrapperIZN2at6native12_GLOBAL__N_124unique_dim_cuda_templateIjEESt5tupleIJNSF_6TensorESK_SK_EERKSK_lbbbEUlllE0_EEPmJS9_EEE10hipError_tPvRmT3_T4_T5_T6_T7_T9_mT8_P12ihipStream_tbDpT10_ENKUlT_T0_E_clISt17integral_constantIbLb1EES1A_EEDaS15_S16_EUlS15_E_NS1_11comp_targetILNS1_3genE4ELNS1_11target_archE910ELNS1_3gpuE8ELNS1_3repE0EEENS1_30default_config_static_selectorELNS0_4arch9wavefront6targetE1EEEvT1_
    .private_segment_fixed_size: 0
    .sgpr_count:     56
    .sgpr_spill_count: 0
    .symbol:         _ZN7rocprim17ROCPRIM_400000_NS6detail17trampoline_kernelINS0_14default_configENS1_25partition_config_selectorILNS1_17partition_subalgoE9EllbEEZZNS1_14partition_implILS5_9ELb0ES3_jPlS8_PNS0_10empty_typeENS0_5tupleIJS8_S9_EEENSB_IJS8_SA_EEENS0_18inequality_wrapperIZN2at6native12_GLOBAL__N_124unique_dim_cuda_templateIjEESt5tupleIJNSF_6TensorESK_SK_EERKSK_lbbbEUlllE0_EEPmJS9_EEE10hipError_tPvRmT3_T4_T5_T6_T7_T9_mT8_P12ihipStream_tbDpT10_ENKUlT_T0_E_clISt17integral_constantIbLb1EES1A_EEDaS15_S16_EUlS15_E_NS1_11comp_targetILNS1_3genE4ELNS1_11target_archE910ELNS1_3gpuE8ELNS1_3repE0EEENS1_30default_config_static_selectorELNS0_4arch9wavefront6targetE1EEEvT1_.kd
    .uniform_work_group_size: 1
    .uses_dynamic_stack: false
    .vgpr_count:     50
    .vgpr_spill_count: 0
    .wavefront_size: 64
  - .agpr_count:     0
    .args:
      - .offset:         0
        .size:           136
        .value_kind:     by_value
    .group_segment_fixed_size: 0
    .kernarg_segment_align: 8
    .kernarg_segment_size: 136
    .language:       OpenCL C
    .language_version:
      - 2
      - 0
    .max_flat_workgroup_size: 128
    .name:           _ZN7rocprim17ROCPRIM_400000_NS6detail17trampoline_kernelINS0_14default_configENS1_25partition_config_selectorILNS1_17partition_subalgoE9EllbEEZZNS1_14partition_implILS5_9ELb0ES3_jPlS8_PNS0_10empty_typeENS0_5tupleIJS8_S9_EEENSB_IJS8_SA_EEENS0_18inequality_wrapperIZN2at6native12_GLOBAL__N_124unique_dim_cuda_templateIjEESt5tupleIJNSF_6TensorESK_SK_EERKSK_lbbbEUlllE0_EEPmJS9_EEE10hipError_tPvRmT3_T4_T5_T6_T7_T9_mT8_P12ihipStream_tbDpT10_ENKUlT_T0_E_clISt17integral_constantIbLb1EES1A_EEDaS15_S16_EUlS15_E_NS1_11comp_targetILNS1_3genE3ELNS1_11target_archE908ELNS1_3gpuE7ELNS1_3repE0EEENS1_30default_config_static_selectorELNS0_4arch9wavefront6targetE1EEEvT1_
    .private_segment_fixed_size: 0
    .sgpr_count:     4
    .sgpr_spill_count: 0
    .symbol:         _ZN7rocprim17ROCPRIM_400000_NS6detail17trampoline_kernelINS0_14default_configENS1_25partition_config_selectorILNS1_17partition_subalgoE9EllbEEZZNS1_14partition_implILS5_9ELb0ES3_jPlS8_PNS0_10empty_typeENS0_5tupleIJS8_S9_EEENSB_IJS8_SA_EEENS0_18inequality_wrapperIZN2at6native12_GLOBAL__N_124unique_dim_cuda_templateIjEESt5tupleIJNSF_6TensorESK_SK_EERKSK_lbbbEUlllE0_EEPmJS9_EEE10hipError_tPvRmT3_T4_T5_T6_T7_T9_mT8_P12ihipStream_tbDpT10_ENKUlT_T0_E_clISt17integral_constantIbLb1EES1A_EEDaS15_S16_EUlS15_E_NS1_11comp_targetILNS1_3genE3ELNS1_11target_archE908ELNS1_3gpuE7ELNS1_3repE0EEENS1_30default_config_static_selectorELNS0_4arch9wavefront6targetE1EEEvT1_.kd
    .uniform_work_group_size: 1
    .uses_dynamic_stack: false
    .vgpr_count:     0
    .vgpr_spill_count: 0
    .wavefront_size: 64
  - .agpr_count:     0
    .args:
      - .offset:         0
        .size:           136
        .value_kind:     by_value
    .group_segment_fixed_size: 0
    .kernarg_segment_align: 8
    .kernarg_segment_size: 136
    .language:       OpenCL C
    .language_version:
      - 2
      - 0
    .max_flat_workgroup_size: 192
    .name:           _ZN7rocprim17ROCPRIM_400000_NS6detail17trampoline_kernelINS0_14default_configENS1_25partition_config_selectorILNS1_17partition_subalgoE9EllbEEZZNS1_14partition_implILS5_9ELb0ES3_jPlS8_PNS0_10empty_typeENS0_5tupleIJS8_S9_EEENSB_IJS8_SA_EEENS0_18inequality_wrapperIZN2at6native12_GLOBAL__N_124unique_dim_cuda_templateIjEESt5tupleIJNSF_6TensorESK_SK_EERKSK_lbbbEUlllE0_EEPmJS9_EEE10hipError_tPvRmT3_T4_T5_T6_T7_T9_mT8_P12ihipStream_tbDpT10_ENKUlT_T0_E_clISt17integral_constantIbLb1EES1A_EEDaS15_S16_EUlS15_E_NS1_11comp_targetILNS1_3genE2ELNS1_11target_archE906ELNS1_3gpuE6ELNS1_3repE0EEENS1_30default_config_static_selectorELNS0_4arch9wavefront6targetE1EEEvT1_
    .private_segment_fixed_size: 0
    .sgpr_count:     4
    .sgpr_spill_count: 0
    .symbol:         _ZN7rocprim17ROCPRIM_400000_NS6detail17trampoline_kernelINS0_14default_configENS1_25partition_config_selectorILNS1_17partition_subalgoE9EllbEEZZNS1_14partition_implILS5_9ELb0ES3_jPlS8_PNS0_10empty_typeENS0_5tupleIJS8_S9_EEENSB_IJS8_SA_EEENS0_18inequality_wrapperIZN2at6native12_GLOBAL__N_124unique_dim_cuda_templateIjEESt5tupleIJNSF_6TensorESK_SK_EERKSK_lbbbEUlllE0_EEPmJS9_EEE10hipError_tPvRmT3_T4_T5_T6_T7_T9_mT8_P12ihipStream_tbDpT10_ENKUlT_T0_E_clISt17integral_constantIbLb1EES1A_EEDaS15_S16_EUlS15_E_NS1_11comp_targetILNS1_3genE2ELNS1_11target_archE906ELNS1_3gpuE6ELNS1_3repE0EEENS1_30default_config_static_selectorELNS0_4arch9wavefront6targetE1EEEvT1_.kd
    .uniform_work_group_size: 1
    .uses_dynamic_stack: false
    .vgpr_count:     0
    .vgpr_spill_count: 0
    .wavefront_size: 64
  - .agpr_count:     0
    .args:
      - .offset:         0
        .size:           136
        .value_kind:     by_value
    .group_segment_fixed_size: 0
    .kernarg_segment_align: 8
    .kernarg_segment_size: 136
    .language:       OpenCL C
    .language_version:
      - 2
      - 0
    .max_flat_workgroup_size: 384
    .name:           _ZN7rocprim17ROCPRIM_400000_NS6detail17trampoline_kernelINS0_14default_configENS1_25partition_config_selectorILNS1_17partition_subalgoE9EllbEEZZNS1_14partition_implILS5_9ELb0ES3_jPlS8_PNS0_10empty_typeENS0_5tupleIJS8_S9_EEENSB_IJS8_SA_EEENS0_18inequality_wrapperIZN2at6native12_GLOBAL__N_124unique_dim_cuda_templateIjEESt5tupleIJNSF_6TensorESK_SK_EERKSK_lbbbEUlllE0_EEPmJS9_EEE10hipError_tPvRmT3_T4_T5_T6_T7_T9_mT8_P12ihipStream_tbDpT10_ENKUlT_T0_E_clISt17integral_constantIbLb1EES1A_EEDaS15_S16_EUlS15_E_NS1_11comp_targetILNS1_3genE10ELNS1_11target_archE1200ELNS1_3gpuE4ELNS1_3repE0EEENS1_30default_config_static_selectorELNS0_4arch9wavefront6targetE1EEEvT1_
    .private_segment_fixed_size: 0
    .sgpr_count:     4
    .sgpr_spill_count: 0
    .symbol:         _ZN7rocprim17ROCPRIM_400000_NS6detail17trampoline_kernelINS0_14default_configENS1_25partition_config_selectorILNS1_17partition_subalgoE9EllbEEZZNS1_14partition_implILS5_9ELb0ES3_jPlS8_PNS0_10empty_typeENS0_5tupleIJS8_S9_EEENSB_IJS8_SA_EEENS0_18inequality_wrapperIZN2at6native12_GLOBAL__N_124unique_dim_cuda_templateIjEESt5tupleIJNSF_6TensorESK_SK_EERKSK_lbbbEUlllE0_EEPmJS9_EEE10hipError_tPvRmT3_T4_T5_T6_T7_T9_mT8_P12ihipStream_tbDpT10_ENKUlT_T0_E_clISt17integral_constantIbLb1EES1A_EEDaS15_S16_EUlS15_E_NS1_11comp_targetILNS1_3genE10ELNS1_11target_archE1200ELNS1_3gpuE4ELNS1_3repE0EEENS1_30default_config_static_selectorELNS0_4arch9wavefront6targetE1EEEvT1_.kd
    .uniform_work_group_size: 1
    .uses_dynamic_stack: false
    .vgpr_count:     0
    .vgpr_spill_count: 0
    .wavefront_size: 64
  - .agpr_count:     0
    .args:
      - .offset:         0
        .size:           136
        .value_kind:     by_value
    .group_segment_fixed_size: 0
    .kernarg_segment_align: 8
    .kernarg_segment_size: 136
    .language:       OpenCL C
    .language_version:
      - 2
      - 0
    .max_flat_workgroup_size: 512
    .name:           _ZN7rocprim17ROCPRIM_400000_NS6detail17trampoline_kernelINS0_14default_configENS1_25partition_config_selectorILNS1_17partition_subalgoE9EllbEEZZNS1_14partition_implILS5_9ELb0ES3_jPlS8_PNS0_10empty_typeENS0_5tupleIJS8_S9_EEENSB_IJS8_SA_EEENS0_18inequality_wrapperIZN2at6native12_GLOBAL__N_124unique_dim_cuda_templateIjEESt5tupleIJNSF_6TensorESK_SK_EERKSK_lbbbEUlllE0_EEPmJS9_EEE10hipError_tPvRmT3_T4_T5_T6_T7_T9_mT8_P12ihipStream_tbDpT10_ENKUlT_T0_E_clISt17integral_constantIbLb1EES1A_EEDaS15_S16_EUlS15_E_NS1_11comp_targetILNS1_3genE9ELNS1_11target_archE1100ELNS1_3gpuE3ELNS1_3repE0EEENS1_30default_config_static_selectorELNS0_4arch9wavefront6targetE1EEEvT1_
    .private_segment_fixed_size: 0
    .sgpr_count:     4
    .sgpr_spill_count: 0
    .symbol:         _ZN7rocprim17ROCPRIM_400000_NS6detail17trampoline_kernelINS0_14default_configENS1_25partition_config_selectorILNS1_17partition_subalgoE9EllbEEZZNS1_14partition_implILS5_9ELb0ES3_jPlS8_PNS0_10empty_typeENS0_5tupleIJS8_S9_EEENSB_IJS8_SA_EEENS0_18inequality_wrapperIZN2at6native12_GLOBAL__N_124unique_dim_cuda_templateIjEESt5tupleIJNSF_6TensorESK_SK_EERKSK_lbbbEUlllE0_EEPmJS9_EEE10hipError_tPvRmT3_T4_T5_T6_T7_T9_mT8_P12ihipStream_tbDpT10_ENKUlT_T0_E_clISt17integral_constantIbLb1EES1A_EEDaS15_S16_EUlS15_E_NS1_11comp_targetILNS1_3genE9ELNS1_11target_archE1100ELNS1_3gpuE3ELNS1_3repE0EEENS1_30default_config_static_selectorELNS0_4arch9wavefront6targetE1EEEvT1_.kd
    .uniform_work_group_size: 1
    .uses_dynamic_stack: false
    .vgpr_count:     0
    .vgpr_spill_count: 0
    .wavefront_size: 64
  - .agpr_count:     0
    .args:
      - .offset:         0
        .size:           136
        .value_kind:     by_value
    .group_segment_fixed_size: 0
    .kernarg_segment_align: 8
    .kernarg_segment_size: 136
    .language:       OpenCL C
    .language_version:
      - 2
      - 0
    .max_flat_workgroup_size: 512
    .name:           _ZN7rocprim17ROCPRIM_400000_NS6detail17trampoline_kernelINS0_14default_configENS1_25partition_config_selectorILNS1_17partition_subalgoE9EllbEEZZNS1_14partition_implILS5_9ELb0ES3_jPlS8_PNS0_10empty_typeENS0_5tupleIJS8_S9_EEENSB_IJS8_SA_EEENS0_18inequality_wrapperIZN2at6native12_GLOBAL__N_124unique_dim_cuda_templateIjEESt5tupleIJNSF_6TensorESK_SK_EERKSK_lbbbEUlllE0_EEPmJS9_EEE10hipError_tPvRmT3_T4_T5_T6_T7_T9_mT8_P12ihipStream_tbDpT10_ENKUlT_T0_E_clISt17integral_constantIbLb1EES1A_EEDaS15_S16_EUlS15_E_NS1_11comp_targetILNS1_3genE8ELNS1_11target_archE1030ELNS1_3gpuE2ELNS1_3repE0EEENS1_30default_config_static_selectorELNS0_4arch9wavefront6targetE1EEEvT1_
    .private_segment_fixed_size: 0
    .sgpr_count:     4
    .sgpr_spill_count: 0
    .symbol:         _ZN7rocprim17ROCPRIM_400000_NS6detail17trampoline_kernelINS0_14default_configENS1_25partition_config_selectorILNS1_17partition_subalgoE9EllbEEZZNS1_14partition_implILS5_9ELb0ES3_jPlS8_PNS0_10empty_typeENS0_5tupleIJS8_S9_EEENSB_IJS8_SA_EEENS0_18inequality_wrapperIZN2at6native12_GLOBAL__N_124unique_dim_cuda_templateIjEESt5tupleIJNSF_6TensorESK_SK_EERKSK_lbbbEUlllE0_EEPmJS9_EEE10hipError_tPvRmT3_T4_T5_T6_T7_T9_mT8_P12ihipStream_tbDpT10_ENKUlT_T0_E_clISt17integral_constantIbLb1EES1A_EEDaS15_S16_EUlS15_E_NS1_11comp_targetILNS1_3genE8ELNS1_11target_archE1030ELNS1_3gpuE2ELNS1_3repE0EEENS1_30default_config_static_selectorELNS0_4arch9wavefront6targetE1EEEvT1_.kd
    .uniform_work_group_size: 1
    .uses_dynamic_stack: false
    .vgpr_count:     0
    .vgpr_spill_count: 0
    .wavefront_size: 64
  - .agpr_count:     0
    .args:
      - .offset:         0
        .size:           120
        .value_kind:     by_value
    .group_segment_fixed_size: 0
    .kernarg_segment_align: 8
    .kernarg_segment_size: 120
    .language:       OpenCL C
    .language_version:
      - 2
      - 0
    .max_flat_workgroup_size: 128
    .name:           _ZN7rocprim17ROCPRIM_400000_NS6detail17trampoline_kernelINS0_14default_configENS1_25partition_config_selectorILNS1_17partition_subalgoE9EllbEEZZNS1_14partition_implILS5_9ELb0ES3_jPlS8_PNS0_10empty_typeENS0_5tupleIJS8_S9_EEENSB_IJS8_SA_EEENS0_18inequality_wrapperIZN2at6native12_GLOBAL__N_124unique_dim_cuda_templateIjEESt5tupleIJNSF_6TensorESK_SK_EERKSK_lbbbEUlllE0_EEPmJS9_EEE10hipError_tPvRmT3_T4_T5_T6_T7_T9_mT8_P12ihipStream_tbDpT10_ENKUlT_T0_E_clISt17integral_constantIbLb1EES19_IbLb0EEEEDaS15_S16_EUlS15_E_NS1_11comp_targetILNS1_3genE0ELNS1_11target_archE4294967295ELNS1_3gpuE0ELNS1_3repE0EEENS1_30default_config_static_selectorELNS0_4arch9wavefront6targetE1EEEvT1_
    .private_segment_fixed_size: 0
    .sgpr_count:     4
    .sgpr_spill_count: 0
    .symbol:         _ZN7rocprim17ROCPRIM_400000_NS6detail17trampoline_kernelINS0_14default_configENS1_25partition_config_selectorILNS1_17partition_subalgoE9EllbEEZZNS1_14partition_implILS5_9ELb0ES3_jPlS8_PNS0_10empty_typeENS0_5tupleIJS8_S9_EEENSB_IJS8_SA_EEENS0_18inequality_wrapperIZN2at6native12_GLOBAL__N_124unique_dim_cuda_templateIjEESt5tupleIJNSF_6TensorESK_SK_EERKSK_lbbbEUlllE0_EEPmJS9_EEE10hipError_tPvRmT3_T4_T5_T6_T7_T9_mT8_P12ihipStream_tbDpT10_ENKUlT_T0_E_clISt17integral_constantIbLb1EES19_IbLb0EEEEDaS15_S16_EUlS15_E_NS1_11comp_targetILNS1_3genE0ELNS1_11target_archE4294967295ELNS1_3gpuE0ELNS1_3repE0EEENS1_30default_config_static_selectorELNS0_4arch9wavefront6targetE1EEEvT1_.kd
    .uniform_work_group_size: 1
    .uses_dynamic_stack: false
    .vgpr_count:     0
    .vgpr_spill_count: 0
    .wavefront_size: 64
  - .agpr_count:     0
    .args:
      - .offset:         0
        .size:           120
        .value_kind:     by_value
    .group_segment_fixed_size: 0
    .kernarg_segment_align: 8
    .kernarg_segment_size: 120
    .language:       OpenCL C
    .language_version:
      - 2
      - 0
    .max_flat_workgroup_size: 512
    .name:           _ZN7rocprim17ROCPRIM_400000_NS6detail17trampoline_kernelINS0_14default_configENS1_25partition_config_selectorILNS1_17partition_subalgoE9EllbEEZZNS1_14partition_implILS5_9ELb0ES3_jPlS8_PNS0_10empty_typeENS0_5tupleIJS8_S9_EEENSB_IJS8_SA_EEENS0_18inequality_wrapperIZN2at6native12_GLOBAL__N_124unique_dim_cuda_templateIjEESt5tupleIJNSF_6TensorESK_SK_EERKSK_lbbbEUlllE0_EEPmJS9_EEE10hipError_tPvRmT3_T4_T5_T6_T7_T9_mT8_P12ihipStream_tbDpT10_ENKUlT_T0_E_clISt17integral_constantIbLb1EES19_IbLb0EEEEDaS15_S16_EUlS15_E_NS1_11comp_targetILNS1_3genE5ELNS1_11target_archE942ELNS1_3gpuE9ELNS1_3repE0EEENS1_30default_config_static_selectorELNS0_4arch9wavefront6targetE1EEEvT1_
    .private_segment_fixed_size: 0
    .sgpr_count:     4
    .sgpr_spill_count: 0
    .symbol:         _ZN7rocprim17ROCPRIM_400000_NS6detail17trampoline_kernelINS0_14default_configENS1_25partition_config_selectorILNS1_17partition_subalgoE9EllbEEZZNS1_14partition_implILS5_9ELb0ES3_jPlS8_PNS0_10empty_typeENS0_5tupleIJS8_S9_EEENSB_IJS8_SA_EEENS0_18inequality_wrapperIZN2at6native12_GLOBAL__N_124unique_dim_cuda_templateIjEESt5tupleIJNSF_6TensorESK_SK_EERKSK_lbbbEUlllE0_EEPmJS9_EEE10hipError_tPvRmT3_T4_T5_T6_T7_T9_mT8_P12ihipStream_tbDpT10_ENKUlT_T0_E_clISt17integral_constantIbLb1EES19_IbLb0EEEEDaS15_S16_EUlS15_E_NS1_11comp_targetILNS1_3genE5ELNS1_11target_archE942ELNS1_3gpuE9ELNS1_3repE0EEENS1_30default_config_static_selectorELNS0_4arch9wavefront6targetE1EEEvT1_.kd
    .uniform_work_group_size: 1
    .uses_dynamic_stack: false
    .vgpr_count:     0
    .vgpr_spill_count: 0
    .wavefront_size: 64
  - .agpr_count:     0
    .args:
      - .offset:         0
        .size:           120
        .value_kind:     by_value
    .group_segment_fixed_size: 4236
    .kernarg_segment_align: 8
    .kernarg_segment_size: 120
    .language:       OpenCL C
    .language_version:
      - 2
      - 0
    .max_flat_workgroup_size: 128
    .name:           _ZN7rocprim17ROCPRIM_400000_NS6detail17trampoline_kernelINS0_14default_configENS1_25partition_config_selectorILNS1_17partition_subalgoE9EllbEEZZNS1_14partition_implILS5_9ELb0ES3_jPlS8_PNS0_10empty_typeENS0_5tupleIJS8_S9_EEENSB_IJS8_SA_EEENS0_18inequality_wrapperIZN2at6native12_GLOBAL__N_124unique_dim_cuda_templateIjEESt5tupleIJNSF_6TensorESK_SK_EERKSK_lbbbEUlllE0_EEPmJS9_EEE10hipError_tPvRmT3_T4_T5_T6_T7_T9_mT8_P12ihipStream_tbDpT10_ENKUlT_T0_E_clISt17integral_constantIbLb1EES19_IbLb0EEEEDaS15_S16_EUlS15_E_NS1_11comp_targetILNS1_3genE4ELNS1_11target_archE910ELNS1_3gpuE8ELNS1_3repE0EEENS1_30default_config_static_selectorELNS0_4arch9wavefront6targetE1EEEvT1_
    .private_segment_fixed_size: 0
    .sgpr_count:     50
    .sgpr_spill_count: 0
    .symbol:         _ZN7rocprim17ROCPRIM_400000_NS6detail17trampoline_kernelINS0_14default_configENS1_25partition_config_selectorILNS1_17partition_subalgoE9EllbEEZZNS1_14partition_implILS5_9ELb0ES3_jPlS8_PNS0_10empty_typeENS0_5tupleIJS8_S9_EEENSB_IJS8_SA_EEENS0_18inequality_wrapperIZN2at6native12_GLOBAL__N_124unique_dim_cuda_templateIjEESt5tupleIJNSF_6TensorESK_SK_EERKSK_lbbbEUlllE0_EEPmJS9_EEE10hipError_tPvRmT3_T4_T5_T6_T7_T9_mT8_P12ihipStream_tbDpT10_ENKUlT_T0_E_clISt17integral_constantIbLb1EES19_IbLb0EEEEDaS15_S16_EUlS15_E_NS1_11comp_targetILNS1_3genE4ELNS1_11target_archE910ELNS1_3gpuE8ELNS1_3repE0EEENS1_30default_config_static_selectorELNS0_4arch9wavefront6targetE1EEEvT1_.kd
    .uniform_work_group_size: 1
    .uses_dynamic_stack: false
    .vgpr_count:     50
    .vgpr_spill_count: 0
    .wavefront_size: 64
  - .agpr_count:     0
    .args:
      - .offset:         0
        .size:           120
        .value_kind:     by_value
    .group_segment_fixed_size: 0
    .kernarg_segment_align: 8
    .kernarg_segment_size: 120
    .language:       OpenCL C
    .language_version:
      - 2
      - 0
    .max_flat_workgroup_size: 128
    .name:           _ZN7rocprim17ROCPRIM_400000_NS6detail17trampoline_kernelINS0_14default_configENS1_25partition_config_selectorILNS1_17partition_subalgoE9EllbEEZZNS1_14partition_implILS5_9ELb0ES3_jPlS8_PNS0_10empty_typeENS0_5tupleIJS8_S9_EEENSB_IJS8_SA_EEENS0_18inequality_wrapperIZN2at6native12_GLOBAL__N_124unique_dim_cuda_templateIjEESt5tupleIJNSF_6TensorESK_SK_EERKSK_lbbbEUlllE0_EEPmJS9_EEE10hipError_tPvRmT3_T4_T5_T6_T7_T9_mT8_P12ihipStream_tbDpT10_ENKUlT_T0_E_clISt17integral_constantIbLb1EES19_IbLb0EEEEDaS15_S16_EUlS15_E_NS1_11comp_targetILNS1_3genE3ELNS1_11target_archE908ELNS1_3gpuE7ELNS1_3repE0EEENS1_30default_config_static_selectorELNS0_4arch9wavefront6targetE1EEEvT1_
    .private_segment_fixed_size: 0
    .sgpr_count:     4
    .sgpr_spill_count: 0
    .symbol:         _ZN7rocprim17ROCPRIM_400000_NS6detail17trampoline_kernelINS0_14default_configENS1_25partition_config_selectorILNS1_17partition_subalgoE9EllbEEZZNS1_14partition_implILS5_9ELb0ES3_jPlS8_PNS0_10empty_typeENS0_5tupleIJS8_S9_EEENSB_IJS8_SA_EEENS0_18inequality_wrapperIZN2at6native12_GLOBAL__N_124unique_dim_cuda_templateIjEESt5tupleIJNSF_6TensorESK_SK_EERKSK_lbbbEUlllE0_EEPmJS9_EEE10hipError_tPvRmT3_T4_T5_T6_T7_T9_mT8_P12ihipStream_tbDpT10_ENKUlT_T0_E_clISt17integral_constantIbLb1EES19_IbLb0EEEEDaS15_S16_EUlS15_E_NS1_11comp_targetILNS1_3genE3ELNS1_11target_archE908ELNS1_3gpuE7ELNS1_3repE0EEENS1_30default_config_static_selectorELNS0_4arch9wavefront6targetE1EEEvT1_.kd
    .uniform_work_group_size: 1
    .uses_dynamic_stack: false
    .vgpr_count:     0
    .vgpr_spill_count: 0
    .wavefront_size: 64
  - .agpr_count:     0
    .args:
      - .offset:         0
        .size:           120
        .value_kind:     by_value
    .group_segment_fixed_size: 0
    .kernarg_segment_align: 8
    .kernarg_segment_size: 120
    .language:       OpenCL C
    .language_version:
      - 2
      - 0
    .max_flat_workgroup_size: 192
    .name:           _ZN7rocprim17ROCPRIM_400000_NS6detail17trampoline_kernelINS0_14default_configENS1_25partition_config_selectorILNS1_17partition_subalgoE9EllbEEZZNS1_14partition_implILS5_9ELb0ES3_jPlS8_PNS0_10empty_typeENS0_5tupleIJS8_S9_EEENSB_IJS8_SA_EEENS0_18inequality_wrapperIZN2at6native12_GLOBAL__N_124unique_dim_cuda_templateIjEESt5tupleIJNSF_6TensorESK_SK_EERKSK_lbbbEUlllE0_EEPmJS9_EEE10hipError_tPvRmT3_T4_T5_T6_T7_T9_mT8_P12ihipStream_tbDpT10_ENKUlT_T0_E_clISt17integral_constantIbLb1EES19_IbLb0EEEEDaS15_S16_EUlS15_E_NS1_11comp_targetILNS1_3genE2ELNS1_11target_archE906ELNS1_3gpuE6ELNS1_3repE0EEENS1_30default_config_static_selectorELNS0_4arch9wavefront6targetE1EEEvT1_
    .private_segment_fixed_size: 0
    .sgpr_count:     4
    .sgpr_spill_count: 0
    .symbol:         _ZN7rocprim17ROCPRIM_400000_NS6detail17trampoline_kernelINS0_14default_configENS1_25partition_config_selectorILNS1_17partition_subalgoE9EllbEEZZNS1_14partition_implILS5_9ELb0ES3_jPlS8_PNS0_10empty_typeENS0_5tupleIJS8_S9_EEENSB_IJS8_SA_EEENS0_18inequality_wrapperIZN2at6native12_GLOBAL__N_124unique_dim_cuda_templateIjEESt5tupleIJNSF_6TensorESK_SK_EERKSK_lbbbEUlllE0_EEPmJS9_EEE10hipError_tPvRmT3_T4_T5_T6_T7_T9_mT8_P12ihipStream_tbDpT10_ENKUlT_T0_E_clISt17integral_constantIbLb1EES19_IbLb0EEEEDaS15_S16_EUlS15_E_NS1_11comp_targetILNS1_3genE2ELNS1_11target_archE906ELNS1_3gpuE6ELNS1_3repE0EEENS1_30default_config_static_selectorELNS0_4arch9wavefront6targetE1EEEvT1_.kd
    .uniform_work_group_size: 1
    .uses_dynamic_stack: false
    .vgpr_count:     0
    .vgpr_spill_count: 0
    .wavefront_size: 64
  - .agpr_count:     0
    .args:
      - .offset:         0
        .size:           120
        .value_kind:     by_value
    .group_segment_fixed_size: 0
    .kernarg_segment_align: 8
    .kernarg_segment_size: 120
    .language:       OpenCL C
    .language_version:
      - 2
      - 0
    .max_flat_workgroup_size: 384
    .name:           _ZN7rocprim17ROCPRIM_400000_NS6detail17trampoline_kernelINS0_14default_configENS1_25partition_config_selectorILNS1_17partition_subalgoE9EllbEEZZNS1_14partition_implILS5_9ELb0ES3_jPlS8_PNS0_10empty_typeENS0_5tupleIJS8_S9_EEENSB_IJS8_SA_EEENS0_18inequality_wrapperIZN2at6native12_GLOBAL__N_124unique_dim_cuda_templateIjEESt5tupleIJNSF_6TensorESK_SK_EERKSK_lbbbEUlllE0_EEPmJS9_EEE10hipError_tPvRmT3_T4_T5_T6_T7_T9_mT8_P12ihipStream_tbDpT10_ENKUlT_T0_E_clISt17integral_constantIbLb1EES19_IbLb0EEEEDaS15_S16_EUlS15_E_NS1_11comp_targetILNS1_3genE10ELNS1_11target_archE1200ELNS1_3gpuE4ELNS1_3repE0EEENS1_30default_config_static_selectorELNS0_4arch9wavefront6targetE1EEEvT1_
    .private_segment_fixed_size: 0
    .sgpr_count:     4
    .sgpr_spill_count: 0
    .symbol:         _ZN7rocprim17ROCPRIM_400000_NS6detail17trampoline_kernelINS0_14default_configENS1_25partition_config_selectorILNS1_17partition_subalgoE9EllbEEZZNS1_14partition_implILS5_9ELb0ES3_jPlS8_PNS0_10empty_typeENS0_5tupleIJS8_S9_EEENSB_IJS8_SA_EEENS0_18inequality_wrapperIZN2at6native12_GLOBAL__N_124unique_dim_cuda_templateIjEESt5tupleIJNSF_6TensorESK_SK_EERKSK_lbbbEUlllE0_EEPmJS9_EEE10hipError_tPvRmT3_T4_T5_T6_T7_T9_mT8_P12ihipStream_tbDpT10_ENKUlT_T0_E_clISt17integral_constantIbLb1EES19_IbLb0EEEEDaS15_S16_EUlS15_E_NS1_11comp_targetILNS1_3genE10ELNS1_11target_archE1200ELNS1_3gpuE4ELNS1_3repE0EEENS1_30default_config_static_selectorELNS0_4arch9wavefront6targetE1EEEvT1_.kd
    .uniform_work_group_size: 1
    .uses_dynamic_stack: false
    .vgpr_count:     0
    .vgpr_spill_count: 0
    .wavefront_size: 64
  - .agpr_count:     0
    .args:
      - .offset:         0
        .size:           120
        .value_kind:     by_value
    .group_segment_fixed_size: 0
    .kernarg_segment_align: 8
    .kernarg_segment_size: 120
    .language:       OpenCL C
    .language_version:
      - 2
      - 0
    .max_flat_workgroup_size: 512
    .name:           _ZN7rocprim17ROCPRIM_400000_NS6detail17trampoline_kernelINS0_14default_configENS1_25partition_config_selectorILNS1_17partition_subalgoE9EllbEEZZNS1_14partition_implILS5_9ELb0ES3_jPlS8_PNS0_10empty_typeENS0_5tupleIJS8_S9_EEENSB_IJS8_SA_EEENS0_18inequality_wrapperIZN2at6native12_GLOBAL__N_124unique_dim_cuda_templateIjEESt5tupleIJNSF_6TensorESK_SK_EERKSK_lbbbEUlllE0_EEPmJS9_EEE10hipError_tPvRmT3_T4_T5_T6_T7_T9_mT8_P12ihipStream_tbDpT10_ENKUlT_T0_E_clISt17integral_constantIbLb1EES19_IbLb0EEEEDaS15_S16_EUlS15_E_NS1_11comp_targetILNS1_3genE9ELNS1_11target_archE1100ELNS1_3gpuE3ELNS1_3repE0EEENS1_30default_config_static_selectorELNS0_4arch9wavefront6targetE1EEEvT1_
    .private_segment_fixed_size: 0
    .sgpr_count:     4
    .sgpr_spill_count: 0
    .symbol:         _ZN7rocprim17ROCPRIM_400000_NS6detail17trampoline_kernelINS0_14default_configENS1_25partition_config_selectorILNS1_17partition_subalgoE9EllbEEZZNS1_14partition_implILS5_9ELb0ES3_jPlS8_PNS0_10empty_typeENS0_5tupleIJS8_S9_EEENSB_IJS8_SA_EEENS0_18inequality_wrapperIZN2at6native12_GLOBAL__N_124unique_dim_cuda_templateIjEESt5tupleIJNSF_6TensorESK_SK_EERKSK_lbbbEUlllE0_EEPmJS9_EEE10hipError_tPvRmT3_T4_T5_T6_T7_T9_mT8_P12ihipStream_tbDpT10_ENKUlT_T0_E_clISt17integral_constantIbLb1EES19_IbLb0EEEEDaS15_S16_EUlS15_E_NS1_11comp_targetILNS1_3genE9ELNS1_11target_archE1100ELNS1_3gpuE3ELNS1_3repE0EEENS1_30default_config_static_selectorELNS0_4arch9wavefront6targetE1EEEvT1_.kd
    .uniform_work_group_size: 1
    .uses_dynamic_stack: false
    .vgpr_count:     0
    .vgpr_spill_count: 0
    .wavefront_size: 64
  - .agpr_count:     0
    .args:
      - .offset:         0
        .size:           120
        .value_kind:     by_value
    .group_segment_fixed_size: 0
    .kernarg_segment_align: 8
    .kernarg_segment_size: 120
    .language:       OpenCL C
    .language_version:
      - 2
      - 0
    .max_flat_workgroup_size: 512
    .name:           _ZN7rocprim17ROCPRIM_400000_NS6detail17trampoline_kernelINS0_14default_configENS1_25partition_config_selectorILNS1_17partition_subalgoE9EllbEEZZNS1_14partition_implILS5_9ELb0ES3_jPlS8_PNS0_10empty_typeENS0_5tupleIJS8_S9_EEENSB_IJS8_SA_EEENS0_18inequality_wrapperIZN2at6native12_GLOBAL__N_124unique_dim_cuda_templateIjEESt5tupleIJNSF_6TensorESK_SK_EERKSK_lbbbEUlllE0_EEPmJS9_EEE10hipError_tPvRmT3_T4_T5_T6_T7_T9_mT8_P12ihipStream_tbDpT10_ENKUlT_T0_E_clISt17integral_constantIbLb1EES19_IbLb0EEEEDaS15_S16_EUlS15_E_NS1_11comp_targetILNS1_3genE8ELNS1_11target_archE1030ELNS1_3gpuE2ELNS1_3repE0EEENS1_30default_config_static_selectorELNS0_4arch9wavefront6targetE1EEEvT1_
    .private_segment_fixed_size: 0
    .sgpr_count:     4
    .sgpr_spill_count: 0
    .symbol:         _ZN7rocprim17ROCPRIM_400000_NS6detail17trampoline_kernelINS0_14default_configENS1_25partition_config_selectorILNS1_17partition_subalgoE9EllbEEZZNS1_14partition_implILS5_9ELb0ES3_jPlS8_PNS0_10empty_typeENS0_5tupleIJS8_S9_EEENSB_IJS8_SA_EEENS0_18inequality_wrapperIZN2at6native12_GLOBAL__N_124unique_dim_cuda_templateIjEESt5tupleIJNSF_6TensorESK_SK_EERKSK_lbbbEUlllE0_EEPmJS9_EEE10hipError_tPvRmT3_T4_T5_T6_T7_T9_mT8_P12ihipStream_tbDpT10_ENKUlT_T0_E_clISt17integral_constantIbLb1EES19_IbLb0EEEEDaS15_S16_EUlS15_E_NS1_11comp_targetILNS1_3genE8ELNS1_11target_archE1030ELNS1_3gpuE2ELNS1_3repE0EEENS1_30default_config_static_selectorELNS0_4arch9wavefront6targetE1EEEvT1_.kd
    .uniform_work_group_size: 1
    .uses_dynamic_stack: false
    .vgpr_count:     0
    .vgpr_spill_count: 0
    .wavefront_size: 64
  - .agpr_count:     0
    .args:
      - .offset:         0
        .size:           136
        .value_kind:     by_value
    .group_segment_fixed_size: 0
    .kernarg_segment_align: 8
    .kernarg_segment_size: 136
    .language:       OpenCL C
    .language_version:
      - 2
      - 0
    .max_flat_workgroup_size: 128
    .name:           _ZN7rocprim17ROCPRIM_400000_NS6detail17trampoline_kernelINS0_14default_configENS1_25partition_config_selectorILNS1_17partition_subalgoE9EllbEEZZNS1_14partition_implILS5_9ELb0ES3_jPlS8_PNS0_10empty_typeENS0_5tupleIJS8_S9_EEENSB_IJS8_SA_EEENS0_18inequality_wrapperIZN2at6native12_GLOBAL__N_124unique_dim_cuda_templateIjEESt5tupleIJNSF_6TensorESK_SK_EERKSK_lbbbEUlllE0_EEPmJS9_EEE10hipError_tPvRmT3_T4_T5_T6_T7_T9_mT8_P12ihipStream_tbDpT10_ENKUlT_T0_E_clISt17integral_constantIbLb0EES19_IbLb1EEEEDaS15_S16_EUlS15_E_NS1_11comp_targetILNS1_3genE0ELNS1_11target_archE4294967295ELNS1_3gpuE0ELNS1_3repE0EEENS1_30default_config_static_selectorELNS0_4arch9wavefront6targetE1EEEvT1_
    .private_segment_fixed_size: 0
    .sgpr_count:     4
    .sgpr_spill_count: 0
    .symbol:         _ZN7rocprim17ROCPRIM_400000_NS6detail17trampoline_kernelINS0_14default_configENS1_25partition_config_selectorILNS1_17partition_subalgoE9EllbEEZZNS1_14partition_implILS5_9ELb0ES3_jPlS8_PNS0_10empty_typeENS0_5tupleIJS8_S9_EEENSB_IJS8_SA_EEENS0_18inequality_wrapperIZN2at6native12_GLOBAL__N_124unique_dim_cuda_templateIjEESt5tupleIJNSF_6TensorESK_SK_EERKSK_lbbbEUlllE0_EEPmJS9_EEE10hipError_tPvRmT3_T4_T5_T6_T7_T9_mT8_P12ihipStream_tbDpT10_ENKUlT_T0_E_clISt17integral_constantIbLb0EES19_IbLb1EEEEDaS15_S16_EUlS15_E_NS1_11comp_targetILNS1_3genE0ELNS1_11target_archE4294967295ELNS1_3gpuE0ELNS1_3repE0EEENS1_30default_config_static_selectorELNS0_4arch9wavefront6targetE1EEEvT1_.kd
    .uniform_work_group_size: 1
    .uses_dynamic_stack: false
    .vgpr_count:     0
    .vgpr_spill_count: 0
    .wavefront_size: 64
  - .agpr_count:     0
    .args:
      - .offset:         0
        .size:           136
        .value_kind:     by_value
    .group_segment_fixed_size: 0
    .kernarg_segment_align: 8
    .kernarg_segment_size: 136
    .language:       OpenCL C
    .language_version:
      - 2
      - 0
    .max_flat_workgroup_size: 512
    .name:           _ZN7rocprim17ROCPRIM_400000_NS6detail17trampoline_kernelINS0_14default_configENS1_25partition_config_selectorILNS1_17partition_subalgoE9EllbEEZZNS1_14partition_implILS5_9ELb0ES3_jPlS8_PNS0_10empty_typeENS0_5tupleIJS8_S9_EEENSB_IJS8_SA_EEENS0_18inequality_wrapperIZN2at6native12_GLOBAL__N_124unique_dim_cuda_templateIjEESt5tupleIJNSF_6TensorESK_SK_EERKSK_lbbbEUlllE0_EEPmJS9_EEE10hipError_tPvRmT3_T4_T5_T6_T7_T9_mT8_P12ihipStream_tbDpT10_ENKUlT_T0_E_clISt17integral_constantIbLb0EES19_IbLb1EEEEDaS15_S16_EUlS15_E_NS1_11comp_targetILNS1_3genE5ELNS1_11target_archE942ELNS1_3gpuE9ELNS1_3repE0EEENS1_30default_config_static_selectorELNS0_4arch9wavefront6targetE1EEEvT1_
    .private_segment_fixed_size: 0
    .sgpr_count:     4
    .sgpr_spill_count: 0
    .symbol:         _ZN7rocprim17ROCPRIM_400000_NS6detail17trampoline_kernelINS0_14default_configENS1_25partition_config_selectorILNS1_17partition_subalgoE9EllbEEZZNS1_14partition_implILS5_9ELb0ES3_jPlS8_PNS0_10empty_typeENS0_5tupleIJS8_S9_EEENSB_IJS8_SA_EEENS0_18inequality_wrapperIZN2at6native12_GLOBAL__N_124unique_dim_cuda_templateIjEESt5tupleIJNSF_6TensorESK_SK_EERKSK_lbbbEUlllE0_EEPmJS9_EEE10hipError_tPvRmT3_T4_T5_T6_T7_T9_mT8_P12ihipStream_tbDpT10_ENKUlT_T0_E_clISt17integral_constantIbLb0EES19_IbLb1EEEEDaS15_S16_EUlS15_E_NS1_11comp_targetILNS1_3genE5ELNS1_11target_archE942ELNS1_3gpuE9ELNS1_3repE0EEENS1_30default_config_static_selectorELNS0_4arch9wavefront6targetE1EEEvT1_.kd
    .uniform_work_group_size: 1
    .uses_dynamic_stack: false
    .vgpr_count:     0
    .vgpr_spill_count: 0
    .wavefront_size: 64
  - .agpr_count:     0
    .args:
      - .offset:         0
        .size:           136
        .value_kind:     by_value
    .group_segment_fixed_size: 4236
    .kernarg_segment_align: 8
    .kernarg_segment_size: 136
    .language:       OpenCL C
    .language_version:
      - 2
      - 0
    .max_flat_workgroup_size: 128
    .name:           _ZN7rocprim17ROCPRIM_400000_NS6detail17trampoline_kernelINS0_14default_configENS1_25partition_config_selectorILNS1_17partition_subalgoE9EllbEEZZNS1_14partition_implILS5_9ELb0ES3_jPlS8_PNS0_10empty_typeENS0_5tupleIJS8_S9_EEENSB_IJS8_SA_EEENS0_18inequality_wrapperIZN2at6native12_GLOBAL__N_124unique_dim_cuda_templateIjEESt5tupleIJNSF_6TensorESK_SK_EERKSK_lbbbEUlllE0_EEPmJS9_EEE10hipError_tPvRmT3_T4_T5_T6_T7_T9_mT8_P12ihipStream_tbDpT10_ENKUlT_T0_E_clISt17integral_constantIbLb0EES19_IbLb1EEEEDaS15_S16_EUlS15_E_NS1_11comp_targetILNS1_3genE4ELNS1_11target_archE910ELNS1_3gpuE8ELNS1_3repE0EEENS1_30default_config_static_selectorELNS0_4arch9wavefront6targetE1EEEvT1_
    .private_segment_fixed_size: 0
    .sgpr_count:     56
    .sgpr_spill_count: 0
    .symbol:         _ZN7rocprim17ROCPRIM_400000_NS6detail17trampoline_kernelINS0_14default_configENS1_25partition_config_selectorILNS1_17partition_subalgoE9EllbEEZZNS1_14partition_implILS5_9ELb0ES3_jPlS8_PNS0_10empty_typeENS0_5tupleIJS8_S9_EEENSB_IJS8_SA_EEENS0_18inequality_wrapperIZN2at6native12_GLOBAL__N_124unique_dim_cuda_templateIjEESt5tupleIJNSF_6TensorESK_SK_EERKSK_lbbbEUlllE0_EEPmJS9_EEE10hipError_tPvRmT3_T4_T5_T6_T7_T9_mT8_P12ihipStream_tbDpT10_ENKUlT_T0_E_clISt17integral_constantIbLb0EES19_IbLb1EEEEDaS15_S16_EUlS15_E_NS1_11comp_targetILNS1_3genE4ELNS1_11target_archE910ELNS1_3gpuE8ELNS1_3repE0EEENS1_30default_config_static_selectorELNS0_4arch9wavefront6targetE1EEEvT1_.kd
    .uniform_work_group_size: 1
    .uses_dynamic_stack: false
    .vgpr_count:     50
    .vgpr_spill_count: 0
    .wavefront_size: 64
  - .agpr_count:     0
    .args:
      - .offset:         0
        .size:           136
        .value_kind:     by_value
    .group_segment_fixed_size: 0
    .kernarg_segment_align: 8
    .kernarg_segment_size: 136
    .language:       OpenCL C
    .language_version:
      - 2
      - 0
    .max_flat_workgroup_size: 128
    .name:           _ZN7rocprim17ROCPRIM_400000_NS6detail17trampoline_kernelINS0_14default_configENS1_25partition_config_selectorILNS1_17partition_subalgoE9EllbEEZZNS1_14partition_implILS5_9ELb0ES3_jPlS8_PNS0_10empty_typeENS0_5tupleIJS8_S9_EEENSB_IJS8_SA_EEENS0_18inequality_wrapperIZN2at6native12_GLOBAL__N_124unique_dim_cuda_templateIjEESt5tupleIJNSF_6TensorESK_SK_EERKSK_lbbbEUlllE0_EEPmJS9_EEE10hipError_tPvRmT3_T4_T5_T6_T7_T9_mT8_P12ihipStream_tbDpT10_ENKUlT_T0_E_clISt17integral_constantIbLb0EES19_IbLb1EEEEDaS15_S16_EUlS15_E_NS1_11comp_targetILNS1_3genE3ELNS1_11target_archE908ELNS1_3gpuE7ELNS1_3repE0EEENS1_30default_config_static_selectorELNS0_4arch9wavefront6targetE1EEEvT1_
    .private_segment_fixed_size: 0
    .sgpr_count:     4
    .sgpr_spill_count: 0
    .symbol:         _ZN7rocprim17ROCPRIM_400000_NS6detail17trampoline_kernelINS0_14default_configENS1_25partition_config_selectorILNS1_17partition_subalgoE9EllbEEZZNS1_14partition_implILS5_9ELb0ES3_jPlS8_PNS0_10empty_typeENS0_5tupleIJS8_S9_EEENSB_IJS8_SA_EEENS0_18inequality_wrapperIZN2at6native12_GLOBAL__N_124unique_dim_cuda_templateIjEESt5tupleIJNSF_6TensorESK_SK_EERKSK_lbbbEUlllE0_EEPmJS9_EEE10hipError_tPvRmT3_T4_T5_T6_T7_T9_mT8_P12ihipStream_tbDpT10_ENKUlT_T0_E_clISt17integral_constantIbLb0EES19_IbLb1EEEEDaS15_S16_EUlS15_E_NS1_11comp_targetILNS1_3genE3ELNS1_11target_archE908ELNS1_3gpuE7ELNS1_3repE0EEENS1_30default_config_static_selectorELNS0_4arch9wavefront6targetE1EEEvT1_.kd
    .uniform_work_group_size: 1
    .uses_dynamic_stack: false
    .vgpr_count:     0
    .vgpr_spill_count: 0
    .wavefront_size: 64
  - .agpr_count:     0
    .args:
      - .offset:         0
        .size:           136
        .value_kind:     by_value
    .group_segment_fixed_size: 0
    .kernarg_segment_align: 8
    .kernarg_segment_size: 136
    .language:       OpenCL C
    .language_version:
      - 2
      - 0
    .max_flat_workgroup_size: 192
    .name:           _ZN7rocprim17ROCPRIM_400000_NS6detail17trampoline_kernelINS0_14default_configENS1_25partition_config_selectorILNS1_17partition_subalgoE9EllbEEZZNS1_14partition_implILS5_9ELb0ES3_jPlS8_PNS0_10empty_typeENS0_5tupleIJS8_S9_EEENSB_IJS8_SA_EEENS0_18inequality_wrapperIZN2at6native12_GLOBAL__N_124unique_dim_cuda_templateIjEESt5tupleIJNSF_6TensorESK_SK_EERKSK_lbbbEUlllE0_EEPmJS9_EEE10hipError_tPvRmT3_T4_T5_T6_T7_T9_mT8_P12ihipStream_tbDpT10_ENKUlT_T0_E_clISt17integral_constantIbLb0EES19_IbLb1EEEEDaS15_S16_EUlS15_E_NS1_11comp_targetILNS1_3genE2ELNS1_11target_archE906ELNS1_3gpuE6ELNS1_3repE0EEENS1_30default_config_static_selectorELNS0_4arch9wavefront6targetE1EEEvT1_
    .private_segment_fixed_size: 0
    .sgpr_count:     4
    .sgpr_spill_count: 0
    .symbol:         _ZN7rocprim17ROCPRIM_400000_NS6detail17trampoline_kernelINS0_14default_configENS1_25partition_config_selectorILNS1_17partition_subalgoE9EllbEEZZNS1_14partition_implILS5_9ELb0ES3_jPlS8_PNS0_10empty_typeENS0_5tupleIJS8_S9_EEENSB_IJS8_SA_EEENS0_18inequality_wrapperIZN2at6native12_GLOBAL__N_124unique_dim_cuda_templateIjEESt5tupleIJNSF_6TensorESK_SK_EERKSK_lbbbEUlllE0_EEPmJS9_EEE10hipError_tPvRmT3_T4_T5_T6_T7_T9_mT8_P12ihipStream_tbDpT10_ENKUlT_T0_E_clISt17integral_constantIbLb0EES19_IbLb1EEEEDaS15_S16_EUlS15_E_NS1_11comp_targetILNS1_3genE2ELNS1_11target_archE906ELNS1_3gpuE6ELNS1_3repE0EEENS1_30default_config_static_selectorELNS0_4arch9wavefront6targetE1EEEvT1_.kd
    .uniform_work_group_size: 1
    .uses_dynamic_stack: false
    .vgpr_count:     0
    .vgpr_spill_count: 0
    .wavefront_size: 64
  - .agpr_count:     0
    .args:
      - .offset:         0
        .size:           136
        .value_kind:     by_value
    .group_segment_fixed_size: 0
    .kernarg_segment_align: 8
    .kernarg_segment_size: 136
    .language:       OpenCL C
    .language_version:
      - 2
      - 0
    .max_flat_workgroup_size: 384
    .name:           _ZN7rocprim17ROCPRIM_400000_NS6detail17trampoline_kernelINS0_14default_configENS1_25partition_config_selectorILNS1_17partition_subalgoE9EllbEEZZNS1_14partition_implILS5_9ELb0ES3_jPlS8_PNS0_10empty_typeENS0_5tupleIJS8_S9_EEENSB_IJS8_SA_EEENS0_18inequality_wrapperIZN2at6native12_GLOBAL__N_124unique_dim_cuda_templateIjEESt5tupleIJNSF_6TensorESK_SK_EERKSK_lbbbEUlllE0_EEPmJS9_EEE10hipError_tPvRmT3_T4_T5_T6_T7_T9_mT8_P12ihipStream_tbDpT10_ENKUlT_T0_E_clISt17integral_constantIbLb0EES19_IbLb1EEEEDaS15_S16_EUlS15_E_NS1_11comp_targetILNS1_3genE10ELNS1_11target_archE1200ELNS1_3gpuE4ELNS1_3repE0EEENS1_30default_config_static_selectorELNS0_4arch9wavefront6targetE1EEEvT1_
    .private_segment_fixed_size: 0
    .sgpr_count:     4
    .sgpr_spill_count: 0
    .symbol:         _ZN7rocprim17ROCPRIM_400000_NS6detail17trampoline_kernelINS0_14default_configENS1_25partition_config_selectorILNS1_17partition_subalgoE9EllbEEZZNS1_14partition_implILS5_9ELb0ES3_jPlS8_PNS0_10empty_typeENS0_5tupleIJS8_S9_EEENSB_IJS8_SA_EEENS0_18inequality_wrapperIZN2at6native12_GLOBAL__N_124unique_dim_cuda_templateIjEESt5tupleIJNSF_6TensorESK_SK_EERKSK_lbbbEUlllE0_EEPmJS9_EEE10hipError_tPvRmT3_T4_T5_T6_T7_T9_mT8_P12ihipStream_tbDpT10_ENKUlT_T0_E_clISt17integral_constantIbLb0EES19_IbLb1EEEEDaS15_S16_EUlS15_E_NS1_11comp_targetILNS1_3genE10ELNS1_11target_archE1200ELNS1_3gpuE4ELNS1_3repE0EEENS1_30default_config_static_selectorELNS0_4arch9wavefront6targetE1EEEvT1_.kd
    .uniform_work_group_size: 1
    .uses_dynamic_stack: false
    .vgpr_count:     0
    .vgpr_spill_count: 0
    .wavefront_size: 64
  - .agpr_count:     0
    .args:
      - .offset:         0
        .size:           136
        .value_kind:     by_value
    .group_segment_fixed_size: 0
    .kernarg_segment_align: 8
    .kernarg_segment_size: 136
    .language:       OpenCL C
    .language_version:
      - 2
      - 0
    .max_flat_workgroup_size: 512
    .name:           _ZN7rocprim17ROCPRIM_400000_NS6detail17trampoline_kernelINS0_14default_configENS1_25partition_config_selectorILNS1_17partition_subalgoE9EllbEEZZNS1_14partition_implILS5_9ELb0ES3_jPlS8_PNS0_10empty_typeENS0_5tupleIJS8_S9_EEENSB_IJS8_SA_EEENS0_18inequality_wrapperIZN2at6native12_GLOBAL__N_124unique_dim_cuda_templateIjEESt5tupleIJNSF_6TensorESK_SK_EERKSK_lbbbEUlllE0_EEPmJS9_EEE10hipError_tPvRmT3_T4_T5_T6_T7_T9_mT8_P12ihipStream_tbDpT10_ENKUlT_T0_E_clISt17integral_constantIbLb0EES19_IbLb1EEEEDaS15_S16_EUlS15_E_NS1_11comp_targetILNS1_3genE9ELNS1_11target_archE1100ELNS1_3gpuE3ELNS1_3repE0EEENS1_30default_config_static_selectorELNS0_4arch9wavefront6targetE1EEEvT1_
    .private_segment_fixed_size: 0
    .sgpr_count:     4
    .sgpr_spill_count: 0
    .symbol:         _ZN7rocprim17ROCPRIM_400000_NS6detail17trampoline_kernelINS0_14default_configENS1_25partition_config_selectorILNS1_17partition_subalgoE9EllbEEZZNS1_14partition_implILS5_9ELb0ES3_jPlS8_PNS0_10empty_typeENS0_5tupleIJS8_S9_EEENSB_IJS8_SA_EEENS0_18inequality_wrapperIZN2at6native12_GLOBAL__N_124unique_dim_cuda_templateIjEESt5tupleIJNSF_6TensorESK_SK_EERKSK_lbbbEUlllE0_EEPmJS9_EEE10hipError_tPvRmT3_T4_T5_T6_T7_T9_mT8_P12ihipStream_tbDpT10_ENKUlT_T0_E_clISt17integral_constantIbLb0EES19_IbLb1EEEEDaS15_S16_EUlS15_E_NS1_11comp_targetILNS1_3genE9ELNS1_11target_archE1100ELNS1_3gpuE3ELNS1_3repE0EEENS1_30default_config_static_selectorELNS0_4arch9wavefront6targetE1EEEvT1_.kd
    .uniform_work_group_size: 1
    .uses_dynamic_stack: false
    .vgpr_count:     0
    .vgpr_spill_count: 0
    .wavefront_size: 64
  - .agpr_count:     0
    .args:
      - .offset:         0
        .size:           136
        .value_kind:     by_value
    .group_segment_fixed_size: 0
    .kernarg_segment_align: 8
    .kernarg_segment_size: 136
    .language:       OpenCL C
    .language_version:
      - 2
      - 0
    .max_flat_workgroup_size: 512
    .name:           _ZN7rocprim17ROCPRIM_400000_NS6detail17trampoline_kernelINS0_14default_configENS1_25partition_config_selectorILNS1_17partition_subalgoE9EllbEEZZNS1_14partition_implILS5_9ELb0ES3_jPlS8_PNS0_10empty_typeENS0_5tupleIJS8_S9_EEENSB_IJS8_SA_EEENS0_18inequality_wrapperIZN2at6native12_GLOBAL__N_124unique_dim_cuda_templateIjEESt5tupleIJNSF_6TensorESK_SK_EERKSK_lbbbEUlllE0_EEPmJS9_EEE10hipError_tPvRmT3_T4_T5_T6_T7_T9_mT8_P12ihipStream_tbDpT10_ENKUlT_T0_E_clISt17integral_constantIbLb0EES19_IbLb1EEEEDaS15_S16_EUlS15_E_NS1_11comp_targetILNS1_3genE8ELNS1_11target_archE1030ELNS1_3gpuE2ELNS1_3repE0EEENS1_30default_config_static_selectorELNS0_4arch9wavefront6targetE1EEEvT1_
    .private_segment_fixed_size: 0
    .sgpr_count:     4
    .sgpr_spill_count: 0
    .symbol:         _ZN7rocprim17ROCPRIM_400000_NS6detail17trampoline_kernelINS0_14default_configENS1_25partition_config_selectorILNS1_17partition_subalgoE9EllbEEZZNS1_14partition_implILS5_9ELb0ES3_jPlS8_PNS0_10empty_typeENS0_5tupleIJS8_S9_EEENSB_IJS8_SA_EEENS0_18inequality_wrapperIZN2at6native12_GLOBAL__N_124unique_dim_cuda_templateIjEESt5tupleIJNSF_6TensorESK_SK_EERKSK_lbbbEUlllE0_EEPmJS9_EEE10hipError_tPvRmT3_T4_T5_T6_T7_T9_mT8_P12ihipStream_tbDpT10_ENKUlT_T0_E_clISt17integral_constantIbLb0EES19_IbLb1EEEEDaS15_S16_EUlS15_E_NS1_11comp_targetILNS1_3genE8ELNS1_11target_archE1030ELNS1_3gpuE2ELNS1_3repE0EEENS1_30default_config_static_selectorELNS0_4arch9wavefront6targetE1EEEvT1_.kd
    .uniform_work_group_size: 1
    .uses_dynamic_stack: false
    .vgpr_count:     0
    .vgpr_spill_count: 0
    .wavefront_size: 64
  - .agpr_count:     0
    .args:
      - .offset:         0
        .size:           72
        .value_kind:     by_value
    .group_segment_fixed_size: 0
    .kernarg_segment_align: 8
    .kernarg_segment_size: 72
    .language:       OpenCL C
    .language_version:
      - 2
      - 0
    .max_flat_workgroup_size: 256
    .name:           _ZN7rocprim17ROCPRIM_400000_NS6detail17trampoline_kernelINS0_14default_configENS1_37merge_sort_block_sort_config_selectorIlNS0_10empty_typeEEEZNS1_21merge_sort_block_sortIS3_PlS8_PS5_S9_ZN2at6native12_GLOBAL__N_124unique_dim_cuda_templateImEESt5tupleIJNSA_6TensorESF_SF_EERKSF_lbbbEUlllE_EE10hipError_tT0_T1_T2_T3_mRjT4_P12ihipStream_tbNS1_7vsmem_tEEUlT_E_NS1_11comp_targetILNS1_3genE0ELNS1_11target_archE4294967295ELNS1_3gpuE0ELNS1_3repE0EEENS1_30default_config_static_selectorELNS0_4arch9wavefront6targetE1EEEvSM_
    .private_segment_fixed_size: 0
    .sgpr_count:     4
    .sgpr_spill_count: 0
    .symbol:         _ZN7rocprim17ROCPRIM_400000_NS6detail17trampoline_kernelINS0_14default_configENS1_37merge_sort_block_sort_config_selectorIlNS0_10empty_typeEEEZNS1_21merge_sort_block_sortIS3_PlS8_PS5_S9_ZN2at6native12_GLOBAL__N_124unique_dim_cuda_templateImEESt5tupleIJNSA_6TensorESF_SF_EERKSF_lbbbEUlllE_EE10hipError_tT0_T1_T2_T3_mRjT4_P12ihipStream_tbNS1_7vsmem_tEEUlT_E_NS1_11comp_targetILNS1_3genE0ELNS1_11target_archE4294967295ELNS1_3gpuE0ELNS1_3repE0EEENS1_30default_config_static_selectorELNS0_4arch9wavefront6targetE1EEEvSM_.kd
    .uniform_work_group_size: 1
    .uses_dynamic_stack: false
    .vgpr_count:     0
    .vgpr_spill_count: 0
    .wavefront_size: 64
  - .agpr_count:     0
    .args:
      - .offset:         0
        .size:           72
        .value_kind:     by_value
    .group_segment_fixed_size: 0
    .kernarg_segment_align: 8
    .kernarg_segment_size: 72
    .language:       OpenCL C
    .language_version:
      - 2
      - 0
    .max_flat_workgroup_size: 256
    .name:           _ZN7rocprim17ROCPRIM_400000_NS6detail17trampoline_kernelINS0_14default_configENS1_37merge_sort_block_sort_config_selectorIlNS0_10empty_typeEEEZNS1_21merge_sort_block_sortIS3_PlS8_PS5_S9_ZN2at6native12_GLOBAL__N_124unique_dim_cuda_templateImEESt5tupleIJNSA_6TensorESF_SF_EERKSF_lbbbEUlllE_EE10hipError_tT0_T1_T2_T3_mRjT4_P12ihipStream_tbNS1_7vsmem_tEEUlT_E_NS1_11comp_targetILNS1_3genE5ELNS1_11target_archE942ELNS1_3gpuE9ELNS1_3repE0EEENS1_30default_config_static_selectorELNS0_4arch9wavefront6targetE1EEEvSM_
    .private_segment_fixed_size: 0
    .sgpr_count:     4
    .sgpr_spill_count: 0
    .symbol:         _ZN7rocprim17ROCPRIM_400000_NS6detail17trampoline_kernelINS0_14default_configENS1_37merge_sort_block_sort_config_selectorIlNS0_10empty_typeEEEZNS1_21merge_sort_block_sortIS3_PlS8_PS5_S9_ZN2at6native12_GLOBAL__N_124unique_dim_cuda_templateImEESt5tupleIJNSA_6TensorESF_SF_EERKSF_lbbbEUlllE_EE10hipError_tT0_T1_T2_T3_mRjT4_P12ihipStream_tbNS1_7vsmem_tEEUlT_E_NS1_11comp_targetILNS1_3genE5ELNS1_11target_archE942ELNS1_3gpuE9ELNS1_3repE0EEENS1_30default_config_static_selectorELNS0_4arch9wavefront6targetE1EEEvSM_.kd
    .uniform_work_group_size: 1
    .uses_dynamic_stack: false
    .vgpr_count:     0
    .vgpr_spill_count: 0
    .wavefront_size: 64
  - .agpr_count:     0
    .args:
      - .offset:         0
        .size:           72
        .value_kind:     by_value
      - .offset:         72
        .size:           4
        .value_kind:     hidden_block_count_x
      - .offset:         76
        .size:           4
        .value_kind:     hidden_block_count_y
      - .offset:         80
        .size:           4
        .value_kind:     hidden_block_count_z
      - .offset:         84
        .size:           2
        .value_kind:     hidden_group_size_x
      - .offset:         86
        .size:           2
        .value_kind:     hidden_group_size_y
      - .offset:         88
        .size:           2
        .value_kind:     hidden_group_size_z
      - .offset:         90
        .size:           2
        .value_kind:     hidden_remainder_x
      - .offset:         92
        .size:           2
        .value_kind:     hidden_remainder_y
      - .offset:         94
        .size:           2
        .value_kind:     hidden_remainder_z
      - .offset:         112
        .size:           8
        .value_kind:     hidden_global_offset_x
      - .offset:         120
        .size:           8
        .value_kind:     hidden_global_offset_y
      - .offset:         128
        .size:           8
        .value_kind:     hidden_global_offset_z
      - .offset:         136
        .size:           2
        .value_kind:     hidden_grid_dims
    .group_segment_fixed_size: 8448
    .kernarg_segment_align: 8
    .kernarg_segment_size: 328
    .language:       OpenCL C
    .language_version:
      - 2
      - 0
    .max_flat_workgroup_size: 256
    .name:           _ZN7rocprim17ROCPRIM_400000_NS6detail17trampoline_kernelINS0_14default_configENS1_37merge_sort_block_sort_config_selectorIlNS0_10empty_typeEEEZNS1_21merge_sort_block_sortIS3_PlS8_PS5_S9_ZN2at6native12_GLOBAL__N_124unique_dim_cuda_templateImEESt5tupleIJNSA_6TensorESF_SF_EERKSF_lbbbEUlllE_EE10hipError_tT0_T1_T2_T3_mRjT4_P12ihipStream_tbNS1_7vsmem_tEEUlT_E_NS1_11comp_targetILNS1_3genE4ELNS1_11target_archE910ELNS1_3gpuE8ELNS1_3repE0EEENS1_30default_config_static_selectorELNS0_4arch9wavefront6targetE1EEEvSM_
    .private_segment_fixed_size: 0
    .sgpr_count:     58
    .sgpr_spill_count: 0
    .symbol:         _ZN7rocprim17ROCPRIM_400000_NS6detail17trampoline_kernelINS0_14default_configENS1_37merge_sort_block_sort_config_selectorIlNS0_10empty_typeEEEZNS1_21merge_sort_block_sortIS3_PlS8_PS5_S9_ZN2at6native12_GLOBAL__N_124unique_dim_cuda_templateImEESt5tupleIJNSA_6TensorESF_SF_EERKSF_lbbbEUlllE_EE10hipError_tT0_T1_T2_T3_mRjT4_P12ihipStream_tbNS1_7vsmem_tEEUlT_E_NS1_11comp_targetILNS1_3genE4ELNS1_11target_archE910ELNS1_3gpuE8ELNS1_3repE0EEENS1_30default_config_static_selectorELNS0_4arch9wavefront6targetE1EEEvSM_.kd
    .uniform_work_group_size: 1
    .uses_dynamic_stack: false
    .vgpr_count:     46
    .vgpr_spill_count: 0
    .wavefront_size: 64
  - .agpr_count:     0
    .args:
      - .offset:         0
        .size:           72
        .value_kind:     by_value
    .group_segment_fixed_size: 0
    .kernarg_segment_align: 8
    .kernarg_segment_size: 72
    .language:       OpenCL C
    .language_version:
      - 2
      - 0
    .max_flat_workgroup_size: 256
    .name:           _ZN7rocprim17ROCPRIM_400000_NS6detail17trampoline_kernelINS0_14default_configENS1_37merge_sort_block_sort_config_selectorIlNS0_10empty_typeEEEZNS1_21merge_sort_block_sortIS3_PlS8_PS5_S9_ZN2at6native12_GLOBAL__N_124unique_dim_cuda_templateImEESt5tupleIJNSA_6TensorESF_SF_EERKSF_lbbbEUlllE_EE10hipError_tT0_T1_T2_T3_mRjT4_P12ihipStream_tbNS1_7vsmem_tEEUlT_E_NS1_11comp_targetILNS1_3genE3ELNS1_11target_archE908ELNS1_3gpuE7ELNS1_3repE0EEENS1_30default_config_static_selectorELNS0_4arch9wavefront6targetE1EEEvSM_
    .private_segment_fixed_size: 0
    .sgpr_count:     4
    .sgpr_spill_count: 0
    .symbol:         _ZN7rocprim17ROCPRIM_400000_NS6detail17trampoline_kernelINS0_14default_configENS1_37merge_sort_block_sort_config_selectorIlNS0_10empty_typeEEEZNS1_21merge_sort_block_sortIS3_PlS8_PS5_S9_ZN2at6native12_GLOBAL__N_124unique_dim_cuda_templateImEESt5tupleIJNSA_6TensorESF_SF_EERKSF_lbbbEUlllE_EE10hipError_tT0_T1_T2_T3_mRjT4_P12ihipStream_tbNS1_7vsmem_tEEUlT_E_NS1_11comp_targetILNS1_3genE3ELNS1_11target_archE908ELNS1_3gpuE7ELNS1_3repE0EEENS1_30default_config_static_selectorELNS0_4arch9wavefront6targetE1EEEvSM_.kd
    .uniform_work_group_size: 1
    .uses_dynamic_stack: false
    .vgpr_count:     0
    .vgpr_spill_count: 0
    .wavefront_size: 64
  - .agpr_count:     0
    .args:
      - .offset:         0
        .size:           72
        .value_kind:     by_value
    .group_segment_fixed_size: 0
    .kernarg_segment_align: 8
    .kernarg_segment_size: 72
    .language:       OpenCL C
    .language_version:
      - 2
      - 0
    .max_flat_workgroup_size: 256
    .name:           _ZN7rocprim17ROCPRIM_400000_NS6detail17trampoline_kernelINS0_14default_configENS1_37merge_sort_block_sort_config_selectorIlNS0_10empty_typeEEEZNS1_21merge_sort_block_sortIS3_PlS8_PS5_S9_ZN2at6native12_GLOBAL__N_124unique_dim_cuda_templateImEESt5tupleIJNSA_6TensorESF_SF_EERKSF_lbbbEUlllE_EE10hipError_tT0_T1_T2_T3_mRjT4_P12ihipStream_tbNS1_7vsmem_tEEUlT_E_NS1_11comp_targetILNS1_3genE2ELNS1_11target_archE906ELNS1_3gpuE6ELNS1_3repE0EEENS1_30default_config_static_selectorELNS0_4arch9wavefront6targetE1EEEvSM_
    .private_segment_fixed_size: 0
    .sgpr_count:     4
    .sgpr_spill_count: 0
    .symbol:         _ZN7rocprim17ROCPRIM_400000_NS6detail17trampoline_kernelINS0_14default_configENS1_37merge_sort_block_sort_config_selectorIlNS0_10empty_typeEEEZNS1_21merge_sort_block_sortIS3_PlS8_PS5_S9_ZN2at6native12_GLOBAL__N_124unique_dim_cuda_templateImEESt5tupleIJNSA_6TensorESF_SF_EERKSF_lbbbEUlllE_EE10hipError_tT0_T1_T2_T3_mRjT4_P12ihipStream_tbNS1_7vsmem_tEEUlT_E_NS1_11comp_targetILNS1_3genE2ELNS1_11target_archE906ELNS1_3gpuE6ELNS1_3repE0EEENS1_30default_config_static_selectorELNS0_4arch9wavefront6targetE1EEEvSM_.kd
    .uniform_work_group_size: 1
    .uses_dynamic_stack: false
    .vgpr_count:     0
    .vgpr_spill_count: 0
    .wavefront_size: 64
  - .agpr_count:     0
    .args:
      - .offset:         0
        .size:           72
        .value_kind:     by_value
    .group_segment_fixed_size: 0
    .kernarg_segment_align: 8
    .kernarg_segment_size: 72
    .language:       OpenCL C
    .language_version:
      - 2
      - 0
    .max_flat_workgroup_size: 256
    .name:           _ZN7rocprim17ROCPRIM_400000_NS6detail17trampoline_kernelINS0_14default_configENS1_37merge_sort_block_sort_config_selectorIlNS0_10empty_typeEEEZNS1_21merge_sort_block_sortIS3_PlS8_PS5_S9_ZN2at6native12_GLOBAL__N_124unique_dim_cuda_templateImEESt5tupleIJNSA_6TensorESF_SF_EERKSF_lbbbEUlllE_EE10hipError_tT0_T1_T2_T3_mRjT4_P12ihipStream_tbNS1_7vsmem_tEEUlT_E_NS1_11comp_targetILNS1_3genE10ELNS1_11target_archE1201ELNS1_3gpuE5ELNS1_3repE0EEENS1_30default_config_static_selectorELNS0_4arch9wavefront6targetE1EEEvSM_
    .private_segment_fixed_size: 0
    .sgpr_count:     4
    .sgpr_spill_count: 0
    .symbol:         _ZN7rocprim17ROCPRIM_400000_NS6detail17trampoline_kernelINS0_14default_configENS1_37merge_sort_block_sort_config_selectorIlNS0_10empty_typeEEEZNS1_21merge_sort_block_sortIS3_PlS8_PS5_S9_ZN2at6native12_GLOBAL__N_124unique_dim_cuda_templateImEESt5tupleIJNSA_6TensorESF_SF_EERKSF_lbbbEUlllE_EE10hipError_tT0_T1_T2_T3_mRjT4_P12ihipStream_tbNS1_7vsmem_tEEUlT_E_NS1_11comp_targetILNS1_3genE10ELNS1_11target_archE1201ELNS1_3gpuE5ELNS1_3repE0EEENS1_30default_config_static_selectorELNS0_4arch9wavefront6targetE1EEEvSM_.kd
    .uniform_work_group_size: 1
    .uses_dynamic_stack: false
    .vgpr_count:     0
    .vgpr_spill_count: 0
    .wavefront_size: 64
  - .agpr_count:     0
    .args:
      - .offset:         0
        .size:           72
        .value_kind:     by_value
    .group_segment_fixed_size: 0
    .kernarg_segment_align: 8
    .kernarg_segment_size: 72
    .language:       OpenCL C
    .language_version:
      - 2
      - 0
    .max_flat_workgroup_size: 512
    .name:           _ZN7rocprim17ROCPRIM_400000_NS6detail17trampoline_kernelINS0_14default_configENS1_37merge_sort_block_sort_config_selectorIlNS0_10empty_typeEEEZNS1_21merge_sort_block_sortIS3_PlS8_PS5_S9_ZN2at6native12_GLOBAL__N_124unique_dim_cuda_templateImEESt5tupleIJNSA_6TensorESF_SF_EERKSF_lbbbEUlllE_EE10hipError_tT0_T1_T2_T3_mRjT4_P12ihipStream_tbNS1_7vsmem_tEEUlT_E_NS1_11comp_targetILNS1_3genE10ELNS1_11target_archE1200ELNS1_3gpuE4ELNS1_3repE0EEENS1_30default_config_static_selectorELNS0_4arch9wavefront6targetE1EEEvSM_
    .private_segment_fixed_size: 0
    .sgpr_count:     4
    .sgpr_spill_count: 0
    .symbol:         _ZN7rocprim17ROCPRIM_400000_NS6detail17trampoline_kernelINS0_14default_configENS1_37merge_sort_block_sort_config_selectorIlNS0_10empty_typeEEEZNS1_21merge_sort_block_sortIS3_PlS8_PS5_S9_ZN2at6native12_GLOBAL__N_124unique_dim_cuda_templateImEESt5tupleIJNSA_6TensorESF_SF_EERKSF_lbbbEUlllE_EE10hipError_tT0_T1_T2_T3_mRjT4_P12ihipStream_tbNS1_7vsmem_tEEUlT_E_NS1_11comp_targetILNS1_3genE10ELNS1_11target_archE1200ELNS1_3gpuE4ELNS1_3repE0EEENS1_30default_config_static_selectorELNS0_4arch9wavefront6targetE1EEEvSM_.kd
    .uniform_work_group_size: 1
    .uses_dynamic_stack: false
    .vgpr_count:     0
    .vgpr_spill_count: 0
    .wavefront_size: 64
  - .agpr_count:     0
    .args:
      - .offset:         0
        .size:           72
        .value_kind:     by_value
    .group_segment_fixed_size: 0
    .kernarg_segment_align: 8
    .kernarg_segment_size: 72
    .language:       OpenCL C
    .language_version:
      - 2
      - 0
    .max_flat_workgroup_size: 256
    .name:           _ZN7rocprim17ROCPRIM_400000_NS6detail17trampoline_kernelINS0_14default_configENS1_37merge_sort_block_sort_config_selectorIlNS0_10empty_typeEEEZNS1_21merge_sort_block_sortIS3_PlS8_PS5_S9_ZN2at6native12_GLOBAL__N_124unique_dim_cuda_templateImEESt5tupleIJNSA_6TensorESF_SF_EERKSF_lbbbEUlllE_EE10hipError_tT0_T1_T2_T3_mRjT4_P12ihipStream_tbNS1_7vsmem_tEEUlT_E_NS1_11comp_targetILNS1_3genE9ELNS1_11target_archE1100ELNS1_3gpuE3ELNS1_3repE0EEENS1_30default_config_static_selectorELNS0_4arch9wavefront6targetE1EEEvSM_
    .private_segment_fixed_size: 0
    .sgpr_count:     4
    .sgpr_spill_count: 0
    .symbol:         _ZN7rocprim17ROCPRIM_400000_NS6detail17trampoline_kernelINS0_14default_configENS1_37merge_sort_block_sort_config_selectorIlNS0_10empty_typeEEEZNS1_21merge_sort_block_sortIS3_PlS8_PS5_S9_ZN2at6native12_GLOBAL__N_124unique_dim_cuda_templateImEESt5tupleIJNSA_6TensorESF_SF_EERKSF_lbbbEUlllE_EE10hipError_tT0_T1_T2_T3_mRjT4_P12ihipStream_tbNS1_7vsmem_tEEUlT_E_NS1_11comp_targetILNS1_3genE9ELNS1_11target_archE1100ELNS1_3gpuE3ELNS1_3repE0EEENS1_30default_config_static_selectorELNS0_4arch9wavefront6targetE1EEEvSM_.kd
    .uniform_work_group_size: 1
    .uses_dynamic_stack: false
    .vgpr_count:     0
    .vgpr_spill_count: 0
    .wavefront_size: 64
  - .agpr_count:     0
    .args:
      - .offset:         0
        .size:           72
        .value_kind:     by_value
    .group_segment_fixed_size: 0
    .kernarg_segment_align: 8
    .kernarg_segment_size: 72
    .language:       OpenCL C
    .language_version:
      - 2
      - 0
    .max_flat_workgroup_size: 256
    .name:           _ZN7rocprim17ROCPRIM_400000_NS6detail17trampoline_kernelINS0_14default_configENS1_37merge_sort_block_sort_config_selectorIlNS0_10empty_typeEEEZNS1_21merge_sort_block_sortIS3_PlS8_PS5_S9_ZN2at6native12_GLOBAL__N_124unique_dim_cuda_templateImEESt5tupleIJNSA_6TensorESF_SF_EERKSF_lbbbEUlllE_EE10hipError_tT0_T1_T2_T3_mRjT4_P12ihipStream_tbNS1_7vsmem_tEEUlT_E_NS1_11comp_targetILNS1_3genE8ELNS1_11target_archE1030ELNS1_3gpuE2ELNS1_3repE0EEENS1_30default_config_static_selectorELNS0_4arch9wavefront6targetE1EEEvSM_
    .private_segment_fixed_size: 0
    .sgpr_count:     4
    .sgpr_spill_count: 0
    .symbol:         _ZN7rocprim17ROCPRIM_400000_NS6detail17trampoline_kernelINS0_14default_configENS1_37merge_sort_block_sort_config_selectorIlNS0_10empty_typeEEEZNS1_21merge_sort_block_sortIS3_PlS8_PS5_S9_ZN2at6native12_GLOBAL__N_124unique_dim_cuda_templateImEESt5tupleIJNSA_6TensorESF_SF_EERKSF_lbbbEUlllE_EE10hipError_tT0_T1_T2_T3_mRjT4_P12ihipStream_tbNS1_7vsmem_tEEUlT_E_NS1_11comp_targetILNS1_3genE8ELNS1_11target_archE1030ELNS1_3gpuE2ELNS1_3repE0EEENS1_30default_config_static_selectorELNS0_4arch9wavefront6targetE1EEEvSM_.kd
    .uniform_work_group_size: 1
    .uses_dynamic_stack: false
    .vgpr_count:     0
    .vgpr_spill_count: 0
    .wavefront_size: 64
  - .agpr_count:     0
    .args:
      - .offset:         0
        .size:           56
        .value_kind:     by_value
    .group_segment_fixed_size: 0
    .kernarg_segment_align: 8
    .kernarg_segment_size: 56
    .language:       OpenCL C
    .language_version:
      - 2
      - 0
    .max_flat_workgroup_size: 128
    .name:           _ZN7rocprim17ROCPRIM_400000_NS6detail17trampoline_kernelINS0_14default_configENS1_38merge_sort_block_merge_config_selectorIlNS0_10empty_typeEEEZZNS1_27merge_sort_block_merge_implIS3_PlPS5_mZN2at6native12_GLOBAL__N_124unique_dim_cuda_templateImEESt5tupleIJNSA_6TensorESF_SF_EERKSF_lbbbEUlllE_EE10hipError_tT0_T1_T2_jT3_P12ihipStream_tbPNSt15iterator_traitsISL_E10value_typeEPNSR_ISM_E10value_typeEPSN_NS1_7vsmem_tEENKUlT_SL_SM_SN_E_clIS8_S8_S9_S9_EESK_S10_SL_SM_SN_EUlS10_E_NS1_11comp_targetILNS1_3genE0ELNS1_11target_archE4294967295ELNS1_3gpuE0ELNS1_3repE0EEENS1_48merge_mergepath_partition_config_static_selectorELNS0_4arch9wavefront6targetE1EEEvSM_
    .private_segment_fixed_size: 0
    .sgpr_count:     4
    .sgpr_spill_count: 0
    .symbol:         _ZN7rocprim17ROCPRIM_400000_NS6detail17trampoline_kernelINS0_14default_configENS1_38merge_sort_block_merge_config_selectorIlNS0_10empty_typeEEEZZNS1_27merge_sort_block_merge_implIS3_PlPS5_mZN2at6native12_GLOBAL__N_124unique_dim_cuda_templateImEESt5tupleIJNSA_6TensorESF_SF_EERKSF_lbbbEUlllE_EE10hipError_tT0_T1_T2_jT3_P12ihipStream_tbPNSt15iterator_traitsISL_E10value_typeEPNSR_ISM_E10value_typeEPSN_NS1_7vsmem_tEENKUlT_SL_SM_SN_E_clIS8_S8_S9_S9_EESK_S10_SL_SM_SN_EUlS10_E_NS1_11comp_targetILNS1_3genE0ELNS1_11target_archE4294967295ELNS1_3gpuE0ELNS1_3repE0EEENS1_48merge_mergepath_partition_config_static_selectorELNS0_4arch9wavefront6targetE1EEEvSM_.kd
    .uniform_work_group_size: 1
    .uses_dynamic_stack: false
    .vgpr_count:     0
    .vgpr_spill_count: 0
    .wavefront_size: 64
  - .agpr_count:     0
    .args:
      - .offset:         0
        .size:           56
        .value_kind:     by_value
    .group_segment_fixed_size: 0
    .kernarg_segment_align: 8
    .kernarg_segment_size: 56
    .language:       OpenCL C
    .language_version:
      - 2
      - 0
    .max_flat_workgroup_size: 128
    .name:           _ZN7rocprim17ROCPRIM_400000_NS6detail17trampoline_kernelINS0_14default_configENS1_38merge_sort_block_merge_config_selectorIlNS0_10empty_typeEEEZZNS1_27merge_sort_block_merge_implIS3_PlPS5_mZN2at6native12_GLOBAL__N_124unique_dim_cuda_templateImEESt5tupleIJNSA_6TensorESF_SF_EERKSF_lbbbEUlllE_EE10hipError_tT0_T1_T2_jT3_P12ihipStream_tbPNSt15iterator_traitsISL_E10value_typeEPNSR_ISM_E10value_typeEPSN_NS1_7vsmem_tEENKUlT_SL_SM_SN_E_clIS8_S8_S9_S9_EESK_S10_SL_SM_SN_EUlS10_E_NS1_11comp_targetILNS1_3genE10ELNS1_11target_archE1201ELNS1_3gpuE5ELNS1_3repE0EEENS1_48merge_mergepath_partition_config_static_selectorELNS0_4arch9wavefront6targetE1EEEvSM_
    .private_segment_fixed_size: 0
    .sgpr_count:     4
    .sgpr_spill_count: 0
    .symbol:         _ZN7rocprim17ROCPRIM_400000_NS6detail17trampoline_kernelINS0_14default_configENS1_38merge_sort_block_merge_config_selectorIlNS0_10empty_typeEEEZZNS1_27merge_sort_block_merge_implIS3_PlPS5_mZN2at6native12_GLOBAL__N_124unique_dim_cuda_templateImEESt5tupleIJNSA_6TensorESF_SF_EERKSF_lbbbEUlllE_EE10hipError_tT0_T1_T2_jT3_P12ihipStream_tbPNSt15iterator_traitsISL_E10value_typeEPNSR_ISM_E10value_typeEPSN_NS1_7vsmem_tEENKUlT_SL_SM_SN_E_clIS8_S8_S9_S9_EESK_S10_SL_SM_SN_EUlS10_E_NS1_11comp_targetILNS1_3genE10ELNS1_11target_archE1201ELNS1_3gpuE5ELNS1_3repE0EEENS1_48merge_mergepath_partition_config_static_selectorELNS0_4arch9wavefront6targetE1EEEvSM_.kd
    .uniform_work_group_size: 1
    .uses_dynamic_stack: false
    .vgpr_count:     0
    .vgpr_spill_count: 0
    .wavefront_size: 64
  - .agpr_count:     0
    .args:
      - .offset:         0
        .size:           56
        .value_kind:     by_value
    .group_segment_fixed_size: 0
    .kernarg_segment_align: 8
    .kernarg_segment_size: 56
    .language:       OpenCL C
    .language_version:
      - 2
      - 0
    .max_flat_workgroup_size: 128
    .name:           _ZN7rocprim17ROCPRIM_400000_NS6detail17trampoline_kernelINS0_14default_configENS1_38merge_sort_block_merge_config_selectorIlNS0_10empty_typeEEEZZNS1_27merge_sort_block_merge_implIS3_PlPS5_mZN2at6native12_GLOBAL__N_124unique_dim_cuda_templateImEESt5tupleIJNSA_6TensorESF_SF_EERKSF_lbbbEUlllE_EE10hipError_tT0_T1_T2_jT3_P12ihipStream_tbPNSt15iterator_traitsISL_E10value_typeEPNSR_ISM_E10value_typeEPSN_NS1_7vsmem_tEENKUlT_SL_SM_SN_E_clIS8_S8_S9_S9_EESK_S10_SL_SM_SN_EUlS10_E_NS1_11comp_targetILNS1_3genE5ELNS1_11target_archE942ELNS1_3gpuE9ELNS1_3repE0EEENS1_48merge_mergepath_partition_config_static_selectorELNS0_4arch9wavefront6targetE1EEEvSM_
    .private_segment_fixed_size: 0
    .sgpr_count:     4
    .sgpr_spill_count: 0
    .symbol:         _ZN7rocprim17ROCPRIM_400000_NS6detail17trampoline_kernelINS0_14default_configENS1_38merge_sort_block_merge_config_selectorIlNS0_10empty_typeEEEZZNS1_27merge_sort_block_merge_implIS3_PlPS5_mZN2at6native12_GLOBAL__N_124unique_dim_cuda_templateImEESt5tupleIJNSA_6TensorESF_SF_EERKSF_lbbbEUlllE_EE10hipError_tT0_T1_T2_jT3_P12ihipStream_tbPNSt15iterator_traitsISL_E10value_typeEPNSR_ISM_E10value_typeEPSN_NS1_7vsmem_tEENKUlT_SL_SM_SN_E_clIS8_S8_S9_S9_EESK_S10_SL_SM_SN_EUlS10_E_NS1_11comp_targetILNS1_3genE5ELNS1_11target_archE942ELNS1_3gpuE9ELNS1_3repE0EEENS1_48merge_mergepath_partition_config_static_selectorELNS0_4arch9wavefront6targetE1EEEvSM_.kd
    .uniform_work_group_size: 1
    .uses_dynamic_stack: false
    .vgpr_count:     0
    .vgpr_spill_count: 0
    .wavefront_size: 64
  - .agpr_count:     0
    .args:
      - .offset:         0
        .size:           56
        .value_kind:     by_value
    .group_segment_fixed_size: 0
    .kernarg_segment_align: 8
    .kernarg_segment_size: 56
    .language:       OpenCL C
    .language_version:
      - 2
      - 0
    .max_flat_workgroup_size: 128
    .name:           _ZN7rocprim17ROCPRIM_400000_NS6detail17trampoline_kernelINS0_14default_configENS1_38merge_sort_block_merge_config_selectorIlNS0_10empty_typeEEEZZNS1_27merge_sort_block_merge_implIS3_PlPS5_mZN2at6native12_GLOBAL__N_124unique_dim_cuda_templateImEESt5tupleIJNSA_6TensorESF_SF_EERKSF_lbbbEUlllE_EE10hipError_tT0_T1_T2_jT3_P12ihipStream_tbPNSt15iterator_traitsISL_E10value_typeEPNSR_ISM_E10value_typeEPSN_NS1_7vsmem_tEENKUlT_SL_SM_SN_E_clIS8_S8_S9_S9_EESK_S10_SL_SM_SN_EUlS10_E_NS1_11comp_targetILNS1_3genE4ELNS1_11target_archE910ELNS1_3gpuE8ELNS1_3repE0EEENS1_48merge_mergepath_partition_config_static_selectorELNS0_4arch9wavefront6targetE1EEEvSM_
    .private_segment_fixed_size: 0
    .sgpr_count:     40
    .sgpr_spill_count: 0
    .symbol:         _ZN7rocprim17ROCPRIM_400000_NS6detail17trampoline_kernelINS0_14default_configENS1_38merge_sort_block_merge_config_selectorIlNS0_10empty_typeEEEZZNS1_27merge_sort_block_merge_implIS3_PlPS5_mZN2at6native12_GLOBAL__N_124unique_dim_cuda_templateImEESt5tupleIJNSA_6TensorESF_SF_EERKSF_lbbbEUlllE_EE10hipError_tT0_T1_T2_jT3_P12ihipStream_tbPNSt15iterator_traitsISL_E10value_typeEPNSR_ISM_E10value_typeEPSN_NS1_7vsmem_tEENKUlT_SL_SM_SN_E_clIS8_S8_S9_S9_EESK_S10_SL_SM_SN_EUlS10_E_NS1_11comp_targetILNS1_3genE4ELNS1_11target_archE910ELNS1_3gpuE8ELNS1_3repE0EEENS1_48merge_mergepath_partition_config_static_selectorELNS0_4arch9wavefront6targetE1EEEvSM_.kd
    .uniform_work_group_size: 1
    .uses_dynamic_stack: false
    .vgpr_count:     23
    .vgpr_spill_count: 0
    .wavefront_size: 64
  - .agpr_count:     0
    .args:
      - .offset:         0
        .size:           56
        .value_kind:     by_value
    .group_segment_fixed_size: 0
    .kernarg_segment_align: 8
    .kernarg_segment_size: 56
    .language:       OpenCL C
    .language_version:
      - 2
      - 0
    .max_flat_workgroup_size: 128
    .name:           _ZN7rocprim17ROCPRIM_400000_NS6detail17trampoline_kernelINS0_14default_configENS1_38merge_sort_block_merge_config_selectorIlNS0_10empty_typeEEEZZNS1_27merge_sort_block_merge_implIS3_PlPS5_mZN2at6native12_GLOBAL__N_124unique_dim_cuda_templateImEESt5tupleIJNSA_6TensorESF_SF_EERKSF_lbbbEUlllE_EE10hipError_tT0_T1_T2_jT3_P12ihipStream_tbPNSt15iterator_traitsISL_E10value_typeEPNSR_ISM_E10value_typeEPSN_NS1_7vsmem_tEENKUlT_SL_SM_SN_E_clIS8_S8_S9_S9_EESK_S10_SL_SM_SN_EUlS10_E_NS1_11comp_targetILNS1_3genE3ELNS1_11target_archE908ELNS1_3gpuE7ELNS1_3repE0EEENS1_48merge_mergepath_partition_config_static_selectorELNS0_4arch9wavefront6targetE1EEEvSM_
    .private_segment_fixed_size: 0
    .sgpr_count:     4
    .sgpr_spill_count: 0
    .symbol:         _ZN7rocprim17ROCPRIM_400000_NS6detail17trampoline_kernelINS0_14default_configENS1_38merge_sort_block_merge_config_selectorIlNS0_10empty_typeEEEZZNS1_27merge_sort_block_merge_implIS3_PlPS5_mZN2at6native12_GLOBAL__N_124unique_dim_cuda_templateImEESt5tupleIJNSA_6TensorESF_SF_EERKSF_lbbbEUlllE_EE10hipError_tT0_T1_T2_jT3_P12ihipStream_tbPNSt15iterator_traitsISL_E10value_typeEPNSR_ISM_E10value_typeEPSN_NS1_7vsmem_tEENKUlT_SL_SM_SN_E_clIS8_S8_S9_S9_EESK_S10_SL_SM_SN_EUlS10_E_NS1_11comp_targetILNS1_3genE3ELNS1_11target_archE908ELNS1_3gpuE7ELNS1_3repE0EEENS1_48merge_mergepath_partition_config_static_selectorELNS0_4arch9wavefront6targetE1EEEvSM_.kd
    .uniform_work_group_size: 1
    .uses_dynamic_stack: false
    .vgpr_count:     0
    .vgpr_spill_count: 0
    .wavefront_size: 64
  - .agpr_count:     0
    .args:
      - .offset:         0
        .size:           56
        .value_kind:     by_value
    .group_segment_fixed_size: 0
    .kernarg_segment_align: 8
    .kernarg_segment_size: 56
    .language:       OpenCL C
    .language_version:
      - 2
      - 0
    .max_flat_workgroup_size: 128
    .name:           _ZN7rocprim17ROCPRIM_400000_NS6detail17trampoline_kernelINS0_14default_configENS1_38merge_sort_block_merge_config_selectorIlNS0_10empty_typeEEEZZNS1_27merge_sort_block_merge_implIS3_PlPS5_mZN2at6native12_GLOBAL__N_124unique_dim_cuda_templateImEESt5tupleIJNSA_6TensorESF_SF_EERKSF_lbbbEUlllE_EE10hipError_tT0_T1_T2_jT3_P12ihipStream_tbPNSt15iterator_traitsISL_E10value_typeEPNSR_ISM_E10value_typeEPSN_NS1_7vsmem_tEENKUlT_SL_SM_SN_E_clIS8_S8_S9_S9_EESK_S10_SL_SM_SN_EUlS10_E_NS1_11comp_targetILNS1_3genE2ELNS1_11target_archE906ELNS1_3gpuE6ELNS1_3repE0EEENS1_48merge_mergepath_partition_config_static_selectorELNS0_4arch9wavefront6targetE1EEEvSM_
    .private_segment_fixed_size: 0
    .sgpr_count:     4
    .sgpr_spill_count: 0
    .symbol:         _ZN7rocprim17ROCPRIM_400000_NS6detail17trampoline_kernelINS0_14default_configENS1_38merge_sort_block_merge_config_selectorIlNS0_10empty_typeEEEZZNS1_27merge_sort_block_merge_implIS3_PlPS5_mZN2at6native12_GLOBAL__N_124unique_dim_cuda_templateImEESt5tupleIJNSA_6TensorESF_SF_EERKSF_lbbbEUlllE_EE10hipError_tT0_T1_T2_jT3_P12ihipStream_tbPNSt15iterator_traitsISL_E10value_typeEPNSR_ISM_E10value_typeEPSN_NS1_7vsmem_tEENKUlT_SL_SM_SN_E_clIS8_S8_S9_S9_EESK_S10_SL_SM_SN_EUlS10_E_NS1_11comp_targetILNS1_3genE2ELNS1_11target_archE906ELNS1_3gpuE6ELNS1_3repE0EEENS1_48merge_mergepath_partition_config_static_selectorELNS0_4arch9wavefront6targetE1EEEvSM_.kd
    .uniform_work_group_size: 1
    .uses_dynamic_stack: false
    .vgpr_count:     0
    .vgpr_spill_count: 0
    .wavefront_size: 64
  - .agpr_count:     0
    .args:
      - .offset:         0
        .size:           56
        .value_kind:     by_value
    .group_segment_fixed_size: 0
    .kernarg_segment_align: 8
    .kernarg_segment_size: 56
    .language:       OpenCL C
    .language_version:
      - 2
      - 0
    .max_flat_workgroup_size: 128
    .name:           _ZN7rocprim17ROCPRIM_400000_NS6detail17trampoline_kernelINS0_14default_configENS1_38merge_sort_block_merge_config_selectorIlNS0_10empty_typeEEEZZNS1_27merge_sort_block_merge_implIS3_PlPS5_mZN2at6native12_GLOBAL__N_124unique_dim_cuda_templateImEESt5tupleIJNSA_6TensorESF_SF_EERKSF_lbbbEUlllE_EE10hipError_tT0_T1_T2_jT3_P12ihipStream_tbPNSt15iterator_traitsISL_E10value_typeEPNSR_ISM_E10value_typeEPSN_NS1_7vsmem_tEENKUlT_SL_SM_SN_E_clIS8_S8_S9_S9_EESK_S10_SL_SM_SN_EUlS10_E_NS1_11comp_targetILNS1_3genE9ELNS1_11target_archE1100ELNS1_3gpuE3ELNS1_3repE0EEENS1_48merge_mergepath_partition_config_static_selectorELNS0_4arch9wavefront6targetE1EEEvSM_
    .private_segment_fixed_size: 0
    .sgpr_count:     4
    .sgpr_spill_count: 0
    .symbol:         _ZN7rocprim17ROCPRIM_400000_NS6detail17trampoline_kernelINS0_14default_configENS1_38merge_sort_block_merge_config_selectorIlNS0_10empty_typeEEEZZNS1_27merge_sort_block_merge_implIS3_PlPS5_mZN2at6native12_GLOBAL__N_124unique_dim_cuda_templateImEESt5tupleIJNSA_6TensorESF_SF_EERKSF_lbbbEUlllE_EE10hipError_tT0_T1_T2_jT3_P12ihipStream_tbPNSt15iterator_traitsISL_E10value_typeEPNSR_ISM_E10value_typeEPSN_NS1_7vsmem_tEENKUlT_SL_SM_SN_E_clIS8_S8_S9_S9_EESK_S10_SL_SM_SN_EUlS10_E_NS1_11comp_targetILNS1_3genE9ELNS1_11target_archE1100ELNS1_3gpuE3ELNS1_3repE0EEENS1_48merge_mergepath_partition_config_static_selectorELNS0_4arch9wavefront6targetE1EEEvSM_.kd
    .uniform_work_group_size: 1
    .uses_dynamic_stack: false
    .vgpr_count:     0
    .vgpr_spill_count: 0
    .wavefront_size: 64
  - .agpr_count:     0
    .args:
      - .offset:         0
        .size:           56
        .value_kind:     by_value
    .group_segment_fixed_size: 0
    .kernarg_segment_align: 8
    .kernarg_segment_size: 56
    .language:       OpenCL C
    .language_version:
      - 2
      - 0
    .max_flat_workgroup_size: 128
    .name:           _ZN7rocprim17ROCPRIM_400000_NS6detail17trampoline_kernelINS0_14default_configENS1_38merge_sort_block_merge_config_selectorIlNS0_10empty_typeEEEZZNS1_27merge_sort_block_merge_implIS3_PlPS5_mZN2at6native12_GLOBAL__N_124unique_dim_cuda_templateImEESt5tupleIJNSA_6TensorESF_SF_EERKSF_lbbbEUlllE_EE10hipError_tT0_T1_T2_jT3_P12ihipStream_tbPNSt15iterator_traitsISL_E10value_typeEPNSR_ISM_E10value_typeEPSN_NS1_7vsmem_tEENKUlT_SL_SM_SN_E_clIS8_S8_S9_S9_EESK_S10_SL_SM_SN_EUlS10_E_NS1_11comp_targetILNS1_3genE8ELNS1_11target_archE1030ELNS1_3gpuE2ELNS1_3repE0EEENS1_48merge_mergepath_partition_config_static_selectorELNS0_4arch9wavefront6targetE1EEEvSM_
    .private_segment_fixed_size: 0
    .sgpr_count:     4
    .sgpr_spill_count: 0
    .symbol:         _ZN7rocprim17ROCPRIM_400000_NS6detail17trampoline_kernelINS0_14default_configENS1_38merge_sort_block_merge_config_selectorIlNS0_10empty_typeEEEZZNS1_27merge_sort_block_merge_implIS3_PlPS5_mZN2at6native12_GLOBAL__N_124unique_dim_cuda_templateImEESt5tupleIJNSA_6TensorESF_SF_EERKSF_lbbbEUlllE_EE10hipError_tT0_T1_T2_jT3_P12ihipStream_tbPNSt15iterator_traitsISL_E10value_typeEPNSR_ISM_E10value_typeEPSN_NS1_7vsmem_tEENKUlT_SL_SM_SN_E_clIS8_S8_S9_S9_EESK_S10_SL_SM_SN_EUlS10_E_NS1_11comp_targetILNS1_3genE8ELNS1_11target_archE1030ELNS1_3gpuE2ELNS1_3repE0EEENS1_48merge_mergepath_partition_config_static_selectorELNS0_4arch9wavefront6targetE1EEEvSM_.kd
    .uniform_work_group_size: 1
    .uses_dynamic_stack: false
    .vgpr_count:     0
    .vgpr_spill_count: 0
    .wavefront_size: 64
  - .agpr_count:     0
    .args:
      - .offset:         0
        .size:           88
        .value_kind:     by_value
    .group_segment_fixed_size: 0
    .kernarg_segment_align: 8
    .kernarg_segment_size: 88
    .language:       OpenCL C
    .language_version:
      - 2
      - 0
    .max_flat_workgroup_size: 128
    .name:           _ZN7rocprim17ROCPRIM_400000_NS6detail17trampoline_kernelINS0_14default_configENS1_38merge_sort_block_merge_config_selectorIlNS0_10empty_typeEEEZZNS1_27merge_sort_block_merge_implIS3_PlPS5_mZN2at6native12_GLOBAL__N_124unique_dim_cuda_templateImEESt5tupleIJNSA_6TensorESF_SF_EERKSF_lbbbEUlllE_EE10hipError_tT0_T1_T2_jT3_P12ihipStream_tbPNSt15iterator_traitsISL_E10value_typeEPNSR_ISM_E10value_typeEPSN_NS1_7vsmem_tEENKUlT_SL_SM_SN_E_clIS8_S8_S9_S9_EESK_S10_SL_SM_SN_EUlS10_E0_NS1_11comp_targetILNS1_3genE0ELNS1_11target_archE4294967295ELNS1_3gpuE0ELNS1_3repE0EEENS1_38merge_mergepath_config_static_selectorELNS0_4arch9wavefront6targetE1EEEvSM_
    .private_segment_fixed_size: 0
    .sgpr_count:     4
    .sgpr_spill_count: 0
    .symbol:         _ZN7rocprim17ROCPRIM_400000_NS6detail17trampoline_kernelINS0_14default_configENS1_38merge_sort_block_merge_config_selectorIlNS0_10empty_typeEEEZZNS1_27merge_sort_block_merge_implIS3_PlPS5_mZN2at6native12_GLOBAL__N_124unique_dim_cuda_templateImEESt5tupleIJNSA_6TensorESF_SF_EERKSF_lbbbEUlllE_EE10hipError_tT0_T1_T2_jT3_P12ihipStream_tbPNSt15iterator_traitsISL_E10value_typeEPNSR_ISM_E10value_typeEPSN_NS1_7vsmem_tEENKUlT_SL_SM_SN_E_clIS8_S8_S9_S9_EESK_S10_SL_SM_SN_EUlS10_E0_NS1_11comp_targetILNS1_3genE0ELNS1_11target_archE4294967295ELNS1_3gpuE0ELNS1_3repE0EEENS1_38merge_mergepath_config_static_selectorELNS0_4arch9wavefront6targetE1EEEvSM_.kd
    .uniform_work_group_size: 1
    .uses_dynamic_stack: false
    .vgpr_count:     0
    .vgpr_spill_count: 0
    .wavefront_size: 64
  - .agpr_count:     0
    .args:
      - .offset:         0
        .size:           88
        .value_kind:     by_value
    .group_segment_fixed_size: 0
    .kernarg_segment_align: 8
    .kernarg_segment_size: 88
    .language:       OpenCL C
    .language_version:
      - 2
      - 0
    .max_flat_workgroup_size: 512
    .name:           _ZN7rocprim17ROCPRIM_400000_NS6detail17trampoline_kernelINS0_14default_configENS1_38merge_sort_block_merge_config_selectorIlNS0_10empty_typeEEEZZNS1_27merge_sort_block_merge_implIS3_PlPS5_mZN2at6native12_GLOBAL__N_124unique_dim_cuda_templateImEESt5tupleIJNSA_6TensorESF_SF_EERKSF_lbbbEUlllE_EE10hipError_tT0_T1_T2_jT3_P12ihipStream_tbPNSt15iterator_traitsISL_E10value_typeEPNSR_ISM_E10value_typeEPSN_NS1_7vsmem_tEENKUlT_SL_SM_SN_E_clIS8_S8_S9_S9_EESK_S10_SL_SM_SN_EUlS10_E0_NS1_11comp_targetILNS1_3genE10ELNS1_11target_archE1201ELNS1_3gpuE5ELNS1_3repE0EEENS1_38merge_mergepath_config_static_selectorELNS0_4arch9wavefront6targetE1EEEvSM_
    .private_segment_fixed_size: 0
    .sgpr_count:     4
    .sgpr_spill_count: 0
    .symbol:         _ZN7rocprim17ROCPRIM_400000_NS6detail17trampoline_kernelINS0_14default_configENS1_38merge_sort_block_merge_config_selectorIlNS0_10empty_typeEEEZZNS1_27merge_sort_block_merge_implIS3_PlPS5_mZN2at6native12_GLOBAL__N_124unique_dim_cuda_templateImEESt5tupleIJNSA_6TensorESF_SF_EERKSF_lbbbEUlllE_EE10hipError_tT0_T1_T2_jT3_P12ihipStream_tbPNSt15iterator_traitsISL_E10value_typeEPNSR_ISM_E10value_typeEPSN_NS1_7vsmem_tEENKUlT_SL_SM_SN_E_clIS8_S8_S9_S9_EESK_S10_SL_SM_SN_EUlS10_E0_NS1_11comp_targetILNS1_3genE10ELNS1_11target_archE1201ELNS1_3gpuE5ELNS1_3repE0EEENS1_38merge_mergepath_config_static_selectorELNS0_4arch9wavefront6targetE1EEEvSM_.kd
    .uniform_work_group_size: 1
    .uses_dynamic_stack: false
    .vgpr_count:     0
    .vgpr_spill_count: 0
    .wavefront_size: 64
  - .agpr_count:     0
    .args:
      - .offset:         0
        .size:           88
        .value_kind:     by_value
    .group_segment_fixed_size: 0
    .kernarg_segment_align: 8
    .kernarg_segment_size: 88
    .language:       OpenCL C
    .language_version:
      - 2
      - 0
    .max_flat_workgroup_size: 128
    .name:           _ZN7rocprim17ROCPRIM_400000_NS6detail17trampoline_kernelINS0_14default_configENS1_38merge_sort_block_merge_config_selectorIlNS0_10empty_typeEEEZZNS1_27merge_sort_block_merge_implIS3_PlPS5_mZN2at6native12_GLOBAL__N_124unique_dim_cuda_templateImEESt5tupleIJNSA_6TensorESF_SF_EERKSF_lbbbEUlllE_EE10hipError_tT0_T1_T2_jT3_P12ihipStream_tbPNSt15iterator_traitsISL_E10value_typeEPNSR_ISM_E10value_typeEPSN_NS1_7vsmem_tEENKUlT_SL_SM_SN_E_clIS8_S8_S9_S9_EESK_S10_SL_SM_SN_EUlS10_E0_NS1_11comp_targetILNS1_3genE5ELNS1_11target_archE942ELNS1_3gpuE9ELNS1_3repE0EEENS1_38merge_mergepath_config_static_selectorELNS0_4arch9wavefront6targetE1EEEvSM_
    .private_segment_fixed_size: 0
    .sgpr_count:     4
    .sgpr_spill_count: 0
    .symbol:         _ZN7rocprim17ROCPRIM_400000_NS6detail17trampoline_kernelINS0_14default_configENS1_38merge_sort_block_merge_config_selectorIlNS0_10empty_typeEEEZZNS1_27merge_sort_block_merge_implIS3_PlPS5_mZN2at6native12_GLOBAL__N_124unique_dim_cuda_templateImEESt5tupleIJNSA_6TensorESF_SF_EERKSF_lbbbEUlllE_EE10hipError_tT0_T1_T2_jT3_P12ihipStream_tbPNSt15iterator_traitsISL_E10value_typeEPNSR_ISM_E10value_typeEPSN_NS1_7vsmem_tEENKUlT_SL_SM_SN_E_clIS8_S8_S9_S9_EESK_S10_SL_SM_SN_EUlS10_E0_NS1_11comp_targetILNS1_3genE5ELNS1_11target_archE942ELNS1_3gpuE9ELNS1_3repE0EEENS1_38merge_mergepath_config_static_selectorELNS0_4arch9wavefront6targetE1EEEvSM_.kd
    .uniform_work_group_size: 1
    .uses_dynamic_stack: false
    .vgpr_count:     0
    .vgpr_spill_count: 0
    .wavefront_size: 64
  - .agpr_count:     0
    .args:
      - .offset:         0
        .size:           88
        .value_kind:     by_value
      - .offset:         88
        .size:           4
        .value_kind:     hidden_block_count_x
      - .offset:         92
        .size:           4
        .value_kind:     hidden_block_count_y
      - .offset:         96
        .size:           4
        .value_kind:     hidden_block_count_z
      - .offset:         100
        .size:           2
        .value_kind:     hidden_group_size_x
      - .offset:         102
        .size:           2
        .value_kind:     hidden_group_size_y
      - .offset:         104
        .size:           2
        .value_kind:     hidden_group_size_z
      - .offset:         106
        .size:           2
        .value_kind:     hidden_remainder_x
      - .offset:         108
        .size:           2
        .value_kind:     hidden_remainder_y
      - .offset:         110
        .size:           2
        .value_kind:     hidden_remainder_z
      - .offset:         128
        .size:           8
        .value_kind:     hidden_global_offset_x
      - .offset:         136
        .size:           8
        .value_kind:     hidden_global_offset_y
      - .offset:         144
        .size:           8
        .value_kind:     hidden_global_offset_z
      - .offset:         152
        .size:           2
        .value_kind:     hidden_grid_dims
    .group_segment_fixed_size: 8448
    .kernarg_segment_align: 8
    .kernarg_segment_size: 344
    .language:       OpenCL C
    .language_version:
      - 2
      - 0
    .max_flat_workgroup_size: 256
    .name:           _ZN7rocprim17ROCPRIM_400000_NS6detail17trampoline_kernelINS0_14default_configENS1_38merge_sort_block_merge_config_selectorIlNS0_10empty_typeEEEZZNS1_27merge_sort_block_merge_implIS3_PlPS5_mZN2at6native12_GLOBAL__N_124unique_dim_cuda_templateImEESt5tupleIJNSA_6TensorESF_SF_EERKSF_lbbbEUlllE_EE10hipError_tT0_T1_T2_jT3_P12ihipStream_tbPNSt15iterator_traitsISL_E10value_typeEPNSR_ISM_E10value_typeEPSN_NS1_7vsmem_tEENKUlT_SL_SM_SN_E_clIS8_S8_S9_S9_EESK_S10_SL_SM_SN_EUlS10_E0_NS1_11comp_targetILNS1_3genE4ELNS1_11target_archE910ELNS1_3gpuE8ELNS1_3repE0EEENS1_38merge_mergepath_config_static_selectorELNS0_4arch9wavefront6targetE1EEEvSM_
    .private_segment_fixed_size: 0
    .sgpr_count:     50
    .sgpr_spill_count: 0
    .symbol:         _ZN7rocprim17ROCPRIM_400000_NS6detail17trampoline_kernelINS0_14default_configENS1_38merge_sort_block_merge_config_selectorIlNS0_10empty_typeEEEZZNS1_27merge_sort_block_merge_implIS3_PlPS5_mZN2at6native12_GLOBAL__N_124unique_dim_cuda_templateImEESt5tupleIJNSA_6TensorESF_SF_EERKSF_lbbbEUlllE_EE10hipError_tT0_T1_T2_jT3_P12ihipStream_tbPNSt15iterator_traitsISL_E10value_typeEPNSR_ISM_E10value_typeEPSN_NS1_7vsmem_tEENKUlT_SL_SM_SN_E_clIS8_S8_S9_S9_EESK_S10_SL_SM_SN_EUlS10_E0_NS1_11comp_targetILNS1_3genE4ELNS1_11target_archE910ELNS1_3gpuE8ELNS1_3repE0EEENS1_38merge_mergepath_config_static_selectorELNS0_4arch9wavefront6targetE1EEEvSM_.kd
    .uniform_work_group_size: 1
    .uses_dynamic_stack: false
    .vgpr_count:     26
    .vgpr_spill_count: 0
    .wavefront_size: 64
  - .agpr_count:     0
    .args:
      - .offset:         0
        .size:           88
        .value_kind:     by_value
    .group_segment_fixed_size: 0
    .kernarg_segment_align: 8
    .kernarg_segment_size: 88
    .language:       OpenCL C
    .language_version:
      - 2
      - 0
    .max_flat_workgroup_size: 128
    .name:           _ZN7rocprim17ROCPRIM_400000_NS6detail17trampoline_kernelINS0_14default_configENS1_38merge_sort_block_merge_config_selectorIlNS0_10empty_typeEEEZZNS1_27merge_sort_block_merge_implIS3_PlPS5_mZN2at6native12_GLOBAL__N_124unique_dim_cuda_templateImEESt5tupleIJNSA_6TensorESF_SF_EERKSF_lbbbEUlllE_EE10hipError_tT0_T1_T2_jT3_P12ihipStream_tbPNSt15iterator_traitsISL_E10value_typeEPNSR_ISM_E10value_typeEPSN_NS1_7vsmem_tEENKUlT_SL_SM_SN_E_clIS8_S8_S9_S9_EESK_S10_SL_SM_SN_EUlS10_E0_NS1_11comp_targetILNS1_3genE3ELNS1_11target_archE908ELNS1_3gpuE7ELNS1_3repE0EEENS1_38merge_mergepath_config_static_selectorELNS0_4arch9wavefront6targetE1EEEvSM_
    .private_segment_fixed_size: 0
    .sgpr_count:     4
    .sgpr_spill_count: 0
    .symbol:         _ZN7rocprim17ROCPRIM_400000_NS6detail17trampoline_kernelINS0_14default_configENS1_38merge_sort_block_merge_config_selectorIlNS0_10empty_typeEEEZZNS1_27merge_sort_block_merge_implIS3_PlPS5_mZN2at6native12_GLOBAL__N_124unique_dim_cuda_templateImEESt5tupleIJNSA_6TensorESF_SF_EERKSF_lbbbEUlllE_EE10hipError_tT0_T1_T2_jT3_P12ihipStream_tbPNSt15iterator_traitsISL_E10value_typeEPNSR_ISM_E10value_typeEPSN_NS1_7vsmem_tEENKUlT_SL_SM_SN_E_clIS8_S8_S9_S9_EESK_S10_SL_SM_SN_EUlS10_E0_NS1_11comp_targetILNS1_3genE3ELNS1_11target_archE908ELNS1_3gpuE7ELNS1_3repE0EEENS1_38merge_mergepath_config_static_selectorELNS0_4arch9wavefront6targetE1EEEvSM_.kd
    .uniform_work_group_size: 1
    .uses_dynamic_stack: false
    .vgpr_count:     0
    .vgpr_spill_count: 0
    .wavefront_size: 64
  - .agpr_count:     0
    .args:
      - .offset:         0
        .size:           88
        .value_kind:     by_value
    .group_segment_fixed_size: 0
    .kernarg_segment_align: 8
    .kernarg_segment_size: 88
    .language:       OpenCL C
    .language_version:
      - 2
      - 0
    .max_flat_workgroup_size: 256
    .name:           _ZN7rocprim17ROCPRIM_400000_NS6detail17trampoline_kernelINS0_14default_configENS1_38merge_sort_block_merge_config_selectorIlNS0_10empty_typeEEEZZNS1_27merge_sort_block_merge_implIS3_PlPS5_mZN2at6native12_GLOBAL__N_124unique_dim_cuda_templateImEESt5tupleIJNSA_6TensorESF_SF_EERKSF_lbbbEUlllE_EE10hipError_tT0_T1_T2_jT3_P12ihipStream_tbPNSt15iterator_traitsISL_E10value_typeEPNSR_ISM_E10value_typeEPSN_NS1_7vsmem_tEENKUlT_SL_SM_SN_E_clIS8_S8_S9_S9_EESK_S10_SL_SM_SN_EUlS10_E0_NS1_11comp_targetILNS1_3genE2ELNS1_11target_archE906ELNS1_3gpuE6ELNS1_3repE0EEENS1_38merge_mergepath_config_static_selectorELNS0_4arch9wavefront6targetE1EEEvSM_
    .private_segment_fixed_size: 0
    .sgpr_count:     4
    .sgpr_spill_count: 0
    .symbol:         _ZN7rocprim17ROCPRIM_400000_NS6detail17trampoline_kernelINS0_14default_configENS1_38merge_sort_block_merge_config_selectorIlNS0_10empty_typeEEEZZNS1_27merge_sort_block_merge_implIS3_PlPS5_mZN2at6native12_GLOBAL__N_124unique_dim_cuda_templateImEESt5tupleIJNSA_6TensorESF_SF_EERKSF_lbbbEUlllE_EE10hipError_tT0_T1_T2_jT3_P12ihipStream_tbPNSt15iterator_traitsISL_E10value_typeEPNSR_ISM_E10value_typeEPSN_NS1_7vsmem_tEENKUlT_SL_SM_SN_E_clIS8_S8_S9_S9_EESK_S10_SL_SM_SN_EUlS10_E0_NS1_11comp_targetILNS1_3genE2ELNS1_11target_archE906ELNS1_3gpuE6ELNS1_3repE0EEENS1_38merge_mergepath_config_static_selectorELNS0_4arch9wavefront6targetE1EEEvSM_.kd
    .uniform_work_group_size: 1
    .uses_dynamic_stack: false
    .vgpr_count:     0
    .vgpr_spill_count: 0
    .wavefront_size: 64
  - .agpr_count:     0
    .args:
      - .offset:         0
        .size:           88
        .value_kind:     by_value
    .group_segment_fixed_size: 0
    .kernarg_segment_align: 8
    .kernarg_segment_size: 88
    .language:       OpenCL C
    .language_version:
      - 2
      - 0
    .max_flat_workgroup_size: 512
    .name:           _ZN7rocprim17ROCPRIM_400000_NS6detail17trampoline_kernelINS0_14default_configENS1_38merge_sort_block_merge_config_selectorIlNS0_10empty_typeEEEZZNS1_27merge_sort_block_merge_implIS3_PlPS5_mZN2at6native12_GLOBAL__N_124unique_dim_cuda_templateImEESt5tupleIJNSA_6TensorESF_SF_EERKSF_lbbbEUlllE_EE10hipError_tT0_T1_T2_jT3_P12ihipStream_tbPNSt15iterator_traitsISL_E10value_typeEPNSR_ISM_E10value_typeEPSN_NS1_7vsmem_tEENKUlT_SL_SM_SN_E_clIS8_S8_S9_S9_EESK_S10_SL_SM_SN_EUlS10_E0_NS1_11comp_targetILNS1_3genE9ELNS1_11target_archE1100ELNS1_3gpuE3ELNS1_3repE0EEENS1_38merge_mergepath_config_static_selectorELNS0_4arch9wavefront6targetE1EEEvSM_
    .private_segment_fixed_size: 0
    .sgpr_count:     4
    .sgpr_spill_count: 0
    .symbol:         _ZN7rocprim17ROCPRIM_400000_NS6detail17trampoline_kernelINS0_14default_configENS1_38merge_sort_block_merge_config_selectorIlNS0_10empty_typeEEEZZNS1_27merge_sort_block_merge_implIS3_PlPS5_mZN2at6native12_GLOBAL__N_124unique_dim_cuda_templateImEESt5tupleIJNSA_6TensorESF_SF_EERKSF_lbbbEUlllE_EE10hipError_tT0_T1_T2_jT3_P12ihipStream_tbPNSt15iterator_traitsISL_E10value_typeEPNSR_ISM_E10value_typeEPSN_NS1_7vsmem_tEENKUlT_SL_SM_SN_E_clIS8_S8_S9_S9_EESK_S10_SL_SM_SN_EUlS10_E0_NS1_11comp_targetILNS1_3genE9ELNS1_11target_archE1100ELNS1_3gpuE3ELNS1_3repE0EEENS1_38merge_mergepath_config_static_selectorELNS0_4arch9wavefront6targetE1EEEvSM_.kd
    .uniform_work_group_size: 1
    .uses_dynamic_stack: false
    .vgpr_count:     0
    .vgpr_spill_count: 0
    .wavefront_size: 64
  - .agpr_count:     0
    .args:
      - .offset:         0
        .size:           88
        .value_kind:     by_value
    .group_segment_fixed_size: 0
    .kernarg_segment_align: 8
    .kernarg_segment_size: 88
    .language:       OpenCL C
    .language_version:
      - 2
      - 0
    .max_flat_workgroup_size: 1024
    .name:           _ZN7rocprim17ROCPRIM_400000_NS6detail17trampoline_kernelINS0_14default_configENS1_38merge_sort_block_merge_config_selectorIlNS0_10empty_typeEEEZZNS1_27merge_sort_block_merge_implIS3_PlPS5_mZN2at6native12_GLOBAL__N_124unique_dim_cuda_templateImEESt5tupleIJNSA_6TensorESF_SF_EERKSF_lbbbEUlllE_EE10hipError_tT0_T1_T2_jT3_P12ihipStream_tbPNSt15iterator_traitsISL_E10value_typeEPNSR_ISM_E10value_typeEPSN_NS1_7vsmem_tEENKUlT_SL_SM_SN_E_clIS8_S8_S9_S9_EESK_S10_SL_SM_SN_EUlS10_E0_NS1_11comp_targetILNS1_3genE8ELNS1_11target_archE1030ELNS1_3gpuE2ELNS1_3repE0EEENS1_38merge_mergepath_config_static_selectorELNS0_4arch9wavefront6targetE1EEEvSM_
    .private_segment_fixed_size: 0
    .sgpr_count:     4
    .sgpr_spill_count: 0
    .symbol:         _ZN7rocprim17ROCPRIM_400000_NS6detail17trampoline_kernelINS0_14default_configENS1_38merge_sort_block_merge_config_selectorIlNS0_10empty_typeEEEZZNS1_27merge_sort_block_merge_implIS3_PlPS5_mZN2at6native12_GLOBAL__N_124unique_dim_cuda_templateImEESt5tupleIJNSA_6TensorESF_SF_EERKSF_lbbbEUlllE_EE10hipError_tT0_T1_T2_jT3_P12ihipStream_tbPNSt15iterator_traitsISL_E10value_typeEPNSR_ISM_E10value_typeEPSN_NS1_7vsmem_tEENKUlT_SL_SM_SN_E_clIS8_S8_S9_S9_EESK_S10_SL_SM_SN_EUlS10_E0_NS1_11comp_targetILNS1_3genE8ELNS1_11target_archE1030ELNS1_3gpuE2ELNS1_3repE0EEENS1_38merge_mergepath_config_static_selectorELNS0_4arch9wavefront6targetE1EEEvSM_.kd
    .uniform_work_group_size: 1
    .uses_dynamic_stack: false
    .vgpr_count:     0
    .vgpr_spill_count: 0
    .wavefront_size: 64
  - .agpr_count:     0
    .args:
      - .offset:         0
        .size:           64
        .value_kind:     by_value
    .group_segment_fixed_size: 0
    .kernarg_segment_align: 8
    .kernarg_segment_size: 64
    .language:       OpenCL C
    .language_version:
      - 2
      - 0
    .max_flat_workgroup_size: 256
    .name:           _ZN7rocprim17ROCPRIM_400000_NS6detail17trampoline_kernelINS0_14default_configENS1_38merge_sort_block_merge_config_selectorIlNS0_10empty_typeEEEZZNS1_27merge_sort_block_merge_implIS3_PlPS5_mZN2at6native12_GLOBAL__N_124unique_dim_cuda_templateImEESt5tupleIJNSA_6TensorESF_SF_EERKSF_lbbbEUlllE_EE10hipError_tT0_T1_T2_jT3_P12ihipStream_tbPNSt15iterator_traitsISL_E10value_typeEPNSR_ISM_E10value_typeEPSN_NS1_7vsmem_tEENKUlT_SL_SM_SN_E_clIS8_S8_S9_S9_EESK_S10_SL_SM_SN_EUlS10_E1_NS1_11comp_targetILNS1_3genE0ELNS1_11target_archE4294967295ELNS1_3gpuE0ELNS1_3repE0EEENS1_36merge_oddeven_config_static_selectorELNS0_4arch9wavefront6targetE1EEEvSM_
    .private_segment_fixed_size: 0
    .sgpr_count:     4
    .sgpr_spill_count: 0
    .symbol:         _ZN7rocprim17ROCPRIM_400000_NS6detail17trampoline_kernelINS0_14default_configENS1_38merge_sort_block_merge_config_selectorIlNS0_10empty_typeEEEZZNS1_27merge_sort_block_merge_implIS3_PlPS5_mZN2at6native12_GLOBAL__N_124unique_dim_cuda_templateImEESt5tupleIJNSA_6TensorESF_SF_EERKSF_lbbbEUlllE_EE10hipError_tT0_T1_T2_jT3_P12ihipStream_tbPNSt15iterator_traitsISL_E10value_typeEPNSR_ISM_E10value_typeEPSN_NS1_7vsmem_tEENKUlT_SL_SM_SN_E_clIS8_S8_S9_S9_EESK_S10_SL_SM_SN_EUlS10_E1_NS1_11comp_targetILNS1_3genE0ELNS1_11target_archE4294967295ELNS1_3gpuE0ELNS1_3repE0EEENS1_36merge_oddeven_config_static_selectorELNS0_4arch9wavefront6targetE1EEEvSM_.kd
    .uniform_work_group_size: 1
    .uses_dynamic_stack: false
    .vgpr_count:     0
    .vgpr_spill_count: 0
    .wavefront_size: 64
  - .agpr_count:     0
    .args:
      - .offset:         0
        .size:           64
        .value_kind:     by_value
    .group_segment_fixed_size: 0
    .kernarg_segment_align: 8
    .kernarg_segment_size: 64
    .language:       OpenCL C
    .language_version:
      - 2
      - 0
    .max_flat_workgroup_size: 256
    .name:           _ZN7rocprim17ROCPRIM_400000_NS6detail17trampoline_kernelINS0_14default_configENS1_38merge_sort_block_merge_config_selectorIlNS0_10empty_typeEEEZZNS1_27merge_sort_block_merge_implIS3_PlPS5_mZN2at6native12_GLOBAL__N_124unique_dim_cuda_templateImEESt5tupleIJNSA_6TensorESF_SF_EERKSF_lbbbEUlllE_EE10hipError_tT0_T1_T2_jT3_P12ihipStream_tbPNSt15iterator_traitsISL_E10value_typeEPNSR_ISM_E10value_typeEPSN_NS1_7vsmem_tEENKUlT_SL_SM_SN_E_clIS8_S8_S9_S9_EESK_S10_SL_SM_SN_EUlS10_E1_NS1_11comp_targetILNS1_3genE10ELNS1_11target_archE1201ELNS1_3gpuE5ELNS1_3repE0EEENS1_36merge_oddeven_config_static_selectorELNS0_4arch9wavefront6targetE1EEEvSM_
    .private_segment_fixed_size: 0
    .sgpr_count:     4
    .sgpr_spill_count: 0
    .symbol:         _ZN7rocprim17ROCPRIM_400000_NS6detail17trampoline_kernelINS0_14default_configENS1_38merge_sort_block_merge_config_selectorIlNS0_10empty_typeEEEZZNS1_27merge_sort_block_merge_implIS3_PlPS5_mZN2at6native12_GLOBAL__N_124unique_dim_cuda_templateImEESt5tupleIJNSA_6TensorESF_SF_EERKSF_lbbbEUlllE_EE10hipError_tT0_T1_T2_jT3_P12ihipStream_tbPNSt15iterator_traitsISL_E10value_typeEPNSR_ISM_E10value_typeEPSN_NS1_7vsmem_tEENKUlT_SL_SM_SN_E_clIS8_S8_S9_S9_EESK_S10_SL_SM_SN_EUlS10_E1_NS1_11comp_targetILNS1_3genE10ELNS1_11target_archE1201ELNS1_3gpuE5ELNS1_3repE0EEENS1_36merge_oddeven_config_static_selectorELNS0_4arch9wavefront6targetE1EEEvSM_.kd
    .uniform_work_group_size: 1
    .uses_dynamic_stack: false
    .vgpr_count:     0
    .vgpr_spill_count: 0
    .wavefront_size: 64
  - .agpr_count:     0
    .args:
      - .offset:         0
        .size:           64
        .value_kind:     by_value
    .group_segment_fixed_size: 0
    .kernarg_segment_align: 8
    .kernarg_segment_size: 64
    .language:       OpenCL C
    .language_version:
      - 2
      - 0
    .max_flat_workgroup_size: 256
    .name:           _ZN7rocprim17ROCPRIM_400000_NS6detail17trampoline_kernelINS0_14default_configENS1_38merge_sort_block_merge_config_selectorIlNS0_10empty_typeEEEZZNS1_27merge_sort_block_merge_implIS3_PlPS5_mZN2at6native12_GLOBAL__N_124unique_dim_cuda_templateImEESt5tupleIJNSA_6TensorESF_SF_EERKSF_lbbbEUlllE_EE10hipError_tT0_T1_T2_jT3_P12ihipStream_tbPNSt15iterator_traitsISL_E10value_typeEPNSR_ISM_E10value_typeEPSN_NS1_7vsmem_tEENKUlT_SL_SM_SN_E_clIS8_S8_S9_S9_EESK_S10_SL_SM_SN_EUlS10_E1_NS1_11comp_targetILNS1_3genE5ELNS1_11target_archE942ELNS1_3gpuE9ELNS1_3repE0EEENS1_36merge_oddeven_config_static_selectorELNS0_4arch9wavefront6targetE1EEEvSM_
    .private_segment_fixed_size: 0
    .sgpr_count:     4
    .sgpr_spill_count: 0
    .symbol:         _ZN7rocprim17ROCPRIM_400000_NS6detail17trampoline_kernelINS0_14default_configENS1_38merge_sort_block_merge_config_selectorIlNS0_10empty_typeEEEZZNS1_27merge_sort_block_merge_implIS3_PlPS5_mZN2at6native12_GLOBAL__N_124unique_dim_cuda_templateImEESt5tupleIJNSA_6TensorESF_SF_EERKSF_lbbbEUlllE_EE10hipError_tT0_T1_T2_jT3_P12ihipStream_tbPNSt15iterator_traitsISL_E10value_typeEPNSR_ISM_E10value_typeEPSN_NS1_7vsmem_tEENKUlT_SL_SM_SN_E_clIS8_S8_S9_S9_EESK_S10_SL_SM_SN_EUlS10_E1_NS1_11comp_targetILNS1_3genE5ELNS1_11target_archE942ELNS1_3gpuE9ELNS1_3repE0EEENS1_36merge_oddeven_config_static_selectorELNS0_4arch9wavefront6targetE1EEEvSM_.kd
    .uniform_work_group_size: 1
    .uses_dynamic_stack: false
    .vgpr_count:     0
    .vgpr_spill_count: 0
    .wavefront_size: 64
  - .agpr_count:     0
    .args:
      - .offset:         0
        .size:           64
        .value_kind:     by_value
    .group_segment_fixed_size: 0
    .kernarg_segment_align: 8
    .kernarg_segment_size: 64
    .language:       OpenCL C
    .language_version:
      - 2
      - 0
    .max_flat_workgroup_size: 256
    .name:           _ZN7rocprim17ROCPRIM_400000_NS6detail17trampoline_kernelINS0_14default_configENS1_38merge_sort_block_merge_config_selectorIlNS0_10empty_typeEEEZZNS1_27merge_sort_block_merge_implIS3_PlPS5_mZN2at6native12_GLOBAL__N_124unique_dim_cuda_templateImEESt5tupleIJNSA_6TensorESF_SF_EERKSF_lbbbEUlllE_EE10hipError_tT0_T1_T2_jT3_P12ihipStream_tbPNSt15iterator_traitsISL_E10value_typeEPNSR_ISM_E10value_typeEPSN_NS1_7vsmem_tEENKUlT_SL_SM_SN_E_clIS8_S8_S9_S9_EESK_S10_SL_SM_SN_EUlS10_E1_NS1_11comp_targetILNS1_3genE4ELNS1_11target_archE910ELNS1_3gpuE8ELNS1_3repE0EEENS1_36merge_oddeven_config_static_selectorELNS0_4arch9wavefront6targetE1EEEvSM_
    .private_segment_fixed_size: 0
    .sgpr_count:     50
    .sgpr_spill_count: 0
    .symbol:         _ZN7rocprim17ROCPRIM_400000_NS6detail17trampoline_kernelINS0_14default_configENS1_38merge_sort_block_merge_config_selectorIlNS0_10empty_typeEEEZZNS1_27merge_sort_block_merge_implIS3_PlPS5_mZN2at6native12_GLOBAL__N_124unique_dim_cuda_templateImEESt5tupleIJNSA_6TensorESF_SF_EERKSF_lbbbEUlllE_EE10hipError_tT0_T1_T2_jT3_P12ihipStream_tbPNSt15iterator_traitsISL_E10value_typeEPNSR_ISM_E10value_typeEPSN_NS1_7vsmem_tEENKUlT_SL_SM_SN_E_clIS8_S8_S9_S9_EESK_S10_SL_SM_SN_EUlS10_E1_NS1_11comp_targetILNS1_3genE4ELNS1_11target_archE910ELNS1_3gpuE8ELNS1_3repE0EEENS1_36merge_oddeven_config_static_selectorELNS0_4arch9wavefront6targetE1EEEvSM_.kd
    .uniform_work_group_size: 1
    .uses_dynamic_stack: false
    .vgpr_count:     20
    .vgpr_spill_count: 0
    .wavefront_size: 64
  - .agpr_count:     0
    .args:
      - .offset:         0
        .size:           64
        .value_kind:     by_value
    .group_segment_fixed_size: 0
    .kernarg_segment_align: 8
    .kernarg_segment_size: 64
    .language:       OpenCL C
    .language_version:
      - 2
      - 0
    .max_flat_workgroup_size: 256
    .name:           _ZN7rocprim17ROCPRIM_400000_NS6detail17trampoline_kernelINS0_14default_configENS1_38merge_sort_block_merge_config_selectorIlNS0_10empty_typeEEEZZNS1_27merge_sort_block_merge_implIS3_PlPS5_mZN2at6native12_GLOBAL__N_124unique_dim_cuda_templateImEESt5tupleIJNSA_6TensorESF_SF_EERKSF_lbbbEUlllE_EE10hipError_tT0_T1_T2_jT3_P12ihipStream_tbPNSt15iterator_traitsISL_E10value_typeEPNSR_ISM_E10value_typeEPSN_NS1_7vsmem_tEENKUlT_SL_SM_SN_E_clIS8_S8_S9_S9_EESK_S10_SL_SM_SN_EUlS10_E1_NS1_11comp_targetILNS1_3genE3ELNS1_11target_archE908ELNS1_3gpuE7ELNS1_3repE0EEENS1_36merge_oddeven_config_static_selectorELNS0_4arch9wavefront6targetE1EEEvSM_
    .private_segment_fixed_size: 0
    .sgpr_count:     4
    .sgpr_spill_count: 0
    .symbol:         _ZN7rocprim17ROCPRIM_400000_NS6detail17trampoline_kernelINS0_14default_configENS1_38merge_sort_block_merge_config_selectorIlNS0_10empty_typeEEEZZNS1_27merge_sort_block_merge_implIS3_PlPS5_mZN2at6native12_GLOBAL__N_124unique_dim_cuda_templateImEESt5tupleIJNSA_6TensorESF_SF_EERKSF_lbbbEUlllE_EE10hipError_tT0_T1_T2_jT3_P12ihipStream_tbPNSt15iterator_traitsISL_E10value_typeEPNSR_ISM_E10value_typeEPSN_NS1_7vsmem_tEENKUlT_SL_SM_SN_E_clIS8_S8_S9_S9_EESK_S10_SL_SM_SN_EUlS10_E1_NS1_11comp_targetILNS1_3genE3ELNS1_11target_archE908ELNS1_3gpuE7ELNS1_3repE0EEENS1_36merge_oddeven_config_static_selectorELNS0_4arch9wavefront6targetE1EEEvSM_.kd
    .uniform_work_group_size: 1
    .uses_dynamic_stack: false
    .vgpr_count:     0
    .vgpr_spill_count: 0
    .wavefront_size: 64
  - .agpr_count:     0
    .args:
      - .offset:         0
        .size:           64
        .value_kind:     by_value
    .group_segment_fixed_size: 0
    .kernarg_segment_align: 8
    .kernarg_segment_size: 64
    .language:       OpenCL C
    .language_version:
      - 2
      - 0
    .max_flat_workgroup_size: 256
    .name:           _ZN7rocprim17ROCPRIM_400000_NS6detail17trampoline_kernelINS0_14default_configENS1_38merge_sort_block_merge_config_selectorIlNS0_10empty_typeEEEZZNS1_27merge_sort_block_merge_implIS3_PlPS5_mZN2at6native12_GLOBAL__N_124unique_dim_cuda_templateImEESt5tupleIJNSA_6TensorESF_SF_EERKSF_lbbbEUlllE_EE10hipError_tT0_T1_T2_jT3_P12ihipStream_tbPNSt15iterator_traitsISL_E10value_typeEPNSR_ISM_E10value_typeEPSN_NS1_7vsmem_tEENKUlT_SL_SM_SN_E_clIS8_S8_S9_S9_EESK_S10_SL_SM_SN_EUlS10_E1_NS1_11comp_targetILNS1_3genE2ELNS1_11target_archE906ELNS1_3gpuE6ELNS1_3repE0EEENS1_36merge_oddeven_config_static_selectorELNS0_4arch9wavefront6targetE1EEEvSM_
    .private_segment_fixed_size: 0
    .sgpr_count:     4
    .sgpr_spill_count: 0
    .symbol:         _ZN7rocprim17ROCPRIM_400000_NS6detail17trampoline_kernelINS0_14default_configENS1_38merge_sort_block_merge_config_selectorIlNS0_10empty_typeEEEZZNS1_27merge_sort_block_merge_implIS3_PlPS5_mZN2at6native12_GLOBAL__N_124unique_dim_cuda_templateImEESt5tupleIJNSA_6TensorESF_SF_EERKSF_lbbbEUlllE_EE10hipError_tT0_T1_T2_jT3_P12ihipStream_tbPNSt15iterator_traitsISL_E10value_typeEPNSR_ISM_E10value_typeEPSN_NS1_7vsmem_tEENKUlT_SL_SM_SN_E_clIS8_S8_S9_S9_EESK_S10_SL_SM_SN_EUlS10_E1_NS1_11comp_targetILNS1_3genE2ELNS1_11target_archE906ELNS1_3gpuE6ELNS1_3repE0EEENS1_36merge_oddeven_config_static_selectorELNS0_4arch9wavefront6targetE1EEEvSM_.kd
    .uniform_work_group_size: 1
    .uses_dynamic_stack: false
    .vgpr_count:     0
    .vgpr_spill_count: 0
    .wavefront_size: 64
  - .agpr_count:     0
    .args:
      - .offset:         0
        .size:           64
        .value_kind:     by_value
    .group_segment_fixed_size: 0
    .kernarg_segment_align: 8
    .kernarg_segment_size: 64
    .language:       OpenCL C
    .language_version:
      - 2
      - 0
    .max_flat_workgroup_size: 256
    .name:           _ZN7rocprim17ROCPRIM_400000_NS6detail17trampoline_kernelINS0_14default_configENS1_38merge_sort_block_merge_config_selectorIlNS0_10empty_typeEEEZZNS1_27merge_sort_block_merge_implIS3_PlPS5_mZN2at6native12_GLOBAL__N_124unique_dim_cuda_templateImEESt5tupleIJNSA_6TensorESF_SF_EERKSF_lbbbEUlllE_EE10hipError_tT0_T1_T2_jT3_P12ihipStream_tbPNSt15iterator_traitsISL_E10value_typeEPNSR_ISM_E10value_typeEPSN_NS1_7vsmem_tEENKUlT_SL_SM_SN_E_clIS8_S8_S9_S9_EESK_S10_SL_SM_SN_EUlS10_E1_NS1_11comp_targetILNS1_3genE9ELNS1_11target_archE1100ELNS1_3gpuE3ELNS1_3repE0EEENS1_36merge_oddeven_config_static_selectorELNS0_4arch9wavefront6targetE1EEEvSM_
    .private_segment_fixed_size: 0
    .sgpr_count:     4
    .sgpr_spill_count: 0
    .symbol:         _ZN7rocprim17ROCPRIM_400000_NS6detail17trampoline_kernelINS0_14default_configENS1_38merge_sort_block_merge_config_selectorIlNS0_10empty_typeEEEZZNS1_27merge_sort_block_merge_implIS3_PlPS5_mZN2at6native12_GLOBAL__N_124unique_dim_cuda_templateImEESt5tupleIJNSA_6TensorESF_SF_EERKSF_lbbbEUlllE_EE10hipError_tT0_T1_T2_jT3_P12ihipStream_tbPNSt15iterator_traitsISL_E10value_typeEPNSR_ISM_E10value_typeEPSN_NS1_7vsmem_tEENKUlT_SL_SM_SN_E_clIS8_S8_S9_S9_EESK_S10_SL_SM_SN_EUlS10_E1_NS1_11comp_targetILNS1_3genE9ELNS1_11target_archE1100ELNS1_3gpuE3ELNS1_3repE0EEENS1_36merge_oddeven_config_static_selectorELNS0_4arch9wavefront6targetE1EEEvSM_.kd
    .uniform_work_group_size: 1
    .uses_dynamic_stack: false
    .vgpr_count:     0
    .vgpr_spill_count: 0
    .wavefront_size: 64
  - .agpr_count:     0
    .args:
      - .offset:         0
        .size:           64
        .value_kind:     by_value
    .group_segment_fixed_size: 0
    .kernarg_segment_align: 8
    .kernarg_segment_size: 64
    .language:       OpenCL C
    .language_version:
      - 2
      - 0
    .max_flat_workgroup_size: 256
    .name:           _ZN7rocprim17ROCPRIM_400000_NS6detail17trampoline_kernelINS0_14default_configENS1_38merge_sort_block_merge_config_selectorIlNS0_10empty_typeEEEZZNS1_27merge_sort_block_merge_implIS3_PlPS5_mZN2at6native12_GLOBAL__N_124unique_dim_cuda_templateImEESt5tupleIJNSA_6TensorESF_SF_EERKSF_lbbbEUlllE_EE10hipError_tT0_T1_T2_jT3_P12ihipStream_tbPNSt15iterator_traitsISL_E10value_typeEPNSR_ISM_E10value_typeEPSN_NS1_7vsmem_tEENKUlT_SL_SM_SN_E_clIS8_S8_S9_S9_EESK_S10_SL_SM_SN_EUlS10_E1_NS1_11comp_targetILNS1_3genE8ELNS1_11target_archE1030ELNS1_3gpuE2ELNS1_3repE0EEENS1_36merge_oddeven_config_static_selectorELNS0_4arch9wavefront6targetE1EEEvSM_
    .private_segment_fixed_size: 0
    .sgpr_count:     4
    .sgpr_spill_count: 0
    .symbol:         _ZN7rocprim17ROCPRIM_400000_NS6detail17trampoline_kernelINS0_14default_configENS1_38merge_sort_block_merge_config_selectorIlNS0_10empty_typeEEEZZNS1_27merge_sort_block_merge_implIS3_PlPS5_mZN2at6native12_GLOBAL__N_124unique_dim_cuda_templateImEESt5tupleIJNSA_6TensorESF_SF_EERKSF_lbbbEUlllE_EE10hipError_tT0_T1_T2_jT3_P12ihipStream_tbPNSt15iterator_traitsISL_E10value_typeEPNSR_ISM_E10value_typeEPSN_NS1_7vsmem_tEENKUlT_SL_SM_SN_E_clIS8_S8_S9_S9_EESK_S10_SL_SM_SN_EUlS10_E1_NS1_11comp_targetILNS1_3genE8ELNS1_11target_archE1030ELNS1_3gpuE2ELNS1_3repE0EEENS1_36merge_oddeven_config_static_selectorELNS0_4arch9wavefront6targetE1EEEvSM_.kd
    .uniform_work_group_size: 1
    .uses_dynamic_stack: false
    .vgpr_count:     0
    .vgpr_spill_count: 0
    .wavefront_size: 64
  - .agpr_count:     0
    .args:
      - .offset:         0
        .size:           64
        .value_kind:     by_value
    .group_segment_fixed_size: 0
    .kernarg_segment_align: 8
    .kernarg_segment_size: 64
    .language:       OpenCL C
    .language_version:
      - 2
      - 0
    .max_flat_workgroup_size: 128
    .name:           _ZN7rocprim17ROCPRIM_400000_NS6detail17trampoline_kernelINS0_14default_configENS1_35adjacent_difference_config_selectorILb0ElEEZNS1_24adjacent_difference_implIS3_Lb0ELb0EPlS7_ZN2at6native12_GLOBAL__N_124unique_dim_cuda_templateImEESt5tupleIJNS8_6TensorESD_SD_EERKSD_lbbbEUlllE1_EE10hipError_tPvRmT2_T3_mT4_P12ihipStream_tbEUlT_E_NS1_11comp_targetILNS1_3genE0ELNS1_11target_archE4294967295ELNS1_3gpuE0ELNS1_3repE0EEENS1_30default_config_static_selectorELNS0_4arch9wavefront6targetE1EEEvT1_
    .private_segment_fixed_size: 0
    .sgpr_count:     4
    .sgpr_spill_count: 0
    .symbol:         _ZN7rocprim17ROCPRIM_400000_NS6detail17trampoline_kernelINS0_14default_configENS1_35adjacent_difference_config_selectorILb0ElEEZNS1_24adjacent_difference_implIS3_Lb0ELb0EPlS7_ZN2at6native12_GLOBAL__N_124unique_dim_cuda_templateImEESt5tupleIJNS8_6TensorESD_SD_EERKSD_lbbbEUlllE1_EE10hipError_tPvRmT2_T3_mT4_P12ihipStream_tbEUlT_E_NS1_11comp_targetILNS1_3genE0ELNS1_11target_archE4294967295ELNS1_3gpuE0ELNS1_3repE0EEENS1_30default_config_static_selectorELNS0_4arch9wavefront6targetE1EEEvT1_.kd
    .uniform_work_group_size: 1
    .uses_dynamic_stack: false
    .vgpr_count:     0
    .vgpr_spill_count: 0
    .wavefront_size: 64
  - .agpr_count:     0
    .args:
      - .offset:         0
        .size:           64
        .value_kind:     by_value
    .group_segment_fixed_size: 0
    .kernarg_segment_align: 8
    .kernarg_segment_size: 64
    .language:       OpenCL C
    .language_version:
      - 2
      - 0
    .max_flat_workgroup_size: 128
    .name:           _ZN7rocprim17ROCPRIM_400000_NS6detail17trampoline_kernelINS0_14default_configENS1_35adjacent_difference_config_selectorILb0ElEEZNS1_24adjacent_difference_implIS3_Lb0ELb0EPlS7_ZN2at6native12_GLOBAL__N_124unique_dim_cuda_templateImEESt5tupleIJNS8_6TensorESD_SD_EERKSD_lbbbEUlllE1_EE10hipError_tPvRmT2_T3_mT4_P12ihipStream_tbEUlT_E_NS1_11comp_targetILNS1_3genE10ELNS1_11target_archE1201ELNS1_3gpuE5ELNS1_3repE0EEENS1_30default_config_static_selectorELNS0_4arch9wavefront6targetE1EEEvT1_
    .private_segment_fixed_size: 0
    .sgpr_count:     4
    .sgpr_spill_count: 0
    .symbol:         _ZN7rocprim17ROCPRIM_400000_NS6detail17trampoline_kernelINS0_14default_configENS1_35adjacent_difference_config_selectorILb0ElEEZNS1_24adjacent_difference_implIS3_Lb0ELb0EPlS7_ZN2at6native12_GLOBAL__N_124unique_dim_cuda_templateImEESt5tupleIJNS8_6TensorESD_SD_EERKSD_lbbbEUlllE1_EE10hipError_tPvRmT2_T3_mT4_P12ihipStream_tbEUlT_E_NS1_11comp_targetILNS1_3genE10ELNS1_11target_archE1201ELNS1_3gpuE5ELNS1_3repE0EEENS1_30default_config_static_selectorELNS0_4arch9wavefront6targetE1EEEvT1_.kd
    .uniform_work_group_size: 1
    .uses_dynamic_stack: false
    .vgpr_count:     0
    .vgpr_spill_count: 0
    .wavefront_size: 64
  - .agpr_count:     0
    .args:
      - .offset:         0
        .size:           64
        .value_kind:     by_value
    .group_segment_fixed_size: 0
    .kernarg_segment_align: 8
    .kernarg_segment_size: 64
    .language:       OpenCL C
    .language_version:
      - 2
      - 0
    .max_flat_workgroup_size: 64
    .name:           _ZN7rocprim17ROCPRIM_400000_NS6detail17trampoline_kernelINS0_14default_configENS1_35adjacent_difference_config_selectorILb0ElEEZNS1_24adjacent_difference_implIS3_Lb0ELb0EPlS7_ZN2at6native12_GLOBAL__N_124unique_dim_cuda_templateImEESt5tupleIJNS8_6TensorESD_SD_EERKSD_lbbbEUlllE1_EE10hipError_tPvRmT2_T3_mT4_P12ihipStream_tbEUlT_E_NS1_11comp_targetILNS1_3genE5ELNS1_11target_archE942ELNS1_3gpuE9ELNS1_3repE0EEENS1_30default_config_static_selectorELNS0_4arch9wavefront6targetE1EEEvT1_
    .private_segment_fixed_size: 0
    .sgpr_count:     4
    .sgpr_spill_count: 0
    .symbol:         _ZN7rocprim17ROCPRIM_400000_NS6detail17trampoline_kernelINS0_14default_configENS1_35adjacent_difference_config_selectorILb0ElEEZNS1_24adjacent_difference_implIS3_Lb0ELb0EPlS7_ZN2at6native12_GLOBAL__N_124unique_dim_cuda_templateImEESt5tupleIJNS8_6TensorESD_SD_EERKSD_lbbbEUlllE1_EE10hipError_tPvRmT2_T3_mT4_P12ihipStream_tbEUlT_E_NS1_11comp_targetILNS1_3genE5ELNS1_11target_archE942ELNS1_3gpuE9ELNS1_3repE0EEENS1_30default_config_static_selectorELNS0_4arch9wavefront6targetE1EEEvT1_.kd
    .uniform_work_group_size: 1
    .uses_dynamic_stack: false
    .vgpr_count:     0
    .vgpr_spill_count: 0
    .wavefront_size: 64
  - .agpr_count:     0
    .args:
      - .offset:         0
        .size:           64
        .value_kind:     by_value
    .group_segment_fixed_size: 4224
    .kernarg_segment_align: 8
    .kernarg_segment_size: 64
    .language:       OpenCL C
    .language_version:
      - 2
      - 0
    .max_flat_workgroup_size: 256
    .name:           _ZN7rocprim17ROCPRIM_400000_NS6detail17trampoline_kernelINS0_14default_configENS1_35adjacent_difference_config_selectorILb0ElEEZNS1_24adjacent_difference_implIS3_Lb0ELb0EPlS7_ZN2at6native12_GLOBAL__N_124unique_dim_cuda_templateImEESt5tupleIJNS8_6TensorESD_SD_EERKSD_lbbbEUlllE1_EE10hipError_tPvRmT2_T3_mT4_P12ihipStream_tbEUlT_E_NS1_11comp_targetILNS1_3genE4ELNS1_11target_archE910ELNS1_3gpuE8ELNS1_3repE0EEENS1_30default_config_static_selectorELNS0_4arch9wavefront6targetE1EEEvT1_
    .private_segment_fixed_size: 0
    .sgpr_count:     42
    .sgpr_spill_count: 0
    .symbol:         _ZN7rocprim17ROCPRIM_400000_NS6detail17trampoline_kernelINS0_14default_configENS1_35adjacent_difference_config_selectorILb0ElEEZNS1_24adjacent_difference_implIS3_Lb0ELb0EPlS7_ZN2at6native12_GLOBAL__N_124unique_dim_cuda_templateImEESt5tupleIJNS8_6TensorESD_SD_EERKSD_lbbbEUlllE1_EE10hipError_tPvRmT2_T3_mT4_P12ihipStream_tbEUlT_E_NS1_11comp_targetILNS1_3genE4ELNS1_11target_archE910ELNS1_3gpuE8ELNS1_3repE0EEENS1_30default_config_static_selectorELNS0_4arch9wavefront6targetE1EEEvT1_.kd
    .uniform_work_group_size: 1
    .uses_dynamic_stack: false
    .vgpr_count:     20
    .vgpr_spill_count: 0
    .wavefront_size: 64
  - .agpr_count:     0
    .args:
      - .offset:         0
        .size:           64
        .value_kind:     by_value
    .group_segment_fixed_size: 0
    .kernarg_segment_align: 8
    .kernarg_segment_size: 64
    .language:       OpenCL C
    .language_version:
      - 2
      - 0
    .max_flat_workgroup_size: 128
    .name:           _ZN7rocprim17ROCPRIM_400000_NS6detail17trampoline_kernelINS0_14default_configENS1_35adjacent_difference_config_selectorILb0ElEEZNS1_24adjacent_difference_implIS3_Lb0ELb0EPlS7_ZN2at6native12_GLOBAL__N_124unique_dim_cuda_templateImEESt5tupleIJNS8_6TensorESD_SD_EERKSD_lbbbEUlllE1_EE10hipError_tPvRmT2_T3_mT4_P12ihipStream_tbEUlT_E_NS1_11comp_targetILNS1_3genE3ELNS1_11target_archE908ELNS1_3gpuE7ELNS1_3repE0EEENS1_30default_config_static_selectorELNS0_4arch9wavefront6targetE1EEEvT1_
    .private_segment_fixed_size: 0
    .sgpr_count:     4
    .sgpr_spill_count: 0
    .symbol:         _ZN7rocprim17ROCPRIM_400000_NS6detail17trampoline_kernelINS0_14default_configENS1_35adjacent_difference_config_selectorILb0ElEEZNS1_24adjacent_difference_implIS3_Lb0ELb0EPlS7_ZN2at6native12_GLOBAL__N_124unique_dim_cuda_templateImEESt5tupleIJNS8_6TensorESD_SD_EERKSD_lbbbEUlllE1_EE10hipError_tPvRmT2_T3_mT4_P12ihipStream_tbEUlT_E_NS1_11comp_targetILNS1_3genE3ELNS1_11target_archE908ELNS1_3gpuE7ELNS1_3repE0EEENS1_30default_config_static_selectorELNS0_4arch9wavefront6targetE1EEEvT1_.kd
    .uniform_work_group_size: 1
    .uses_dynamic_stack: false
    .vgpr_count:     0
    .vgpr_spill_count: 0
    .wavefront_size: 64
  - .agpr_count:     0
    .args:
      - .offset:         0
        .size:           64
        .value_kind:     by_value
    .group_segment_fixed_size: 0
    .kernarg_segment_align: 8
    .kernarg_segment_size: 64
    .language:       OpenCL C
    .language_version:
      - 2
      - 0
    .max_flat_workgroup_size: 128
    .name:           _ZN7rocprim17ROCPRIM_400000_NS6detail17trampoline_kernelINS0_14default_configENS1_35adjacent_difference_config_selectorILb0ElEEZNS1_24adjacent_difference_implIS3_Lb0ELb0EPlS7_ZN2at6native12_GLOBAL__N_124unique_dim_cuda_templateImEESt5tupleIJNS8_6TensorESD_SD_EERKSD_lbbbEUlllE1_EE10hipError_tPvRmT2_T3_mT4_P12ihipStream_tbEUlT_E_NS1_11comp_targetILNS1_3genE2ELNS1_11target_archE906ELNS1_3gpuE6ELNS1_3repE0EEENS1_30default_config_static_selectorELNS0_4arch9wavefront6targetE1EEEvT1_
    .private_segment_fixed_size: 0
    .sgpr_count:     4
    .sgpr_spill_count: 0
    .symbol:         _ZN7rocprim17ROCPRIM_400000_NS6detail17trampoline_kernelINS0_14default_configENS1_35adjacent_difference_config_selectorILb0ElEEZNS1_24adjacent_difference_implIS3_Lb0ELb0EPlS7_ZN2at6native12_GLOBAL__N_124unique_dim_cuda_templateImEESt5tupleIJNS8_6TensorESD_SD_EERKSD_lbbbEUlllE1_EE10hipError_tPvRmT2_T3_mT4_P12ihipStream_tbEUlT_E_NS1_11comp_targetILNS1_3genE2ELNS1_11target_archE906ELNS1_3gpuE6ELNS1_3repE0EEENS1_30default_config_static_selectorELNS0_4arch9wavefront6targetE1EEEvT1_.kd
    .uniform_work_group_size: 1
    .uses_dynamic_stack: false
    .vgpr_count:     0
    .vgpr_spill_count: 0
    .wavefront_size: 64
  - .agpr_count:     0
    .args:
      - .offset:         0
        .size:           64
        .value_kind:     by_value
    .group_segment_fixed_size: 0
    .kernarg_segment_align: 8
    .kernarg_segment_size: 64
    .language:       OpenCL C
    .language_version:
      - 2
      - 0
    .max_flat_workgroup_size: 512
    .name:           _ZN7rocprim17ROCPRIM_400000_NS6detail17trampoline_kernelINS0_14default_configENS1_35adjacent_difference_config_selectorILb0ElEEZNS1_24adjacent_difference_implIS3_Lb0ELb0EPlS7_ZN2at6native12_GLOBAL__N_124unique_dim_cuda_templateImEESt5tupleIJNS8_6TensorESD_SD_EERKSD_lbbbEUlllE1_EE10hipError_tPvRmT2_T3_mT4_P12ihipStream_tbEUlT_E_NS1_11comp_targetILNS1_3genE9ELNS1_11target_archE1100ELNS1_3gpuE3ELNS1_3repE0EEENS1_30default_config_static_selectorELNS0_4arch9wavefront6targetE1EEEvT1_
    .private_segment_fixed_size: 0
    .sgpr_count:     4
    .sgpr_spill_count: 0
    .symbol:         _ZN7rocprim17ROCPRIM_400000_NS6detail17trampoline_kernelINS0_14default_configENS1_35adjacent_difference_config_selectorILb0ElEEZNS1_24adjacent_difference_implIS3_Lb0ELb0EPlS7_ZN2at6native12_GLOBAL__N_124unique_dim_cuda_templateImEESt5tupleIJNS8_6TensorESD_SD_EERKSD_lbbbEUlllE1_EE10hipError_tPvRmT2_T3_mT4_P12ihipStream_tbEUlT_E_NS1_11comp_targetILNS1_3genE9ELNS1_11target_archE1100ELNS1_3gpuE3ELNS1_3repE0EEENS1_30default_config_static_selectorELNS0_4arch9wavefront6targetE1EEEvT1_.kd
    .uniform_work_group_size: 1
    .uses_dynamic_stack: false
    .vgpr_count:     0
    .vgpr_spill_count: 0
    .wavefront_size: 64
  - .agpr_count:     0
    .args:
      - .offset:         0
        .size:           64
        .value_kind:     by_value
    .group_segment_fixed_size: 0
    .kernarg_segment_align: 8
    .kernarg_segment_size: 64
    .language:       OpenCL C
    .language_version:
      - 2
      - 0
    .max_flat_workgroup_size: 1024
    .name:           _ZN7rocprim17ROCPRIM_400000_NS6detail17trampoline_kernelINS0_14default_configENS1_35adjacent_difference_config_selectorILb0ElEEZNS1_24adjacent_difference_implIS3_Lb0ELb0EPlS7_ZN2at6native12_GLOBAL__N_124unique_dim_cuda_templateImEESt5tupleIJNS8_6TensorESD_SD_EERKSD_lbbbEUlllE1_EE10hipError_tPvRmT2_T3_mT4_P12ihipStream_tbEUlT_E_NS1_11comp_targetILNS1_3genE8ELNS1_11target_archE1030ELNS1_3gpuE2ELNS1_3repE0EEENS1_30default_config_static_selectorELNS0_4arch9wavefront6targetE1EEEvT1_
    .private_segment_fixed_size: 0
    .sgpr_count:     4
    .sgpr_spill_count: 0
    .symbol:         _ZN7rocprim17ROCPRIM_400000_NS6detail17trampoline_kernelINS0_14default_configENS1_35adjacent_difference_config_selectorILb0ElEEZNS1_24adjacent_difference_implIS3_Lb0ELb0EPlS7_ZN2at6native12_GLOBAL__N_124unique_dim_cuda_templateImEESt5tupleIJNS8_6TensorESD_SD_EERKSD_lbbbEUlllE1_EE10hipError_tPvRmT2_T3_mT4_P12ihipStream_tbEUlT_E_NS1_11comp_targetILNS1_3genE8ELNS1_11target_archE1030ELNS1_3gpuE2ELNS1_3repE0EEENS1_30default_config_static_selectorELNS0_4arch9wavefront6targetE1EEEvT1_.kd
    .uniform_work_group_size: 1
    .uses_dynamic_stack: false
    .vgpr_count:     0
    .vgpr_spill_count: 0
    .wavefront_size: 64
  - .agpr_count:     0
    .args:
      - .offset:         0
        .size:           56
        .value_kind:     by_value
    .group_segment_fixed_size: 0
    .kernarg_segment_align: 8
    .kernarg_segment_size: 56
    .language:       OpenCL C
    .language_version:
      - 2
      - 0
    .max_flat_workgroup_size: 128
    .name:           _ZN7rocprim17ROCPRIM_400000_NS6detail17trampoline_kernelINS0_14default_configENS1_25transform_config_selectorIlLb0EEEZNS1_14transform_implILb0ES3_S5_NS0_18transform_iteratorINS0_17counting_iteratorImlEEZNS1_24adjacent_difference_implIS3_Lb1ELb0EPlSB_ZN2at6native12_GLOBAL__N_124unique_dim_cuda_templateImEESt5tupleIJNSC_6TensorESH_SH_EERKSH_lbbbEUlllE1_EE10hipError_tPvRmT2_T3_mT4_P12ihipStream_tbEUlmE_lEESB_NS0_8identityIvEEEESM_SP_SQ_mSR_ST_bEUlT_E_NS1_11comp_targetILNS1_3genE0ELNS1_11target_archE4294967295ELNS1_3gpuE0ELNS1_3repE0EEENS1_30default_config_static_selectorELNS0_4arch9wavefront6targetE1EEEvT1_
    .private_segment_fixed_size: 0
    .sgpr_count:     4
    .sgpr_spill_count: 0
    .symbol:         _ZN7rocprim17ROCPRIM_400000_NS6detail17trampoline_kernelINS0_14default_configENS1_25transform_config_selectorIlLb0EEEZNS1_14transform_implILb0ES3_S5_NS0_18transform_iteratorINS0_17counting_iteratorImlEEZNS1_24adjacent_difference_implIS3_Lb1ELb0EPlSB_ZN2at6native12_GLOBAL__N_124unique_dim_cuda_templateImEESt5tupleIJNSC_6TensorESH_SH_EERKSH_lbbbEUlllE1_EE10hipError_tPvRmT2_T3_mT4_P12ihipStream_tbEUlmE_lEESB_NS0_8identityIvEEEESM_SP_SQ_mSR_ST_bEUlT_E_NS1_11comp_targetILNS1_3genE0ELNS1_11target_archE4294967295ELNS1_3gpuE0ELNS1_3repE0EEENS1_30default_config_static_selectorELNS0_4arch9wavefront6targetE1EEEvT1_.kd
    .uniform_work_group_size: 1
    .uses_dynamic_stack: false
    .vgpr_count:     0
    .vgpr_spill_count: 0
    .wavefront_size: 64
  - .agpr_count:     0
    .args:
      - .offset:         0
        .size:           56
        .value_kind:     by_value
    .group_segment_fixed_size: 0
    .kernarg_segment_align: 8
    .kernarg_segment_size: 56
    .language:       OpenCL C
    .language_version:
      - 2
      - 0
    .max_flat_workgroup_size: 512
    .name:           _ZN7rocprim17ROCPRIM_400000_NS6detail17trampoline_kernelINS0_14default_configENS1_25transform_config_selectorIlLb0EEEZNS1_14transform_implILb0ES3_S5_NS0_18transform_iteratorINS0_17counting_iteratorImlEEZNS1_24adjacent_difference_implIS3_Lb1ELb0EPlSB_ZN2at6native12_GLOBAL__N_124unique_dim_cuda_templateImEESt5tupleIJNSC_6TensorESH_SH_EERKSH_lbbbEUlllE1_EE10hipError_tPvRmT2_T3_mT4_P12ihipStream_tbEUlmE_lEESB_NS0_8identityIvEEEESM_SP_SQ_mSR_ST_bEUlT_E_NS1_11comp_targetILNS1_3genE5ELNS1_11target_archE942ELNS1_3gpuE9ELNS1_3repE0EEENS1_30default_config_static_selectorELNS0_4arch9wavefront6targetE1EEEvT1_
    .private_segment_fixed_size: 0
    .sgpr_count:     4
    .sgpr_spill_count: 0
    .symbol:         _ZN7rocprim17ROCPRIM_400000_NS6detail17trampoline_kernelINS0_14default_configENS1_25transform_config_selectorIlLb0EEEZNS1_14transform_implILb0ES3_S5_NS0_18transform_iteratorINS0_17counting_iteratorImlEEZNS1_24adjacent_difference_implIS3_Lb1ELb0EPlSB_ZN2at6native12_GLOBAL__N_124unique_dim_cuda_templateImEESt5tupleIJNSC_6TensorESH_SH_EERKSH_lbbbEUlllE1_EE10hipError_tPvRmT2_T3_mT4_P12ihipStream_tbEUlmE_lEESB_NS0_8identityIvEEEESM_SP_SQ_mSR_ST_bEUlT_E_NS1_11comp_targetILNS1_3genE5ELNS1_11target_archE942ELNS1_3gpuE9ELNS1_3repE0EEENS1_30default_config_static_selectorELNS0_4arch9wavefront6targetE1EEEvT1_.kd
    .uniform_work_group_size: 1
    .uses_dynamic_stack: false
    .vgpr_count:     0
    .vgpr_spill_count: 0
    .wavefront_size: 64
  - .agpr_count:     0
    .args:
      - .offset:         0
        .size:           56
        .value_kind:     by_value
      - .offset:         56
        .size:           4
        .value_kind:     hidden_block_count_x
      - .offset:         60
        .size:           4
        .value_kind:     hidden_block_count_y
      - .offset:         64
        .size:           4
        .value_kind:     hidden_block_count_z
      - .offset:         68
        .size:           2
        .value_kind:     hidden_group_size_x
      - .offset:         70
        .size:           2
        .value_kind:     hidden_group_size_y
      - .offset:         72
        .size:           2
        .value_kind:     hidden_group_size_z
      - .offset:         74
        .size:           2
        .value_kind:     hidden_remainder_x
      - .offset:         76
        .size:           2
        .value_kind:     hidden_remainder_y
      - .offset:         78
        .size:           2
        .value_kind:     hidden_remainder_z
      - .offset:         96
        .size:           8
        .value_kind:     hidden_global_offset_x
      - .offset:         104
        .size:           8
        .value_kind:     hidden_global_offset_y
      - .offset:         112
        .size:           8
        .value_kind:     hidden_global_offset_z
      - .offset:         120
        .size:           2
        .value_kind:     hidden_grid_dims
    .group_segment_fixed_size: 0
    .kernarg_segment_align: 8
    .kernarg_segment_size: 312
    .language:       OpenCL C
    .language_version:
      - 2
      - 0
    .max_flat_workgroup_size: 256
    .name:           _ZN7rocprim17ROCPRIM_400000_NS6detail17trampoline_kernelINS0_14default_configENS1_25transform_config_selectorIlLb0EEEZNS1_14transform_implILb0ES3_S5_NS0_18transform_iteratorINS0_17counting_iteratorImlEEZNS1_24adjacent_difference_implIS3_Lb1ELb0EPlSB_ZN2at6native12_GLOBAL__N_124unique_dim_cuda_templateImEESt5tupleIJNSC_6TensorESH_SH_EERKSH_lbbbEUlllE1_EE10hipError_tPvRmT2_T3_mT4_P12ihipStream_tbEUlmE_lEESB_NS0_8identityIvEEEESM_SP_SQ_mSR_ST_bEUlT_E_NS1_11comp_targetILNS1_3genE4ELNS1_11target_archE910ELNS1_3gpuE8ELNS1_3repE0EEENS1_30default_config_static_selectorELNS0_4arch9wavefront6targetE1EEEvT1_
    .private_segment_fixed_size: 0
    .sgpr_count:     22
    .sgpr_spill_count: 0
    .symbol:         _ZN7rocprim17ROCPRIM_400000_NS6detail17trampoline_kernelINS0_14default_configENS1_25transform_config_selectorIlLb0EEEZNS1_14transform_implILb0ES3_S5_NS0_18transform_iteratorINS0_17counting_iteratorImlEEZNS1_24adjacent_difference_implIS3_Lb1ELb0EPlSB_ZN2at6native12_GLOBAL__N_124unique_dim_cuda_templateImEESt5tupleIJNSC_6TensorESH_SH_EERKSH_lbbbEUlllE1_EE10hipError_tPvRmT2_T3_mT4_P12ihipStream_tbEUlmE_lEESB_NS0_8identityIvEEEESM_SP_SQ_mSR_ST_bEUlT_E_NS1_11comp_targetILNS1_3genE4ELNS1_11target_archE910ELNS1_3gpuE8ELNS1_3repE0EEENS1_30default_config_static_selectorELNS0_4arch9wavefront6targetE1EEEvT1_.kd
    .uniform_work_group_size: 1
    .uses_dynamic_stack: false
    .vgpr_count:     10
    .vgpr_spill_count: 0
    .wavefront_size: 64
  - .agpr_count:     0
    .args:
      - .offset:         0
        .size:           56
        .value_kind:     by_value
    .group_segment_fixed_size: 0
    .kernarg_segment_align: 8
    .kernarg_segment_size: 56
    .language:       OpenCL C
    .language_version:
      - 2
      - 0
    .max_flat_workgroup_size: 128
    .name:           _ZN7rocprim17ROCPRIM_400000_NS6detail17trampoline_kernelINS0_14default_configENS1_25transform_config_selectorIlLb0EEEZNS1_14transform_implILb0ES3_S5_NS0_18transform_iteratorINS0_17counting_iteratorImlEEZNS1_24adjacent_difference_implIS3_Lb1ELb0EPlSB_ZN2at6native12_GLOBAL__N_124unique_dim_cuda_templateImEESt5tupleIJNSC_6TensorESH_SH_EERKSH_lbbbEUlllE1_EE10hipError_tPvRmT2_T3_mT4_P12ihipStream_tbEUlmE_lEESB_NS0_8identityIvEEEESM_SP_SQ_mSR_ST_bEUlT_E_NS1_11comp_targetILNS1_3genE3ELNS1_11target_archE908ELNS1_3gpuE7ELNS1_3repE0EEENS1_30default_config_static_selectorELNS0_4arch9wavefront6targetE1EEEvT1_
    .private_segment_fixed_size: 0
    .sgpr_count:     4
    .sgpr_spill_count: 0
    .symbol:         _ZN7rocprim17ROCPRIM_400000_NS6detail17trampoline_kernelINS0_14default_configENS1_25transform_config_selectorIlLb0EEEZNS1_14transform_implILb0ES3_S5_NS0_18transform_iteratorINS0_17counting_iteratorImlEEZNS1_24adjacent_difference_implIS3_Lb1ELb0EPlSB_ZN2at6native12_GLOBAL__N_124unique_dim_cuda_templateImEESt5tupleIJNSC_6TensorESH_SH_EERKSH_lbbbEUlllE1_EE10hipError_tPvRmT2_T3_mT4_P12ihipStream_tbEUlmE_lEESB_NS0_8identityIvEEEESM_SP_SQ_mSR_ST_bEUlT_E_NS1_11comp_targetILNS1_3genE3ELNS1_11target_archE908ELNS1_3gpuE7ELNS1_3repE0EEENS1_30default_config_static_selectorELNS0_4arch9wavefront6targetE1EEEvT1_.kd
    .uniform_work_group_size: 1
    .uses_dynamic_stack: false
    .vgpr_count:     0
    .vgpr_spill_count: 0
    .wavefront_size: 64
  - .agpr_count:     0
    .args:
      - .offset:         0
        .size:           56
        .value_kind:     by_value
    .group_segment_fixed_size: 0
    .kernarg_segment_align: 8
    .kernarg_segment_size: 56
    .language:       OpenCL C
    .language_version:
      - 2
      - 0
    .max_flat_workgroup_size: 512
    .name:           _ZN7rocprim17ROCPRIM_400000_NS6detail17trampoline_kernelINS0_14default_configENS1_25transform_config_selectorIlLb0EEEZNS1_14transform_implILb0ES3_S5_NS0_18transform_iteratorINS0_17counting_iteratorImlEEZNS1_24adjacent_difference_implIS3_Lb1ELb0EPlSB_ZN2at6native12_GLOBAL__N_124unique_dim_cuda_templateImEESt5tupleIJNSC_6TensorESH_SH_EERKSH_lbbbEUlllE1_EE10hipError_tPvRmT2_T3_mT4_P12ihipStream_tbEUlmE_lEESB_NS0_8identityIvEEEESM_SP_SQ_mSR_ST_bEUlT_E_NS1_11comp_targetILNS1_3genE2ELNS1_11target_archE906ELNS1_3gpuE6ELNS1_3repE0EEENS1_30default_config_static_selectorELNS0_4arch9wavefront6targetE1EEEvT1_
    .private_segment_fixed_size: 0
    .sgpr_count:     4
    .sgpr_spill_count: 0
    .symbol:         _ZN7rocprim17ROCPRIM_400000_NS6detail17trampoline_kernelINS0_14default_configENS1_25transform_config_selectorIlLb0EEEZNS1_14transform_implILb0ES3_S5_NS0_18transform_iteratorINS0_17counting_iteratorImlEEZNS1_24adjacent_difference_implIS3_Lb1ELb0EPlSB_ZN2at6native12_GLOBAL__N_124unique_dim_cuda_templateImEESt5tupleIJNSC_6TensorESH_SH_EERKSH_lbbbEUlllE1_EE10hipError_tPvRmT2_T3_mT4_P12ihipStream_tbEUlmE_lEESB_NS0_8identityIvEEEESM_SP_SQ_mSR_ST_bEUlT_E_NS1_11comp_targetILNS1_3genE2ELNS1_11target_archE906ELNS1_3gpuE6ELNS1_3repE0EEENS1_30default_config_static_selectorELNS0_4arch9wavefront6targetE1EEEvT1_.kd
    .uniform_work_group_size: 1
    .uses_dynamic_stack: false
    .vgpr_count:     0
    .vgpr_spill_count: 0
    .wavefront_size: 64
  - .agpr_count:     0
    .args:
      - .offset:         0
        .size:           56
        .value_kind:     by_value
    .group_segment_fixed_size: 0
    .kernarg_segment_align: 8
    .kernarg_segment_size: 56
    .language:       OpenCL C
    .language_version:
      - 2
      - 0
    .max_flat_workgroup_size: 1024
    .name:           _ZN7rocprim17ROCPRIM_400000_NS6detail17trampoline_kernelINS0_14default_configENS1_25transform_config_selectorIlLb0EEEZNS1_14transform_implILb0ES3_S5_NS0_18transform_iteratorINS0_17counting_iteratorImlEEZNS1_24adjacent_difference_implIS3_Lb1ELb0EPlSB_ZN2at6native12_GLOBAL__N_124unique_dim_cuda_templateImEESt5tupleIJNSC_6TensorESH_SH_EERKSH_lbbbEUlllE1_EE10hipError_tPvRmT2_T3_mT4_P12ihipStream_tbEUlmE_lEESB_NS0_8identityIvEEEESM_SP_SQ_mSR_ST_bEUlT_E_NS1_11comp_targetILNS1_3genE10ELNS1_11target_archE1201ELNS1_3gpuE5ELNS1_3repE0EEENS1_30default_config_static_selectorELNS0_4arch9wavefront6targetE1EEEvT1_
    .private_segment_fixed_size: 0
    .sgpr_count:     4
    .sgpr_spill_count: 0
    .symbol:         _ZN7rocprim17ROCPRIM_400000_NS6detail17trampoline_kernelINS0_14default_configENS1_25transform_config_selectorIlLb0EEEZNS1_14transform_implILb0ES3_S5_NS0_18transform_iteratorINS0_17counting_iteratorImlEEZNS1_24adjacent_difference_implIS3_Lb1ELb0EPlSB_ZN2at6native12_GLOBAL__N_124unique_dim_cuda_templateImEESt5tupleIJNSC_6TensorESH_SH_EERKSH_lbbbEUlllE1_EE10hipError_tPvRmT2_T3_mT4_P12ihipStream_tbEUlmE_lEESB_NS0_8identityIvEEEESM_SP_SQ_mSR_ST_bEUlT_E_NS1_11comp_targetILNS1_3genE10ELNS1_11target_archE1201ELNS1_3gpuE5ELNS1_3repE0EEENS1_30default_config_static_selectorELNS0_4arch9wavefront6targetE1EEEvT1_.kd
    .uniform_work_group_size: 1
    .uses_dynamic_stack: false
    .vgpr_count:     0
    .vgpr_spill_count: 0
    .wavefront_size: 64
  - .agpr_count:     0
    .args:
      - .offset:         0
        .size:           56
        .value_kind:     by_value
    .group_segment_fixed_size: 0
    .kernarg_segment_align: 8
    .kernarg_segment_size: 56
    .language:       OpenCL C
    .language_version:
      - 2
      - 0
    .max_flat_workgroup_size: 512
    .name:           _ZN7rocprim17ROCPRIM_400000_NS6detail17trampoline_kernelINS0_14default_configENS1_25transform_config_selectorIlLb0EEEZNS1_14transform_implILb0ES3_S5_NS0_18transform_iteratorINS0_17counting_iteratorImlEEZNS1_24adjacent_difference_implIS3_Lb1ELb0EPlSB_ZN2at6native12_GLOBAL__N_124unique_dim_cuda_templateImEESt5tupleIJNSC_6TensorESH_SH_EERKSH_lbbbEUlllE1_EE10hipError_tPvRmT2_T3_mT4_P12ihipStream_tbEUlmE_lEESB_NS0_8identityIvEEEESM_SP_SQ_mSR_ST_bEUlT_E_NS1_11comp_targetILNS1_3genE10ELNS1_11target_archE1200ELNS1_3gpuE4ELNS1_3repE0EEENS1_30default_config_static_selectorELNS0_4arch9wavefront6targetE1EEEvT1_
    .private_segment_fixed_size: 0
    .sgpr_count:     4
    .sgpr_spill_count: 0
    .symbol:         _ZN7rocprim17ROCPRIM_400000_NS6detail17trampoline_kernelINS0_14default_configENS1_25transform_config_selectorIlLb0EEEZNS1_14transform_implILb0ES3_S5_NS0_18transform_iteratorINS0_17counting_iteratorImlEEZNS1_24adjacent_difference_implIS3_Lb1ELb0EPlSB_ZN2at6native12_GLOBAL__N_124unique_dim_cuda_templateImEESt5tupleIJNSC_6TensorESH_SH_EERKSH_lbbbEUlllE1_EE10hipError_tPvRmT2_T3_mT4_P12ihipStream_tbEUlmE_lEESB_NS0_8identityIvEEEESM_SP_SQ_mSR_ST_bEUlT_E_NS1_11comp_targetILNS1_3genE10ELNS1_11target_archE1200ELNS1_3gpuE4ELNS1_3repE0EEENS1_30default_config_static_selectorELNS0_4arch9wavefront6targetE1EEEvT1_.kd
    .uniform_work_group_size: 1
    .uses_dynamic_stack: false
    .vgpr_count:     0
    .vgpr_spill_count: 0
    .wavefront_size: 64
  - .agpr_count:     0
    .args:
      - .offset:         0
        .size:           56
        .value_kind:     by_value
    .group_segment_fixed_size: 0
    .kernarg_segment_align: 8
    .kernarg_segment_size: 56
    .language:       OpenCL C
    .language_version:
      - 2
      - 0
    .max_flat_workgroup_size: 512
    .name:           _ZN7rocprim17ROCPRIM_400000_NS6detail17trampoline_kernelINS0_14default_configENS1_25transform_config_selectorIlLb0EEEZNS1_14transform_implILb0ES3_S5_NS0_18transform_iteratorINS0_17counting_iteratorImlEEZNS1_24adjacent_difference_implIS3_Lb1ELb0EPlSB_ZN2at6native12_GLOBAL__N_124unique_dim_cuda_templateImEESt5tupleIJNSC_6TensorESH_SH_EERKSH_lbbbEUlllE1_EE10hipError_tPvRmT2_T3_mT4_P12ihipStream_tbEUlmE_lEESB_NS0_8identityIvEEEESM_SP_SQ_mSR_ST_bEUlT_E_NS1_11comp_targetILNS1_3genE9ELNS1_11target_archE1100ELNS1_3gpuE3ELNS1_3repE0EEENS1_30default_config_static_selectorELNS0_4arch9wavefront6targetE1EEEvT1_
    .private_segment_fixed_size: 0
    .sgpr_count:     4
    .sgpr_spill_count: 0
    .symbol:         _ZN7rocprim17ROCPRIM_400000_NS6detail17trampoline_kernelINS0_14default_configENS1_25transform_config_selectorIlLb0EEEZNS1_14transform_implILb0ES3_S5_NS0_18transform_iteratorINS0_17counting_iteratorImlEEZNS1_24adjacent_difference_implIS3_Lb1ELb0EPlSB_ZN2at6native12_GLOBAL__N_124unique_dim_cuda_templateImEESt5tupleIJNSC_6TensorESH_SH_EERKSH_lbbbEUlllE1_EE10hipError_tPvRmT2_T3_mT4_P12ihipStream_tbEUlmE_lEESB_NS0_8identityIvEEEESM_SP_SQ_mSR_ST_bEUlT_E_NS1_11comp_targetILNS1_3genE9ELNS1_11target_archE1100ELNS1_3gpuE3ELNS1_3repE0EEENS1_30default_config_static_selectorELNS0_4arch9wavefront6targetE1EEEvT1_.kd
    .uniform_work_group_size: 1
    .uses_dynamic_stack: false
    .vgpr_count:     0
    .vgpr_spill_count: 0
    .wavefront_size: 64
  - .agpr_count:     0
    .args:
      - .offset:         0
        .size:           56
        .value_kind:     by_value
    .group_segment_fixed_size: 0
    .kernarg_segment_align: 8
    .kernarg_segment_size: 56
    .language:       OpenCL C
    .language_version:
      - 2
      - 0
    .max_flat_workgroup_size: 512
    .name:           _ZN7rocprim17ROCPRIM_400000_NS6detail17trampoline_kernelINS0_14default_configENS1_25transform_config_selectorIlLb0EEEZNS1_14transform_implILb0ES3_S5_NS0_18transform_iteratorINS0_17counting_iteratorImlEEZNS1_24adjacent_difference_implIS3_Lb1ELb0EPlSB_ZN2at6native12_GLOBAL__N_124unique_dim_cuda_templateImEESt5tupleIJNSC_6TensorESH_SH_EERKSH_lbbbEUlllE1_EE10hipError_tPvRmT2_T3_mT4_P12ihipStream_tbEUlmE_lEESB_NS0_8identityIvEEEESM_SP_SQ_mSR_ST_bEUlT_E_NS1_11comp_targetILNS1_3genE8ELNS1_11target_archE1030ELNS1_3gpuE2ELNS1_3repE0EEENS1_30default_config_static_selectorELNS0_4arch9wavefront6targetE1EEEvT1_
    .private_segment_fixed_size: 0
    .sgpr_count:     4
    .sgpr_spill_count: 0
    .symbol:         _ZN7rocprim17ROCPRIM_400000_NS6detail17trampoline_kernelINS0_14default_configENS1_25transform_config_selectorIlLb0EEEZNS1_14transform_implILb0ES3_S5_NS0_18transform_iteratorINS0_17counting_iteratorImlEEZNS1_24adjacent_difference_implIS3_Lb1ELb0EPlSB_ZN2at6native12_GLOBAL__N_124unique_dim_cuda_templateImEESt5tupleIJNSC_6TensorESH_SH_EERKSH_lbbbEUlllE1_EE10hipError_tPvRmT2_T3_mT4_P12ihipStream_tbEUlmE_lEESB_NS0_8identityIvEEEESM_SP_SQ_mSR_ST_bEUlT_E_NS1_11comp_targetILNS1_3genE8ELNS1_11target_archE1030ELNS1_3gpuE2ELNS1_3repE0EEENS1_30default_config_static_selectorELNS0_4arch9wavefront6targetE1EEEvT1_.kd
    .uniform_work_group_size: 1
    .uses_dynamic_stack: false
    .vgpr_count:     0
    .vgpr_spill_count: 0
    .wavefront_size: 64
  - .agpr_count:     0
    .args:
      - .offset:         0
        .size:           64
        .value_kind:     by_value
    .group_segment_fixed_size: 0
    .kernarg_segment_align: 8
    .kernarg_segment_size: 64
    .language:       OpenCL C
    .language_version:
      - 2
      - 0
    .max_flat_workgroup_size: 512
    .name:           _ZN7rocprim17ROCPRIM_400000_NS6detail17trampoline_kernelINS0_14default_configENS1_35adjacent_difference_config_selectorILb1ElEEZNS1_24adjacent_difference_implIS3_Lb1ELb0EPlS7_ZN2at6native12_GLOBAL__N_124unique_dim_cuda_templateImEESt5tupleIJNS8_6TensorESD_SD_EERKSD_lbbbEUlllE1_EE10hipError_tPvRmT2_T3_mT4_P12ihipStream_tbEUlT_E_NS1_11comp_targetILNS1_3genE0ELNS1_11target_archE4294967295ELNS1_3gpuE0ELNS1_3repE0EEENS1_30default_config_static_selectorELNS0_4arch9wavefront6targetE1EEEvT1_
    .private_segment_fixed_size: 0
    .sgpr_count:     4
    .sgpr_spill_count: 0
    .symbol:         _ZN7rocprim17ROCPRIM_400000_NS6detail17trampoline_kernelINS0_14default_configENS1_35adjacent_difference_config_selectorILb1ElEEZNS1_24adjacent_difference_implIS3_Lb1ELb0EPlS7_ZN2at6native12_GLOBAL__N_124unique_dim_cuda_templateImEESt5tupleIJNS8_6TensorESD_SD_EERKSD_lbbbEUlllE1_EE10hipError_tPvRmT2_T3_mT4_P12ihipStream_tbEUlT_E_NS1_11comp_targetILNS1_3genE0ELNS1_11target_archE4294967295ELNS1_3gpuE0ELNS1_3repE0EEENS1_30default_config_static_selectorELNS0_4arch9wavefront6targetE1EEEvT1_.kd
    .uniform_work_group_size: 1
    .uses_dynamic_stack: false
    .vgpr_count:     0
    .vgpr_spill_count: 0
    .wavefront_size: 64
  - .agpr_count:     0
    .args:
      - .offset:         0
        .size:           64
        .value_kind:     by_value
    .group_segment_fixed_size: 0
    .kernarg_segment_align: 8
    .kernarg_segment_size: 64
    .language:       OpenCL C
    .language_version:
      - 2
      - 0
    .max_flat_workgroup_size: 32
    .name:           _ZN7rocprim17ROCPRIM_400000_NS6detail17trampoline_kernelINS0_14default_configENS1_35adjacent_difference_config_selectorILb1ElEEZNS1_24adjacent_difference_implIS3_Lb1ELb0EPlS7_ZN2at6native12_GLOBAL__N_124unique_dim_cuda_templateImEESt5tupleIJNS8_6TensorESD_SD_EERKSD_lbbbEUlllE1_EE10hipError_tPvRmT2_T3_mT4_P12ihipStream_tbEUlT_E_NS1_11comp_targetILNS1_3genE10ELNS1_11target_archE1201ELNS1_3gpuE5ELNS1_3repE0EEENS1_30default_config_static_selectorELNS0_4arch9wavefront6targetE1EEEvT1_
    .private_segment_fixed_size: 0
    .sgpr_count:     4
    .sgpr_spill_count: 0
    .symbol:         _ZN7rocprim17ROCPRIM_400000_NS6detail17trampoline_kernelINS0_14default_configENS1_35adjacent_difference_config_selectorILb1ElEEZNS1_24adjacent_difference_implIS3_Lb1ELb0EPlS7_ZN2at6native12_GLOBAL__N_124unique_dim_cuda_templateImEESt5tupleIJNS8_6TensorESD_SD_EERKSD_lbbbEUlllE1_EE10hipError_tPvRmT2_T3_mT4_P12ihipStream_tbEUlT_E_NS1_11comp_targetILNS1_3genE10ELNS1_11target_archE1201ELNS1_3gpuE5ELNS1_3repE0EEENS1_30default_config_static_selectorELNS0_4arch9wavefront6targetE1EEEvT1_.kd
    .uniform_work_group_size: 1
    .uses_dynamic_stack: false
    .vgpr_count:     0
    .vgpr_spill_count: 0
    .wavefront_size: 64
  - .agpr_count:     0
    .args:
      - .offset:         0
        .size:           64
        .value_kind:     by_value
    .group_segment_fixed_size: 0
    .kernarg_segment_align: 8
    .kernarg_segment_size: 64
    .language:       OpenCL C
    .language_version:
      - 2
      - 0
    .max_flat_workgroup_size: 256
    .name:           _ZN7rocprim17ROCPRIM_400000_NS6detail17trampoline_kernelINS0_14default_configENS1_35adjacent_difference_config_selectorILb1ElEEZNS1_24adjacent_difference_implIS3_Lb1ELb0EPlS7_ZN2at6native12_GLOBAL__N_124unique_dim_cuda_templateImEESt5tupleIJNS8_6TensorESD_SD_EERKSD_lbbbEUlllE1_EE10hipError_tPvRmT2_T3_mT4_P12ihipStream_tbEUlT_E_NS1_11comp_targetILNS1_3genE5ELNS1_11target_archE942ELNS1_3gpuE9ELNS1_3repE0EEENS1_30default_config_static_selectorELNS0_4arch9wavefront6targetE1EEEvT1_
    .private_segment_fixed_size: 0
    .sgpr_count:     4
    .sgpr_spill_count: 0
    .symbol:         _ZN7rocprim17ROCPRIM_400000_NS6detail17trampoline_kernelINS0_14default_configENS1_35adjacent_difference_config_selectorILb1ElEEZNS1_24adjacent_difference_implIS3_Lb1ELb0EPlS7_ZN2at6native12_GLOBAL__N_124unique_dim_cuda_templateImEESt5tupleIJNS8_6TensorESD_SD_EERKSD_lbbbEUlllE1_EE10hipError_tPvRmT2_T3_mT4_P12ihipStream_tbEUlT_E_NS1_11comp_targetILNS1_3genE5ELNS1_11target_archE942ELNS1_3gpuE9ELNS1_3repE0EEENS1_30default_config_static_selectorELNS0_4arch9wavefront6targetE1EEEvT1_.kd
    .uniform_work_group_size: 1
    .uses_dynamic_stack: false
    .vgpr_count:     0
    .vgpr_spill_count: 0
    .wavefront_size: 64
  - .agpr_count:     0
    .args:
      - .offset:         0
        .size:           64
        .value_kind:     by_value
    .group_segment_fixed_size: 8448
    .kernarg_segment_align: 8
    .kernarg_segment_size: 64
    .language:       OpenCL C
    .language_version:
      - 2
      - 0
    .max_flat_workgroup_size: 512
    .name:           _ZN7rocprim17ROCPRIM_400000_NS6detail17trampoline_kernelINS0_14default_configENS1_35adjacent_difference_config_selectorILb1ElEEZNS1_24adjacent_difference_implIS3_Lb1ELb0EPlS7_ZN2at6native12_GLOBAL__N_124unique_dim_cuda_templateImEESt5tupleIJNS8_6TensorESD_SD_EERKSD_lbbbEUlllE1_EE10hipError_tPvRmT2_T3_mT4_P12ihipStream_tbEUlT_E_NS1_11comp_targetILNS1_3genE4ELNS1_11target_archE910ELNS1_3gpuE8ELNS1_3repE0EEENS1_30default_config_static_selectorELNS0_4arch9wavefront6targetE1EEEvT1_
    .private_segment_fixed_size: 0
    .sgpr_count:     42
    .sgpr_spill_count: 0
    .symbol:         _ZN7rocprim17ROCPRIM_400000_NS6detail17trampoline_kernelINS0_14default_configENS1_35adjacent_difference_config_selectorILb1ElEEZNS1_24adjacent_difference_implIS3_Lb1ELb0EPlS7_ZN2at6native12_GLOBAL__N_124unique_dim_cuda_templateImEESt5tupleIJNS8_6TensorESD_SD_EERKSD_lbbbEUlllE1_EE10hipError_tPvRmT2_T3_mT4_P12ihipStream_tbEUlT_E_NS1_11comp_targetILNS1_3genE4ELNS1_11target_archE910ELNS1_3gpuE8ELNS1_3repE0EEENS1_30default_config_static_selectorELNS0_4arch9wavefront6targetE1EEEvT1_.kd
    .uniform_work_group_size: 1
    .uses_dynamic_stack: false
    .vgpr_count:     20
    .vgpr_spill_count: 0
    .wavefront_size: 64
  - .agpr_count:     0
    .args:
      - .offset:         0
        .size:           64
        .value_kind:     by_value
    .group_segment_fixed_size: 0
    .kernarg_segment_align: 8
    .kernarg_segment_size: 64
    .language:       OpenCL C
    .language_version:
      - 2
      - 0
    .max_flat_workgroup_size: 512
    .name:           _ZN7rocprim17ROCPRIM_400000_NS6detail17trampoline_kernelINS0_14default_configENS1_35adjacent_difference_config_selectorILb1ElEEZNS1_24adjacent_difference_implIS3_Lb1ELb0EPlS7_ZN2at6native12_GLOBAL__N_124unique_dim_cuda_templateImEESt5tupleIJNS8_6TensorESD_SD_EERKSD_lbbbEUlllE1_EE10hipError_tPvRmT2_T3_mT4_P12ihipStream_tbEUlT_E_NS1_11comp_targetILNS1_3genE3ELNS1_11target_archE908ELNS1_3gpuE7ELNS1_3repE0EEENS1_30default_config_static_selectorELNS0_4arch9wavefront6targetE1EEEvT1_
    .private_segment_fixed_size: 0
    .sgpr_count:     4
    .sgpr_spill_count: 0
    .symbol:         _ZN7rocprim17ROCPRIM_400000_NS6detail17trampoline_kernelINS0_14default_configENS1_35adjacent_difference_config_selectorILb1ElEEZNS1_24adjacent_difference_implIS3_Lb1ELb0EPlS7_ZN2at6native12_GLOBAL__N_124unique_dim_cuda_templateImEESt5tupleIJNS8_6TensorESD_SD_EERKSD_lbbbEUlllE1_EE10hipError_tPvRmT2_T3_mT4_P12ihipStream_tbEUlT_E_NS1_11comp_targetILNS1_3genE3ELNS1_11target_archE908ELNS1_3gpuE7ELNS1_3repE0EEENS1_30default_config_static_selectorELNS0_4arch9wavefront6targetE1EEEvT1_.kd
    .uniform_work_group_size: 1
    .uses_dynamic_stack: false
    .vgpr_count:     0
    .vgpr_spill_count: 0
    .wavefront_size: 64
  - .agpr_count:     0
    .args:
      - .offset:         0
        .size:           64
        .value_kind:     by_value
    .group_segment_fixed_size: 0
    .kernarg_segment_align: 8
    .kernarg_segment_size: 64
    .language:       OpenCL C
    .language_version:
      - 2
      - 0
    .max_flat_workgroup_size: 128
    .name:           _ZN7rocprim17ROCPRIM_400000_NS6detail17trampoline_kernelINS0_14default_configENS1_35adjacent_difference_config_selectorILb1ElEEZNS1_24adjacent_difference_implIS3_Lb1ELb0EPlS7_ZN2at6native12_GLOBAL__N_124unique_dim_cuda_templateImEESt5tupleIJNS8_6TensorESD_SD_EERKSD_lbbbEUlllE1_EE10hipError_tPvRmT2_T3_mT4_P12ihipStream_tbEUlT_E_NS1_11comp_targetILNS1_3genE2ELNS1_11target_archE906ELNS1_3gpuE6ELNS1_3repE0EEENS1_30default_config_static_selectorELNS0_4arch9wavefront6targetE1EEEvT1_
    .private_segment_fixed_size: 0
    .sgpr_count:     4
    .sgpr_spill_count: 0
    .symbol:         _ZN7rocprim17ROCPRIM_400000_NS6detail17trampoline_kernelINS0_14default_configENS1_35adjacent_difference_config_selectorILb1ElEEZNS1_24adjacent_difference_implIS3_Lb1ELb0EPlS7_ZN2at6native12_GLOBAL__N_124unique_dim_cuda_templateImEESt5tupleIJNS8_6TensorESD_SD_EERKSD_lbbbEUlllE1_EE10hipError_tPvRmT2_T3_mT4_P12ihipStream_tbEUlT_E_NS1_11comp_targetILNS1_3genE2ELNS1_11target_archE906ELNS1_3gpuE6ELNS1_3repE0EEENS1_30default_config_static_selectorELNS0_4arch9wavefront6targetE1EEEvT1_.kd
    .uniform_work_group_size: 1
    .uses_dynamic_stack: false
    .vgpr_count:     0
    .vgpr_spill_count: 0
    .wavefront_size: 64
  - .agpr_count:     0
    .args:
      - .offset:         0
        .size:           64
        .value_kind:     by_value
    .group_segment_fixed_size: 0
    .kernarg_segment_align: 8
    .kernarg_segment_size: 64
    .language:       OpenCL C
    .language_version:
      - 2
      - 0
    .max_flat_workgroup_size: 128
    .name:           _ZN7rocprim17ROCPRIM_400000_NS6detail17trampoline_kernelINS0_14default_configENS1_35adjacent_difference_config_selectorILb1ElEEZNS1_24adjacent_difference_implIS3_Lb1ELb0EPlS7_ZN2at6native12_GLOBAL__N_124unique_dim_cuda_templateImEESt5tupleIJNS8_6TensorESD_SD_EERKSD_lbbbEUlllE1_EE10hipError_tPvRmT2_T3_mT4_P12ihipStream_tbEUlT_E_NS1_11comp_targetILNS1_3genE9ELNS1_11target_archE1100ELNS1_3gpuE3ELNS1_3repE0EEENS1_30default_config_static_selectorELNS0_4arch9wavefront6targetE1EEEvT1_
    .private_segment_fixed_size: 0
    .sgpr_count:     4
    .sgpr_spill_count: 0
    .symbol:         _ZN7rocprim17ROCPRIM_400000_NS6detail17trampoline_kernelINS0_14default_configENS1_35adjacent_difference_config_selectorILb1ElEEZNS1_24adjacent_difference_implIS3_Lb1ELb0EPlS7_ZN2at6native12_GLOBAL__N_124unique_dim_cuda_templateImEESt5tupleIJNS8_6TensorESD_SD_EERKSD_lbbbEUlllE1_EE10hipError_tPvRmT2_T3_mT4_P12ihipStream_tbEUlT_E_NS1_11comp_targetILNS1_3genE9ELNS1_11target_archE1100ELNS1_3gpuE3ELNS1_3repE0EEENS1_30default_config_static_selectorELNS0_4arch9wavefront6targetE1EEEvT1_.kd
    .uniform_work_group_size: 1
    .uses_dynamic_stack: false
    .vgpr_count:     0
    .vgpr_spill_count: 0
    .wavefront_size: 64
  - .agpr_count:     0
    .args:
      - .offset:         0
        .size:           64
        .value_kind:     by_value
    .group_segment_fixed_size: 0
    .kernarg_segment_align: 8
    .kernarg_segment_size: 64
    .language:       OpenCL C
    .language_version:
      - 2
      - 0
    .max_flat_workgroup_size: 32
    .name:           _ZN7rocprim17ROCPRIM_400000_NS6detail17trampoline_kernelINS0_14default_configENS1_35adjacent_difference_config_selectorILb1ElEEZNS1_24adjacent_difference_implIS3_Lb1ELb0EPlS7_ZN2at6native12_GLOBAL__N_124unique_dim_cuda_templateImEESt5tupleIJNS8_6TensorESD_SD_EERKSD_lbbbEUlllE1_EE10hipError_tPvRmT2_T3_mT4_P12ihipStream_tbEUlT_E_NS1_11comp_targetILNS1_3genE8ELNS1_11target_archE1030ELNS1_3gpuE2ELNS1_3repE0EEENS1_30default_config_static_selectorELNS0_4arch9wavefront6targetE1EEEvT1_
    .private_segment_fixed_size: 0
    .sgpr_count:     4
    .sgpr_spill_count: 0
    .symbol:         _ZN7rocprim17ROCPRIM_400000_NS6detail17trampoline_kernelINS0_14default_configENS1_35adjacent_difference_config_selectorILb1ElEEZNS1_24adjacent_difference_implIS3_Lb1ELb0EPlS7_ZN2at6native12_GLOBAL__N_124unique_dim_cuda_templateImEESt5tupleIJNS8_6TensorESD_SD_EERKSD_lbbbEUlllE1_EE10hipError_tPvRmT2_T3_mT4_P12ihipStream_tbEUlT_E_NS1_11comp_targetILNS1_3genE8ELNS1_11target_archE1030ELNS1_3gpuE2ELNS1_3repE0EEENS1_30default_config_static_selectorELNS0_4arch9wavefront6targetE1EEEvT1_.kd
    .uniform_work_group_size: 1
    .uses_dynamic_stack: false
    .vgpr_count:     0
    .vgpr_spill_count: 0
    .wavefront_size: 64
  - .agpr_count:     0
    .args:
      - .offset:         0
        .size:           120
        .value_kind:     by_value
    .group_segment_fixed_size: 0
    .kernarg_segment_align: 8
    .kernarg_segment_size: 120
    .language:       OpenCL C
    .language_version:
      - 2
      - 0
    .max_flat_workgroup_size: 512
    .name:           _ZN7rocprim17ROCPRIM_400000_NS6detail17trampoline_kernelINS0_14default_configENS1_25partition_config_selectorILNS1_17partition_subalgoE8ElNS0_10empty_typeEbEEZZNS1_14partition_implILS5_8ELb0ES3_jPlPS6_PKS6_NS0_5tupleIJS9_S6_EEENSD_IJSA_SA_EEENS0_18inequality_wrapperIZN2at6native12_GLOBAL__N_124unique_dim_cuda_templateImEESt5tupleIJNSH_6TensorESM_SM_EERKSM_lbbbEUlllE0_EEPmJS6_EEE10hipError_tPvRmT3_T4_T5_T6_T7_T9_mT8_P12ihipStream_tbDpT10_ENKUlT_T0_E_clISt17integral_constantIbLb0EES1C_EEDaS17_S18_EUlS17_E_NS1_11comp_targetILNS1_3genE0ELNS1_11target_archE4294967295ELNS1_3gpuE0ELNS1_3repE0EEENS1_30default_config_static_selectorELNS0_4arch9wavefront6targetE1EEEvT1_
    .private_segment_fixed_size: 0
    .sgpr_count:     4
    .sgpr_spill_count: 0
    .symbol:         _ZN7rocprim17ROCPRIM_400000_NS6detail17trampoline_kernelINS0_14default_configENS1_25partition_config_selectorILNS1_17partition_subalgoE8ElNS0_10empty_typeEbEEZZNS1_14partition_implILS5_8ELb0ES3_jPlPS6_PKS6_NS0_5tupleIJS9_S6_EEENSD_IJSA_SA_EEENS0_18inequality_wrapperIZN2at6native12_GLOBAL__N_124unique_dim_cuda_templateImEESt5tupleIJNSH_6TensorESM_SM_EERKSM_lbbbEUlllE0_EEPmJS6_EEE10hipError_tPvRmT3_T4_T5_T6_T7_T9_mT8_P12ihipStream_tbDpT10_ENKUlT_T0_E_clISt17integral_constantIbLb0EES1C_EEDaS17_S18_EUlS17_E_NS1_11comp_targetILNS1_3genE0ELNS1_11target_archE4294967295ELNS1_3gpuE0ELNS1_3repE0EEENS1_30default_config_static_selectorELNS0_4arch9wavefront6targetE1EEEvT1_.kd
    .uniform_work_group_size: 1
    .uses_dynamic_stack: false
    .vgpr_count:     0
    .vgpr_spill_count: 0
    .wavefront_size: 64
  - .agpr_count:     0
    .args:
      - .offset:         0
        .size:           120
        .value_kind:     by_value
    .group_segment_fixed_size: 0
    .kernarg_segment_align: 8
    .kernarg_segment_size: 120
    .language:       OpenCL C
    .language_version:
      - 2
      - 0
    .max_flat_workgroup_size: 512
    .name:           _ZN7rocprim17ROCPRIM_400000_NS6detail17trampoline_kernelINS0_14default_configENS1_25partition_config_selectorILNS1_17partition_subalgoE8ElNS0_10empty_typeEbEEZZNS1_14partition_implILS5_8ELb0ES3_jPlPS6_PKS6_NS0_5tupleIJS9_S6_EEENSD_IJSA_SA_EEENS0_18inequality_wrapperIZN2at6native12_GLOBAL__N_124unique_dim_cuda_templateImEESt5tupleIJNSH_6TensorESM_SM_EERKSM_lbbbEUlllE0_EEPmJS6_EEE10hipError_tPvRmT3_T4_T5_T6_T7_T9_mT8_P12ihipStream_tbDpT10_ENKUlT_T0_E_clISt17integral_constantIbLb0EES1C_EEDaS17_S18_EUlS17_E_NS1_11comp_targetILNS1_3genE5ELNS1_11target_archE942ELNS1_3gpuE9ELNS1_3repE0EEENS1_30default_config_static_selectorELNS0_4arch9wavefront6targetE1EEEvT1_
    .private_segment_fixed_size: 0
    .sgpr_count:     4
    .sgpr_spill_count: 0
    .symbol:         _ZN7rocprim17ROCPRIM_400000_NS6detail17trampoline_kernelINS0_14default_configENS1_25partition_config_selectorILNS1_17partition_subalgoE8ElNS0_10empty_typeEbEEZZNS1_14partition_implILS5_8ELb0ES3_jPlPS6_PKS6_NS0_5tupleIJS9_S6_EEENSD_IJSA_SA_EEENS0_18inequality_wrapperIZN2at6native12_GLOBAL__N_124unique_dim_cuda_templateImEESt5tupleIJNSH_6TensorESM_SM_EERKSM_lbbbEUlllE0_EEPmJS6_EEE10hipError_tPvRmT3_T4_T5_T6_T7_T9_mT8_P12ihipStream_tbDpT10_ENKUlT_T0_E_clISt17integral_constantIbLb0EES1C_EEDaS17_S18_EUlS17_E_NS1_11comp_targetILNS1_3genE5ELNS1_11target_archE942ELNS1_3gpuE9ELNS1_3repE0EEENS1_30default_config_static_selectorELNS0_4arch9wavefront6targetE1EEEvT1_.kd
    .uniform_work_group_size: 1
    .uses_dynamic_stack: false
    .vgpr_count:     0
    .vgpr_spill_count: 0
    .wavefront_size: 64
  - .agpr_count:     0
    .args:
      - .offset:         0
        .size:           120
        .value_kind:     by_value
    .group_segment_fixed_size: 10252
    .kernarg_segment_align: 8
    .kernarg_segment_size: 120
    .language:       OpenCL C
    .language_version:
      - 2
      - 0
    .max_flat_workgroup_size: 256
    .name:           _ZN7rocprim17ROCPRIM_400000_NS6detail17trampoline_kernelINS0_14default_configENS1_25partition_config_selectorILNS1_17partition_subalgoE8ElNS0_10empty_typeEbEEZZNS1_14partition_implILS5_8ELb0ES3_jPlPS6_PKS6_NS0_5tupleIJS9_S6_EEENSD_IJSA_SA_EEENS0_18inequality_wrapperIZN2at6native12_GLOBAL__N_124unique_dim_cuda_templateImEESt5tupleIJNSH_6TensorESM_SM_EERKSM_lbbbEUlllE0_EEPmJS6_EEE10hipError_tPvRmT3_T4_T5_T6_T7_T9_mT8_P12ihipStream_tbDpT10_ENKUlT_T0_E_clISt17integral_constantIbLb0EES1C_EEDaS17_S18_EUlS17_E_NS1_11comp_targetILNS1_3genE4ELNS1_11target_archE910ELNS1_3gpuE8ELNS1_3repE0EEENS1_30default_config_static_selectorELNS0_4arch9wavefront6targetE1EEEvT1_
    .private_segment_fixed_size: 0
    .sgpr_count:     52
    .sgpr_spill_count: 0
    .symbol:         _ZN7rocprim17ROCPRIM_400000_NS6detail17trampoline_kernelINS0_14default_configENS1_25partition_config_selectorILNS1_17partition_subalgoE8ElNS0_10empty_typeEbEEZZNS1_14partition_implILS5_8ELb0ES3_jPlPS6_PKS6_NS0_5tupleIJS9_S6_EEENSD_IJSA_SA_EEENS0_18inequality_wrapperIZN2at6native12_GLOBAL__N_124unique_dim_cuda_templateImEESt5tupleIJNSH_6TensorESM_SM_EERKSM_lbbbEUlllE0_EEPmJS6_EEE10hipError_tPvRmT3_T4_T5_T6_T7_T9_mT8_P12ihipStream_tbDpT10_ENKUlT_T0_E_clISt17integral_constantIbLb0EES1C_EEDaS17_S18_EUlS17_E_NS1_11comp_targetILNS1_3genE4ELNS1_11target_archE910ELNS1_3gpuE8ELNS1_3repE0EEENS1_30default_config_static_selectorELNS0_4arch9wavefront6targetE1EEEvT1_.kd
    .uniform_work_group_size: 1
    .uses_dynamic_stack: false
    .vgpr_count:     46
    .vgpr_spill_count: 0
    .wavefront_size: 64
  - .agpr_count:     0
    .args:
      - .offset:         0
        .size:           120
        .value_kind:     by_value
    .group_segment_fixed_size: 0
    .kernarg_segment_align: 8
    .kernarg_segment_size: 120
    .language:       OpenCL C
    .language_version:
      - 2
      - 0
    .max_flat_workgroup_size: 512
    .name:           _ZN7rocprim17ROCPRIM_400000_NS6detail17trampoline_kernelINS0_14default_configENS1_25partition_config_selectorILNS1_17partition_subalgoE8ElNS0_10empty_typeEbEEZZNS1_14partition_implILS5_8ELb0ES3_jPlPS6_PKS6_NS0_5tupleIJS9_S6_EEENSD_IJSA_SA_EEENS0_18inequality_wrapperIZN2at6native12_GLOBAL__N_124unique_dim_cuda_templateImEESt5tupleIJNSH_6TensorESM_SM_EERKSM_lbbbEUlllE0_EEPmJS6_EEE10hipError_tPvRmT3_T4_T5_T6_T7_T9_mT8_P12ihipStream_tbDpT10_ENKUlT_T0_E_clISt17integral_constantIbLb0EES1C_EEDaS17_S18_EUlS17_E_NS1_11comp_targetILNS1_3genE3ELNS1_11target_archE908ELNS1_3gpuE7ELNS1_3repE0EEENS1_30default_config_static_selectorELNS0_4arch9wavefront6targetE1EEEvT1_
    .private_segment_fixed_size: 0
    .sgpr_count:     4
    .sgpr_spill_count: 0
    .symbol:         _ZN7rocprim17ROCPRIM_400000_NS6detail17trampoline_kernelINS0_14default_configENS1_25partition_config_selectorILNS1_17partition_subalgoE8ElNS0_10empty_typeEbEEZZNS1_14partition_implILS5_8ELb0ES3_jPlPS6_PKS6_NS0_5tupleIJS9_S6_EEENSD_IJSA_SA_EEENS0_18inequality_wrapperIZN2at6native12_GLOBAL__N_124unique_dim_cuda_templateImEESt5tupleIJNSH_6TensorESM_SM_EERKSM_lbbbEUlllE0_EEPmJS6_EEE10hipError_tPvRmT3_T4_T5_T6_T7_T9_mT8_P12ihipStream_tbDpT10_ENKUlT_T0_E_clISt17integral_constantIbLb0EES1C_EEDaS17_S18_EUlS17_E_NS1_11comp_targetILNS1_3genE3ELNS1_11target_archE908ELNS1_3gpuE7ELNS1_3repE0EEENS1_30default_config_static_selectorELNS0_4arch9wavefront6targetE1EEEvT1_.kd
    .uniform_work_group_size: 1
    .uses_dynamic_stack: false
    .vgpr_count:     0
    .vgpr_spill_count: 0
    .wavefront_size: 64
  - .agpr_count:     0
    .args:
      - .offset:         0
        .size:           120
        .value_kind:     by_value
    .group_segment_fixed_size: 0
    .kernarg_segment_align: 8
    .kernarg_segment_size: 120
    .language:       OpenCL C
    .language_version:
      - 2
      - 0
    .max_flat_workgroup_size: 256
    .name:           _ZN7rocprim17ROCPRIM_400000_NS6detail17trampoline_kernelINS0_14default_configENS1_25partition_config_selectorILNS1_17partition_subalgoE8ElNS0_10empty_typeEbEEZZNS1_14partition_implILS5_8ELb0ES3_jPlPS6_PKS6_NS0_5tupleIJS9_S6_EEENSD_IJSA_SA_EEENS0_18inequality_wrapperIZN2at6native12_GLOBAL__N_124unique_dim_cuda_templateImEESt5tupleIJNSH_6TensorESM_SM_EERKSM_lbbbEUlllE0_EEPmJS6_EEE10hipError_tPvRmT3_T4_T5_T6_T7_T9_mT8_P12ihipStream_tbDpT10_ENKUlT_T0_E_clISt17integral_constantIbLb0EES1C_EEDaS17_S18_EUlS17_E_NS1_11comp_targetILNS1_3genE2ELNS1_11target_archE906ELNS1_3gpuE6ELNS1_3repE0EEENS1_30default_config_static_selectorELNS0_4arch9wavefront6targetE1EEEvT1_
    .private_segment_fixed_size: 0
    .sgpr_count:     4
    .sgpr_spill_count: 0
    .symbol:         _ZN7rocprim17ROCPRIM_400000_NS6detail17trampoline_kernelINS0_14default_configENS1_25partition_config_selectorILNS1_17partition_subalgoE8ElNS0_10empty_typeEbEEZZNS1_14partition_implILS5_8ELb0ES3_jPlPS6_PKS6_NS0_5tupleIJS9_S6_EEENSD_IJSA_SA_EEENS0_18inequality_wrapperIZN2at6native12_GLOBAL__N_124unique_dim_cuda_templateImEESt5tupleIJNSH_6TensorESM_SM_EERKSM_lbbbEUlllE0_EEPmJS6_EEE10hipError_tPvRmT3_T4_T5_T6_T7_T9_mT8_P12ihipStream_tbDpT10_ENKUlT_T0_E_clISt17integral_constantIbLb0EES1C_EEDaS17_S18_EUlS17_E_NS1_11comp_targetILNS1_3genE2ELNS1_11target_archE906ELNS1_3gpuE6ELNS1_3repE0EEENS1_30default_config_static_selectorELNS0_4arch9wavefront6targetE1EEEvT1_.kd
    .uniform_work_group_size: 1
    .uses_dynamic_stack: false
    .vgpr_count:     0
    .vgpr_spill_count: 0
    .wavefront_size: 64
  - .agpr_count:     0
    .args:
      - .offset:         0
        .size:           120
        .value_kind:     by_value
    .group_segment_fixed_size: 0
    .kernarg_segment_align: 8
    .kernarg_segment_size: 120
    .language:       OpenCL C
    .language_version:
      - 2
      - 0
    .max_flat_workgroup_size: 384
    .name:           _ZN7rocprim17ROCPRIM_400000_NS6detail17trampoline_kernelINS0_14default_configENS1_25partition_config_selectorILNS1_17partition_subalgoE8ElNS0_10empty_typeEbEEZZNS1_14partition_implILS5_8ELb0ES3_jPlPS6_PKS6_NS0_5tupleIJS9_S6_EEENSD_IJSA_SA_EEENS0_18inequality_wrapperIZN2at6native12_GLOBAL__N_124unique_dim_cuda_templateImEESt5tupleIJNSH_6TensorESM_SM_EERKSM_lbbbEUlllE0_EEPmJS6_EEE10hipError_tPvRmT3_T4_T5_T6_T7_T9_mT8_P12ihipStream_tbDpT10_ENKUlT_T0_E_clISt17integral_constantIbLb0EES1C_EEDaS17_S18_EUlS17_E_NS1_11comp_targetILNS1_3genE10ELNS1_11target_archE1200ELNS1_3gpuE4ELNS1_3repE0EEENS1_30default_config_static_selectorELNS0_4arch9wavefront6targetE1EEEvT1_
    .private_segment_fixed_size: 0
    .sgpr_count:     4
    .sgpr_spill_count: 0
    .symbol:         _ZN7rocprim17ROCPRIM_400000_NS6detail17trampoline_kernelINS0_14default_configENS1_25partition_config_selectorILNS1_17partition_subalgoE8ElNS0_10empty_typeEbEEZZNS1_14partition_implILS5_8ELb0ES3_jPlPS6_PKS6_NS0_5tupleIJS9_S6_EEENSD_IJSA_SA_EEENS0_18inequality_wrapperIZN2at6native12_GLOBAL__N_124unique_dim_cuda_templateImEESt5tupleIJNSH_6TensorESM_SM_EERKSM_lbbbEUlllE0_EEPmJS6_EEE10hipError_tPvRmT3_T4_T5_T6_T7_T9_mT8_P12ihipStream_tbDpT10_ENKUlT_T0_E_clISt17integral_constantIbLb0EES1C_EEDaS17_S18_EUlS17_E_NS1_11comp_targetILNS1_3genE10ELNS1_11target_archE1200ELNS1_3gpuE4ELNS1_3repE0EEENS1_30default_config_static_selectorELNS0_4arch9wavefront6targetE1EEEvT1_.kd
    .uniform_work_group_size: 1
    .uses_dynamic_stack: false
    .vgpr_count:     0
    .vgpr_spill_count: 0
    .wavefront_size: 64
  - .agpr_count:     0
    .args:
      - .offset:         0
        .size:           120
        .value_kind:     by_value
    .group_segment_fixed_size: 0
    .kernarg_segment_align: 8
    .kernarg_segment_size: 120
    .language:       OpenCL C
    .language_version:
      - 2
      - 0
    .max_flat_workgroup_size: 512
    .name:           _ZN7rocprim17ROCPRIM_400000_NS6detail17trampoline_kernelINS0_14default_configENS1_25partition_config_selectorILNS1_17partition_subalgoE8ElNS0_10empty_typeEbEEZZNS1_14partition_implILS5_8ELb0ES3_jPlPS6_PKS6_NS0_5tupleIJS9_S6_EEENSD_IJSA_SA_EEENS0_18inequality_wrapperIZN2at6native12_GLOBAL__N_124unique_dim_cuda_templateImEESt5tupleIJNSH_6TensorESM_SM_EERKSM_lbbbEUlllE0_EEPmJS6_EEE10hipError_tPvRmT3_T4_T5_T6_T7_T9_mT8_P12ihipStream_tbDpT10_ENKUlT_T0_E_clISt17integral_constantIbLb0EES1C_EEDaS17_S18_EUlS17_E_NS1_11comp_targetILNS1_3genE9ELNS1_11target_archE1100ELNS1_3gpuE3ELNS1_3repE0EEENS1_30default_config_static_selectorELNS0_4arch9wavefront6targetE1EEEvT1_
    .private_segment_fixed_size: 0
    .sgpr_count:     4
    .sgpr_spill_count: 0
    .symbol:         _ZN7rocprim17ROCPRIM_400000_NS6detail17trampoline_kernelINS0_14default_configENS1_25partition_config_selectorILNS1_17partition_subalgoE8ElNS0_10empty_typeEbEEZZNS1_14partition_implILS5_8ELb0ES3_jPlPS6_PKS6_NS0_5tupleIJS9_S6_EEENSD_IJSA_SA_EEENS0_18inequality_wrapperIZN2at6native12_GLOBAL__N_124unique_dim_cuda_templateImEESt5tupleIJNSH_6TensorESM_SM_EERKSM_lbbbEUlllE0_EEPmJS6_EEE10hipError_tPvRmT3_T4_T5_T6_T7_T9_mT8_P12ihipStream_tbDpT10_ENKUlT_T0_E_clISt17integral_constantIbLb0EES1C_EEDaS17_S18_EUlS17_E_NS1_11comp_targetILNS1_3genE9ELNS1_11target_archE1100ELNS1_3gpuE3ELNS1_3repE0EEENS1_30default_config_static_selectorELNS0_4arch9wavefront6targetE1EEEvT1_.kd
    .uniform_work_group_size: 1
    .uses_dynamic_stack: false
    .vgpr_count:     0
    .vgpr_spill_count: 0
    .wavefront_size: 64
  - .agpr_count:     0
    .args:
      - .offset:         0
        .size:           120
        .value_kind:     by_value
    .group_segment_fixed_size: 0
    .kernarg_segment_align: 8
    .kernarg_segment_size: 120
    .language:       OpenCL C
    .language_version:
      - 2
      - 0
    .max_flat_workgroup_size: 512
    .name:           _ZN7rocprim17ROCPRIM_400000_NS6detail17trampoline_kernelINS0_14default_configENS1_25partition_config_selectorILNS1_17partition_subalgoE8ElNS0_10empty_typeEbEEZZNS1_14partition_implILS5_8ELb0ES3_jPlPS6_PKS6_NS0_5tupleIJS9_S6_EEENSD_IJSA_SA_EEENS0_18inequality_wrapperIZN2at6native12_GLOBAL__N_124unique_dim_cuda_templateImEESt5tupleIJNSH_6TensorESM_SM_EERKSM_lbbbEUlllE0_EEPmJS6_EEE10hipError_tPvRmT3_T4_T5_T6_T7_T9_mT8_P12ihipStream_tbDpT10_ENKUlT_T0_E_clISt17integral_constantIbLb0EES1C_EEDaS17_S18_EUlS17_E_NS1_11comp_targetILNS1_3genE8ELNS1_11target_archE1030ELNS1_3gpuE2ELNS1_3repE0EEENS1_30default_config_static_selectorELNS0_4arch9wavefront6targetE1EEEvT1_
    .private_segment_fixed_size: 0
    .sgpr_count:     4
    .sgpr_spill_count: 0
    .symbol:         _ZN7rocprim17ROCPRIM_400000_NS6detail17trampoline_kernelINS0_14default_configENS1_25partition_config_selectorILNS1_17partition_subalgoE8ElNS0_10empty_typeEbEEZZNS1_14partition_implILS5_8ELb0ES3_jPlPS6_PKS6_NS0_5tupleIJS9_S6_EEENSD_IJSA_SA_EEENS0_18inequality_wrapperIZN2at6native12_GLOBAL__N_124unique_dim_cuda_templateImEESt5tupleIJNSH_6TensorESM_SM_EERKSM_lbbbEUlllE0_EEPmJS6_EEE10hipError_tPvRmT3_T4_T5_T6_T7_T9_mT8_P12ihipStream_tbDpT10_ENKUlT_T0_E_clISt17integral_constantIbLb0EES1C_EEDaS17_S18_EUlS17_E_NS1_11comp_targetILNS1_3genE8ELNS1_11target_archE1030ELNS1_3gpuE2ELNS1_3repE0EEENS1_30default_config_static_selectorELNS0_4arch9wavefront6targetE1EEEvT1_.kd
    .uniform_work_group_size: 1
    .uses_dynamic_stack: false
    .vgpr_count:     0
    .vgpr_spill_count: 0
    .wavefront_size: 64
  - .agpr_count:     0
    .args:
      - .offset:         0
        .size:           136
        .value_kind:     by_value
    .group_segment_fixed_size: 0
    .kernarg_segment_align: 8
    .kernarg_segment_size: 136
    .language:       OpenCL C
    .language_version:
      - 2
      - 0
    .max_flat_workgroup_size: 512
    .name:           _ZN7rocprim17ROCPRIM_400000_NS6detail17trampoline_kernelINS0_14default_configENS1_25partition_config_selectorILNS1_17partition_subalgoE8ElNS0_10empty_typeEbEEZZNS1_14partition_implILS5_8ELb0ES3_jPlPS6_PKS6_NS0_5tupleIJS9_S6_EEENSD_IJSA_SA_EEENS0_18inequality_wrapperIZN2at6native12_GLOBAL__N_124unique_dim_cuda_templateImEESt5tupleIJNSH_6TensorESM_SM_EERKSM_lbbbEUlllE0_EEPmJS6_EEE10hipError_tPvRmT3_T4_T5_T6_T7_T9_mT8_P12ihipStream_tbDpT10_ENKUlT_T0_E_clISt17integral_constantIbLb1EES1C_EEDaS17_S18_EUlS17_E_NS1_11comp_targetILNS1_3genE0ELNS1_11target_archE4294967295ELNS1_3gpuE0ELNS1_3repE0EEENS1_30default_config_static_selectorELNS0_4arch9wavefront6targetE1EEEvT1_
    .private_segment_fixed_size: 0
    .sgpr_count:     4
    .sgpr_spill_count: 0
    .symbol:         _ZN7rocprim17ROCPRIM_400000_NS6detail17trampoline_kernelINS0_14default_configENS1_25partition_config_selectorILNS1_17partition_subalgoE8ElNS0_10empty_typeEbEEZZNS1_14partition_implILS5_8ELb0ES3_jPlPS6_PKS6_NS0_5tupleIJS9_S6_EEENSD_IJSA_SA_EEENS0_18inequality_wrapperIZN2at6native12_GLOBAL__N_124unique_dim_cuda_templateImEESt5tupleIJNSH_6TensorESM_SM_EERKSM_lbbbEUlllE0_EEPmJS6_EEE10hipError_tPvRmT3_T4_T5_T6_T7_T9_mT8_P12ihipStream_tbDpT10_ENKUlT_T0_E_clISt17integral_constantIbLb1EES1C_EEDaS17_S18_EUlS17_E_NS1_11comp_targetILNS1_3genE0ELNS1_11target_archE4294967295ELNS1_3gpuE0ELNS1_3repE0EEENS1_30default_config_static_selectorELNS0_4arch9wavefront6targetE1EEEvT1_.kd
    .uniform_work_group_size: 1
    .uses_dynamic_stack: false
    .vgpr_count:     0
    .vgpr_spill_count: 0
    .wavefront_size: 64
  - .agpr_count:     0
    .args:
      - .offset:         0
        .size:           136
        .value_kind:     by_value
    .group_segment_fixed_size: 0
    .kernarg_segment_align: 8
    .kernarg_segment_size: 136
    .language:       OpenCL C
    .language_version:
      - 2
      - 0
    .max_flat_workgroup_size: 512
    .name:           _ZN7rocprim17ROCPRIM_400000_NS6detail17trampoline_kernelINS0_14default_configENS1_25partition_config_selectorILNS1_17partition_subalgoE8ElNS0_10empty_typeEbEEZZNS1_14partition_implILS5_8ELb0ES3_jPlPS6_PKS6_NS0_5tupleIJS9_S6_EEENSD_IJSA_SA_EEENS0_18inequality_wrapperIZN2at6native12_GLOBAL__N_124unique_dim_cuda_templateImEESt5tupleIJNSH_6TensorESM_SM_EERKSM_lbbbEUlllE0_EEPmJS6_EEE10hipError_tPvRmT3_T4_T5_T6_T7_T9_mT8_P12ihipStream_tbDpT10_ENKUlT_T0_E_clISt17integral_constantIbLb1EES1C_EEDaS17_S18_EUlS17_E_NS1_11comp_targetILNS1_3genE5ELNS1_11target_archE942ELNS1_3gpuE9ELNS1_3repE0EEENS1_30default_config_static_selectorELNS0_4arch9wavefront6targetE1EEEvT1_
    .private_segment_fixed_size: 0
    .sgpr_count:     4
    .sgpr_spill_count: 0
    .symbol:         _ZN7rocprim17ROCPRIM_400000_NS6detail17trampoline_kernelINS0_14default_configENS1_25partition_config_selectorILNS1_17partition_subalgoE8ElNS0_10empty_typeEbEEZZNS1_14partition_implILS5_8ELb0ES3_jPlPS6_PKS6_NS0_5tupleIJS9_S6_EEENSD_IJSA_SA_EEENS0_18inequality_wrapperIZN2at6native12_GLOBAL__N_124unique_dim_cuda_templateImEESt5tupleIJNSH_6TensorESM_SM_EERKSM_lbbbEUlllE0_EEPmJS6_EEE10hipError_tPvRmT3_T4_T5_T6_T7_T9_mT8_P12ihipStream_tbDpT10_ENKUlT_T0_E_clISt17integral_constantIbLb1EES1C_EEDaS17_S18_EUlS17_E_NS1_11comp_targetILNS1_3genE5ELNS1_11target_archE942ELNS1_3gpuE9ELNS1_3repE0EEENS1_30default_config_static_selectorELNS0_4arch9wavefront6targetE1EEEvT1_.kd
    .uniform_work_group_size: 1
    .uses_dynamic_stack: false
    .vgpr_count:     0
    .vgpr_spill_count: 0
    .wavefront_size: 64
  - .agpr_count:     0
    .args:
      - .offset:         0
        .size:           136
        .value_kind:     by_value
    .group_segment_fixed_size: 10252
    .kernarg_segment_align: 8
    .kernarg_segment_size: 136
    .language:       OpenCL C
    .language_version:
      - 2
      - 0
    .max_flat_workgroup_size: 256
    .name:           _ZN7rocprim17ROCPRIM_400000_NS6detail17trampoline_kernelINS0_14default_configENS1_25partition_config_selectorILNS1_17partition_subalgoE8ElNS0_10empty_typeEbEEZZNS1_14partition_implILS5_8ELb0ES3_jPlPS6_PKS6_NS0_5tupleIJS9_S6_EEENSD_IJSA_SA_EEENS0_18inequality_wrapperIZN2at6native12_GLOBAL__N_124unique_dim_cuda_templateImEESt5tupleIJNSH_6TensorESM_SM_EERKSM_lbbbEUlllE0_EEPmJS6_EEE10hipError_tPvRmT3_T4_T5_T6_T7_T9_mT8_P12ihipStream_tbDpT10_ENKUlT_T0_E_clISt17integral_constantIbLb1EES1C_EEDaS17_S18_EUlS17_E_NS1_11comp_targetILNS1_3genE4ELNS1_11target_archE910ELNS1_3gpuE8ELNS1_3repE0EEENS1_30default_config_static_selectorELNS0_4arch9wavefront6targetE1EEEvT1_
    .private_segment_fixed_size: 0
    .sgpr_count:     56
    .sgpr_spill_count: 0
    .symbol:         _ZN7rocprim17ROCPRIM_400000_NS6detail17trampoline_kernelINS0_14default_configENS1_25partition_config_selectorILNS1_17partition_subalgoE8ElNS0_10empty_typeEbEEZZNS1_14partition_implILS5_8ELb0ES3_jPlPS6_PKS6_NS0_5tupleIJS9_S6_EEENSD_IJSA_SA_EEENS0_18inequality_wrapperIZN2at6native12_GLOBAL__N_124unique_dim_cuda_templateImEESt5tupleIJNSH_6TensorESM_SM_EERKSM_lbbbEUlllE0_EEPmJS6_EEE10hipError_tPvRmT3_T4_T5_T6_T7_T9_mT8_P12ihipStream_tbDpT10_ENKUlT_T0_E_clISt17integral_constantIbLb1EES1C_EEDaS17_S18_EUlS17_E_NS1_11comp_targetILNS1_3genE4ELNS1_11target_archE910ELNS1_3gpuE8ELNS1_3repE0EEENS1_30default_config_static_selectorELNS0_4arch9wavefront6targetE1EEEvT1_.kd
    .uniform_work_group_size: 1
    .uses_dynamic_stack: false
    .vgpr_count:     46
    .vgpr_spill_count: 0
    .wavefront_size: 64
  - .agpr_count:     0
    .args:
      - .offset:         0
        .size:           136
        .value_kind:     by_value
    .group_segment_fixed_size: 0
    .kernarg_segment_align: 8
    .kernarg_segment_size: 136
    .language:       OpenCL C
    .language_version:
      - 2
      - 0
    .max_flat_workgroup_size: 512
    .name:           _ZN7rocprim17ROCPRIM_400000_NS6detail17trampoline_kernelINS0_14default_configENS1_25partition_config_selectorILNS1_17partition_subalgoE8ElNS0_10empty_typeEbEEZZNS1_14partition_implILS5_8ELb0ES3_jPlPS6_PKS6_NS0_5tupleIJS9_S6_EEENSD_IJSA_SA_EEENS0_18inequality_wrapperIZN2at6native12_GLOBAL__N_124unique_dim_cuda_templateImEESt5tupleIJNSH_6TensorESM_SM_EERKSM_lbbbEUlllE0_EEPmJS6_EEE10hipError_tPvRmT3_T4_T5_T6_T7_T9_mT8_P12ihipStream_tbDpT10_ENKUlT_T0_E_clISt17integral_constantIbLb1EES1C_EEDaS17_S18_EUlS17_E_NS1_11comp_targetILNS1_3genE3ELNS1_11target_archE908ELNS1_3gpuE7ELNS1_3repE0EEENS1_30default_config_static_selectorELNS0_4arch9wavefront6targetE1EEEvT1_
    .private_segment_fixed_size: 0
    .sgpr_count:     4
    .sgpr_spill_count: 0
    .symbol:         _ZN7rocprim17ROCPRIM_400000_NS6detail17trampoline_kernelINS0_14default_configENS1_25partition_config_selectorILNS1_17partition_subalgoE8ElNS0_10empty_typeEbEEZZNS1_14partition_implILS5_8ELb0ES3_jPlPS6_PKS6_NS0_5tupleIJS9_S6_EEENSD_IJSA_SA_EEENS0_18inequality_wrapperIZN2at6native12_GLOBAL__N_124unique_dim_cuda_templateImEESt5tupleIJNSH_6TensorESM_SM_EERKSM_lbbbEUlllE0_EEPmJS6_EEE10hipError_tPvRmT3_T4_T5_T6_T7_T9_mT8_P12ihipStream_tbDpT10_ENKUlT_T0_E_clISt17integral_constantIbLb1EES1C_EEDaS17_S18_EUlS17_E_NS1_11comp_targetILNS1_3genE3ELNS1_11target_archE908ELNS1_3gpuE7ELNS1_3repE0EEENS1_30default_config_static_selectorELNS0_4arch9wavefront6targetE1EEEvT1_.kd
    .uniform_work_group_size: 1
    .uses_dynamic_stack: false
    .vgpr_count:     0
    .vgpr_spill_count: 0
    .wavefront_size: 64
  - .agpr_count:     0
    .args:
      - .offset:         0
        .size:           136
        .value_kind:     by_value
    .group_segment_fixed_size: 0
    .kernarg_segment_align: 8
    .kernarg_segment_size: 136
    .language:       OpenCL C
    .language_version:
      - 2
      - 0
    .max_flat_workgroup_size: 256
    .name:           _ZN7rocprim17ROCPRIM_400000_NS6detail17trampoline_kernelINS0_14default_configENS1_25partition_config_selectorILNS1_17partition_subalgoE8ElNS0_10empty_typeEbEEZZNS1_14partition_implILS5_8ELb0ES3_jPlPS6_PKS6_NS0_5tupleIJS9_S6_EEENSD_IJSA_SA_EEENS0_18inequality_wrapperIZN2at6native12_GLOBAL__N_124unique_dim_cuda_templateImEESt5tupleIJNSH_6TensorESM_SM_EERKSM_lbbbEUlllE0_EEPmJS6_EEE10hipError_tPvRmT3_T4_T5_T6_T7_T9_mT8_P12ihipStream_tbDpT10_ENKUlT_T0_E_clISt17integral_constantIbLb1EES1C_EEDaS17_S18_EUlS17_E_NS1_11comp_targetILNS1_3genE2ELNS1_11target_archE906ELNS1_3gpuE6ELNS1_3repE0EEENS1_30default_config_static_selectorELNS0_4arch9wavefront6targetE1EEEvT1_
    .private_segment_fixed_size: 0
    .sgpr_count:     4
    .sgpr_spill_count: 0
    .symbol:         _ZN7rocprim17ROCPRIM_400000_NS6detail17trampoline_kernelINS0_14default_configENS1_25partition_config_selectorILNS1_17partition_subalgoE8ElNS0_10empty_typeEbEEZZNS1_14partition_implILS5_8ELb0ES3_jPlPS6_PKS6_NS0_5tupleIJS9_S6_EEENSD_IJSA_SA_EEENS0_18inequality_wrapperIZN2at6native12_GLOBAL__N_124unique_dim_cuda_templateImEESt5tupleIJNSH_6TensorESM_SM_EERKSM_lbbbEUlllE0_EEPmJS6_EEE10hipError_tPvRmT3_T4_T5_T6_T7_T9_mT8_P12ihipStream_tbDpT10_ENKUlT_T0_E_clISt17integral_constantIbLb1EES1C_EEDaS17_S18_EUlS17_E_NS1_11comp_targetILNS1_3genE2ELNS1_11target_archE906ELNS1_3gpuE6ELNS1_3repE0EEENS1_30default_config_static_selectorELNS0_4arch9wavefront6targetE1EEEvT1_.kd
    .uniform_work_group_size: 1
    .uses_dynamic_stack: false
    .vgpr_count:     0
    .vgpr_spill_count: 0
    .wavefront_size: 64
  - .agpr_count:     0
    .args:
      - .offset:         0
        .size:           136
        .value_kind:     by_value
    .group_segment_fixed_size: 0
    .kernarg_segment_align: 8
    .kernarg_segment_size: 136
    .language:       OpenCL C
    .language_version:
      - 2
      - 0
    .max_flat_workgroup_size: 384
    .name:           _ZN7rocprim17ROCPRIM_400000_NS6detail17trampoline_kernelINS0_14default_configENS1_25partition_config_selectorILNS1_17partition_subalgoE8ElNS0_10empty_typeEbEEZZNS1_14partition_implILS5_8ELb0ES3_jPlPS6_PKS6_NS0_5tupleIJS9_S6_EEENSD_IJSA_SA_EEENS0_18inequality_wrapperIZN2at6native12_GLOBAL__N_124unique_dim_cuda_templateImEESt5tupleIJNSH_6TensorESM_SM_EERKSM_lbbbEUlllE0_EEPmJS6_EEE10hipError_tPvRmT3_T4_T5_T6_T7_T9_mT8_P12ihipStream_tbDpT10_ENKUlT_T0_E_clISt17integral_constantIbLb1EES1C_EEDaS17_S18_EUlS17_E_NS1_11comp_targetILNS1_3genE10ELNS1_11target_archE1200ELNS1_3gpuE4ELNS1_3repE0EEENS1_30default_config_static_selectorELNS0_4arch9wavefront6targetE1EEEvT1_
    .private_segment_fixed_size: 0
    .sgpr_count:     4
    .sgpr_spill_count: 0
    .symbol:         _ZN7rocprim17ROCPRIM_400000_NS6detail17trampoline_kernelINS0_14default_configENS1_25partition_config_selectorILNS1_17partition_subalgoE8ElNS0_10empty_typeEbEEZZNS1_14partition_implILS5_8ELb0ES3_jPlPS6_PKS6_NS0_5tupleIJS9_S6_EEENSD_IJSA_SA_EEENS0_18inequality_wrapperIZN2at6native12_GLOBAL__N_124unique_dim_cuda_templateImEESt5tupleIJNSH_6TensorESM_SM_EERKSM_lbbbEUlllE0_EEPmJS6_EEE10hipError_tPvRmT3_T4_T5_T6_T7_T9_mT8_P12ihipStream_tbDpT10_ENKUlT_T0_E_clISt17integral_constantIbLb1EES1C_EEDaS17_S18_EUlS17_E_NS1_11comp_targetILNS1_3genE10ELNS1_11target_archE1200ELNS1_3gpuE4ELNS1_3repE0EEENS1_30default_config_static_selectorELNS0_4arch9wavefront6targetE1EEEvT1_.kd
    .uniform_work_group_size: 1
    .uses_dynamic_stack: false
    .vgpr_count:     0
    .vgpr_spill_count: 0
    .wavefront_size: 64
  - .agpr_count:     0
    .args:
      - .offset:         0
        .size:           136
        .value_kind:     by_value
    .group_segment_fixed_size: 0
    .kernarg_segment_align: 8
    .kernarg_segment_size: 136
    .language:       OpenCL C
    .language_version:
      - 2
      - 0
    .max_flat_workgroup_size: 512
    .name:           _ZN7rocprim17ROCPRIM_400000_NS6detail17trampoline_kernelINS0_14default_configENS1_25partition_config_selectorILNS1_17partition_subalgoE8ElNS0_10empty_typeEbEEZZNS1_14partition_implILS5_8ELb0ES3_jPlPS6_PKS6_NS0_5tupleIJS9_S6_EEENSD_IJSA_SA_EEENS0_18inequality_wrapperIZN2at6native12_GLOBAL__N_124unique_dim_cuda_templateImEESt5tupleIJNSH_6TensorESM_SM_EERKSM_lbbbEUlllE0_EEPmJS6_EEE10hipError_tPvRmT3_T4_T5_T6_T7_T9_mT8_P12ihipStream_tbDpT10_ENKUlT_T0_E_clISt17integral_constantIbLb1EES1C_EEDaS17_S18_EUlS17_E_NS1_11comp_targetILNS1_3genE9ELNS1_11target_archE1100ELNS1_3gpuE3ELNS1_3repE0EEENS1_30default_config_static_selectorELNS0_4arch9wavefront6targetE1EEEvT1_
    .private_segment_fixed_size: 0
    .sgpr_count:     4
    .sgpr_spill_count: 0
    .symbol:         _ZN7rocprim17ROCPRIM_400000_NS6detail17trampoline_kernelINS0_14default_configENS1_25partition_config_selectorILNS1_17partition_subalgoE8ElNS0_10empty_typeEbEEZZNS1_14partition_implILS5_8ELb0ES3_jPlPS6_PKS6_NS0_5tupleIJS9_S6_EEENSD_IJSA_SA_EEENS0_18inequality_wrapperIZN2at6native12_GLOBAL__N_124unique_dim_cuda_templateImEESt5tupleIJNSH_6TensorESM_SM_EERKSM_lbbbEUlllE0_EEPmJS6_EEE10hipError_tPvRmT3_T4_T5_T6_T7_T9_mT8_P12ihipStream_tbDpT10_ENKUlT_T0_E_clISt17integral_constantIbLb1EES1C_EEDaS17_S18_EUlS17_E_NS1_11comp_targetILNS1_3genE9ELNS1_11target_archE1100ELNS1_3gpuE3ELNS1_3repE0EEENS1_30default_config_static_selectorELNS0_4arch9wavefront6targetE1EEEvT1_.kd
    .uniform_work_group_size: 1
    .uses_dynamic_stack: false
    .vgpr_count:     0
    .vgpr_spill_count: 0
    .wavefront_size: 64
  - .agpr_count:     0
    .args:
      - .offset:         0
        .size:           136
        .value_kind:     by_value
    .group_segment_fixed_size: 0
    .kernarg_segment_align: 8
    .kernarg_segment_size: 136
    .language:       OpenCL C
    .language_version:
      - 2
      - 0
    .max_flat_workgroup_size: 512
    .name:           _ZN7rocprim17ROCPRIM_400000_NS6detail17trampoline_kernelINS0_14default_configENS1_25partition_config_selectorILNS1_17partition_subalgoE8ElNS0_10empty_typeEbEEZZNS1_14partition_implILS5_8ELb0ES3_jPlPS6_PKS6_NS0_5tupleIJS9_S6_EEENSD_IJSA_SA_EEENS0_18inequality_wrapperIZN2at6native12_GLOBAL__N_124unique_dim_cuda_templateImEESt5tupleIJNSH_6TensorESM_SM_EERKSM_lbbbEUlllE0_EEPmJS6_EEE10hipError_tPvRmT3_T4_T5_T6_T7_T9_mT8_P12ihipStream_tbDpT10_ENKUlT_T0_E_clISt17integral_constantIbLb1EES1C_EEDaS17_S18_EUlS17_E_NS1_11comp_targetILNS1_3genE8ELNS1_11target_archE1030ELNS1_3gpuE2ELNS1_3repE0EEENS1_30default_config_static_selectorELNS0_4arch9wavefront6targetE1EEEvT1_
    .private_segment_fixed_size: 0
    .sgpr_count:     4
    .sgpr_spill_count: 0
    .symbol:         _ZN7rocprim17ROCPRIM_400000_NS6detail17trampoline_kernelINS0_14default_configENS1_25partition_config_selectorILNS1_17partition_subalgoE8ElNS0_10empty_typeEbEEZZNS1_14partition_implILS5_8ELb0ES3_jPlPS6_PKS6_NS0_5tupleIJS9_S6_EEENSD_IJSA_SA_EEENS0_18inequality_wrapperIZN2at6native12_GLOBAL__N_124unique_dim_cuda_templateImEESt5tupleIJNSH_6TensorESM_SM_EERKSM_lbbbEUlllE0_EEPmJS6_EEE10hipError_tPvRmT3_T4_T5_T6_T7_T9_mT8_P12ihipStream_tbDpT10_ENKUlT_T0_E_clISt17integral_constantIbLb1EES1C_EEDaS17_S18_EUlS17_E_NS1_11comp_targetILNS1_3genE8ELNS1_11target_archE1030ELNS1_3gpuE2ELNS1_3repE0EEENS1_30default_config_static_selectorELNS0_4arch9wavefront6targetE1EEEvT1_.kd
    .uniform_work_group_size: 1
    .uses_dynamic_stack: false
    .vgpr_count:     0
    .vgpr_spill_count: 0
    .wavefront_size: 64
  - .agpr_count:     0
    .args:
      - .offset:         0
        .size:           120
        .value_kind:     by_value
    .group_segment_fixed_size: 0
    .kernarg_segment_align: 8
    .kernarg_segment_size: 120
    .language:       OpenCL C
    .language_version:
      - 2
      - 0
    .max_flat_workgroup_size: 512
    .name:           _ZN7rocprim17ROCPRIM_400000_NS6detail17trampoline_kernelINS0_14default_configENS1_25partition_config_selectorILNS1_17partition_subalgoE8ElNS0_10empty_typeEbEEZZNS1_14partition_implILS5_8ELb0ES3_jPlPS6_PKS6_NS0_5tupleIJS9_S6_EEENSD_IJSA_SA_EEENS0_18inequality_wrapperIZN2at6native12_GLOBAL__N_124unique_dim_cuda_templateImEESt5tupleIJNSH_6TensorESM_SM_EERKSM_lbbbEUlllE0_EEPmJS6_EEE10hipError_tPvRmT3_T4_T5_T6_T7_T9_mT8_P12ihipStream_tbDpT10_ENKUlT_T0_E_clISt17integral_constantIbLb1EES1B_IbLb0EEEEDaS17_S18_EUlS17_E_NS1_11comp_targetILNS1_3genE0ELNS1_11target_archE4294967295ELNS1_3gpuE0ELNS1_3repE0EEENS1_30default_config_static_selectorELNS0_4arch9wavefront6targetE1EEEvT1_
    .private_segment_fixed_size: 0
    .sgpr_count:     4
    .sgpr_spill_count: 0
    .symbol:         _ZN7rocprim17ROCPRIM_400000_NS6detail17trampoline_kernelINS0_14default_configENS1_25partition_config_selectorILNS1_17partition_subalgoE8ElNS0_10empty_typeEbEEZZNS1_14partition_implILS5_8ELb0ES3_jPlPS6_PKS6_NS0_5tupleIJS9_S6_EEENSD_IJSA_SA_EEENS0_18inequality_wrapperIZN2at6native12_GLOBAL__N_124unique_dim_cuda_templateImEESt5tupleIJNSH_6TensorESM_SM_EERKSM_lbbbEUlllE0_EEPmJS6_EEE10hipError_tPvRmT3_T4_T5_T6_T7_T9_mT8_P12ihipStream_tbDpT10_ENKUlT_T0_E_clISt17integral_constantIbLb1EES1B_IbLb0EEEEDaS17_S18_EUlS17_E_NS1_11comp_targetILNS1_3genE0ELNS1_11target_archE4294967295ELNS1_3gpuE0ELNS1_3repE0EEENS1_30default_config_static_selectorELNS0_4arch9wavefront6targetE1EEEvT1_.kd
    .uniform_work_group_size: 1
    .uses_dynamic_stack: false
    .vgpr_count:     0
    .vgpr_spill_count: 0
    .wavefront_size: 64
  - .agpr_count:     0
    .args:
      - .offset:         0
        .size:           120
        .value_kind:     by_value
    .group_segment_fixed_size: 0
    .kernarg_segment_align: 8
    .kernarg_segment_size: 120
    .language:       OpenCL C
    .language_version:
      - 2
      - 0
    .max_flat_workgroup_size: 512
    .name:           _ZN7rocprim17ROCPRIM_400000_NS6detail17trampoline_kernelINS0_14default_configENS1_25partition_config_selectorILNS1_17partition_subalgoE8ElNS0_10empty_typeEbEEZZNS1_14partition_implILS5_8ELb0ES3_jPlPS6_PKS6_NS0_5tupleIJS9_S6_EEENSD_IJSA_SA_EEENS0_18inequality_wrapperIZN2at6native12_GLOBAL__N_124unique_dim_cuda_templateImEESt5tupleIJNSH_6TensorESM_SM_EERKSM_lbbbEUlllE0_EEPmJS6_EEE10hipError_tPvRmT3_T4_T5_T6_T7_T9_mT8_P12ihipStream_tbDpT10_ENKUlT_T0_E_clISt17integral_constantIbLb1EES1B_IbLb0EEEEDaS17_S18_EUlS17_E_NS1_11comp_targetILNS1_3genE5ELNS1_11target_archE942ELNS1_3gpuE9ELNS1_3repE0EEENS1_30default_config_static_selectorELNS0_4arch9wavefront6targetE1EEEvT1_
    .private_segment_fixed_size: 0
    .sgpr_count:     4
    .sgpr_spill_count: 0
    .symbol:         _ZN7rocprim17ROCPRIM_400000_NS6detail17trampoline_kernelINS0_14default_configENS1_25partition_config_selectorILNS1_17partition_subalgoE8ElNS0_10empty_typeEbEEZZNS1_14partition_implILS5_8ELb0ES3_jPlPS6_PKS6_NS0_5tupleIJS9_S6_EEENSD_IJSA_SA_EEENS0_18inequality_wrapperIZN2at6native12_GLOBAL__N_124unique_dim_cuda_templateImEESt5tupleIJNSH_6TensorESM_SM_EERKSM_lbbbEUlllE0_EEPmJS6_EEE10hipError_tPvRmT3_T4_T5_T6_T7_T9_mT8_P12ihipStream_tbDpT10_ENKUlT_T0_E_clISt17integral_constantIbLb1EES1B_IbLb0EEEEDaS17_S18_EUlS17_E_NS1_11comp_targetILNS1_3genE5ELNS1_11target_archE942ELNS1_3gpuE9ELNS1_3repE0EEENS1_30default_config_static_selectorELNS0_4arch9wavefront6targetE1EEEvT1_.kd
    .uniform_work_group_size: 1
    .uses_dynamic_stack: false
    .vgpr_count:     0
    .vgpr_spill_count: 0
    .wavefront_size: 64
  - .agpr_count:     0
    .args:
      - .offset:         0
        .size:           120
        .value_kind:     by_value
    .group_segment_fixed_size: 10252
    .kernarg_segment_align: 8
    .kernarg_segment_size: 120
    .language:       OpenCL C
    .language_version:
      - 2
      - 0
    .max_flat_workgroup_size: 256
    .name:           _ZN7rocprim17ROCPRIM_400000_NS6detail17trampoline_kernelINS0_14default_configENS1_25partition_config_selectorILNS1_17partition_subalgoE8ElNS0_10empty_typeEbEEZZNS1_14partition_implILS5_8ELb0ES3_jPlPS6_PKS6_NS0_5tupleIJS9_S6_EEENSD_IJSA_SA_EEENS0_18inequality_wrapperIZN2at6native12_GLOBAL__N_124unique_dim_cuda_templateImEESt5tupleIJNSH_6TensorESM_SM_EERKSM_lbbbEUlllE0_EEPmJS6_EEE10hipError_tPvRmT3_T4_T5_T6_T7_T9_mT8_P12ihipStream_tbDpT10_ENKUlT_T0_E_clISt17integral_constantIbLb1EES1B_IbLb0EEEEDaS17_S18_EUlS17_E_NS1_11comp_targetILNS1_3genE4ELNS1_11target_archE910ELNS1_3gpuE8ELNS1_3repE0EEENS1_30default_config_static_selectorELNS0_4arch9wavefront6targetE1EEEvT1_
    .private_segment_fixed_size: 0
    .sgpr_count:     52
    .sgpr_spill_count: 0
    .symbol:         _ZN7rocprim17ROCPRIM_400000_NS6detail17trampoline_kernelINS0_14default_configENS1_25partition_config_selectorILNS1_17partition_subalgoE8ElNS0_10empty_typeEbEEZZNS1_14partition_implILS5_8ELb0ES3_jPlPS6_PKS6_NS0_5tupleIJS9_S6_EEENSD_IJSA_SA_EEENS0_18inequality_wrapperIZN2at6native12_GLOBAL__N_124unique_dim_cuda_templateImEESt5tupleIJNSH_6TensorESM_SM_EERKSM_lbbbEUlllE0_EEPmJS6_EEE10hipError_tPvRmT3_T4_T5_T6_T7_T9_mT8_P12ihipStream_tbDpT10_ENKUlT_T0_E_clISt17integral_constantIbLb1EES1B_IbLb0EEEEDaS17_S18_EUlS17_E_NS1_11comp_targetILNS1_3genE4ELNS1_11target_archE910ELNS1_3gpuE8ELNS1_3repE0EEENS1_30default_config_static_selectorELNS0_4arch9wavefront6targetE1EEEvT1_.kd
    .uniform_work_group_size: 1
    .uses_dynamic_stack: false
    .vgpr_count:     46
    .vgpr_spill_count: 0
    .wavefront_size: 64
  - .agpr_count:     0
    .args:
      - .offset:         0
        .size:           120
        .value_kind:     by_value
    .group_segment_fixed_size: 0
    .kernarg_segment_align: 8
    .kernarg_segment_size: 120
    .language:       OpenCL C
    .language_version:
      - 2
      - 0
    .max_flat_workgroup_size: 512
    .name:           _ZN7rocprim17ROCPRIM_400000_NS6detail17trampoline_kernelINS0_14default_configENS1_25partition_config_selectorILNS1_17partition_subalgoE8ElNS0_10empty_typeEbEEZZNS1_14partition_implILS5_8ELb0ES3_jPlPS6_PKS6_NS0_5tupleIJS9_S6_EEENSD_IJSA_SA_EEENS0_18inequality_wrapperIZN2at6native12_GLOBAL__N_124unique_dim_cuda_templateImEESt5tupleIJNSH_6TensorESM_SM_EERKSM_lbbbEUlllE0_EEPmJS6_EEE10hipError_tPvRmT3_T4_T5_T6_T7_T9_mT8_P12ihipStream_tbDpT10_ENKUlT_T0_E_clISt17integral_constantIbLb1EES1B_IbLb0EEEEDaS17_S18_EUlS17_E_NS1_11comp_targetILNS1_3genE3ELNS1_11target_archE908ELNS1_3gpuE7ELNS1_3repE0EEENS1_30default_config_static_selectorELNS0_4arch9wavefront6targetE1EEEvT1_
    .private_segment_fixed_size: 0
    .sgpr_count:     4
    .sgpr_spill_count: 0
    .symbol:         _ZN7rocprim17ROCPRIM_400000_NS6detail17trampoline_kernelINS0_14default_configENS1_25partition_config_selectorILNS1_17partition_subalgoE8ElNS0_10empty_typeEbEEZZNS1_14partition_implILS5_8ELb0ES3_jPlPS6_PKS6_NS0_5tupleIJS9_S6_EEENSD_IJSA_SA_EEENS0_18inequality_wrapperIZN2at6native12_GLOBAL__N_124unique_dim_cuda_templateImEESt5tupleIJNSH_6TensorESM_SM_EERKSM_lbbbEUlllE0_EEPmJS6_EEE10hipError_tPvRmT3_T4_T5_T6_T7_T9_mT8_P12ihipStream_tbDpT10_ENKUlT_T0_E_clISt17integral_constantIbLb1EES1B_IbLb0EEEEDaS17_S18_EUlS17_E_NS1_11comp_targetILNS1_3genE3ELNS1_11target_archE908ELNS1_3gpuE7ELNS1_3repE0EEENS1_30default_config_static_selectorELNS0_4arch9wavefront6targetE1EEEvT1_.kd
    .uniform_work_group_size: 1
    .uses_dynamic_stack: false
    .vgpr_count:     0
    .vgpr_spill_count: 0
    .wavefront_size: 64
  - .agpr_count:     0
    .args:
      - .offset:         0
        .size:           120
        .value_kind:     by_value
    .group_segment_fixed_size: 0
    .kernarg_segment_align: 8
    .kernarg_segment_size: 120
    .language:       OpenCL C
    .language_version:
      - 2
      - 0
    .max_flat_workgroup_size: 256
    .name:           _ZN7rocprim17ROCPRIM_400000_NS6detail17trampoline_kernelINS0_14default_configENS1_25partition_config_selectorILNS1_17partition_subalgoE8ElNS0_10empty_typeEbEEZZNS1_14partition_implILS5_8ELb0ES3_jPlPS6_PKS6_NS0_5tupleIJS9_S6_EEENSD_IJSA_SA_EEENS0_18inequality_wrapperIZN2at6native12_GLOBAL__N_124unique_dim_cuda_templateImEESt5tupleIJNSH_6TensorESM_SM_EERKSM_lbbbEUlllE0_EEPmJS6_EEE10hipError_tPvRmT3_T4_T5_T6_T7_T9_mT8_P12ihipStream_tbDpT10_ENKUlT_T0_E_clISt17integral_constantIbLb1EES1B_IbLb0EEEEDaS17_S18_EUlS17_E_NS1_11comp_targetILNS1_3genE2ELNS1_11target_archE906ELNS1_3gpuE6ELNS1_3repE0EEENS1_30default_config_static_selectorELNS0_4arch9wavefront6targetE1EEEvT1_
    .private_segment_fixed_size: 0
    .sgpr_count:     4
    .sgpr_spill_count: 0
    .symbol:         _ZN7rocprim17ROCPRIM_400000_NS6detail17trampoline_kernelINS0_14default_configENS1_25partition_config_selectorILNS1_17partition_subalgoE8ElNS0_10empty_typeEbEEZZNS1_14partition_implILS5_8ELb0ES3_jPlPS6_PKS6_NS0_5tupleIJS9_S6_EEENSD_IJSA_SA_EEENS0_18inequality_wrapperIZN2at6native12_GLOBAL__N_124unique_dim_cuda_templateImEESt5tupleIJNSH_6TensorESM_SM_EERKSM_lbbbEUlllE0_EEPmJS6_EEE10hipError_tPvRmT3_T4_T5_T6_T7_T9_mT8_P12ihipStream_tbDpT10_ENKUlT_T0_E_clISt17integral_constantIbLb1EES1B_IbLb0EEEEDaS17_S18_EUlS17_E_NS1_11comp_targetILNS1_3genE2ELNS1_11target_archE906ELNS1_3gpuE6ELNS1_3repE0EEENS1_30default_config_static_selectorELNS0_4arch9wavefront6targetE1EEEvT1_.kd
    .uniform_work_group_size: 1
    .uses_dynamic_stack: false
    .vgpr_count:     0
    .vgpr_spill_count: 0
    .wavefront_size: 64
  - .agpr_count:     0
    .args:
      - .offset:         0
        .size:           120
        .value_kind:     by_value
    .group_segment_fixed_size: 0
    .kernarg_segment_align: 8
    .kernarg_segment_size: 120
    .language:       OpenCL C
    .language_version:
      - 2
      - 0
    .max_flat_workgroup_size: 384
    .name:           _ZN7rocprim17ROCPRIM_400000_NS6detail17trampoline_kernelINS0_14default_configENS1_25partition_config_selectorILNS1_17partition_subalgoE8ElNS0_10empty_typeEbEEZZNS1_14partition_implILS5_8ELb0ES3_jPlPS6_PKS6_NS0_5tupleIJS9_S6_EEENSD_IJSA_SA_EEENS0_18inequality_wrapperIZN2at6native12_GLOBAL__N_124unique_dim_cuda_templateImEESt5tupleIJNSH_6TensorESM_SM_EERKSM_lbbbEUlllE0_EEPmJS6_EEE10hipError_tPvRmT3_T4_T5_T6_T7_T9_mT8_P12ihipStream_tbDpT10_ENKUlT_T0_E_clISt17integral_constantIbLb1EES1B_IbLb0EEEEDaS17_S18_EUlS17_E_NS1_11comp_targetILNS1_3genE10ELNS1_11target_archE1200ELNS1_3gpuE4ELNS1_3repE0EEENS1_30default_config_static_selectorELNS0_4arch9wavefront6targetE1EEEvT1_
    .private_segment_fixed_size: 0
    .sgpr_count:     4
    .sgpr_spill_count: 0
    .symbol:         _ZN7rocprim17ROCPRIM_400000_NS6detail17trampoline_kernelINS0_14default_configENS1_25partition_config_selectorILNS1_17partition_subalgoE8ElNS0_10empty_typeEbEEZZNS1_14partition_implILS5_8ELb0ES3_jPlPS6_PKS6_NS0_5tupleIJS9_S6_EEENSD_IJSA_SA_EEENS0_18inequality_wrapperIZN2at6native12_GLOBAL__N_124unique_dim_cuda_templateImEESt5tupleIJNSH_6TensorESM_SM_EERKSM_lbbbEUlllE0_EEPmJS6_EEE10hipError_tPvRmT3_T4_T5_T6_T7_T9_mT8_P12ihipStream_tbDpT10_ENKUlT_T0_E_clISt17integral_constantIbLb1EES1B_IbLb0EEEEDaS17_S18_EUlS17_E_NS1_11comp_targetILNS1_3genE10ELNS1_11target_archE1200ELNS1_3gpuE4ELNS1_3repE0EEENS1_30default_config_static_selectorELNS0_4arch9wavefront6targetE1EEEvT1_.kd
    .uniform_work_group_size: 1
    .uses_dynamic_stack: false
    .vgpr_count:     0
    .vgpr_spill_count: 0
    .wavefront_size: 64
  - .agpr_count:     0
    .args:
      - .offset:         0
        .size:           120
        .value_kind:     by_value
    .group_segment_fixed_size: 0
    .kernarg_segment_align: 8
    .kernarg_segment_size: 120
    .language:       OpenCL C
    .language_version:
      - 2
      - 0
    .max_flat_workgroup_size: 512
    .name:           _ZN7rocprim17ROCPRIM_400000_NS6detail17trampoline_kernelINS0_14default_configENS1_25partition_config_selectorILNS1_17partition_subalgoE8ElNS0_10empty_typeEbEEZZNS1_14partition_implILS5_8ELb0ES3_jPlPS6_PKS6_NS0_5tupleIJS9_S6_EEENSD_IJSA_SA_EEENS0_18inequality_wrapperIZN2at6native12_GLOBAL__N_124unique_dim_cuda_templateImEESt5tupleIJNSH_6TensorESM_SM_EERKSM_lbbbEUlllE0_EEPmJS6_EEE10hipError_tPvRmT3_T4_T5_T6_T7_T9_mT8_P12ihipStream_tbDpT10_ENKUlT_T0_E_clISt17integral_constantIbLb1EES1B_IbLb0EEEEDaS17_S18_EUlS17_E_NS1_11comp_targetILNS1_3genE9ELNS1_11target_archE1100ELNS1_3gpuE3ELNS1_3repE0EEENS1_30default_config_static_selectorELNS0_4arch9wavefront6targetE1EEEvT1_
    .private_segment_fixed_size: 0
    .sgpr_count:     4
    .sgpr_spill_count: 0
    .symbol:         _ZN7rocprim17ROCPRIM_400000_NS6detail17trampoline_kernelINS0_14default_configENS1_25partition_config_selectorILNS1_17partition_subalgoE8ElNS0_10empty_typeEbEEZZNS1_14partition_implILS5_8ELb0ES3_jPlPS6_PKS6_NS0_5tupleIJS9_S6_EEENSD_IJSA_SA_EEENS0_18inequality_wrapperIZN2at6native12_GLOBAL__N_124unique_dim_cuda_templateImEESt5tupleIJNSH_6TensorESM_SM_EERKSM_lbbbEUlllE0_EEPmJS6_EEE10hipError_tPvRmT3_T4_T5_T6_T7_T9_mT8_P12ihipStream_tbDpT10_ENKUlT_T0_E_clISt17integral_constantIbLb1EES1B_IbLb0EEEEDaS17_S18_EUlS17_E_NS1_11comp_targetILNS1_3genE9ELNS1_11target_archE1100ELNS1_3gpuE3ELNS1_3repE0EEENS1_30default_config_static_selectorELNS0_4arch9wavefront6targetE1EEEvT1_.kd
    .uniform_work_group_size: 1
    .uses_dynamic_stack: false
    .vgpr_count:     0
    .vgpr_spill_count: 0
    .wavefront_size: 64
  - .agpr_count:     0
    .args:
      - .offset:         0
        .size:           120
        .value_kind:     by_value
    .group_segment_fixed_size: 0
    .kernarg_segment_align: 8
    .kernarg_segment_size: 120
    .language:       OpenCL C
    .language_version:
      - 2
      - 0
    .max_flat_workgroup_size: 512
    .name:           _ZN7rocprim17ROCPRIM_400000_NS6detail17trampoline_kernelINS0_14default_configENS1_25partition_config_selectorILNS1_17partition_subalgoE8ElNS0_10empty_typeEbEEZZNS1_14partition_implILS5_8ELb0ES3_jPlPS6_PKS6_NS0_5tupleIJS9_S6_EEENSD_IJSA_SA_EEENS0_18inequality_wrapperIZN2at6native12_GLOBAL__N_124unique_dim_cuda_templateImEESt5tupleIJNSH_6TensorESM_SM_EERKSM_lbbbEUlllE0_EEPmJS6_EEE10hipError_tPvRmT3_T4_T5_T6_T7_T9_mT8_P12ihipStream_tbDpT10_ENKUlT_T0_E_clISt17integral_constantIbLb1EES1B_IbLb0EEEEDaS17_S18_EUlS17_E_NS1_11comp_targetILNS1_3genE8ELNS1_11target_archE1030ELNS1_3gpuE2ELNS1_3repE0EEENS1_30default_config_static_selectorELNS0_4arch9wavefront6targetE1EEEvT1_
    .private_segment_fixed_size: 0
    .sgpr_count:     4
    .sgpr_spill_count: 0
    .symbol:         _ZN7rocprim17ROCPRIM_400000_NS6detail17trampoline_kernelINS0_14default_configENS1_25partition_config_selectorILNS1_17partition_subalgoE8ElNS0_10empty_typeEbEEZZNS1_14partition_implILS5_8ELb0ES3_jPlPS6_PKS6_NS0_5tupleIJS9_S6_EEENSD_IJSA_SA_EEENS0_18inequality_wrapperIZN2at6native12_GLOBAL__N_124unique_dim_cuda_templateImEESt5tupleIJNSH_6TensorESM_SM_EERKSM_lbbbEUlllE0_EEPmJS6_EEE10hipError_tPvRmT3_T4_T5_T6_T7_T9_mT8_P12ihipStream_tbDpT10_ENKUlT_T0_E_clISt17integral_constantIbLb1EES1B_IbLb0EEEEDaS17_S18_EUlS17_E_NS1_11comp_targetILNS1_3genE8ELNS1_11target_archE1030ELNS1_3gpuE2ELNS1_3repE0EEENS1_30default_config_static_selectorELNS0_4arch9wavefront6targetE1EEEvT1_.kd
    .uniform_work_group_size: 1
    .uses_dynamic_stack: false
    .vgpr_count:     0
    .vgpr_spill_count: 0
    .wavefront_size: 64
  - .agpr_count:     0
    .args:
      - .offset:         0
        .size:           136
        .value_kind:     by_value
    .group_segment_fixed_size: 0
    .kernarg_segment_align: 8
    .kernarg_segment_size: 136
    .language:       OpenCL C
    .language_version:
      - 2
      - 0
    .max_flat_workgroup_size: 512
    .name:           _ZN7rocprim17ROCPRIM_400000_NS6detail17trampoline_kernelINS0_14default_configENS1_25partition_config_selectorILNS1_17partition_subalgoE8ElNS0_10empty_typeEbEEZZNS1_14partition_implILS5_8ELb0ES3_jPlPS6_PKS6_NS0_5tupleIJS9_S6_EEENSD_IJSA_SA_EEENS0_18inequality_wrapperIZN2at6native12_GLOBAL__N_124unique_dim_cuda_templateImEESt5tupleIJNSH_6TensorESM_SM_EERKSM_lbbbEUlllE0_EEPmJS6_EEE10hipError_tPvRmT3_T4_T5_T6_T7_T9_mT8_P12ihipStream_tbDpT10_ENKUlT_T0_E_clISt17integral_constantIbLb0EES1B_IbLb1EEEEDaS17_S18_EUlS17_E_NS1_11comp_targetILNS1_3genE0ELNS1_11target_archE4294967295ELNS1_3gpuE0ELNS1_3repE0EEENS1_30default_config_static_selectorELNS0_4arch9wavefront6targetE1EEEvT1_
    .private_segment_fixed_size: 0
    .sgpr_count:     4
    .sgpr_spill_count: 0
    .symbol:         _ZN7rocprim17ROCPRIM_400000_NS6detail17trampoline_kernelINS0_14default_configENS1_25partition_config_selectorILNS1_17partition_subalgoE8ElNS0_10empty_typeEbEEZZNS1_14partition_implILS5_8ELb0ES3_jPlPS6_PKS6_NS0_5tupleIJS9_S6_EEENSD_IJSA_SA_EEENS0_18inequality_wrapperIZN2at6native12_GLOBAL__N_124unique_dim_cuda_templateImEESt5tupleIJNSH_6TensorESM_SM_EERKSM_lbbbEUlllE0_EEPmJS6_EEE10hipError_tPvRmT3_T4_T5_T6_T7_T9_mT8_P12ihipStream_tbDpT10_ENKUlT_T0_E_clISt17integral_constantIbLb0EES1B_IbLb1EEEEDaS17_S18_EUlS17_E_NS1_11comp_targetILNS1_3genE0ELNS1_11target_archE4294967295ELNS1_3gpuE0ELNS1_3repE0EEENS1_30default_config_static_selectorELNS0_4arch9wavefront6targetE1EEEvT1_.kd
    .uniform_work_group_size: 1
    .uses_dynamic_stack: false
    .vgpr_count:     0
    .vgpr_spill_count: 0
    .wavefront_size: 64
  - .agpr_count:     0
    .args:
      - .offset:         0
        .size:           136
        .value_kind:     by_value
    .group_segment_fixed_size: 0
    .kernarg_segment_align: 8
    .kernarg_segment_size: 136
    .language:       OpenCL C
    .language_version:
      - 2
      - 0
    .max_flat_workgroup_size: 512
    .name:           _ZN7rocprim17ROCPRIM_400000_NS6detail17trampoline_kernelINS0_14default_configENS1_25partition_config_selectorILNS1_17partition_subalgoE8ElNS0_10empty_typeEbEEZZNS1_14partition_implILS5_8ELb0ES3_jPlPS6_PKS6_NS0_5tupleIJS9_S6_EEENSD_IJSA_SA_EEENS0_18inequality_wrapperIZN2at6native12_GLOBAL__N_124unique_dim_cuda_templateImEESt5tupleIJNSH_6TensorESM_SM_EERKSM_lbbbEUlllE0_EEPmJS6_EEE10hipError_tPvRmT3_T4_T5_T6_T7_T9_mT8_P12ihipStream_tbDpT10_ENKUlT_T0_E_clISt17integral_constantIbLb0EES1B_IbLb1EEEEDaS17_S18_EUlS17_E_NS1_11comp_targetILNS1_3genE5ELNS1_11target_archE942ELNS1_3gpuE9ELNS1_3repE0EEENS1_30default_config_static_selectorELNS0_4arch9wavefront6targetE1EEEvT1_
    .private_segment_fixed_size: 0
    .sgpr_count:     4
    .sgpr_spill_count: 0
    .symbol:         _ZN7rocprim17ROCPRIM_400000_NS6detail17trampoline_kernelINS0_14default_configENS1_25partition_config_selectorILNS1_17partition_subalgoE8ElNS0_10empty_typeEbEEZZNS1_14partition_implILS5_8ELb0ES3_jPlPS6_PKS6_NS0_5tupleIJS9_S6_EEENSD_IJSA_SA_EEENS0_18inequality_wrapperIZN2at6native12_GLOBAL__N_124unique_dim_cuda_templateImEESt5tupleIJNSH_6TensorESM_SM_EERKSM_lbbbEUlllE0_EEPmJS6_EEE10hipError_tPvRmT3_T4_T5_T6_T7_T9_mT8_P12ihipStream_tbDpT10_ENKUlT_T0_E_clISt17integral_constantIbLb0EES1B_IbLb1EEEEDaS17_S18_EUlS17_E_NS1_11comp_targetILNS1_3genE5ELNS1_11target_archE942ELNS1_3gpuE9ELNS1_3repE0EEENS1_30default_config_static_selectorELNS0_4arch9wavefront6targetE1EEEvT1_.kd
    .uniform_work_group_size: 1
    .uses_dynamic_stack: false
    .vgpr_count:     0
    .vgpr_spill_count: 0
    .wavefront_size: 64
  - .agpr_count:     0
    .args:
      - .offset:         0
        .size:           136
        .value_kind:     by_value
    .group_segment_fixed_size: 10252
    .kernarg_segment_align: 8
    .kernarg_segment_size: 136
    .language:       OpenCL C
    .language_version:
      - 2
      - 0
    .max_flat_workgroup_size: 256
    .name:           _ZN7rocprim17ROCPRIM_400000_NS6detail17trampoline_kernelINS0_14default_configENS1_25partition_config_selectorILNS1_17partition_subalgoE8ElNS0_10empty_typeEbEEZZNS1_14partition_implILS5_8ELb0ES3_jPlPS6_PKS6_NS0_5tupleIJS9_S6_EEENSD_IJSA_SA_EEENS0_18inequality_wrapperIZN2at6native12_GLOBAL__N_124unique_dim_cuda_templateImEESt5tupleIJNSH_6TensorESM_SM_EERKSM_lbbbEUlllE0_EEPmJS6_EEE10hipError_tPvRmT3_T4_T5_T6_T7_T9_mT8_P12ihipStream_tbDpT10_ENKUlT_T0_E_clISt17integral_constantIbLb0EES1B_IbLb1EEEEDaS17_S18_EUlS17_E_NS1_11comp_targetILNS1_3genE4ELNS1_11target_archE910ELNS1_3gpuE8ELNS1_3repE0EEENS1_30default_config_static_selectorELNS0_4arch9wavefront6targetE1EEEvT1_
    .private_segment_fixed_size: 0
    .sgpr_count:     56
    .sgpr_spill_count: 0
    .symbol:         _ZN7rocprim17ROCPRIM_400000_NS6detail17trampoline_kernelINS0_14default_configENS1_25partition_config_selectorILNS1_17partition_subalgoE8ElNS0_10empty_typeEbEEZZNS1_14partition_implILS5_8ELb0ES3_jPlPS6_PKS6_NS0_5tupleIJS9_S6_EEENSD_IJSA_SA_EEENS0_18inequality_wrapperIZN2at6native12_GLOBAL__N_124unique_dim_cuda_templateImEESt5tupleIJNSH_6TensorESM_SM_EERKSM_lbbbEUlllE0_EEPmJS6_EEE10hipError_tPvRmT3_T4_T5_T6_T7_T9_mT8_P12ihipStream_tbDpT10_ENKUlT_T0_E_clISt17integral_constantIbLb0EES1B_IbLb1EEEEDaS17_S18_EUlS17_E_NS1_11comp_targetILNS1_3genE4ELNS1_11target_archE910ELNS1_3gpuE8ELNS1_3repE0EEENS1_30default_config_static_selectorELNS0_4arch9wavefront6targetE1EEEvT1_.kd
    .uniform_work_group_size: 1
    .uses_dynamic_stack: false
    .vgpr_count:     46
    .vgpr_spill_count: 0
    .wavefront_size: 64
  - .agpr_count:     0
    .args:
      - .offset:         0
        .size:           136
        .value_kind:     by_value
    .group_segment_fixed_size: 0
    .kernarg_segment_align: 8
    .kernarg_segment_size: 136
    .language:       OpenCL C
    .language_version:
      - 2
      - 0
    .max_flat_workgroup_size: 512
    .name:           _ZN7rocprim17ROCPRIM_400000_NS6detail17trampoline_kernelINS0_14default_configENS1_25partition_config_selectorILNS1_17partition_subalgoE8ElNS0_10empty_typeEbEEZZNS1_14partition_implILS5_8ELb0ES3_jPlPS6_PKS6_NS0_5tupleIJS9_S6_EEENSD_IJSA_SA_EEENS0_18inequality_wrapperIZN2at6native12_GLOBAL__N_124unique_dim_cuda_templateImEESt5tupleIJNSH_6TensorESM_SM_EERKSM_lbbbEUlllE0_EEPmJS6_EEE10hipError_tPvRmT3_T4_T5_T6_T7_T9_mT8_P12ihipStream_tbDpT10_ENKUlT_T0_E_clISt17integral_constantIbLb0EES1B_IbLb1EEEEDaS17_S18_EUlS17_E_NS1_11comp_targetILNS1_3genE3ELNS1_11target_archE908ELNS1_3gpuE7ELNS1_3repE0EEENS1_30default_config_static_selectorELNS0_4arch9wavefront6targetE1EEEvT1_
    .private_segment_fixed_size: 0
    .sgpr_count:     4
    .sgpr_spill_count: 0
    .symbol:         _ZN7rocprim17ROCPRIM_400000_NS6detail17trampoline_kernelINS0_14default_configENS1_25partition_config_selectorILNS1_17partition_subalgoE8ElNS0_10empty_typeEbEEZZNS1_14partition_implILS5_8ELb0ES3_jPlPS6_PKS6_NS0_5tupleIJS9_S6_EEENSD_IJSA_SA_EEENS0_18inequality_wrapperIZN2at6native12_GLOBAL__N_124unique_dim_cuda_templateImEESt5tupleIJNSH_6TensorESM_SM_EERKSM_lbbbEUlllE0_EEPmJS6_EEE10hipError_tPvRmT3_T4_T5_T6_T7_T9_mT8_P12ihipStream_tbDpT10_ENKUlT_T0_E_clISt17integral_constantIbLb0EES1B_IbLb1EEEEDaS17_S18_EUlS17_E_NS1_11comp_targetILNS1_3genE3ELNS1_11target_archE908ELNS1_3gpuE7ELNS1_3repE0EEENS1_30default_config_static_selectorELNS0_4arch9wavefront6targetE1EEEvT1_.kd
    .uniform_work_group_size: 1
    .uses_dynamic_stack: false
    .vgpr_count:     0
    .vgpr_spill_count: 0
    .wavefront_size: 64
  - .agpr_count:     0
    .args:
      - .offset:         0
        .size:           136
        .value_kind:     by_value
    .group_segment_fixed_size: 0
    .kernarg_segment_align: 8
    .kernarg_segment_size: 136
    .language:       OpenCL C
    .language_version:
      - 2
      - 0
    .max_flat_workgroup_size: 256
    .name:           _ZN7rocprim17ROCPRIM_400000_NS6detail17trampoline_kernelINS0_14default_configENS1_25partition_config_selectorILNS1_17partition_subalgoE8ElNS0_10empty_typeEbEEZZNS1_14partition_implILS5_8ELb0ES3_jPlPS6_PKS6_NS0_5tupleIJS9_S6_EEENSD_IJSA_SA_EEENS0_18inequality_wrapperIZN2at6native12_GLOBAL__N_124unique_dim_cuda_templateImEESt5tupleIJNSH_6TensorESM_SM_EERKSM_lbbbEUlllE0_EEPmJS6_EEE10hipError_tPvRmT3_T4_T5_T6_T7_T9_mT8_P12ihipStream_tbDpT10_ENKUlT_T0_E_clISt17integral_constantIbLb0EES1B_IbLb1EEEEDaS17_S18_EUlS17_E_NS1_11comp_targetILNS1_3genE2ELNS1_11target_archE906ELNS1_3gpuE6ELNS1_3repE0EEENS1_30default_config_static_selectorELNS0_4arch9wavefront6targetE1EEEvT1_
    .private_segment_fixed_size: 0
    .sgpr_count:     4
    .sgpr_spill_count: 0
    .symbol:         _ZN7rocprim17ROCPRIM_400000_NS6detail17trampoline_kernelINS0_14default_configENS1_25partition_config_selectorILNS1_17partition_subalgoE8ElNS0_10empty_typeEbEEZZNS1_14partition_implILS5_8ELb0ES3_jPlPS6_PKS6_NS0_5tupleIJS9_S6_EEENSD_IJSA_SA_EEENS0_18inequality_wrapperIZN2at6native12_GLOBAL__N_124unique_dim_cuda_templateImEESt5tupleIJNSH_6TensorESM_SM_EERKSM_lbbbEUlllE0_EEPmJS6_EEE10hipError_tPvRmT3_T4_T5_T6_T7_T9_mT8_P12ihipStream_tbDpT10_ENKUlT_T0_E_clISt17integral_constantIbLb0EES1B_IbLb1EEEEDaS17_S18_EUlS17_E_NS1_11comp_targetILNS1_3genE2ELNS1_11target_archE906ELNS1_3gpuE6ELNS1_3repE0EEENS1_30default_config_static_selectorELNS0_4arch9wavefront6targetE1EEEvT1_.kd
    .uniform_work_group_size: 1
    .uses_dynamic_stack: false
    .vgpr_count:     0
    .vgpr_spill_count: 0
    .wavefront_size: 64
  - .agpr_count:     0
    .args:
      - .offset:         0
        .size:           136
        .value_kind:     by_value
    .group_segment_fixed_size: 0
    .kernarg_segment_align: 8
    .kernarg_segment_size: 136
    .language:       OpenCL C
    .language_version:
      - 2
      - 0
    .max_flat_workgroup_size: 384
    .name:           _ZN7rocprim17ROCPRIM_400000_NS6detail17trampoline_kernelINS0_14default_configENS1_25partition_config_selectorILNS1_17partition_subalgoE8ElNS0_10empty_typeEbEEZZNS1_14partition_implILS5_8ELb0ES3_jPlPS6_PKS6_NS0_5tupleIJS9_S6_EEENSD_IJSA_SA_EEENS0_18inequality_wrapperIZN2at6native12_GLOBAL__N_124unique_dim_cuda_templateImEESt5tupleIJNSH_6TensorESM_SM_EERKSM_lbbbEUlllE0_EEPmJS6_EEE10hipError_tPvRmT3_T4_T5_T6_T7_T9_mT8_P12ihipStream_tbDpT10_ENKUlT_T0_E_clISt17integral_constantIbLb0EES1B_IbLb1EEEEDaS17_S18_EUlS17_E_NS1_11comp_targetILNS1_3genE10ELNS1_11target_archE1200ELNS1_3gpuE4ELNS1_3repE0EEENS1_30default_config_static_selectorELNS0_4arch9wavefront6targetE1EEEvT1_
    .private_segment_fixed_size: 0
    .sgpr_count:     4
    .sgpr_spill_count: 0
    .symbol:         _ZN7rocprim17ROCPRIM_400000_NS6detail17trampoline_kernelINS0_14default_configENS1_25partition_config_selectorILNS1_17partition_subalgoE8ElNS0_10empty_typeEbEEZZNS1_14partition_implILS5_8ELb0ES3_jPlPS6_PKS6_NS0_5tupleIJS9_S6_EEENSD_IJSA_SA_EEENS0_18inequality_wrapperIZN2at6native12_GLOBAL__N_124unique_dim_cuda_templateImEESt5tupleIJNSH_6TensorESM_SM_EERKSM_lbbbEUlllE0_EEPmJS6_EEE10hipError_tPvRmT3_T4_T5_T6_T7_T9_mT8_P12ihipStream_tbDpT10_ENKUlT_T0_E_clISt17integral_constantIbLb0EES1B_IbLb1EEEEDaS17_S18_EUlS17_E_NS1_11comp_targetILNS1_3genE10ELNS1_11target_archE1200ELNS1_3gpuE4ELNS1_3repE0EEENS1_30default_config_static_selectorELNS0_4arch9wavefront6targetE1EEEvT1_.kd
    .uniform_work_group_size: 1
    .uses_dynamic_stack: false
    .vgpr_count:     0
    .vgpr_spill_count: 0
    .wavefront_size: 64
  - .agpr_count:     0
    .args:
      - .offset:         0
        .size:           136
        .value_kind:     by_value
    .group_segment_fixed_size: 0
    .kernarg_segment_align: 8
    .kernarg_segment_size: 136
    .language:       OpenCL C
    .language_version:
      - 2
      - 0
    .max_flat_workgroup_size: 512
    .name:           _ZN7rocprim17ROCPRIM_400000_NS6detail17trampoline_kernelINS0_14default_configENS1_25partition_config_selectorILNS1_17partition_subalgoE8ElNS0_10empty_typeEbEEZZNS1_14partition_implILS5_8ELb0ES3_jPlPS6_PKS6_NS0_5tupleIJS9_S6_EEENSD_IJSA_SA_EEENS0_18inequality_wrapperIZN2at6native12_GLOBAL__N_124unique_dim_cuda_templateImEESt5tupleIJNSH_6TensorESM_SM_EERKSM_lbbbEUlllE0_EEPmJS6_EEE10hipError_tPvRmT3_T4_T5_T6_T7_T9_mT8_P12ihipStream_tbDpT10_ENKUlT_T0_E_clISt17integral_constantIbLb0EES1B_IbLb1EEEEDaS17_S18_EUlS17_E_NS1_11comp_targetILNS1_3genE9ELNS1_11target_archE1100ELNS1_3gpuE3ELNS1_3repE0EEENS1_30default_config_static_selectorELNS0_4arch9wavefront6targetE1EEEvT1_
    .private_segment_fixed_size: 0
    .sgpr_count:     4
    .sgpr_spill_count: 0
    .symbol:         _ZN7rocprim17ROCPRIM_400000_NS6detail17trampoline_kernelINS0_14default_configENS1_25partition_config_selectorILNS1_17partition_subalgoE8ElNS0_10empty_typeEbEEZZNS1_14partition_implILS5_8ELb0ES3_jPlPS6_PKS6_NS0_5tupleIJS9_S6_EEENSD_IJSA_SA_EEENS0_18inequality_wrapperIZN2at6native12_GLOBAL__N_124unique_dim_cuda_templateImEESt5tupleIJNSH_6TensorESM_SM_EERKSM_lbbbEUlllE0_EEPmJS6_EEE10hipError_tPvRmT3_T4_T5_T6_T7_T9_mT8_P12ihipStream_tbDpT10_ENKUlT_T0_E_clISt17integral_constantIbLb0EES1B_IbLb1EEEEDaS17_S18_EUlS17_E_NS1_11comp_targetILNS1_3genE9ELNS1_11target_archE1100ELNS1_3gpuE3ELNS1_3repE0EEENS1_30default_config_static_selectorELNS0_4arch9wavefront6targetE1EEEvT1_.kd
    .uniform_work_group_size: 1
    .uses_dynamic_stack: false
    .vgpr_count:     0
    .vgpr_spill_count: 0
    .wavefront_size: 64
  - .agpr_count:     0
    .args:
      - .offset:         0
        .size:           136
        .value_kind:     by_value
    .group_segment_fixed_size: 0
    .kernarg_segment_align: 8
    .kernarg_segment_size: 136
    .language:       OpenCL C
    .language_version:
      - 2
      - 0
    .max_flat_workgroup_size: 512
    .name:           _ZN7rocprim17ROCPRIM_400000_NS6detail17trampoline_kernelINS0_14default_configENS1_25partition_config_selectorILNS1_17partition_subalgoE8ElNS0_10empty_typeEbEEZZNS1_14partition_implILS5_8ELb0ES3_jPlPS6_PKS6_NS0_5tupleIJS9_S6_EEENSD_IJSA_SA_EEENS0_18inequality_wrapperIZN2at6native12_GLOBAL__N_124unique_dim_cuda_templateImEESt5tupleIJNSH_6TensorESM_SM_EERKSM_lbbbEUlllE0_EEPmJS6_EEE10hipError_tPvRmT3_T4_T5_T6_T7_T9_mT8_P12ihipStream_tbDpT10_ENKUlT_T0_E_clISt17integral_constantIbLb0EES1B_IbLb1EEEEDaS17_S18_EUlS17_E_NS1_11comp_targetILNS1_3genE8ELNS1_11target_archE1030ELNS1_3gpuE2ELNS1_3repE0EEENS1_30default_config_static_selectorELNS0_4arch9wavefront6targetE1EEEvT1_
    .private_segment_fixed_size: 0
    .sgpr_count:     4
    .sgpr_spill_count: 0
    .symbol:         _ZN7rocprim17ROCPRIM_400000_NS6detail17trampoline_kernelINS0_14default_configENS1_25partition_config_selectorILNS1_17partition_subalgoE8ElNS0_10empty_typeEbEEZZNS1_14partition_implILS5_8ELb0ES3_jPlPS6_PKS6_NS0_5tupleIJS9_S6_EEENSD_IJSA_SA_EEENS0_18inequality_wrapperIZN2at6native12_GLOBAL__N_124unique_dim_cuda_templateImEESt5tupleIJNSH_6TensorESM_SM_EERKSM_lbbbEUlllE0_EEPmJS6_EEE10hipError_tPvRmT3_T4_T5_T6_T7_T9_mT8_P12ihipStream_tbDpT10_ENKUlT_T0_E_clISt17integral_constantIbLb0EES1B_IbLb1EEEEDaS17_S18_EUlS17_E_NS1_11comp_targetILNS1_3genE8ELNS1_11target_archE1030ELNS1_3gpuE2ELNS1_3repE0EEENS1_30default_config_static_selectorELNS0_4arch9wavefront6targetE1EEEvT1_.kd
    .uniform_work_group_size: 1
    .uses_dynamic_stack: false
    .vgpr_count:     0
    .vgpr_spill_count: 0
    .wavefront_size: 64
  - .agpr_count:     0
    .args:
      - .offset:         0
        .size:           120
        .value_kind:     by_value
    .group_segment_fixed_size: 0
    .kernarg_segment_align: 8
    .kernarg_segment_size: 120
    .language:       OpenCL C
    .language_version:
      - 2
      - 0
    .max_flat_workgroup_size: 128
    .name:           _ZN7rocprim17ROCPRIM_400000_NS6detail17trampoline_kernelINS0_14default_configENS1_25partition_config_selectorILNS1_17partition_subalgoE9EllbEEZZNS1_14partition_implILS5_9ELb0ES3_jPlS8_PNS0_10empty_typeENS0_5tupleIJS8_S9_EEENSB_IJS8_SA_EEENS0_18inequality_wrapperIZN2at6native12_GLOBAL__N_124unique_dim_cuda_templateImEESt5tupleIJNSF_6TensorESK_SK_EERKSK_lbbbEUlllE0_EEPmJS9_EEE10hipError_tPvRmT3_T4_T5_T6_T7_T9_mT8_P12ihipStream_tbDpT10_ENKUlT_T0_E_clISt17integral_constantIbLb0EES1A_EEDaS15_S16_EUlS15_E_NS1_11comp_targetILNS1_3genE0ELNS1_11target_archE4294967295ELNS1_3gpuE0ELNS1_3repE0EEENS1_30default_config_static_selectorELNS0_4arch9wavefront6targetE1EEEvT1_
    .private_segment_fixed_size: 0
    .sgpr_count:     4
    .sgpr_spill_count: 0
    .symbol:         _ZN7rocprim17ROCPRIM_400000_NS6detail17trampoline_kernelINS0_14default_configENS1_25partition_config_selectorILNS1_17partition_subalgoE9EllbEEZZNS1_14partition_implILS5_9ELb0ES3_jPlS8_PNS0_10empty_typeENS0_5tupleIJS8_S9_EEENSB_IJS8_SA_EEENS0_18inequality_wrapperIZN2at6native12_GLOBAL__N_124unique_dim_cuda_templateImEESt5tupleIJNSF_6TensorESK_SK_EERKSK_lbbbEUlllE0_EEPmJS9_EEE10hipError_tPvRmT3_T4_T5_T6_T7_T9_mT8_P12ihipStream_tbDpT10_ENKUlT_T0_E_clISt17integral_constantIbLb0EES1A_EEDaS15_S16_EUlS15_E_NS1_11comp_targetILNS1_3genE0ELNS1_11target_archE4294967295ELNS1_3gpuE0ELNS1_3repE0EEENS1_30default_config_static_selectorELNS0_4arch9wavefront6targetE1EEEvT1_.kd
    .uniform_work_group_size: 1
    .uses_dynamic_stack: false
    .vgpr_count:     0
    .vgpr_spill_count: 0
    .wavefront_size: 64
  - .agpr_count:     0
    .args:
      - .offset:         0
        .size:           120
        .value_kind:     by_value
    .group_segment_fixed_size: 0
    .kernarg_segment_align: 8
    .kernarg_segment_size: 120
    .language:       OpenCL C
    .language_version:
      - 2
      - 0
    .max_flat_workgroup_size: 512
    .name:           _ZN7rocprim17ROCPRIM_400000_NS6detail17trampoline_kernelINS0_14default_configENS1_25partition_config_selectorILNS1_17partition_subalgoE9EllbEEZZNS1_14partition_implILS5_9ELb0ES3_jPlS8_PNS0_10empty_typeENS0_5tupleIJS8_S9_EEENSB_IJS8_SA_EEENS0_18inequality_wrapperIZN2at6native12_GLOBAL__N_124unique_dim_cuda_templateImEESt5tupleIJNSF_6TensorESK_SK_EERKSK_lbbbEUlllE0_EEPmJS9_EEE10hipError_tPvRmT3_T4_T5_T6_T7_T9_mT8_P12ihipStream_tbDpT10_ENKUlT_T0_E_clISt17integral_constantIbLb0EES1A_EEDaS15_S16_EUlS15_E_NS1_11comp_targetILNS1_3genE5ELNS1_11target_archE942ELNS1_3gpuE9ELNS1_3repE0EEENS1_30default_config_static_selectorELNS0_4arch9wavefront6targetE1EEEvT1_
    .private_segment_fixed_size: 0
    .sgpr_count:     4
    .sgpr_spill_count: 0
    .symbol:         _ZN7rocprim17ROCPRIM_400000_NS6detail17trampoline_kernelINS0_14default_configENS1_25partition_config_selectorILNS1_17partition_subalgoE9EllbEEZZNS1_14partition_implILS5_9ELb0ES3_jPlS8_PNS0_10empty_typeENS0_5tupleIJS8_S9_EEENSB_IJS8_SA_EEENS0_18inequality_wrapperIZN2at6native12_GLOBAL__N_124unique_dim_cuda_templateImEESt5tupleIJNSF_6TensorESK_SK_EERKSK_lbbbEUlllE0_EEPmJS9_EEE10hipError_tPvRmT3_T4_T5_T6_T7_T9_mT8_P12ihipStream_tbDpT10_ENKUlT_T0_E_clISt17integral_constantIbLb0EES1A_EEDaS15_S16_EUlS15_E_NS1_11comp_targetILNS1_3genE5ELNS1_11target_archE942ELNS1_3gpuE9ELNS1_3repE0EEENS1_30default_config_static_selectorELNS0_4arch9wavefront6targetE1EEEvT1_.kd
    .uniform_work_group_size: 1
    .uses_dynamic_stack: false
    .vgpr_count:     0
    .vgpr_spill_count: 0
    .wavefront_size: 64
  - .agpr_count:     0
    .args:
      - .offset:         0
        .size:           120
        .value_kind:     by_value
    .group_segment_fixed_size: 4236
    .kernarg_segment_align: 8
    .kernarg_segment_size: 120
    .language:       OpenCL C
    .language_version:
      - 2
      - 0
    .max_flat_workgroup_size: 128
    .name:           _ZN7rocprim17ROCPRIM_400000_NS6detail17trampoline_kernelINS0_14default_configENS1_25partition_config_selectorILNS1_17partition_subalgoE9EllbEEZZNS1_14partition_implILS5_9ELb0ES3_jPlS8_PNS0_10empty_typeENS0_5tupleIJS8_S9_EEENSB_IJS8_SA_EEENS0_18inequality_wrapperIZN2at6native12_GLOBAL__N_124unique_dim_cuda_templateImEESt5tupleIJNSF_6TensorESK_SK_EERKSK_lbbbEUlllE0_EEPmJS9_EEE10hipError_tPvRmT3_T4_T5_T6_T7_T9_mT8_P12ihipStream_tbDpT10_ENKUlT_T0_E_clISt17integral_constantIbLb0EES1A_EEDaS15_S16_EUlS15_E_NS1_11comp_targetILNS1_3genE4ELNS1_11target_archE910ELNS1_3gpuE8ELNS1_3repE0EEENS1_30default_config_static_selectorELNS0_4arch9wavefront6targetE1EEEvT1_
    .private_segment_fixed_size: 0
    .sgpr_count:     50
    .sgpr_spill_count: 0
    .symbol:         _ZN7rocprim17ROCPRIM_400000_NS6detail17trampoline_kernelINS0_14default_configENS1_25partition_config_selectorILNS1_17partition_subalgoE9EllbEEZZNS1_14partition_implILS5_9ELb0ES3_jPlS8_PNS0_10empty_typeENS0_5tupleIJS8_S9_EEENSB_IJS8_SA_EEENS0_18inequality_wrapperIZN2at6native12_GLOBAL__N_124unique_dim_cuda_templateImEESt5tupleIJNSF_6TensorESK_SK_EERKSK_lbbbEUlllE0_EEPmJS9_EEE10hipError_tPvRmT3_T4_T5_T6_T7_T9_mT8_P12ihipStream_tbDpT10_ENKUlT_T0_E_clISt17integral_constantIbLb0EES1A_EEDaS15_S16_EUlS15_E_NS1_11comp_targetILNS1_3genE4ELNS1_11target_archE910ELNS1_3gpuE8ELNS1_3repE0EEENS1_30default_config_static_selectorELNS0_4arch9wavefront6targetE1EEEvT1_.kd
    .uniform_work_group_size: 1
    .uses_dynamic_stack: false
    .vgpr_count:     50
    .vgpr_spill_count: 0
    .wavefront_size: 64
  - .agpr_count:     0
    .args:
      - .offset:         0
        .size:           120
        .value_kind:     by_value
    .group_segment_fixed_size: 0
    .kernarg_segment_align: 8
    .kernarg_segment_size: 120
    .language:       OpenCL C
    .language_version:
      - 2
      - 0
    .max_flat_workgroup_size: 128
    .name:           _ZN7rocprim17ROCPRIM_400000_NS6detail17trampoline_kernelINS0_14default_configENS1_25partition_config_selectorILNS1_17partition_subalgoE9EllbEEZZNS1_14partition_implILS5_9ELb0ES3_jPlS8_PNS0_10empty_typeENS0_5tupleIJS8_S9_EEENSB_IJS8_SA_EEENS0_18inequality_wrapperIZN2at6native12_GLOBAL__N_124unique_dim_cuda_templateImEESt5tupleIJNSF_6TensorESK_SK_EERKSK_lbbbEUlllE0_EEPmJS9_EEE10hipError_tPvRmT3_T4_T5_T6_T7_T9_mT8_P12ihipStream_tbDpT10_ENKUlT_T0_E_clISt17integral_constantIbLb0EES1A_EEDaS15_S16_EUlS15_E_NS1_11comp_targetILNS1_3genE3ELNS1_11target_archE908ELNS1_3gpuE7ELNS1_3repE0EEENS1_30default_config_static_selectorELNS0_4arch9wavefront6targetE1EEEvT1_
    .private_segment_fixed_size: 0
    .sgpr_count:     4
    .sgpr_spill_count: 0
    .symbol:         _ZN7rocprim17ROCPRIM_400000_NS6detail17trampoline_kernelINS0_14default_configENS1_25partition_config_selectorILNS1_17partition_subalgoE9EllbEEZZNS1_14partition_implILS5_9ELb0ES3_jPlS8_PNS0_10empty_typeENS0_5tupleIJS8_S9_EEENSB_IJS8_SA_EEENS0_18inequality_wrapperIZN2at6native12_GLOBAL__N_124unique_dim_cuda_templateImEESt5tupleIJNSF_6TensorESK_SK_EERKSK_lbbbEUlllE0_EEPmJS9_EEE10hipError_tPvRmT3_T4_T5_T6_T7_T9_mT8_P12ihipStream_tbDpT10_ENKUlT_T0_E_clISt17integral_constantIbLb0EES1A_EEDaS15_S16_EUlS15_E_NS1_11comp_targetILNS1_3genE3ELNS1_11target_archE908ELNS1_3gpuE7ELNS1_3repE0EEENS1_30default_config_static_selectorELNS0_4arch9wavefront6targetE1EEEvT1_.kd
    .uniform_work_group_size: 1
    .uses_dynamic_stack: false
    .vgpr_count:     0
    .vgpr_spill_count: 0
    .wavefront_size: 64
  - .agpr_count:     0
    .args:
      - .offset:         0
        .size:           120
        .value_kind:     by_value
    .group_segment_fixed_size: 0
    .kernarg_segment_align: 8
    .kernarg_segment_size: 120
    .language:       OpenCL C
    .language_version:
      - 2
      - 0
    .max_flat_workgroup_size: 192
    .name:           _ZN7rocprim17ROCPRIM_400000_NS6detail17trampoline_kernelINS0_14default_configENS1_25partition_config_selectorILNS1_17partition_subalgoE9EllbEEZZNS1_14partition_implILS5_9ELb0ES3_jPlS8_PNS0_10empty_typeENS0_5tupleIJS8_S9_EEENSB_IJS8_SA_EEENS0_18inequality_wrapperIZN2at6native12_GLOBAL__N_124unique_dim_cuda_templateImEESt5tupleIJNSF_6TensorESK_SK_EERKSK_lbbbEUlllE0_EEPmJS9_EEE10hipError_tPvRmT3_T4_T5_T6_T7_T9_mT8_P12ihipStream_tbDpT10_ENKUlT_T0_E_clISt17integral_constantIbLb0EES1A_EEDaS15_S16_EUlS15_E_NS1_11comp_targetILNS1_3genE2ELNS1_11target_archE906ELNS1_3gpuE6ELNS1_3repE0EEENS1_30default_config_static_selectorELNS0_4arch9wavefront6targetE1EEEvT1_
    .private_segment_fixed_size: 0
    .sgpr_count:     4
    .sgpr_spill_count: 0
    .symbol:         _ZN7rocprim17ROCPRIM_400000_NS6detail17trampoline_kernelINS0_14default_configENS1_25partition_config_selectorILNS1_17partition_subalgoE9EllbEEZZNS1_14partition_implILS5_9ELb0ES3_jPlS8_PNS0_10empty_typeENS0_5tupleIJS8_S9_EEENSB_IJS8_SA_EEENS0_18inequality_wrapperIZN2at6native12_GLOBAL__N_124unique_dim_cuda_templateImEESt5tupleIJNSF_6TensorESK_SK_EERKSK_lbbbEUlllE0_EEPmJS9_EEE10hipError_tPvRmT3_T4_T5_T6_T7_T9_mT8_P12ihipStream_tbDpT10_ENKUlT_T0_E_clISt17integral_constantIbLb0EES1A_EEDaS15_S16_EUlS15_E_NS1_11comp_targetILNS1_3genE2ELNS1_11target_archE906ELNS1_3gpuE6ELNS1_3repE0EEENS1_30default_config_static_selectorELNS0_4arch9wavefront6targetE1EEEvT1_.kd
    .uniform_work_group_size: 1
    .uses_dynamic_stack: false
    .vgpr_count:     0
    .vgpr_spill_count: 0
    .wavefront_size: 64
  - .agpr_count:     0
    .args:
      - .offset:         0
        .size:           120
        .value_kind:     by_value
    .group_segment_fixed_size: 0
    .kernarg_segment_align: 8
    .kernarg_segment_size: 120
    .language:       OpenCL C
    .language_version:
      - 2
      - 0
    .max_flat_workgroup_size: 384
    .name:           _ZN7rocprim17ROCPRIM_400000_NS6detail17trampoline_kernelINS0_14default_configENS1_25partition_config_selectorILNS1_17partition_subalgoE9EllbEEZZNS1_14partition_implILS5_9ELb0ES3_jPlS8_PNS0_10empty_typeENS0_5tupleIJS8_S9_EEENSB_IJS8_SA_EEENS0_18inequality_wrapperIZN2at6native12_GLOBAL__N_124unique_dim_cuda_templateImEESt5tupleIJNSF_6TensorESK_SK_EERKSK_lbbbEUlllE0_EEPmJS9_EEE10hipError_tPvRmT3_T4_T5_T6_T7_T9_mT8_P12ihipStream_tbDpT10_ENKUlT_T0_E_clISt17integral_constantIbLb0EES1A_EEDaS15_S16_EUlS15_E_NS1_11comp_targetILNS1_3genE10ELNS1_11target_archE1200ELNS1_3gpuE4ELNS1_3repE0EEENS1_30default_config_static_selectorELNS0_4arch9wavefront6targetE1EEEvT1_
    .private_segment_fixed_size: 0
    .sgpr_count:     4
    .sgpr_spill_count: 0
    .symbol:         _ZN7rocprim17ROCPRIM_400000_NS6detail17trampoline_kernelINS0_14default_configENS1_25partition_config_selectorILNS1_17partition_subalgoE9EllbEEZZNS1_14partition_implILS5_9ELb0ES3_jPlS8_PNS0_10empty_typeENS0_5tupleIJS8_S9_EEENSB_IJS8_SA_EEENS0_18inequality_wrapperIZN2at6native12_GLOBAL__N_124unique_dim_cuda_templateImEESt5tupleIJNSF_6TensorESK_SK_EERKSK_lbbbEUlllE0_EEPmJS9_EEE10hipError_tPvRmT3_T4_T5_T6_T7_T9_mT8_P12ihipStream_tbDpT10_ENKUlT_T0_E_clISt17integral_constantIbLb0EES1A_EEDaS15_S16_EUlS15_E_NS1_11comp_targetILNS1_3genE10ELNS1_11target_archE1200ELNS1_3gpuE4ELNS1_3repE0EEENS1_30default_config_static_selectorELNS0_4arch9wavefront6targetE1EEEvT1_.kd
    .uniform_work_group_size: 1
    .uses_dynamic_stack: false
    .vgpr_count:     0
    .vgpr_spill_count: 0
    .wavefront_size: 64
  - .agpr_count:     0
    .args:
      - .offset:         0
        .size:           120
        .value_kind:     by_value
    .group_segment_fixed_size: 0
    .kernarg_segment_align: 8
    .kernarg_segment_size: 120
    .language:       OpenCL C
    .language_version:
      - 2
      - 0
    .max_flat_workgroup_size: 512
    .name:           _ZN7rocprim17ROCPRIM_400000_NS6detail17trampoline_kernelINS0_14default_configENS1_25partition_config_selectorILNS1_17partition_subalgoE9EllbEEZZNS1_14partition_implILS5_9ELb0ES3_jPlS8_PNS0_10empty_typeENS0_5tupleIJS8_S9_EEENSB_IJS8_SA_EEENS0_18inequality_wrapperIZN2at6native12_GLOBAL__N_124unique_dim_cuda_templateImEESt5tupleIJNSF_6TensorESK_SK_EERKSK_lbbbEUlllE0_EEPmJS9_EEE10hipError_tPvRmT3_T4_T5_T6_T7_T9_mT8_P12ihipStream_tbDpT10_ENKUlT_T0_E_clISt17integral_constantIbLb0EES1A_EEDaS15_S16_EUlS15_E_NS1_11comp_targetILNS1_3genE9ELNS1_11target_archE1100ELNS1_3gpuE3ELNS1_3repE0EEENS1_30default_config_static_selectorELNS0_4arch9wavefront6targetE1EEEvT1_
    .private_segment_fixed_size: 0
    .sgpr_count:     4
    .sgpr_spill_count: 0
    .symbol:         _ZN7rocprim17ROCPRIM_400000_NS6detail17trampoline_kernelINS0_14default_configENS1_25partition_config_selectorILNS1_17partition_subalgoE9EllbEEZZNS1_14partition_implILS5_9ELb0ES3_jPlS8_PNS0_10empty_typeENS0_5tupleIJS8_S9_EEENSB_IJS8_SA_EEENS0_18inequality_wrapperIZN2at6native12_GLOBAL__N_124unique_dim_cuda_templateImEESt5tupleIJNSF_6TensorESK_SK_EERKSK_lbbbEUlllE0_EEPmJS9_EEE10hipError_tPvRmT3_T4_T5_T6_T7_T9_mT8_P12ihipStream_tbDpT10_ENKUlT_T0_E_clISt17integral_constantIbLb0EES1A_EEDaS15_S16_EUlS15_E_NS1_11comp_targetILNS1_3genE9ELNS1_11target_archE1100ELNS1_3gpuE3ELNS1_3repE0EEENS1_30default_config_static_selectorELNS0_4arch9wavefront6targetE1EEEvT1_.kd
    .uniform_work_group_size: 1
    .uses_dynamic_stack: false
    .vgpr_count:     0
    .vgpr_spill_count: 0
    .wavefront_size: 64
  - .agpr_count:     0
    .args:
      - .offset:         0
        .size:           120
        .value_kind:     by_value
    .group_segment_fixed_size: 0
    .kernarg_segment_align: 8
    .kernarg_segment_size: 120
    .language:       OpenCL C
    .language_version:
      - 2
      - 0
    .max_flat_workgroup_size: 512
    .name:           _ZN7rocprim17ROCPRIM_400000_NS6detail17trampoline_kernelINS0_14default_configENS1_25partition_config_selectorILNS1_17partition_subalgoE9EllbEEZZNS1_14partition_implILS5_9ELb0ES3_jPlS8_PNS0_10empty_typeENS0_5tupleIJS8_S9_EEENSB_IJS8_SA_EEENS0_18inequality_wrapperIZN2at6native12_GLOBAL__N_124unique_dim_cuda_templateImEESt5tupleIJNSF_6TensorESK_SK_EERKSK_lbbbEUlllE0_EEPmJS9_EEE10hipError_tPvRmT3_T4_T5_T6_T7_T9_mT8_P12ihipStream_tbDpT10_ENKUlT_T0_E_clISt17integral_constantIbLb0EES1A_EEDaS15_S16_EUlS15_E_NS1_11comp_targetILNS1_3genE8ELNS1_11target_archE1030ELNS1_3gpuE2ELNS1_3repE0EEENS1_30default_config_static_selectorELNS0_4arch9wavefront6targetE1EEEvT1_
    .private_segment_fixed_size: 0
    .sgpr_count:     4
    .sgpr_spill_count: 0
    .symbol:         _ZN7rocprim17ROCPRIM_400000_NS6detail17trampoline_kernelINS0_14default_configENS1_25partition_config_selectorILNS1_17partition_subalgoE9EllbEEZZNS1_14partition_implILS5_9ELb0ES3_jPlS8_PNS0_10empty_typeENS0_5tupleIJS8_S9_EEENSB_IJS8_SA_EEENS0_18inequality_wrapperIZN2at6native12_GLOBAL__N_124unique_dim_cuda_templateImEESt5tupleIJNSF_6TensorESK_SK_EERKSK_lbbbEUlllE0_EEPmJS9_EEE10hipError_tPvRmT3_T4_T5_T6_T7_T9_mT8_P12ihipStream_tbDpT10_ENKUlT_T0_E_clISt17integral_constantIbLb0EES1A_EEDaS15_S16_EUlS15_E_NS1_11comp_targetILNS1_3genE8ELNS1_11target_archE1030ELNS1_3gpuE2ELNS1_3repE0EEENS1_30default_config_static_selectorELNS0_4arch9wavefront6targetE1EEEvT1_.kd
    .uniform_work_group_size: 1
    .uses_dynamic_stack: false
    .vgpr_count:     0
    .vgpr_spill_count: 0
    .wavefront_size: 64
  - .agpr_count:     0
    .args:
      - .offset:         0
        .size:           136
        .value_kind:     by_value
    .group_segment_fixed_size: 0
    .kernarg_segment_align: 8
    .kernarg_segment_size: 136
    .language:       OpenCL C
    .language_version:
      - 2
      - 0
    .max_flat_workgroup_size: 128
    .name:           _ZN7rocprim17ROCPRIM_400000_NS6detail17trampoline_kernelINS0_14default_configENS1_25partition_config_selectorILNS1_17partition_subalgoE9EllbEEZZNS1_14partition_implILS5_9ELb0ES3_jPlS8_PNS0_10empty_typeENS0_5tupleIJS8_S9_EEENSB_IJS8_SA_EEENS0_18inequality_wrapperIZN2at6native12_GLOBAL__N_124unique_dim_cuda_templateImEESt5tupleIJNSF_6TensorESK_SK_EERKSK_lbbbEUlllE0_EEPmJS9_EEE10hipError_tPvRmT3_T4_T5_T6_T7_T9_mT8_P12ihipStream_tbDpT10_ENKUlT_T0_E_clISt17integral_constantIbLb1EES1A_EEDaS15_S16_EUlS15_E_NS1_11comp_targetILNS1_3genE0ELNS1_11target_archE4294967295ELNS1_3gpuE0ELNS1_3repE0EEENS1_30default_config_static_selectorELNS0_4arch9wavefront6targetE1EEEvT1_
    .private_segment_fixed_size: 0
    .sgpr_count:     4
    .sgpr_spill_count: 0
    .symbol:         _ZN7rocprim17ROCPRIM_400000_NS6detail17trampoline_kernelINS0_14default_configENS1_25partition_config_selectorILNS1_17partition_subalgoE9EllbEEZZNS1_14partition_implILS5_9ELb0ES3_jPlS8_PNS0_10empty_typeENS0_5tupleIJS8_S9_EEENSB_IJS8_SA_EEENS0_18inequality_wrapperIZN2at6native12_GLOBAL__N_124unique_dim_cuda_templateImEESt5tupleIJNSF_6TensorESK_SK_EERKSK_lbbbEUlllE0_EEPmJS9_EEE10hipError_tPvRmT3_T4_T5_T6_T7_T9_mT8_P12ihipStream_tbDpT10_ENKUlT_T0_E_clISt17integral_constantIbLb1EES1A_EEDaS15_S16_EUlS15_E_NS1_11comp_targetILNS1_3genE0ELNS1_11target_archE4294967295ELNS1_3gpuE0ELNS1_3repE0EEENS1_30default_config_static_selectorELNS0_4arch9wavefront6targetE1EEEvT1_.kd
    .uniform_work_group_size: 1
    .uses_dynamic_stack: false
    .vgpr_count:     0
    .vgpr_spill_count: 0
    .wavefront_size: 64
  - .agpr_count:     0
    .args:
      - .offset:         0
        .size:           136
        .value_kind:     by_value
    .group_segment_fixed_size: 0
    .kernarg_segment_align: 8
    .kernarg_segment_size: 136
    .language:       OpenCL C
    .language_version:
      - 2
      - 0
    .max_flat_workgroup_size: 512
    .name:           _ZN7rocprim17ROCPRIM_400000_NS6detail17trampoline_kernelINS0_14default_configENS1_25partition_config_selectorILNS1_17partition_subalgoE9EllbEEZZNS1_14partition_implILS5_9ELb0ES3_jPlS8_PNS0_10empty_typeENS0_5tupleIJS8_S9_EEENSB_IJS8_SA_EEENS0_18inequality_wrapperIZN2at6native12_GLOBAL__N_124unique_dim_cuda_templateImEESt5tupleIJNSF_6TensorESK_SK_EERKSK_lbbbEUlllE0_EEPmJS9_EEE10hipError_tPvRmT3_T4_T5_T6_T7_T9_mT8_P12ihipStream_tbDpT10_ENKUlT_T0_E_clISt17integral_constantIbLb1EES1A_EEDaS15_S16_EUlS15_E_NS1_11comp_targetILNS1_3genE5ELNS1_11target_archE942ELNS1_3gpuE9ELNS1_3repE0EEENS1_30default_config_static_selectorELNS0_4arch9wavefront6targetE1EEEvT1_
    .private_segment_fixed_size: 0
    .sgpr_count:     4
    .sgpr_spill_count: 0
    .symbol:         _ZN7rocprim17ROCPRIM_400000_NS6detail17trampoline_kernelINS0_14default_configENS1_25partition_config_selectorILNS1_17partition_subalgoE9EllbEEZZNS1_14partition_implILS5_9ELb0ES3_jPlS8_PNS0_10empty_typeENS0_5tupleIJS8_S9_EEENSB_IJS8_SA_EEENS0_18inequality_wrapperIZN2at6native12_GLOBAL__N_124unique_dim_cuda_templateImEESt5tupleIJNSF_6TensorESK_SK_EERKSK_lbbbEUlllE0_EEPmJS9_EEE10hipError_tPvRmT3_T4_T5_T6_T7_T9_mT8_P12ihipStream_tbDpT10_ENKUlT_T0_E_clISt17integral_constantIbLb1EES1A_EEDaS15_S16_EUlS15_E_NS1_11comp_targetILNS1_3genE5ELNS1_11target_archE942ELNS1_3gpuE9ELNS1_3repE0EEENS1_30default_config_static_selectorELNS0_4arch9wavefront6targetE1EEEvT1_.kd
    .uniform_work_group_size: 1
    .uses_dynamic_stack: false
    .vgpr_count:     0
    .vgpr_spill_count: 0
    .wavefront_size: 64
  - .agpr_count:     0
    .args:
      - .offset:         0
        .size:           136
        .value_kind:     by_value
    .group_segment_fixed_size: 4236
    .kernarg_segment_align: 8
    .kernarg_segment_size: 136
    .language:       OpenCL C
    .language_version:
      - 2
      - 0
    .max_flat_workgroup_size: 128
    .name:           _ZN7rocprim17ROCPRIM_400000_NS6detail17trampoline_kernelINS0_14default_configENS1_25partition_config_selectorILNS1_17partition_subalgoE9EllbEEZZNS1_14partition_implILS5_9ELb0ES3_jPlS8_PNS0_10empty_typeENS0_5tupleIJS8_S9_EEENSB_IJS8_SA_EEENS0_18inequality_wrapperIZN2at6native12_GLOBAL__N_124unique_dim_cuda_templateImEESt5tupleIJNSF_6TensorESK_SK_EERKSK_lbbbEUlllE0_EEPmJS9_EEE10hipError_tPvRmT3_T4_T5_T6_T7_T9_mT8_P12ihipStream_tbDpT10_ENKUlT_T0_E_clISt17integral_constantIbLb1EES1A_EEDaS15_S16_EUlS15_E_NS1_11comp_targetILNS1_3genE4ELNS1_11target_archE910ELNS1_3gpuE8ELNS1_3repE0EEENS1_30default_config_static_selectorELNS0_4arch9wavefront6targetE1EEEvT1_
    .private_segment_fixed_size: 0
    .sgpr_count:     56
    .sgpr_spill_count: 0
    .symbol:         _ZN7rocprim17ROCPRIM_400000_NS6detail17trampoline_kernelINS0_14default_configENS1_25partition_config_selectorILNS1_17partition_subalgoE9EllbEEZZNS1_14partition_implILS5_9ELb0ES3_jPlS8_PNS0_10empty_typeENS0_5tupleIJS8_S9_EEENSB_IJS8_SA_EEENS0_18inequality_wrapperIZN2at6native12_GLOBAL__N_124unique_dim_cuda_templateImEESt5tupleIJNSF_6TensorESK_SK_EERKSK_lbbbEUlllE0_EEPmJS9_EEE10hipError_tPvRmT3_T4_T5_T6_T7_T9_mT8_P12ihipStream_tbDpT10_ENKUlT_T0_E_clISt17integral_constantIbLb1EES1A_EEDaS15_S16_EUlS15_E_NS1_11comp_targetILNS1_3genE4ELNS1_11target_archE910ELNS1_3gpuE8ELNS1_3repE0EEENS1_30default_config_static_selectorELNS0_4arch9wavefront6targetE1EEEvT1_.kd
    .uniform_work_group_size: 1
    .uses_dynamic_stack: false
    .vgpr_count:     50
    .vgpr_spill_count: 0
    .wavefront_size: 64
  - .agpr_count:     0
    .args:
      - .offset:         0
        .size:           136
        .value_kind:     by_value
    .group_segment_fixed_size: 0
    .kernarg_segment_align: 8
    .kernarg_segment_size: 136
    .language:       OpenCL C
    .language_version:
      - 2
      - 0
    .max_flat_workgroup_size: 128
    .name:           _ZN7rocprim17ROCPRIM_400000_NS6detail17trampoline_kernelINS0_14default_configENS1_25partition_config_selectorILNS1_17partition_subalgoE9EllbEEZZNS1_14partition_implILS5_9ELb0ES3_jPlS8_PNS0_10empty_typeENS0_5tupleIJS8_S9_EEENSB_IJS8_SA_EEENS0_18inequality_wrapperIZN2at6native12_GLOBAL__N_124unique_dim_cuda_templateImEESt5tupleIJNSF_6TensorESK_SK_EERKSK_lbbbEUlllE0_EEPmJS9_EEE10hipError_tPvRmT3_T4_T5_T6_T7_T9_mT8_P12ihipStream_tbDpT10_ENKUlT_T0_E_clISt17integral_constantIbLb1EES1A_EEDaS15_S16_EUlS15_E_NS1_11comp_targetILNS1_3genE3ELNS1_11target_archE908ELNS1_3gpuE7ELNS1_3repE0EEENS1_30default_config_static_selectorELNS0_4arch9wavefront6targetE1EEEvT1_
    .private_segment_fixed_size: 0
    .sgpr_count:     4
    .sgpr_spill_count: 0
    .symbol:         _ZN7rocprim17ROCPRIM_400000_NS6detail17trampoline_kernelINS0_14default_configENS1_25partition_config_selectorILNS1_17partition_subalgoE9EllbEEZZNS1_14partition_implILS5_9ELb0ES3_jPlS8_PNS0_10empty_typeENS0_5tupleIJS8_S9_EEENSB_IJS8_SA_EEENS0_18inequality_wrapperIZN2at6native12_GLOBAL__N_124unique_dim_cuda_templateImEESt5tupleIJNSF_6TensorESK_SK_EERKSK_lbbbEUlllE0_EEPmJS9_EEE10hipError_tPvRmT3_T4_T5_T6_T7_T9_mT8_P12ihipStream_tbDpT10_ENKUlT_T0_E_clISt17integral_constantIbLb1EES1A_EEDaS15_S16_EUlS15_E_NS1_11comp_targetILNS1_3genE3ELNS1_11target_archE908ELNS1_3gpuE7ELNS1_3repE0EEENS1_30default_config_static_selectorELNS0_4arch9wavefront6targetE1EEEvT1_.kd
    .uniform_work_group_size: 1
    .uses_dynamic_stack: false
    .vgpr_count:     0
    .vgpr_spill_count: 0
    .wavefront_size: 64
  - .agpr_count:     0
    .args:
      - .offset:         0
        .size:           136
        .value_kind:     by_value
    .group_segment_fixed_size: 0
    .kernarg_segment_align: 8
    .kernarg_segment_size: 136
    .language:       OpenCL C
    .language_version:
      - 2
      - 0
    .max_flat_workgroup_size: 192
    .name:           _ZN7rocprim17ROCPRIM_400000_NS6detail17trampoline_kernelINS0_14default_configENS1_25partition_config_selectorILNS1_17partition_subalgoE9EllbEEZZNS1_14partition_implILS5_9ELb0ES3_jPlS8_PNS0_10empty_typeENS0_5tupleIJS8_S9_EEENSB_IJS8_SA_EEENS0_18inequality_wrapperIZN2at6native12_GLOBAL__N_124unique_dim_cuda_templateImEESt5tupleIJNSF_6TensorESK_SK_EERKSK_lbbbEUlllE0_EEPmJS9_EEE10hipError_tPvRmT3_T4_T5_T6_T7_T9_mT8_P12ihipStream_tbDpT10_ENKUlT_T0_E_clISt17integral_constantIbLb1EES1A_EEDaS15_S16_EUlS15_E_NS1_11comp_targetILNS1_3genE2ELNS1_11target_archE906ELNS1_3gpuE6ELNS1_3repE0EEENS1_30default_config_static_selectorELNS0_4arch9wavefront6targetE1EEEvT1_
    .private_segment_fixed_size: 0
    .sgpr_count:     4
    .sgpr_spill_count: 0
    .symbol:         _ZN7rocprim17ROCPRIM_400000_NS6detail17trampoline_kernelINS0_14default_configENS1_25partition_config_selectorILNS1_17partition_subalgoE9EllbEEZZNS1_14partition_implILS5_9ELb0ES3_jPlS8_PNS0_10empty_typeENS0_5tupleIJS8_S9_EEENSB_IJS8_SA_EEENS0_18inequality_wrapperIZN2at6native12_GLOBAL__N_124unique_dim_cuda_templateImEESt5tupleIJNSF_6TensorESK_SK_EERKSK_lbbbEUlllE0_EEPmJS9_EEE10hipError_tPvRmT3_T4_T5_T6_T7_T9_mT8_P12ihipStream_tbDpT10_ENKUlT_T0_E_clISt17integral_constantIbLb1EES1A_EEDaS15_S16_EUlS15_E_NS1_11comp_targetILNS1_3genE2ELNS1_11target_archE906ELNS1_3gpuE6ELNS1_3repE0EEENS1_30default_config_static_selectorELNS0_4arch9wavefront6targetE1EEEvT1_.kd
    .uniform_work_group_size: 1
    .uses_dynamic_stack: false
    .vgpr_count:     0
    .vgpr_spill_count: 0
    .wavefront_size: 64
  - .agpr_count:     0
    .args:
      - .offset:         0
        .size:           136
        .value_kind:     by_value
    .group_segment_fixed_size: 0
    .kernarg_segment_align: 8
    .kernarg_segment_size: 136
    .language:       OpenCL C
    .language_version:
      - 2
      - 0
    .max_flat_workgroup_size: 384
    .name:           _ZN7rocprim17ROCPRIM_400000_NS6detail17trampoline_kernelINS0_14default_configENS1_25partition_config_selectorILNS1_17partition_subalgoE9EllbEEZZNS1_14partition_implILS5_9ELb0ES3_jPlS8_PNS0_10empty_typeENS0_5tupleIJS8_S9_EEENSB_IJS8_SA_EEENS0_18inequality_wrapperIZN2at6native12_GLOBAL__N_124unique_dim_cuda_templateImEESt5tupleIJNSF_6TensorESK_SK_EERKSK_lbbbEUlllE0_EEPmJS9_EEE10hipError_tPvRmT3_T4_T5_T6_T7_T9_mT8_P12ihipStream_tbDpT10_ENKUlT_T0_E_clISt17integral_constantIbLb1EES1A_EEDaS15_S16_EUlS15_E_NS1_11comp_targetILNS1_3genE10ELNS1_11target_archE1200ELNS1_3gpuE4ELNS1_3repE0EEENS1_30default_config_static_selectorELNS0_4arch9wavefront6targetE1EEEvT1_
    .private_segment_fixed_size: 0
    .sgpr_count:     4
    .sgpr_spill_count: 0
    .symbol:         _ZN7rocprim17ROCPRIM_400000_NS6detail17trampoline_kernelINS0_14default_configENS1_25partition_config_selectorILNS1_17partition_subalgoE9EllbEEZZNS1_14partition_implILS5_9ELb0ES3_jPlS8_PNS0_10empty_typeENS0_5tupleIJS8_S9_EEENSB_IJS8_SA_EEENS0_18inequality_wrapperIZN2at6native12_GLOBAL__N_124unique_dim_cuda_templateImEESt5tupleIJNSF_6TensorESK_SK_EERKSK_lbbbEUlllE0_EEPmJS9_EEE10hipError_tPvRmT3_T4_T5_T6_T7_T9_mT8_P12ihipStream_tbDpT10_ENKUlT_T0_E_clISt17integral_constantIbLb1EES1A_EEDaS15_S16_EUlS15_E_NS1_11comp_targetILNS1_3genE10ELNS1_11target_archE1200ELNS1_3gpuE4ELNS1_3repE0EEENS1_30default_config_static_selectorELNS0_4arch9wavefront6targetE1EEEvT1_.kd
    .uniform_work_group_size: 1
    .uses_dynamic_stack: false
    .vgpr_count:     0
    .vgpr_spill_count: 0
    .wavefront_size: 64
  - .agpr_count:     0
    .args:
      - .offset:         0
        .size:           136
        .value_kind:     by_value
    .group_segment_fixed_size: 0
    .kernarg_segment_align: 8
    .kernarg_segment_size: 136
    .language:       OpenCL C
    .language_version:
      - 2
      - 0
    .max_flat_workgroup_size: 512
    .name:           _ZN7rocprim17ROCPRIM_400000_NS6detail17trampoline_kernelINS0_14default_configENS1_25partition_config_selectorILNS1_17partition_subalgoE9EllbEEZZNS1_14partition_implILS5_9ELb0ES3_jPlS8_PNS0_10empty_typeENS0_5tupleIJS8_S9_EEENSB_IJS8_SA_EEENS0_18inequality_wrapperIZN2at6native12_GLOBAL__N_124unique_dim_cuda_templateImEESt5tupleIJNSF_6TensorESK_SK_EERKSK_lbbbEUlllE0_EEPmJS9_EEE10hipError_tPvRmT3_T4_T5_T6_T7_T9_mT8_P12ihipStream_tbDpT10_ENKUlT_T0_E_clISt17integral_constantIbLb1EES1A_EEDaS15_S16_EUlS15_E_NS1_11comp_targetILNS1_3genE9ELNS1_11target_archE1100ELNS1_3gpuE3ELNS1_3repE0EEENS1_30default_config_static_selectorELNS0_4arch9wavefront6targetE1EEEvT1_
    .private_segment_fixed_size: 0
    .sgpr_count:     4
    .sgpr_spill_count: 0
    .symbol:         _ZN7rocprim17ROCPRIM_400000_NS6detail17trampoline_kernelINS0_14default_configENS1_25partition_config_selectorILNS1_17partition_subalgoE9EllbEEZZNS1_14partition_implILS5_9ELb0ES3_jPlS8_PNS0_10empty_typeENS0_5tupleIJS8_S9_EEENSB_IJS8_SA_EEENS0_18inequality_wrapperIZN2at6native12_GLOBAL__N_124unique_dim_cuda_templateImEESt5tupleIJNSF_6TensorESK_SK_EERKSK_lbbbEUlllE0_EEPmJS9_EEE10hipError_tPvRmT3_T4_T5_T6_T7_T9_mT8_P12ihipStream_tbDpT10_ENKUlT_T0_E_clISt17integral_constantIbLb1EES1A_EEDaS15_S16_EUlS15_E_NS1_11comp_targetILNS1_3genE9ELNS1_11target_archE1100ELNS1_3gpuE3ELNS1_3repE0EEENS1_30default_config_static_selectorELNS0_4arch9wavefront6targetE1EEEvT1_.kd
    .uniform_work_group_size: 1
    .uses_dynamic_stack: false
    .vgpr_count:     0
    .vgpr_spill_count: 0
    .wavefront_size: 64
  - .agpr_count:     0
    .args:
      - .offset:         0
        .size:           136
        .value_kind:     by_value
    .group_segment_fixed_size: 0
    .kernarg_segment_align: 8
    .kernarg_segment_size: 136
    .language:       OpenCL C
    .language_version:
      - 2
      - 0
    .max_flat_workgroup_size: 512
    .name:           _ZN7rocprim17ROCPRIM_400000_NS6detail17trampoline_kernelINS0_14default_configENS1_25partition_config_selectorILNS1_17partition_subalgoE9EllbEEZZNS1_14partition_implILS5_9ELb0ES3_jPlS8_PNS0_10empty_typeENS0_5tupleIJS8_S9_EEENSB_IJS8_SA_EEENS0_18inequality_wrapperIZN2at6native12_GLOBAL__N_124unique_dim_cuda_templateImEESt5tupleIJNSF_6TensorESK_SK_EERKSK_lbbbEUlllE0_EEPmJS9_EEE10hipError_tPvRmT3_T4_T5_T6_T7_T9_mT8_P12ihipStream_tbDpT10_ENKUlT_T0_E_clISt17integral_constantIbLb1EES1A_EEDaS15_S16_EUlS15_E_NS1_11comp_targetILNS1_3genE8ELNS1_11target_archE1030ELNS1_3gpuE2ELNS1_3repE0EEENS1_30default_config_static_selectorELNS0_4arch9wavefront6targetE1EEEvT1_
    .private_segment_fixed_size: 0
    .sgpr_count:     4
    .sgpr_spill_count: 0
    .symbol:         _ZN7rocprim17ROCPRIM_400000_NS6detail17trampoline_kernelINS0_14default_configENS1_25partition_config_selectorILNS1_17partition_subalgoE9EllbEEZZNS1_14partition_implILS5_9ELb0ES3_jPlS8_PNS0_10empty_typeENS0_5tupleIJS8_S9_EEENSB_IJS8_SA_EEENS0_18inequality_wrapperIZN2at6native12_GLOBAL__N_124unique_dim_cuda_templateImEESt5tupleIJNSF_6TensorESK_SK_EERKSK_lbbbEUlllE0_EEPmJS9_EEE10hipError_tPvRmT3_T4_T5_T6_T7_T9_mT8_P12ihipStream_tbDpT10_ENKUlT_T0_E_clISt17integral_constantIbLb1EES1A_EEDaS15_S16_EUlS15_E_NS1_11comp_targetILNS1_3genE8ELNS1_11target_archE1030ELNS1_3gpuE2ELNS1_3repE0EEENS1_30default_config_static_selectorELNS0_4arch9wavefront6targetE1EEEvT1_.kd
    .uniform_work_group_size: 1
    .uses_dynamic_stack: false
    .vgpr_count:     0
    .vgpr_spill_count: 0
    .wavefront_size: 64
  - .agpr_count:     0
    .args:
      - .offset:         0
        .size:           120
        .value_kind:     by_value
    .group_segment_fixed_size: 0
    .kernarg_segment_align: 8
    .kernarg_segment_size: 120
    .language:       OpenCL C
    .language_version:
      - 2
      - 0
    .max_flat_workgroup_size: 128
    .name:           _ZN7rocprim17ROCPRIM_400000_NS6detail17trampoline_kernelINS0_14default_configENS1_25partition_config_selectorILNS1_17partition_subalgoE9EllbEEZZNS1_14partition_implILS5_9ELb0ES3_jPlS8_PNS0_10empty_typeENS0_5tupleIJS8_S9_EEENSB_IJS8_SA_EEENS0_18inequality_wrapperIZN2at6native12_GLOBAL__N_124unique_dim_cuda_templateImEESt5tupleIJNSF_6TensorESK_SK_EERKSK_lbbbEUlllE0_EEPmJS9_EEE10hipError_tPvRmT3_T4_T5_T6_T7_T9_mT8_P12ihipStream_tbDpT10_ENKUlT_T0_E_clISt17integral_constantIbLb1EES19_IbLb0EEEEDaS15_S16_EUlS15_E_NS1_11comp_targetILNS1_3genE0ELNS1_11target_archE4294967295ELNS1_3gpuE0ELNS1_3repE0EEENS1_30default_config_static_selectorELNS0_4arch9wavefront6targetE1EEEvT1_
    .private_segment_fixed_size: 0
    .sgpr_count:     4
    .sgpr_spill_count: 0
    .symbol:         _ZN7rocprim17ROCPRIM_400000_NS6detail17trampoline_kernelINS0_14default_configENS1_25partition_config_selectorILNS1_17partition_subalgoE9EllbEEZZNS1_14partition_implILS5_9ELb0ES3_jPlS8_PNS0_10empty_typeENS0_5tupleIJS8_S9_EEENSB_IJS8_SA_EEENS0_18inequality_wrapperIZN2at6native12_GLOBAL__N_124unique_dim_cuda_templateImEESt5tupleIJNSF_6TensorESK_SK_EERKSK_lbbbEUlllE0_EEPmJS9_EEE10hipError_tPvRmT3_T4_T5_T6_T7_T9_mT8_P12ihipStream_tbDpT10_ENKUlT_T0_E_clISt17integral_constantIbLb1EES19_IbLb0EEEEDaS15_S16_EUlS15_E_NS1_11comp_targetILNS1_3genE0ELNS1_11target_archE4294967295ELNS1_3gpuE0ELNS1_3repE0EEENS1_30default_config_static_selectorELNS0_4arch9wavefront6targetE1EEEvT1_.kd
    .uniform_work_group_size: 1
    .uses_dynamic_stack: false
    .vgpr_count:     0
    .vgpr_spill_count: 0
    .wavefront_size: 64
  - .agpr_count:     0
    .args:
      - .offset:         0
        .size:           120
        .value_kind:     by_value
    .group_segment_fixed_size: 0
    .kernarg_segment_align: 8
    .kernarg_segment_size: 120
    .language:       OpenCL C
    .language_version:
      - 2
      - 0
    .max_flat_workgroup_size: 512
    .name:           _ZN7rocprim17ROCPRIM_400000_NS6detail17trampoline_kernelINS0_14default_configENS1_25partition_config_selectorILNS1_17partition_subalgoE9EllbEEZZNS1_14partition_implILS5_9ELb0ES3_jPlS8_PNS0_10empty_typeENS0_5tupleIJS8_S9_EEENSB_IJS8_SA_EEENS0_18inequality_wrapperIZN2at6native12_GLOBAL__N_124unique_dim_cuda_templateImEESt5tupleIJNSF_6TensorESK_SK_EERKSK_lbbbEUlllE0_EEPmJS9_EEE10hipError_tPvRmT3_T4_T5_T6_T7_T9_mT8_P12ihipStream_tbDpT10_ENKUlT_T0_E_clISt17integral_constantIbLb1EES19_IbLb0EEEEDaS15_S16_EUlS15_E_NS1_11comp_targetILNS1_3genE5ELNS1_11target_archE942ELNS1_3gpuE9ELNS1_3repE0EEENS1_30default_config_static_selectorELNS0_4arch9wavefront6targetE1EEEvT1_
    .private_segment_fixed_size: 0
    .sgpr_count:     4
    .sgpr_spill_count: 0
    .symbol:         _ZN7rocprim17ROCPRIM_400000_NS6detail17trampoline_kernelINS0_14default_configENS1_25partition_config_selectorILNS1_17partition_subalgoE9EllbEEZZNS1_14partition_implILS5_9ELb0ES3_jPlS8_PNS0_10empty_typeENS0_5tupleIJS8_S9_EEENSB_IJS8_SA_EEENS0_18inequality_wrapperIZN2at6native12_GLOBAL__N_124unique_dim_cuda_templateImEESt5tupleIJNSF_6TensorESK_SK_EERKSK_lbbbEUlllE0_EEPmJS9_EEE10hipError_tPvRmT3_T4_T5_T6_T7_T9_mT8_P12ihipStream_tbDpT10_ENKUlT_T0_E_clISt17integral_constantIbLb1EES19_IbLb0EEEEDaS15_S16_EUlS15_E_NS1_11comp_targetILNS1_3genE5ELNS1_11target_archE942ELNS1_3gpuE9ELNS1_3repE0EEENS1_30default_config_static_selectorELNS0_4arch9wavefront6targetE1EEEvT1_.kd
    .uniform_work_group_size: 1
    .uses_dynamic_stack: false
    .vgpr_count:     0
    .vgpr_spill_count: 0
    .wavefront_size: 64
  - .agpr_count:     0
    .args:
      - .offset:         0
        .size:           120
        .value_kind:     by_value
    .group_segment_fixed_size: 4236
    .kernarg_segment_align: 8
    .kernarg_segment_size: 120
    .language:       OpenCL C
    .language_version:
      - 2
      - 0
    .max_flat_workgroup_size: 128
    .name:           _ZN7rocprim17ROCPRIM_400000_NS6detail17trampoline_kernelINS0_14default_configENS1_25partition_config_selectorILNS1_17partition_subalgoE9EllbEEZZNS1_14partition_implILS5_9ELb0ES3_jPlS8_PNS0_10empty_typeENS0_5tupleIJS8_S9_EEENSB_IJS8_SA_EEENS0_18inequality_wrapperIZN2at6native12_GLOBAL__N_124unique_dim_cuda_templateImEESt5tupleIJNSF_6TensorESK_SK_EERKSK_lbbbEUlllE0_EEPmJS9_EEE10hipError_tPvRmT3_T4_T5_T6_T7_T9_mT8_P12ihipStream_tbDpT10_ENKUlT_T0_E_clISt17integral_constantIbLb1EES19_IbLb0EEEEDaS15_S16_EUlS15_E_NS1_11comp_targetILNS1_3genE4ELNS1_11target_archE910ELNS1_3gpuE8ELNS1_3repE0EEENS1_30default_config_static_selectorELNS0_4arch9wavefront6targetE1EEEvT1_
    .private_segment_fixed_size: 0
    .sgpr_count:     50
    .sgpr_spill_count: 0
    .symbol:         _ZN7rocprim17ROCPRIM_400000_NS6detail17trampoline_kernelINS0_14default_configENS1_25partition_config_selectorILNS1_17partition_subalgoE9EllbEEZZNS1_14partition_implILS5_9ELb0ES3_jPlS8_PNS0_10empty_typeENS0_5tupleIJS8_S9_EEENSB_IJS8_SA_EEENS0_18inequality_wrapperIZN2at6native12_GLOBAL__N_124unique_dim_cuda_templateImEESt5tupleIJNSF_6TensorESK_SK_EERKSK_lbbbEUlllE0_EEPmJS9_EEE10hipError_tPvRmT3_T4_T5_T6_T7_T9_mT8_P12ihipStream_tbDpT10_ENKUlT_T0_E_clISt17integral_constantIbLb1EES19_IbLb0EEEEDaS15_S16_EUlS15_E_NS1_11comp_targetILNS1_3genE4ELNS1_11target_archE910ELNS1_3gpuE8ELNS1_3repE0EEENS1_30default_config_static_selectorELNS0_4arch9wavefront6targetE1EEEvT1_.kd
    .uniform_work_group_size: 1
    .uses_dynamic_stack: false
    .vgpr_count:     50
    .vgpr_spill_count: 0
    .wavefront_size: 64
  - .agpr_count:     0
    .args:
      - .offset:         0
        .size:           120
        .value_kind:     by_value
    .group_segment_fixed_size: 0
    .kernarg_segment_align: 8
    .kernarg_segment_size: 120
    .language:       OpenCL C
    .language_version:
      - 2
      - 0
    .max_flat_workgroup_size: 128
    .name:           _ZN7rocprim17ROCPRIM_400000_NS6detail17trampoline_kernelINS0_14default_configENS1_25partition_config_selectorILNS1_17partition_subalgoE9EllbEEZZNS1_14partition_implILS5_9ELb0ES3_jPlS8_PNS0_10empty_typeENS0_5tupleIJS8_S9_EEENSB_IJS8_SA_EEENS0_18inequality_wrapperIZN2at6native12_GLOBAL__N_124unique_dim_cuda_templateImEESt5tupleIJNSF_6TensorESK_SK_EERKSK_lbbbEUlllE0_EEPmJS9_EEE10hipError_tPvRmT3_T4_T5_T6_T7_T9_mT8_P12ihipStream_tbDpT10_ENKUlT_T0_E_clISt17integral_constantIbLb1EES19_IbLb0EEEEDaS15_S16_EUlS15_E_NS1_11comp_targetILNS1_3genE3ELNS1_11target_archE908ELNS1_3gpuE7ELNS1_3repE0EEENS1_30default_config_static_selectorELNS0_4arch9wavefront6targetE1EEEvT1_
    .private_segment_fixed_size: 0
    .sgpr_count:     4
    .sgpr_spill_count: 0
    .symbol:         _ZN7rocprim17ROCPRIM_400000_NS6detail17trampoline_kernelINS0_14default_configENS1_25partition_config_selectorILNS1_17partition_subalgoE9EllbEEZZNS1_14partition_implILS5_9ELb0ES3_jPlS8_PNS0_10empty_typeENS0_5tupleIJS8_S9_EEENSB_IJS8_SA_EEENS0_18inequality_wrapperIZN2at6native12_GLOBAL__N_124unique_dim_cuda_templateImEESt5tupleIJNSF_6TensorESK_SK_EERKSK_lbbbEUlllE0_EEPmJS9_EEE10hipError_tPvRmT3_T4_T5_T6_T7_T9_mT8_P12ihipStream_tbDpT10_ENKUlT_T0_E_clISt17integral_constantIbLb1EES19_IbLb0EEEEDaS15_S16_EUlS15_E_NS1_11comp_targetILNS1_3genE3ELNS1_11target_archE908ELNS1_3gpuE7ELNS1_3repE0EEENS1_30default_config_static_selectorELNS0_4arch9wavefront6targetE1EEEvT1_.kd
    .uniform_work_group_size: 1
    .uses_dynamic_stack: false
    .vgpr_count:     0
    .vgpr_spill_count: 0
    .wavefront_size: 64
  - .agpr_count:     0
    .args:
      - .offset:         0
        .size:           120
        .value_kind:     by_value
    .group_segment_fixed_size: 0
    .kernarg_segment_align: 8
    .kernarg_segment_size: 120
    .language:       OpenCL C
    .language_version:
      - 2
      - 0
    .max_flat_workgroup_size: 192
    .name:           _ZN7rocprim17ROCPRIM_400000_NS6detail17trampoline_kernelINS0_14default_configENS1_25partition_config_selectorILNS1_17partition_subalgoE9EllbEEZZNS1_14partition_implILS5_9ELb0ES3_jPlS8_PNS0_10empty_typeENS0_5tupleIJS8_S9_EEENSB_IJS8_SA_EEENS0_18inequality_wrapperIZN2at6native12_GLOBAL__N_124unique_dim_cuda_templateImEESt5tupleIJNSF_6TensorESK_SK_EERKSK_lbbbEUlllE0_EEPmJS9_EEE10hipError_tPvRmT3_T4_T5_T6_T7_T9_mT8_P12ihipStream_tbDpT10_ENKUlT_T0_E_clISt17integral_constantIbLb1EES19_IbLb0EEEEDaS15_S16_EUlS15_E_NS1_11comp_targetILNS1_3genE2ELNS1_11target_archE906ELNS1_3gpuE6ELNS1_3repE0EEENS1_30default_config_static_selectorELNS0_4arch9wavefront6targetE1EEEvT1_
    .private_segment_fixed_size: 0
    .sgpr_count:     4
    .sgpr_spill_count: 0
    .symbol:         _ZN7rocprim17ROCPRIM_400000_NS6detail17trampoline_kernelINS0_14default_configENS1_25partition_config_selectorILNS1_17partition_subalgoE9EllbEEZZNS1_14partition_implILS5_9ELb0ES3_jPlS8_PNS0_10empty_typeENS0_5tupleIJS8_S9_EEENSB_IJS8_SA_EEENS0_18inequality_wrapperIZN2at6native12_GLOBAL__N_124unique_dim_cuda_templateImEESt5tupleIJNSF_6TensorESK_SK_EERKSK_lbbbEUlllE0_EEPmJS9_EEE10hipError_tPvRmT3_T4_T5_T6_T7_T9_mT8_P12ihipStream_tbDpT10_ENKUlT_T0_E_clISt17integral_constantIbLb1EES19_IbLb0EEEEDaS15_S16_EUlS15_E_NS1_11comp_targetILNS1_3genE2ELNS1_11target_archE906ELNS1_3gpuE6ELNS1_3repE0EEENS1_30default_config_static_selectorELNS0_4arch9wavefront6targetE1EEEvT1_.kd
    .uniform_work_group_size: 1
    .uses_dynamic_stack: false
    .vgpr_count:     0
    .vgpr_spill_count: 0
    .wavefront_size: 64
  - .agpr_count:     0
    .args:
      - .offset:         0
        .size:           120
        .value_kind:     by_value
    .group_segment_fixed_size: 0
    .kernarg_segment_align: 8
    .kernarg_segment_size: 120
    .language:       OpenCL C
    .language_version:
      - 2
      - 0
    .max_flat_workgroup_size: 384
    .name:           _ZN7rocprim17ROCPRIM_400000_NS6detail17trampoline_kernelINS0_14default_configENS1_25partition_config_selectorILNS1_17partition_subalgoE9EllbEEZZNS1_14partition_implILS5_9ELb0ES3_jPlS8_PNS0_10empty_typeENS0_5tupleIJS8_S9_EEENSB_IJS8_SA_EEENS0_18inequality_wrapperIZN2at6native12_GLOBAL__N_124unique_dim_cuda_templateImEESt5tupleIJNSF_6TensorESK_SK_EERKSK_lbbbEUlllE0_EEPmJS9_EEE10hipError_tPvRmT3_T4_T5_T6_T7_T9_mT8_P12ihipStream_tbDpT10_ENKUlT_T0_E_clISt17integral_constantIbLb1EES19_IbLb0EEEEDaS15_S16_EUlS15_E_NS1_11comp_targetILNS1_3genE10ELNS1_11target_archE1200ELNS1_3gpuE4ELNS1_3repE0EEENS1_30default_config_static_selectorELNS0_4arch9wavefront6targetE1EEEvT1_
    .private_segment_fixed_size: 0
    .sgpr_count:     4
    .sgpr_spill_count: 0
    .symbol:         _ZN7rocprim17ROCPRIM_400000_NS6detail17trampoline_kernelINS0_14default_configENS1_25partition_config_selectorILNS1_17partition_subalgoE9EllbEEZZNS1_14partition_implILS5_9ELb0ES3_jPlS8_PNS0_10empty_typeENS0_5tupleIJS8_S9_EEENSB_IJS8_SA_EEENS0_18inequality_wrapperIZN2at6native12_GLOBAL__N_124unique_dim_cuda_templateImEESt5tupleIJNSF_6TensorESK_SK_EERKSK_lbbbEUlllE0_EEPmJS9_EEE10hipError_tPvRmT3_T4_T5_T6_T7_T9_mT8_P12ihipStream_tbDpT10_ENKUlT_T0_E_clISt17integral_constantIbLb1EES19_IbLb0EEEEDaS15_S16_EUlS15_E_NS1_11comp_targetILNS1_3genE10ELNS1_11target_archE1200ELNS1_3gpuE4ELNS1_3repE0EEENS1_30default_config_static_selectorELNS0_4arch9wavefront6targetE1EEEvT1_.kd
    .uniform_work_group_size: 1
    .uses_dynamic_stack: false
    .vgpr_count:     0
    .vgpr_spill_count: 0
    .wavefront_size: 64
  - .agpr_count:     0
    .args:
      - .offset:         0
        .size:           120
        .value_kind:     by_value
    .group_segment_fixed_size: 0
    .kernarg_segment_align: 8
    .kernarg_segment_size: 120
    .language:       OpenCL C
    .language_version:
      - 2
      - 0
    .max_flat_workgroup_size: 512
    .name:           _ZN7rocprim17ROCPRIM_400000_NS6detail17trampoline_kernelINS0_14default_configENS1_25partition_config_selectorILNS1_17partition_subalgoE9EllbEEZZNS1_14partition_implILS5_9ELb0ES3_jPlS8_PNS0_10empty_typeENS0_5tupleIJS8_S9_EEENSB_IJS8_SA_EEENS0_18inequality_wrapperIZN2at6native12_GLOBAL__N_124unique_dim_cuda_templateImEESt5tupleIJNSF_6TensorESK_SK_EERKSK_lbbbEUlllE0_EEPmJS9_EEE10hipError_tPvRmT3_T4_T5_T6_T7_T9_mT8_P12ihipStream_tbDpT10_ENKUlT_T0_E_clISt17integral_constantIbLb1EES19_IbLb0EEEEDaS15_S16_EUlS15_E_NS1_11comp_targetILNS1_3genE9ELNS1_11target_archE1100ELNS1_3gpuE3ELNS1_3repE0EEENS1_30default_config_static_selectorELNS0_4arch9wavefront6targetE1EEEvT1_
    .private_segment_fixed_size: 0
    .sgpr_count:     4
    .sgpr_spill_count: 0
    .symbol:         _ZN7rocprim17ROCPRIM_400000_NS6detail17trampoline_kernelINS0_14default_configENS1_25partition_config_selectorILNS1_17partition_subalgoE9EllbEEZZNS1_14partition_implILS5_9ELb0ES3_jPlS8_PNS0_10empty_typeENS0_5tupleIJS8_S9_EEENSB_IJS8_SA_EEENS0_18inequality_wrapperIZN2at6native12_GLOBAL__N_124unique_dim_cuda_templateImEESt5tupleIJNSF_6TensorESK_SK_EERKSK_lbbbEUlllE0_EEPmJS9_EEE10hipError_tPvRmT3_T4_T5_T6_T7_T9_mT8_P12ihipStream_tbDpT10_ENKUlT_T0_E_clISt17integral_constantIbLb1EES19_IbLb0EEEEDaS15_S16_EUlS15_E_NS1_11comp_targetILNS1_3genE9ELNS1_11target_archE1100ELNS1_3gpuE3ELNS1_3repE0EEENS1_30default_config_static_selectorELNS0_4arch9wavefront6targetE1EEEvT1_.kd
    .uniform_work_group_size: 1
    .uses_dynamic_stack: false
    .vgpr_count:     0
    .vgpr_spill_count: 0
    .wavefront_size: 64
  - .agpr_count:     0
    .args:
      - .offset:         0
        .size:           120
        .value_kind:     by_value
    .group_segment_fixed_size: 0
    .kernarg_segment_align: 8
    .kernarg_segment_size: 120
    .language:       OpenCL C
    .language_version:
      - 2
      - 0
    .max_flat_workgroup_size: 512
    .name:           _ZN7rocprim17ROCPRIM_400000_NS6detail17trampoline_kernelINS0_14default_configENS1_25partition_config_selectorILNS1_17partition_subalgoE9EllbEEZZNS1_14partition_implILS5_9ELb0ES3_jPlS8_PNS0_10empty_typeENS0_5tupleIJS8_S9_EEENSB_IJS8_SA_EEENS0_18inequality_wrapperIZN2at6native12_GLOBAL__N_124unique_dim_cuda_templateImEESt5tupleIJNSF_6TensorESK_SK_EERKSK_lbbbEUlllE0_EEPmJS9_EEE10hipError_tPvRmT3_T4_T5_T6_T7_T9_mT8_P12ihipStream_tbDpT10_ENKUlT_T0_E_clISt17integral_constantIbLb1EES19_IbLb0EEEEDaS15_S16_EUlS15_E_NS1_11comp_targetILNS1_3genE8ELNS1_11target_archE1030ELNS1_3gpuE2ELNS1_3repE0EEENS1_30default_config_static_selectorELNS0_4arch9wavefront6targetE1EEEvT1_
    .private_segment_fixed_size: 0
    .sgpr_count:     4
    .sgpr_spill_count: 0
    .symbol:         _ZN7rocprim17ROCPRIM_400000_NS6detail17trampoline_kernelINS0_14default_configENS1_25partition_config_selectorILNS1_17partition_subalgoE9EllbEEZZNS1_14partition_implILS5_9ELb0ES3_jPlS8_PNS0_10empty_typeENS0_5tupleIJS8_S9_EEENSB_IJS8_SA_EEENS0_18inequality_wrapperIZN2at6native12_GLOBAL__N_124unique_dim_cuda_templateImEESt5tupleIJNSF_6TensorESK_SK_EERKSK_lbbbEUlllE0_EEPmJS9_EEE10hipError_tPvRmT3_T4_T5_T6_T7_T9_mT8_P12ihipStream_tbDpT10_ENKUlT_T0_E_clISt17integral_constantIbLb1EES19_IbLb0EEEEDaS15_S16_EUlS15_E_NS1_11comp_targetILNS1_3genE8ELNS1_11target_archE1030ELNS1_3gpuE2ELNS1_3repE0EEENS1_30default_config_static_selectorELNS0_4arch9wavefront6targetE1EEEvT1_.kd
    .uniform_work_group_size: 1
    .uses_dynamic_stack: false
    .vgpr_count:     0
    .vgpr_spill_count: 0
    .wavefront_size: 64
  - .agpr_count:     0
    .args:
      - .offset:         0
        .size:           136
        .value_kind:     by_value
    .group_segment_fixed_size: 0
    .kernarg_segment_align: 8
    .kernarg_segment_size: 136
    .language:       OpenCL C
    .language_version:
      - 2
      - 0
    .max_flat_workgroup_size: 128
    .name:           _ZN7rocprim17ROCPRIM_400000_NS6detail17trampoline_kernelINS0_14default_configENS1_25partition_config_selectorILNS1_17partition_subalgoE9EllbEEZZNS1_14partition_implILS5_9ELb0ES3_jPlS8_PNS0_10empty_typeENS0_5tupleIJS8_S9_EEENSB_IJS8_SA_EEENS0_18inequality_wrapperIZN2at6native12_GLOBAL__N_124unique_dim_cuda_templateImEESt5tupleIJNSF_6TensorESK_SK_EERKSK_lbbbEUlllE0_EEPmJS9_EEE10hipError_tPvRmT3_T4_T5_T6_T7_T9_mT8_P12ihipStream_tbDpT10_ENKUlT_T0_E_clISt17integral_constantIbLb0EES19_IbLb1EEEEDaS15_S16_EUlS15_E_NS1_11comp_targetILNS1_3genE0ELNS1_11target_archE4294967295ELNS1_3gpuE0ELNS1_3repE0EEENS1_30default_config_static_selectorELNS0_4arch9wavefront6targetE1EEEvT1_
    .private_segment_fixed_size: 0
    .sgpr_count:     4
    .sgpr_spill_count: 0
    .symbol:         _ZN7rocprim17ROCPRIM_400000_NS6detail17trampoline_kernelINS0_14default_configENS1_25partition_config_selectorILNS1_17partition_subalgoE9EllbEEZZNS1_14partition_implILS5_9ELb0ES3_jPlS8_PNS0_10empty_typeENS0_5tupleIJS8_S9_EEENSB_IJS8_SA_EEENS0_18inequality_wrapperIZN2at6native12_GLOBAL__N_124unique_dim_cuda_templateImEESt5tupleIJNSF_6TensorESK_SK_EERKSK_lbbbEUlllE0_EEPmJS9_EEE10hipError_tPvRmT3_T4_T5_T6_T7_T9_mT8_P12ihipStream_tbDpT10_ENKUlT_T0_E_clISt17integral_constantIbLb0EES19_IbLb1EEEEDaS15_S16_EUlS15_E_NS1_11comp_targetILNS1_3genE0ELNS1_11target_archE4294967295ELNS1_3gpuE0ELNS1_3repE0EEENS1_30default_config_static_selectorELNS0_4arch9wavefront6targetE1EEEvT1_.kd
    .uniform_work_group_size: 1
    .uses_dynamic_stack: false
    .vgpr_count:     0
    .vgpr_spill_count: 0
    .wavefront_size: 64
  - .agpr_count:     0
    .args:
      - .offset:         0
        .size:           136
        .value_kind:     by_value
    .group_segment_fixed_size: 0
    .kernarg_segment_align: 8
    .kernarg_segment_size: 136
    .language:       OpenCL C
    .language_version:
      - 2
      - 0
    .max_flat_workgroup_size: 512
    .name:           _ZN7rocprim17ROCPRIM_400000_NS6detail17trampoline_kernelINS0_14default_configENS1_25partition_config_selectorILNS1_17partition_subalgoE9EllbEEZZNS1_14partition_implILS5_9ELb0ES3_jPlS8_PNS0_10empty_typeENS0_5tupleIJS8_S9_EEENSB_IJS8_SA_EEENS0_18inequality_wrapperIZN2at6native12_GLOBAL__N_124unique_dim_cuda_templateImEESt5tupleIJNSF_6TensorESK_SK_EERKSK_lbbbEUlllE0_EEPmJS9_EEE10hipError_tPvRmT3_T4_T5_T6_T7_T9_mT8_P12ihipStream_tbDpT10_ENKUlT_T0_E_clISt17integral_constantIbLb0EES19_IbLb1EEEEDaS15_S16_EUlS15_E_NS1_11comp_targetILNS1_3genE5ELNS1_11target_archE942ELNS1_3gpuE9ELNS1_3repE0EEENS1_30default_config_static_selectorELNS0_4arch9wavefront6targetE1EEEvT1_
    .private_segment_fixed_size: 0
    .sgpr_count:     4
    .sgpr_spill_count: 0
    .symbol:         _ZN7rocprim17ROCPRIM_400000_NS6detail17trampoline_kernelINS0_14default_configENS1_25partition_config_selectorILNS1_17partition_subalgoE9EllbEEZZNS1_14partition_implILS5_9ELb0ES3_jPlS8_PNS0_10empty_typeENS0_5tupleIJS8_S9_EEENSB_IJS8_SA_EEENS0_18inequality_wrapperIZN2at6native12_GLOBAL__N_124unique_dim_cuda_templateImEESt5tupleIJNSF_6TensorESK_SK_EERKSK_lbbbEUlllE0_EEPmJS9_EEE10hipError_tPvRmT3_T4_T5_T6_T7_T9_mT8_P12ihipStream_tbDpT10_ENKUlT_T0_E_clISt17integral_constantIbLb0EES19_IbLb1EEEEDaS15_S16_EUlS15_E_NS1_11comp_targetILNS1_3genE5ELNS1_11target_archE942ELNS1_3gpuE9ELNS1_3repE0EEENS1_30default_config_static_selectorELNS0_4arch9wavefront6targetE1EEEvT1_.kd
    .uniform_work_group_size: 1
    .uses_dynamic_stack: false
    .vgpr_count:     0
    .vgpr_spill_count: 0
    .wavefront_size: 64
  - .agpr_count:     0
    .args:
      - .offset:         0
        .size:           136
        .value_kind:     by_value
    .group_segment_fixed_size: 4236
    .kernarg_segment_align: 8
    .kernarg_segment_size: 136
    .language:       OpenCL C
    .language_version:
      - 2
      - 0
    .max_flat_workgroup_size: 128
    .name:           _ZN7rocprim17ROCPRIM_400000_NS6detail17trampoline_kernelINS0_14default_configENS1_25partition_config_selectorILNS1_17partition_subalgoE9EllbEEZZNS1_14partition_implILS5_9ELb0ES3_jPlS8_PNS0_10empty_typeENS0_5tupleIJS8_S9_EEENSB_IJS8_SA_EEENS0_18inequality_wrapperIZN2at6native12_GLOBAL__N_124unique_dim_cuda_templateImEESt5tupleIJNSF_6TensorESK_SK_EERKSK_lbbbEUlllE0_EEPmJS9_EEE10hipError_tPvRmT3_T4_T5_T6_T7_T9_mT8_P12ihipStream_tbDpT10_ENKUlT_T0_E_clISt17integral_constantIbLb0EES19_IbLb1EEEEDaS15_S16_EUlS15_E_NS1_11comp_targetILNS1_3genE4ELNS1_11target_archE910ELNS1_3gpuE8ELNS1_3repE0EEENS1_30default_config_static_selectorELNS0_4arch9wavefront6targetE1EEEvT1_
    .private_segment_fixed_size: 0
    .sgpr_count:     56
    .sgpr_spill_count: 0
    .symbol:         _ZN7rocprim17ROCPRIM_400000_NS6detail17trampoline_kernelINS0_14default_configENS1_25partition_config_selectorILNS1_17partition_subalgoE9EllbEEZZNS1_14partition_implILS5_9ELb0ES3_jPlS8_PNS0_10empty_typeENS0_5tupleIJS8_S9_EEENSB_IJS8_SA_EEENS0_18inequality_wrapperIZN2at6native12_GLOBAL__N_124unique_dim_cuda_templateImEESt5tupleIJNSF_6TensorESK_SK_EERKSK_lbbbEUlllE0_EEPmJS9_EEE10hipError_tPvRmT3_T4_T5_T6_T7_T9_mT8_P12ihipStream_tbDpT10_ENKUlT_T0_E_clISt17integral_constantIbLb0EES19_IbLb1EEEEDaS15_S16_EUlS15_E_NS1_11comp_targetILNS1_3genE4ELNS1_11target_archE910ELNS1_3gpuE8ELNS1_3repE0EEENS1_30default_config_static_selectorELNS0_4arch9wavefront6targetE1EEEvT1_.kd
    .uniform_work_group_size: 1
    .uses_dynamic_stack: false
    .vgpr_count:     50
    .vgpr_spill_count: 0
    .wavefront_size: 64
  - .agpr_count:     0
    .args:
      - .offset:         0
        .size:           136
        .value_kind:     by_value
    .group_segment_fixed_size: 0
    .kernarg_segment_align: 8
    .kernarg_segment_size: 136
    .language:       OpenCL C
    .language_version:
      - 2
      - 0
    .max_flat_workgroup_size: 128
    .name:           _ZN7rocprim17ROCPRIM_400000_NS6detail17trampoline_kernelINS0_14default_configENS1_25partition_config_selectorILNS1_17partition_subalgoE9EllbEEZZNS1_14partition_implILS5_9ELb0ES3_jPlS8_PNS0_10empty_typeENS0_5tupleIJS8_S9_EEENSB_IJS8_SA_EEENS0_18inequality_wrapperIZN2at6native12_GLOBAL__N_124unique_dim_cuda_templateImEESt5tupleIJNSF_6TensorESK_SK_EERKSK_lbbbEUlllE0_EEPmJS9_EEE10hipError_tPvRmT3_T4_T5_T6_T7_T9_mT8_P12ihipStream_tbDpT10_ENKUlT_T0_E_clISt17integral_constantIbLb0EES19_IbLb1EEEEDaS15_S16_EUlS15_E_NS1_11comp_targetILNS1_3genE3ELNS1_11target_archE908ELNS1_3gpuE7ELNS1_3repE0EEENS1_30default_config_static_selectorELNS0_4arch9wavefront6targetE1EEEvT1_
    .private_segment_fixed_size: 0
    .sgpr_count:     4
    .sgpr_spill_count: 0
    .symbol:         _ZN7rocprim17ROCPRIM_400000_NS6detail17trampoline_kernelINS0_14default_configENS1_25partition_config_selectorILNS1_17partition_subalgoE9EllbEEZZNS1_14partition_implILS5_9ELb0ES3_jPlS8_PNS0_10empty_typeENS0_5tupleIJS8_S9_EEENSB_IJS8_SA_EEENS0_18inequality_wrapperIZN2at6native12_GLOBAL__N_124unique_dim_cuda_templateImEESt5tupleIJNSF_6TensorESK_SK_EERKSK_lbbbEUlllE0_EEPmJS9_EEE10hipError_tPvRmT3_T4_T5_T6_T7_T9_mT8_P12ihipStream_tbDpT10_ENKUlT_T0_E_clISt17integral_constantIbLb0EES19_IbLb1EEEEDaS15_S16_EUlS15_E_NS1_11comp_targetILNS1_3genE3ELNS1_11target_archE908ELNS1_3gpuE7ELNS1_3repE0EEENS1_30default_config_static_selectorELNS0_4arch9wavefront6targetE1EEEvT1_.kd
    .uniform_work_group_size: 1
    .uses_dynamic_stack: false
    .vgpr_count:     0
    .vgpr_spill_count: 0
    .wavefront_size: 64
  - .agpr_count:     0
    .args:
      - .offset:         0
        .size:           136
        .value_kind:     by_value
    .group_segment_fixed_size: 0
    .kernarg_segment_align: 8
    .kernarg_segment_size: 136
    .language:       OpenCL C
    .language_version:
      - 2
      - 0
    .max_flat_workgroup_size: 192
    .name:           _ZN7rocprim17ROCPRIM_400000_NS6detail17trampoline_kernelINS0_14default_configENS1_25partition_config_selectorILNS1_17partition_subalgoE9EllbEEZZNS1_14partition_implILS5_9ELb0ES3_jPlS8_PNS0_10empty_typeENS0_5tupleIJS8_S9_EEENSB_IJS8_SA_EEENS0_18inequality_wrapperIZN2at6native12_GLOBAL__N_124unique_dim_cuda_templateImEESt5tupleIJNSF_6TensorESK_SK_EERKSK_lbbbEUlllE0_EEPmJS9_EEE10hipError_tPvRmT3_T4_T5_T6_T7_T9_mT8_P12ihipStream_tbDpT10_ENKUlT_T0_E_clISt17integral_constantIbLb0EES19_IbLb1EEEEDaS15_S16_EUlS15_E_NS1_11comp_targetILNS1_3genE2ELNS1_11target_archE906ELNS1_3gpuE6ELNS1_3repE0EEENS1_30default_config_static_selectorELNS0_4arch9wavefront6targetE1EEEvT1_
    .private_segment_fixed_size: 0
    .sgpr_count:     4
    .sgpr_spill_count: 0
    .symbol:         _ZN7rocprim17ROCPRIM_400000_NS6detail17trampoline_kernelINS0_14default_configENS1_25partition_config_selectorILNS1_17partition_subalgoE9EllbEEZZNS1_14partition_implILS5_9ELb0ES3_jPlS8_PNS0_10empty_typeENS0_5tupleIJS8_S9_EEENSB_IJS8_SA_EEENS0_18inequality_wrapperIZN2at6native12_GLOBAL__N_124unique_dim_cuda_templateImEESt5tupleIJNSF_6TensorESK_SK_EERKSK_lbbbEUlllE0_EEPmJS9_EEE10hipError_tPvRmT3_T4_T5_T6_T7_T9_mT8_P12ihipStream_tbDpT10_ENKUlT_T0_E_clISt17integral_constantIbLb0EES19_IbLb1EEEEDaS15_S16_EUlS15_E_NS1_11comp_targetILNS1_3genE2ELNS1_11target_archE906ELNS1_3gpuE6ELNS1_3repE0EEENS1_30default_config_static_selectorELNS0_4arch9wavefront6targetE1EEEvT1_.kd
    .uniform_work_group_size: 1
    .uses_dynamic_stack: false
    .vgpr_count:     0
    .vgpr_spill_count: 0
    .wavefront_size: 64
  - .agpr_count:     0
    .args:
      - .offset:         0
        .size:           136
        .value_kind:     by_value
    .group_segment_fixed_size: 0
    .kernarg_segment_align: 8
    .kernarg_segment_size: 136
    .language:       OpenCL C
    .language_version:
      - 2
      - 0
    .max_flat_workgroup_size: 384
    .name:           _ZN7rocprim17ROCPRIM_400000_NS6detail17trampoline_kernelINS0_14default_configENS1_25partition_config_selectorILNS1_17partition_subalgoE9EllbEEZZNS1_14partition_implILS5_9ELb0ES3_jPlS8_PNS0_10empty_typeENS0_5tupleIJS8_S9_EEENSB_IJS8_SA_EEENS0_18inequality_wrapperIZN2at6native12_GLOBAL__N_124unique_dim_cuda_templateImEESt5tupleIJNSF_6TensorESK_SK_EERKSK_lbbbEUlllE0_EEPmJS9_EEE10hipError_tPvRmT3_T4_T5_T6_T7_T9_mT8_P12ihipStream_tbDpT10_ENKUlT_T0_E_clISt17integral_constantIbLb0EES19_IbLb1EEEEDaS15_S16_EUlS15_E_NS1_11comp_targetILNS1_3genE10ELNS1_11target_archE1200ELNS1_3gpuE4ELNS1_3repE0EEENS1_30default_config_static_selectorELNS0_4arch9wavefront6targetE1EEEvT1_
    .private_segment_fixed_size: 0
    .sgpr_count:     4
    .sgpr_spill_count: 0
    .symbol:         _ZN7rocprim17ROCPRIM_400000_NS6detail17trampoline_kernelINS0_14default_configENS1_25partition_config_selectorILNS1_17partition_subalgoE9EllbEEZZNS1_14partition_implILS5_9ELb0ES3_jPlS8_PNS0_10empty_typeENS0_5tupleIJS8_S9_EEENSB_IJS8_SA_EEENS0_18inequality_wrapperIZN2at6native12_GLOBAL__N_124unique_dim_cuda_templateImEESt5tupleIJNSF_6TensorESK_SK_EERKSK_lbbbEUlllE0_EEPmJS9_EEE10hipError_tPvRmT3_T4_T5_T6_T7_T9_mT8_P12ihipStream_tbDpT10_ENKUlT_T0_E_clISt17integral_constantIbLb0EES19_IbLb1EEEEDaS15_S16_EUlS15_E_NS1_11comp_targetILNS1_3genE10ELNS1_11target_archE1200ELNS1_3gpuE4ELNS1_3repE0EEENS1_30default_config_static_selectorELNS0_4arch9wavefront6targetE1EEEvT1_.kd
    .uniform_work_group_size: 1
    .uses_dynamic_stack: false
    .vgpr_count:     0
    .vgpr_spill_count: 0
    .wavefront_size: 64
  - .agpr_count:     0
    .args:
      - .offset:         0
        .size:           136
        .value_kind:     by_value
    .group_segment_fixed_size: 0
    .kernarg_segment_align: 8
    .kernarg_segment_size: 136
    .language:       OpenCL C
    .language_version:
      - 2
      - 0
    .max_flat_workgroup_size: 512
    .name:           _ZN7rocprim17ROCPRIM_400000_NS6detail17trampoline_kernelINS0_14default_configENS1_25partition_config_selectorILNS1_17partition_subalgoE9EllbEEZZNS1_14partition_implILS5_9ELb0ES3_jPlS8_PNS0_10empty_typeENS0_5tupleIJS8_S9_EEENSB_IJS8_SA_EEENS0_18inequality_wrapperIZN2at6native12_GLOBAL__N_124unique_dim_cuda_templateImEESt5tupleIJNSF_6TensorESK_SK_EERKSK_lbbbEUlllE0_EEPmJS9_EEE10hipError_tPvRmT3_T4_T5_T6_T7_T9_mT8_P12ihipStream_tbDpT10_ENKUlT_T0_E_clISt17integral_constantIbLb0EES19_IbLb1EEEEDaS15_S16_EUlS15_E_NS1_11comp_targetILNS1_3genE9ELNS1_11target_archE1100ELNS1_3gpuE3ELNS1_3repE0EEENS1_30default_config_static_selectorELNS0_4arch9wavefront6targetE1EEEvT1_
    .private_segment_fixed_size: 0
    .sgpr_count:     4
    .sgpr_spill_count: 0
    .symbol:         _ZN7rocprim17ROCPRIM_400000_NS6detail17trampoline_kernelINS0_14default_configENS1_25partition_config_selectorILNS1_17partition_subalgoE9EllbEEZZNS1_14partition_implILS5_9ELb0ES3_jPlS8_PNS0_10empty_typeENS0_5tupleIJS8_S9_EEENSB_IJS8_SA_EEENS0_18inequality_wrapperIZN2at6native12_GLOBAL__N_124unique_dim_cuda_templateImEESt5tupleIJNSF_6TensorESK_SK_EERKSK_lbbbEUlllE0_EEPmJS9_EEE10hipError_tPvRmT3_T4_T5_T6_T7_T9_mT8_P12ihipStream_tbDpT10_ENKUlT_T0_E_clISt17integral_constantIbLb0EES19_IbLb1EEEEDaS15_S16_EUlS15_E_NS1_11comp_targetILNS1_3genE9ELNS1_11target_archE1100ELNS1_3gpuE3ELNS1_3repE0EEENS1_30default_config_static_selectorELNS0_4arch9wavefront6targetE1EEEvT1_.kd
    .uniform_work_group_size: 1
    .uses_dynamic_stack: false
    .vgpr_count:     0
    .vgpr_spill_count: 0
    .wavefront_size: 64
  - .agpr_count:     0
    .args:
      - .offset:         0
        .size:           136
        .value_kind:     by_value
    .group_segment_fixed_size: 0
    .kernarg_segment_align: 8
    .kernarg_segment_size: 136
    .language:       OpenCL C
    .language_version:
      - 2
      - 0
    .max_flat_workgroup_size: 512
    .name:           _ZN7rocprim17ROCPRIM_400000_NS6detail17trampoline_kernelINS0_14default_configENS1_25partition_config_selectorILNS1_17partition_subalgoE9EllbEEZZNS1_14partition_implILS5_9ELb0ES3_jPlS8_PNS0_10empty_typeENS0_5tupleIJS8_S9_EEENSB_IJS8_SA_EEENS0_18inequality_wrapperIZN2at6native12_GLOBAL__N_124unique_dim_cuda_templateImEESt5tupleIJNSF_6TensorESK_SK_EERKSK_lbbbEUlllE0_EEPmJS9_EEE10hipError_tPvRmT3_T4_T5_T6_T7_T9_mT8_P12ihipStream_tbDpT10_ENKUlT_T0_E_clISt17integral_constantIbLb0EES19_IbLb1EEEEDaS15_S16_EUlS15_E_NS1_11comp_targetILNS1_3genE8ELNS1_11target_archE1030ELNS1_3gpuE2ELNS1_3repE0EEENS1_30default_config_static_selectorELNS0_4arch9wavefront6targetE1EEEvT1_
    .private_segment_fixed_size: 0
    .sgpr_count:     4
    .sgpr_spill_count: 0
    .symbol:         _ZN7rocprim17ROCPRIM_400000_NS6detail17trampoline_kernelINS0_14default_configENS1_25partition_config_selectorILNS1_17partition_subalgoE9EllbEEZZNS1_14partition_implILS5_9ELb0ES3_jPlS8_PNS0_10empty_typeENS0_5tupleIJS8_S9_EEENSB_IJS8_SA_EEENS0_18inequality_wrapperIZN2at6native12_GLOBAL__N_124unique_dim_cuda_templateImEESt5tupleIJNSF_6TensorESK_SK_EERKSK_lbbbEUlllE0_EEPmJS9_EEE10hipError_tPvRmT3_T4_T5_T6_T7_T9_mT8_P12ihipStream_tbDpT10_ENKUlT_T0_E_clISt17integral_constantIbLb0EES19_IbLb1EEEEDaS15_S16_EUlS15_E_NS1_11comp_targetILNS1_3genE8ELNS1_11target_archE1030ELNS1_3gpuE2ELNS1_3repE0EEENS1_30default_config_static_selectorELNS0_4arch9wavefront6targetE1EEEvT1_.kd
    .uniform_work_group_size: 1
    .uses_dynamic_stack: false
    .vgpr_count:     0
    .vgpr_spill_count: 0
    .wavefront_size: 64
amdhsa.target:   amdgcn-amd-amdhsa--gfx90a
amdhsa.version:
  - 1
  - 2
...

	.end_amdgpu_metadata
